;; amdgpu-corpus repo=ROCm/rocSOLVER kind=compiled arch=gfx1100 opt=O3
	.text
	.amdgcn_target "amdgcn-amd-amdhsa--gfx1100"
	.amdhsa_code_object_version 6
	.section	.text._ZN9rocsolver6v33100L18getri_kernel_smallILi1E19rocblas_complex_numIdEPS3_EEvT1_iilPiilS6_bb,"axG",@progbits,_ZN9rocsolver6v33100L18getri_kernel_smallILi1E19rocblas_complex_numIdEPS3_EEvT1_iilPiilS6_bb,comdat
	.globl	_ZN9rocsolver6v33100L18getri_kernel_smallILi1E19rocblas_complex_numIdEPS3_EEvT1_iilPiilS6_bb ; -- Begin function _ZN9rocsolver6v33100L18getri_kernel_smallILi1E19rocblas_complex_numIdEPS3_EEvT1_iilPiilS6_bb
	.p2align	8
	.type	_ZN9rocsolver6v33100L18getri_kernel_smallILi1E19rocblas_complex_numIdEPS3_EEvT1_iilPiilS6_bb,@function
_ZN9rocsolver6v33100L18getri_kernel_smallILi1E19rocblas_complex_numIdEPS3_EEvT1_iilPiilS6_bb: ; @_ZN9rocsolver6v33100L18getri_kernel_smallILi1E19rocblas_complex_numIdEPS3_EEvT1_iilPiilS6_bb
; %bb.0:
	s_mov_b32 s12, 0
	s_mov_b32 s2, exec_lo
	v_cmpx_eq_u32_e32 0, v0
	s_cbranch_execz .LBB0_13
; %bb.1:
	s_clause 0x4
	s_load_b32 s2, s[0:1], 0x8
	s_load_b64 s[4:5], s[0:1], 0x10
	s_load_b32 s9, s[0:1], 0x38
	s_load_b64 s[6:7], s[0:1], 0x0
	s_load_b64 s[10:11], s[0:1], 0x30
	s_mov_b32 s8, s15
	s_waitcnt lgkmcnt(0)
	s_ashr_i32 s3, s2, 31
	s_mul_i32 s0, s15, s5
	s_bitcmp1_b32 s9, 0
	s_mul_hi_u32 s1, s15, s4
	s_cselect_b32 s13, -1, 0
	s_ashr_i32 s9, s15, 31
	s_add_i32 s1, s1, s0
	s_mul_i32 s5, s9, s4
	s_mul_i32 s0, s15, s4
	s_add_i32 s1, s1, s5
	s_delay_alu instid0(SALU_CYCLE_1) | instskip(NEXT) | instid1(SALU_CYCLE_1)
	s_lshl_b64 s[0:1], s[0:1], 4
	s_add_u32 s4, s6, s0
	s_addc_u32 s5, s7, s1
	s_lshl_b64 s[0:1], s[2:3], 4
	s_delay_alu instid0(SALU_CYCLE_1)
	s_add_u32 s2, s4, s0
	s_addc_u32 s3, s5, s1
	s_and_b32 vcc_lo, exec_lo, s13
	s_load_b128 s[4:7], s[2:3], 0x0
	s_cbranch_vccnz .LBB0_4
; %bb.2:
	s_lshl_b64 s[0:1], s[8:9], 2
	s_delay_alu instid0(SALU_CYCLE_1)
	s_add_u32 s0, s10, s0
	s_addc_u32 s1, s11, s1
	s_load_b32 s0, s[0:1], 0x0
	s_waitcnt lgkmcnt(0)
	s_cmp_eq_u32 s0, 0
	s_cselect_b32 s12, -1, 0
	s_cbranch_execz .LBB0_5
; %bb.3:
	s_waitcnt lgkmcnt(0)
	v_dual_mov_b32 v2, s6 :: v_dual_mov_b32 v3, s7
	v_dual_mov_b32 v0, s4 :: v_dual_mov_b32 v1, s5
	s_and_b32 vcc_lo, exec_lo, s12
	s_cbranch_vccnz .LBB0_12
	s_branch .LBB0_13
.LBB0_4:
.LBB0_5:
	s_waitcnt lgkmcnt(0)
	v_cmp_eq_f64_e64 s0, s[4:5], 0
	v_cmp_eq_f64_e64 s1, s[6:7], 0
	v_mov_b32_e32 v0, 0
	ds_store_b32 v0, v0
	s_waitcnt lgkmcnt(0)
	s_barrier
	buffer_gl0_inv
	s_and_b32 s0, s0, s1
	s_delay_alu instid0(SALU_CYCLE_1)
	s_and_not1_b32 vcc_lo, exec_lo, s0
	s_cbranch_vccnz .LBB0_10
; %bb.6:
	ds_load_b32 v1, v0
	s_mov_b32 s1, 0
	s_waitcnt lgkmcnt(0)
	v_cmp_ne_u32_e32 vcc_lo, 0, v1
	v_cmp_gt_i32_e64 s0, 2, v1
	s_delay_alu instid0(VALU_DEP_1) | instskip(NEXT) | instid1(SALU_CYCLE_1)
	s_and_b32 s0, vcc_lo, s0
	s_and_b32 vcc_lo, exec_lo, s0
	s_cbranch_vccnz .LBB0_10
; %bb.7:
	v_dual_mov_b32 v2, 1 :: v_dual_mov_b32 v3, 0
.LBB0_8:                                ; =>This Inner Loop Header: Depth=1
	ds_cmpstore_rtn_b32 v1, v3, v2, v1
	s_waitcnt lgkmcnt(0)
	v_cmp_ne_u32_e32 vcc_lo, 0, v1
	v_cmp_gt_i32_e64 s0, 2, v1
	s_delay_alu instid0(VALU_DEP_1) | instskip(NEXT) | instid1(SALU_CYCLE_1)
	s_and_b32 s0, vcc_lo, s0
	s_and_b32 s0, exec_lo, s0
	s_delay_alu instid0(SALU_CYCLE_1) | instskip(NEXT) | instid1(SALU_CYCLE_1)
	s_or_b32 s1, s0, s1
	s_and_not1_b32 exec_lo, exec_lo, s1
	s_cbranch_execnz .LBB0_8
; %bb.9:
	s_or_b32 exec_lo, exec_lo, s1
.LBB0_10:
	s_barrier
	buffer_gl0_inv
	ds_load_b32 v1, v0
	s_lshl_b64 s[0:1], s[8:9], 2
	s_delay_alu instid0(SALU_CYCLE_1)
	s_add_u32 s0, s10, s0
	s_addc_u32 s1, s11, s1
	s_waitcnt lgkmcnt(0)
	v_cmp_ne_u32_e32 vcc_lo, 0, v1
	global_store_b32 v0, v1, s[0:1]
	s_cbranch_vccz .LBB0_14
; %bb.11:
                                        ; implicit-def: $vgpr0_vgpr1
	s_and_b32 vcc_lo, exec_lo, s12
	s_cbranch_vccz .LBB0_13
.LBB0_12:
	v_mov_b32_e32 v4, 0
	global_store_b128 v4, v[0:3], s[2:3]
.LBB0_13:
	s_nop 0
	s_sendmsg sendmsg(MSG_DEALLOC_VGPRS)
	s_endpgm
.LBB0_14:
	v_cmp_lt_f64_e64 s0, s[4:5], 0
	v_cmp_lt_f64_e64 s8, s[6:7], 0
	s_xor_b32 s1, s5, 0x80000000
	s_delay_alu instid0(VALU_DEP_2) | instskip(SKIP_3) | instid1(VALU_DEP_1)
	s_and_b32 s0, s0, exec_lo
	s_cselect_b32 s1, s1, s5
	s_cselect_b32 s0, s4, s4
	s_xor_b32 s9, s7, 0x80000000
	s_and_b32 s8, s8, exec_lo
	s_cselect_b32 s9, s9, s7
	s_cselect_b32 s8, s6, s6
	s_delay_alu instid0(SALU_CYCLE_1) | instskip(NEXT) | instid1(VALU_DEP_1)
	v_cmp_ngt_f64_e64 s0, s[0:1], s[8:9]
	s_and_b32 vcc_lo, exec_lo, s0
	s_cbranch_vccz .LBB0_16
; %bb.15:
	v_div_scale_f64 v[0:1], null, s[6:7], s[6:7], s[4:5]
	v_div_scale_f64 v[6:7], vcc_lo, s[4:5], s[6:7], s[4:5]
	s_delay_alu instid0(VALU_DEP_2) | instskip(SKIP_2) | instid1(VALU_DEP_1)
	v_rcp_f64_e32 v[2:3], v[0:1]
	s_waitcnt_depctr 0xfff
	v_fma_f64 v[4:5], -v[0:1], v[2:3], 1.0
	v_fma_f64 v[2:3], v[2:3], v[4:5], v[2:3]
	s_delay_alu instid0(VALU_DEP_1) | instskip(NEXT) | instid1(VALU_DEP_1)
	v_fma_f64 v[4:5], -v[0:1], v[2:3], 1.0
	v_fma_f64 v[2:3], v[2:3], v[4:5], v[2:3]
	s_delay_alu instid0(VALU_DEP_1) | instskip(NEXT) | instid1(VALU_DEP_1)
	v_mul_f64 v[4:5], v[6:7], v[2:3]
	v_fma_f64 v[0:1], -v[0:1], v[4:5], v[6:7]
	s_delay_alu instid0(VALU_DEP_1) | instskip(NEXT) | instid1(VALU_DEP_1)
	v_div_fmas_f64 v[0:1], v[0:1], v[2:3], v[4:5]
	v_div_fixup_f64 v[0:1], v[0:1], s[6:7], s[4:5]
	s_delay_alu instid0(VALU_DEP_1) | instskip(NEXT) | instid1(VALU_DEP_1)
	v_fma_f64 v[2:3], s[4:5], v[0:1], s[6:7]
	v_div_scale_f64 v[4:5], null, v[2:3], v[2:3], 1.0
	s_delay_alu instid0(VALU_DEP_1) | instskip(SKIP_2) | instid1(VALU_DEP_1)
	v_rcp_f64_e32 v[6:7], v[4:5]
	s_waitcnt_depctr 0xfff
	v_fma_f64 v[8:9], -v[4:5], v[6:7], 1.0
	v_fma_f64 v[6:7], v[6:7], v[8:9], v[6:7]
	s_delay_alu instid0(VALU_DEP_1) | instskip(NEXT) | instid1(VALU_DEP_1)
	v_fma_f64 v[8:9], -v[4:5], v[6:7], 1.0
	v_fma_f64 v[6:7], v[6:7], v[8:9], v[6:7]
	v_div_scale_f64 v[8:9], vcc_lo, 1.0, v[2:3], 1.0
	s_delay_alu instid0(VALU_DEP_1) | instskip(NEXT) | instid1(VALU_DEP_1)
	v_mul_f64 v[10:11], v[8:9], v[6:7]
	v_fma_f64 v[4:5], -v[4:5], v[10:11], v[8:9]
	s_delay_alu instid0(VALU_DEP_1) | instskip(NEXT) | instid1(VALU_DEP_1)
	v_div_fmas_f64 v[4:5], v[4:5], v[6:7], v[10:11]
	v_div_fixup_f64 v[2:3], v[4:5], v[2:3], 1.0
	s_delay_alu instid0(VALU_DEP_1)
	v_mul_f64 v[0:1], v[0:1], v[2:3]
	v_xor_b32_e32 v3, 0x80000000, v3
	s_cbranch_execz .LBB0_17
	s_branch .LBB0_18
.LBB0_16:
                                        ; implicit-def: $vgpr0_vgpr1
.LBB0_17:
	v_div_scale_f64 v[0:1], null, s[4:5], s[4:5], s[6:7]
	v_div_scale_f64 v[6:7], vcc_lo, s[6:7], s[4:5], s[6:7]
	s_delay_alu instid0(VALU_DEP_2) | instskip(SKIP_2) | instid1(VALU_DEP_1)
	v_rcp_f64_e32 v[2:3], v[0:1]
	s_waitcnt_depctr 0xfff
	v_fma_f64 v[4:5], -v[0:1], v[2:3], 1.0
	v_fma_f64 v[2:3], v[2:3], v[4:5], v[2:3]
	s_delay_alu instid0(VALU_DEP_1) | instskip(NEXT) | instid1(VALU_DEP_1)
	v_fma_f64 v[4:5], -v[0:1], v[2:3], 1.0
	v_fma_f64 v[2:3], v[2:3], v[4:5], v[2:3]
	s_delay_alu instid0(VALU_DEP_1) | instskip(NEXT) | instid1(VALU_DEP_1)
	v_mul_f64 v[4:5], v[6:7], v[2:3]
	v_fma_f64 v[0:1], -v[0:1], v[4:5], v[6:7]
	s_delay_alu instid0(VALU_DEP_1) | instskip(NEXT) | instid1(VALU_DEP_1)
	v_div_fmas_f64 v[0:1], v[0:1], v[2:3], v[4:5]
	v_div_fixup_f64 v[2:3], v[0:1], s[4:5], s[6:7]
	s_delay_alu instid0(VALU_DEP_1) | instskip(NEXT) | instid1(VALU_DEP_1)
	v_fma_f64 v[0:1], s[6:7], v[2:3], s[4:5]
	v_div_scale_f64 v[4:5], null, v[0:1], v[0:1], 1.0
	s_delay_alu instid0(VALU_DEP_1) | instskip(SKIP_2) | instid1(VALU_DEP_1)
	v_rcp_f64_e32 v[6:7], v[4:5]
	s_waitcnt_depctr 0xfff
	v_fma_f64 v[8:9], -v[4:5], v[6:7], 1.0
	v_fma_f64 v[6:7], v[6:7], v[8:9], v[6:7]
	s_delay_alu instid0(VALU_DEP_1) | instskip(NEXT) | instid1(VALU_DEP_1)
	v_fma_f64 v[8:9], -v[4:5], v[6:7], 1.0
	v_fma_f64 v[6:7], v[6:7], v[8:9], v[6:7]
	v_div_scale_f64 v[8:9], vcc_lo, 1.0, v[0:1], 1.0
	s_delay_alu instid0(VALU_DEP_1) | instskip(NEXT) | instid1(VALU_DEP_1)
	v_mul_f64 v[10:11], v[8:9], v[6:7]
	v_fma_f64 v[4:5], -v[4:5], v[10:11], v[8:9]
	s_delay_alu instid0(VALU_DEP_1) | instskip(NEXT) | instid1(VALU_DEP_1)
	v_div_fmas_f64 v[4:5], v[4:5], v[6:7], v[10:11]
	v_div_fixup_f64 v[0:1], v[4:5], v[0:1], 1.0
	s_delay_alu instid0(VALU_DEP_1)
	v_mul_f64 v[2:3], v[2:3], -v[0:1]
.LBB0_18:
	s_cbranch_execnz .LBB0_12
	s_branch .LBB0_13
	.section	.rodata,"a",@progbits
	.p2align	6, 0x0
	.amdhsa_kernel _ZN9rocsolver6v33100L18getri_kernel_smallILi1E19rocblas_complex_numIdEPS3_EEvT1_iilPiilS6_bb
		.amdhsa_group_segment_fixed_size 4
		.amdhsa_private_segment_fixed_size 0
		.amdhsa_kernarg_size 60
		.amdhsa_user_sgpr_count 15
		.amdhsa_user_sgpr_dispatch_ptr 0
		.amdhsa_user_sgpr_queue_ptr 0
		.amdhsa_user_sgpr_kernarg_segment_ptr 1
		.amdhsa_user_sgpr_dispatch_id 0
		.amdhsa_user_sgpr_private_segment_size 0
		.amdhsa_wavefront_size32 1
		.amdhsa_uses_dynamic_stack 0
		.amdhsa_enable_private_segment 0
		.amdhsa_system_sgpr_workgroup_id_x 1
		.amdhsa_system_sgpr_workgroup_id_y 0
		.amdhsa_system_sgpr_workgroup_id_z 0
		.amdhsa_system_sgpr_workgroup_info 0
		.amdhsa_system_vgpr_workitem_id 0
		.amdhsa_next_free_vgpr 12
		.amdhsa_next_free_sgpr 16
		.amdhsa_reserve_vcc 1
		.amdhsa_float_round_mode_32 0
		.amdhsa_float_round_mode_16_64 0
		.amdhsa_float_denorm_mode_32 3
		.amdhsa_float_denorm_mode_16_64 3
		.amdhsa_dx10_clamp 1
		.amdhsa_ieee_mode 1
		.amdhsa_fp16_overflow 0
		.amdhsa_workgroup_processor_mode 1
		.amdhsa_memory_ordered 1
		.amdhsa_forward_progress 0
		.amdhsa_shared_vgpr_count 0
		.amdhsa_exception_fp_ieee_invalid_op 0
		.amdhsa_exception_fp_denorm_src 0
		.amdhsa_exception_fp_ieee_div_zero 0
		.amdhsa_exception_fp_ieee_overflow 0
		.amdhsa_exception_fp_ieee_underflow 0
		.amdhsa_exception_fp_ieee_inexact 0
		.amdhsa_exception_int_div_zero 0
	.end_amdhsa_kernel
	.section	.text._ZN9rocsolver6v33100L18getri_kernel_smallILi1E19rocblas_complex_numIdEPS3_EEvT1_iilPiilS6_bb,"axG",@progbits,_ZN9rocsolver6v33100L18getri_kernel_smallILi1E19rocblas_complex_numIdEPS3_EEvT1_iilPiilS6_bb,comdat
.Lfunc_end0:
	.size	_ZN9rocsolver6v33100L18getri_kernel_smallILi1E19rocblas_complex_numIdEPS3_EEvT1_iilPiilS6_bb, .Lfunc_end0-_ZN9rocsolver6v33100L18getri_kernel_smallILi1E19rocblas_complex_numIdEPS3_EEvT1_iilPiilS6_bb
                                        ; -- End function
	.section	.AMDGPU.csdata,"",@progbits
; Kernel info:
; codeLenInByte = 1056
; NumSgprs: 18
; NumVgprs: 12
; ScratchSize: 0
; MemoryBound: 0
; FloatMode: 240
; IeeeMode: 1
; LDSByteSize: 4 bytes/workgroup (compile time only)
; SGPRBlocks: 2
; VGPRBlocks: 1
; NumSGPRsForWavesPerEU: 18
; NumVGPRsForWavesPerEU: 12
; Occupancy: 16
; WaveLimiterHint : 0
; COMPUTE_PGM_RSRC2:SCRATCH_EN: 0
; COMPUTE_PGM_RSRC2:USER_SGPR: 15
; COMPUTE_PGM_RSRC2:TRAP_HANDLER: 0
; COMPUTE_PGM_RSRC2:TGID_X_EN: 1
; COMPUTE_PGM_RSRC2:TGID_Y_EN: 0
; COMPUTE_PGM_RSRC2:TGID_Z_EN: 0
; COMPUTE_PGM_RSRC2:TIDIG_COMP_CNT: 0
	.section	.text._ZN9rocsolver6v33100L18getri_kernel_smallILi2E19rocblas_complex_numIdEPS3_EEvT1_iilPiilS6_bb,"axG",@progbits,_ZN9rocsolver6v33100L18getri_kernel_smallILi2E19rocblas_complex_numIdEPS3_EEvT1_iilPiilS6_bb,comdat
	.globl	_ZN9rocsolver6v33100L18getri_kernel_smallILi2E19rocblas_complex_numIdEPS3_EEvT1_iilPiilS6_bb ; -- Begin function _ZN9rocsolver6v33100L18getri_kernel_smallILi2E19rocblas_complex_numIdEPS3_EEvT1_iilPiilS6_bb
	.p2align	8
	.type	_ZN9rocsolver6v33100L18getri_kernel_smallILi2E19rocblas_complex_numIdEPS3_EEvT1_iilPiilS6_bb,@function
_ZN9rocsolver6v33100L18getri_kernel_smallILi2E19rocblas_complex_numIdEPS3_EEvT1_iilPiilS6_bb: ; @_ZN9rocsolver6v33100L18getri_kernel_smallILi2E19rocblas_complex_numIdEPS3_EEvT1_iilPiilS6_bb
; %bb.0:
	v_and_b32_e32 v17, 0x3ff, v0
	s_mov_b32 s4, exec_lo
	s_delay_alu instid0(VALU_DEP_1)
	v_cmpx_gt_u32_e32 2, v17
	s_cbranch_execz .LBB1_22
; %bb.1:
	s_clause 0x2
	s_load_b32 s17, s[2:3], 0x38
	s_load_b128 s[8:11], s[2:3], 0x10
	s_load_b128 s[4:7], s[2:3], 0x28
	s_mov_b32 s14, s15
	s_waitcnt lgkmcnt(0)
	s_bitcmp1_b32 s17, 8
	s_cselect_b32 s16, -1, 0
	s_bfe_u32 s12, s17, 0x10008
	s_ashr_i32 s15, s15, 31
	s_cmp_eq_u32 s12, 0
                                        ; implicit-def: $sgpr12_sgpr13
	s_cbranch_scc1 .LBB1_3
; %bb.2:
	s_load_b32 s12, s[2:3], 0x20
	s_mul_i32 s5, s14, s5
	s_mul_hi_u32 s13, s14, s4
	s_mul_i32 s18, s15, s4
	s_add_i32 s5, s13, s5
	s_mul_i32 s4, s14, s4
	s_add_i32 s5, s5, s18
	s_delay_alu instid0(SALU_CYCLE_1)
	s_lshl_b64 s[4:5], s[4:5], 2
	s_waitcnt lgkmcnt(0)
	s_ashr_i32 s13, s12, 31
	s_add_u32 s10, s10, s4
	s_addc_u32 s11, s11, s5
	s_lshl_b64 s[4:5], s[12:13], 2
	s_delay_alu instid0(SALU_CYCLE_1)
	s_add_u32 s12, s10, s4
	s_addc_u32 s13, s11, s5
.LBB1_3:
	s_load_b128 s[20:23], s[2:3], 0x0
	s_mul_i32 s2, s14, s9
	s_mul_hi_u32 s3, s14, s8
	s_mul_i32 s4, s15, s8
	s_add_i32 s3, s3, s2
	s_mul_i32 s2, s14, s8
	s_add_i32 s3, s3, s4
	v_lshlrev_b32_e32 v19, 4, v17
	s_lshl_b64 s[2:3], s[2:3], 4
	v_add_nc_u32_e64 v18, 0, 16
	s_waitcnt lgkmcnt(0)
	s_ashr_i32 s5, s22, 31
	s_mov_b32 s4, s22
	s_add_u32 s8, s20, s2
	s_addc_u32 s9, s21, s3
	s_lshl_b64 s[2:3], s[4:5], 4
	s_mov_b32 s4, s23
	s_add_u32 s2, s8, s2
	s_addc_u32 s3, s9, s3
	v_add_co_u32 v13, s8, s2, v19
	s_ashr_i32 s5, s23, 31
	v_add_co_ci_u32_e64 v14, null, s3, 0, s8
	s_lshl_b64 s[4:5], s[4:5], 4
	s_bitcmp0_b32 s17, 0
	v_add_co_u32 v15, vcc_lo, v13, s4
	s_delay_alu instid0(VALU_DEP_2)
	v_add_co_ci_u32_e32 v16, vcc_lo, s5, v14, vcc_lo
	s_clause 0x1
	global_load_b128 v[1:4], v19, s[2:3]
	global_load_b128 v[5:8], v[15:16], off
	s_mov_b32 s3, -1
	s_waitcnt vmcnt(1)
	scratch_store_b128 off, v[1:4], off
	s_waitcnt vmcnt(0)
	scratch_store_b128 off, v[5:8], off offset:16
	s_cbranch_scc1 .LBB1_20
; %bb.4:
	v_cmp_eq_u32_e64 s2, 0, v17
	s_delay_alu instid0(VALU_DEP_1)
	s_and_saveexec_b32 s3, s2
	s_cbranch_execz .LBB1_6
; %bb.5:
	v_mov_b32_e32 v1, 0
	ds_store_b32 v1, v1 offset:64
.LBB1_6:
	s_or_b32 exec_lo, exec_lo, s3
	s_waitcnt lgkmcnt(0)
	s_waitcnt_vscnt null, 0x0
	s_barrier
	buffer_gl0_inv
	scratch_load_b128 v[1:4], v19, off
	s_waitcnt vmcnt(0)
	v_cmp_eq_f64_e32 vcc_lo, 0, v[1:2]
	v_cmp_eq_f64_e64 s3, 0, v[3:4]
	s_delay_alu instid0(VALU_DEP_1) | instskip(NEXT) | instid1(SALU_CYCLE_1)
	s_and_b32 s3, vcc_lo, s3
	s_and_saveexec_b32 s4, s3
	s_cbranch_execz .LBB1_10
; %bb.7:
	v_mov_b32_e32 v1, 0
	s_mov_b32 s5, 0
	ds_load_b32 v2, v1 offset:64
	s_waitcnt lgkmcnt(0)
	v_readfirstlane_b32 s3, v2
	v_add_nc_u32_e32 v2, 1, v17
	s_delay_alu instid0(VALU_DEP_2) | instskip(NEXT) | instid1(VALU_DEP_1)
	s_cmp_eq_u32 s3, 0
	v_cmp_gt_i32_e32 vcc_lo, s3, v2
	s_cselect_b32 s8, -1, 0
	s_delay_alu instid0(SALU_CYCLE_1) | instskip(NEXT) | instid1(SALU_CYCLE_1)
	s_or_b32 s8, s8, vcc_lo
	s_and_b32 exec_lo, exec_lo, s8
	s_cbranch_execz .LBB1_10
; %bb.8:
	v_mov_b32_e32 v3, s3
.LBB1_9:                                ; =>This Inner Loop Header: Depth=1
	ds_cmpstore_rtn_b32 v3, v1, v2, v3 offset:64
	s_waitcnt lgkmcnt(0)
	v_cmp_ne_u32_e32 vcc_lo, 0, v3
	v_cmp_le_i32_e64 s3, v3, v2
	s_delay_alu instid0(VALU_DEP_1) | instskip(NEXT) | instid1(SALU_CYCLE_1)
	s_and_b32 s3, vcc_lo, s3
	s_and_b32 s3, exec_lo, s3
	s_delay_alu instid0(SALU_CYCLE_1) | instskip(NEXT) | instid1(SALU_CYCLE_1)
	s_or_b32 s5, s3, s5
	s_and_not1_b32 exec_lo, exec_lo, s5
	s_cbranch_execnz .LBB1_9
.LBB1_10:
	s_or_b32 exec_lo, exec_lo, s4
	v_mov_b32_e32 v1, 0
	s_barrier
	buffer_gl0_inv
	ds_load_b32 v2, v1 offset:64
	s_and_saveexec_b32 s3, s2
	s_cbranch_execz .LBB1_12
; %bb.11:
	s_lshl_b64 s[4:5], s[14:15], 2
	s_delay_alu instid0(SALU_CYCLE_1)
	s_add_u32 s4, s6, s4
	s_addc_u32 s5, s7, s5
	s_waitcnt lgkmcnt(0)
	global_store_b32 v1, v2, s[4:5]
.LBB1_12:
	s_or_b32 exec_lo, exec_lo, s3
	s_waitcnt lgkmcnt(0)
	v_cmp_ne_u32_e32 vcc_lo, 0, v2
	s_mov_b32 s3, 0
	s_cbranch_vccnz .LBB1_20
; %bb.13:
	v_add_nc_u32_e32 v11, 0, v19
                                        ; implicit-def: $vgpr9_vgpr10
	scratch_load_b128 v[1:4], v11, off
	s_waitcnt vmcnt(0)
	v_cmp_gt_f64_e32 vcc_lo, 0, v[1:2]
	v_xor_b32_e32 v6, 0x80000000, v2
	v_xor_b32_e32 v7, 0x80000000, v4
	s_delay_alu instid0(VALU_DEP_2) | instskip(SKIP_1) | instid1(VALU_DEP_3)
	v_cndmask_b32_e32 v6, v2, v6, vcc_lo
	v_cmp_gt_f64_e32 vcc_lo, 0, v[3:4]
	v_dual_mov_b32 v5, v1 :: v_dual_cndmask_b32 v8, v4, v7
	v_mov_b32_e32 v7, v3
	s_delay_alu instid0(VALU_DEP_1) | instskip(SKIP_1) | instid1(SALU_CYCLE_1)
	v_cmp_ngt_f64_e32 vcc_lo, v[5:6], v[7:8]
                                        ; implicit-def: $vgpr5_vgpr6
	s_and_saveexec_b32 s3, vcc_lo
	s_xor_b32 s3, exec_lo, s3
	s_cbranch_execz .LBB1_15
; %bb.14:
	v_div_scale_f64 v[5:6], null, v[3:4], v[3:4], v[1:2]
	v_div_scale_f64 v[20:21], vcc_lo, v[1:2], v[3:4], v[1:2]
	s_delay_alu instid0(VALU_DEP_2) | instskip(SKIP_2) | instid1(VALU_DEP_1)
	v_rcp_f64_e32 v[7:8], v[5:6]
	s_waitcnt_depctr 0xfff
	v_fma_f64 v[9:10], -v[5:6], v[7:8], 1.0
	v_fma_f64 v[7:8], v[7:8], v[9:10], v[7:8]
	s_delay_alu instid0(VALU_DEP_1) | instskip(NEXT) | instid1(VALU_DEP_1)
	v_fma_f64 v[9:10], -v[5:6], v[7:8], 1.0
	v_fma_f64 v[7:8], v[7:8], v[9:10], v[7:8]
	s_delay_alu instid0(VALU_DEP_1) | instskip(NEXT) | instid1(VALU_DEP_1)
	v_mul_f64 v[9:10], v[20:21], v[7:8]
	v_fma_f64 v[5:6], -v[5:6], v[9:10], v[20:21]
	s_delay_alu instid0(VALU_DEP_1) | instskip(NEXT) | instid1(VALU_DEP_1)
	v_div_fmas_f64 v[5:6], v[5:6], v[7:8], v[9:10]
	v_div_fixup_f64 v[5:6], v[5:6], v[3:4], v[1:2]
	s_delay_alu instid0(VALU_DEP_1) | instskip(NEXT) | instid1(VALU_DEP_1)
	v_fma_f64 v[1:2], v[1:2], v[5:6], v[3:4]
	v_div_scale_f64 v[3:4], null, v[1:2], v[1:2], 1.0
	v_div_scale_f64 v[20:21], vcc_lo, 1.0, v[1:2], 1.0
	s_delay_alu instid0(VALU_DEP_2) | instskip(SKIP_2) | instid1(VALU_DEP_1)
	v_rcp_f64_e32 v[7:8], v[3:4]
	s_waitcnt_depctr 0xfff
	v_fma_f64 v[9:10], -v[3:4], v[7:8], 1.0
	v_fma_f64 v[7:8], v[7:8], v[9:10], v[7:8]
	s_delay_alu instid0(VALU_DEP_1) | instskip(NEXT) | instid1(VALU_DEP_1)
	v_fma_f64 v[9:10], -v[3:4], v[7:8], 1.0
	v_fma_f64 v[7:8], v[7:8], v[9:10], v[7:8]
	s_delay_alu instid0(VALU_DEP_1) | instskip(NEXT) | instid1(VALU_DEP_1)
	v_mul_f64 v[9:10], v[20:21], v[7:8]
	v_fma_f64 v[3:4], -v[3:4], v[9:10], v[20:21]
	s_delay_alu instid0(VALU_DEP_1) | instskip(NEXT) | instid1(VALU_DEP_1)
	v_div_fmas_f64 v[3:4], v[3:4], v[7:8], v[9:10]
	v_div_fixup_f64 v[7:8], v[3:4], v[1:2], 1.0
                                        ; implicit-def: $vgpr1_vgpr2
	s_delay_alu instid0(VALU_DEP_1) | instskip(SKIP_1) | instid1(VALU_DEP_2)
	v_mul_f64 v[5:6], v[5:6], v[7:8]
	v_xor_b32_e32 v8, 0x80000000, v8
	v_xor_b32_e32 v10, 0x80000000, v6
	s_delay_alu instid0(VALU_DEP_3)
	v_mov_b32_e32 v9, v5
.LBB1_15:
	s_and_not1_saveexec_b32 s3, s3
	s_cbranch_execz .LBB1_17
; %bb.16:
	v_div_scale_f64 v[5:6], null, v[1:2], v[1:2], v[3:4]
	v_div_scale_f64 v[20:21], vcc_lo, v[3:4], v[1:2], v[3:4]
	s_delay_alu instid0(VALU_DEP_2) | instskip(SKIP_2) | instid1(VALU_DEP_1)
	v_rcp_f64_e32 v[7:8], v[5:6]
	s_waitcnt_depctr 0xfff
	v_fma_f64 v[9:10], -v[5:6], v[7:8], 1.0
	v_fma_f64 v[7:8], v[7:8], v[9:10], v[7:8]
	s_delay_alu instid0(VALU_DEP_1) | instskip(NEXT) | instid1(VALU_DEP_1)
	v_fma_f64 v[9:10], -v[5:6], v[7:8], 1.0
	v_fma_f64 v[7:8], v[7:8], v[9:10], v[7:8]
	s_delay_alu instid0(VALU_DEP_1) | instskip(NEXT) | instid1(VALU_DEP_1)
	v_mul_f64 v[9:10], v[20:21], v[7:8]
	v_fma_f64 v[5:6], -v[5:6], v[9:10], v[20:21]
	s_delay_alu instid0(VALU_DEP_1) | instskip(NEXT) | instid1(VALU_DEP_1)
	v_div_fmas_f64 v[5:6], v[5:6], v[7:8], v[9:10]
	v_div_fixup_f64 v[7:8], v[5:6], v[1:2], v[3:4]
	s_delay_alu instid0(VALU_DEP_1) | instskip(NEXT) | instid1(VALU_DEP_1)
	v_fma_f64 v[1:2], v[3:4], v[7:8], v[1:2]
	v_div_scale_f64 v[3:4], null, v[1:2], v[1:2], 1.0
	s_delay_alu instid0(VALU_DEP_1) | instskip(SKIP_2) | instid1(VALU_DEP_1)
	v_rcp_f64_e32 v[5:6], v[3:4]
	s_waitcnt_depctr 0xfff
	v_fma_f64 v[9:10], -v[3:4], v[5:6], 1.0
	v_fma_f64 v[5:6], v[5:6], v[9:10], v[5:6]
	s_delay_alu instid0(VALU_DEP_1) | instskip(NEXT) | instid1(VALU_DEP_1)
	v_fma_f64 v[9:10], -v[3:4], v[5:6], 1.0
	v_fma_f64 v[5:6], v[5:6], v[9:10], v[5:6]
	v_div_scale_f64 v[9:10], vcc_lo, 1.0, v[1:2], 1.0
	s_delay_alu instid0(VALU_DEP_1) | instskip(NEXT) | instid1(VALU_DEP_1)
	v_mul_f64 v[20:21], v[9:10], v[5:6]
	v_fma_f64 v[3:4], -v[3:4], v[20:21], v[9:10]
	s_delay_alu instid0(VALU_DEP_1) | instskip(NEXT) | instid1(VALU_DEP_1)
	v_div_fmas_f64 v[3:4], v[3:4], v[5:6], v[20:21]
	v_div_fixup_f64 v[5:6], v[3:4], v[1:2], 1.0
	s_delay_alu instid0(VALU_DEP_1)
	v_mul_f64 v[7:8], v[7:8], -v[5:6]
	v_xor_b32_e32 v10, 0x80000000, v6
	v_mov_b32_e32 v9, v5
.LBB1_17:
	s_or_b32 exec_lo, exec_lo, s3
	scratch_store_b128 v11, v[5:8], off
	scratch_load_b128 v[1:4], v18, off
	v_xor_b32_e32 v12, 0x80000000, v8
	v_mov_b32_e32 v11, v7
	ds_store_b128 v19, v[9:12]
	s_waitcnt vmcnt(0)
	ds_store_b128 v19, v[1:4] offset:32
	s_waitcnt lgkmcnt(0)
	s_waitcnt_vscnt null, 0x0
	s_barrier
	buffer_gl0_inv
	s_and_saveexec_b32 s3, s2
	s_cbranch_execz .LBB1_19
; %bb.18:
	scratch_load_b128 v[1:4], off, off
	v_mov_b32_e32 v11, 0
	ds_load_b128 v[5:8], v11 offset:32
	s_waitcnt vmcnt(0) lgkmcnt(0)
	v_mul_f64 v[9:10], v[5:6], v[3:4]
	v_mul_f64 v[3:4], v[7:8], v[3:4]
	s_delay_alu instid0(VALU_DEP_2) | instskip(NEXT) | instid1(VALU_DEP_2)
	v_fma_f64 v[7:8], v[7:8], v[1:2], v[9:10]
	v_fma_f64 v[1:2], v[5:6], v[1:2], -v[3:4]
	s_delay_alu instid0(VALU_DEP_2) | instskip(NEXT) | instid1(VALU_DEP_2)
	v_add_f64 v[5:6], v[7:8], 0
	v_add_f64 v[7:8], v[1:2], 0
	ds_load_b128 v[1:4], v11 offset:16
	s_waitcnt lgkmcnt(0)
	v_mul_f64 v[9:10], v[5:6], v[3:4]
	v_mul_f64 v[11:12], v[7:8], v[3:4]
	s_delay_alu instid0(VALU_DEP_2) | instskip(NEXT) | instid1(VALU_DEP_2)
	v_fma_f64 v[3:4], v[7:8], v[1:2], -v[9:10]
	v_fma_f64 v[5:6], v[5:6], v[1:2], v[11:12]
	scratch_store_b128 off, v[3:6], off offset:16
.LBB1_19:
	s_or_b32 exec_lo, exec_lo, s3
	s_mov_b32 s3, -1
	s_waitcnt_vscnt null, 0x0
	s_barrier
	buffer_gl0_inv
.LBB1_20:
	s_and_b32 vcc_lo, exec_lo, s3
	s_cbranch_vccz .LBB1_22
; %bb.21:
	s_lshl_b64 s[2:3], s[14:15], 2
	v_mov_b32_e32 v1, 0
	s_add_u32 s2, s6, s2
	s_addc_u32 s3, s7, s3
	global_load_b32 v1, v1, s[2:3]
	s_waitcnt vmcnt(0)
	v_cmp_ne_u32_e32 vcc_lo, 0, v1
	s_cbranch_vccz .LBB1_23
.LBB1_22:
	s_endpgm
.LBB1_23:
	s_mov_b32 s2, exec_lo
	v_cmpx_eq_u32_e32 1, v17
	s_cbranch_execz .LBB1_25
; %bb.24:
	scratch_load_b128 v[1:4], off, off
	v_mov_b32_e32 v5, 0
	s_delay_alu instid0(VALU_DEP_1)
	v_mov_b32_e32 v6, v5
	v_mov_b32_e32 v7, v5
	;; [unrolled: 1-line block ×3, first 2 shown]
	scratch_store_b128 off, v[5:8], off
	s_waitcnt vmcnt(0)
	ds_store_b128 v5, v[1:4] offset:48
.LBB1_25:
	s_or_b32 exec_lo, exec_lo, s2
	s_waitcnt lgkmcnt(0)
	s_waitcnt_vscnt null, 0x0
	s_barrier
	buffer_gl0_inv
	s_clause 0x1
	scratch_load_b128 v[1:4], off, off offset:16
	scratch_load_b128 v[5:8], off, off
	v_mov_b32_e32 v9, 0
	s_and_not1_b32 vcc_lo, exec_lo, s16
	ds_load_b128 v[9:12], v9 offset:48
	s_waitcnt vmcnt(1) lgkmcnt(0)
	v_mul_f64 v[19:20], v[11:12], v[3:4]
	v_mul_f64 v[3:4], v[9:10], v[3:4]
	s_delay_alu instid0(VALU_DEP_2) | instskip(NEXT) | instid1(VALU_DEP_2)
	v_fma_f64 v[9:10], v[9:10], v[1:2], -v[19:20]
	v_fma_f64 v[1:2], v[11:12], v[1:2], v[3:4]
	s_delay_alu instid0(VALU_DEP_2) | instskip(NEXT) | instid1(VALU_DEP_2)
	v_add_f64 v[3:4], v[9:10], 0
	v_add_f64 v[9:10], v[1:2], 0
	s_waitcnt vmcnt(0)
	s_delay_alu instid0(VALU_DEP_2) | instskip(NEXT) | instid1(VALU_DEP_2)
	v_add_f64 v[1:2], v[5:6], -v[3:4]
	v_add_f64 v[3:4], v[7:8], -v[9:10]
	scratch_store_b128 off, v[1:4], off
	s_cbranch_vccnz .LBB1_29
; %bb.26:
	v_dual_mov_b32 v1, s12 :: v_dual_mov_b32 v2, s13
	s_mov_b32 s2, exec_lo
	flat_load_b32 v1, v[1:2]
	s_waitcnt vmcnt(0) lgkmcnt(0)
	v_cmpx_ne_u32_e32 1, v1
	s_cbranch_execz .LBB1_28
; %bb.27:
	v_lshl_add_u32 v9, v1, 4, 0
	s_load_b64 s[0:1], s[0:1], 0x4
	v_bfe_u32 v10, v0, 10, 10
	v_bfe_u32 v0, v0, 20, 10
	scratch_load_b128 v[1:4], off, off
	scratch_load_b128 v[5:8], v9, off offset:-16
	s_waitcnt lgkmcnt(0)
	v_mul_u32_u24_e32 v10, s1, v10
	s_lshr_b32 s0, s0, 16
	s_delay_alu instid0(SALU_CYCLE_1)
	s_mul_i32 s0, s0, s1
	s_delay_alu instid0(VALU_DEP_1) | instid1(SALU_CYCLE_1)
	v_mad_u32_u24 v10, s0, v17, v10
	s_delay_alu instid0(VALU_DEP_1)
	v_add_lshl_u32 v0, v10, v0, 4
	s_waitcnt vmcnt(1)
	ds_store_2addr_b64 v0, v[1:2], v[3:4] offset0:9 offset1:10
	s_waitcnt vmcnt(0)
	scratch_store_b128 off, v[5:8], off
	scratch_store_b128 v9, v[1:4], off offset:-16
.LBB1_28:
	s_or_b32 exec_lo, exec_lo, s2
.LBB1_29:
	scratch_load_b128 v[0:3], off, off
	scratch_load_b128 v[4:7], v18, off
	s_waitcnt vmcnt(1)
	global_store_b128 v[13:14], v[0:3], off
	s_waitcnt vmcnt(0)
	global_store_b128 v[15:16], v[4:7], off
	s_endpgm
	.section	.rodata,"a",@progbits
	.p2align	6, 0x0
	.amdhsa_kernel _ZN9rocsolver6v33100L18getri_kernel_smallILi2E19rocblas_complex_numIdEPS3_EEvT1_iilPiilS6_bb
		.amdhsa_group_segment_fixed_size 1096
		.amdhsa_private_segment_fixed_size 48
		.amdhsa_kernarg_size 60
		.amdhsa_user_sgpr_count 15
		.amdhsa_user_sgpr_dispatch_ptr 1
		.amdhsa_user_sgpr_queue_ptr 0
		.amdhsa_user_sgpr_kernarg_segment_ptr 1
		.amdhsa_user_sgpr_dispatch_id 0
		.amdhsa_user_sgpr_private_segment_size 0
		.amdhsa_wavefront_size32 1
		.amdhsa_uses_dynamic_stack 0
		.amdhsa_enable_private_segment 1
		.amdhsa_system_sgpr_workgroup_id_x 1
		.amdhsa_system_sgpr_workgroup_id_y 0
		.amdhsa_system_sgpr_workgroup_id_z 0
		.amdhsa_system_sgpr_workgroup_info 0
		.amdhsa_system_vgpr_workitem_id 2
		.amdhsa_next_free_vgpr 22
		.amdhsa_next_free_sgpr 24
		.amdhsa_reserve_vcc 1
		.amdhsa_float_round_mode_32 0
		.amdhsa_float_round_mode_16_64 0
		.amdhsa_float_denorm_mode_32 3
		.amdhsa_float_denorm_mode_16_64 3
		.amdhsa_dx10_clamp 1
		.amdhsa_ieee_mode 1
		.amdhsa_fp16_overflow 0
		.amdhsa_workgroup_processor_mode 1
		.amdhsa_memory_ordered 1
		.amdhsa_forward_progress 0
		.amdhsa_shared_vgpr_count 0
		.amdhsa_exception_fp_ieee_invalid_op 0
		.amdhsa_exception_fp_denorm_src 0
		.amdhsa_exception_fp_ieee_div_zero 0
		.amdhsa_exception_fp_ieee_overflow 0
		.amdhsa_exception_fp_ieee_underflow 0
		.amdhsa_exception_fp_ieee_inexact 0
		.amdhsa_exception_int_div_zero 0
	.end_amdhsa_kernel
	.section	.text._ZN9rocsolver6v33100L18getri_kernel_smallILi2E19rocblas_complex_numIdEPS3_EEvT1_iilPiilS6_bb,"axG",@progbits,_ZN9rocsolver6v33100L18getri_kernel_smallILi2E19rocblas_complex_numIdEPS3_EEvT1_iilPiilS6_bb,comdat
.Lfunc_end1:
	.size	_ZN9rocsolver6v33100L18getri_kernel_smallILi2E19rocblas_complex_numIdEPS3_EEvT1_iilPiilS6_bb, .Lfunc_end1-_ZN9rocsolver6v33100L18getri_kernel_smallILi2E19rocblas_complex_numIdEPS3_EEvT1_iilPiilS6_bb
                                        ; -- End function
	.section	.AMDGPU.csdata,"",@progbits
; Kernel info:
; codeLenInByte = 1932
; NumSgprs: 26
; NumVgprs: 22
; ScratchSize: 48
; MemoryBound: 0
; FloatMode: 240
; IeeeMode: 1
; LDSByteSize: 1096 bytes/workgroup (compile time only)
; SGPRBlocks: 3
; VGPRBlocks: 2
; NumSGPRsForWavesPerEU: 26
; NumVGPRsForWavesPerEU: 22
; Occupancy: 16
; WaveLimiterHint : 0
; COMPUTE_PGM_RSRC2:SCRATCH_EN: 1
; COMPUTE_PGM_RSRC2:USER_SGPR: 15
; COMPUTE_PGM_RSRC2:TRAP_HANDLER: 0
; COMPUTE_PGM_RSRC2:TGID_X_EN: 1
; COMPUTE_PGM_RSRC2:TGID_Y_EN: 0
; COMPUTE_PGM_RSRC2:TGID_Z_EN: 0
; COMPUTE_PGM_RSRC2:TIDIG_COMP_CNT: 2
	.section	.text._ZN9rocsolver6v33100L18getri_kernel_smallILi3E19rocblas_complex_numIdEPS3_EEvT1_iilPiilS6_bb,"axG",@progbits,_ZN9rocsolver6v33100L18getri_kernel_smallILi3E19rocblas_complex_numIdEPS3_EEvT1_iilPiilS6_bb,comdat
	.globl	_ZN9rocsolver6v33100L18getri_kernel_smallILi3E19rocblas_complex_numIdEPS3_EEvT1_iilPiilS6_bb ; -- Begin function _ZN9rocsolver6v33100L18getri_kernel_smallILi3E19rocblas_complex_numIdEPS3_EEvT1_iilPiilS6_bb
	.p2align	8
	.type	_ZN9rocsolver6v33100L18getri_kernel_smallILi3E19rocblas_complex_numIdEPS3_EEvT1_iilPiilS6_bb,@function
_ZN9rocsolver6v33100L18getri_kernel_smallILi3E19rocblas_complex_numIdEPS3_EEvT1_iilPiilS6_bb: ; @_ZN9rocsolver6v33100L18getri_kernel_smallILi3E19rocblas_complex_numIdEPS3_EEvT1_iilPiilS6_bb
; %bb.0:
	s_mov_b32 s2, exec_lo
	v_cmpx_gt_u32_e32 3, v0
	s_cbranch_execz .LBB2_26
; %bb.1:
	s_clause 0x2
	s_load_b32 s17, s[0:1], 0x38
	s_load_b128 s[8:11], s[0:1], 0x10
	s_load_b128 s[4:7], s[0:1], 0x28
	s_mov_b32 s14, s15
                                        ; implicit-def: $sgpr12_sgpr13
	s_waitcnt lgkmcnt(0)
	s_bitcmp1_b32 s17, 8
	s_cselect_b32 s16, -1, 0
	s_bfe_u32 s2, s17, 0x10008
	s_ashr_i32 s15, s15, 31
	s_cmp_eq_u32 s2, 0
	s_cbranch_scc1 .LBB2_3
; %bb.2:
	s_load_b32 s2, s[0:1], 0x20
	s_mul_i32 s3, s14, s5
	s_mul_hi_u32 s5, s14, s4
	s_mul_i32 s12, s15, s4
	s_add_i32 s3, s5, s3
	s_mul_i32 s4, s14, s4
	s_add_i32 s5, s3, s12
	s_delay_alu instid0(SALU_CYCLE_1)
	s_lshl_b64 s[4:5], s[4:5], 2
	s_waitcnt lgkmcnt(0)
	s_ashr_i32 s3, s2, 31
	s_add_u32 s4, s10, s4
	s_addc_u32 s5, s11, s5
	s_lshl_b64 s[2:3], s[2:3], 2
	s_delay_alu instid0(SALU_CYCLE_1)
	s_add_u32 s12, s4, s2
	s_addc_u32 s13, s5, s3
.LBB2_3:
	s_load_b128 s[0:3], s[0:1], 0x0
	s_mul_i32 s4, s14, s9
	s_mul_hi_u32 s5, s14, s8
	s_mul_i32 s9, s15, s8
	s_add_i32 s5, s5, s4
	s_mul_i32 s4, s14, s8
	s_add_i32 s5, s5, s9
	v_lshlrev_b32_e32 v21, 4, v0
	s_lshl_b64 s[4:5], s[4:5], 4
	v_add_nc_u32_e64 v20, 16, 16
	v_add_nc_u32_e64 v19, 16, 32
	s_waitcnt lgkmcnt(0)
	v_add3_u32 v1, s3, s3, v0
	s_ashr_i32 s9, s2, 31
	s_mov_b32 s8, s2
	s_add_u32 s4, s0, s4
	s_addc_u32 s5, s1, s5
	s_lshl_b64 s[0:1], s[8:9], 4
	v_ashrrev_i32_e32 v2, 31, v1
	s_add_u32 s0, s4, s0
	s_addc_u32 s1, s5, s1
	v_add_co_u32 v13, s4, s0, v21
	s_mov_b32 s2, s3
	s_ashr_i32 s3, s3, 31
	v_add_co_ci_u32_e64 v14, null, s1, 0, s4
	v_lshlrev_b64 v[1:2], 4, v[1:2]
	s_lshl_b64 s[2:3], s[2:3], 4
	s_bitcmp0_b32 s17, 0
	v_add_co_u32 v15, vcc_lo, v13, s2
	v_add_co_ci_u32_e32 v16, vcc_lo, s3, v14, vcc_lo
	s_delay_alu instid0(VALU_DEP_3)
	v_add_co_u32 v17, vcc_lo, s0, v1
	v_add_co_ci_u32_e32 v18, vcc_lo, s1, v2, vcc_lo
	s_clause 0x2
	global_load_b128 v[1:4], v21, s[0:1]
	global_load_b128 v[5:8], v[15:16], off
	global_load_b128 v[9:12], v[17:18], off
	s_mov_b32 s1, -1
	s_waitcnt vmcnt(2)
	scratch_store_b128 off, v[1:4], off offset:16
	s_waitcnt vmcnt(1)
	scratch_store_b128 off, v[5:8], off offset:32
	;; [unrolled: 2-line block ×3, first 2 shown]
	s_cbranch_scc1 .LBB2_24
; %bb.4:
	v_cmp_eq_u32_e64 s0, 0, v0
	s_delay_alu instid0(VALU_DEP_1)
	s_and_saveexec_b32 s1, s0
	s_cbranch_execz .LBB2_6
; %bb.5:
	v_mov_b32_e32 v1, 0
	ds_store_b32 v1, v1 offset:96
.LBB2_6:
	s_or_b32 exec_lo, exec_lo, s1
	s_waitcnt lgkmcnt(0)
	s_waitcnt_vscnt null, 0x0
	s_barrier
	buffer_gl0_inv
	scratch_load_b128 v[1:4], v21, off offset:16
	s_waitcnt vmcnt(0)
	v_cmp_eq_f64_e32 vcc_lo, 0, v[1:2]
	v_cmp_eq_f64_e64 s1, 0, v[3:4]
	s_delay_alu instid0(VALU_DEP_1) | instskip(NEXT) | instid1(SALU_CYCLE_1)
	s_and_b32 s1, vcc_lo, s1
	s_and_saveexec_b32 s2, s1
	s_cbranch_execz .LBB2_10
; %bb.7:
	v_mov_b32_e32 v1, 0
	s_mov_b32 s3, 0
	ds_load_b32 v2, v1 offset:96
	s_waitcnt lgkmcnt(0)
	v_readfirstlane_b32 s1, v2
	v_add_nc_u32_e32 v2, 1, v0
	s_delay_alu instid0(VALU_DEP_2) | instskip(NEXT) | instid1(VALU_DEP_1)
	s_cmp_eq_u32 s1, 0
	v_cmp_gt_i32_e32 vcc_lo, s1, v2
	s_cselect_b32 s4, -1, 0
	s_delay_alu instid0(SALU_CYCLE_1) | instskip(NEXT) | instid1(SALU_CYCLE_1)
	s_or_b32 s4, s4, vcc_lo
	s_and_b32 exec_lo, exec_lo, s4
	s_cbranch_execz .LBB2_10
; %bb.8:
	v_mov_b32_e32 v3, s1
.LBB2_9:                                ; =>This Inner Loop Header: Depth=1
	ds_cmpstore_rtn_b32 v3, v1, v2, v3 offset:96
	s_waitcnt lgkmcnt(0)
	v_cmp_ne_u32_e32 vcc_lo, 0, v3
	v_cmp_le_i32_e64 s1, v3, v2
	s_delay_alu instid0(VALU_DEP_1) | instskip(NEXT) | instid1(SALU_CYCLE_1)
	s_and_b32 s1, vcc_lo, s1
	s_and_b32 s1, exec_lo, s1
	s_delay_alu instid0(SALU_CYCLE_1) | instskip(NEXT) | instid1(SALU_CYCLE_1)
	s_or_b32 s3, s1, s3
	s_and_not1_b32 exec_lo, exec_lo, s3
	s_cbranch_execnz .LBB2_9
.LBB2_10:
	s_or_b32 exec_lo, exec_lo, s2
	v_mov_b32_e32 v1, 0
	s_barrier
	buffer_gl0_inv
	ds_load_b32 v2, v1 offset:96
	s_and_saveexec_b32 s1, s0
	s_cbranch_execz .LBB2_12
; %bb.11:
	s_lshl_b64 s[2:3], s[14:15], 2
	s_delay_alu instid0(SALU_CYCLE_1)
	s_add_u32 s2, s6, s2
	s_addc_u32 s3, s7, s3
	s_waitcnt lgkmcnt(0)
	global_store_b32 v1, v2, s[2:3]
.LBB2_12:
	s_or_b32 exec_lo, exec_lo, s1
	s_waitcnt lgkmcnt(0)
	v_cmp_ne_u32_e32 vcc_lo, 0, v2
	s_mov_b32 s1, 0
	s_cbranch_vccnz .LBB2_24
; %bb.13:
	v_add_nc_u32_e32 v22, 16, v21
                                        ; implicit-def: $vgpr9_vgpr10
	scratch_load_b128 v[1:4], v22, off
	s_waitcnt vmcnt(0)
	v_mov_b32_e32 v5, v1
	v_cmp_gt_f64_e32 vcc_lo, 0, v[1:2]
	v_xor_b32_e32 v6, 0x80000000, v2
	v_xor_b32_e32 v7, 0x80000000, v4
	s_delay_alu instid0(VALU_DEP_2) | instskip(SKIP_1) | instid1(VALU_DEP_3)
	v_cndmask_b32_e32 v6, v2, v6, vcc_lo
	v_cmp_gt_f64_e32 vcc_lo, 0, v[3:4]
	v_dual_cndmask_b32 v8, v4, v7 :: v_dual_mov_b32 v7, v3
	s_delay_alu instid0(VALU_DEP_1) | instskip(SKIP_1) | instid1(SALU_CYCLE_1)
	v_cmp_ngt_f64_e32 vcc_lo, v[5:6], v[7:8]
                                        ; implicit-def: $vgpr5_vgpr6
	s_and_saveexec_b32 s1, vcc_lo
	s_xor_b32 s1, exec_lo, s1
	s_cbranch_execz .LBB2_15
; %bb.14:
	v_div_scale_f64 v[5:6], null, v[3:4], v[3:4], v[1:2]
	v_div_scale_f64 v[11:12], vcc_lo, v[1:2], v[3:4], v[1:2]
	s_delay_alu instid0(VALU_DEP_2) | instskip(SKIP_2) | instid1(VALU_DEP_1)
	v_rcp_f64_e32 v[7:8], v[5:6]
	s_waitcnt_depctr 0xfff
	v_fma_f64 v[9:10], -v[5:6], v[7:8], 1.0
	v_fma_f64 v[7:8], v[7:8], v[9:10], v[7:8]
	s_delay_alu instid0(VALU_DEP_1) | instskip(NEXT) | instid1(VALU_DEP_1)
	v_fma_f64 v[9:10], -v[5:6], v[7:8], 1.0
	v_fma_f64 v[7:8], v[7:8], v[9:10], v[7:8]
	s_delay_alu instid0(VALU_DEP_1) | instskip(NEXT) | instid1(VALU_DEP_1)
	v_mul_f64 v[9:10], v[11:12], v[7:8]
	v_fma_f64 v[5:6], -v[5:6], v[9:10], v[11:12]
	s_delay_alu instid0(VALU_DEP_1) | instskip(NEXT) | instid1(VALU_DEP_1)
	v_div_fmas_f64 v[5:6], v[5:6], v[7:8], v[9:10]
	v_div_fixup_f64 v[5:6], v[5:6], v[3:4], v[1:2]
	s_delay_alu instid0(VALU_DEP_1) | instskip(NEXT) | instid1(VALU_DEP_1)
	v_fma_f64 v[1:2], v[1:2], v[5:6], v[3:4]
	v_div_scale_f64 v[3:4], null, v[1:2], v[1:2], 1.0
	v_div_scale_f64 v[11:12], vcc_lo, 1.0, v[1:2], 1.0
	s_delay_alu instid0(VALU_DEP_2) | instskip(SKIP_2) | instid1(VALU_DEP_1)
	v_rcp_f64_e32 v[7:8], v[3:4]
	s_waitcnt_depctr 0xfff
	v_fma_f64 v[9:10], -v[3:4], v[7:8], 1.0
	v_fma_f64 v[7:8], v[7:8], v[9:10], v[7:8]
	s_delay_alu instid0(VALU_DEP_1) | instskip(NEXT) | instid1(VALU_DEP_1)
	v_fma_f64 v[9:10], -v[3:4], v[7:8], 1.0
	v_fma_f64 v[7:8], v[7:8], v[9:10], v[7:8]
	s_delay_alu instid0(VALU_DEP_1) | instskip(NEXT) | instid1(VALU_DEP_1)
	v_mul_f64 v[9:10], v[11:12], v[7:8]
	v_fma_f64 v[3:4], -v[3:4], v[9:10], v[11:12]
	s_delay_alu instid0(VALU_DEP_1) | instskip(NEXT) | instid1(VALU_DEP_1)
	v_div_fmas_f64 v[3:4], v[3:4], v[7:8], v[9:10]
	v_div_fixup_f64 v[7:8], v[3:4], v[1:2], 1.0
                                        ; implicit-def: $vgpr1_vgpr2
	s_delay_alu instid0(VALU_DEP_1) | instskip(SKIP_1) | instid1(VALU_DEP_2)
	v_mul_f64 v[5:6], v[5:6], v[7:8]
	v_xor_b32_e32 v8, 0x80000000, v8
	v_xor_b32_e32 v10, 0x80000000, v6
	s_delay_alu instid0(VALU_DEP_3)
	v_mov_b32_e32 v9, v5
.LBB2_15:
	s_and_not1_saveexec_b32 s1, s1
	s_cbranch_execz .LBB2_17
; %bb.16:
	v_div_scale_f64 v[5:6], null, v[1:2], v[1:2], v[3:4]
	v_div_scale_f64 v[11:12], vcc_lo, v[3:4], v[1:2], v[3:4]
	s_delay_alu instid0(VALU_DEP_2) | instskip(SKIP_2) | instid1(VALU_DEP_1)
	v_rcp_f64_e32 v[7:8], v[5:6]
	s_waitcnt_depctr 0xfff
	v_fma_f64 v[9:10], -v[5:6], v[7:8], 1.0
	v_fma_f64 v[7:8], v[7:8], v[9:10], v[7:8]
	s_delay_alu instid0(VALU_DEP_1) | instskip(NEXT) | instid1(VALU_DEP_1)
	v_fma_f64 v[9:10], -v[5:6], v[7:8], 1.0
	v_fma_f64 v[7:8], v[7:8], v[9:10], v[7:8]
	s_delay_alu instid0(VALU_DEP_1) | instskip(NEXT) | instid1(VALU_DEP_1)
	v_mul_f64 v[9:10], v[11:12], v[7:8]
	v_fma_f64 v[5:6], -v[5:6], v[9:10], v[11:12]
	s_delay_alu instid0(VALU_DEP_1) | instskip(NEXT) | instid1(VALU_DEP_1)
	v_div_fmas_f64 v[5:6], v[5:6], v[7:8], v[9:10]
	v_div_fixup_f64 v[7:8], v[5:6], v[1:2], v[3:4]
	s_delay_alu instid0(VALU_DEP_1) | instskip(NEXT) | instid1(VALU_DEP_1)
	v_fma_f64 v[1:2], v[3:4], v[7:8], v[1:2]
	v_div_scale_f64 v[3:4], null, v[1:2], v[1:2], 1.0
	s_delay_alu instid0(VALU_DEP_1) | instskip(SKIP_2) | instid1(VALU_DEP_1)
	v_rcp_f64_e32 v[5:6], v[3:4]
	s_waitcnt_depctr 0xfff
	v_fma_f64 v[9:10], -v[3:4], v[5:6], 1.0
	v_fma_f64 v[5:6], v[5:6], v[9:10], v[5:6]
	s_delay_alu instid0(VALU_DEP_1) | instskip(NEXT) | instid1(VALU_DEP_1)
	v_fma_f64 v[9:10], -v[3:4], v[5:6], 1.0
	v_fma_f64 v[5:6], v[5:6], v[9:10], v[5:6]
	v_div_scale_f64 v[9:10], vcc_lo, 1.0, v[1:2], 1.0
	s_delay_alu instid0(VALU_DEP_1) | instskip(NEXT) | instid1(VALU_DEP_1)
	v_mul_f64 v[11:12], v[9:10], v[5:6]
	v_fma_f64 v[3:4], -v[3:4], v[11:12], v[9:10]
	s_delay_alu instid0(VALU_DEP_1) | instskip(NEXT) | instid1(VALU_DEP_1)
	v_div_fmas_f64 v[3:4], v[3:4], v[5:6], v[11:12]
	v_div_fixup_f64 v[5:6], v[3:4], v[1:2], 1.0
	s_delay_alu instid0(VALU_DEP_1)
	v_mul_f64 v[7:8], v[7:8], -v[5:6]
	v_xor_b32_e32 v10, 0x80000000, v6
	v_mov_b32_e32 v9, v5
.LBB2_17:
	s_or_b32 exec_lo, exec_lo, s1
	scratch_store_b128 v22, v[5:8], off
	scratch_load_b128 v[2:5], v20, off
	v_xor_b32_e32 v12, 0x80000000, v8
	v_mov_b32_e32 v11, v7
	v_add_nc_u32_e32 v1, 48, v21
	ds_store_b128 v21, v[9:12]
	s_waitcnt vmcnt(0)
	ds_store_b128 v21, v[2:5] offset:48
	s_waitcnt lgkmcnt(0)
	s_waitcnt_vscnt null, 0x0
	s_barrier
	buffer_gl0_inv
	s_and_saveexec_b32 s1, s0
	s_cbranch_execz .LBB2_19
; %bb.18:
	scratch_load_b128 v[2:5], v22, off
	ds_load_b128 v[6:9], v1
	v_mov_b32_e32 v10, 0
	ds_load_b128 v[23:26], v10 offset:16
	s_waitcnt vmcnt(0) lgkmcnt(1)
	v_mul_f64 v[10:11], v[6:7], v[4:5]
	v_mul_f64 v[4:5], v[8:9], v[4:5]
	s_delay_alu instid0(VALU_DEP_2) | instskip(NEXT) | instid1(VALU_DEP_2)
	v_fma_f64 v[8:9], v[8:9], v[2:3], v[10:11]
	v_fma_f64 v[2:3], v[6:7], v[2:3], -v[4:5]
	s_delay_alu instid0(VALU_DEP_2) | instskip(NEXT) | instid1(VALU_DEP_2)
	v_add_f64 v[4:5], v[8:9], 0
	v_add_f64 v[2:3], v[2:3], 0
	s_waitcnt lgkmcnt(0)
	s_delay_alu instid0(VALU_DEP_2) | instskip(NEXT) | instid1(VALU_DEP_2)
	v_mul_f64 v[6:7], v[4:5], v[25:26]
	v_mul_f64 v[8:9], v[2:3], v[25:26]
	s_delay_alu instid0(VALU_DEP_2) | instskip(NEXT) | instid1(VALU_DEP_2)
	v_fma_f64 v[2:3], v[2:3], v[23:24], -v[6:7]
	v_fma_f64 v[4:5], v[4:5], v[23:24], v[8:9]
	scratch_store_b128 off, v[2:5], off offset:32
.LBB2_19:
	s_or_b32 exec_lo, exec_lo, s1
	s_waitcnt_vscnt null, 0x0
	s_barrier
	buffer_gl0_inv
	scratch_load_b128 v[2:5], v19, off
	s_mov_b32 s1, exec_lo
	s_waitcnt vmcnt(0)
	ds_store_b128 v1, v[2:5]
	s_waitcnt lgkmcnt(0)
	s_barrier
	buffer_gl0_inv
	v_cmpx_ne_u32_e32 2, v0
	s_cbranch_execz .LBB2_23
; %bb.20:
	scratch_load_b128 v[2:5], v22, off
	ds_load_b128 v[6:9], v1
	s_waitcnt vmcnt(0) lgkmcnt(0)
	v_mul_f64 v[10:11], v[8:9], v[4:5]
	v_mul_f64 v[4:5], v[6:7], v[4:5]
	s_delay_alu instid0(VALU_DEP_2) | instskip(NEXT) | instid1(VALU_DEP_2)
	v_fma_f64 v[6:7], v[6:7], v[2:3], -v[10:11]
	v_fma_f64 v[3:4], v[8:9], v[2:3], v[4:5]
	s_delay_alu instid0(VALU_DEP_2) | instskip(NEXT) | instid1(VALU_DEP_2)
	v_add_f64 v[1:2], v[6:7], 0
	v_add_f64 v[3:4], v[3:4], 0
	s_and_saveexec_b32 s2, s0
	s_cbranch_execz .LBB2_22
; %bb.21:
	scratch_load_b128 v[5:8], off, off offset:32
	v_mov_b32_e32 v9, 0
	ds_load_b128 v[9:12], v9 offset:64
	s_waitcnt vmcnt(0) lgkmcnt(0)
	v_mul_f64 v[21:22], v[9:10], v[7:8]
	v_mul_f64 v[7:8], v[11:12], v[7:8]
	s_delay_alu instid0(VALU_DEP_2) | instskip(NEXT) | instid1(VALU_DEP_2)
	v_fma_f64 v[11:12], v[11:12], v[5:6], v[21:22]
	v_fma_f64 v[5:6], v[9:10], v[5:6], -v[7:8]
	s_delay_alu instid0(VALU_DEP_2) | instskip(NEXT) | instid1(VALU_DEP_2)
	v_add_f64 v[3:4], v[3:4], v[11:12]
	v_add_f64 v[1:2], v[1:2], v[5:6]
.LBB2_22:
	s_or_b32 exec_lo, exec_lo, s2
	v_mov_b32_e32 v5, 0
	ds_load_b128 v[5:8], v5 offset:32
	s_waitcnt lgkmcnt(0)
	v_mul_f64 v[9:10], v[3:4], v[7:8]
	v_mul_f64 v[7:8], v[1:2], v[7:8]
	s_delay_alu instid0(VALU_DEP_2) | instskip(NEXT) | instid1(VALU_DEP_2)
	v_fma_f64 v[1:2], v[1:2], v[5:6], -v[9:10]
	v_fma_f64 v[3:4], v[3:4], v[5:6], v[7:8]
	scratch_store_b128 off, v[1:4], off offset:48
.LBB2_23:
	s_or_b32 exec_lo, exec_lo, s1
	s_mov_b32 s1, -1
	s_waitcnt_vscnt null, 0x0
	s_barrier
	buffer_gl0_inv
.LBB2_24:
	s_and_b32 vcc_lo, exec_lo, s1
	s_cbranch_vccz .LBB2_26
; %bb.25:
	s_lshl_b64 s[0:1], s[14:15], 2
	v_mov_b32_e32 v1, 0
	s_add_u32 s0, s6, s0
	s_addc_u32 s1, s7, s1
	global_load_b32 v1, v1, s[0:1]
	s_waitcnt vmcnt(0)
	v_cmp_ne_u32_e32 vcc_lo, 0, v1
	s_cbranch_vccz .LBB2_27
.LBB2_26:
	s_endpgm
.LBB2_27:
	v_lshl_add_u32 v5, v0, 4, 48
	s_mov_b32 s0, exec_lo
	v_cmpx_eq_u32_e32 2, v0
	s_cbranch_execz .LBB2_29
; %bb.28:
	scratch_load_b128 v[1:4], v20, off
	v_mov_b32_e32 v6, 0
	s_delay_alu instid0(VALU_DEP_1)
	v_mov_b32_e32 v7, v6
	v_mov_b32_e32 v8, v6
	;; [unrolled: 1-line block ×3, first 2 shown]
	scratch_store_b128 off, v[6:9], off offset:32
	s_waitcnt vmcnt(0)
	ds_store_b128 v5, v[1:4]
.LBB2_29:
	s_or_b32 exec_lo, exec_lo, s0
	s_waitcnt lgkmcnt(0)
	s_waitcnt_vscnt null, 0x0
	s_barrier
	buffer_gl0_inv
	s_clause 0x1
	scratch_load_b128 v[6:9], off, off offset:48
	scratch_load_b128 v[21:24], off, off offset:32
	v_mov_b32_e32 v1, 0
	s_mov_b32 s0, exec_lo
	ds_load_b128 v[25:28], v1 offset:80
	s_waitcnt vmcnt(1) lgkmcnt(0)
	v_mul_f64 v[2:3], v[27:28], v[8:9]
	v_mul_f64 v[8:9], v[25:26], v[8:9]
	s_delay_alu instid0(VALU_DEP_2) | instskip(NEXT) | instid1(VALU_DEP_2)
	v_fma_f64 v[2:3], v[25:26], v[6:7], -v[2:3]
	v_fma_f64 v[6:7], v[27:28], v[6:7], v[8:9]
	s_delay_alu instid0(VALU_DEP_2) | instskip(NEXT) | instid1(VALU_DEP_2)
	v_add_f64 v[2:3], v[2:3], 0
	v_add_f64 v[8:9], v[6:7], 0
	s_waitcnt vmcnt(0)
	s_delay_alu instid0(VALU_DEP_2) | instskip(NEXT) | instid1(VALU_DEP_2)
	v_add_f64 v[6:7], v[21:22], -v[2:3]
	v_add_f64 v[8:9], v[23:24], -v[8:9]
	scratch_store_b128 off, v[6:9], off offset:32
	v_cmpx_ne_u32_e32 0, v0
	s_cbranch_execz .LBB2_31
; %bb.30:
	scratch_load_b128 v[6:9], off, off offset:16
	v_mov_b32_e32 v2, v1
	v_mov_b32_e32 v3, v1
	;; [unrolled: 1-line block ×3, first 2 shown]
	scratch_store_b128 off, v[1:4], off offset:16
	s_waitcnt vmcnt(0)
	ds_store_b128 v5, v[6:9]
.LBB2_31:
	s_or_b32 exec_lo, exec_lo, s0
	s_waitcnt lgkmcnt(0)
	s_waitcnt_vscnt null, 0x0
	s_barrier
	buffer_gl0_inv
	s_clause 0x2
	scratch_load_b128 v[2:5], off, off offset:32
	scratch_load_b128 v[6:9], off, off offset:48
	;; [unrolled: 1-line block ×3, first 2 shown]
	ds_load_b128 v[25:28], v1 offset:64
	ds_load_b128 v[29:32], v1 offset:80
	s_and_b32 vcc_lo, exec_lo, s16
	s_waitcnt vmcnt(2) lgkmcnt(1)
	v_mul_f64 v[0:1], v[27:28], v[4:5]
	v_mul_f64 v[4:5], v[25:26], v[4:5]
	s_waitcnt vmcnt(1) lgkmcnt(0)
	v_mul_f64 v[10:11], v[29:30], v[8:9]
	v_mul_f64 v[8:9], v[31:32], v[8:9]
	s_delay_alu instid0(VALU_DEP_4) | instskip(NEXT) | instid1(VALU_DEP_4)
	v_fma_f64 v[0:1], v[25:26], v[2:3], -v[0:1]
	v_fma_f64 v[2:3], v[27:28], v[2:3], v[4:5]
	s_delay_alu instid0(VALU_DEP_4) | instskip(NEXT) | instid1(VALU_DEP_4)
	v_fma_f64 v[4:5], v[31:32], v[6:7], v[10:11]
	v_fma_f64 v[6:7], v[29:30], v[6:7], -v[8:9]
	s_delay_alu instid0(VALU_DEP_4) | instskip(NEXT) | instid1(VALU_DEP_4)
	v_add_f64 v[0:1], v[0:1], 0
	v_add_f64 v[2:3], v[2:3], 0
	s_delay_alu instid0(VALU_DEP_2) | instskip(NEXT) | instid1(VALU_DEP_2)
	v_add_f64 v[0:1], v[0:1], v[6:7]
	v_add_f64 v[2:3], v[2:3], v[4:5]
	s_waitcnt vmcnt(0)
	s_delay_alu instid0(VALU_DEP_2) | instskip(NEXT) | instid1(VALU_DEP_2)
	v_add_f64 v[0:1], v[21:22], -v[0:1]
	v_add_f64 v[2:3], v[23:24], -v[2:3]
	scratch_store_b128 off, v[0:3], off offset:16
	s_cbranch_vccz .LBB2_37
; %bb.32:
	v_dual_mov_b32 v0, s12 :: v_dual_mov_b32 v1, s13
	s_mov_b32 s0, exec_lo
	flat_load_b32 v0, v[0:1] offset:4
	s_waitcnt vmcnt(0) lgkmcnt(0)
	v_cmpx_ne_u32_e32 2, v0
	s_cbranch_execz .LBB2_34
; %bb.33:
	v_lshl_add_u32 v8, v0, 4, 16
	s_clause 0x1
	scratch_load_b128 v[0:3], v8, off offset:-16
	scratch_load_b128 v[4:7], v20, off
	s_waitcnt vmcnt(1)
	scratch_store_b128 v20, v[0:3], off
	s_waitcnt vmcnt(0)
	scratch_store_b128 v8, v[4:7], off offset:-16
.LBB2_34:
	s_or_b32 exec_lo, exec_lo, s0
	v_dual_mov_b32 v0, s12 :: v_dual_mov_b32 v1, s13
	s_mov_b32 s0, exec_lo
	flat_load_b32 v0, v[0:1]
	s_waitcnt vmcnt(0) lgkmcnt(0)
	v_cmpx_ne_u32_e32 1, v0
	s_cbranch_execz .LBB2_36
; %bb.35:
	v_lshl_add_u32 v8, v0, 4, 16
	scratch_load_b128 v[0:3], v8, off offset:-16
	scratch_load_b128 v[4:7], off, off offset:16
	s_waitcnt vmcnt(1)
	scratch_store_b128 off, v[0:3], off offset:16
	s_waitcnt vmcnt(0)
	scratch_store_b128 v8, v[4:7], off offset:-16
.LBB2_36:
	s_or_b32 exec_lo, exec_lo, s0
.LBB2_37:
	scratch_load_b128 v[0:3], off, off offset:16
	s_clause 0x1
	scratch_load_b128 v[4:7], v20, off
	scratch_load_b128 v[8:11], v19, off
	s_waitcnt vmcnt(2)
	global_store_b128 v[13:14], v[0:3], off
	s_waitcnt vmcnt(1)
	global_store_b128 v[15:16], v[4:7], off
	;; [unrolled: 2-line block ×3, first 2 shown]
	s_endpgm
	.section	.rodata,"a",@progbits
	.p2align	6, 0x0
	.amdhsa_kernel _ZN9rocsolver6v33100L18getri_kernel_smallILi3E19rocblas_complex_numIdEPS3_EEvT1_iilPiilS6_bb
		.amdhsa_group_segment_fixed_size 104
		.amdhsa_private_segment_fixed_size 80
		.amdhsa_kernarg_size 60
		.amdhsa_user_sgpr_count 15
		.amdhsa_user_sgpr_dispatch_ptr 0
		.amdhsa_user_sgpr_queue_ptr 0
		.amdhsa_user_sgpr_kernarg_segment_ptr 1
		.amdhsa_user_sgpr_dispatch_id 0
		.amdhsa_user_sgpr_private_segment_size 0
		.amdhsa_wavefront_size32 1
		.amdhsa_uses_dynamic_stack 0
		.amdhsa_enable_private_segment 1
		.amdhsa_system_sgpr_workgroup_id_x 1
		.amdhsa_system_sgpr_workgroup_id_y 0
		.amdhsa_system_sgpr_workgroup_id_z 0
		.amdhsa_system_sgpr_workgroup_info 0
		.amdhsa_system_vgpr_workitem_id 0
		.amdhsa_next_free_vgpr 33
		.amdhsa_next_free_sgpr 18
		.amdhsa_reserve_vcc 1
		.amdhsa_float_round_mode_32 0
		.amdhsa_float_round_mode_16_64 0
		.amdhsa_float_denorm_mode_32 3
		.amdhsa_float_denorm_mode_16_64 3
		.amdhsa_dx10_clamp 1
		.amdhsa_ieee_mode 1
		.amdhsa_fp16_overflow 0
		.amdhsa_workgroup_processor_mode 1
		.amdhsa_memory_ordered 1
		.amdhsa_forward_progress 0
		.amdhsa_shared_vgpr_count 0
		.amdhsa_exception_fp_ieee_invalid_op 0
		.amdhsa_exception_fp_denorm_src 0
		.amdhsa_exception_fp_ieee_div_zero 0
		.amdhsa_exception_fp_ieee_overflow 0
		.amdhsa_exception_fp_ieee_underflow 0
		.amdhsa_exception_fp_ieee_inexact 0
		.amdhsa_exception_int_div_zero 0
	.end_amdhsa_kernel
	.section	.text._ZN9rocsolver6v33100L18getri_kernel_smallILi3E19rocblas_complex_numIdEPS3_EEvT1_iilPiilS6_bb,"axG",@progbits,_ZN9rocsolver6v33100L18getri_kernel_smallILi3E19rocblas_complex_numIdEPS3_EEvT1_iilPiilS6_bb,comdat
.Lfunc_end2:
	.size	_ZN9rocsolver6v33100L18getri_kernel_smallILi3E19rocblas_complex_numIdEPS3_EEvT1_iilPiilS6_bb, .Lfunc_end2-_ZN9rocsolver6v33100L18getri_kernel_smallILi3E19rocblas_complex_numIdEPS3_EEvT1_iilPiilS6_bb
                                        ; -- End function
	.section	.AMDGPU.csdata,"",@progbits
; Kernel info:
; codeLenInByte = 2600
; NumSgprs: 20
; NumVgprs: 33
; ScratchSize: 80
; MemoryBound: 0
; FloatMode: 240
; IeeeMode: 1
; LDSByteSize: 104 bytes/workgroup (compile time only)
; SGPRBlocks: 2
; VGPRBlocks: 4
; NumSGPRsForWavesPerEU: 20
; NumVGPRsForWavesPerEU: 33
; Occupancy: 16
; WaveLimiterHint : 0
; COMPUTE_PGM_RSRC2:SCRATCH_EN: 1
; COMPUTE_PGM_RSRC2:USER_SGPR: 15
; COMPUTE_PGM_RSRC2:TRAP_HANDLER: 0
; COMPUTE_PGM_RSRC2:TGID_X_EN: 1
; COMPUTE_PGM_RSRC2:TGID_Y_EN: 0
; COMPUTE_PGM_RSRC2:TGID_Z_EN: 0
; COMPUTE_PGM_RSRC2:TIDIG_COMP_CNT: 0
	.section	.text._ZN9rocsolver6v33100L18getri_kernel_smallILi4E19rocblas_complex_numIdEPS3_EEvT1_iilPiilS6_bb,"axG",@progbits,_ZN9rocsolver6v33100L18getri_kernel_smallILi4E19rocblas_complex_numIdEPS3_EEvT1_iilPiilS6_bb,comdat
	.globl	_ZN9rocsolver6v33100L18getri_kernel_smallILi4E19rocblas_complex_numIdEPS3_EEvT1_iilPiilS6_bb ; -- Begin function _ZN9rocsolver6v33100L18getri_kernel_smallILi4E19rocblas_complex_numIdEPS3_EEvT1_iilPiilS6_bb
	.p2align	8
	.type	_ZN9rocsolver6v33100L18getri_kernel_smallILi4E19rocblas_complex_numIdEPS3_EEvT1_iilPiilS6_bb,@function
_ZN9rocsolver6v33100L18getri_kernel_smallILi4E19rocblas_complex_numIdEPS3_EEvT1_iilPiilS6_bb: ; @_ZN9rocsolver6v33100L18getri_kernel_smallILi4E19rocblas_complex_numIdEPS3_EEvT1_iilPiilS6_bb
; %bb.0:
	v_and_b32_e32 v21, 0x3ff, v0
	s_mov_b32 s4, exec_lo
	s_delay_alu instid0(VALU_DEP_1)
	v_cmpx_gt_u32_e32 4, v21
	s_cbranch_execz .LBB3_30
; %bb.1:
	s_mov_b32 s18, s15
	s_clause 0x2
	s_load_b32 s21, s[2:3], 0x38
	s_load_b128 s[12:15], s[2:3], 0x10
	s_load_b128 s[4:7], s[2:3], 0x28
                                        ; implicit-def: $sgpr16_sgpr17
	s_waitcnt lgkmcnt(0)
	s_bitcmp1_b32 s21, 8
	s_cselect_b32 s20, -1, 0
	s_bfe_u32 s8, s21, 0x10008
	s_ashr_i32 s19, s18, 31
	s_cmp_eq_u32 s8, 0
	s_cbranch_scc1 .LBB3_3
; %bb.2:
	s_load_b32 s8, s[2:3], 0x20
	s_mul_i32 s5, s18, s5
	s_mul_hi_u32 s9, s18, s4
	s_mul_i32 s10, s19, s4
	s_add_i32 s5, s9, s5
	s_mul_i32 s4, s18, s4
	s_add_i32 s5, s5, s10
	s_delay_alu instid0(SALU_CYCLE_1)
	s_lshl_b64 s[4:5], s[4:5], 2
	s_waitcnt lgkmcnt(0)
	s_ashr_i32 s9, s8, 31
	s_add_u32 s10, s14, s4
	s_addc_u32 s11, s15, s5
	s_lshl_b64 s[4:5], s[8:9], 2
	s_delay_alu instid0(SALU_CYCLE_1)
	s_add_u32 s16, s10, s4
	s_addc_u32 s17, s11, s5
.LBB3_3:
	s_load_b128 s[8:11], s[2:3], 0x0
	s_mul_i32 s2, s18, s13
	s_mul_hi_u32 s3, s18, s12
	s_mul_i32 s4, s19, s12
	s_add_i32 s3, s3, s2
	s_mul_i32 s2, s18, s12
	s_add_i32 s3, s3, s4
	v_lshlrev_b32_e32 v26, 4, v21
	s_lshl_b64 s[2:3], s[2:3], 4
	v_add_nc_u32_e64 v23, 0, 16
	v_add_nc_u32_e64 v24, 0, 32
	;; [unrolled: 1-line block ×3, first 2 shown]
	s_waitcnt lgkmcnt(0)
	v_add3_u32 v5, s11, s11, v21
	s_ashr_i32 s5, s10, 31
	s_mov_b32 s4, s10
	s_add_u32 s8, s8, s2
	s_addc_u32 s9, s9, s3
	v_add_nc_u32_e32 v7, s11, v5
	s_lshl_b64 s[2:3], s[4:5], 4
	v_ashrrev_i32_e32 v6, 31, v5
	s_add_u32 s2, s8, s2
	s_addc_u32 s3, s9, s3
	v_add_co_u32 v13, s8, s2, v26
	v_ashrrev_i32_e32 v8, 31, v7
	s_mov_b32 s4, s11
	s_ashr_i32 s5, s11, 31
	v_add_co_ci_u32_e64 v14, null, s3, 0, s8
	v_lshlrev_b64 v[5:6], 4, v[5:6]
	s_lshl_b64 s[4:5], s[4:5], 4
	v_lshlrev_b64 v[9:10], 4, v[7:8]
	v_add_co_u32 v15, vcc_lo, v13, s4
	v_add_co_ci_u32_e32 v16, vcc_lo, s5, v14, vcc_lo
	s_delay_alu instid0(VALU_DEP_4)
	v_add_co_u32 v17, vcc_lo, s2, v5
	v_add_co_ci_u32_e32 v18, vcc_lo, s3, v6, vcc_lo
	v_add_co_u32 v19, vcc_lo, s2, v9
	v_add_co_ci_u32_e32 v20, vcc_lo, s3, v10, vcc_lo
	s_clause 0x3
	global_load_b128 v[1:4], v26, s[2:3]
	global_load_b128 v[5:8], v[15:16], off
	global_load_b128 v[9:12], v[17:18], off
	;; [unrolled: 1-line block ×3, first 2 shown]
	s_mov_b32 s3, -1
	s_bitcmp0_b32 s21, 0
	s_waitcnt vmcnt(3)
	scratch_store_b128 off, v[1:4], off
	s_waitcnt vmcnt(2)
	scratch_store_b128 off, v[5:8], off offset:16
	s_waitcnt vmcnt(1)
	scratch_store_b128 off, v[9:12], off offset:32
	;; [unrolled: 2-line block ×3, first 2 shown]
	s_cbranch_scc1 .LBB3_28
; %bb.4:
	v_cmp_eq_u32_e64 s2, 0, v21
	s_delay_alu instid0(VALU_DEP_1)
	s_and_saveexec_b32 s3, s2
	s_cbranch_execz .LBB3_6
; %bb.5:
	v_mov_b32_e32 v1, 0
	ds_store_b32 v1, v1 offset:128
.LBB3_6:
	s_or_b32 exec_lo, exec_lo, s3
	s_waitcnt lgkmcnt(0)
	s_waitcnt_vscnt null, 0x0
	s_barrier
	buffer_gl0_inv
	scratch_load_b128 v[1:4], v26, off
	s_waitcnt vmcnt(0)
	v_cmp_eq_f64_e32 vcc_lo, 0, v[1:2]
	v_cmp_eq_f64_e64 s3, 0, v[3:4]
	s_delay_alu instid0(VALU_DEP_1) | instskip(NEXT) | instid1(SALU_CYCLE_1)
	s_and_b32 s3, vcc_lo, s3
	s_and_saveexec_b32 s4, s3
	s_cbranch_execz .LBB3_10
; %bb.7:
	v_mov_b32_e32 v1, 0
	s_mov_b32 s5, 0
	ds_load_b32 v2, v1 offset:128
	s_waitcnt lgkmcnt(0)
	v_readfirstlane_b32 s3, v2
	v_add_nc_u32_e32 v2, 1, v21
	s_delay_alu instid0(VALU_DEP_2) | instskip(NEXT) | instid1(VALU_DEP_1)
	s_cmp_eq_u32 s3, 0
	v_cmp_gt_i32_e32 vcc_lo, s3, v2
	s_cselect_b32 s8, -1, 0
	s_delay_alu instid0(SALU_CYCLE_1) | instskip(NEXT) | instid1(SALU_CYCLE_1)
	s_or_b32 s8, s8, vcc_lo
	s_and_b32 exec_lo, exec_lo, s8
	s_cbranch_execz .LBB3_10
; %bb.8:
	v_mov_b32_e32 v3, s3
.LBB3_9:                                ; =>This Inner Loop Header: Depth=1
	ds_cmpstore_rtn_b32 v3, v1, v2, v3 offset:128
	s_waitcnt lgkmcnt(0)
	v_cmp_ne_u32_e32 vcc_lo, 0, v3
	v_cmp_le_i32_e64 s3, v3, v2
	s_delay_alu instid0(VALU_DEP_1) | instskip(NEXT) | instid1(SALU_CYCLE_1)
	s_and_b32 s3, vcc_lo, s3
	s_and_b32 s3, exec_lo, s3
	s_delay_alu instid0(SALU_CYCLE_1) | instskip(NEXT) | instid1(SALU_CYCLE_1)
	s_or_b32 s5, s3, s5
	s_and_not1_b32 exec_lo, exec_lo, s5
	s_cbranch_execnz .LBB3_9
.LBB3_10:
	s_or_b32 exec_lo, exec_lo, s4
	v_mov_b32_e32 v1, 0
	s_barrier
	buffer_gl0_inv
	ds_load_b32 v2, v1 offset:128
	s_and_saveexec_b32 s3, s2
	s_cbranch_execz .LBB3_12
; %bb.11:
	s_lshl_b64 s[4:5], s[18:19], 2
	s_delay_alu instid0(SALU_CYCLE_1)
	s_add_u32 s4, s6, s4
	s_addc_u32 s5, s7, s5
	s_waitcnt lgkmcnt(0)
	global_store_b32 v1, v2, s[4:5]
.LBB3_12:
	s_or_b32 exec_lo, exec_lo, s3
	s_waitcnt lgkmcnt(0)
	v_cmp_ne_u32_e32 vcc_lo, 0, v2
	s_mov_b32 s3, 0
	s_cbranch_vccnz .LBB3_28
; %bb.13:
	v_add_nc_u32_e32 v25, 0, v26
                                        ; implicit-def: $vgpr9_vgpr10
	scratch_load_b128 v[1:4], v25, off
	s_waitcnt vmcnt(0)
	v_cmp_gt_f64_e32 vcc_lo, 0, v[1:2]
	v_xor_b32_e32 v6, 0x80000000, v2
	v_mov_b32_e32 v5, v1
	v_xor_b32_e32 v7, 0x80000000, v4
	s_delay_alu instid0(VALU_DEP_3) | instskip(SKIP_1) | instid1(VALU_DEP_3)
	v_cndmask_b32_e32 v6, v2, v6, vcc_lo
	v_cmp_gt_f64_e32 vcc_lo, 0, v[3:4]
	v_dual_cndmask_b32 v8, v4, v7 :: v_dual_mov_b32 v7, v3
	s_delay_alu instid0(VALU_DEP_1) | instskip(SKIP_1) | instid1(SALU_CYCLE_1)
	v_cmp_ngt_f64_e32 vcc_lo, v[5:6], v[7:8]
                                        ; implicit-def: $vgpr5_vgpr6
	s_and_saveexec_b32 s3, vcc_lo
	s_xor_b32 s3, exec_lo, s3
	s_cbranch_execz .LBB3_15
; %bb.14:
	v_div_scale_f64 v[5:6], null, v[3:4], v[3:4], v[1:2]
	v_div_scale_f64 v[11:12], vcc_lo, v[1:2], v[3:4], v[1:2]
	s_delay_alu instid0(VALU_DEP_2) | instskip(SKIP_2) | instid1(VALU_DEP_1)
	v_rcp_f64_e32 v[7:8], v[5:6]
	s_waitcnt_depctr 0xfff
	v_fma_f64 v[9:10], -v[5:6], v[7:8], 1.0
	v_fma_f64 v[7:8], v[7:8], v[9:10], v[7:8]
	s_delay_alu instid0(VALU_DEP_1) | instskip(NEXT) | instid1(VALU_DEP_1)
	v_fma_f64 v[9:10], -v[5:6], v[7:8], 1.0
	v_fma_f64 v[7:8], v[7:8], v[9:10], v[7:8]
	s_delay_alu instid0(VALU_DEP_1) | instskip(NEXT) | instid1(VALU_DEP_1)
	v_mul_f64 v[9:10], v[11:12], v[7:8]
	v_fma_f64 v[5:6], -v[5:6], v[9:10], v[11:12]
	s_delay_alu instid0(VALU_DEP_1) | instskip(NEXT) | instid1(VALU_DEP_1)
	v_div_fmas_f64 v[5:6], v[5:6], v[7:8], v[9:10]
	v_div_fixup_f64 v[5:6], v[5:6], v[3:4], v[1:2]
	s_delay_alu instid0(VALU_DEP_1) | instskip(NEXT) | instid1(VALU_DEP_1)
	v_fma_f64 v[1:2], v[1:2], v[5:6], v[3:4]
	v_div_scale_f64 v[3:4], null, v[1:2], v[1:2], 1.0
	v_div_scale_f64 v[11:12], vcc_lo, 1.0, v[1:2], 1.0
	s_delay_alu instid0(VALU_DEP_2) | instskip(SKIP_2) | instid1(VALU_DEP_1)
	v_rcp_f64_e32 v[7:8], v[3:4]
	s_waitcnt_depctr 0xfff
	v_fma_f64 v[9:10], -v[3:4], v[7:8], 1.0
	v_fma_f64 v[7:8], v[7:8], v[9:10], v[7:8]
	s_delay_alu instid0(VALU_DEP_1) | instskip(NEXT) | instid1(VALU_DEP_1)
	v_fma_f64 v[9:10], -v[3:4], v[7:8], 1.0
	v_fma_f64 v[7:8], v[7:8], v[9:10], v[7:8]
	s_delay_alu instid0(VALU_DEP_1) | instskip(NEXT) | instid1(VALU_DEP_1)
	v_mul_f64 v[9:10], v[11:12], v[7:8]
	v_fma_f64 v[3:4], -v[3:4], v[9:10], v[11:12]
	s_delay_alu instid0(VALU_DEP_1) | instskip(NEXT) | instid1(VALU_DEP_1)
	v_div_fmas_f64 v[3:4], v[3:4], v[7:8], v[9:10]
	v_div_fixup_f64 v[7:8], v[3:4], v[1:2], 1.0
                                        ; implicit-def: $vgpr1_vgpr2
	s_delay_alu instid0(VALU_DEP_1) | instskip(SKIP_1) | instid1(VALU_DEP_2)
	v_mul_f64 v[5:6], v[5:6], v[7:8]
	v_xor_b32_e32 v8, 0x80000000, v8
	v_xor_b32_e32 v10, 0x80000000, v6
	s_delay_alu instid0(VALU_DEP_3)
	v_mov_b32_e32 v9, v5
.LBB3_15:
	s_and_not1_saveexec_b32 s3, s3
	s_cbranch_execz .LBB3_17
; %bb.16:
	v_div_scale_f64 v[5:6], null, v[1:2], v[1:2], v[3:4]
	v_div_scale_f64 v[11:12], vcc_lo, v[3:4], v[1:2], v[3:4]
	s_delay_alu instid0(VALU_DEP_2) | instskip(SKIP_2) | instid1(VALU_DEP_1)
	v_rcp_f64_e32 v[7:8], v[5:6]
	s_waitcnt_depctr 0xfff
	v_fma_f64 v[9:10], -v[5:6], v[7:8], 1.0
	v_fma_f64 v[7:8], v[7:8], v[9:10], v[7:8]
	s_delay_alu instid0(VALU_DEP_1) | instskip(NEXT) | instid1(VALU_DEP_1)
	v_fma_f64 v[9:10], -v[5:6], v[7:8], 1.0
	v_fma_f64 v[7:8], v[7:8], v[9:10], v[7:8]
	s_delay_alu instid0(VALU_DEP_1) | instskip(NEXT) | instid1(VALU_DEP_1)
	v_mul_f64 v[9:10], v[11:12], v[7:8]
	v_fma_f64 v[5:6], -v[5:6], v[9:10], v[11:12]
	s_delay_alu instid0(VALU_DEP_1) | instskip(NEXT) | instid1(VALU_DEP_1)
	v_div_fmas_f64 v[5:6], v[5:6], v[7:8], v[9:10]
	v_div_fixup_f64 v[7:8], v[5:6], v[1:2], v[3:4]
	s_delay_alu instid0(VALU_DEP_1) | instskip(NEXT) | instid1(VALU_DEP_1)
	v_fma_f64 v[1:2], v[3:4], v[7:8], v[1:2]
	v_div_scale_f64 v[3:4], null, v[1:2], v[1:2], 1.0
	s_delay_alu instid0(VALU_DEP_1) | instskip(SKIP_2) | instid1(VALU_DEP_1)
	v_rcp_f64_e32 v[5:6], v[3:4]
	s_waitcnt_depctr 0xfff
	v_fma_f64 v[9:10], -v[3:4], v[5:6], 1.0
	v_fma_f64 v[5:6], v[5:6], v[9:10], v[5:6]
	s_delay_alu instid0(VALU_DEP_1) | instskip(NEXT) | instid1(VALU_DEP_1)
	v_fma_f64 v[9:10], -v[3:4], v[5:6], 1.0
	v_fma_f64 v[5:6], v[5:6], v[9:10], v[5:6]
	v_div_scale_f64 v[9:10], vcc_lo, 1.0, v[1:2], 1.0
	s_delay_alu instid0(VALU_DEP_1) | instskip(NEXT) | instid1(VALU_DEP_1)
	v_mul_f64 v[11:12], v[9:10], v[5:6]
	v_fma_f64 v[3:4], -v[3:4], v[11:12], v[9:10]
	s_delay_alu instid0(VALU_DEP_1) | instskip(NEXT) | instid1(VALU_DEP_1)
	v_div_fmas_f64 v[3:4], v[3:4], v[5:6], v[11:12]
	v_div_fixup_f64 v[5:6], v[3:4], v[1:2], 1.0
	s_delay_alu instid0(VALU_DEP_1)
	v_mul_f64 v[7:8], v[7:8], -v[5:6]
	v_xor_b32_e32 v10, 0x80000000, v6
	v_mov_b32_e32 v9, v5
.LBB3_17:
	s_or_b32 exec_lo, exec_lo, s3
	scratch_store_b128 v25, v[5:8], off
	scratch_load_b128 v[1:4], v23, off
	v_xor_b32_e32 v12, 0x80000000, v8
	v_mov_b32_e32 v11, v7
	v_add_nc_u32_e32 v5, 64, v26
	ds_store_b128 v26, v[9:12]
	s_waitcnt vmcnt(0)
	ds_store_b128 v26, v[1:4] offset:64
	s_waitcnt lgkmcnt(0)
	s_waitcnt_vscnt null, 0x0
	s_barrier
	buffer_gl0_inv
	s_and_saveexec_b32 s3, s2
	s_cbranch_execz .LBB3_19
; %bb.18:
	scratch_load_b128 v[1:4], v25, off
	ds_load_b128 v[6:9], v5
	v_mov_b32_e32 v10, 0
	ds_load_b128 v[26:29], v10 offset:16
	s_waitcnt vmcnt(0) lgkmcnt(1)
	v_mul_f64 v[10:11], v[6:7], v[3:4]
	v_mul_f64 v[3:4], v[8:9], v[3:4]
	s_delay_alu instid0(VALU_DEP_2) | instskip(NEXT) | instid1(VALU_DEP_2)
	v_fma_f64 v[8:9], v[8:9], v[1:2], v[10:11]
	v_fma_f64 v[1:2], v[6:7], v[1:2], -v[3:4]
	s_delay_alu instid0(VALU_DEP_2) | instskip(NEXT) | instid1(VALU_DEP_2)
	v_add_f64 v[3:4], v[8:9], 0
	v_add_f64 v[1:2], v[1:2], 0
	s_waitcnt lgkmcnt(0)
	s_delay_alu instid0(VALU_DEP_2) | instskip(NEXT) | instid1(VALU_DEP_2)
	v_mul_f64 v[6:7], v[3:4], v[28:29]
	v_mul_f64 v[8:9], v[1:2], v[28:29]
	s_delay_alu instid0(VALU_DEP_2) | instskip(NEXT) | instid1(VALU_DEP_2)
	v_fma_f64 v[1:2], v[1:2], v[26:27], -v[6:7]
	v_fma_f64 v[3:4], v[3:4], v[26:27], v[8:9]
	scratch_store_b128 off, v[1:4], off offset:16
.LBB3_19:
	s_or_b32 exec_lo, exec_lo, s3
	s_waitcnt_vscnt null, 0x0
	s_barrier
	buffer_gl0_inv
	scratch_load_b128 v[1:4], v24, off
	s_mov_b32 s3, exec_lo
	s_waitcnt vmcnt(0)
	ds_store_b128 v5, v[1:4]
	s_waitcnt lgkmcnt(0)
	s_barrier
	buffer_gl0_inv
	v_cmpx_gt_u32_e32 2, v21
	s_cbranch_execz .LBB3_23
; %bb.20:
	scratch_load_b128 v[1:4], v25, off
	ds_load_b128 v[6:9], v5
	s_waitcnt vmcnt(0) lgkmcnt(0)
	v_mul_f64 v[10:11], v[8:9], v[3:4]
	v_mul_f64 v[3:4], v[6:7], v[3:4]
	s_delay_alu instid0(VALU_DEP_2) | instskip(NEXT) | instid1(VALU_DEP_2)
	v_fma_f64 v[6:7], v[6:7], v[1:2], -v[10:11]
	v_fma_f64 v[3:4], v[8:9], v[1:2], v[3:4]
	s_delay_alu instid0(VALU_DEP_2) | instskip(NEXT) | instid1(VALU_DEP_2)
	v_add_f64 v[1:2], v[6:7], 0
	v_add_f64 v[3:4], v[3:4], 0
	s_and_saveexec_b32 s4, s2
	s_cbranch_execz .LBB3_22
; %bb.21:
	scratch_load_b128 v[6:9], off, off offset:16
	v_mov_b32_e32 v10, 0
	ds_load_b128 v[26:29], v10 offset:80
	s_waitcnt vmcnt(0) lgkmcnt(0)
	v_mul_f64 v[10:11], v[26:27], v[8:9]
	v_mul_f64 v[8:9], v[28:29], v[8:9]
	s_delay_alu instid0(VALU_DEP_2) | instskip(NEXT) | instid1(VALU_DEP_2)
	v_fma_f64 v[10:11], v[28:29], v[6:7], v[10:11]
	v_fma_f64 v[6:7], v[26:27], v[6:7], -v[8:9]
	s_delay_alu instid0(VALU_DEP_2) | instskip(NEXT) | instid1(VALU_DEP_2)
	v_add_f64 v[3:4], v[3:4], v[10:11]
	v_add_f64 v[1:2], v[1:2], v[6:7]
.LBB3_22:
	s_or_b32 exec_lo, exec_lo, s4
	v_mov_b32_e32 v6, 0
	ds_load_b128 v[6:9], v6 offset:32
	s_waitcnt lgkmcnt(0)
	v_mul_f64 v[10:11], v[3:4], v[8:9]
	v_mul_f64 v[8:9], v[1:2], v[8:9]
	s_delay_alu instid0(VALU_DEP_2) | instskip(NEXT) | instid1(VALU_DEP_2)
	v_fma_f64 v[1:2], v[1:2], v[6:7], -v[10:11]
	v_fma_f64 v[3:4], v[3:4], v[6:7], v[8:9]
	scratch_store_b128 off, v[1:4], off offset:32
.LBB3_23:
	s_or_b32 exec_lo, exec_lo, s3
	s_waitcnt_vscnt null, 0x0
	s_barrier
	buffer_gl0_inv
	scratch_load_b128 v[1:4], v22, off
	s_mov_b32 s2, exec_lo
	s_waitcnt vmcnt(0)
	ds_store_b128 v5, v[1:4]
	s_waitcnt lgkmcnt(0)
	s_barrier
	buffer_gl0_inv
	v_cmpx_ne_u32_e32 3, v21
	s_cbranch_execz .LBB3_27
; %bb.24:
	v_dual_mov_b32 v1, 0 :: v_dual_add_nc_u32 v6, -1, v21
	v_mov_b32_e32 v2, 0
	v_or_b32_e32 v7, 8, v25
	s_mov_b32 s3, 0
	s_delay_alu instid0(VALU_DEP_2)
	v_dual_mov_b32 v4, v2 :: v_dual_mov_b32 v3, v1
	.p2align	6
.LBB3_25:                               ; =>This Inner Loop Header: Depth=1
	scratch_load_b128 v[8:11], v7, off offset:-8
	ds_load_b128 v[25:28], v5
	v_add_nc_u32_e32 v6, 1, v6
	v_add_nc_u32_e32 v5, 16, v5
	;; [unrolled: 1-line block ×3, first 2 shown]
	s_delay_alu instid0(VALU_DEP_3) | instskip(SKIP_4) | instid1(VALU_DEP_2)
	v_cmp_lt_u32_e32 vcc_lo, 1, v6
	s_or_b32 s3, vcc_lo, s3
	s_waitcnt vmcnt(0) lgkmcnt(0)
	v_mul_f64 v[29:30], v[27:28], v[10:11]
	v_mul_f64 v[10:11], v[25:26], v[10:11]
	v_fma_f64 v[25:26], v[25:26], v[8:9], -v[29:30]
	s_delay_alu instid0(VALU_DEP_2) | instskip(NEXT) | instid1(VALU_DEP_2)
	v_fma_f64 v[8:9], v[27:28], v[8:9], v[10:11]
	v_add_f64 v[3:4], v[3:4], v[25:26]
	s_delay_alu instid0(VALU_DEP_2)
	v_add_f64 v[1:2], v[1:2], v[8:9]
	s_and_not1_b32 exec_lo, exec_lo, s3
	s_cbranch_execnz .LBB3_25
; %bb.26:
	s_or_b32 exec_lo, exec_lo, s3
	v_mov_b32_e32 v5, 0
	ds_load_b128 v[5:8], v5 offset:48
	s_waitcnt lgkmcnt(0)
	v_mul_f64 v[9:10], v[1:2], v[7:8]
	v_mul_f64 v[7:8], v[3:4], v[7:8]
	s_delay_alu instid0(VALU_DEP_2) | instskip(NEXT) | instid1(VALU_DEP_2)
	v_fma_f64 v[3:4], v[3:4], v[5:6], -v[9:10]
	v_fma_f64 v[5:6], v[1:2], v[5:6], v[7:8]
	scratch_store_b128 off, v[3:6], off offset:48
.LBB3_27:
	s_or_b32 exec_lo, exec_lo, s2
	s_mov_b32 s3, -1
	s_waitcnt_vscnt null, 0x0
	s_barrier
	buffer_gl0_inv
.LBB3_28:
	s_and_b32 vcc_lo, exec_lo, s3
	s_cbranch_vccz .LBB3_30
; %bb.29:
	s_lshl_b64 s[2:3], s[18:19], 2
	v_mov_b32_e32 v1, 0
	s_add_u32 s2, s6, s2
	s_addc_u32 s3, s7, s3
	global_load_b32 v1, v1, s[2:3]
	s_waitcnt vmcnt(0)
	v_cmp_ne_u32_e32 vcc_lo, 0, v1
	s_cbranch_vccz .LBB3_31
.LBB3_30:
	s_endpgm
.LBB3_31:
	v_lshl_add_u32 v5, v21, 4, 64
	s_mov_b32 s2, exec_lo
	v_cmpx_eq_u32_e32 3, v21
	s_cbranch_execz .LBB3_33
; %bb.32:
	scratch_load_b128 v[1:4], v24, off
	v_mov_b32_e32 v6, 0
	s_delay_alu instid0(VALU_DEP_1)
	v_mov_b32_e32 v7, v6
	v_mov_b32_e32 v8, v6
	;; [unrolled: 1-line block ×3, first 2 shown]
	scratch_store_b128 off, v[6:9], off offset:32
	s_waitcnt vmcnt(0)
	ds_store_b128 v5, v[1:4]
.LBB3_33:
	s_or_b32 exec_lo, exec_lo, s2
	s_waitcnt lgkmcnt(0)
	s_waitcnt_vscnt null, 0x0
	s_barrier
	buffer_gl0_inv
	s_clause 0x1
	scratch_load_b128 v[6:9], off, off offset:48
	scratch_load_b128 v[25:28], off, off offset:32
	v_mov_b32_e32 v1, 0
	s_mov_b32 s2, exec_lo
	ds_load_b128 v[29:32], v1 offset:112
	s_waitcnt vmcnt(1) lgkmcnt(0)
	v_mul_f64 v[2:3], v[31:32], v[8:9]
	v_mul_f64 v[8:9], v[29:30], v[8:9]
	s_delay_alu instid0(VALU_DEP_2) | instskip(NEXT) | instid1(VALU_DEP_2)
	v_fma_f64 v[2:3], v[29:30], v[6:7], -v[2:3]
	v_fma_f64 v[6:7], v[31:32], v[6:7], v[8:9]
	s_delay_alu instid0(VALU_DEP_2) | instskip(NEXT) | instid1(VALU_DEP_2)
	v_add_f64 v[2:3], v[2:3], 0
	v_add_f64 v[8:9], v[6:7], 0
	s_waitcnt vmcnt(0)
	s_delay_alu instid0(VALU_DEP_2) | instskip(NEXT) | instid1(VALU_DEP_2)
	v_add_f64 v[6:7], v[25:26], -v[2:3]
	v_add_f64 v[8:9], v[27:28], -v[8:9]
	scratch_store_b128 off, v[6:9], off offset:32
	v_cmpx_lt_u32_e32 1, v21
	s_cbranch_execz .LBB3_35
; %bb.34:
	scratch_load_b128 v[6:9], v23, off
	v_mov_b32_e32 v2, v1
	v_mov_b32_e32 v3, v1
	;; [unrolled: 1-line block ×3, first 2 shown]
	scratch_store_b128 off, v[1:4], off offset:16
	s_waitcnt vmcnt(0)
	ds_store_b128 v5, v[6:9]
.LBB3_35:
	s_or_b32 exec_lo, exec_lo, s2
	s_waitcnt lgkmcnt(0)
	s_waitcnt_vscnt null, 0x0
	s_barrier
	buffer_gl0_inv
	s_clause 0x2
	scratch_load_b128 v[6:9], off, off offset:32
	scratch_load_b128 v[25:28], off, off offset:48
	;; [unrolled: 1-line block ×3, first 2 shown]
	ds_load_b128 v[33:36], v1 offset:96
	ds_load_b128 v[1:4], v1 offset:112
	s_mov_b32 s2, exec_lo
	s_waitcnt vmcnt(2) lgkmcnt(1)
	v_mul_f64 v[10:11], v[35:36], v[8:9]
	v_mul_f64 v[8:9], v[33:34], v[8:9]
	s_waitcnt vmcnt(1) lgkmcnt(0)
	v_mul_f64 v[37:38], v[1:2], v[27:28]
	v_mul_f64 v[27:28], v[3:4], v[27:28]
	s_delay_alu instid0(VALU_DEP_4) | instskip(NEXT) | instid1(VALU_DEP_4)
	v_fma_f64 v[10:11], v[33:34], v[6:7], -v[10:11]
	v_fma_f64 v[6:7], v[35:36], v[6:7], v[8:9]
	s_delay_alu instid0(VALU_DEP_4) | instskip(NEXT) | instid1(VALU_DEP_4)
	v_fma_f64 v[3:4], v[3:4], v[25:26], v[37:38]
	v_fma_f64 v[1:2], v[1:2], v[25:26], -v[27:28]
	s_delay_alu instid0(VALU_DEP_4) | instskip(NEXT) | instid1(VALU_DEP_4)
	v_add_f64 v[8:9], v[10:11], 0
	v_add_f64 v[6:7], v[6:7], 0
	s_delay_alu instid0(VALU_DEP_2) | instskip(NEXT) | instid1(VALU_DEP_2)
	v_add_f64 v[1:2], v[8:9], v[1:2]
	v_add_f64 v[3:4], v[6:7], v[3:4]
	s_waitcnt vmcnt(0)
	s_delay_alu instid0(VALU_DEP_2) | instskip(NEXT) | instid1(VALU_DEP_2)
	v_add_f64 v[1:2], v[29:30], -v[1:2]
	v_add_f64 v[3:4], v[31:32], -v[3:4]
	scratch_store_b128 off, v[1:4], off offset:16
	v_cmpx_ne_u32_e32 0, v21
	s_cbranch_execz .LBB3_37
; %bb.36:
	scratch_load_b128 v[1:4], off, off
	v_mov_b32_e32 v6, 0
	s_delay_alu instid0(VALU_DEP_1)
	v_mov_b32_e32 v7, v6
	v_mov_b32_e32 v8, v6
	;; [unrolled: 1-line block ×3, first 2 shown]
	scratch_store_b128 off, v[6:9], off
	s_waitcnt vmcnt(0)
	ds_store_b128 v5, v[1:4]
.LBB3_37:
	s_or_b32 exec_lo, exec_lo, s2
	s_waitcnt lgkmcnt(0)
	s_waitcnt_vscnt null, 0x0
	s_barrier
	buffer_gl0_inv
	s_clause 0x3
	scratch_load_b128 v[1:4], off, off offset:16
	scratch_load_b128 v[5:8], off, off offset:32
	;; [unrolled: 1-line block ×3, first 2 shown]
	scratch_load_b128 v[25:28], off, off
	v_mov_b32_e32 v41, 0
	ds_load_b128 v[29:32], v41 offset:80
	ds_load_b128 v[33:36], v41 offset:96
	s_and_b32 vcc_lo, exec_lo, s20
	s_waitcnt vmcnt(3) lgkmcnt(1)
	v_mul_f64 v[37:38], v[31:32], v[3:4]
	v_mul_f64 v[3:4], v[29:30], v[3:4]
	s_waitcnt vmcnt(2) lgkmcnt(0)
	v_mul_f64 v[39:40], v[33:34], v[7:8]
	v_mul_f64 v[7:8], v[35:36], v[7:8]
	s_delay_alu instid0(VALU_DEP_4) | instskip(NEXT) | instid1(VALU_DEP_4)
	v_fma_f64 v[29:30], v[29:30], v[1:2], -v[37:38]
	v_fma_f64 v[31:32], v[31:32], v[1:2], v[3:4]
	ds_load_b128 v[1:4], v41 offset:112
	v_fma_f64 v[35:36], v[35:36], v[5:6], v[39:40]
	v_fma_f64 v[5:6], v[33:34], v[5:6], -v[7:8]
	s_waitcnt vmcnt(1) lgkmcnt(0)
	v_mul_f64 v[37:38], v[1:2], v[11:12]
	v_mul_f64 v[11:12], v[3:4], v[11:12]
	v_add_f64 v[7:8], v[29:30], 0
	v_add_f64 v[29:30], v[31:32], 0
	s_delay_alu instid0(VALU_DEP_4) | instskip(NEXT) | instid1(VALU_DEP_4)
	v_fma_f64 v[3:4], v[3:4], v[9:10], v[37:38]
	v_fma_f64 v[1:2], v[1:2], v[9:10], -v[11:12]
	s_delay_alu instid0(VALU_DEP_4) | instskip(NEXT) | instid1(VALU_DEP_4)
	v_add_f64 v[5:6], v[7:8], v[5:6]
	v_add_f64 v[7:8], v[29:30], v[35:36]
	s_delay_alu instid0(VALU_DEP_2) | instskip(NEXT) | instid1(VALU_DEP_2)
	v_add_f64 v[1:2], v[5:6], v[1:2]
	v_add_f64 v[3:4], v[7:8], v[3:4]
	s_waitcnt vmcnt(0)
	s_delay_alu instid0(VALU_DEP_2) | instskip(NEXT) | instid1(VALU_DEP_2)
	v_add_f64 v[1:2], v[25:26], -v[1:2]
	v_add_f64 v[3:4], v[27:28], -v[3:4]
	scratch_store_b128 off, v[1:4], off
	s_cbranch_vccz .LBB3_45
; %bb.38:
	v_dual_mov_b32 v1, s16 :: v_dual_mov_b32 v2, s17
	s_load_b64 s[0:1], s[0:1], 0x4
	flat_load_b32 v1, v[1:2] offset:8
	v_bfe_u32 v2, v0, 10, 10
	v_bfe_u32 v0, v0, 20, 10
	s_waitcnt lgkmcnt(0)
	s_lshr_b32 s0, s0, 16
	s_delay_alu instid0(VALU_DEP_2) | instskip(SKIP_1) | instid1(SALU_CYCLE_1)
	v_mul_u32_u24_e32 v2, s1, v2
	s_mul_i32 s0, s0, s1
	v_mul_u32_u24_e32 v3, s0, v21
	s_mov_b32 s0, exec_lo
	s_delay_alu instid0(VALU_DEP_1) | instskip(NEXT) | instid1(VALU_DEP_1)
	v_add3_u32 v0, v3, v2, v0
	v_lshl_add_u32 v0, v0, 4, 0x88
	s_waitcnt vmcnt(0)
	v_cmpx_ne_u32_e32 3, v1
	s_cbranch_execz .LBB3_40
; %bb.39:
	v_lshl_add_u32 v9, v1, 4, 0
	s_clause 0x1
	scratch_load_b128 v[1:4], v24, off
	scratch_load_b128 v[5:8], v9, off offset:-16
	s_waitcnt vmcnt(1)
	ds_store_2addr_b64 v0, v[1:2], v[3:4] offset1:1
	s_waitcnt vmcnt(0)
	s_clause 0x1
	scratch_store_b128 v24, v[5:8], off
	scratch_store_b128 v9, v[1:4], off offset:-16
.LBB3_40:
	s_or_b32 exec_lo, exec_lo, s0
	v_dual_mov_b32 v1, s16 :: v_dual_mov_b32 v2, s17
	s_mov_b32 s0, exec_lo
	flat_load_b32 v1, v[1:2] offset:4
	s_waitcnt vmcnt(0) lgkmcnt(0)
	v_cmpx_ne_u32_e32 2, v1
	s_cbranch_execz .LBB3_42
; %bb.41:
	v_lshl_add_u32 v9, v1, 4, 0
	s_clause 0x1
	scratch_load_b128 v[1:4], v23, off
	scratch_load_b128 v[5:8], v9, off offset:-16
	s_waitcnt vmcnt(1)
	ds_store_2addr_b64 v0, v[1:2], v[3:4] offset1:1
	s_waitcnt vmcnt(0)
	s_clause 0x1
	scratch_store_b128 v23, v[5:8], off
	scratch_store_b128 v9, v[1:4], off offset:-16
.LBB3_42:
	s_or_b32 exec_lo, exec_lo, s0
	v_dual_mov_b32 v1, s16 :: v_dual_mov_b32 v2, s17
	s_mov_b32 s0, exec_lo
	flat_load_b32 v1, v[1:2]
	s_waitcnt vmcnt(0) lgkmcnt(0)
	v_cmpx_ne_u32_e32 1, v1
	s_cbranch_execz .LBB3_44
; %bb.43:
	v_lshl_add_u32 v9, v1, 4, 0
	scratch_load_b128 v[1:4], off, off
	scratch_load_b128 v[5:8], v9, off offset:-16
	s_waitcnt vmcnt(1)
	ds_store_2addr_b64 v0, v[1:2], v[3:4] offset1:1
	s_waitcnt vmcnt(0)
	scratch_store_b128 off, v[5:8], off
	scratch_store_b128 v9, v[1:4], off offset:-16
.LBB3_44:
	s_or_b32 exec_lo, exec_lo, s0
.LBB3_45:
	scratch_load_b128 v[0:3], off, off
	s_clause 0x2
	scratch_load_b128 v[4:7], v23, off
	scratch_load_b128 v[8:11], v24, off
	;; [unrolled: 1-line block ×3, first 2 shown]
	s_waitcnt vmcnt(3)
	global_store_b128 v[13:14], v[0:3], off
	s_waitcnt vmcnt(2)
	global_store_b128 v[15:16], v[4:7], off
	;; [unrolled: 2-line block ×4, first 2 shown]
	s_endpgm
	.section	.rodata,"a",@progbits
	.p2align	6, 0x0
	.amdhsa_kernel _ZN9rocsolver6v33100L18getri_kernel_smallILi4E19rocblas_complex_numIdEPS3_EEvT1_iilPiilS6_bb
		.amdhsa_group_segment_fixed_size 1160
		.amdhsa_private_segment_fixed_size 80
		.amdhsa_kernarg_size 60
		.amdhsa_user_sgpr_count 15
		.amdhsa_user_sgpr_dispatch_ptr 1
		.amdhsa_user_sgpr_queue_ptr 0
		.amdhsa_user_sgpr_kernarg_segment_ptr 1
		.amdhsa_user_sgpr_dispatch_id 0
		.amdhsa_user_sgpr_private_segment_size 0
		.amdhsa_wavefront_size32 1
		.amdhsa_uses_dynamic_stack 0
		.amdhsa_enable_private_segment 1
		.amdhsa_system_sgpr_workgroup_id_x 1
		.amdhsa_system_sgpr_workgroup_id_y 0
		.amdhsa_system_sgpr_workgroup_id_z 0
		.amdhsa_system_sgpr_workgroup_info 0
		.amdhsa_system_vgpr_workitem_id 2
		.amdhsa_next_free_vgpr 42
		.amdhsa_next_free_sgpr 22
		.amdhsa_reserve_vcc 1
		.amdhsa_float_round_mode_32 0
		.amdhsa_float_round_mode_16_64 0
		.amdhsa_float_denorm_mode_32 3
		.amdhsa_float_denorm_mode_16_64 3
		.amdhsa_dx10_clamp 1
		.amdhsa_ieee_mode 1
		.amdhsa_fp16_overflow 0
		.amdhsa_workgroup_processor_mode 1
		.amdhsa_memory_ordered 1
		.amdhsa_forward_progress 0
		.amdhsa_shared_vgpr_count 0
		.amdhsa_exception_fp_ieee_invalid_op 0
		.amdhsa_exception_fp_denorm_src 0
		.amdhsa_exception_fp_ieee_div_zero 0
		.amdhsa_exception_fp_ieee_overflow 0
		.amdhsa_exception_fp_ieee_underflow 0
		.amdhsa_exception_fp_ieee_inexact 0
		.amdhsa_exception_int_div_zero 0
	.end_amdhsa_kernel
	.section	.text._ZN9rocsolver6v33100L18getri_kernel_smallILi4E19rocblas_complex_numIdEPS3_EEvT1_iilPiilS6_bb,"axG",@progbits,_ZN9rocsolver6v33100L18getri_kernel_smallILi4E19rocblas_complex_numIdEPS3_EEvT1_iilPiilS6_bb,comdat
.Lfunc_end3:
	.size	_ZN9rocsolver6v33100L18getri_kernel_smallILi4E19rocblas_complex_numIdEPS3_EEvT1_iilPiilS6_bb, .Lfunc_end3-_ZN9rocsolver6v33100L18getri_kernel_smallILi4E19rocblas_complex_numIdEPS3_EEvT1_iilPiilS6_bb
                                        ; -- End function
	.section	.AMDGPU.csdata,"",@progbits
; Kernel info:
; codeLenInByte = 3504
; NumSgprs: 24
; NumVgprs: 42
; ScratchSize: 80
; MemoryBound: 0
; FloatMode: 240
; IeeeMode: 1
; LDSByteSize: 1160 bytes/workgroup (compile time only)
; SGPRBlocks: 2
; VGPRBlocks: 5
; NumSGPRsForWavesPerEU: 24
; NumVGPRsForWavesPerEU: 42
; Occupancy: 16
; WaveLimiterHint : 0
; COMPUTE_PGM_RSRC2:SCRATCH_EN: 1
; COMPUTE_PGM_RSRC2:USER_SGPR: 15
; COMPUTE_PGM_RSRC2:TRAP_HANDLER: 0
; COMPUTE_PGM_RSRC2:TGID_X_EN: 1
; COMPUTE_PGM_RSRC2:TGID_Y_EN: 0
; COMPUTE_PGM_RSRC2:TGID_Z_EN: 0
; COMPUTE_PGM_RSRC2:TIDIG_COMP_CNT: 2
	.section	.text._ZN9rocsolver6v33100L18getri_kernel_smallILi5E19rocblas_complex_numIdEPS3_EEvT1_iilPiilS6_bb,"axG",@progbits,_ZN9rocsolver6v33100L18getri_kernel_smallILi5E19rocblas_complex_numIdEPS3_EEvT1_iilPiilS6_bb,comdat
	.globl	_ZN9rocsolver6v33100L18getri_kernel_smallILi5E19rocblas_complex_numIdEPS3_EEvT1_iilPiilS6_bb ; -- Begin function _ZN9rocsolver6v33100L18getri_kernel_smallILi5E19rocblas_complex_numIdEPS3_EEvT1_iilPiilS6_bb
	.p2align	8
	.type	_ZN9rocsolver6v33100L18getri_kernel_smallILi5E19rocblas_complex_numIdEPS3_EEvT1_iilPiilS6_bb,@function
_ZN9rocsolver6v33100L18getri_kernel_smallILi5E19rocblas_complex_numIdEPS3_EEvT1_iilPiilS6_bb: ; @_ZN9rocsolver6v33100L18getri_kernel_smallILi5E19rocblas_complex_numIdEPS3_EEvT1_iilPiilS6_bb
; %bb.0:
	v_and_b32_e32 v23, 0x3ff, v0
	s_mov_b32 s4, exec_lo
	s_delay_alu instid0(VALU_DEP_1)
	v_cmpx_gt_u32_e32 5, v23
	s_cbranch_execz .LBB4_34
; %bb.1:
	s_mov_b32 s18, s15
	s_clause 0x2
	s_load_b32 s21, s[2:3], 0x38
	s_load_b128 s[12:15], s[2:3], 0x10
	s_load_b128 s[4:7], s[2:3], 0x28
                                        ; implicit-def: $sgpr16_sgpr17
	s_waitcnt lgkmcnt(0)
	s_bitcmp1_b32 s21, 8
	s_cselect_b32 s20, -1, 0
	s_bfe_u32 s8, s21, 0x10008
	s_ashr_i32 s19, s18, 31
	s_cmp_eq_u32 s8, 0
	s_cbranch_scc1 .LBB4_3
; %bb.2:
	s_load_b32 s8, s[2:3], 0x20
	s_mul_i32 s5, s18, s5
	s_mul_hi_u32 s9, s18, s4
	s_mul_i32 s10, s19, s4
	s_add_i32 s5, s9, s5
	s_mul_i32 s4, s18, s4
	s_add_i32 s5, s5, s10
	s_delay_alu instid0(SALU_CYCLE_1)
	s_lshl_b64 s[4:5], s[4:5], 2
	s_waitcnt lgkmcnt(0)
	s_ashr_i32 s9, s8, 31
	s_add_u32 s10, s14, s4
	s_addc_u32 s11, s15, s5
	s_lshl_b64 s[4:5], s[8:9], 2
	s_delay_alu instid0(SALU_CYCLE_1)
	s_add_u32 s16, s10, s4
	s_addc_u32 s17, s11, s5
.LBB4_3:
	s_load_b128 s[8:11], s[2:3], 0x0
	s_mul_i32 s2, s18, s13
	s_mul_hi_u32 s3, s18, s12
	s_mul_i32 s4, s19, s12
	s_add_i32 s3, s3, s2
	s_mul_i32 s2, s18, s12
	s_add_i32 s3, s3, s4
	v_lshlrev_b32_e32 v28, 4, v23
	s_lshl_b64 s[2:3], s[2:3], 4
	v_add_nc_u32_e64 v26, 0, 16
	v_add_nc_u32_e64 v27, 0, 32
	;; [unrolled: 1-line block ×4, first 2 shown]
	s_waitcnt lgkmcnt(0)
	v_add3_u32 v1, s11, s11, v23
	s_ashr_i32 s5, s10, 31
	s_mov_b32 s4, s10
	s_add_u32 s8, s8, s2
	s_addc_u32 s9, s9, s3
	v_add_nc_u32_e32 v5, s11, v1
	s_lshl_b64 s[2:3], s[4:5], 4
	v_ashrrev_i32_e32 v2, 31, v1
	s_add_u32 s2, s8, s2
	s_addc_u32 s3, s9, s3
	v_add_nc_u32_e32 v9, s11, v5
	v_add_co_u32 v13, s8, s2, v28
	v_ashrrev_i32_e32 v6, 31, v5
	s_mov_b32 s4, s11
	s_ashr_i32 s5, s11, 31
	v_add_co_ci_u32_e64 v14, null, s3, 0, s8
	v_lshlrev_b64 v[11:12], 4, v[1:2]
	s_lshl_b64 s[4:5], s[4:5], 4
	v_ashrrev_i32_e32 v10, 31, v9
	v_add_co_u32 v15, vcc_lo, v13, s4
	v_lshlrev_b64 v[19:20], 4, v[5:6]
	v_add_co_ci_u32_e32 v16, vcc_lo, s5, v14, vcc_lo
	v_add_co_u32 v17, vcc_lo, s2, v11
	v_lshlrev_b64 v[9:10], 4, v[9:10]
	v_add_co_ci_u32_e32 v18, vcc_lo, s3, v12, vcc_lo
	v_add_co_u32 v19, vcc_lo, s2, v19
	v_add_co_ci_u32_e32 v20, vcc_lo, s3, v20, vcc_lo
	s_delay_alu instid0(VALU_DEP_4)
	v_add_co_u32 v21, vcc_lo, s2, v9
	v_add_co_ci_u32_e32 v22, vcc_lo, s3, v10, vcc_lo
	s_clause 0x4
	global_load_b128 v[1:4], v28, s[2:3]
	global_load_b128 v[5:8], v[15:16], off
	global_load_b128 v[9:12], v[17:18], off
	;; [unrolled: 1-line block ×4, first 2 shown]
	s_bitcmp0_b32 s21, 0
	s_mov_b32 s3, -1
	s_waitcnt vmcnt(4)
	scratch_store_b128 off, v[1:4], off
	s_waitcnt vmcnt(3)
	scratch_store_b128 off, v[5:8], off offset:16
	s_waitcnt vmcnt(2)
	scratch_store_b128 off, v[9:12], off offset:32
	;; [unrolled: 2-line block ×4, first 2 shown]
	s_cbranch_scc1 .LBB4_32
; %bb.4:
	v_cmp_eq_u32_e64 s2, 0, v23
	s_delay_alu instid0(VALU_DEP_1)
	s_and_saveexec_b32 s3, s2
	s_cbranch_execz .LBB4_6
; %bb.5:
	v_mov_b32_e32 v1, 0
	ds_store_b32 v1, v1 offset:160
.LBB4_6:
	s_or_b32 exec_lo, exec_lo, s3
	s_waitcnt lgkmcnt(0)
	s_waitcnt_vscnt null, 0x0
	s_barrier
	buffer_gl0_inv
	scratch_load_b128 v[1:4], v28, off
	s_waitcnt vmcnt(0)
	v_cmp_eq_f64_e32 vcc_lo, 0, v[1:2]
	v_cmp_eq_f64_e64 s3, 0, v[3:4]
	s_delay_alu instid0(VALU_DEP_1) | instskip(NEXT) | instid1(SALU_CYCLE_1)
	s_and_b32 s3, vcc_lo, s3
	s_and_saveexec_b32 s4, s3
	s_cbranch_execz .LBB4_10
; %bb.7:
	v_mov_b32_e32 v1, 0
	s_mov_b32 s5, 0
	ds_load_b32 v2, v1 offset:160
	s_waitcnt lgkmcnt(0)
	v_readfirstlane_b32 s3, v2
	v_add_nc_u32_e32 v2, 1, v23
	s_delay_alu instid0(VALU_DEP_2) | instskip(NEXT) | instid1(VALU_DEP_1)
	s_cmp_eq_u32 s3, 0
	v_cmp_gt_i32_e32 vcc_lo, s3, v2
	s_cselect_b32 s8, -1, 0
	s_delay_alu instid0(SALU_CYCLE_1) | instskip(NEXT) | instid1(SALU_CYCLE_1)
	s_or_b32 s8, s8, vcc_lo
	s_and_b32 exec_lo, exec_lo, s8
	s_cbranch_execz .LBB4_10
; %bb.8:
	v_mov_b32_e32 v3, s3
.LBB4_9:                                ; =>This Inner Loop Header: Depth=1
	ds_cmpstore_rtn_b32 v3, v1, v2, v3 offset:160
	s_waitcnt lgkmcnt(0)
	v_cmp_ne_u32_e32 vcc_lo, 0, v3
	v_cmp_le_i32_e64 s3, v3, v2
	s_delay_alu instid0(VALU_DEP_1) | instskip(NEXT) | instid1(SALU_CYCLE_1)
	s_and_b32 s3, vcc_lo, s3
	s_and_b32 s3, exec_lo, s3
	s_delay_alu instid0(SALU_CYCLE_1) | instskip(NEXT) | instid1(SALU_CYCLE_1)
	s_or_b32 s5, s3, s5
	s_and_not1_b32 exec_lo, exec_lo, s5
	s_cbranch_execnz .LBB4_9
.LBB4_10:
	s_or_b32 exec_lo, exec_lo, s4
	v_mov_b32_e32 v1, 0
	s_barrier
	buffer_gl0_inv
	ds_load_b32 v2, v1 offset:160
	s_and_saveexec_b32 s3, s2
	s_cbranch_execz .LBB4_12
; %bb.11:
	s_lshl_b64 s[4:5], s[18:19], 2
	s_delay_alu instid0(SALU_CYCLE_1)
	s_add_u32 s4, s6, s4
	s_addc_u32 s5, s7, s5
	s_waitcnt lgkmcnt(0)
	global_store_b32 v1, v2, s[4:5]
.LBB4_12:
	s_or_b32 exec_lo, exec_lo, s3
	s_waitcnt lgkmcnt(0)
	v_cmp_ne_u32_e32 vcc_lo, 0, v2
	s_mov_b32 s3, 0
	s_cbranch_vccnz .LBB4_32
; %bb.13:
	v_add_nc_u32_e32 v29, 0, v28
                                        ; implicit-def: $vgpr9_vgpr10
	scratch_load_b128 v[1:4], v29, off
	s_waitcnt vmcnt(0)
	v_cmp_gt_f64_e32 vcc_lo, 0, v[1:2]
	v_xor_b32_e32 v6, 0x80000000, v2
	v_xor_b32_e32 v7, 0x80000000, v4
	s_delay_alu instid0(VALU_DEP_2) | instskip(SKIP_1) | instid1(VALU_DEP_3)
	v_cndmask_b32_e32 v6, v2, v6, vcc_lo
	v_cmp_gt_f64_e32 vcc_lo, 0, v[3:4]
	v_dual_mov_b32 v5, v1 :: v_dual_cndmask_b32 v8, v4, v7
	v_mov_b32_e32 v7, v3
	s_delay_alu instid0(VALU_DEP_1) | instskip(SKIP_1) | instid1(SALU_CYCLE_1)
	v_cmp_ngt_f64_e32 vcc_lo, v[5:6], v[7:8]
                                        ; implicit-def: $vgpr5_vgpr6
	s_and_saveexec_b32 s3, vcc_lo
	s_xor_b32 s3, exec_lo, s3
	s_cbranch_execz .LBB4_15
; %bb.14:
	v_div_scale_f64 v[5:6], null, v[3:4], v[3:4], v[1:2]
	v_div_scale_f64 v[11:12], vcc_lo, v[1:2], v[3:4], v[1:2]
	s_delay_alu instid0(VALU_DEP_2) | instskip(SKIP_2) | instid1(VALU_DEP_1)
	v_rcp_f64_e32 v[7:8], v[5:6]
	s_waitcnt_depctr 0xfff
	v_fma_f64 v[9:10], -v[5:6], v[7:8], 1.0
	v_fma_f64 v[7:8], v[7:8], v[9:10], v[7:8]
	s_delay_alu instid0(VALU_DEP_1) | instskip(NEXT) | instid1(VALU_DEP_1)
	v_fma_f64 v[9:10], -v[5:6], v[7:8], 1.0
	v_fma_f64 v[7:8], v[7:8], v[9:10], v[7:8]
	s_delay_alu instid0(VALU_DEP_1) | instskip(NEXT) | instid1(VALU_DEP_1)
	v_mul_f64 v[9:10], v[11:12], v[7:8]
	v_fma_f64 v[5:6], -v[5:6], v[9:10], v[11:12]
	s_delay_alu instid0(VALU_DEP_1) | instskip(NEXT) | instid1(VALU_DEP_1)
	v_div_fmas_f64 v[5:6], v[5:6], v[7:8], v[9:10]
	v_div_fixup_f64 v[5:6], v[5:6], v[3:4], v[1:2]
	s_delay_alu instid0(VALU_DEP_1) | instskip(NEXT) | instid1(VALU_DEP_1)
	v_fma_f64 v[1:2], v[1:2], v[5:6], v[3:4]
	v_div_scale_f64 v[3:4], null, v[1:2], v[1:2], 1.0
	v_div_scale_f64 v[11:12], vcc_lo, 1.0, v[1:2], 1.0
	s_delay_alu instid0(VALU_DEP_2) | instskip(SKIP_2) | instid1(VALU_DEP_1)
	v_rcp_f64_e32 v[7:8], v[3:4]
	s_waitcnt_depctr 0xfff
	v_fma_f64 v[9:10], -v[3:4], v[7:8], 1.0
	v_fma_f64 v[7:8], v[7:8], v[9:10], v[7:8]
	s_delay_alu instid0(VALU_DEP_1) | instskip(NEXT) | instid1(VALU_DEP_1)
	v_fma_f64 v[9:10], -v[3:4], v[7:8], 1.0
	v_fma_f64 v[7:8], v[7:8], v[9:10], v[7:8]
	s_delay_alu instid0(VALU_DEP_1) | instskip(NEXT) | instid1(VALU_DEP_1)
	v_mul_f64 v[9:10], v[11:12], v[7:8]
	v_fma_f64 v[3:4], -v[3:4], v[9:10], v[11:12]
	s_delay_alu instid0(VALU_DEP_1) | instskip(NEXT) | instid1(VALU_DEP_1)
	v_div_fmas_f64 v[3:4], v[3:4], v[7:8], v[9:10]
	v_div_fixup_f64 v[7:8], v[3:4], v[1:2], 1.0
                                        ; implicit-def: $vgpr1_vgpr2
	s_delay_alu instid0(VALU_DEP_1) | instskip(SKIP_1) | instid1(VALU_DEP_2)
	v_mul_f64 v[5:6], v[5:6], v[7:8]
	v_xor_b32_e32 v8, 0x80000000, v8
	v_xor_b32_e32 v10, 0x80000000, v6
	s_delay_alu instid0(VALU_DEP_3)
	v_mov_b32_e32 v9, v5
.LBB4_15:
	s_and_not1_saveexec_b32 s3, s3
	s_cbranch_execz .LBB4_17
; %bb.16:
	v_div_scale_f64 v[5:6], null, v[1:2], v[1:2], v[3:4]
	v_div_scale_f64 v[11:12], vcc_lo, v[3:4], v[1:2], v[3:4]
	s_delay_alu instid0(VALU_DEP_2) | instskip(SKIP_2) | instid1(VALU_DEP_1)
	v_rcp_f64_e32 v[7:8], v[5:6]
	s_waitcnt_depctr 0xfff
	v_fma_f64 v[9:10], -v[5:6], v[7:8], 1.0
	v_fma_f64 v[7:8], v[7:8], v[9:10], v[7:8]
	s_delay_alu instid0(VALU_DEP_1) | instskip(NEXT) | instid1(VALU_DEP_1)
	v_fma_f64 v[9:10], -v[5:6], v[7:8], 1.0
	v_fma_f64 v[7:8], v[7:8], v[9:10], v[7:8]
	s_delay_alu instid0(VALU_DEP_1) | instskip(NEXT) | instid1(VALU_DEP_1)
	v_mul_f64 v[9:10], v[11:12], v[7:8]
	v_fma_f64 v[5:6], -v[5:6], v[9:10], v[11:12]
	s_delay_alu instid0(VALU_DEP_1) | instskip(NEXT) | instid1(VALU_DEP_1)
	v_div_fmas_f64 v[5:6], v[5:6], v[7:8], v[9:10]
	v_div_fixup_f64 v[7:8], v[5:6], v[1:2], v[3:4]
	s_delay_alu instid0(VALU_DEP_1) | instskip(NEXT) | instid1(VALU_DEP_1)
	v_fma_f64 v[1:2], v[3:4], v[7:8], v[1:2]
	v_div_scale_f64 v[3:4], null, v[1:2], v[1:2], 1.0
	s_delay_alu instid0(VALU_DEP_1) | instskip(SKIP_2) | instid1(VALU_DEP_1)
	v_rcp_f64_e32 v[5:6], v[3:4]
	s_waitcnt_depctr 0xfff
	v_fma_f64 v[9:10], -v[3:4], v[5:6], 1.0
	v_fma_f64 v[5:6], v[5:6], v[9:10], v[5:6]
	s_delay_alu instid0(VALU_DEP_1) | instskip(NEXT) | instid1(VALU_DEP_1)
	v_fma_f64 v[9:10], -v[3:4], v[5:6], 1.0
	v_fma_f64 v[5:6], v[5:6], v[9:10], v[5:6]
	v_div_scale_f64 v[9:10], vcc_lo, 1.0, v[1:2], 1.0
	s_delay_alu instid0(VALU_DEP_1) | instskip(NEXT) | instid1(VALU_DEP_1)
	v_mul_f64 v[11:12], v[9:10], v[5:6]
	v_fma_f64 v[3:4], -v[3:4], v[11:12], v[9:10]
	s_delay_alu instid0(VALU_DEP_1) | instskip(NEXT) | instid1(VALU_DEP_1)
	v_div_fmas_f64 v[3:4], v[3:4], v[5:6], v[11:12]
	v_div_fixup_f64 v[5:6], v[3:4], v[1:2], 1.0
	s_delay_alu instid0(VALU_DEP_1)
	v_mul_f64 v[7:8], v[7:8], -v[5:6]
	v_xor_b32_e32 v10, 0x80000000, v6
	v_mov_b32_e32 v9, v5
.LBB4_17:
	s_or_b32 exec_lo, exec_lo, s3
	scratch_store_b128 v29, v[5:8], off
	scratch_load_b128 v[1:4], v26, off
	v_xor_b32_e32 v12, 0x80000000, v8
	v_mov_b32_e32 v11, v7
	v_add_nc_u32_e32 v5, 0x50, v28
	ds_store_b128 v28, v[9:12]
	s_waitcnt vmcnt(0)
	ds_store_b128 v28, v[1:4] offset:80
	s_waitcnt lgkmcnt(0)
	s_waitcnt_vscnt null, 0x0
	s_barrier
	buffer_gl0_inv
	s_and_saveexec_b32 s3, s2
	s_cbranch_execz .LBB4_19
; %bb.18:
	scratch_load_b128 v[1:4], v29, off
	ds_load_b128 v[6:9], v5
	v_mov_b32_e32 v10, 0
	ds_load_b128 v[30:33], v10 offset:16
	s_waitcnt vmcnt(0) lgkmcnt(1)
	v_mul_f64 v[10:11], v[6:7], v[3:4]
	v_mul_f64 v[3:4], v[8:9], v[3:4]
	s_delay_alu instid0(VALU_DEP_2) | instskip(NEXT) | instid1(VALU_DEP_2)
	v_fma_f64 v[8:9], v[8:9], v[1:2], v[10:11]
	v_fma_f64 v[1:2], v[6:7], v[1:2], -v[3:4]
	s_delay_alu instid0(VALU_DEP_2) | instskip(NEXT) | instid1(VALU_DEP_2)
	v_add_f64 v[3:4], v[8:9], 0
	v_add_f64 v[1:2], v[1:2], 0
	s_waitcnt lgkmcnt(0)
	s_delay_alu instid0(VALU_DEP_2) | instskip(NEXT) | instid1(VALU_DEP_2)
	v_mul_f64 v[6:7], v[3:4], v[32:33]
	v_mul_f64 v[8:9], v[1:2], v[32:33]
	s_delay_alu instid0(VALU_DEP_2) | instskip(NEXT) | instid1(VALU_DEP_2)
	v_fma_f64 v[1:2], v[1:2], v[30:31], -v[6:7]
	v_fma_f64 v[3:4], v[3:4], v[30:31], v[8:9]
	scratch_store_b128 off, v[1:4], off offset:16
.LBB4_19:
	s_or_b32 exec_lo, exec_lo, s3
	s_waitcnt_vscnt null, 0x0
	s_barrier
	buffer_gl0_inv
	scratch_load_b128 v[1:4], v27, off
	s_mov_b32 s3, exec_lo
	s_waitcnt vmcnt(0)
	ds_store_b128 v5, v[1:4]
	s_waitcnt lgkmcnt(0)
	s_barrier
	buffer_gl0_inv
	v_cmpx_gt_u32_e32 2, v23
	s_cbranch_execz .LBB4_23
; %bb.20:
	scratch_load_b128 v[1:4], v29, off
	ds_load_b128 v[6:9], v5
	s_waitcnt vmcnt(0) lgkmcnt(0)
	v_mul_f64 v[10:11], v[8:9], v[3:4]
	v_mul_f64 v[3:4], v[6:7], v[3:4]
	s_delay_alu instid0(VALU_DEP_2) | instskip(NEXT) | instid1(VALU_DEP_2)
	v_fma_f64 v[6:7], v[6:7], v[1:2], -v[10:11]
	v_fma_f64 v[3:4], v[8:9], v[1:2], v[3:4]
	s_delay_alu instid0(VALU_DEP_2) | instskip(NEXT) | instid1(VALU_DEP_2)
	v_add_f64 v[1:2], v[6:7], 0
	v_add_f64 v[3:4], v[3:4], 0
	s_and_saveexec_b32 s4, s2
	s_cbranch_execz .LBB4_22
; %bb.21:
	scratch_load_b128 v[6:9], off, off offset:16
	v_mov_b32_e32 v10, 0
	ds_load_b128 v[30:33], v10 offset:96
	s_waitcnt vmcnt(0) lgkmcnt(0)
	v_mul_f64 v[10:11], v[30:31], v[8:9]
	v_mul_f64 v[8:9], v[32:33], v[8:9]
	s_delay_alu instid0(VALU_DEP_2) | instskip(NEXT) | instid1(VALU_DEP_2)
	v_fma_f64 v[10:11], v[32:33], v[6:7], v[10:11]
	v_fma_f64 v[6:7], v[30:31], v[6:7], -v[8:9]
	s_delay_alu instid0(VALU_DEP_2) | instskip(NEXT) | instid1(VALU_DEP_2)
	v_add_f64 v[3:4], v[3:4], v[10:11]
	v_add_f64 v[1:2], v[1:2], v[6:7]
.LBB4_22:
	s_or_b32 exec_lo, exec_lo, s4
	v_mov_b32_e32 v6, 0
	ds_load_b128 v[6:9], v6 offset:32
	s_waitcnt lgkmcnt(0)
	v_mul_f64 v[10:11], v[3:4], v[8:9]
	v_mul_f64 v[8:9], v[1:2], v[8:9]
	s_delay_alu instid0(VALU_DEP_2) | instskip(NEXT) | instid1(VALU_DEP_2)
	v_fma_f64 v[1:2], v[1:2], v[6:7], -v[10:11]
	v_fma_f64 v[3:4], v[3:4], v[6:7], v[8:9]
	scratch_store_b128 off, v[1:4], off offset:32
.LBB4_23:
	s_or_b32 exec_lo, exec_lo, s3
	s_waitcnt_vscnt null, 0x0
	s_barrier
	buffer_gl0_inv
	scratch_load_b128 v[1:4], v25, off
	v_add_nc_u32_e32 v6, -1, v23
	s_mov_b32 s2, exec_lo
	s_waitcnt vmcnt(0)
	ds_store_b128 v5, v[1:4]
	s_waitcnt lgkmcnt(0)
	s_barrier
	buffer_gl0_inv
	v_cmpx_gt_u32_e32 3, v23
	s_cbranch_execz .LBB4_27
; %bb.24:
	v_dual_mov_b32 v1, 0 :: v_dual_add_nc_u32 v8, 0x50, v28
	v_dual_mov_b32 v2, 0 :: v_dual_add_nc_u32 v7, -1, v23
	v_or_b32_e32 v9, 8, v29
	s_mov_b32 s3, 0
	s_delay_alu instid0(VALU_DEP_2)
	v_dual_mov_b32 v4, v2 :: v_dual_mov_b32 v3, v1
	.p2align	6
.LBB4_25:                               ; =>This Inner Loop Header: Depth=1
	scratch_load_b128 v[30:33], v9, off offset:-8
	ds_load_b128 v[34:37], v8
	v_add_nc_u32_e32 v7, 1, v7
	v_add_nc_u32_e32 v8, 16, v8
	;; [unrolled: 1-line block ×3, first 2 shown]
	s_delay_alu instid0(VALU_DEP_3) | instskip(SKIP_4) | instid1(VALU_DEP_2)
	v_cmp_lt_u32_e32 vcc_lo, 1, v7
	s_or_b32 s3, vcc_lo, s3
	s_waitcnt vmcnt(0) lgkmcnt(0)
	v_mul_f64 v[10:11], v[36:37], v[32:33]
	v_mul_f64 v[32:33], v[34:35], v[32:33]
	v_fma_f64 v[10:11], v[34:35], v[30:31], -v[10:11]
	s_delay_alu instid0(VALU_DEP_2) | instskip(NEXT) | instid1(VALU_DEP_2)
	v_fma_f64 v[30:31], v[36:37], v[30:31], v[32:33]
	v_add_f64 v[3:4], v[3:4], v[10:11]
	s_delay_alu instid0(VALU_DEP_2)
	v_add_f64 v[1:2], v[1:2], v[30:31]
	s_and_not1_b32 exec_lo, exec_lo, s3
	s_cbranch_execnz .LBB4_25
; %bb.26:
	s_or_b32 exec_lo, exec_lo, s3
	v_mov_b32_e32 v7, 0
	ds_load_b128 v[7:10], v7 offset:48
	s_waitcnt lgkmcnt(0)
	v_mul_f64 v[11:12], v[1:2], v[9:10]
	v_mul_f64 v[30:31], v[3:4], v[9:10]
	s_delay_alu instid0(VALU_DEP_2) | instskip(NEXT) | instid1(VALU_DEP_2)
	v_fma_f64 v[9:10], v[3:4], v[7:8], -v[11:12]
	v_fma_f64 v[11:12], v[1:2], v[7:8], v[30:31]
	scratch_store_b128 off, v[9:12], off offset:48
.LBB4_27:
	s_or_b32 exec_lo, exec_lo, s2
	s_waitcnt_vscnt null, 0x0
	s_barrier
	buffer_gl0_inv
	scratch_load_b128 v[1:4], v24, off
	s_mov_b32 s2, exec_lo
	s_waitcnt vmcnt(0)
	ds_store_b128 v5, v[1:4]
	s_waitcnt lgkmcnt(0)
	s_barrier
	buffer_gl0_inv
	v_cmpx_ne_u32_e32 4, v23
	s_cbranch_execz .LBB4_31
; %bb.28:
	v_mov_b32_e32 v1, 0
	v_mov_b32_e32 v2, 0
	v_or_b32_e32 v7, 8, v29
	s_mov_b32 s3, 0
	s_delay_alu instid0(VALU_DEP_2)
	v_dual_mov_b32 v4, v2 :: v_dual_mov_b32 v3, v1
	.p2align	6
.LBB4_29:                               ; =>This Inner Loop Header: Depth=1
	scratch_load_b128 v[8:11], v7, off offset:-8
	ds_load_b128 v[28:31], v5
	v_add_nc_u32_e32 v6, 1, v6
	v_add_nc_u32_e32 v5, 16, v5
	;; [unrolled: 1-line block ×3, first 2 shown]
	s_delay_alu instid0(VALU_DEP_3) | instskip(SKIP_4) | instid1(VALU_DEP_2)
	v_cmp_lt_u32_e32 vcc_lo, 2, v6
	s_or_b32 s3, vcc_lo, s3
	s_waitcnt vmcnt(0) lgkmcnt(0)
	v_mul_f64 v[32:33], v[30:31], v[10:11]
	v_mul_f64 v[10:11], v[28:29], v[10:11]
	v_fma_f64 v[28:29], v[28:29], v[8:9], -v[32:33]
	s_delay_alu instid0(VALU_DEP_2) | instskip(NEXT) | instid1(VALU_DEP_2)
	v_fma_f64 v[8:9], v[30:31], v[8:9], v[10:11]
	v_add_f64 v[3:4], v[3:4], v[28:29]
	s_delay_alu instid0(VALU_DEP_2)
	v_add_f64 v[1:2], v[1:2], v[8:9]
	s_and_not1_b32 exec_lo, exec_lo, s3
	s_cbranch_execnz .LBB4_29
; %bb.30:
	s_or_b32 exec_lo, exec_lo, s3
	v_mov_b32_e32 v5, 0
	ds_load_b128 v[5:8], v5 offset:64
	s_waitcnt lgkmcnt(0)
	v_mul_f64 v[9:10], v[1:2], v[7:8]
	v_mul_f64 v[7:8], v[3:4], v[7:8]
	s_delay_alu instid0(VALU_DEP_2) | instskip(NEXT) | instid1(VALU_DEP_2)
	v_fma_f64 v[3:4], v[3:4], v[5:6], -v[9:10]
	v_fma_f64 v[5:6], v[1:2], v[5:6], v[7:8]
	scratch_store_b128 off, v[3:6], off offset:64
.LBB4_31:
	s_or_b32 exec_lo, exec_lo, s2
	s_mov_b32 s3, -1
	s_waitcnt_vscnt null, 0x0
	s_barrier
	buffer_gl0_inv
.LBB4_32:
	s_and_b32 vcc_lo, exec_lo, s3
	s_cbranch_vccz .LBB4_34
; %bb.33:
	s_lshl_b64 s[2:3], s[18:19], 2
	v_mov_b32_e32 v1, 0
	s_add_u32 s2, s6, s2
	s_addc_u32 s3, s7, s3
	global_load_b32 v1, v1, s[2:3]
	s_waitcnt vmcnt(0)
	v_cmp_ne_u32_e32 vcc_lo, 0, v1
	s_cbranch_vccz .LBB4_35
.LBB4_34:
	s_endpgm
.LBB4_35:
	v_lshl_add_u32 v5, v23, 4, 0x50
	s_mov_b32 s2, exec_lo
	v_cmpx_eq_u32_e32 4, v23
	s_cbranch_execz .LBB4_37
; %bb.36:
	scratch_load_b128 v[1:4], v25, off
	v_mov_b32_e32 v6, 0
	s_delay_alu instid0(VALU_DEP_1)
	v_mov_b32_e32 v7, v6
	v_mov_b32_e32 v8, v6
	;; [unrolled: 1-line block ×3, first 2 shown]
	scratch_store_b128 off, v[6:9], off offset:48
	s_waitcnt vmcnt(0)
	ds_store_b128 v5, v[1:4]
.LBB4_37:
	s_or_b32 exec_lo, exec_lo, s2
	s_waitcnt lgkmcnt(0)
	s_waitcnt_vscnt null, 0x0
	s_barrier
	buffer_gl0_inv
	s_clause 0x1
	scratch_load_b128 v[6:9], off, off offset:64
	scratch_load_b128 v[28:31], off, off offset:48
	v_mov_b32_e32 v1, 0
	s_mov_b32 s2, exec_lo
	ds_load_b128 v[32:35], v1 offset:144
	s_waitcnt vmcnt(1) lgkmcnt(0)
	v_mul_f64 v[2:3], v[34:35], v[8:9]
	v_mul_f64 v[8:9], v[32:33], v[8:9]
	s_delay_alu instid0(VALU_DEP_2) | instskip(NEXT) | instid1(VALU_DEP_2)
	v_fma_f64 v[2:3], v[32:33], v[6:7], -v[2:3]
	v_fma_f64 v[6:7], v[34:35], v[6:7], v[8:9]
	s_delay_alu instid0(VALU_DEP_2) | instskip(NEXT) | instid1(VALU_DEP_2)
	v_add_f64 v[2:3], v[2:3], 0
	v_add_f64 v[8:9], v[6:7], 0
	s_waitcnt vmcnt(0)
	s_delay_alu instid0(VALU_DEP_2) | instskip(NEXT) | instid1(VALU_DEP_2)
	v_add_f64 v[6:7], v[28:29], -v[2:3]
	v_add_f64 v[8:9], v[30:31], -v[8:9]
	scratch_store_b128 off, v[6:9], off offset:48
	v_cmpx_lt_u32_e32 2, v23
	s_cbranch_execz .LBB4_39
; %bb.38:
	scratch_load_b128 v[6:9], v27, off
	v_mov_b32_e32 v2, v1
	v_mov_b32_e32 v3, v1
	;; [unrolled: 1-line block ×3, first 2 shown]
	scratch_store_b128 off, v[1:4], off offset:32
	s_waitcnt vmcnt(0)
	ds_store_b128 v5, v[6:9]
.LBB4_39:
	s_or_b32 exec_lo, exec_lo, s2
	s_waitcnt lgkmcnt(0)
	s_waitcnt_vscnt null, 0x0
	s_barrier
	buffer_gl0_inv
	s_clause 0x2
	scratch_load_b128 v[6:9], off, off offset:48
	scratch_load_b128 v[28:31], off, off offset:64
	;; [unrolled: 1-line block ×3, first 2 shown]
	ds_load_b128 v[36:39], v1 offset:128
	ds_load_b128 v[1:4], v1 offset:144
	s_mov_b32 s2, exec_lo
	s_waitcnt vmcnt(2) lgkmcnt(1)
	v_mul_f64 v[10:11], v[38:39], v[8:9]
	v_mul_f64 v[8:9], v[36:37], v[8:9]
	s_waitcnt vmcnt(1) lgkmcnt(0)
	v_mul_f64 v[40:41], v[1:2], v[30:31]
	v_mul_f64 v[30:31], v[3:4], v[30:31]
	s_delay_alu instid0(VALU_DEP_4) | instskip(NEXT) | instid1(VALU_DEP_4)
	v_fma_f64 v[10:11], v[36:37], v[6:7], -v[10:11]
	v_fma_f64 v[6:7], v[38:39], v[6:7], v[8:9]
	s_delay_alu instid0(VALU_DEP_4) | instskip(NEXT) | instid1(VALU_DEP_4)
	v_fma_f64 v[3:4], v[3:4], v[28:29], v[40:41]
	v_fma_f64 v[1:2], v[1:2], v[28:29], -v[30:31]
	s_delay_alu instid0(VALU_DEP_4) | instskip(NEXT) | instid1(VALU_DEP_4)
	v_add_f64 v[8:9], v[10:11], 0
	v_add_f64 v[6:7], v[6:7], 0
	s_delay_alu instid0(VALU_DEP_2) | instskip(NEXT) | instid1(VALU_DEP_2)
	v_add_f64 v[1:2], v[8:9], v[1:2]
	v_add_f64 v[3:4], v[6:7], v[3:4]
	s_waitcnt vmcnt(0)
	s_delay_alu instid0(VALU_DEP_2) | instskip(NEXT) | instid1(VALU_DEP_2)
	v_add_f64 v[1:2], v[32:33], -v[1:2]
	v_add_f64 v[3:4], v[34:35], -v[3:4]
	scratch_store_b128 off, v[1:4], off offset:32
	v_cmpx_lt_u32_e32 1, v23
	s_cbranch_execz .LBB4_41
; %bb.40:
	scratch_load_b128 v[1:4], v26, off
	v_mov_b32_e32 v6, 0
	s_delay_alu instid0(VALU_DEP_1)
	v_mov_b32_e32 v7, v6
	v_mov_b32_e32 v8, v6
	;; [unrolled: 1-line block ×3, first 2 shown]
	scratch_store_b128 off, v[6:9], off offset:16
	s_waitcnt vmcnt(0)
	ds_store_b128 v5, v[1:4]
.LBB4_41:
	s_or_b32 exec_lo, exec_lo, s2
	s_waitcnt lgkmcnt(0)
	s_waitcnt_vscnt null, 0x0
	s_barrier
	buffer_gl0_inv
	s_clause 0x3
	scratch_load_b128 v[6:9], off, off offset:32
	scratch_load_b128 v[28:31], off, off offset:48
	;; [unrolled: 1-line block ×4, first 2 shown]
	v_mov_b32_e32 v1, 0
	ds_load_b128 v[40:43], v1 offset:112
	ds_load_b128 v[44:47], v1 offset:128
	s_mov_b32 s2, exec_lo
	s_waitcnt vmcnt(3) lgkmcnt(1)
	v_mul_f64 v[2:3], v[42:43], v[8:9]
	v_mul_f64 v[8:9], v[40:41], v[8:9]
	s_waitcnt vmcnt(2) lgkmcnt(0)
	v_mul_f64 v[10:11], v[44:45], v[30:31]
	v_mul_f64 v[30:31], v[46:47], v[30:31]
	s_delay_alu instid0(VALU_DEP_4) | instskip(NEXT) | instid1(VALU_DEP_4)
	v_fma_f64 v[2:3], v[40:41], v[6:7], -v[2:3]
	v_fma_f64 v[40:41], v[42:43], v[6:7], v[8:9]
	ds_load_b128 v[6:9], v1 offset:144
	v_fma_f64 v[10:11], v[46:47], v[28:29], v[10:11]
	v_fma_f64 v[28:29], v[44:45], v[28:29], -v[30:31]
	s_waitcnt vmcnt(1) lgkmcnt(0)
	v_mul_f64 v[42:43], v[6:7], v[34:35]
	v_mul_f64 v[34:35], v[8:9], v[34:35]
	v_add_f64 v[2:3], v[2:3], 0
	v_add_f64 v[30:31], v[40:41], 0
	s_delay_alu instid0(VALU_DEP_4) | instskip(NEXT) | instid1(VALU_DEP_4)
	v_fma_f64 v[8:9], v[8:9], v[32:33], v[42:43]
	v_fma_f64 v[6:7], v[6:7], v[32:33], -v[34:35]
	s_delay_alu instid0(VALU_DEP_4) | instskip(NEXT) | instid1(VALU_DEP_4)
	v_add_f64 v[2:3], v[2:3], v[28:29]
	v_add_f64 v[10:11], v[30:31], v[10:11]
	s_delay_alu instid0(VALU_DEP_2) | instskip(NEXT) | instid1(VALU_DEP_2)
	v_add_f64 v[2:3], v[2:3], v[6:7]
	v_add_f64 v[8:9], v[10:11], v[8:9]
	s_waitcnt vmcnt(0)
	s_delay_alu instid0(VALU_DEP_2) | instskip(NEXT) | instid1(VALU_DEP_2)
	v_add_f64 v[6:7], v[36:37], -v[2:3]
	v_add_f64 v[8:9], v[38:39], -v[8:9]
	scratch_store_b128 off, v[6:9], off offset:16
	v_cmpx_ne_u32_e32 0, v23
	s_cbranch_execz .LBB4_43
; %bb.42:
	scratch_load_b128 v[6:9], off, off
	v_mov_b32_e32 v2, v1
	v_mov_b32_e32 v3, v1
	;; [unrolled: 1-line block ×3, first 2 shown]
	scratch_store_b128 off, v[1:4], off
	s_waitcnt vmcnt(0)
	ds_store_b128 v5, v[6:9]
.LBB4_43:
	s_or_b32 exec_lo, exec_lo, s2
	s_waitcnt lgkmcnt(0)
	s_waitcnt_vscnt null, 0x0
	s_barrier
	buffer_gl0_inv
	s_clause 0x4
	scratch_load_b128 v[2:5], off, off offset:16
	scratch_load_b128 v[6:9], off, off offset:32
	;; [unrolled: 1-line block ×4, first 2 shown]
	scratch_load_b128 v[36:39], off, off
	ds_load_b128 v[40:43], v1 offset:96
	ds_load_b128 v[44:47], v1 offset:112
	s_and_b32 vcc_lo, exec_lo, s20
	s_waitcnt vmcnt(4) lgkmcnt(1)
	v_mul_f64 v[10:11], v[42:43], v[4:5]
	v_mul_f64 v[4:5], v[40:41], v[4:5]
	s_waitcnt vmcnt(3) lgkmcnt(0)
	v_mul_f64 v[48:49], v[44:45], v[8:9]
	v_mul_f64 v[50:51], v[46:47], v[8:9]
	s_delay_alu instid0(VALU_DEP_4) | instskip(NEXT) | instid1(VALU_DEP_4)
	v_fma_f64 v[40:41], v[40:41], v[2:3], -v[10:11]
	v_fma_f64 v[42:43], v[42:43], v[2:3], v[4:5]
	ds_load_b128 v[2:5], v1 offset:128
	ds_load_b128 v[8:11], v1 offset:144
	v_fma_f64 v[46:47], v[46:47], v[6:7], v[48:49]
	v_fma_f64 v[6:7], v[44:45], v[6:7], -v[50:51]
	s_waitcnt vmcnt(2) lgkmcnt(1)
	v_mul_f64 v[52:53], v[2:3], v[30:31]
	v_mul_f64 v[30:31], v[4:5], v[30:31]
	s_waitcnt vmcnt(1) lgkmcnt(0)
	v_mul_f64 v[44:45], v[8:9], v[34:35]
	v_mul_f64 v[34:35], v[10:11], v[34:35]
	v_add_f64 v[40:41], v[40:41], 0
	v_add_f64 v[42:43], v[42:43], 0
	v_fma_f64 v[4:5], v[4:5], v[28:29], v[52:53]
	v_fma_f64 v[1:2], v[2:3], v[28:29], -v[30:31]
	v_fma_f64 v[10:11], v[10:11], v[32:33], v[44:45]
	v_fma_f64 v[8:9], v[8:9], v[32:33], -v[34:35]
	v_add_f64 v[6:7], v[40:41], v[6:7]
	v_add_f64 v[28:29], v[42:43], v[46:47]
	s_delay_alu instid0(VALU_DEP_2) | instskip(NEXT) | instid1(VALU_DEP_2)
	v_add_f64 v[1:2], v[6:7], v[1:2]
	v_add_f64 v[3:4], v[28:29], v[4:5]
	s_delay_alu instid0(VALU_DEP_2) | instskip(NEXT) | instid1(VALU_DEP_2)
	v_add_f64 v[1:2], v[1:2], v[8:9]
	v_add_f64 v[3:4], v[3:4], v[10:11]
	s_waitcnt vmcnt(0)
	s_delay_alu instid0(VALU_DEP_2) | instskip(NEXT) | instid1(VALU_DEP_2)
	v_add_f64 v[1:2], v[36:37], -v[1:2]
	v_add_f64 v[3:4], v[38:39], -v[3:4]
	scratch_store_b128 off, v[1:4], off
	s_cbranch_vccz .LBB4_53
; %bb.44:
	v_dual_mov_b32 v1, s16 :: v_dual_mov_b32 v2, s17
	s_load_b64 s[0:1], s[0:1], 0x4
	flat_load_b32 v1, v[1:2] offset:12
	v_bfe_u32 v2, v0, 10, 10
	v_bfe_u32 v0, v0, 20, 10
	s_waitcnt lgkmcnt(0)
	s_lshr_b32 s0, s0, 16
	s_delay_alu instid0(VALU_DEP_2) | instskip(SKIP_1) | instid1(SALU_CYCLE_1)
	v_mul_u32_u24_e32 v2, s1, v2
	s_mul_i32 s0, s0, s1
	v_mul_u32_u24_e32 v3, s0, v23
	s_mov_b32 s0, exec_lo
	s_delay_alu instid0(VALU_DEP_1) | instskip(NEXT) | instid1(VALU_DEP_1)
	v_add3_u32 v0, v3, v2, v0
	v_lshl_add_u32 v0, v0, 4, 0xa8
	s_waitcnt vmcnt(0)
	v_cmpx_ne_u32_e32 4, v1
	s_cbranch_execz .LBB4_46
; %bb.45:
	v_lshl_add_u32 v9, v1, 4, 0
	s_clause 0x1
	scratch_load_b128 v[1:4], v25, off
	scratch_load_b128 v[5:8], v9, off offset:-16
	s_waitcnt vmcnt(1)
	ds_store_2addr_b64 v0, v[1:2], v[3:4] offset1:1
	s_waitcnt vmcnt(0)
	s_clause 0x1
	scratch_store_b128 v25, v[5:8], off
	scratch_store_b128 v9, v[1:4], off offset:-16
.LBB4_46:
	s_or_b32 exec_lo, exec_lo, s0
	v_dual_mov_b32 v1, s16 :: v_dual_mov_b32 v2, s17
	s_mov_b32 s0, exec_lo
	flat_load_b32 v1, v[1:2] offset:8
	s_waitcnt vmcnt(0) lgkmcnt(0)
	v_cmpx_ne_u32_e32 3, v1
	s_cbranch_execz .LBB4_48
; %bb.47:
	v_lshl_add_u32 v9, v1, 4, 0
	s_clause 0x1
	scratch_load_b128 v[1:4], v27, off
	scratch_load_b128 v[5:8], v9, off offset:-16
	s_waitcnt vmcnt(1)
	ds_store_2addr_b64 v0, v[1:2], v[3:4] offset1:1
	s_waitcnt vmcnt(0)
	s_clause 0x1
	scratch_store_b128 v27, v[5:8], off
	scratch_store_b128 v9, v[1:4], off offset:-16
.LBB4_48:
	s_or_b32 exec_lo, exec_lo, s0
	v_dual_mov_b32 v1, s16 :: v_dual_mov_b32 v2, s17
	s_mov_b32 s0, exec_lo
	flat_load_b32 v1, v[1:2] offset:4
	s_waitcnt vmcnt(0) lgkmcnt(0)
	v_cmpx_ne_u32_e32 2, v1
	s_cbranch_execz .LBB4_50
; %bb.49:
	v_lshl_add_u32 v9, v1, 4, 0
	s_clause 0x1
	scratch_load_b128 v[1:4], v26, off
	scratch_load_b128 v[5:8], v9, off offset:-16
	s_waitcnt vmcnt(1)
	ds_store_2addr_b64 v0, v[1:2], v[3:4] offset1:1
	s_waitcnt vmcnt(0)
	s_clause 0x1
	scratch_store_b128 v26, v[5:8], off
	scratch_store_b128 v9, v[1:4], off offset:-16
.LBB4_50:
	s_or_b32 exec_lo, exec_lo, s0
	v_dual_mov_b32 v1, s16 :: v_dual_mov_b32 v2, s17
	s_mov_b32 s0, exec_lo
	flat_load_b32 v1, v[1:2]
	s_waitcnt vmcnt(0) lgkmcnt(0)
	v_cmpx_ne_u32_e32 1, v1
	s_cbranch_execz .LBB4_52
; %bb.51:
	v_lshl_add_u32 v9, v1, 4, 0
	scratch_load_b128 v[1:4], off, off
	scratch_load_b128 v[5:8], v9, off offset:-16
	s_waitcnt vmcnt(1)
	ds_store_2addr_b64 v0, v[1:2], v[3:4] offset1:1
	s_waitcnt vmcnt(0)
	scratch_store_b128 off, v[5:8], off
	scratch_store_b128 v9, v[1:4], off offset:-16
.LBB4_52:
	s_or_b32 exec_lo, exec_lo, s0
.LBB4_53:
	scratch_load_b128 v[0:3], off, off
	s_clause 0x3
	scratch_load_b128 v[4:7], v26, off
	scratch_load_b128 v[8:11], v27, off
	;; [unrolled: 1-line block ×4, first 2 shown]
	s_waitcnt vmcnt(4)
	global_store_b128 v[13:14], v[0:3], off
	s_waitcnt vmcnt(3)
	global_store_b128 v[15:16], v[4:7], off
	;; [unrolled: 2-line block ×5, first 2 shown]
	s_endpgm
	.section	.rodata,"a",@progbits
	.p2align	6, 0x0
	.amdhsa_kernel _ZN9rocsolver6v33100L18getri_kernel_smallILi5E19rocblas_complex_numIdEPS3_EEvT1_iilPiilS6_bb
		.amdhsa_group_segment_fixed_size 1192
		.amdhsa_private_segment_fixed_size 96
		.amdhsa_kernarg_size 60
		.amdhsa_user_sgpr_count 15
		.amdhsa_user_sgpr_dispatch_ptr 1
		.amdhsa_user_sgpr_queue_ptr 0
		.amdhsa_user_sgpr_kernarg_segment_ptr 1
		.amdhsa_user_sgpr_dispatch_id 0
		.amdhsa_user_sgpr_private_segment_size 0
		.amdhsa_wavefront_size32 1
		.amdhsa_uses_dynamic_stack 0
		.amdhsa_enable_private_segment 1
		.amdhsa_system_sgpr_workgroup_id_x 1
		.amdhsa_system_sgpr_workgroup_id_y 0
		.amdhsa_system_sgpr_workgroup_id_z 0
		.amdhsa_system_sgpr_workgroup_info 0
		.amdhsa_system_vgpr_workitem_id 2
		.amdhsa_next_free_vgpr 54
		.amdhsa_next_free_sgpr 22
		.amdhsa_reserve_vcc 1
		.amdhsa_float_round_mode_32 0
		.amdhsa_float_round_mode_16_64 0
		.amdhsa_float_denorm_mode_32 3
		.amdhsa_float_denorm_mode_16_64 3
		.amdhsa_dx10_clamp 1
		.amdhsa_ieee_mode 1
		.amdhsa_fp16_overflow 0
		.amdhsa_workgroup_processor_mode 1
		.amdhsa_memory_ordered 1
		.amdhsa_forward_progress 0
		.amdhsa_shared_vgpr_count 0
		.amdhsa_exception_fp_ieee_invalid_op 0
		.amdhsa_exception_fp_denorm_src 0
		.amdhsa_exception_fp_ieee_div_zero 0
		.amdhsa_exception_fp_ieee_overflow 0
		.amdhsa_exception_fp_ieee_underflow 0
		.amdhsa_exception_fp_ieee_inexact 0
		.amdhsa_exception_int_div_zero 0
	.end_amdhsa_kernel
	.section	.text._ZN9rocsolver6v33100L18getri_kernel_smallILi5E19rocblas_complex_numIdEPS3_EEvT1_iilPiilS6_bb,"axG",@progbits,_ZN9rocsolver6v33100L18getri_kernel_smallILi5E19rocblas_complex_numIdEPS3_EEvT1_iilPiilS6_bb,comdat
.Lfunc_end4:
	.size	_ZN9rocsolver6v33100L18getri_kernel_smallILi5E19rocblas_complex_numIdEPS3_EEvT1_iilPiilS6_bb, .Lfunc_end4-_ZN9rocsolver6v33100L18getri_kernel_smallILi5E19rocblas_complex_numIdEPS3_EEvT1_iilPiilS6_bb
                                        ; -- End function
	.section	.AMDGPU.csdata,"",@progbits
; Kernel info:
; codeLenInByte = 4372
; NumSgprs: 24
; NumVgprs: 54
; ScratchSize: 96
; MemoryBound: 0
; FloatMode: 240
; IeeeMode: 1
; LDSByteSize: 1192 bytes/workgroup (compile time only)
; SGPRBlocks: 2
; VGPRBlocks: 6
; NumSGPRsForWavesPerEU: 24
; NumVGPRsForWavesPerEU: 54
; Occupancy: 16
; WaveLimiterHint : 0
; COMPUTE_PGM_RSRC2:SCRATCH_EN: 1
; COMPUTE_PGM_RSRC2:USER_SGPR: 15
; COMPUTE_PGM_RSRC2:TRAP_HANDLER: 0
; COMPUTE_PGM_RSRC2:TGID_X_EN: 1
; COMPUTE_PGM_RSRC2:TGID_Y_EN: 0
; COMPUTE_PGM_RSRC2:TGID_Z_EN: 0
; COMPUTE_PGM_RSRC2:TIDIG_COMP_CNT: 2
	.section	.text._ZN9rocsolver6v33100L18getri_kernel_smallILi6E19rocblas_complex_numIdEPS3_EEvT1_iilPiilS6_bb,"axG",@progbits,_ZN9rocsolver6v33100L18getri_kernel_smallILi6E19rocblas_complex_numIdEPS3_EEvT1_iilPiilS6_bb,comdat
	.globl	_ZN9rocsolver6v33100L18getri_kernel_smallILi6E19rocblas_complex_numIdEPS3_EEvT1_iilPiilS6_bb ; -- Begin function _ZN9rocsolver6v33100L18getri_kernel_smallILi6E19rocblas_complex_numIdEPS3_EEvT1_iilPiilS6_bb
	.p2align	8
	.type	_ZN9rocsolver6v33100L18getri_kernel_smallILi6E19rocblas_complex_numIdEPS3_EEvT1_iilPiilS6_bb,@function
_ZN9rocsolver6v33100L18getri_kernel_smallILi6E19rocblas_complex_numIdEPS3_EEvT1_iilPiilS6_bb: ; @_ZN9rocsolver6v33100L18getri_kernel_smallILi6E19rocblas_complex_numIdEPS3_EEvT1_iilPiilS6_bb
; %bb.0:
	v_and_b32_e32 v25, 0x3ff, v0
	s_mov_b32 s4, exec_lo
	s_delay_alu instid0(VALU_DEP_1)
	v_cmpx_gt_u32_e32 6, v25
	s_cbranch_execz .LBB5_38
; %bb.1:
	s_mov_b32 s18, s15
	s_clause 0x2
	s_load_b32 s21, s[2:3], 0x38
	s_load_b128 s[12:15], s[2:3], 0x10
	s_load_b128 s[4:7], s[2:3], 0x28
                                        ; implicit-def: $sgpr16_sgpr17
	s_waitcnt lgkmcnt(0)
	s_bitcmp1_b32 s21, 8
	s_cselect_b32 s20, -1, 0
	s_bfe_u32 s8, s21, 0x10008
	s_ashr_i32 s19, s18, 31
	s_cmp_eq_u32 s8, 0
	s_cbranch_scc1 .LBB5_3
; %bb.2:
	s_load_b32 s8, s[2:3], 0x20
	s_mul_i32 s5, s18, s5
	s_mul_hi_u32 s9, s18, s4
	s_mul_i32 s10, s19, s4
	s_add_i32 s5, s9, s5
	s_mul_i32 s4, s18, s4
	s_add_i32 s5, s5, s10
	s_delay_alu instid0(SALU_CYCLE_1)
	s_lshl_b64 s[4:5], s[4:5], 2
	s_waitcnt lgkmcnt(0)
	s_ashr_i32 s9, s8, 31
	s_add_u32 s10, s14, s4
	s_addc_u32 s11, s15, s5
	s_lshl_b64 s[4:5], s[8:9], 2
	s_delay_alu instid0(SALU_CYCLE_1)
	s_add_u32 s16, s10, s4
	s_addc_u32 s17, s11, s5
.LBB5_3:
	s_load_b128 s[8:11], s[2:3], 0x0
	s_mul_i32 s2, s18, s13
	s_mul_hi_u32 s3, s18, s12
	s_mul_i32 s4, s19, s12
	s_add_i32 s3, s3, s2
	s_mul_i32 s2, s18, s12
	s_add_i32 s3, s3, s4
	v_lshlrev_b32_e32 v31, 4, v25
	s_lshl_b64 s[2:3], s[2:3], 4
	v_add_nc_u32_e64 v29, 0, 32
	v_add_nc_u32_e64 v30, 0, 64
	s_waitcnt lgkmcnt(0)
	v_add3_u32 v5, s11, s11, v25
	s_ashr_i32 s5, s10, 31
	s_mov_b32 s4, s10
	s_add_u32 s8, s8, s2
	s_addc_u32 s9, s9, s3
	v_add_nc_u32_e32 v7, s11, v5
	s_lshl_b64 s[2:3], s[4:5], 4
	v_ashrrev_i32_e32 v6, 31, v5
	s_add_u32 s2, s8, s2
	s_addc_u32 s3, s9, s3
	v_add_nc_u32_e32 v9, s11, v7
	v_add_co_u32 v13, s8, s2, v31
	v_ashrrev_i32_e32 v8, 31, v7
	s_mov_b32 s4, s11
	s_ashr_i32 s5, s11, 31
	v_add_nc_u32_e32 v21, s11, v9
	v_add_co_ci_u32_e64 v14, null, s3, 0, s8
	v_lshlrev_b64 v[5:6], 4, v[5:6]
	s_lshl_b64 s[4:5], s[4:5], 4
	v_ashrrev_i32_e32 v10, 31, v9
	v_add_co_u32 v15, vcc_lo, v13, s4
	v_lshlrev_b64 v[7:8], 4, v[7:8]
	v_ashrrev_i32_e32 v22, 31, v21
	v_add_co_ci_u32_e32 v16, vcc_lo, s5, v14, vcc_lo
	v_add_co_u32 v17, vcc_lo, s2, v5
	v_lshlrev_b64 v[23:24], 4, v[9:10]
	v_add_co_ci_u32_e32 v18, vcc_lo, s3, v6, vcc_lo
	v_add_co_u32 v19, vcc_lo, s2, v7
	v_lshlrev_b64 v[26:27], 4, v[21:22]
	v_add_co_ci_u32_e32 v20, vcc_lo, s3, v8, vcc_lo
	v_add_co_u32 v21, vcc_lo, s2, v23
	v_add_co_ci_u32_e32 v22, vcc_lo, s3, v24, vcc_lo
	s_delay_alu instid0(VALU_DEP_4)
	v_add_co_u32 v23, vcc_lo, s2, v26
	v_add_co_ci_u32_e32 v24, vcc_lo, s3, v27, vcc_lo
	s_clause 0x5
	global_load_b128 v[1:4], v31, s[2:3]
	global_load_b128 v[5:8], v[15:16], off
	global_load_b128 v[9:12], v[17:18], off
	;; [unrolled: 1-line block ×5, first 2 shown]
	s_movk_i32 s2, 0x50
	v_add_nc_u32_e64 v27, 0, 16
	v_add_nc_u32_e64 v26, 0, 48
	;; [unrolled: 1-line block ×3, first 2 shown]
	s_mov_b32 s3, -1
	s_bitcmp0_b32 s21, 0
	s_waitcnt vmcnt(5)
	scratch_store_b128 off, v[1:4], off
	s_waitcnt vmcnt(4)
	scratch_store_b128 off, v[5:8], off offset:16
	s_waitcnt vmcnt(3)
	scratch_store_b128 off, v[9:12], off offset:32
	;; [unrolled: 2-line block ×5, first 2 shown]
	s_cbranch_scc1 .LBB5_36
; %bb.4:
	v_cmp_eq_u32_e64 s2, 0, v25
	s_delay_alu instid0(VALU_DEP_1)
	s_and_saveexec_b32 s3, s2
	s_cbranch_execz .LBB5_6
; %bb.5:
	v_mov_b32_e32 v1, 0
	ds_store_b32 v1, v1 offset:192
.LBB5_6:
	s_or_b32 exec_lo, exec_lo, s3
	s_waitcnt lgkmcnt(0)
	s_waitcnt_vscnt null, 0x0
	s_barrier
	buffer_gl0_inv
	scratch_load_b128 v[1:4], v31, off
	s_waitcnt vmcnt(0)
	v_cmp_eq_f64_e32 vcc_lo, 0, v[1:2]
	v_cmp_eq_f64_e64 s3, 0, v[3:4]
	s_delay_alu instid0(VALU_DEP_1) | instskip(NEXT) | instid1(SALU_CYCLE_1)
	s_and_b32 s3, vcc_lo, s3
	s_and_saveexec_b32 s4, s3
	s_cbranch_execz .LBB5_10
; %bb.7:
	v_mov_b32_e32 v1, 0
	s_mov_b32 s5, 0
	ds_load_b32 v2, v1 offset:192
	s_waitcnt lgkmcnt(0)
	v_readfirstlane_b32 s3, v2
	v_add_nc_u32_e32 v2, 1, v25
	s_delay_alu instid0(VALU_DEP_2) | instskip(NEXT) | instid1(VALU_DEP_1)
	s_cmp_eq_u32 s3, 0
	v_cmp_gt_i32_e32 vcc_lo, s3, v2
	s_cselect_b32 s8, -1, 0
	s_delay_alu instid0(SALU_CYCLE_1) | instskip(NEXT) | instid1(SALU_CYCLE_1)
	s_or_b32 s8, s8, vcc_lo
	s_and_b32 exec_lo, exec_lo, s8
	s_cbranch_execz .LBB5_10
; %bb.8:
	v_mov_b32_e32 v3, s3
.LBB5_9:                                ; =>This Inner Loop Header: Depth=1
	ds_cmpstore_rtn_b32 v3, v1, v2, v3 offset:192
	s_waitcnt lgkmcnt(0)
	v_cmp_ne_u32_e32 vcc_lo, 0, v3
	v_cmp_le_i32_e64 s3, v3, v2
	s_delay_alu instid0(VALU_DEP_1) | instskip(NEXT) | instid1(SALU_CYCLE_1)
	s_and_b32 s3, vcc_lo, s3
	s_and_b32 s3, exec_lo, s3
	s_delay_alu instid0(SALU_CYCLE_1) | instskip(NEXT) | instid1(SALU_CYCLE_1)
	s_or_b32 s5, s3, s5
	s_and_not1_b32 exec_lo, exec_lo, s5
	s_cbranch_execnz .LBB5_9
.LBB5_10:
	s_or_b32 exec_lo, exec_lo, s4
	v_mov_b32_e32 v1, 0
	s_barrier
	buffer_gl0_inv
	ds_load_b32 v2, v1 offset:192
	s_and_saveexec_b32 s3, s2
	s_cbranch_execz .LBB5_12
; %bb.11:
	s_lshl_b64 s[4:5], s[18:19], 2
	s_delay_alu instid0(SALU_CYCLE_1)
	s_add_u32 s4, s6, s4
	s_addc_u32 s5, s7, s5
	s_waitcnt lgkmcnt(0)
	global_store_b32 v1, v2, s[4:5]
.LBB5_12:
	s_or_b32 exec_lo, exec_lo, s3
	s_waitcnt lgkmcnt(0)
	v_cmp_ne_u32_e32 vcc_lo, 0, v2
	s_mov_b32 s3, 0
	s_cbranch_vccnz .LBB5_36
; %bb.13:
	v_add_nc_u32_e32 v32, 0, v31
                                        ; implicit-def: $vgpr9_vgpr10
	scratch_load_b128 v[1:4], v32, off
	s_waitcnt vmcnt(0)
	v_mov_b32_e32 v5, v1
	v_cmp_gt_f64_e32 vcc_lo, 0, v[1:2]
	v_xor_b32_e32 v6, 0x80000000, v2
	v_xor_b32_e32 v7, 0x80000000, v4
	s_delay_alu instid0(VALU_DEP_2) | instskip(SKIP_1) | instid1(VALU_DEP_3)
	v_cndmask_b32_e32 v6, v2, v6, vcc_lo
	v_cmp_gt_f64_e32 vcc_lo, 0, v[3:4]
	v_dual_cndmask_b32 v8, v4, v7 :: v_dual_mov_b32 v7, v3
	s_delay_alu instid0(VALU_DEP_1) | instskip(SKIP_1) | instid1(SALU_CYCLE_1)
	v_cmp_ngt_f64_e32 vcc_lo, v[5:6], v[7:8]
                                        ; implicit-def: $vgpr5_vgpr6
	s_and_saveexec_b32 s3, vcc_lo
	s_xor_b32 s3, exec_lo, s3
	s_cbranch_execz .LBB5_15
; %bb.14:
	v_div_scale_f64 v[5:6], null, v[3:4], v[3:4], v[1:2]
	v_div_scale_f64 v[11:12], vcc_lo, v[1:2], v[3:4], v[1:2]
	s_delay_alu instid0(VALU_DEP_2) | instskip(SKIP_2) | instid1(VALU_DEP_1)
	v_rcp_f64_e32 v[7:8], v[5:6]
	s_waitcnt_depctr 0xfff
	v_fma_f64 v[9:10], -v[5:6], v[7:8], 1.0
	v_fma_f64 v[7:8], v[7:8], v[9:10], v[7:8]
	s_delay_alu instid0(VALU_DEP_1) | instskip(NEXT) | instid1(VALU_DEP_1)
	v_fma_f64 v[9:10], -v[5:6], v[7:8], 1.0
	v_fma_f64 v[7:8], v[7:8], v[9:10], v[7:8]
	s_delay_alu instid0(VALU_DEP_1) | instskip(NEXT) | instid1(VALU_DEP_1)
	v_mul_f64 v[9:10], v[11:12], v[7:8]
	v_fma_f64 v[5:6], -v[5:6], v[9:10], v[11:12]
	s_delay_alu instid0(VALU_DEP_1) | instskip(NEXT) | instid1(VALU_DEP_1)
	v_div_fmas_f64 v[5:6], v[5:6], v[7:8], v[9:10]
	v_div_fixup_f64 v[5:6], v[5:6], v[3:4], v[1:2]
	s_delay_alu instid0(VALU_DEP_1) | instskip(NEXT) | instid1(VALU_DEP_1)
	v_fma_f64 v[1:2], v[1:2], v[5:6], v[3:4]
	v_div_scale_f64 v[3:4], null, v[1:2], v[1:2], 1.0
	v_div_scale_f64 v[11:12], vcc_lo, 1.0, v[1:2], 1.0
	s_delay_alu instid0(VALU_DEP_2) | instskip(SKIP_2) | instid1(VALU_DEP_1)
	v_rcp_f64_e32 v[7:8], v[3:4]
	s_waitcnt_depctr 0xfff
	v_fma_f64 v[9:10], -v[3:4], v[7:8], 1.0
	v_fma_f64 v[7:8], v[7:8], v[9:10], v[7:8]
	s_delay_alu instid0(VALU_DEP_1) | instskip(NEXT) | instid1(VALU_DEP_1)
	v_fma_f64 v[9:10], -v[3:4], v[7:8], 1.0
	v_fma_f64 v[7:8], v[7:8], v[9:10], v[7:8]
	s_delay_alu instid0(VALU_DEP_1) | instskip(NEXT) | instid1(VALU_DEP_1)
	v_mul_f64 v[9:10], v[11:12], v[7:8]
	v_fma_f64 v[3:4], -v[3:4], v[9:10], v[11:12]
	s_delay_alu instid0(VALU_DEP_1) | instskip(NEXT) | instid1(VALU_DEP_1)
	v_div_fmas_f64 v[3:4], v[3:4], v[7:8], v[9:10]
	v_div_fixup_f64 v[7:8], v[3:4], v[1:2], 1.0
                                        ; implicit-def: $vgpr1_vgpr2
	s_delay_alu instid0(VALU_DEP_1) | instskip(SKIP_1) | instid1(VALU_DEP_2)
	v_mul_f64 v[5:6], v[5:6], v[7:8]
	v_xor_b32_e32 v8, 0x80000000, v8
	v_xor_b32_e32 v10, 0x80000000, v6
	s_delay_alu instid0(VALU_DEP_3)
	v_mov_b32_e32 v9, v5
.LBB5_15:
	s_and_not1_saveexec_b32 s3, s3
	s_cbranch_execz .LBB5_17
; %bb.16:
	v_div_scale_f64 v[5:6], null, v[1:2], v[1:2], v[3:4]
	v_div_scale_f64 v[11:12], vcc_lo, v[3:4], v[1:2], v[3:4]
	s_delay_alu instid0(VALU_DEP_2) | instskip(SKIP_2) | instid1(VALU_DEP_1)
	v_rcp_f64_e32 v[7:8], v[5:6]
	s_waitcnt_depctr 0xfff
	v_fma_f64 v[9:10], -v[5:6], v[7:8], 1.0
	v_fma_f64 v[7:8], v[7:8], v[9:10], v[7:8]
	s_delay_alu instid0(VALU_DEP_1) | instskip(NEXT) | instid1(VALU_DEP_1)
	v_fma_f64 v[9:10], -v[5:6], v[7:8], 1.0
	v_fma_f64 v[7:8], v[7:8], v[9:10], v[7:8]
	s_delay_alu instid0(VALU_DEP_1) | instskip(NEXT) | instid1(VALU_DEP_1)
	v_mul_f64 v[9:10], v[11:12], v[7:8]
	v_fma_f64 v[5:6], -v[5:6], v[9:10], v[11:12]
	s_delay_alu instid0(VALU_DEP_1) | instskip(NEXT) | instid1(VALU_DEP_1)
	v_div_fmas_f64 v[5:6], v[5:6], v[7:8], v[9:10]
	v_div_fixup_f64 v[7:8], v[5:6], v[1:2], v[3:4]
	s_delay_alu instid0(VALU_DEP_1) | instskip(NEXT) | instid1(VALU_DEP_1)
	v_fma_f64 v[1:2], v[3:4], v[7:8], v[1:2]
	v_div_scale_f64 v[3:4], null, v[1:2], v[1:2], 1.0
	s_delay_alu instid0(VALU_DEP_1) | instskip(SKIP_2) | instid1(VALU_DEP_1)
	v_rcp_f64_e32 v[5:6], v[3:4]
	s_waitcnt_depctr 0xfff
	v_fma_f64 v[9:10], -v[3:4], v[5:6], 1.0
	v_fma_f64 v[5:6], v[5:6], v[9:10], v[5:6]
	s_delay_alu instid0(VALU_DEP_1) | instskip(NEXT) | instid1(VALU_DEP_1)
	v_fma_f64 v[9:10], -v[3:4], v[5:6], 1.0
	v_fma_f64 v[5:6], v[5:6], v[9:10], v[5:6]
	v_div_scale_f64 v[9:10], vcc_lo, 1.0, v[1:2], 1.0
	s_delay_alu instid0(VALU_DEP_1) | instskip(NEXT) | instid1(VALU_DEP_1)
	v_mul_f64 v[11:12], v[9:10], v[5:6]
	v_fma_f64 v[3:4], -v[3:4], v[11:12], v[9:10]
	s_delay_alu instid0(VALU_DEP_1) | instskip(NEXT) | instid1(VALU_DEP_1)
	v_div_fmas_f64 v[3:4], v[3:4], v[5:6], v[11:12]
	v_div_fixup_f64 v[5:6], v[3:4], v[1:2], 1.0
	s_delay_alu instid0(VALU_DEP_1)
	v_mul_f64 v[7:8], v[7:8], -v[5:6]
	v_xor_b32_e32 v10, 0x80000000, v6
	v_mov_b32_e32 v9, v5
.LBB5_17:
	s_or_b32 exec_lo, exec_lo, s3
	scratch_store_b128 v32, v[5:8], off
	scratch_load_b128 v[1:4], v27, off
	v_xor_b32_e32 v12, 0x80000000, v8
	v_mov_b32_e32 v11, v7
	v_add_nc_u32_e32 v5, 0x60, v31
	ds_store_b128 v31, v[9:12]
	s_waitcnt vmcnt(0)
	ds_store_b128 v31, v[1:4] offset:96
	s_waitcnt lgkmcnt(0)
	s_waitcnt_vscnt null, 0x0
	s_barrier
	buffer_gl0_inv
	s_and_saveexec_b32 s3, s2
	s_cbranch_execz .LBB5_19
; %bb.18:
	scratch_load_b128 v[1:4], v32, off
	ds_load_b128 v[6:9], v5
	v_mov_b32_e32 v10, 0
	ds_load_b128 v[33:36], v10 offset:16
	s_waitcnt vmcnt(0) lgkmcnt(1)
	v_mul_f64 v[10:11], v[6:7], v[3:4]
	v_mul_f64 v[3:4], v[8:9], v[3:4]
	s_delay_alu instid0(VALU_DEP_2) | instskip(NEXT) | instid1(VALU_DEP_2)
	v_fma_f64 v[8:9], v[8:9], v[1:2], v[10:11]
	v_fma_f64 v[1:2], v[6:7], v[1:2], -v[3:4]
	s_delay_alu instid0(VALU_DEP_2) | instskip(NEXT) | instid1(VALU_DEP_2)
	v_add_f64 v[3:4], v[8:9], 0
	v_add_f64 v[1:2], v[1:2], 0
	s_waitcnt lgkmcnt(0)
	s_delay_alu instid0(VALU_DEP_2) | instskip(NEXT) | instid1(VALU_DEP_2)
	v_mul_f64 v[6:7], v[3:4], v[35:36]
	v_mul_f64 v[8:9], v[1:2], v[35:36]
	s_delay_alu instid0(VALU_DEP_2) | instskip(NEXT) | instid1(VALU_DEP_2)
	v_fma_f64 v[1:2], v[1:2], v[33:34], -v[6:7]
	v_fma_f64 v[3:4], v[3:4], v[33:34], v[8:9]
	scratch_store_b128 off, v[1:4], off offset:16
.LBB5_19:
	s_or_b32 exec_lo, exec_lo, s3
	s_waitcnt_vscnt null, 0x0
	s_barrier
	buffer_gl0_inv
	scratch_load_b128 v[1:4], v29, off
	s_mov_b32 s3, exec_lo
	s_waitcnt vmcnt(0)
	ds_store_b128 v5, v[1:4]
	s_waitcnt lgkmcnt(0)
	s_barrier
	buffer_gl0_inv
	v_cmpx_gt_u32_e32 2, v25
	s_cbranch_execz .LBB5_23
; %bb.20:
	scratch_load_b128 v[1:4], v32, off
	ds_load_b128 v[6:9], v5
	s_waitcnt vmcnt(0) lgkmcnt(0)
	v_mul_f64 v[10:11], v[8:9], v[3:4]
	v_mul_f64 v[3:4], v[6:7], v[3:4]
	s_delay_alu instid0(VALU_DEP_2) | instskip(NEXT) | instid1(VALU_DEP_2)
	v_fma_f64 v[6:7], v[6:7], v[1:2], -v[10:11]
	v_fma_f64 v[3:4], v[8:9], v[1:2], v[3:4]
	s_delay_alu instid0(VALU_DEP_2) | instskip(NEXT) | instid1(VALU_DEP_2)
	v_add_f64 v[1:2], v[6:7], 0
	v_add_f64 v[3:4], v[3:4], 0
	s_and_saveexec_b32 s4, s2
	s_cbranch_execz .LBB5_22
; %bb.21:
	scratch_load_b128 v[6:9], off, off offset:16
	v_mov_b32_e32 v10, 0
	ds_load_b128 v[33:36], v10 offset:112
	s_waitcnt vmcnt(0) lgkmcnt(0)
	v_mul_f64 v[10:11], v[33:34], v[8:9]
	v_mul_f64 v[8:9], v[35:36], v[8:9]
	s_delay_alu instid0(VALU_DEP_2) | instskip(NEXT) | instid1(VALU_DEP_2)
	v_fma_f64 v[10:11], v[35:36], v[6:7], v[10:11]
	v_fma_f64 v[6:7], v[33:34], v[6:7], -v[8:9]
	s_delay_alu instid0(VALU_DEP_2) | instskip(NEXT) | instid1(VALU_DEP_2)
	v_add_f64 v[3:4], v[3:4], v[10:11]
	v_add_f64 v[1:2], v[1:2], v[6:7]
.LBB5_22:
	s_or_b32 exec_lo, exec_lo, s4
	v_mov_b32_e32 v6, 0
	ds_load_b128 v[6:9], v6 offset:32
	s_waitcnt lgkmcnt(0)
	v_mul_f64 v[10:11], v[3:4], v[8:9]
	v_mul_f64 v[8:9], v[1:2], v[8:9]
	s_delay_alu instid0(VALU_DEP_2) | instskip(NEXT) | instid1(VALU_DEP_2)
	v_fma_f64 v[1:2], v[1:2], v[6:7], -v[10:11]
	v_fma_f64 v[3:4], v[3:4], v[6:7], v[8:9]
	scratch_store_b128 off, v[1:4], off offset:32
.LBB5_23:
	s_or_b32 exec_lo, exec_lo, s3
	s_waitcnt_vscnt null, 0x0
	s_barrier
	buffer_gl0_inv
	scratch_load_b128 v[1:4], v26, off
	v_add_nc_u32_e32 v6, -1, v25
	s_mov_b32 s2, exec_lo
	s_waitcnt vmcnt(0)
	ds_store_b128 v5, v[1:4]
	s_waitcnt lgkmcnt(0)
	s_barrier
	buffer_gl0_inv
	v_cmpx_gt_u32_e32 3, v25
	s_cbranch_execz .LBB5_27
; %bb.24:
	v_dual_mov_b32 v1, 0 :: v_dual_add_nc_u32 v8, 0x60, v31
	v_dual_mov_b32 v2, 0 :: v_dual_add_nc_u32 v7, -1, v25
	v_or_b32_e32 v9, 8, v32
	s_mov_b32 s3, 0
	s_delay_alu instid0(VALU_DEP_2)
	v_dual_mov_b32 v4, v2 :: v_dual_mov_b32 v3, v1
	.p2align	6
.LBB5_25:                               ; =>This Inner Loop Header: Depth=1
	scratch_load_b128 v[33:36], v9, off offset:-8
	ds_load_b128 v[37:40], v8
	v_add_nc_u32_e32 v7, 1, v7
	v_add_nc_u32_e32 v8, 16, v8
	;; [unrolled: 1-line block ×3, first 2 shown]
	s_delay_alu instid0(VALU_DEP_3) | instskip(SKIP_4) | instid1(VALU_DEP_2)
	v_cmp_lt_u32_e32 vcc_lo, 1, v7
	s_or_b32 s3, vcc_lo, s3
	s_waitcnt vmcnt(0) lgkmcnt(0)
	v_mul_f64 v[10:11], v[39:40], v[35:36]
	v_mul_f64 v[35:36], v[37:38], v[35:36]
	v_fma_f64 v[10:11], v[37:38], v[33:34], -v[10:11]
	s_delay_alu instid0(VALU_DEP_2) | instskip(NEXT) | instid1(VALU_DEP_2)
	v_fma_f64 v[33:34], v[39:40], v[33:34], v[35:36]
	v_add_f64 v[3:4], v[3:4], v[10:11]
	s_delay_alu instid0(VALU_DEP_2)
	v_add_f64 v[1:2], v[1:2], v[33:34]
	s_and_not1_b32 exec_lo, exec_lo, s3
	s_cbranch_execnz .LBB5_25
; %bb.26:
	s_or_b32 exec_lo, exec_lo, s3
	v_mov_b32_e32 v7, 0
	ds_load_b128 v[7:10], v7 offset:48
	s_waitcnt lgkmcnt(0)
	v_mul_f64 v[11:12], v[1:2], v[9:10]
	v_mul_f64 v[33:34], v[3:4], v[9:10]
	s_delay_alu instid0(VALU_DEP_2) | instskip(NEXT) | instid1(VALU_DEP_2)
	v_fma_f64 v[9:10], v[3:4], v[7:8], -v[11:12]
	v_fma_f64 v[11:12], v[1:2], v[7:8], v[33:34]
	scratch_store_b128 off, v[9:12], off offset:48
.LBB5_27:
	s_or_b32 exec_lo, exec_lo, s2
	s_waitcnt_vscnt null, 0x0
	s_barrier
	buffer_gl0_inv
	scratch_load_b128 v[1:4], v30, off
	s_mov_b32 s2, exec_lo
	s_waitcnt vmcnt(0)
	ds_store_b128 v5, v[1:4]
	s_waitcnt lgkmcnt(0)
	s_barrier
	buffer_gl0_inv
	v_cmpx_gt_u32_e32 4, v25
	s_cbranch_execz .LBB5_31
; %bb.28:
	v_dual_mov_b32 v1, 0 :: v_dual_add_nc_u32 v8, 0x60, v31
	v_dual_mov_b32 v2, 0 :: v_dual_add_nc_u32 v7, -1, v25
	v_or_b32_e32 v9, 8, v32
	s_mov_b32 s3, 0
	s_delay_alu instid0(VALU_DEP_2)
	v_dual_mov_b32 v4, v2 :: v_dual_mov_b32 v3, v1
	.p2align	6
.LBB5_29:                               ; =>This Inner Loop Header: Depth=1
	scratch_load_b128 v[33:36], v9, off offset:-8
	ds_load_b128 v[37:40], v8
	v_add_nc_u32_e32 v7, 1, v7
	v_add_nc_u32_e32 v8, 16, v8
	;; [unrolled: 1-line block ×3, first 2 shown]
	s_delay_alu instid0(VALU_DEP_3) | instskip(SKIP_4) | instid1(VALU_DEP_2)
	v_cmp_lt_u32_e32 vcc_lo, 2, v7
	s_or_b32 s3, vcc_lo, s3
	s_waitcnt vmcnt(0) lgkmcnt(0)
	v_mul_f64 v[10:11], v[39:40], v[35:36]
	v_mul_f64 v[35:36], v[37:38], v[35:36]
	v_fma_f64 v[10:11], v[37:38], v[33:34], -v[10:11]
	s_delay_alu instid0(VALU_DEP_2) | instskip(NEXT) | instid1(VALU_DEP_2)
	v_fma_f64 v[33:34], v[39:40], v[33:34], v[35:36]
	v_add_f64 v[3:4], v[3:4], v[10:11]
	s_delay_alu instid0(VALU_DEP_2)
	v_add_f64 v[1:2], v[1:2], v[33:34]
	s_and_not1_b32 exec_lo, exec_lo, s3
	s_cbranch_execnz .LBB5_29
; %bb.30:
	s_or_b32 exec_lo, exec_lo, s3
	v_mov_b32_e32 v7, 0
	ds_load_b128 v[7:10], v7 offset:64
	s_waitcnt lgkmcnt(0)
	v_mul_f64 v[11:12], v[1:2], v[9:10]
	v_mul_f64 v[33:34], v[3:4], v[9:10]
	s_delay_alu instid0(VALU_DEP_2) | instskip(NEXT) | instid1(VALU_DEP_2)
	v_fma_f64 v[9:10], v[3:4], v[7:8], -v[11:12]
	v_fma_f64 v[11:12], v[1:2], v[7:8], v[33:34]
	scratch_store_b128 off, v[9:12], off offset:64
.LBB5_31:
	s_or_b32 exec_lo, exec_lo, s2
	s_waitcnt_vscnt null, 0x0
	s_barrier
	buffer_gl0_inv
	scratch_load_b128 v[1:4], v28, off
	s_mov_b32 s2, exec_lo
	s_waitcnt vmcnt(0)
	ds_store_b128 v5, v[1:4]
	s_waitcnt lgkmcnt(0)
	s_barrier
	buffer_gl0_inv
	v_cmpx_ne_u32_e32 5, v25
	s_cbranch_execz .LBB5_35
; %bb.32:
	v_mov_b32_e32 v1, 0
	v_mov_b32_e32 v2, 0
	v_or_b32_e32 v7, 8, v32
	s_mov_b32 s3, 0
	s_delay_alu instid0(VALU_DEP_2)
	v_dual_mov_b32 v4, v2 :: v_dual_mov_b32 v3, v1
	.p2align	6
.LBB5_33:                               ; =>This Inner Loop Header: Depth=1
	scratch_load_b128 v[8:11], v7, off offset:-8
	ds_load_b128 v[31:34], v5
	v_add_nc_u32_e32 v6, 1, v6
	v_add_nc_u32_e32 v5, 16, v5
	;; [unrolled: 1-line block ×3, first 2 shown]
	s_delay_alu instid0(VALU_DEP_3) | instskip(SKIP_4) | instid1(VALU_DEP_2)
	v_cmp_lt_u32_e32 vcc_lo, 3, v6
	s_or_b32 s3, vcc_lo, s3
	s_waitcnt vmcnt(0) lgkmcnt(0)
	v_mul_f64 v[35:36], v[33:34], v[10:11]
	v_mul_f64 v[10:11], v[31:32], v[10:11]
	v_fma_f64 v[31:32], v[31:32], v[8:9], -v[35:36]
	s_delay_alu instid0(VALU_DEP_2) | instskip(NEXT) | instid1(VALU_DEP_2)
	v_fma_f64 v[8:9], v[33:34], v[8:9], v[10:11]
	v_add_f64 v[3:4], v[3:4], v[31:32]
	s_delay_alu instid0(VALU_DEP_2)
	v_add_f64 v[1:2], v[1:2], v[8:9]
	s_and_not1_b32 exec_lo, exec_lo, s3
	s_cbranch_execnz .LBB5_33
; %bb.34:
	s_or_b32 exec_lo, exec_lo, s3
	v_mov_b32_e32 v5, 0
	ds_load_b128 v[5:8], v5 offset:80
	s_waitcnt lgkmcnt(0)
	v_mul_f64 v[9:10], v[1:2], v[7:8]
	v_mul_f64 v[7:8], v[3:4], v[7:8]
	s_delay_alu instid0(VALU_DEP_2) | instskip(NEXT) | instid1(VALU_DEP_2)
	v_fma_f64 v[3:4], v[3:4], v[5:6], -v[9:10]
	v_fma_f64 v[5:6], v[1:2], v[5:6], v[7:8]
	scratch_store_b128 off, v[3:6], off offset:80
.LBB5_35:
	s_or_b32 exec_lo, exec_lo, s2
	s_mov_b32 s3, -1
	s_waitcnt_vscnt null, 0x0
	s_barrier
	buffer_gl0_inv
.LBB5_36:
	s_and_b32 vcc_lo, exec_lo, s3
	s_cbranch_vccz .LBB5_38
; %bb.37:
	s_lshl_b64 s[2:3], s[18:19], 2
	v_mov_b32_e32 v1, 0
	s_add_u32 s2, s6, s2
	s_addc_u32 s3, s7, s3
	global_load_b32 v1, v1, s[2:3]
	s_waitcnt vmcnt(0)
	v_cmp_ne_u32_e32 vcc_lo, 0, v1
	s_cbranch_vccz .LBB5_39
.LBB5_38:
	s_endpgm
.LBB5_39:
	v_lshl_add_u32 v5, v25, 4, 0x60
	s_mov_b32 s2, exec_lo
	v_cmpx_eq_u32_e32 5, v25
	s_cbranch_execz .LBB5_41
; %bb.40:
	scratch_load_b128 v[1:4], v30, off
	v_mov_b32_e32 v6, 0
	s_delay_alu instid0(VALU_DEP_1)
	v_mov_b32_e32 v7, v6
	v_mov_b32_e32 v8, v6
	;; [unrolled: 1-line block ×3, first 2 shown]
	scratch_store_b128 off, v[6:9], off offset:64
	s_waitcnt vmcnt(0)
	ds_store_b128 v5, v[1:4]
.LBB5_41:
	s_or_b32 exec_lo, exec_lo, s2
	s_waitcnt lgkmcnt(0)
	s_waitcnt_vscnt null, 0x0
	s_barrier
	buffer_gl0_inv
	s_clause 0x1
	scratch_load_b128 v[6:9], off, off offset:80
	scratch_load_b128 v[31:34], off, off offset:64
	v_mov_b32_e32 v1, 0
	s_mov_b32 s2, exec_lo
	ds_load_b128 v[35:38], v1 offset:176
	s_waitcnt vmcnt(1) lgkmcnt(0)
	v_mul_f64 v[2:3], v[37:38], v[8:9]
	v_mul_f64 v[8:9], v[35:36], v[8:9]
	s_delay_alu instid0(VALU_DEP_2) | instskip(NEXT) | instid1(VALU_DEP_2)
	v_fma_f64 v[2:3], v[35:36], v[6:7], -v[2:3]
	v_fma_f64 v[6:7], v[37:38], v[6:7], v[8:9]
	s_delay_alu instid0(VALU_DEP_2) | instskip(NEXT) | instid1(VALU_DEP_2)
	v_add_f64 v[2:3], v[2:3], 0
	v_add_f64 v[8:9], v[6:7], 0
	s_waitcnt vmcnt(0)
	s_delay_alu instid0(VALU_DEP_2) | instskip(NEXT) | instid1(VALU_DEP_2)
	v_add_f64 v[6:7], v[31:32], -v[2:3]
	v_add_f64 v[8:9], v[33:34], -v[8:9]
	scratch_store_b128 off, v[6:9], off offset:64
	v_cmpx_lt_u32_e32 3, v25
	s_cbranch_execz .LBB5_43
; %bb.42:
	scratch_load_b128 v[6:9], v26, off
	v_mov_b32_e32 v2, v1
	v_mov_b32_e32 v3, v1
	;; [unrolled: 1-line block ×3, first 2 shown]
	scratch_store_b128 off, v[1:4], off offset:48
	s_waitcnt vmcnt(0)
	ds_store_b128 v5, v[6:9]
.LBB5_43:
	s_or_b32 exec_lo, exec_lo, s2
	s_waitcnt lgkmcnt(0)
	s_waitcnt_vscnt null, 0x0
	s_barrier
	buffer_gl0_inv
	s_clause 0x2
	scratch_load_b128 v[6:9], off, off offset:64
	scratch_load_b128 v[31:34], off, off offset:80
	;; [unrolled: 1-line block ×3, first 2 shown]
	ds_load_b128 v[39:42], v1 offset:160
	ds_load_b128 v[1:4], v1 offset:176
	s_mov_b32 s2, exec_lo
	s_waitcnt vmcnt(2) lgkmcnt(1)
	v_mul_f64 v[10:11], v[41:42], v[8:9]
	v_mul_f64 v[8:9], v[39:40], v[8:9]
	s_waitcnt vmcnt(1) lgkmcnt(0)
	v_mul_f64 v[43:44], v[1:2], v[33:34]
	v_mul_f64 v[33:34], v[3:4], v[33:34]
	s_delay_alu instid0(VALU_DEP_4) | instskip(NEXT) | instid1(VALU_DEP_4)
	v_fma_f64 v[10:11], v[39:40], v[6:7], -v[10:11]
	v_fma_f64 v[6:7], v[41:42], v[6:7], v[8:9]
	s_delay_alu instid0(VALU_DEP_4) | instskip(NEXT) | instid1(VALU_DEP_4)
	v_fma_f64 v[3:4], v[3:4], v[31:32], v[43:44]
	v_fma_f64 v[1:2], v[1:2], v[31:32], -v[33:34]
	s_delay_alu instid0(VALU_DEP_4) | instskip(NEXT) | instid1(VALU_DEP_4)
	v_add_f64 v[8:9], v[10:11], 0
	v_add_f64 v[6:7], v[6:7], 0
	s_delay_alu instid0(VALU_DEP_2) | instskip(NEXT) | instid1(VALU_DEP_2)
	v_add_f64 v[1:2], v[8:9], v[1:2]
	v_add_f64 v[3:4], v[6:7], v[3:4]
	s_waitcnt vmcnt(0)
	s_delay_alu instid0(VALU_DEP_2) | instskip(NEXT) | instid1(VALU_DEP_2)
	v_add_f64 v[1:2], v[35:36], -v[1:2]
	v_add_f64 v[3:4], v[37:38], -v[3:4]
	scratch_store_b128 off, v[1:4], off offset:48
	v_cmpx_lt_u32_e32 2, v25
	s_cbranch_execz .LBB5_45
; %bb.44:
	scratch_load_b128 v[1:4], v29, off
	v_mov_b32_e32 v6, 0
	s_delay_alu instid0(VALU_DEP_1)
	v_mov_b32_e32 v7, v6
	v_mov_b32_e32 v8, v6
	;; [unrolled: 1-line block ×3, first 2 shown]
	scratch_store_b128 off, v[6:9], off offset:32
	s_waitcnt vmcnt(0)
	ds_store_b128 v5, v[1:4]
.LBB5_45:
	s_or_b32 exec_lo, exec_lo, s2
	s_waitcnt lgkmcnt(0)
	s_waitcnt_vscnt null, 0x0
	s_barrier
	buffer_gl0_inv
	s_clause 0x3
	scratch_load_b128 v[6:9], off, off offset:48
	scratch_load_b128 v[31:34], off, off offset:64
	;; [unrolled: 1-line block ×4, first 2 shown]
	v_mov_b32_e32 v1, 0
	ds_load_b128 v[43:46], v1 offset:144
	ds_load_b128 v[47:50], v1 offset:160
	s_mov_b32 s2, exec_lo
	s_waitcnt vmcnt(3) lgkmcnt(1)
	v_mul_f64 v[2:3], v[45:46], v[8:9]
	v_mul_f64 v[8:9], v[43:44], v[8:9]
	s_waitcnt vmcnt(2) lgkmcnt(0)
	v_mul_f64 v[10:11], v[47:48], v[33:34]
	v_mul_f64 v[33:34], v[49:50], v[33:34]
	s_delay_alu instid0(VALU_DEP_4) | instskip(NEXT) | instid1(VALU_DEP_4)
	v_fma_f64 v[2:3], v[43:44], v[6:7], -v[2:3]
	v_fma_f64 v[43:44], v[45:46], v[6:7], v[8:9]
	ds_load_b128 v[6:9], v1 offset:176
	v_fma_f64 v[10:11], v[49:50], v[31:32], v[10:11]
	v_fma_f64 v[31:32], v[47:48], v[31:32], -v[33:34]
	s_waitcnt vmcnt(1) lgkmcnt(0)
	v_mul_f64 v[45:46], v[6:7], v[37:38]
	v_mul_f64 v[37:38], v[8:9], v[37:38]
	v_add_f64 v[2:3], v[2:3], 0
	v_add_f64 v[33:34], v[43:44], 0
	s_delay_alu instid0(VALU_DEP_4) | instskip(NEXT) | instid1(VALU_DEP_4)
	v_fma_f64 v[8:9], v[8:9], v[35:36], v[45:46]
	v_fma_f64 v[6:7], v[6:7], v[35:36], -v[37:38]
	s_delay_alu instid0(VALU_DEP_4) | instskip(NEXT) | instid1(VALU_DEP_4)
	v_add_f64 v[2:3], v[2:3], v[31:32]
	v_add_f64 v[10:11], v[33:34], v[10:11]
	s_delay_alu instid0(VALU_DEP_2) | instskip(NEXT) | instid1(VALU_DEP_2)
	v_add_f64 v[2:3], v[2:3], v[6:7]
	v_add_f64 v[8:9], v[10:11], v[8:9]
	s_waitcnt vmcnt(0)
	s_delay_alu instid0(VALU_DEP_2) | instskip(NEXT) | instid1(VALU_DEP_2)
	v_add_f64 v[6:7], v[39:40], -v[2:3]
	v_add_f64 v[8:9], v[41:42], -v[8:9]
	scratch_store_b128 off, v[6:9], off offset:32
	v_cmpx_lt_u32_e32 1, v25
	s_cbranch_execz .LBB5_47
; %bb.46:
	scratch_load_b128 v[6:9], v27, off
	v_mov_b32_e32 v2, v1
	v_mov_b32_e32 v3, v1
	v_mov_b32_e32 v4, v1
	scratch_store_b128 off, v[1:4], off offset:16
	s_waitcnt vmcnt(0)
	ds_store_b128 v5, v[6:9]
.LBB5_47:
	s_or_b32 exec_lo, exec_lo, s2
	s_waitcnt lgkmcnt(0)
	s_waitcnt_vscnt null, 0x0
	s_barrier
	buffer_gl0_inv
	s_clause 0x4
	scratch_load_b128 v[6:9], off, off offset:32
	scratch_load_b128 v[31:34], off, off offset:48
	scratch_load_b128 v[35:38], off, off offset:64
	scratch_load_b128 v[39:42], off, off offset:80
	scratch_load_b128 v[43:46], off, off offset:16
	ds_load_b128 v[47:50], v1 offset:128
	ds_load_b128 v[51:54], v1 offset:144
	s_mov_b32 s2, exec_lo
	s_waitcnt vmcnt(4) lgkmcnt(1)
	v_mul_f64 v[2:3], v[49:50], v[8:9]
	v_mul_f64 v[8:9], v[47:48], v[8:9]
	s_waitcnt vmcnt(3) lgkmcnt(0)
	v_mul_f64 v[10:11], v[51:52], v[33:34]
	v_mul_f64 v[33:34], v[53:54], v[33:34]
	s_delay_alu instid0(VALU_DEP_4) | instskip(NEXT) | instid1(VALU_DEP_4)
	v_fma_f64 v[47:48], v[47:48], v[6:7], -v[2:3]
	v_fma_f64 v[49:50], v[49:50], v[6:7], v[8:9]
	ds_load_b128 v[6:9], v1 offset:160
	ds_load_b128 v[1:4], v1 offset:176
	v_fma_f64 v[10:11], v[53:54], v[31:32], v[10:11]
	v_fma_f64 v[31:32], v[51:52], v[31:32], -v[33:34]
	s_waitcnt vmcnt(2) lgkmcnt(1)
	v_mul_f64 v[55:56], v[6:7], v[37:38]
	v_mul_f64 v[37:38], v[8:9], v[37:38]
	v_add_f64 v[33:34], v[47:48], 0
	v_add_f64 v[47:48], v[49:50], 0
	s_waitcnt vmcnt(1) lgkmcnt(0)
	v_mul_f64 v[49:50], v[1:2], v[41:42]
	v_mul_f64 v[41:42], v[3:4], v[41:42]
	v_fma_f64 v[8:9], v[8:9], v[35:36], v[55:56]
	v_fma_f64 v[6:7], v[6:7], v[35:36], -v[37:38]
	v_add_f64 v[31:32], v[33:34], v[31:32]
	v_add_f64 v[10:11], v[47:48], v[10:11]
	v_fma_f64 v[3:4], v[3:4], v[39:40], v[49:50]
	v_fma_f64 v[1:2], v[1:2], v[39:40], -v[41:42]
	s_delay_alu instid0(VALU_DEP_4) | instskip(NEXT) | instid1(VALU_DEP_4)
	v_add_f64 v[6:7], v[31:32], v[6:7]
	v_add_f64 v[8:9], v[10:11], v[8:9]
	s_delay_alu instid0(VALU_DEP_2) | instskip(NEXT) | instid1(VALU_DEP_2)
	v_add_f64 v[1:2], v[6:7], v[1:2]
	v_add_f64 v[3:4], v[8:9], v[3:4]
	s_waitcnt vmcnt(0)
	s_delay_alu instid0(VALU_DEP_2) | instskip(NEXT) | instid1(VALU_DEP_2)
	v_add_f64 v[1:2], v[43:44], -v[1:2]
	v_add_f64 v[3:4], v[45:46], -v[3:4]
	scratch_store_b128 off, v[1:4], off offset:16
	v_cmpx_ne_u32_e32 0, v25
	s_cbranch_execz .LBB5_49
; %bb.48:
	scratch_load_b128 v[1:4], off, off
	v_mov_b32_e32 v6, 0
	s_delay_alu instid0(VALU_DEP_1)
	v_mov_b32_e32 v7, v6
	v_mov_b32_e32 v8, v6
	;; [unrolled: 1-line block ×3, first 2 shown]
	scratch_store_b128 off, v[6:9], off
	s_waitcnt vmcnt(0)
	ds_store_b128 v5, v[1:4]
.LBB5_49:
	s_or_b32 exec_lo, exec_lo, s2
	s_waitcnt lgkmcnt(0)
	s_waitcnt_vscnt null, 0x0
	s_barrier
	buffer_gl0_inv
	s_clause 0x5
	scratch_load_b128 v[1:4], off, off offset:16
	scratch_load_b128 v[5:8], off, off offset:32
	;; [unrolled: 1-line block ×5, first 2 shown]
	scratch_load_b128 v[39:42], off, off
	v_mov_b32_e32 v59, 0
	ds_load_b128 v[43:46], v59 offset:112
	ds_load_b128 v[47:50], v59 offset:128
	s_and_b32 vcc_lo, exec_lo, s20
	s_waitcnt vmcnt(5) lgkmcnt(1)
	v_mul_f64 v[51:52], v[45:46], v[3:4]
	v_mul_f64 v[3:4], v[43:44], v[3:4]
	s_waitcnt vmcnt(4) lgkmcnt(0)
	v_mul_f64 v[53:54], v[47:48], v[7:8]
	v_mul_f64 v[7:8], v[49:50], v[7:8]
	s_delay_alu instid0(VALU_DEP_4) | instskip(NEXT) | instid1(VALU_DEP_4)
	v_fma_f64 v[51:52], v[43:44], v[1:2], -v[51:52]
	v_fma_f64 v[55:56], v[45:46], v[1:2], v[3:4]
	ds_load_b128 v[1:4], v59 offset:144
	ds_load_b128 v[43:46], v59 offset:160
	v_fma_f64 v[49:50], v[49:50], v[5:6], v[53:54]
	v_fma_f64 v[5:6], v[47:48], v[5:6], -v[7:8]
	s_waitcnt vmcnt(3) lgkmcnt(1)
	v_mul_f64 v[57:58], v[1:2], v[11:12]
	v_mul_f64 v[11:12], v[3:4], v[11:12]
	v_add_f64 v[7:8], v[51:52], 0
	v_add_f64 v[47:48], v[55:56], 0
	s_waitcnt vmcnt(2) lgkmcnt(0)
	v_mul_f64 v[51:52], v[43:44], v[33:34]
	v_mul_f64 v[33:34], v[45:46], v[33:34]
	v_fma_f64 v[53:54], v[3:4], v[9:10], v[57:58]
	v_fma_f64 v[9:10], v[1:2], v[9:10], -v[11:12]
	ds_load_b128 v[1:4], v59 offset:176
	v_add_f64 v[5:6], v[7:8], v[5:6]
	v_add_f64 v[7:8], v[47:48], v[49:50]
	v_fma_f64 v[45:46], v[45:46], v[31:32], v[51:52]
	v_fma_f64 v[31:32], v[43:44], v[31:32], -v[33:34]
	s_waitcnt vmcnt(1) lgkmcnt(0)
	v_mul_f64 v[11:12], v[1:2], v[37:38]
	v_mul_f64 v[37:38], v[3:4], v[37:38]
	v_add_f64 v[5:6], v[5:6], v[9:10]
	v_add_f64 v[7:8], v[7:8], v[53:54]
	s_delay_alu instid0(VALU_DEP_4) | instskip(NEXT) | instid1(VALU_DEP_4)
	v_fma_f64 v[3:4], v[3:4], v[35:36], v[11:12]
	v_fma_f64 v[1:2], v[1:2], v[35:36], -v[37:38]
	s_delay_alu instid0(VALU_DEP_4) | instskip(NEXT) | instid1(VALU_DEP_4)
	v_add_f64 v[5:6], v[5:6], v[31:32]
	v_add_f64 v[7:8], v[7:8], v[45:46]
	s_delay_alu instid0(VALU_DEP_2) | instskip(NEXT) | instid1(VALU_DEP_2)
	v_add_f64 v[1:2], v[5:6], v[1:2]
	v_add_f64 v[3:4], v[7:8], v[3:4]
	s_waitcnt vmcnt(0)
	s_delay_alu instid0(VALU_DEP_2) | instskip(NEXT) | instid1(VALU_DEP_2)
	v_add_f64 v[1:2], v[39:40], -v[1:2]
	v_add_f64 v[3:4], v[41:42], -v[3:4]
	scratch_store_b128 off, v[1:4], off
	s_cbranch_vccz .LBB5_61
; %bb.50:
	v_dual_mov_b32 v1, s16 :: v_dual_mov_b32 v2, s17
	s_load_b64 s[0:1], s[0:1], 0x4
	flat_load_b32 v1, v[1:2] offset:16
	v_bfe_u32 v2, v0, 10, 10
	v_bfe_u32 v0, v0, 20, 10
	s_waitcnt lgkmcnt(0)
	s_lshr_b32 s0, s0, 16
	s_delay_alu instid0(VALU_DEP_2) | instskip(SKIP_1) | instid1(SALU_CYCLE_1)
	v_mul_u32_u24_e32 v2, s1, v2
	s_mul_i32 s0, s0, s1
	v_mul_u32_u24_e32 v3, s0, v25
	s_mov_b32 s0, exec_lo
	s_delay_alu instid0(VALU_DEP_1) | instskip(NEXT) | instid1(VALU_DEP_1)
	v_add3_u32 v0, v3, v2, v0
	v_lshl_add_u32 v0, v0, 4, 0xc8
	s_waitcnt vmcnt(0)
	v_cmpx_ne_u32_e32 5, v1
	s_cbranch_execz .LBB5_52
; %bb.51:
	v_lshl_add_u32 v9, v1, 4, 0
	s_clause 0x1
	scratch_load_b128 v[1:4], v30, off
	scratch_load_b128 v[5:8], v9, off offset:-16
	s_waitcnt vmcnt(1)
	ds_store_2addr_b64 v0, v[1:2], v[3:4] offset1:1
	s_waitcnt vmcnt(0)
	s_clause 0x1
	scratch_store_b128 v30, v[5:8], off
	scratch_store_b128 v9, v[1:4], off offset:-16
.LBB5_52:
	s_or_b32 exec_lo, exec_lo, s0
	v_dual_mov_b32 v1, s16 :: v_dual_mov_b32 v2, s17
	s_mov_b32 s0, exec_lo
	flat_load_b32 v1, v[1:2] offset:12
	s_waitcnt vmcnt(0) lgkmcnt(0)
	v_cmpx_ne_u32_e32 4, v1
	s_cbranch_execz .LBB5_54
; %bb.53:
	v_lshl_add_u32 v9, v1, 4, 0
	s_clause 0x1
	scratch_load_b128 v[1:4], v26, off
	scratch_load_b128 v[5:8], v9, off offset:-16
	s_waitcnt vmcnt(1)
	ds_store_2addr_b64 v0, v[1:2], v[3:4] offset1:1
	s_waitcnt vmcnt(0)
	s_clause 0x1
	scratch_store_b128 v26, v[5:8], off
	scratch_store_b128 v9, v[1:4], off offset:-16
.LBB5_54:
	s_or_b32 exec_lo, exec_lo, s0
	v_dual_mov_b32 v1, s16 :: v_dual_mov_b32 v2, s17
	s_mov_b32 s0, exec_lo
	flat_load_b32 v1, v[1:2] offset:8
	s_waitcnt vmcnt(0) lgkmcnt(0)
	;; [unrolled: 19-line block ×3, first 2 shown]
	v_cmpx_ne_u32_e32 2, v1
	s_cbranch_execz .LBB5_58
; %bb.57:
	v_lshl_add_u32 v9, v1, 4, 0
	s_clause 0x1
	scratch_load_b128 v[1:4], v27, off
	scratch_load_b128 v[5:8], v9, off offset:-16
	s_waitcnt vmcnt(1)
	ds_store_2addr_b64 v0, v[1:2], v[3:4] offset1:1
	s_waitcnt vmcnt(0)
	s_clause 0x1
	scratch_store_b128 v27, v[5:8], off
	scratch_store_b128 v9, v[1:4], off offset:-16
.LBB5_58:
	s_or_b32 exec_lo, exec_lo, s0
	v_dual_mov_b32 v1, s16 :: v_dual_mov_b32 v2, s17
	s_mov_b32 s0, exec_lo
	flat_load_b32 v1, v[1:2]
	s_waitcnt vmcnt(0) lgkmcnt(0)
	v_cmpx_ne_u32_e32 1, v1
	s_cbranch_execz .LBB5_60
; %bb.59:
	v_lshl_add_u32 v9, v1, 4, 0
	scratch_load_b128 v[1:4], off, off
	scratch_load_b128 v[5:8], v9, off offset:-16
	s_waitcnt vmcnt(1)
	ds_store_2addr_b64 v0, v[1:2], v[3:4] offset1:1
	s_waitcnt vmcnt(0)
	scratch_store_b128 off, v[5:8], off
	scratch_store_b128 v9, v[1:4], off offset:-16
.LBB5_60:
	s_or_b32 exec_lo, exec_lo, s0
.LBB5_61:
	scratch_load_b128 v[0:3], off, off
	s_clause 0x4
	scratch_load_b128 v[4:7], v27, off
	scratch_load_b128 v[8:11], v29, off
	;; [unrolled: 1-line block ×5, first 2 shown]
	s_waitcnt vmcnt(5)
	global_store_b128 v[13:14], v[0:3], off
	s_waitcnt vmcnt(4)
	global_store_b128 v[15:16], v[4:7], off
	;; [unrolled: 2-line block ×6, first 2 shown]
	s_endpgm
	.section	.rodata,"a",@progbits
	.p2align	6, 0x0
	.amdhsa_kernel _ZN9rocsolver6v33100L18getri_kernel_smallILi6E19rocblas_complex_numIdEPS3_EEvT1_iilPiilS6_bb
		.amdhsa_group_segment_fixed_size 1224
		.amdhsa_private_segment_fixed_size 112
		.amdhsa_kernarg_size 60
		.amdhsa_user_sgpr_count 15
		.amdhsa_user_sgpr_dispatch_ptr 1
		.amdhsa_user_sgpr_queue_ptr 0
		.amdhsa_user_sgpr_kernarg_segment_ptr 1
		.amdhsa_user_sgpr_dispatch_id 0
		.amdhsa_user_sgpr_private_segment_size 0
		.amdhsa_wavefront_size32 1
		.amdhsa_uses_dynamic_stack 0
		.amdhsa_enable_private_segment 1
		.amdhsa_system_sgpr_workgroup_id_x 1
		.amdhsa_system_sgpr_workgroup_id_y 0
		.amdhsa_system_sgpr_workgroup_id_z 0
		.amdhsa_system_sgpr_workgroup_info 0
		.amdhsa_system_vgpr_workitem_id 2
		.amdhsa_next_free_vgpr 60
		.amdhsa_next_free_sgpr 22
		.amdhsa_reserve_vcc 1
		.amdhsa_float_round_mode_32 0
		.amdhsa_float_round_mode_16_64 0
		.amdhsa_float_denorm_mode_32 3
		.amdhsa_float_denorm_mode_16_64 3
		.amdhsa_dx10_clamp 1
		.amdhsa_ieee_mode 1
		.amdhsa_fp16_overflow 0
		.amdhsa_workgroup_processor_mode 1
		.amdhsa_memory_ordered 1
		.amdhsa_forward_progress 0
		.amdhsa_shared_vgpr_count 0
		.amdhsa_exception_fp_ieee_invalid_op 0
		.amdhsa_exception_fp_denorm_src 0
		.amdhsa_exception_fp_ieee_div_zero 0
		.amdhsa_exception_fp_ieee_overflow 0
		.amdhsa_exception_fp_ieee_underflow 0
		.amdhsa_exception_fp_ieee_inexact 0
		.amdhsa_exception_int_div_zero 0
	.end_amdhsa_kernel
	.section	.text._ZN9rocsolver6v33100L18getri_kernel_smallILi6E19rocblas_complex_numIdEPS3_EEvT1_iilPiilS6_bb,"axG",@progbits,_ZN9rocsolver6v33100L18getri_kernel_smallILi6E19rocblas_complex_numIdEPS3_EEvT1_iilPiilS6_bb,comdat
.Lfunc_end5:
	.size	_ZN9rocsolver6v33100L18getri_kernel_smallILi6E19rocblas_complex_numIdEPS3_EEvT1_iilPiilS6_bb, .Lfunc_end5-_ZN9rocsolver6v33100L18getri_kernel_smallILi6E19rocblas_complex_numIdEPS3_EEvT1_iilPiilS6_bb
                                        ; -- End function
	.section	.AMDGPU.csdata,"",@progbits
; Kernel info:
; codeLenInByte = 5320
; NumSgprs: 24
; NumVgprs: 60
; ScratchSize: 112
; MemoryBound: 0
; FloatMode: 240
; IeeeMode: 1
; LDSByteSize: 1224 bytes/workgroup (compile time only)
; SGPRBlocks: 2
; VGPRBlocks: 7
; NumSGPRsForWavesPerEU: 24
; NumVGPRsForWavesPerEU: 60
; Occupancy: 16
; WaveLimiterHint : 1
; COMPUTE_PGM_RSRC2:SCRATCH_EN: 1
; COMPUTE_PGM_RSRC2:USER_SGPR: 15
; COMPUTE_PGM_RSRC2:TRAP_HANDLER: 0
; COMPUTE_PGM_RSRC2:TGID_X_EN: 1
; COMPUTE_PGM_RSRC2:TGID_Y_EN: 0
; COMPUTE_PGM_RSRC2:TGID_Z_EN: 0
; COMPUTE_PGM_RSRC2:TIDIG_COMP_CNT: 2
	.section	.text._ZN9rocsolver6v33100L18getri_kernel_smallILi7E19rocblas_complex_numIdEPS3_EEvT1_iilPiilS6_bb,"axG",@progbits,_ZN9rocsolver6v33100L18getri_kernel_smallILi7E19rocblas_complex_numIdEPS3_EEvT1_iilPiilS6_bb,comdat
	.globl	_ZN9rocsolver6v33100L18getri_kernel_smallILi7E19rocblas_complex_numIdEPS3_EEvT1_iilPiilS6_bb ; -- Begin function _ZN9rocsolver6v33100L18getri_kernel_smallILi7E19rocblas_complex_numIdEPS3_EEvT1_iilPiilS6_bb
	.p2align	8
	.type	_ZN9rocsolver6v33100L18getri_kernel_smallILi7E19rocblas_complex_numIdEPS3_EEvT1_iilPiilS6_bb,@function
_ZN9rocsolver6v33100L18getri_kernel_smallILi7E19rocblas_complex_numIdEPS3_EEvT1_iilPiilS6_bb: ; @_ZN9rocsolver6v33100L18getri_kernel_smallILi7E19rocblas_complex_numIdEPS3_EEvT1_iilPiilS6_bb
; %bb.0:
	v_and_b32_e32 v27, 0x3ff, v0
	s_mov_b32 s4, exec_lo
	s_delay_alu instid0(VALU_DEP_1)
	v_cmpx_gt_u32_e32 7, v27
	s_cbranch_execz .LBB6_42
; %bb.1:
	s_mov_b32 s18, s15
	s_clause 0x2
	s_load_b32 s21, s[2:3], 0x38
	s_load_b128 s[12:15], s[2:3], 0x10
	s_load_b128 s[4:7], s[2:3], 0x28
                                        ; implicit-def: $sgpr16_sgpr17
	s_waitcnt lgkmcnt(0)
	s_bitcmp1_b32 s21, 8
	s_cselect_b32 s20, -1, 0
	s_bfe_u32 s8, s21, 0x10008
	s_ashr_i32 s19, s18, 31
	s_cmp_eq_u32 s8, 0
	s_cbranch_scc1 .LBB6_3
; %bb.2:
	s_load_b32 s8, s[2:3], 0x20
	s_mul_i32 s5, s18, s5
	s_mul_hi_u32 s9, s18, s4
	s_mul_i32 s10, s19, s4
	s_add_i32 s5, s9, s5
	s_mul_i32 s4, s18, s4
	s_add_i32 s5, s5, s10
	s_delay_alu instid0(SALU_CYCLE_1)
	s_lshl_b64 s[4:5], s[4:5], 2
	s_waitcnt lgkmcnt(0)
	s_ashr_i32 s9, s8, 31
	s_add_u32 s10, s14, s4
	s_addc_u32 s11, s15, s5
	s_lshl_b64 s[4:5], s[8:9], 2
	s_delay_alu instid0(SALU_CYCLE_1)
	s_add_u32 s16, s10, s4
	s_addc_u32 s17, s11, s5
.LBB6_3:
	s_load_b128 s[8:11], s[2:3], 0x0
	s_mul_i32 s2, s18, s13
	s_mul_hi_u32 s3, s18, s12
	s_mul_i32 s4, s19, s12
	s_add_i32 s3, s3, s2
	s_mul_i32 s2, s18, s12
	s_add_i32 s3, s3, s4
	v_lshlrev_b32_e32 v34, 4, v27
	s_lshl_b64 s[2:3], s[2:3], 4
	v_add_nc_u32_e64 v32, 0, 32
	v_add_nc_u32_e64 v31, 0, 64
	s_waitcnt lgkmcnt(0)
	v_add3_u32 v5, s11, s11, v27
	s_ashr_i32 s5, s10, 31
	s_mov_b32 s4, s10
	s_add_u32 s8, s8, s2
	s_addc_u32 s9, s9, s3
	v_add_nc_u32_e32 v7, s11, v5
	s_lshl_b64 s[2:3], s[4:5], 4
	v_ashrrev_i32_e32 v6, 31, v5
	s_add_u32 s2, s8, s2
	s_addc_u32 s3, s9, s3
	v_add_nc_u32_e32 v9, s11, v7
	v_add_co_u32 v13, s8, s2, v34
	v_ashrrev_i32_e32 v8, 31, v7
	s_mov_b32 s4, s11
	s_delay_alu instid0(VALU_DEP_3)
	v_add_nc_u32_e32 v21, s11, v9
	s_ashr_i32 s5, s11, 31
	v_add_co_ci_u32_e64 v14, null, s3, 0, s8
	v_lshlrev_b64 v[5:6], 4, v[5:6]
	s_lshl_b64 s[4:5], s[4:5], 4
	v_ashrrev_i32_e32 v10, 31, v9
	v_add_nc_u32_e32 v25, s11, v21
	v_add_co_u32 v15, vcc_lo, v13, s4
	v_lshlrev_b64 v[7:8], 4, v[7:8]
	v_ashrrev_i32_e32 v22, 31, v21
	v_add_co_ci_u32_e32 v16, vcc_lo, s5, v14, vcc_lo
	v_add_co_u32 v17, vcc_lo, s2, v5
	v_lshlrev_b64 v[23:24], 4, v[9:10]
	v_ashrrev_i32_e32 v26, 31, v25
	v_add_co_ci_u32_e32 v18, vcc_lo, s3, v6, vcc_lo
	v_add_co_u32 v19, vcc_lo, s2, v7
	v_lshlrev_b64 v[28:29], 4, v[21:22]
	v_add_co_ci_u32_e32 v20, vcc_lo, s3, v8, vcc_lo
	v_add_co_u32 v21, vcc_lo, s2, v23
	v_lshlrev_b64 v[25:26], 4, v[25:26]
	v_add_co_ci_u32_e32 v22, vcc_lo, s3, v24, vcc_lo
	v_add_co_u32 v23, vcc_lo, s2, v28
	v_add_co_ci_u32_e32 v24, vcc_lo, s3, v29, vcc_lo
	s_delay_alu instid0(VALU_DEP_4)
	v_add_co_u32 v25, vcc_lo, s2, v25
	v_add_co_ci_u32_e32 v26, vcc_lo, s3, v26, vcc_lo
	s_clause 0x6
	global_load_b128 v[1:4], v34, s[2:3]
	global_load_b128 v[5:8], v[15:16], off
	global_load_b128 v[9:12], v[17:18], off
	;; [unrolled: 1-line block ×6, first 2 shown]
	s_movk_i32 s2, 0x50
	s_movk_i32 s3, 0x60
	v_add_nc_u32_e64 v29, 0, 16
	v_add_nc_u32_e64 v28, 0, 48
	;; [unrolled: 1-line block ×4, first 2 shown]
	s_bitcmp0_b32 s21, 0
	s_mov_b32 s3, -1
	s_waitcnt vmcnt(6)
	scratch_store_b128 off, v[1:4], off
	s_waitcnt vmcnt(5)
	scratch_store_b128 off, v[5:8], off offset:16
	s_waitcnt vmcnt(4)
	scratch_store_b128 off, v[9:12], off offset:32
	;; [unrolled: 2-line block ×6, first 2 shown]
	s_cbranch_scc1 .LBB6_40
; %bb.4:
	v_cmp_eq_u32_e64 s2, 0, v27
	s_delay_alu instid0(VALU_DEP_1)
	s_and_saveexec_b32 s3, s2
	s_cbranch_execz .LBB6_6
; %bb.5:
	v_mov_b32_e32 v1, 0
	ds_store_b32 v1, v1 offset:224
.LBB6_6:
	s_or_b32 exec_lo, exec_lo, s3
	s_waitcnt lgkmcnt(0)
	s_waitcnt_vscnt null, 0x0
	s_barrier
	buffer_gl0_inv
	scratch_load_b128 v[1:4], v34, off
	s_waitcnt vmcnt(0)
	v_cmp_eq_f64_e32 vcc_lo, 0, v[1:2]
	v_cmp_eq_f64_e64 s3, 0, v[3:4]
	s_delay_alu instid0(VALU_DEP_1) | instskip(NEXT) | instid1(SALU_CYCLE_1)
	s_and_b32 s3, vcc_lo, s3
	s_and_saveexec_b32 s4, s3
	s_cbranch_execz .LBB6_10
; %bb.7:
	v_mov_b32_e32 v1, 0
	s_mov_b32 s5, 0
	ds_load_b32 v2, v1 offset:224
	s_waitcnt lgkmcnt(0)
	v_readfirstlane_b32 s3, v2
	v_add_nc_u32_e32 v2, 1, v27
	s_delay_alu instid0(VALU_DEP_2) | instskip(NEXT) | instid1(VALU_DEP_1)
	s_cmp_eq_u32 s3, 0
	v_cmp_gt_i32_e32 vcc_lo, s3, v2
	s_cselect_b32 s8, -1, 0
	s_delay_alu instid0(SALU_CYCLE_1) | instskip(NEXT) | instid1(SALU_CYCLE_1)
	s_or_b32 s8, s8, vcc_lo
	s_and_b32 exec_lo, exec_lo, s8
	s_cbranch_execz .LBB6_10
; %bb.8:
	v_mov_b32_e32 v3, s3
.LBB6_9:                                ; =>This Inner Loop Header: Depth=1
	ds_cmpstore_rtn_b32 v3, v1, v2, v3 offset:224
	s_waitcnt lgkmcnt(0)
	v_cmp_ne_u32_e32 vcc_lo, 0, v3
	v_cmp_le_i32_e64 s3, v3, v2
	s_delay_alu instid0(VALU_DEP_1) | instskip(NEXT) | instid1(SALU_CYCLE_1)
	s_and_b32 s3, vcc_lo, s3
	s_and_b32 s3, exec_lo, s3
	s_delay_alu instid0(SALU_CYCLE_1) | instskip(NEXT) | instid1(SALU_CYCLE_1)
	s_or_b32 s5, s3, s5
	s_and_not1_b32 exec_lo, exec_lo, s5
	s_cbranch_execnz .LBB6_9
.LBB6_10:
	s_or_b32 exec_lo, exec_lo, s4
	v_mov_b32_e32 v1, 0
	s_barrier
	buffer_gl0_inv
	ds_load_b32 v2, v1 offset:224
	s_and_saveexec_b32 s3, s2
	s_cbranch_execz .LBB6_12
; %bb.11:
	s_lshl_b64 s[4:5], s[18:19], 2
	s_delay_alu instid0(SALU_CYCLE_1)
	s_add_u32 s4, s6, s4
	s_addc_u32 s5, s7, s5
	s_waitcnt lgkmcnt(0)
	global_store_b32 v1, v2, s[4:5]
.LBB6_12:
	s_or_b32 exec_lo, exec_lo, s3
	s_waitcnt lgkmcnt(0)
	v_cmp_ne_u32_e32 vcc_lo, 0, v2
	s_mov_b32 s3, 0
	s_cbranch_vccnz .LBB6_40
; %bb.13:
	v_add_nc_u32_e32 v35, 0, v34
                                        ; implicit-def: $vgpr9_vgpr10
	scratch_load_b128 v[1:4], v35, off
	s_waitcnt vmcnt(0)
	v_cmp_gt_f64_e32 vcc_lo, 0, v[1:2]
	v_xor_b32_e32 v6, 0x80000000, v2
	v_mov_b32_e32 v5, v1
	v_xor_b32_e32 v7, 0x80000000, v4
	s_delay_alu instid0(VALU_DEP_3) | instskip(SKIP_1) | instid1(VALU_DEP_3)
	v_cndmask_b32_e32 v6, v2, v6, vcc_lo
	v_cmp_gt_f64_e32 vcc_lo, 0, v[3:4]
	v_dual_cndmask_b32 v8, v4, v7 :: v_dual_mov_b32 v7, v3
	s_delay_alu instid0(VALU_DEP_1) | instskip(SKIP_1) | instid1(SALU_CYCLE_1)
	v_cmp_ngt_f64_e32 vcc_lo, v[5:6], v[7:8]
                                        ; implicit-def: $vgpr5_vgpr6
	s_and_saveexec_b32 s3, vcc_lo
	s_xor_b32 s3, exec_lo, s3
	s_cbranch_execz .LBB6_15
; %bb.14:
	v_div_scale_f64 v[5:6], null, v[3:4], v[3:4], v[1:2]
	v_div_scale_f64 v[11:12], vcc_lo, v[1:2], v[3:4], v[1:2]
	s_delay_alu instid0(VALU_DEP_2) | instskip(SKIP_2) | instid1(VALU_DEP_1)
	v_rcp_f64_e32 v[7:8], v[5:6]
	s_waitcnt_depctr 0xfff
	v_fma_f64 v[9:10], -v[5:6], v[7:8], 1.0
	v_fma_f64 v[7:8], v[7:8], v[9:10], v[7:8]
	s_delay_alu instid0(VALU_DEP_1) | instskip(NEXT) | instid1(VALU_DEP_1)
	v_fma_f64 v[9:10], -v[5:6], v[7:8], 1.0
	v_fma_f64 v[7:8], v[7:8], v[9:10], v[7:8]
	s_delay_alu instid0(VALU_DEP_1) | instskip(NEXT) | instid1(VALU_DEP_1)
	v_mul_f64 v[9:10], v[11:12], v[7:8]
	v_fma_f64 v[5:6], -v[5:6], v[9:10], v[11:12]
	s_delay_alu instid0(VALU_DEP_1) | instskip(NEXT) | instid1(VALU_DEP_1)
	v_div_fmas_f64 v[5:6], v[5:6], v[7:8], v[9:10]
	v_div_fixup_f64 v[5:6], v[5:6], v[3:4], v[1:2]
	s_delay_alu instid0(VALU_DEP_1) | instskip(NEXT) | instid1(VALU_DEP_1)
	v_fma_f64 v[1:2], v[1:2], v[5:6], v[3:4]
	v_div_scale_f64 v[3:4], null, v[1:2], v[1:2], 1.0
	v_div_scale_f64 v[11:12], vcc_lo, 1.0, v[1:2], 1.0
	s_delay_alu instid0(VALU_DEP_2) | instskip(SKIP_2) | instid1(VALU_DEP_1)
	v_rcp_f64_e32 v[7:8], v[3:4]
	s_waitcnt_depctr 0xfff
	v_fma_f64 v[9:10], -v[3:4], v[7:8], 1.0
	v_fma_f64 v[7:8], v[7:8], v[9:10], v[7:8]
	s_delay_alu instid0(VALU_DEP_1) | instskip(NEXT) | instid1(VALU_DEP_1)
	v_fma_f64 v[9:10], -v[3:4], v[7:8], 1.0
	v_fma_f64 v[7:8], v[7:8], v[9:10], v[7:8]
	s_delay_alu instid0(VALU_DEP_1) | instskip(NEXT) | instid1(VALU_DEP_1)
	v_mul_f64 v[9:10], v[11:12], v[7:8]
	v_fma_f64 v[3:4], -v[3:4], v[9:10], v[11:12]
	s_delay_alu instid0(VALU_DEP_1) | instskip(NEXT) | instid1(VALU_DEP_1)
	v_div_fmas_f64 v[3:4], v[3:4], v[7:8], v[9:10]
	v_div_fixup_f64 v[7:8], v[3:4], v[1:2], 1.0
                                        ; implicit-def: $vgpr1_vgpr2
	s_delay_alu instid0(VALU_DEP_1) | instskip(SKIP_1) | instid1(VALU_DEP_2)
	v_mul_f64 v[5:6], v[5:6], v[7:8]
	v_xor_b32_e32 v8, 0x80000000, v8
	v_xor_b32_e32 v10, 0x80000000, v6
	s_delay_alu instid0(VALU_DEP_3)
	v_mov_b32_e32 v9, v5
.LBB6_15:
	s_and_not1_saveexec_b32 s3, s3
	s_cbranch_execz .LBB6_17
; %bb.16:
	v_div_scale_f64 v[5:6], null, v[1:2], v[1:2], v[3:4]
	v_div_scale_f64 v[11:12], vcc_lo, v[3:4], v[1:2], v[3:4]
	s_delay_alu instid0(VALU_DEP_2) | instskip(SKIP_2) | instid1(VALU_DEP_1)
	v_rcp_f64_e32 v[7:8], v[5:6]
	s_waitcnt_depctr 0xfff
	v_fma_f64 v[9:10], -v[5:6], v[7:8], 1.0
	v_fma_f64 v[7:8], v[7:8], v[9:10], v[7:8]
	s_delay_alu instid0(VALU_DEP_1) | instskip(NEXT) | instid1(VALU_DEP_1)
	v_fma_f64 v[9:10], -v[5:6], v[7:8], 1.0
	v_fma_f64 v[7:8], v[7:8], v[9:10], v[7:8]
	s_delay_alu instid0(VALU_DEP_1) | instskip(NEXT) | instid1(VALU_DEP_1)
	v_mul_f64 v[9:10], v[11:12], v[7:8]
	v_fma_f64 v[5:6], -v[5:6], v[9:10], v[11:12]
	s_delay_alu instid0(VALU_DEP_1) | instskip(NEXT) | instid1(VALU_DEP_1)
	v_div_fmas_f64 v[5:6], v[5:6], v[7:8], v[9:10]
	v_div_fixup_f64 v[7:8], v[5:6], v[1:2], v[3:4]
	s_delay_alu instid0(VALU_DEP_1) | instskip(NEXT) | instid1(VALU_DEP_1)
	v_fma_f64 v[1:2], v[3:4], v[7:8], v[1:2]
	v_div_scale_f64 v[3:4], null, v[1:2], v[1:2], 1.0
	s_delay_alu instid0(VALU_DEP_1) | instskip(SKIP_2) | instid1(VALU_DEP_1)
	v_rcp_f64_e32 v[5:6], v[3:4]
	s_waitcnt_depctr 0xfff
	v_fma_f64 v[9:10], -v[3:4], v[5:6], 1.0
	v_fma_f64 v[5:6], v[5:6], v[9:10], v[5:6]
	s_delay_alu instid0(VALU_DEP_1) | instskip(NEXT) | instid1(VALU_DEP_1)
	v_fma_f64 v[9:10], -v[3:4], v[5:6], 1.0
	v_fma_f64 v[5:6], v[5:6], v[9:10], v[5:6]
	v_div_scale_f64 v[9:10], vcc_lo, 1.0, v[1:2], 1.0
	s_delay_alu instid0(VALU_DEP_1) | instskip(NEXT) | instid1(VALU_DEP_1)
	v_mul_f64 v[11:12], v[9:10], v[5:6]
	v_fma_f64 v[3:4], -v[3:4], v[11:12], v[9:10]
	s_delay_alu instid0(VALU_DEP_1) | instskip(NEXT) | instid1(VALU_DEP_1)
	v_div_fmas_f64 v[3:4], v[3:4], v[5:6], v[11:12]
	v_div_fixup_f64 v[5:6], v[3:4], v[1:2], 1.0
	s_delay_alu instid0(VALU_DEP_1)
	v_mul_f64 v[7:8], v[7:8], -v[5:6]
	v_xor_b32_e32 v10, 0x80000000, v6
	v_mov_b32_e32 v9, v5
.LBB6_17:
	s_or_b32 exec_lo, exec_lo, s3
	scratch_store_b128 v35, v[5:8], off
	scratch_load_b128 v[1:4], v29, off
	v_xor_b32_e32 v12, 0x80000000, v8
	v_mov_b32_e32 v11, v7
	v_add_nc_u32_e32 v5, 0x70, v34
	ds_store_b128 v34, v[9:12]
	s_waitcnt vmcnt(0)
	ds_store_b128 v34, v[1:4] offset:112
	s_waitcnt lgkmcnt(0)
	s_waitcnt_vscnt null, 0x0
	s_barrier
	buffer_gl0_inv
	s_and_saveexec_b32 s3, s2
	s_cbranch_execz .LBB6_19
; %bb.18:
	scratch_load_b128 v[1:4], v35, off
	ds_load_b128 v[6:9], v5
	v_mov_b32_e32 v10, 0
	ds_load_b128 v[36:39], v10 offset:16
	s_waitcnt vmcnt(0) lgkmcnt(1)
	v_mul_f64 v[10:11], v[6:7], v[3:4]
	v_mul_f64 v[3:4], v[8:9], v[3:4]
	s_delay_alu instid0(VALU_DEP_2) | instskip(NEXT) | instid1(VALU_DEP_2)
	v_fma_f64 v[8:9], v[8:9], v[1:2], v[10:11]
	v_fma_f64 v[1:2], v[6:7], v[1:2], -v[3:4]
	s_delay_alu instid0(VALU_DEP_2) | instskip(NEXT) | instid1(VALU_DEP_2)
	v_add_f64 v[3:4], v[8:9], 0
	v_add_f64 v[1:2], v[1:2], 0
	s_waitcnt lgkmcnt(0)
	s_delay_alu instid0(VALU_DEP_2) | instskip(NEXT) | instid1(VALU_DEP_2)
	v_mul_f64 v[6:7], v[3:4], v[38:39]
	v_mul_f64 v[8:9], v[1:2], v[38:39]
	s_delay_alu instid0(VALU_DEP_2) | instskip(NEXT) | instid1(VALU_DEP_2)
	v_fma_f64 v[1:2], v[1:2], v[36:37], -v[6:7]
	v_fma_f64 v[3:4], v[3:4], v[36:37], v[8:9]
	scratch_store_b128 off, v[1:4], off offset:16
.LBB6_19:
	s_or_b32 exec_lo, exec_lo, s3
	s_waitcnt_vscnt null, 0x0
	s_barrier
	buffer_gl0_inv
	scratch_load_b128 v[1:4], v32, off
	s_mov_b32 s3, exec_lo
	s_waitcnt vmcnt(0)
	ds_store_b128 v5, v[1:4]
	s_waitcnt lgkmcnt(0)
	s_barrier
	buffer_gl0_inv
	v_cmpx_gt_u32_e32 2, v27
	s_cbranch_execz .LBB6_23
; %bb.20:
	scratch_load_b128 v[1:4], v35, off
	ds_load_b128 v[6:9], v5
	s_waitcnt vmcnt(0) lgkmcnt(0)
	v_mul_f64 v[10:11], v[8:9], v[3:4]
	v_mul_f64 v[3:4], v[6:7], v[3:4]
	s_delay_alu instid0(VALU_DEP_2) | instskip(NEXT) | instid1(VALU_DEP_2)
	v_fma_f64 v[6:7], v[6:7], v[1:2], -v[10:11]
	v_fma_f64 v[3:4], v[8:9], v[1:2], v[3:4]
	s_delay_alu instid0(VALU_DEP_2) | instskip(NEXT) | instid1(VALU_DEP_2)
	v_add_f64 v[1:2], v[6:7], 0
	v_add_f64 v[3:4], v[3:4], 0
	s_and_saveexec_b32 s4, s2
	s_cbranch_execz .LBB6_22
; %bb.21:
	scratch_load_b128 v[6:9], off, off offset:16
	v_mov_b32_e32 v10, 0
	ds_load_b128 v[36:39], v10 offset:128
	s_waitcnt vmcnt(0) lgkmcnt(0)
	v_mul_f64 v[10:11], v[36:37], v[8:9]
	v_mul_f64 v[8:9], v[38:39], v[8:9]
	s_delay_alu instid0(VALU_DEP_2) | instskip(NEXT) | instid1(VALU_DEP_2)
	v_fma_f64 v[10:11], v[38:39], v[6:7], v[10:11]
	v_fma_f64 v[6:7], v[36:37], v[6:7], -v[8:9]
	s_delay_alu instid0(VALU_DEP_2) | instskip(NEXT) | instid1(VALU_DEP_2)
	v_add_f64 v[3:4], v[3:4], v[10:11]
	v_add_f64 v[1:2], v[1:2], v[6:7]
.LBB6_22:
	s_or_b32 exec_lo, exec_lo, s4
	v_mov_b32_e32 v6, 0
	ds_load_b128 v[6:9], v6 offset:32
	s_waitcnt lgkmcnt(0)
	v_mul_f64 v[10:11], v[3:4], v[8:9]
	v_mul_f64 v[8:9], v[1:2], v[8:9]
	s_delay_alu instid0(VALU_DEP_2) | instskip(NEXT) | instid1(VALU_DEP_2)
	v_fma_f64 v[1:2], v[1:2], v[6:7], -v[10:11]
	v_fma_f64 v[3:4], v[3:4], v[6:7], v[8:9]
	scratch_store_b128 off, v[1:4], off offset:32
.LBB6_23:
	s_or_b32 exec_lo, exec_lo, s3
	s_waitcnt_vscnt null, 0x0
	s_barrier
	buffer_gl0_inv
	scratch_load_b128 v[1:4], v28, off
	v_add_nc_u32_e32 v6, -1, v27
	s_mov_b32 s2, exec_lo
	s_waitcnt vmcnt(0)
	ds_store_b128 v5, v[1:4]
	s_waitcnt lgkmcnt(0)
	s_barrier
	buffer_gl0_inv
	v_cmpx_gt_u32_e32 3, v27
	s_cbranch_execz .LBB6_27
; %bb.24:
	v_dual_mov_b32 v1, 0 :: v_dual_add_nc_u32 v8, 0x70, v34
	v_dual_mov_b32 v2, 0 :: v_dual_add_nc_u32 v7, -1, v27
	v_or_b32_e32 v9, 8, v35
	s_mov_b32 s3, 0
	s_delay_alu instid0(VALU_DEP_2)
	v_dual_mov_b32 v4, v2 :: v_dual_mov_b32 v3, v1
	.p2align	6
.LBB6_25:                               ; =>This Inner Loop Header: Depth=1
	scratch_load_b128 v[36:39], v9, off offset:-8
	ds_load_b128 v[40:43], v8
	v_add_nc_u32_e32 v7, 1, v7
	v_add_nc_u32_e32 v8, 16, v8
	;; [unrolled: 1-line block ×3, first 2 shown]
	s_delay_alu instid0(VALU_DEP_3) | instskip(SKIP_4) | instid1(VALU_DEP_2)
	v_cmp_lt_u32_e32 vcc_lo, 1, v7
	s_or_b32 s3, vcc_lo, s3
	s_waitcnt vmcnt(0) lgkmcnt(0)
	v_mul_f64 v[10:11], v[42:43], v[38:39]
	v_mul_f64 v[38:39], v[40:41], v[38:39]
	v_fma_f64 v[10:11], v[40:41], v[36:37], -v[10:11]
	s_delay_alu instid0(VALU_DEP_2) | instskip(NEXT) | instid1(VALU_DEP_2)
	v_fma_f64 v[36:37], v[42:43], v[36:37], v[38:39]
	v_add_f64 v[3:4], v[3:4], v[10:11]
	s_delay_alu instid0(VALU_DEP_2)
	v_add_f64 v[1:2], v[1:2], v[36:37]
	s_and_not1_b32 exec_lo, exec_lo, s3
	s_cbranch_execnz .LBB6_25
; %bb.26:
	s_or_b32 exec_lo, exec_lo, s3
	v_mov_b32_e32 v7, 0
	ds_load_b128 v[7:10], v7 offset:48
	s_waitcnt lgkmcnt(0)
	v_mul_f64 v[11:12], v[1:2], v[9:10]
	v_mul_f64 v[36:37], v[3:4], v[9:10]
	s_delay_alu instid0(VALU_DEP_2) | instskip(NEXT) | instid1(VALU_DEP_2)
	v_fma_f64 v[9:10], v[3:4], v[7:8], -v[11:12]
	v_fma_f64 v[11:12], v[1:2], v[7:8], v[36:37]
	scratch_store_b128 off, v[9:12], off offset:48
.LBB6_27:
	s_or_b32 exec_lo, exec_lo, s2
	s_waitcnt_vscnt null, 0x0
	s_barrier
	buffer_gl0_inv
	scratch_load_b128 v[1:4], v31, off
	s_mov_b32 s2, exec_lo
	s_waitcnt vmcnt(0)
	ds_store_b128 v5, v[1:4]
	s_waitcnt lgkmcnt(0)
	s_barrier
	buffer_gl0_inv
	v_cmpx_gt_u32_e32 4, v27
	s_cbranch_execz .LBB6_31
; %bb.28:
	v_dual_mov_b32 v1, 0 :: v_dual_add_nc_u32 v8, 0x70, v34
	v_dual_mov_b32 v2, 0 :: v_dual_add_nc_u32 v7, -1, v27
	v_or_b32_e32 v9, 8, v35
	s_mov_b32 s3, 0
	s_delay_alu instid0(VALU_DEP_2)
	v_dual_mov_b32 v4, v2 :: v_dual_mov_b32 v3, v1
	.p2align	6
.LBB6_29:                               ; =>This Inner Loop Header: Depth=1
	scratch_load_b128 v[36:39], v9, off offset:-8
	ds_load_b128 v[40:43], v8
	v_add_nc_u32_e32 v7, 1, v7
	v_add_nc_u32_e32 v8, 16, v8
	;; [unrolled: 1-line block ×3, first 2 shown]
	s_delay_alu instid0(VALU_DEP_3) | instskip(SKIP_4) | instid1(VALU_DEP_2)
	v_cmp_lt_u32_e32 vcc_lo, 2, v7
	s_or_b32 s3, vcc_lo, s3
	s_waitcnt vmcnt(0) lgkmcnt(0)
	v_mul_f64 v[10:11], v[42:43], v[38:39]
	v_mul_f64 v[38:39], v[40:41], v[38:39]
	v_fma_f64 v[10:11], v[40:41], v[36:37], -v[10:11]
	s_delay_alu instid0(VALU_DEP_2) | instskip(NEXT) | instid1(VALU_DEP_2)
	v_fma_f64 v[36:37], v[42:43], v[36:37], v[38:39]
	v_add_f64 v[3:4], v[3:4], v[10:11]
	s_delay_alu instid0(VALU_DEP_2)
	v_add_f64 v[1:2], v[1:2], v[36:37]
	s_and_not1_b32 exec_lo, exec_lo, s3
	s_cbranch_execnz .LBB6_29
; %bb.30:
	s_or_b32 exec_lo, exec_lo, s3
	v_mov_b32_e32 v7, 0
	ds_load_b128 v[7:10], v7 offset:64
	s_waitcnt lgkmcnt(0)
	v_mul_f64 v[11:12], v[1:2], v[9:10]
	v_mul_f64 v[36:37], v[3:4], v[9:10]
	s_delay_alu instid0(VALU_DEP_2) | instskip(NEXT) | instid1(VALU_DEP_2)
	v_fma_f64 v[9:10], v[3:4], v[7:8], -v[11:12]
	v_fma_f64 v[11:12], v[1:2], v[7:8], v[36:37]
	scratch_store_b128 off, v[9:12], off offset:64
.LBB6_31:
	s_or_b32 exec_lo, exec_lo, s2
	s_waitcnt_vscnt null, 0x0
	s_barrier
	buffer_gl0_inv
	scratch_load_b128 v[1:4], v33, off
	s_mov_b32 s2, exec_lo
	s_waitcnt vmcnt(0)
	ds_store_b128 v5, v[1:4]
	s_waitcnt lgkmcnt(0)
	s_barrier
	buffer_gl0_inv
	v_cmpx_gt_u32_e32 5, v27
	s_cbranch_execz .LBB6_35
; %bb.32:
	v_dual_mov_b32 v1, 0 :: v_dual_add_nc_u32 v8, 0x70, v34
	v_dual_mov_b32 v2, 0 :: v_dual_add_nc_u32 v7, -1, v27
	v_or_b32_e32 v9, 8, v35
	s_mov_b32 s3, 0
	s_delay_alu instid0(VALU_DEP_2)
	v_dual_mov_b32 v4, v2 :: v_dual_mov_b32 v3, v1
	.p2align	6
.LBB6_33:                               ; =>This Inner Loop Header: Depth=1
	scratch_load_b128 v[36:39], v9, off offset:-8
	ds_load_b128 v[40:43], v8
	v_add_nc_u32_e32 v7, 1, v7
	v_add_nc_u32_e32 v8, 16, v8
	;; [unrolled: 1-line block ×3, first 2 shown]
	s_delay_alu instid0(VALU_DEP_3) | instskip(SKIP_4) | instid1(VALU_DEP_2)
	v_cmp_lt_u32_e32 vcc_lo, 3, v7
	s_or_b32 s3, vcc_lo, s3
	s_waitcnt vmcnt(0) lgkmcnt(0)
	v_mul_f64 v[10:11], v[42:43], v[38:39]
	v_mul_f64 v[38:39], v[40:41], v[38:39]
	v_fma_f64 v[10:11], v[40:41], v[36:37], -v[10:11]
	s_delay_alu instid0(VALU_DEP_2) | instskip(NEXT) | instid1(VALU_DEP_2)
	v_fma_f64 v[36:37], v[42:43], v[36:37], v[38:39]
	v_add_f64 v[3:4], v[3:4], v[10:11]
	s_delay_alu instid0(VALU_DEP_2)
	v_add_f64 v[1:2], v[1:2], v[36:37]
	s_and_not1_b32 exec_lo, exec_lo, s3
	s_cbranch_execnz .LBB6_33
; %bb.34:
	s_or_b32 exec_lo, exec_lo, s3
	v_mov_b32_e32 v7, 0
	ds_load_b128 v[7:10], v7 offset:80
	s_waitcnt lgkmcnt(0)
	v_mul_f64 v[11:12], v[1:2], v[9:10]
	v_mul_f64 v[36:37], v[3:4], v[9:10]
	s_delay_alu instid0(VALU_DEP_2) | instskip(NEXT) | instid1(VALU_DEP_2)
	v_fma_f64 v[9:10], v[3:4], v[7:8], -v[11:12]
	v_fma_f64 v[11:12], v[1:2], v[7:8], v[36:37]
	scratch_store_b128 off, v[9:12], off offset:80
.LBB6_35:
	s_or_b32 exec_lo, exec_lo, s2
	s_waitcnt_vscnt null, 0x0
	s_barrier
	buffer_gl0_inv
	scratch_load_b128 v[1:4], v30, off
	s_mov_b32 s2, exec_lo
	s_waitcnt vmcnt(0)
	ds_store_b128 v5, v[1:4]
	s_waitcnt lgkmcnt(0)
	s_barrier
	buffer_gl0_inv
	v_cmpx_ne_u32_e32 6, v27
	s_cbranch_execz .LBB6_39
; %bb.36:
	v_mov_b32_e32 v1, 0
	v_mov_b32_e32 v2, 0
	v_or_b32_e32 v7, 8, v35
	s_mov_b32 s3, 0
	s_delay_alu instid0(VALU_DEP_2)
	v_dual_mov_b32 v4, v2 :: v_dual_mov_b32 v3, v1
	.p2align	6
.LBB6_37:                               ; =>This Inner Loop Header: Depth=1
	scratch_load_b128 v[8:11], v7, off offset:-8
	ds_load_b128 v[34:37], v5
	v_add_nc_u32_e32 v6, 1, v6
	v_add_nc_u32_e32 v5, 16, v5
	;; [unrolled: 1-line block ×3, first 2 shown]
	s_delay_alu instid0(VALU_DEP_3) | instskip(SKIP_4) | instid1(VALU_DEP_2)
	v_cmp_lt_u32_e32 vcc_lo, 4, v6
	s_or_b32 s3, vcc_lo, s3
	s_waitcnt vmcnt(0) lgkmcnt(0)
	v_mul_f64 v[38:39], v[36:37], v[10:11]
	v_mul_f64 v[10:11], v[34:35], v[10:11]
	v_fma_f64 v[34:35], v[34:35], v[8:9], -v[38:39]
	s_delay_alu instid0(VALU_DEP_2) | instskip(NEXT) | instid1(VALU_DEP_2)
	v_fma_f64 v[8:9], v[36:37], v[8:9], v[10:11]
	v_add_f64 v[3:4], v[3:4], v[34:35]
	s_delay_alu instid0(VALU_DEP_2)
	v_add_f64 v[1:2], v[1:2], v[8:9]
	s_and_not1_b32 exec_lo, exec_lo, s3
	s_cbranch_execnz .LBB6_37
; %bb.38:
	s_or_b32 exec_lo, exec_lo, s3
	v_mov_b32_e32 v5, 0
	ds_load_b128 v[5:8], v5 offset:96
	s_waitcnt lgkmcnt(0)
	v_mul_f64 v[9:10], v[1:2], v[7:8]
	v_mul_f64 v[7:8], v[3:4], v[7:8]
	s_delay_alu instid0(VALU_DEP_2) | instskip(NEXT) | instid1(VALU_DEP_2)
	v_fma_f64 v[3:4], v[3:4], v[5:6], -v[9:10]
	v_fma_f64 v[5:6], v[1:2], v[5:6], v[7:8]
	scratch_store_b128 off, v[3:6], off offset:96
.LBB6_39:
	s_or_b32 exec_lo, exec_lo, s2
	s_mov_b32 s3, -1
	s_waitcnt_vscnt null, 0x0
	s_barrier
	buffer_gl0_inv
.LBB6_40:
	s_and_b32 vcc_lo, exec_lo, s3
	s_cbranch_vccz .LBB6_42
; %bb.41:
	s_lshl_b64 s[2:3], s[18:19], 2
	v_mov_b32_e32 v1, 0
	s_add_u32 s2, s6, s2
	s_addc_u32 s3, s7, s3
	global_load_b32 v1, v1, s[2:3]
	s_waitcnt vmcnt(0)
	v_cmp_ne_u32_e32 vcc_lo, 0, v1
	s_cbranch_vccz .LBB6_43
.LBB6_42:
	s_endpgm
.LBB6_43:
	v_lshl_add_u32 v5, v27, 4, 0x70
	s_mov_b32 s2, exec_lo
	v_cmpx_eq_u32_e32 6, v27
	s_cbranch_execz .LBB6_45
; %bb.44:
	scratch_load_b128 v[1:4], v33, off
	v_mov_b32_e32 v6, 0
	s_delay_alu instid0(VALU_DEP_1)
	v_mov_b32_e32 v7, v6
	v_mov_b32_e32 v8, v6
	;; [unrolled: 1-line block ×3, first 2 shown]
	scratch_store_b128 off, v[6:9], off offset:80
	s_waitcnt vmcnt(0)
	ds_store_b128 v5, v[1:4]
.LBB6_45:
	s_or_b32 exec_lo, exec_lo, s2
	s_waitcnt lgkmcnt(0)
	s_waitcnt_vscnt null, 0x0
	s_barrier
	buffer_gl0_inv
	s_clause 0x1
	scratch_load_b128 v[6:9], off, off offset:96
	scratch_load_b128 v[34:37], off, off offset:80
	v_mov_b32_e32 v1, 0
	s_mov_b32 s2, exec_lo
	ds_load_b128 v[38:41], v1 offset:208
	s_waitcnt vmcnt(1) lgkmcnt(0)
	v_mul_f64 v[2:3], v[40:41], v[8:9]
	v_mul_f64 v[8:9], v[38:39], v[8:9]
	s_delay_alu instid0(VALU_DEP_2) | instskip(NEXT) | instid1(VALU_DEP_2)
	v_fma_f64 v[2:3], v[38:39], v[6:7], -v[2:3]
	v_fma_f64 v[6:7], v[40:41], v[6:7], v[8:9]
	s_delay_alu instid0(VALU_DEP_2) | instskip(NEXT) | instid1(VALU_DEP_2)
	v_add_f64 v[2:3], v[2:3], 0
	v_add_f64 v[8:9], v[6:7], 0
	s_waitcnt vmcnt(0)
	s_delay_alu instid0(VALU_DEP_2) | instskip(NEXT) | instid1(VALU_DEP_2)
	v_add_f64 v[6:7], v[34:35], -v[2:3]
	v_add_f64 v[8:9], v[36:37], -v[8:9]
	scratch_store_b128 off, v[6:9], off offset:80
	v_cmpx_lt_u32_e32 4, v27
	s_cbranch_execz .LBB6_47
; %bb.46:
	scratch_load_b128 v[6:9], v31, off
	v_mov_b32_e32 v2, v1
	v_mov_b32_e32 v3, v1
	;; [unrolled: 1-line block ×3, first 2 shown]
	scratch_store_b128 off, v[1:4], off offset:64
	s_waitcnt vmcnt(0)
	ds_store_b128 v5, v[6:9]
.LBB6_47:
	s_or_b32 exec_lo, exec_lo, s2
	s_waitcnt lgkmcnt(0)
	s_waitcnt_vscnt null, 0x0
	s_barrier
	buffer_gl0_inv
	s_clause 0x2
	scratch_load_b128 v[6:9], off, off offset:80
	scratch_load_b128 v[34:37], off, off offset:96
	;; [unrolled: 1-line block ×3, first 2 shown]
	ds_load_b128 v[42:45], v1 offset:192
	ds_load_b128 v[1:4], v1 offset:208
	s_mov_b32 s2, exec_lo
	s_waitcnt vmcnt(2) lgkmcnt(1)
	v_mul_f64 v[10:11], v[44:45], v[8:9]
	v_mul_f64 v[8:9], v[42:43], v[8:9]
	s_waitcnt vmcnt(1) lgkmcnt(0)
	v_mul_f64 v[46:47], v[1:2], v[36:37]
	v_mul_f64 v[36:37], v[3:4], v[36:37]
	s_delay_alu instid0(VALU_DEP_4) | instskip(NEXT) | instid1(VALU_DEP_4)
	v_fma_f64 v[10:11], v[42:43], v[6:7], -v[10:11]
	v_fma_f64 v[6:7], v[44:45], v[6:7], v[8:9]
	s_delay_alu instid0(VALU_DEP_4) | instskip(NEXT) | instid1(VALU_DEP_4)
	v_fma_f64 v[3:4], v[3:4], v[34:35], v[46:47]
	v_fma_f64 v[1:2], v[1:2], v[34:35], -v[36:37]
	s_delay_alu instid0(VALU_DEP_4) | instskip(NEXT) | instid1(VALU_DEP_4)
	v_add_f64 v[8:9], v[10:11], 0
	v_add_f64 v[6:7], v[6:7], 0
	s_delay_alu instid0(VALU_DEP_2) | instskip(NEXT) | instid1(VALU_DEP_2)
	v_add_f64 v[1:2], v[8:9], v[1:2]
	v_add_f64 v[3:4], v[6:7], v[3:4]
	s_waitcnt vmcnt(0)
	s_delay_alu instid0(VALU_DEP_2) | instskip(NEXT) | instid1(VALU_DEP_2)
	v_add_f64 v[1:2], v[38:39], -v[1:2]
	v_add_f64 v[3:4], v[40:41], -v[3:4]
	scratch_store_b128 off, v[1:4], off offset:64
	v_cmpx_lt_u32_e32 3, v27
	s_cbranch_execz .LBB6_49
; %bb.48:
	scratch_load_b128 v[1:4], v28, off
	v_mov_b32_e32 v6, 0
	s_delay_alu instid0(VALU_DEP_1)
	v_mov_b32_e32 v7, v6
	v_mov_b32_e32 v8, v6
	;; [unrolled: 1-line block ×3, first 2 shown]
	scratch_store_b128 off, v[6:9], off offset:48
	s_waitcnt vmcnt(0)
	ds_store_b128 v5, v[1:4]
.LBB6_49:
	s_or_b32 exec_lo, exec_lo, s2
	s_waitcnt lgkmcnt(0)
	s_waitcnt_vscnt null, 0x0
	s_barrier
	buffer_gl0_inv
	s_clause 0x3
	scratch_load_b128 v[6:9], off, off offset:64
	scratch_load_b128 v[34:37], off, off offset:80
	;; [unrolled: 1-line block ×4, first 2 shown]
	v_mov_b32_e32 v1, 0
	ds_load_b128 v[46:49], v1 offset:176
	ds_load_b128 v[50:53], v1 offset:192
	s_mov_b32 s2, exec_lo
	s_waitcnt vmcnt(3) lgkmcnt(1)
	v_mul_f64 v[2:3], v[48:49], v[8:9]
	v_mul_f64 v[8:9], v[46:47], v[8:9]
	s_waitcnt vmcnt(2) lgkmcnt(0)
	v_mul_f64 v[10:11], v[50:51], v[36:37]
	v_mul_f64 v[36:37], v[52:53], v[36:37]
	s_delay_alu instid0(VALU_DEP_4) | instskip(NEXT) | instid1(VALU_DEP_4)
	v_fma_f64 v[2:3], v[46:47], v[6:7], -v[2:3]
	v_fma_f64 v[46:47], v[48:49], v[6:7], v[8:9]
	ds_load_b128 v[6:9], v1 offset:208
	v_fma_f64 v[10:11], v[52:53], v[34:35], v[10:11]
	v_fma_f64 v[34:35], v[50:51], v[34:35], -v[36:37]
	s_waitcnt vmcnt(1) lgkmcnt(0)
	v_mul_f64 v[48:49], v[6:7], v[40:41]
	v_mul_f64 v[40:41], v[8:9], v[40:41]
	v_add_f64 v[2:3], v[2:3], 0
	v_add_f64 v[36:37], v[46:47], 0
	s_delay_alu instid0(VALU_DEP_4) | instskip(NEXT) | instid1(VALU_DEP_4)
	v_fma_f64 v[8:9], v[8:9], v[38:39], v[48:49]
	v_fma_f64 v[6:7], v[6:7], v[38:39], -v[40:41]
	s_delay_alu instid0(VALU_DEP_4) | instskip(NEXT) | instid1(VALU_DEP_4)
	v_add_f64 v[2:3], v[2:3], v[34:35]
	v_add_f64 v[10:11], v[36:37], v[10:11]
	s_delay_alu instid0(VALU_DEP_2) | instskip(NEXT) | instid1(VALU_DEP_2)
	v_add_f64 v[2:3], v[2:3], v[6:7]
	v_add_f64 v[8:9], v[10:11], v[8:9]
	s_waitcnt vmcnt(0)
	s_delay_alu instid0(VALU_DEP_2) | instskip(NEXT) | instid1(VALU_DEP_2)
	v_add_f64 v[6:7], v[42:43], -v[2:3]
	v_add_f64 v[8:9], v[44:45], -v[8:9]
	scratch_store_b128 off, v[6:9], off offset:48
	v_cmpx_lt_u32_e32 2, v27
	s_cbranch_execz .LBB6_51
; %bb.50:
	scratch_load_b128 v[6:9], v32, off
	v_mov_b32_e32 v2, v1
	v_mov_b32_e32 v3, v1
	;; [unrolled: 1-line block ×3, first 2 shown]
	scratch_store_b128 off, v[1:4], off offset:32
	s_waitcnt vmcnt(0)
	ds_store_b128 v5, v[6:9]
.LBB6_51:
	s_or_b32 exec_lo, exec_lo, s2
	s_waitcnt lgkmcnt(0)
	s_waitcnt_vscnt null, 0x0
	s_barrier
	buffer_gl0_inv
	s_clause 0x4
	scratch_load_b128 v[6:9], off, off offset:48
	scratch_load_b128 v[34:37], off, off offset:64
	;; [unrolled: 1-line block ×5, first 2 shown]
	ds_load_b128 v[50:53], v1 offset:160
	ds_load_b128 v[54:57], v1 offset:176
	s_mov_b32 s2, exec_lo
	s_waitcnt vmcnt(4) lgkmcnt(1)
	v_mul_f64 v[2:3], v[52:53], v[8:9]
	v_mul_f64 v[8:9], v[50:51], v[8:9]
	s_waitcnt vmcnt(3) lgkmcnt(0)
	v_mul_f64 v[10:11], v[54:55], v[36:37]
	v_mul_f64 v[36:37], v[56:57], v[36:37]
	s_delay_alu instid0(VALU_DEP_4) | instskip(NEXT) | instid1(VALU_DEP_4)
	v_fma_f64 v[50:51], v[50:51], v[6:7], -v[2:3]
	v_fma_f64 v[52:53], v[52:53], v[6:7], v[8:9]
	ds_load_b128 v[6:9], v1 offset:192
	ds_load_b128 v[1:4], v1 offset:208
	v_fma_f64 v[10:11], v[56:57], v[34:35], v[10:11]
	v_fma_f64 v[34:35], v[54:55], v[34:35], -v[36:37]
	s_waitcnt vmcnt(2) lgkmcnt(1)
	v_mul_f64 v[58:59], v[6:7], v[40:41]
	v_mul_f64 v[40:41], v[8:9], v[40:41]
	v_add_f64 v[36:37], v[50:51], 0
	v_add_f64 v[50:51], v[52:53], 0
	s_waitcnt vmcnt(1) lgkmcnt(0)
	v_mul_f64 v[52:53], v[1:2], v[44:45]
	v_mul_f64 v[44:45], v[3:4], v[44:45]
	v_fma_f64 v[8:9], v[8:9], v[38:39], v[58:59]
	v_fma_f64 v[6:7], v[6:7], v[38:39], -v[40:41]
	v_add_f64 v[34:35], v[36:37], v[34:35]
	v_add_f64 v[10:11], v[50:51], v[10:11]
	v_fma_f64 v[3:4], v[3:4], v[42:43], v[52:53]
	v_fma_f64 v[1:2], v[1:2], v[42:43], -v[44:45]
	s_delay_alu instid0(VALU_DEP_4) | instskip(NEXT) | instid1(VALU_DEP_4)
	v_add_f64 v[6:7], v[34:35], v[6:7]
	v_add_f64 v[8:9], v[10:11], v[8:9]
	s_delay_alu instid0(VALU_DEP_2) | instskip(NEXT) | instid1(VALU_DEP_2)
	v_add_f64 v[1:2], v[6:7], v[1:2]
	v_add_f64 v[3:4], v[8:9], v[3:4]
	s_waitcnt vmcnt(0)
	s_delay_alu instid0(VALU_DEP_2) | instskip(NEXT) | instid1(VALU_DEP_2)
	v_add_f64 v[1:2], v[46:47], -v[1:2]
	v_add_f64 v[3:4], v[48:49], -v[3:4]
	scratch_store_b128 off, v[1:4], off offset:32
	v_cmpx_lt_u32_e32 1, v27
	s_cbranch_execz .LBB6_53
; %bb.52:
	scratch_load_b128 v[1:4], v29, off
	v_mov_b32_e32 v6, 0
	s_delay_alu instid0(VALU_DEP_1)
	v_mov_b32_e32 v7, v6
	v_mov_b32_e32 v8, v6
	;; [unrolled: 1-line block ×3, first 2 shown]
	scratch_store_b128 off, v[6:9], off offset:16
	s_waitcnt vmcnt(0)
	ds_store_b128 v5, v[1:4]
.LBB6_53:
	s_or_b32 exec_lo, exec_lo, s2
	s_waitcnt lgkmcnt(0)
	s_waitcnt_vscnt null, 0x0
	s_barrier
	buffer_gl0_inv
	s_clause 0x5
	scratch_load_b128 v[6:9], off, off offset:32
	scratch_load_b128 v[34:37], off, off offset:48
	;; [unrolled: 1-line block ×6, first 2 shown]
	v_mov_b32_e32 v1, 0
	ds_load_b128 v[54:57], v1 offset:144
	ds_load_b128 v[58:61], v1 offset:160
	s_mov_b32 s2, exec_lo
	s_waitcnt vmcnt(5) lgkmcnt(1)
	v_mul_f64 v[2:3], v[56:57], v[8:9]
	v_mul_f64 v[8:9], v[54:55], v[8:9]
	s_waitcnt vmcnt(4) lgkmcnt(0)
	v_mul_f64 v[10:11], v[58:59], v[36:37]
	v_mul_f64 v[36:37], v[60:61], v[36:37]
	s_delay_alu instid0(VALU_DEP_4) | instskip(NEXT) | instid1(VALU_DEP_4)
	v_fma_f64 v[2:3], v[54:55], v[6:7], -v[2:3]
	v_fma_f64 v[62:63], v[56:57], v[6:7], v[8:9]
	ds_load_b128 v[6:9], v1 offset:176
	ds_load_b128 v[54:57], v1 offset:192
	v_fma_f64 v[10:11], v[60:61], v[34:35], v[10:11]
	v_fma_f64 v[34:35], v[58:59], v[34:35], -v[36:37]
	s_waitcnt vmcnt(3) lgkmcnt(1)
	v_mul_f64 v[64:65], v[6:7], v[40:41]
	v_mul_f64 v[40:41], v[8:9], v[40:41]
	s_waitcnt vmcnt(2) lgkmcnt(0)
	v_mul_f64 v[58:59], v[54:55], v[44:45]
	v_mul_f64 v[44:45], v[56:57], v[44:45]
	v_add_f64 v[2:3], v[2:3], 0
	v_add_f64 v[36:37], v[62:63], 0
	v_fma_f64 v[60:61], v[8:9], v[38:39], v[64:65]
	v_fma_f64 v[38:39], v[6:7], v[38:39], -v[40:41]
	ds_load_b128 v[6:9], v1 offset:208
	v_fma_f64 v[40:41], v[56:57], v[42:43], v[58:59]
	v_fma_f64 v[42:43], v[54:55], v[42:43], -v[44:45]
	v_add_f64 v[2:3], v[2:3], v[34:35]
	v_add_f64 v[10:11], v[36:37], v[10:11]
	s_waitcnt vmcnt(1) lgkmcnt(0)
	v_mul_f64 v[34:35], v[6:7], v[48:49]
	v_mul_f64 v[36:37], v[8:9], v[48:49]
	s_delay_alu instid0(VALU_DEP_4) | instskip(NEXT) | instid1(VALU_DEP_4)
	v_add_f64 v[2:3], v[2:3], v[38:39]
	v_add_f64 v[10:11], v[10:11], v[60:61]
	s_delay_alu instid0(VALU_DEP_4) | instskip(NEXT) | instid1(VALU_DEP_4)
	v_fma_f64 v[8:9], v[8:9], v[46:47], v[34:35]
	v_fma_f64 v[6:7], v[6:7], v[46:47], -v[36:37]
	s_delay_alu instid0(VALU_DEP_4) | instskip(NEXT) | instid1(VALU_DEP_4)
	v_add_f64 v[2:3], v[2:3], v[42:43]
	v_add_f64 v[10:11], v[10:11], v[40:41]
	s_delay_alu instid0(VALU_DEP_2) | instskip(NEXT) | instid1(VALU_DEP_2)
	v_add_f64 v[2:3], v[2:3], v[6:7]
	v_add_f64 v[8:9], v[10:11], v[8:9]
	s_waitcnt vmcnt(0)
	s_delay_alu instid0(VALU_DEP_2) | instskip(NEXT) | instid1(VALU_DEP_2)
	v_add_f64 v[6:7], v[50:51], -v[2:3]
	v_add_f64 v[8:9], v[52:53], -v[8:9]
	scratch_store_b128 off, v[6:9], off offset:16
	v_cmpx_ne_u32_e32 0, v27
	s_cbranch_execz .LBB6_55
; %bb.54:
	scratch_load_b128 v[6:9], off, off
	v_mov_b32_e32 v2, v1
	v_mov_b32_e32 v3, v1
	;; [unrolled: 1-line block ×3, first 2 shown]
	scratch_store_b128 off, v[1:4], off
	s_waitcnt vmcnt(0)
	ds_store_b128 v5, v[6:9]
.LBB6_55:
	s_or_b32 exec_lo, exec_lo, s2
	s_waitcnt lgkmcnt(0)
	s_waitcnt_vscnt null, 0x0
	s_barrier
	buffer_gl0_inv
	s_clause 0x5
	scratch_load_b128 v[2:5], off, off offset:16
	scratch_load_b128 v[6:9], off, off offset:32
	;; [unrolled: 1-line block ×6, first 2 shown]
	ds_load_b128 v[50:53], v1 offset:128
	ds_load_b128 v[58:61], v1 offset:144
	scratch_load_b128 v[54:57], off, off
	s_and_b32 vcc_lo, exec_lo, s20
	s_waitcnt vmcnt(6) lgkmcnt(1)
	v_mul_f64 v[10:11], v[52:53], v[4:5]
	v_mul_f64 v[4:5], v[50:51], v[4:5]
	s_waitcnt vmcnt(5) lgkmcnt(0)
	v_mul_f64 v[62:63], v[58:59], v[8:9]
	v_mul_f64 v[64:65], v[60:61], v[8:9]
	s_delay_alu instid0(VALU_DEP_4) | instskip(NEXT) | instid1(VALU_DEP_4)
	v_fma_f64 v[50:51], v[50:51], v[2:3], -v[10:11]
	v_fma_f64 v[52:53], v[52:53], v[2:3], v[4:5]
	ds_load_b128 v[2:5], v1 offset:160
	ds_load_b128 v[8:11], v1 offset:176
	v_fma_f64 v[60:61], v[60:61], v[6:7], v[62:63]
	v_fma_f64 v[6:7], v[58:59], v[6:7], -v[64:65]
	s_waitcnt vmcnt(4) lgkmcnt(1)
	v_mul_f64 v[66:67], v[2:3], v[36:37]
	v_mul_f64 v[36:37], v[4:5], v[36:37]
	s_waitcnt vmcnt(3) lgkmcnt(0)
	v_mul_f64 v[58:59], v[8:9], v[40:41]
	v_mul_f64 v[40:41], v[10:11], v[40:41]
	v_add_f64 v[50:51], v[50:51], 0
	v_add_f64 v[52:53], v[52:53], 0
	v_fma_f64 v[62:63], v[4:5], v[34:35], v[66:67]
	v_fma_f64 v[64:65], v[2:3], v[34:35], -v[36:37]
	ds_load_b128 v[2:5], v1 offset:192
	ds_load_b128 v[34:37], v1 offset:208
	v_fma_f64 v[10:11], v[10:11], v[38:39], v[58:59]
	v_fma_f64 v[8:9], v[8:9], v[38:39], -v[40:41]
	v_add_f64 v[6:7], v[50:51], v[6:7]
	v_add_f64 v[50:51], v[52:53], v[60:61]
	s_waitcnt vmcnt(2) lgkmcnt(1)
	v_mul_f64 v[52:53], v[2:3], v[44:45]
	v_mul_f64 v[44:45], v[4:5], v[44:45]
	s_waitcnt vmcnt(1) lgkmcnt(0)
	v_mul_f64 v[40:41], v[34:35], v[48:49]
	v_mul_f64 v[48:49], v[36:37], v[48:49]
	v_add_f64 v[6:7], v[6:7], v[64:65]
	v_add_f64 v[38:39], v[50:51], v[62:63]
	v_fma_f64 v[4:5], v[4:5], v[42:43], v[52:53]
	v_fma_f64 v[1:2], v[2:3], v[42:43], -v[44:45]
	v_fma_f64 v[34:35], v[34:35], v[46:47], -v[48:49]
	v_add_f64 v[6:7], v[6:7], v[8:9]
	v_add_f64 v[8:9], v[38:39], v[10:11]
	v_fma_f64 v[10:11], v[36:37], v[46:47], v[40:41]
	s_delay_alu instid0(VALU_DEP_3) | instskip(NEXT) | instid1(VALU_DEP_3)
	v_add_f64 v[1:2], v[6:7], v[1:2]
	v_add_f64 v[3:4], v[8:9], v[4:5]
	s_delay_alu instid0(VALU_DEP_2) | instskip(NEXT) | instid1(VALU_DEP_2)
	v_add_f64 v[1:2], v[1:2], v[34:35]
	v_add_f64 v[3:4], v[3:4], v[10:11]
	s_waitcnt vmcnt(0)
	s_delay_alu instid0(VALU_DEP_2) | instskip(NEXT) | instid1(VALU_DEP_2)
	v_add_f64 v[1:2], v[54:55], -v[1:2]
	v_add_f64 v[3:4], v[56:57], -v[3:4]
	scratch_store_b128 off, v[1:4], off
	s_cbranch_vccz .LBB6_69
; %bb.56:
	v_dual_mov_b32 v1, s16 :: v_dual_mov_b32 v2, s17
	s_load_b64 s[0:1], s[0:1], 0x4
	flat_load_b32 v1, v[1:2] offset:20
	v_bfe_u32 v2, v0, 10, 10
	v_bfe_u32 v0, v0, 20, 10
	s_waitcnt lgkmcnt(0)
	s_lshr_b32 s0, s0, 16
	s_delay_alu instid0(VALU_DEP_2) | instskip(SKIP_1) | instid1(SALU_CYCLE_1)
	v_mul_u32_u24_e32 v2, s1, v2
	s_mul_i32 s0, s0, s1
	v_mul_u32_u24_e32 v3, s0, v27
	s_mov_b32 s0, exec_lo
	s_delay_alu instid0(VALU_DEP_1) | instskip(NEXT) | instid1(VALU_DEP_1)
	v_add3_u32 v0, v3, v2, v0
	v_lshl_add_u32 v0, v0, 4, 0xe8
	s_waitcnt vmcnt(0)
	v_cmpx_ne_u32_e32 6, v1
	s_cbranch_execz .LBB6_58
; %bb.57:
	v_lshl_add_u32 v9, v1, 4, 0
	s_clause 0x1
	scratch_load_b128 v[1:4], v33, off
	scratch_load_b128 v[5:8], v9, off offset:-16
	s_waitcnt vmcnt(1)
	ds_store_2addr_b64 v0, v[1:2], v[3:4] offset1:1
	s_waitcnt vmcnt(0)
	s_clause 0x1
	scratch_store_b128 v33, v[5:8], off
	scratch_store_b128 v9, v[1:4], off offset:-16
.LBB6_58:
	s_or_b32 exec_lo, exec_lo, s0
	v_dual_mov_b32 v1, s16 :: v_dual_mov_b32 v2, s17
	s_mov_b32 s0, exec_lo
	flat_load_b32 v1, v[1:2] offset:16
	s_waitcnt vmcnt(0) lgkmcnt(0)
	v_cmpx_ne_u32_e32 5, v1
	s_cbranch_execz .LBB6_60
; %bb.59:
	v_lshl_add_u32 v9, v1, 4, 0
	s_clause 0x1
	scratch_load_b128 v[1:4], v31, off
	scratch_load_b128 v[5:8], v9, off offset:-16
	s_waitcnt vmcnt(1)
	ds_store_2addr_b64 v0, v[1:2], v[3:4] offset1:1
	s_waitcnt vmcnt(0)
	s_clause 0x1
	scratch_store_b128 v31, v[5:8], off
	scratch_store_b128 v9, v[1:4], off offset:-16
.LBB6_60:
	s_or_b32 exec_lo, exec_lo, s0
	v_dual_mov_b32 v1, s16 :: v_dual_mov_b32 v2, s17
	s_mov_b32 s0, exec_lo
	flat_load_b32 v1, v[1:2] offset:12
	s_waitcnt vmcnt(0) lgkmcnt(0)
	v_cmpx_ne_u32_e32 4, v1
	s_cbranch_execz .LBB6_62
; %bb.61:
	v_lshl_add_u32 v9, v1, 4, 0
	s_clause 0x1
	scratch_load_b128 v[1:4], v28, off
	scratch_load_b128 v[5:8], v9, off offset:-16
	s_waitcnt vmcnt(1)
	ds_store_2addr_b64 v0, v[1:2], v[3:4] offset1:1
	s_waitcnt vmcnt(0)
	s_clause 0x1
	scratch_store_b128 v28, v[5:8], off
	scratch_store_b128 v9, v[1:4], off offset:-16
.LBB6_62:
	s_or_b32 exec_lo, exec_lo, s0
	v_dual_mov_b32 v1, s16 :: v_dual_mov_b32 v2, s17
	s_mov_b32 s0, exec_lo
	flat_load_b32 v1, v[1:2] offset:8
	s_waitcnt vmcnt(0) lgkmcnt(0)
	v_cmpx_ne_u32_e32 3, v1
	s_cbranch_execz .LBB6_64
; %bb.63:
	v_lshl_add_u32 v9, v1, 4, 0
	s_clause 0x1
	scratch_load_b128 v[1:4], v32, off
	scratch_load_b128 v[5:8], v9, off offset:-16
	s_waitcnt vmcnt(1)
	ds_store_2addr_b64 v0, v[1:2], v[3:4] offset1:1
	s_waitcnt vmcnt(0)
	s_clause 0x1
	scratch_store_b128 v32, v[5:8], off
	scratch_store_b128 v9, v[1:4], off offset:-16
.LBB6_64:
	s_or_b32 exec_lo, exec_lo, s0
	v_dual_mov_b32 v1, s16 :: v_dual_mov_b32 v2, s17
	s_mov_b32 s0, exec_lo
	flat_load_b32 v1, v[1:2] offset:4
	s_waitcnt vmcnt(0) lgkmcnt(0)
	v_cmpx_ne_u32_e32 2, v1
	s_cbranch_execz .LBB6_66
; %bb.65:
	v_lshl_add_u32 v9, v1, 4, 0
	s_clause 0x1
	scratch_load_b128 v[1:4], v29, off
	scratch_load_b128 v[5:8], v9, off offset:-16
	s_waitcnt vmcnt(1)
	ds_store_2addr_b64 v0, v[1:2], v[3:4] offset1:1
	s_waitcnt vmcnt(0)
	s_clause 0x1
	scratch_store_b128 v29, v[5:8], off
	scratch_store_b128 v9, v[1:4], off offset:-16
.LBB6_66:
	s_or_b32 exec_lo, exec_lo, s0
	v_dual_mov_b32 v1, s16 :: v_dual_mov_b32 v2, s17
	s_mov_b32 s0, exec_lo
	flat_load_b32 v1, v[1:2]
	s_waitcnt vmcnt(0) lgkmcnt(0)
	v_cmpx_ne_u32_e32 1, v1
	s_cbranch_execz .LBB6_68
; %bb.67:
	v_lshl_add_u32 v9, v1, 4, 0
	scratch_load_b128 v[1:4], off, off
	scratch_load_b128 v[5:8], v9, off offset:-16
	s_waitcnt vmcnt(1)
	ds_store_2addr_b64 v0, v[1:2], v[3:4] offset1:1
	s_waitcnt vmcnt(0)
	scratch_store_b128 off, v[5:8], off
	scratch_store_b128 v9, v[1:4], off offset:-16
.LBB6_68:
	s_or_b32 exec_lo, exec_lo, s0
.LBB6_69:
	scratch_load_b128 v[0:3], off, off
	s_clause 0x5
	scratch_load_b128 v[4:7], v29, off
	scratch_load_b128 v[8:11], v32, off
	;; [unrolled: 1-line block ×6, first 2 shown]
	s_waitcnt vmcnt(6)
	global_store_b128 v[13:14], v[0:3], off
	s_waitcnt vmcnt(5)
	global_store_b128 v[15:16], v[4:7], off
	;; [unrolled: 2-line block ×7, first 2 shown]
	s_endpgm
	.section	.rodata,"a",@progbits
	.p2align	6, 0x0
	.amdhsa_kernel _ZN9rocsolver6v33100L18getri_kernel_smallILi7E19rocblas_complex_numIdEPS3_EEvT1_iilPiilS6_bb
		.amdhsa_group_segment_fixed_size 1256
		.amdhsa_private_segment_fixed_size 128
		.amdhsa_kernarg_size 60
		.amdhsa_user_sgpr_count 15
		.amdhsa_user_sgpr_dispatch_ptr 1
		.amdhsa_user_sgpr_queue_ptr 0
		.amdhsa_user_sgpr_kernarg_segment_ptr 1
		.amdhsa_user_sgpr_dispatch_id 0
		.amdhsa_user_sgpr_private_segment_size 0
		.amdhsa_wavefront_size32 1
		.amdhsa_uses_dynamic_stack 0
		.amdhsa_enable_private_segment 1
		.amdhsa_system_sgpr_workgroup_id_x 1
		.amdhsa_system_sgpr_workgroup_id_y 0
		.amdhsa_system_sgpr_workgroup_id_z 0
		.amdhsa_system_sgpr_workgroup_info 0
		.amdhsa_system_vgpr_workitem_id 2
		.amdhsa_next_free_vgpr 68
		.amdhsa_next_free_sgpr 22
		.amdhsa_reserve_vcc 1
		.amdhsa_float_round_mode_32 0
		.amdhsa_float_round_mode_16_64 0
		.amdhsa_float_denorm_mode_32 3
		.amdhsa_float_denorm_mode_16_64 3
		.amdhsa_dx10_clamp 1
		.amdhsa_ieee_mode 1
		.amdhsa_fp16_overflow 0
		.amdhsa_workgroup_processor_mode 1
		.amdhsa_memory_ordered 1
		.amdhsa_forward_progress 0
		.amdhsa_shared_vgpr_count 0
		.amdhsa_exception_fp_ieee_invalid_op 0
		.amdhsa_exception_fp_denorm_src 0
		.amdhsa_exception_fp_ieee_div_zero 0
		.amdhsa_exception_fp_ieee_overflow 0
		.amdhsa_exception_fp_ieee_underflow 0
		.amdhsa_exception_fp_ieee_inexact 0
		.amdhsa_exception_int_div_zero 0
	.end_amdhsa_kernel
	.section	.text._ZN9rocsolver6v33100L18getri_kernel_smallILi7E19rocblas_complex_numIdEPS3_EEvT1_iilPiilS6_bb,"axG",@progbits,_ZN9rocsolver6v33100L18getri_kernel_smallILi7E19rocblas_complex_numIdEPS3_EEvT1_iilPiilS6_bb,comdat
.Lfunc_end6:
	.size	_ZN9rocsolver6v33100L18getri_kernel_smallILi7E19rocblas_complex_numIdEPS3_EEvT1_iilPiilS6_bb, .Lfunc_end6-_ZN9rocsolver6v33100L18getri_kernel_smallILi7E19rocblas_complex_numIdEPS3_EEvT1_iilPiilS6_bb
                                        ; -- End function
	.section	.AMDGPU.csdata,"",@progbits
; Kernel info:
; codeLenInByte = 6328
; NumSgprs: 24
; NumVgprs: 68
; ScratchSize: 128
; MemoryBound: 0
; FloatMode: 240
; IeeeMode: 1
; LDSByteSize: 1256 bytes/workgroup (compile time only)
; SGPRBlocks: 2
; VGPRBlocks: 8
; NumSGPRsForWavesPerEU: 24
; NumVGPRsForWavesPerEU: 68
; Occupancy: 16
; WaveLimiterHint : 1
; COMPUTE_PGM_RSRC2:SCRATCH_EN: 1
; COMPUTE_PGM_RSRC2:USER_SGPR: 15
; COMPUTE_PGM_RSRC2:TRAP_HANDLER: 0
; COMPUTE_PGM_RSRC2:TGID_X_EN: 1
; COMPUTE_PGM_RSRC2:TGID_Y_EN: 0
; COMPUTE_PGM_RSRC2:TGID_Z_EN: 0
; COMPUTE_PGM_RSRC2:TIDIG_COMP_CNT: 2
	.section	.text._ZN9rocsolver6v33100L18getri_kernel_smallILi8E19rocblas_complex_numIdEPS3_EEvT1_iilPiilS6_bb,"axG",@progbits,_ZN9rocsolver6v33100L18getri_kernel_smallILi8E19rocblas_complex_numIdEPS3_EEvT1_iilPiilS6_bb,comdat
	.globl	_ZN9rocsolver6v33100L18getri_kernel_smallILi8E19rocblas_complex_numIdEPS3_EEvT1_iilPiilS6_bb ; -- Begin function _ZN9rocsolver6v33100L18getri_kernel_smallILi8E19rocblas_complex_numIdEPS3_EEvT1_iilPiilS6_bb
	.p2align	8
	.type	_ZN9rocsolver6v33100L18getri_kernel_smallILi8E19rocblas_complex_numIdEPS3_EEvT1_iilPiilS6_bb,@function
_ZN9rocsolver6v33100L18getri_kernel_smallILi8E19rocblas_complex_numIdEPS3_EEvT1_iilPiilS6_bb: ; @_ZN9rocsolver6v33100L18getri_kernel_smallILi8E19rocblas_complex_numIdEPS3_EEvT1_iilPiilS6_bb
; %bb.0:
	v_and_b32_e32 v29, 0x3ff, v0
	s_mov_b32 s4, exec_lo
	s_delay_alu instid0(VALU_DEP_1)
	v_cmpx_gt_u32_e32 8, v29
	s_cbranch_execz .LBB7_46
; %bb.1:
	s_mov_b32 s18, s15
	s_clause 0x2
	s_load_b32 s21, s[2:3], 0x38
	s_load_b128 s[12:15], s[2:3], 0x10
	s_load_b128 s[4:7], s[2:3], 0x28
                                        ; implicit-def: $sgpr16_sgpr17
	s_waitcnt lgkmcnt(0)
	s_bitcmp1_b32 s21, 8
	s_cselect_b32 s20, -1, 0
	s_bfe_u32 s8, s21, 0x10008
	s_ashr_i32 s19, s18, 31
	s_cmp_eq_u32 s8, 0
	s_cbranch_scc1 .LBB7_3
; %bb.2:
	s_load_b32 s8, s[2:3], 0x20
	s_mul_i32 s5, s18, s5
	s_mul_hi_u32 s9, s18, s4
	s_mul_i32 s10, s19, s4
	s_add_i32 s5, s9, s5
	s_mul_i32 s4, s18, s4
	s_add_i32 s5, s5, s10
	s_delay_alu instid0(SALU_CYCLE_1)
	s_lshl_b64 s[4:5], s[4:5], 2
	s_waitcnt lgkmcnt(0)
	s_ashr_i32 s9, s8, 31
	s_add_u32 s10, s14, s4
	s_addc_u32 s11, s15, s5
	s_lshl_b64 s[4:5], s[8:9], 2
	s_delay_alu instid0(SALU_CYCLE_1)
	s_add_u32 s16, s10, s4
	s_addc_u32 s17, s11, s5
.LBB7_3:
	s_load_b128 s[8:11], s[2:3], 0x0
	s_mul_i32 s2, s18, s13
	s_mul_hi_u32 s3, s18, s12
	s_mul_i32 s4, s19, s12
	s_add_i32 s3, s3, s2
	s_mul_i32 s2, s18, s12
	s_add_i32 s3, s3, s4
	v_lshlrev_b32_e32 v37, 4, v29
	s_lshl_b64 s[2:3], s[2:3], 4
	v_add_nc_u32_e64 v33, 0, 32
	v_add_nc_u32_e64 v34, 0, 64
	s_waitcnt lgkmcnt(0)
	v_add3_u32 v5, s11, s11, v29
	s_ashr_i32 s5, s10, 31
	s_mov_b32 s4, s10
	s_add_u32 s8, s8, s2
	s_addc_u32 s9, s9, s3
	v_add_nc_u32_e32 v7, s11, v5
	s_lshl_b64 s[2:3], s[4:5], 4
	v_ashrrev_i32_e32 v6, 31, v5
	s_add_u32 s2, s8, s2
	s_addc_u32 s3, s9, s3
	v_add_nc_u32_e32 v19, s11, v7
	v_add_co_u32 v13, s8, s2, v37
	v_ashrrev_i32_e32 v8, 31, v7
	s_mov_b32 s4, s11
	s_ashr_i32 s5, s11, 31
	v_add_co_ci_u32_e64 v14, null, s3, 0, s8
	v_lshlrev_b64 v[5:6], 4, v[5:6]
	s_lshl_b64 s[4:5], s[4:5], 4
	v_ashrrev_i32_e32 v20, 31, v19
	v_add_nc_u32_e32 v21, s11, v19
	v_add_co_u32 v15, vcc_lo, v13, s4
	v_lshlrev_b64 v[23:24], 4, v[7:8]
	v_add_co_ci_u32_e32 v16, vcc_lo, s5, v14, vcc_lo
	v_add_co_u32 v17, vcc_lo, s2, v5
	v_lshlrev_b64 v[25:26], 4, v[19:20]
	v_ashrrev_i32_e32 v22, 31, v21
	v_add_nc_u32_e32 v27, s11, v21
	v_add_co_ci_u32_e32 v18, vcc_lo, s3, v6, vcc_lo
	v_add_co_u32 v19, vcc_lo, s2, v23
	v_add_co_ci_u32_e32 v20, vcc_lo, s3, v24, vcc_lo
	v_lshlrev_b64 v[23:24], 4, v[21:22]
	v_add_co_u32 v21, vcc_lo, s2, v25
	v_add_nc_u32_e32 v25, s11, v27
	v_ashrrev_i32_e32 v28, 31, v27
	v_add_co_ci_u32_e32 v22, vcc_lo, s3, v26, vcc_lo
	v_add_co_u32 v23, vcc_lo, s2, v23
	s_delay_alu instid0(VALU_DEP_4) | instskip(NEXT) | instid1(VALU_DEP_4)
	v_ashrrev_i32_e32 v26, 31, v25
	v_lshlrev_b64 v[27:28], 4, v[27:28]
	v_add_co_ci_u32_e32 v24, vcc_lo, s3, v24, vcc_lo
	global_load_b128 v[1:4], v37, s[2:3]
	v_lshlrev_b64 v[30:31], 4, v[25:26]
	s_clause 0x1
	global_load_b128 v[5:8], v[15:16], off
	global_load_b128 v[9:12], v[17:18], off
	v_add_co_u32 v25, vcc_lo, s2, v27
	v_add_co_ci_u32_e32 v26, vcc_lo, s3, v28, vcc_lo
	v_add_co_u32 v27, vcc_lo, s2, v30
	v_add_co_ci_u32_e32 v28, vcc_lo, s3, v31, vcc_lo
	s_clause 0x4
	global_load_b128 v[38:41], v[19:20], off
	global_load_b128 v[42:45], v[21:22], off
	;; [unrolled: 1-line block ×5, first 2 shown]
	s_movk_i32 s2, 0x50
	s_movk_i32 s3, 0x70
	v_add_nc_u32_e64 v32, s2, 0
	s_movk_i32 s2, 0x60
	v_add_nc_u32_e64 v31, 0, 16
	v_add_nc_u32_e64 v30, 0, 48
	;; [unrolled: 1-line block ×4, first 2 shown]
	s_mov_b32 s3, -1
	s_bitcmp0_b32 s21, 0
	s_waitcnt vmcnt(7)
	scratch_store_b128 off, v[1:4], off
	s_waitcnt vmcnt(6)
	scratch_store_b128 off, v[5:8], off offset:16
	s_waitcnt vmcnt(5)
	scratch_store_b128 off, v[9:12], off offset:32
	;; [unrolled: 2-line block ×7, first 2 shown]
	s_cbranch_scc1 .LBB7_44
; %bb.4:
	v_cmp_eq_u32_e64 s2, 0, v29
	s_delay_alu instid0(VALU_DEP_1)
	s_and_saveexec_b32 s3, s2
	s_cbranch_execz .LBB7_6
; %bb.5:
	v_mov_b32_e32 v1, 0
	ds_store_b32 v1, v1 offset:256
.LBB7_6:
	s_or_b32 exec_lo, exec_lo, s3
	s_waitcnt lgkmcnt(0)
	s_waitcnt_vscnt null, 0x0
	s_barrier
	buffer_gl0_inv
	scratch_load_b128 v[1:4], v37, off
	s_waitcnt vmcnt(0)
	v_cmp_eq_f64_e32 vcc_lo, 0, v[1:2]
	v_cmp_eq_f64_e64 s3, 0, v[3:4]
	s_delay_alu instid0(VALU_DEP_1) | instskip(NEXT) | instid1(SALU_CYCLE_1)
	s_and_b32 s3, vcc_lo, s3
	s_and_saveexec_b32 s4, s3
	s_cbranch_execz .LBB7_10
; %bb.7:
	v_mov_b32_e32 v1, 0
	s_mov_b32 s5, 0
	ds_load_b32 v2, v1 offset:256
	s_waitcnt lgkmcnt(0)
	v_readfirstlane_b32 s3, v2
	v_add_nc_u32_e32 v2, 1, v29
	s_delay_alu instid0(VALU_DEP_2) | instskip(NEXT) | instid1(VALU_DEP_1)
	s_cmp_eq_u32 s3, 0
	v_cmp_gt_i32_e32 vcc_lo, s3, v2
	s_cselect_b32 s8, -1, 0
	s_delay_alu instid0(SALU_CYCLE_1) | instskip(NEXT) | instid1(SALU_CYCLE_1)
	s_or_b32 s8, s8, vcc_lo
	s_and_b32 exec_lo, exec_lo, s8
	s_cbranch_execz .LBB7_10
; %bb.8:
	v_mov_b32_e32 v3, s3
.LBB7_9:                                ; =>This Inner Loop Header: Depth=1
	ds_cmpstore_rtn_b32 v3, v1, v2, v3 offset:256
	s_waitcnt lgkmcnt(0)
	v_cmp_ne_u32_e32 vcc_lo, 0, v3
	v_cmp_le_i32_e64 s3, v3, v2
	s_delay_alu instid0(VALU_DEP_1) | instskip(NEXT) | instid1(SALU_CYCLE_1)
	s_and_b32 s3, vcc_lo, s3
	s_and_b32 s3, exec_lo, s3
	s_delay_alu instid0(SALU_CYCLE_1) | instskip(NEXT) | instid1(SALU_CYCLE_1)
	s_or_b32 s5, s3, s5
	s_and_not1_b32 exec_lo, exec_lo, s5
	s_cbranch_execnz .LBB7_9
.LBB7_10:
	s_or_b32 exec_lo, exec_lo, s4
	v_mov_b32_e32 v1, 0
	s_barrier
	buffer_gl0_inv
	ds_load_b32 v2, v1 offset:256
	s_and_saveexec_b32 s3, s2
	s_cbranch_execz .LBB7_12
; %bb.11:
	s_lshl_b64 s[4:5], s[18:19], 2
	s_delay_alu instid0(SALU_CYCLE_1)
	s_add_u32 s4, s6, s4
	s_addc_u32 s5, s7, s5
	s_waitcnt lgkmcnt(0)
	global_store_b32 v1, v2, s[4:5]
.LBB7_12:
	s_or_b32 exec_lo, exec_lo, s3
	s_waitcnt lgkmcnt(0)
	v_cmp_ne_u32_e32 vcc_lo, 0, v2
	s_mov_b32 s3, 0
	s_cbranch_vccnz .LBB7_44
; %bb.13:
	v_add_nc_u32_e32 v38, 0, v37
                                        ; implicit-def: $vgpr9_vgpr10
	scratch_load_b128 v[1:4], v38, off
	s_waitcnt vmcnt(0)
	v_mov_b32_e32 v5, v1
	v_cmp_gt_f64_e32 vcc_lo, 0, v[1:2]
	v_xor_b32_e32 v6, 0x80000000, v2
	v_xor_b32_e32 v7, 0x80000000, v4
	s_delay_alu instid0(VALU_DEP_2) | instskip(SKIP_1) | instid1(VALU_DEP_3)
	v_cndmask_b32_e32 v6, v2, v6, vcc_lo
	v_cmp_gt_f64_e32 vcc_lo, 0, v[3:4]
	v_dual_cndmask_b32 v8, v4, v7 :: v_dual_mov_b32 v7, v3
	s_delay_alu instid0(VALU_DEP_1) | instskip(SKIP_1) | instid1(SALU_CYCLE_1)
	v_cmp_ngt_f64_e32 vcc_lo, v[5:6], v[7:8]
                                        ; implicit-def: $vgpr5_vgpr6
	s_and_saveexec_b32 s3, vcc_lo
	s_xor_b32 s3, exec_lo, s3
	s_cbranch_execz .LBB7_15
; %bb.14:
	v_div_scale_f64 v[5:6], null, v[3:4], v[3:4], v[1:2]
	v_div_scale_f64 v[11:12], vcc_lo, v[1:2], v[3:4], v[1:2]
	s_delay_alu instid0(VALU_DEP_2) | instskip(SKIP_2) | instid1(VALU_DEP_1)
	v_rcp_f64_e32 v[7:8], v[5:6]
	s_waitcnt_depctr 0xfff
	v_fma_f64 v[9:10], -v[5:6], v[7:8], 1.0
	v_fma_f64 v[7:8], v[7:8], v[9:10], v[7:8]
	s_delay_alu instid0(VALU_DEP_1) | instskip(NEXT) | instid1(VALU_DEP_1)
	v_fma_f64 v[9:10], -v[5:6], v[7:8], 1.0
	v_fma_f64 v[7:8], v[7:8], v[9:10], v[7:8]
	s_delay_alu instid0(VALU_DEP_1) | instskip(NEXT) | instid1(VALU_DEP_1)
	v_mul_f64 v[9:10], v[11:12], v[7:8]
	v_fma_f64 v[5:6], -v[5:6], v[9:10], v[11:12]
	s_delay_alu instid0(VALU_DEP_1) | instskip(NEXT) | instid1(VALU_DEP_1)
	v_div_fmas_f64 v[5:6], v[5:6], v[7:8], v[9:10]
	v_div_fixup_f64 v[5:6], v[5:6], v[3:4], v[1:2]
	s_delay_alu instid0(VALU_DEP_1) | instskip(NEXT) | instid1(VALU_DEP_1)
	v_fma_f64 v[1:2], v[1:2], v[5:6], v[3:4]
	v_div_scale_f64 v[3:4], null, v[1:2], v[1:2], 1.0
	v_div_scale_f64 v[11:12], vcc_lo, 1.0, v[1:2], 1.0
	s_delay_alu instid0(VALU_DEP_2) | instskip(SKIP_2) | instid1(VALU_DEP_1)
	v_rcp_f64_e32 v[7:8], v[3:4]
	s_waitcnt_depctr 0xfff
	v_fma_f64 v[9:10], -v[3:4], v[7:8], 1.0
	v_fma_f64 v[7:8], v[7:8], v[9:10], v[7:8]
	s_delay_alu instid0(VALU_DEP_1) | instskip(NEXT) | instid1(VALU_DEP_1)
	v_fma_f64 v[9:10], -v[3:4], v[7:8], 1.0
	v_fma_f64 v[7:8], v[7:8], v[9:10], v[7:8]
	s_delay_alu instid0(VALU_DEP_1) | instskip(NEXT) | instid1(VALU_DEP_1)
	v_mul_f64 v[9:10], v[11:12], v[7:8]
	v_fma_f64 v[3:4], -v[3:4], v[9:10], v[11:12]
	s_delay_alu instid0(VALU_DEP_1) | instskip(NEXT) | instid1(VALU_DEP_1)
	v_div_fmas_f64 v[3:4], v[3:4], v[7:8], v[9:10]
	v_div_fixup_f64 v[7:8], v[3:4], v[1:2], 1.0
                                        ; implicit-def: $vgpr1_vgpr2
	s_delay_alu instid0(VALU_DEP_1) | instskip(SKIP_1) | instid1(VALU_DEP_2)
	v_mul_f64 v[5:6], v[5:6], v[7:8]
	v_xor_b32_e32 v8, 0x80000000, v8
	v_xor_b32_e32 v10, 0x80000000, v6
	s_delay_alu instid0(VALU_DEP_3)
	v_mov_b32_e32 v9, v5
.LBB7_15:
	s_and_not1_saveexec_b32 s3, s3
	s_cbranch_execz .LBB7_17
; %bb.16:
	v_div_scale_f64 v[5:6], null, v[1:2], v[1:2], v[3:4]
	v_div_scale_f64 v[11:12], vcc_lo, v[3:4], v[1:2], v[3:4]
	s_delay_alu instid0(VALU_DEP_2) | instskip(SKIP_2) | instid1(VALU_DEP_1)
	v_rcp_f64_e32 v[7:8], v[5:6]
	s_waitcnt_depctr 0xfff
	v_fma_f64 v[9:10], -v[5:6], v[7:8], 1.0
	v_fma_f64 v[7:8], v[7:8], v[9:10], v[7:8]
	s_delay_alu instid0(VALU_DEP_1) | instskip(NEXT) | instid1(VALU_DEP_1)
	v_fma_f64 v[9:10], -v[5:6], v[7:8], 1.0
	v_fma_f64 v[7:8], v[7:8], v[9:10], v[7:8]
	s_delay_alu instid0(VALU_DEP_1) | instskip(NEXT) | instid1(VALU_DEP_1)
	v_mul_f64 v[9:10], v[11:12], v[7:8]
	v_fma_f64 v[5:6], -v[5:6], v[9:10], v[11:12]
	s_delay_alu instid0(VALU_DEP_1) | instskip(NEXT) | instid1(VALU_DEP_1)
	v_div_fmas_f64 v[5:6], v[5:6], v[7:8], v[9:10]
	v_div_fixup_f64 v[7:8], v[5:6], v[1:2], v[3:4]
	s_delay_alu instid0(VALU_DEP_1) | instskip(NEXT) | instid1(VALU_DEP_1)
	v_fma_f64 v[1:2], v[3:4], v[7:8], v[1:2]
	v_div_scale_f64 v[3:4], null, v[1:2], v[1:2], 1.0
	s_delay_alu instid0(VALU_DEP_1) | instskip(SKIP_2) | instid1(VALU_DEP_1)
	v_rcp_f64_e32 v[5:6], v[3:4]
	s_waitcnt_depctr 0xfff
	v_fma_f64 v[9:10], -v[3:4], v[5:6], 1.0
	v_fma_f64 v[5:6], v[5:6], v[9:10], v[5:6]
	s_delay_alu instid0(VALU_DEP_1) | instskip(NEXT) | instid1(VALU_DEP_1)
	v_fma_f64 v[9:10], -v[3:4], v[5:6], 1.0
	v_fma_f64 v[5:6], v[5:6], v[9:10], v[5:6]
	v_div_scale_f64 v[9:10], vcc_lo, 1.0, v[1:2], 1.0
	s_delay_alu instid0(VALU_DEP_1) | instskip(NEXT) | instid1(VALU_DEP_1)
	v_mul_f64 v[11:12], v[9:10], v[5:6]
	v_fma_f64 v[3:4], -v[3:4], v[11:12], v[9:10]
	s_delay_alu instid0(VALU_DEP_1) | instskip(NEXT) | instid1(VALU_DEP_1)
	v_div_fmas_f64 v[3:4], v[3:4], v[5:6], v[11:12]
	v_div_fixup_f64 v[5:6], v[3:4], v[1:2], 1.0
	s_delay_alu instid0(VALU_DEP_1)
	v_mul_f64 v[7:8], v[7:8], -v[5:6]
	v_xor_b32_e32 v10, 0x80000000, v6
	v_mov_b32_e32 v9, v5
.LBB7_17:
	s_or_b32 exec_lo, exec_lo, s3
	scratch_store_b128 v38, v[5:8], off
	scratch_load_b128 v[1:4], v31, off
	v_xor_b32_e32 v12, 0x80000000, v8
	v_mov_b32_e32 v11, v7
	v_add_nc_u32_e32 v5, 0x80, v37
	ds_store_b128 v37, v[9:12]
	s_waitcnt vmcnt(0)
	ds_store_b128 v37, v[1:4] offset:128
	s_waitcnt lgkmcnt(0)
	s_waitcnt_vscnt null, 0x0
	s_barrier
	buffer_gl0_inv
	s_and_saveexec_b32 s3, s2
	s_cbranch_execz .LBB7_19
; %bb.18:
	scratch_load_b128 v[1:4], v38, off
	ds_load_b128 v[6:9], v5
	v_mov_b32_e32 v10, 0
	ds_load_b128 v[39:42], v10 offset:16
	s_waitcnt vmcnt(0) lgkmcnt(1)
	v_mul_f64 v[10:11], v[6:7], v[3:4]
	v_mul_f64 v[3:4], v[8:9], v[3:4]
	s_delay_alu instid0(VALU_DEP_2) | instskip(NEXT) | instid1(VALU_DEP_2)
	v_fma_f64 v[8:9], v[8:9], v[1:2], v[10:11]
	v_fma_f64 v[1:2], v[6:7], v[1:2], -v[3:4]
	s_delay_alu instid0(VALU_DEP_2) | instskip(NEXT) | instid1(VALU_DEP_2)
	v_add_f64 v[3:4], v[8:9], 0
	v_add_f64 v[1:2], v[1:2], 0
	s_waitcnt lgkmcnt(0)
	s_delay_alu instid0(VALU_DEP_2) | instskip(NEXT) | instid1(VALU_DEP_2)
	v_mul_f64 v[6:7], v[3:4], v[41:42]
	v_mul_f64 v[8:9], v[1:2], v[41:42]
	s_delay_alu instid0(VALU_DEP_2) | instskip(NEXT) | instid1(VALU_DEP_2)
	v_fma_f64 v[1:2], v[1:2], v[39:40], -v[6:7]
	v_fma_f64 v[3:4], v[3:4], v[39:40], v[8:9]
	scratch_store_b128 off, v[1:4], off offset:16
.LBB7_19:
	s_or_b32 exec_lo, exec_lo, s3
	s_waitcnt_vscnt null, 0x0
	s_barrier
	buffer_gl0_inv
	scratch_load_b128 v[1:4], v33, off
	s_mov_b32 s3, exec_lo
	s_waitcnt vmcnt(0)
	ds_store_b128 v5, v[1:4]
	s_waitcnt lgkmcnt(0)
	s_barrier
	buffer_gl0_inv
	v_cmpx_gt_u32_e32 2, v29
	s_cbranch_execz .LBB7_23
; %bb.20:
	scratch_load_b128 v[1:4], v38, off
	ds_load_b128 v[6:9], v5
	s_waitcnt vmcnt(0) lgkmcnt(0)
	v_mul_f64 v[10:11], v[8:9], v[3:4]
	v_mul_f64 v[3:4], v[6:7], v[3:4]
	s_delay_alu instid0(VALU_DEP_2) | instskip(NEXT) | instid1(VALU_DEP_2)
	v_fma_f64 v[6:7], v[6:7], v[1:2], -v[10:11]
	v_fma_f64 v[3:4], v[8:9], v[1:2], v[3:4]
	s_delay_alu instid0(VALU_DEP_2) | instskip(NEXT) | instid1(VALU_DEP_2)
	v_add_f64 v[1:2], v[6:7], 0
	v_add_f64 v[3:4], v[3:4], 0
	s_and_saveexec_b32 s4, s2
	s_cbranch_execz .LBB7_22
; %bb.21:
	scratch_load_b128 v[6:9], off, off offset:16
	v_mov_b32_e32 v10, 0
	ds_load_b128 v[39:42], v10 offset:144
	s_waitcnt vmcnt(0) lgkmcnt(0)
	v_mul_f64 v[10:11], v[39:40], v[8:9]
	v_mul_f64 v[8:9], v[41:42], v[8:9]
	s_delay_alu instid0(VALU_DEP_2) | instskip(NEXT) | instid1(VALU_DEP_2)
	v_fma_f64 v[10:11], v[41:42], v[6:7], v[10:11]
	v_fma_f64 v[6:7], v[39:40], v[6:7], -v[8:9]
	s_delay_alu instid0(VALU_DEP_2) | instskip(NEXT) | instid1(VALU_DEP_2)
	v_add_f64 v[3:4], v[3:4], v[10:11]
	v_add_f64 v[1:2], v[1:2], v[6:7]
.LBB7_22:
	s_or_b32 exec_lo, exec_lo, s4
	v_mov_b32_e32 v6, 0
	ds_load_b128 v[6:9], v6 offset:32
	s_waitcnt lgkmcnt(0)
	v_mul_f64 v[10:11], v[3:4], v[8:9]
	v_mul_f64 v[8:9], v[1:2], v[8:9]
	s_delay_alu instid0(VALU_DEP_2) | instskip(NEXT) | instid1(VALU_DEP_2)
	v_fma_f64 v[1:2], v[1:2], v[6:7], -v[10:11]
	v_fma_f64 v[3:4], v[3:4], v[6:7], v[8:9]
	scratch_store_b128 off, v[1:4], off offset:32
.LBB7_23:
	s_or_b32 exec_lo, exec_lo, s3
	s_waitcnt_vscnt null, 0x0
	s_barrier
	buffer_gl0_inv
	scratch_load_b128 v[1:4], v30, off
	v_add_nc_u32_e32 v6, -1, v29
	s_mov_b32 s2, exec_lo
	s_waitcnt vmcnt(0)
	ds_store_b128 v5, v[1:4]
	s_waitcnt lgkmcnt(0)
	s_barrier
	buffer_gl0_inv
	v_cmpx_gt_u32_e32 3, v29
	s_cbranch_execz .LBB7_27
; %bb.24:
	v_dual_mov_b32 v1, 0 :: v_dual_add_nc_u32 v8, 0x80, v37
	v_dual_mov_b32 v2, 0 :: v_dual_add_nc_u32 v7, -1, v29
	v_or_b32_e32 v9, 8, v38
	s_mov_b32 s3, 0
	s_delay_alu instid0(VALU_DEP_2)
	v_dual_mov_b32 v4, v2 :: v_dual_mov_b32 v3, v1
	.p2align	6
.LBB7_25:                               ; =>This Inner Loop Header: Depth=1
	scratch_load_b128 v[39:42], v9, off offset:-8
	ds_load_b128 v[43:46], v8
	v_add_nc_u32_e32 v7, 1, v7
	v_add_nc_u32_e32 v8, 16, v8
	v_add_nc_u32_e32 v9, 16, v9
	s_delay_alu instid0(VALU_DEP_3) | instskip(SKIP_4) | instid1(VALU_DEP_2)
	v_cmp_lt_u32_e32 vcc_lo, 1, v7
	s_or_b32 s3, vcc_lo, s3
	s_waitcnt vmcnt(0) lgkmcnt(0)
	v_mul_f64 v[10:11], v[45:46], v[41:42]
	v_mul_f64 v[41:42], v[43:44], v[41:42]
	v_fma_f64 v[10:11], v[43:44], v[39:40], -v[10:11]
	s_delay_alu instid0(VALU_DEP_2) | instskip(NEXT) | instid1(VALU_DEP_2)
	v_fma_f64 v[39:40], v[45:46], v[39:40], v[41:42]
	v_add_f64 v[3:4], v[3:4], v[10:11]
	s_delay_alu instid0(VALU_DEP_2)
	v_add_f64 v[1:2], v[1:2], v[39:40]
	s_and_not1_b32 exec_lo, exec_lo, s3
	s_cbranch_execnz .LBB7_25
; %bb.26:
	s_or_b32 exec_lo, exec_lo, s3
	v_mov_b32_e32 v7, 0
	ds_load_b128 v[7:10], v7 offset:48
	s_waitcnt lgkmcnt(0)
	v_mul_f64 v[11:12], v[1:2], v[9:10]
	v_mul_f64 v[39:40], v[3:4], v[9:10]
	s_delay_alu instid0(VALU_DEP_2) | instskip(NEXT) | instid1(VALU_DEP_2)
	v_fma_f64 v[9:10], v[3:4], v[7:8], -v[11:12]
	v_fma_f64 v[11:12], v[1:2], v[7:8], v[39:40]
	scratch_store_b128 off, v[9:12], off offset:48
.LBB7_27:
	s_or_b32 exec_lo, exec_lo, s2
	s_waitcnt_vscnt null, 0x0
	s_barrier
	buffer_gl0_inv
	scratch_load_b128 v[1:4], v34, off
	s_mov_b32 s2, exec_lo
	s_waitcnt vmcnt(0)
	ds_store_b128 v5, v[1:4]
	s_waitcnt lgkmcnt(0)
	s_barrier
	buffer_gl0_inv
	v_cmpx_gt_u32_e32 4, v29
	s_cbranch_execz .LBB7_31
; %bb.28:
	v_dual_mov_b32 v1, 0 :: v_dual_add_nc_u32 v8, 0x80, v37
	v_dual_mov_b32 v2, 0 :: v_dual_add_nc_u32 v7, -1, v29
	v_or_b32_e32 v9, 8, v38
	s_mov_b32 s3, 0
	s_delay_alu instid0(VALU_DEP_2)
	v_dual_mov_b32 v4, v2 :: v_dual_mov_b32 v3, v1
	.p2align	6
.LBB7_29:                               ; =>This Inner Loop Header: Depth=1
	scratch_load_b128 v[39:42], v9, off offset:-8
	ds_load_b128 v[43:46], v8
	v_add_nc_u32_e32 v7, 1, v7
	v_add_nc_u32_e32 v8, 16, v8
	;; [unrolled: 1-line block ×3, first 2 shown]
	s_delay_alu instid0(VALU_DEP_3) | instskip(SKIP_4) | instid1(VALU_DEP_2)
	v_cmp_lt_u32_e32 vcc_lo, 2, v7
	s_or_b32 s3, vcc_lo, s3
	s_waitcnt vmcnt(0) lgkmcnt(0)
	v_mul_f64 v[10:11], v[45:46], v[41:42]
	v_mul_f64 v[41:42], v[43:44], v[41:42]
	v_fma_f64 v[10:11], v[43:44], v[39:40], -v[10:11]
	s_delay_alu instid0(VALU_DEP_2) | instskip(NEXT) | instid1(VALU_DEP_2)
	v_fma_f64 v[39:40], v[45:46], v[39:40], v[41:42]
	v_add_f64 v[3:4], v[3:4], v[10:11]
	s_delay_alu instid0(VALU_DEP_2)
	v_add_f64 v[1:2], v[1:2], v[39:40]
	s_and_not1_b32 exec_lo, exec_lo, s3
	s_cbranch_execnz .LBB7_29
; %bb.30:
	s_or_b32 exec_lo, exec_lo, s3
	v_mov_b32_e32 v7, 0
	ds_load_b128 v[7:10], v7 offset:64
	s_waitcnt lgkmcnt(0)
	v_mul_f64 v[11:12], v[1:2], v[9:10]
	v_mul_f64 v[39:40], v[3:4], v[9:10]
	s_delay_alu instid0(VALU_DEP_2) | instskip(NEXT) | instid1(VALU_DEP_2)
	v_fma_f64 v[9:10], v[3:4], v[7:8], -v[11:12]
	v_fma_f64 v[11:12], v[1:2], v[7:8], v[39:40]
	scratch_store_b128 off, v[9:12], off offset:64
.LBB7_31:
	s_or_b32 exec_lo, exec_lo, s2
	s_waitcnt_vscnt null, 0x0
	s_barrier
	buffer_gl0_inv
	scratch_load_b128 v[1:4], v32, off
	s_mov_b32 s2, exec_lo
	s_waitcnt vmcnt(0)
	ds_store_b128 v5, v[1:4]
	s_waitcnt lgkmcnt(0)
	s_barrier
	buffer_gl0_inv
	v_cmpx_gt_u32_e32 5, v29
	s_cbranch_execz .LBB7_35
; %bb.32:
	v_dual_mov_b32 v1, 0 :: v_dual_add_nc_u32 v8, 0x80, v37
	v_dual_mov_b32 v2, 0 :: v_dual_add_nc_u32 v7, -1, v29
	v_or_b32_e32 v9, 8, v38
	s_mov_b32 s3, 0
	s_delay_alu instid0(VALU_DEP_2)
	v_dual_mov_b32 v4, v2 :: v_dual_mov_b32 v3, v1
	.p2align	6
.LBB7_33:                               ; =>This Inner Loop Header: Depth=1
	scratch_load_b128 v[39:42], v9, off offset:-8
	ds_load_b128 v[43:46], v8
	v_add_nc_u32_e32 v7, 1, v7
	v_add_nc_u32_e32 v8, 16, v8
	;; [unrolled: 1-line block ×3, first 2 shown]
	s_delay_alu instid0(VALU_DEP_3) | instskip(SKIP_4) | instid1(VALU_DEP_2)
	v_cmp_lt_u32_e32 vcc_lo, 3, v7
	s_or_b32 s3, vcc_lo, s3
	s_waitcnt vmcnt(0) lgkmcnt(0)
	v_mul_f64 v[10:11], v[45:46], v[41:42]
	v_mul_f64 v[41:42], v[43:44], v[41:42]
	v_fma_f64 v[10:11], v[43:44], v[39:40], -v[10:11]
	s_delay_alu instid0(VALU_DEP_2) | instskip(NEXT) | instid1(VALU_DEP_2)
	v_fma_f64 v[39:40], v[45:46], v[39:40], v[41:42]
	v_add_f64 v[3:4], v[3:4], v[10:11]
	s_delay_alu instid0(VALU_DEP_2)
	v_add_f64 v[1:2], v[1:2], v[39:40]
	s_and_not1_b32 exec_lo, exec_lo, s3
	s_cbranch_execnz .LBB7_33
; %bb.34:
	s_or_b32 exec_lo, exec_lo, s3
	v_mov_b32_e32 v7, 0
	ds_load_b128 v[7:10], v7 offset:80
	s_waitcnt lgkmcnt(0)
	v_mul_f64 v[11:12], v[1:2], v[9:10]
	v_mul_f64 v[39:40], v[3:4], v[9:10]
	s_delay_alu instid0(VALU_DEP_2) | instskip(NEXT) | instid1(VALU_DEP_2)
	v_fma_f64 v[9:10], v[3:4], v[7:8], -v[11:12]
	v_fma_f64 v[11:12], v[1:2], v[7:8], v[39:40]
	scratch_store_b128 off, v[9:12], off offset:80
.LBB7_35:
	s_or_b32 exec_lo, exec_lo, s2
	s_waitcnt_vscnt null, 0x0
	s_barrier
	buffer_gl0_inv
	scratch_load_b128 v[1:4], v36, off
	s_mov_b32 s2, exec_lo
	s_waitcnt vmcnt(0)
	ds_store_b128 v5, v[1:4]
	s_waitcnt lgkmcnt(0)
	s_barrier
	buffer_gl0_inv
	v_cmpx_gt_u32_e32 6, v29
	s_cbranch_execz .LBB7_39
; %bb.36:
	v_dual_mov_b32 v1, 0 :: v_dual_add_nc_u32 v8, 0x80, v37
	v_dual_mov_b32 v2, 0 :: v_dual_add_nc_u32 v7, -1, v29
	v_or_b32_e32 v9, 8, v38
	s_mov_b32 s3, 0
	s_delay_alu instid0(VALU_DEP_2)
	v_dual_mov_b32 v4, v2 :: v_dual_mov_b32 v3, v1
	.p2align	6
.LBB7_37:                               ; =>This Inner Loop Header: Depth=1
	scratch_load_b128 v[39:42], v9, off offset:-8
	ds_load_b128 v[43:46], v8
	v_add_nc_u32_e32 v7, 1, v7
	v_add_nc_u32_e32 v8, 16, v8
	;; [unrolled: 1-line block ×3, first 2 shown]
	s_delay_alu instid0(VALU_DEP_3) | instskip(SKIP_4) | instid1(VALU_DEP_2)
	v_cmp_lt_u32_e32 vcc_lo, 4, v7
	s_or_b32 s3, vcc_lo, s3
	s_waitcnt vmcnt(0) lgkmcnt(0)
	v_mul_f64 v[10:11], v[45:46], v[41:42]
	v_mul_f64 v[41:42], v[43:44], v[41:42]
	v_fma_f64 v[10:11], v[43:44], v[39:40], -v[10:11]
	s_delay_alu instid0(VALU_DEP_2) | instskip(NEXT) | instid1(VALU_DEP_2)
	v_fma_f64 v[39:40], v[45:46], v[39:40], v[41:42]
	v_add_f64 v[3:4], v[3:4], v[10:11]
	s_delay_alu instid0(VALU_DEP_2)
	v_add_f64 v[1:2], v[1:2], v[39:40]
	s_and_not1_b32 exec_lo, exec_lo, s3
	s_cbranch_execnz .LBB7_37
; %bb.38:
	s_or_b32 exec_lo, exec_lo, s3
	v_mov_b32_e32 v7, 0
	ds_load_b128 v[7:10], v7 offset:96
	s_waitcnt lgkmcnt(0)
	v_mul_f64 v[11:12], v[1:2], v[9:10]
	v_mul_f64 v[39:40], v[3:4], v[9:10]
	s_delay_alu instid0(VALU_DEP_2) | instskip(NEXT) | instid1(VALU_DEP_2)
	v_fma_f64 v[9:10], v[3:4], v[7:8], -v[11:12]
	v_fma_f64 v[11:12], v[1:2], v[7:8], v[39:40]
	scratch_store_b128 off, v[9:12], off offset:96
.LBB7_39:
	s_or_b32 exec_lo, exec_lo, s2
	s_waitcnt_vscnt null, 0x0
	s_barrier
	buffer_gl0_inv
	scratch_load_b128 v[1:4], v35, off
	s_mov_b32 s2, exec_lo
	s_waitcnt vmcnt(0)
	ds_store_b128 v5, v[1:4]
	s_waitcnt lgkmcnt(0)
	s_barrier
	buffer_gl0_inv
	v_cmpx_ne_u32_e32 7, v29
	s_cbranch_execz .LBB7_43
; %bb.40:
	v_mov_b32_e32 v1, 0
	v_mov_b32_e32 v2, 0
	v_or_b32_e32 v7, 8, v38
	s_mov_b32 s3, 0
	s_delay_alu instid0(VALU_DEP_2)
	v_dual_mov_b32 v4, v2 :: v_dual_mov_b32 v3, v1
	.p2align	6
.LBB7_41:                               ; =>This Inner Loop Header: Depth=1
	scratch_load_b128 v[8:11], v7, off offset:-8
	ds_load_b128 v[37:40], v5
	v_add_nc_u32_e32 v6, 1, v6
	v_add_nc_u32_e32 v5, 16, v5
	;; [unrolled: 1-line block ×3, first 2 shown]
	s_delay_alu instid0(VALU_DEP_3) | instskip(SKIP_4) | instid1(VALU_DEP_2)
	v_cmp_lt_u32_e32 vcc_lo, 5, v6
	s_or_b32 s3, vcc_lo, s3
	s_waitcnt vmcnt(0) lgkmcnt(0)
	v_mul_f64 v[41:42], v[39:40], v[10:11]
	v_mul_f64 v[10:11], v[37:38], v[10:11]
	v_fma_f64 v[37:38], v[37:38], v[8:9], -v[41:42]
	s_delay_alu instid0(VALU_DEP_2) | instskip(NEXT) | instid1(VALU_DEP_2)
	v_fma_f64 v[8:9], v[39:40], v[8:9], v[10:11]
	v_add_f64 v[3:4], v[3:4], v[37:38]
	s_delay_alu instid0(VALU_DEP_2)
	v_add_f64 v[1:2], v[1:2], v[8:9]
	s_and_not1_b32 exec_lo, exec_lo, s3
	s_cbranch_execnz .LBB7_41
; %bb.42:
	s_or_b32 exec_lo, exec_lo, s3
	v_mov_b32_e32 v5, 0
	ds_load_b128 v[5:8], v5 offset:112
	s_waitcnt lgkmcnt(0)
	v_mul_f64 v[9:10], v[1:2], v[7:8]
	v_mul_f64 v[7:8], v[3:4], v[7:8]
	s_delay_alu instid0(VALU_DEP_2) | instskip(NEXT) | instid1(VALU_DEP_2)
	v_fma_f64 v[3:4], v[3:4], v[5:6], -v[9:10]
	v_fma_f64 v[5:6], v[1:2], v[5:6], v[7:8]
	scratch_store_b128 off, v[3:6], off offset:112
.LBB7_43:
	s_or_b32 exec_lo, exec_lo, s2
	s_mov_b32 s3, -1
	s_waitcnt_vscnt null, 0x0
	s_barrier
	buffer_gl0_inv
.LBB7_44:
	s_and_b32 vcc_lo, exec_lo, s3
	s_cbranch_vccz .LBB7_46
; %bb.45:
	s_lshl_b64 s[2:3], s[18:19], 2
	v_mov_b32_e32 v1, 0
	s_add_u32 s2, s6, s2
	s_addc_u32 s3, s7, s3
	global_load_b32 v1, v1, s[2:3]
	s_waitcnt vmcnt(0)
	v_cmp_ne_u32_e32 vcc_lo, 0, v1
	s_cbranch_vccz .LBB7_47
.LBB7_46:
	s_endpgm
.LBB7_47:
	v_lshl_add_u32 v5, v29, 4, 0x80
	s_mov_b32 s2, exec_lo
	v_cmpx_eq_u32_e32 7, v29
	s_cbranch_execz .LBB7_49
; %bb.48:
	scratch_load_b128 v[1:4], v36, off
	v_mov_b32_e32 v6, 0
	s_delay_alu instid0(VALU_DEP_1)
	v_mov_b32_e32 v7, v6
	v_mov_b32_e32 v8, v6
	;; [unrolled: 1-line block ×3, first 2 shown]
	scratch_store_b128 off, v[6:9], off offset:96
	s_waitcnt vmcnt(0)
	ds_store_b128 v5, v[1:4]
.LBB7_49:
	s_or_b32 exec_lo, exec_lo, s2
	s_waitcnt lgkmcnt(0)
	s_waitcnt_vscnt null, 0x0
	s_barrier
	buffer_gl0_inv
	s_clause 0x1
	scratch_load_b128 v[6:9], off, off offset:112
	scratch_load_b128 v[37:40], off, off offset:96
	v_mov_b32_e32 v1, 0
	s_mov_b32 s2, exec_lo
	ds_load_b128 v[41:44], v1 offset:240
	s_waitcnt vmcnt(1) lgkmcnt(0)
	v_mul_f64 v[2:3], v[43:44], v[8:9]
	v_mul_f64 v[8:9], v[41:42], v[8:9]
	s_delay_alu instid0(VALU_DEP_2) | instskip(NEXT) | instid1(VALU_DEP_2)
	v_fma_f64 v[2:3], v[41:42], v[6:7], -v[2:3]
	v_fma_f64 v[6:7], v[43:44], v[6:7], v[8:9]
	s_delay_alu instid0(VALU_DEP_2) | instskip(NEXT) | instid1(VALU_DEP_2)
	v_add_f64 v[2:3], v[2:3], 0
	v_add_f64 v[8:9], v[6:7], 0
	s_waitcnt vmcnt(0)
	s_delay_alu instid0(VALU_DEP_2) | instskip(NEXT) | instid1(VALU_DEP_2)
	v_add_f64 v[6:7], v[37:38], -v[2:3]
	v_add_f64 v[8:9], v[39:40], -v[8:9]
	scratch_store_b128 off, v[6:9], off offset:96
	v_cmpx_lt_u32_e32 5, v29
	s_cbranch_execz .LBB7_51
; %bb.50:
	scratch_load_b128 v[6:9], v32, off
	v_mov_b32_e32 v2, v1
	v_mov_b32_e32 v3, v1
	;; [unrolled: 1-line block ×3, first 2 shown]
	scratch_store_b128 off, v[1:4], off offset:80
	s_waitcnt vmcnt(0)
	ds_store_b128 v5, v[6:9]
.LBB7_51:
	s_or_b32 exec_lo, exec_lo, s2
	s_waitcnt lgkmcnt(0)
	s_waitcnt_vscnt null, 0x0
	s_barrier
	buffer_gl0_inv
	s_clause 0x2
	scratch_load_b128 v[6:9], off, off offset:96
	scratch_load_b128 v[37:40], off, off offset:112
	;; [unrolled: 1-line block ×3, first 2 shown]
	ds_load_b128 v[45:48], v1 offset:224
	ds_load_b128 v[1:4], v1 offset:240
	s_mov_b32 s2, exec_lo
	s_waitcnt vmcnt(2) lgkmcnt(1)
	v_mul_f64 v[10:11], v[47:48], v[8:9]
	v_mul_f64 v[8:9], v[45:46], v[8:9]
	s_waitcnt vmcnt(1) lgkmcnt(0)
	v_mul_f64 v[49:50], v[1:2], v[39:40]
	v_mul_f64 v[39:40], v[3:4], v[39:40]
	s_delay_alu instid0(VALU_DEP_4) | instskip(NEXT) | instid1(VALU_DEP_4)
	v_fma_f64 v[10:11], v[45:46], v[6:7], -v[10:11]
	v_fma_f64 v[6:7], v[47:48], v[6:7], v[8:9]
	s_delay_alu instid0(VALU_DEP_4) | instskip(NEXT) | instid1(VALU_DEP_4)
	v_fma_f64 v[3:4], v[3:4], v[37:38], v[49:50]
	v_fma_f64 v[1:2], v[1:2], v[37:38], -v[39:40]
	s_delay_alu instid0(VALU_DEP_4) | instskip(NEXT) | instid1(VALU_DEP_4)
	v_add_f64 v[8:9], v[10:11], 0
	v_add_f64 v[6:7], v[6:7], 0
	s_delay_alu instid0(VALU_DEP_2) | instskip(NEXT) | instid1(VALU_DEP_2)
	v_add_f64 v[1:2], v[8:9], v[1:2]
	v_add_f64 v[3:4], v[6:7], v[3:4]
	s_waitcnt vmcnt(0)
	s_delay_alu instid0(VALU_DEP_2) | instskip(NEXT) | instid1(VALU_DEP_2)
	v_add_f64 v[1:2], v[41:42], -v[1:2]
	v_add_f64 v[3:4], v[43:44], -v[3:4]
	scratch_store_b128 off, v[1:4], off offset:80
	v_cmpx_lt_u32_e32 4, v29
	s_cbranch_execz .LBB7_53
; %bb.52:
	scratch_load_b128 v[1:4], v34, off
	v_mov_b32_e32 v6, 0
	s_delay_alu instid0(VALU_DEP_1)
	v_mov_b32_e32 v7, v6
	v_mov_b32_e32 v8, v6
	;; [unrolled: 1-line block ×3, first 2 shown]
	scratch_store_b128 off, v[6:9], off offset:64
	s_waitcnt vmcnt(0)
	ds_store_b128 v5, v[1:4]
.LBB7_53:
	s_or_b32 exec_lo, exec_lo, s2
	s_waitcnt lgkmcnt(0)
	s_waitcnt_vscnt null, 0x0
	s_barrier
	buffer_gl0_inv
	s_clause 0x3
	scratch_load_b128 v[6:9], off, off offset:80
	scratch_load_b128 v[37:40], off, off offset:96
	;; [unrolled: 1-line block ×4, first 2 shown]
	v_mov_b32_e32 v1, 0
	ds_load_b128 v[49:52], v1 offset:208
	ds_load_b128 v[53:56], v1 offset:224
	s_mov_b32 s2, exec_lo
	s_waitcnt vmcnt(3) lgkmcnt(1)
	v_mul_f64 v[2:3], v[51:52], v[8:9]
	v_mul_f64 v[8:9], v[49:50], v[8:9]
	s_waitcnt vmcnt(2) lgkmcnt(0)
	v_mul_f64 v[10:11], v[53:54], v[39:40]
	v_mul_f64 v[39:40], v[55:56], v[39:40]
	s_delay_alu instid0(VALU_DEP_4) | instskip(NEXT) | instid1(VALU_DEP_4)
	v_fma_f64 v[2:3], v[49:50], v[6:7], -v[2:3]
	v_fma_f64 v[49:50], v[51:52], v[6:7], v[8:9]
	ds_load_b128 v[6:9], v1 offset:240
	v_fma_f64 v[10:11], v[55:56], v[37:38], v[10:11]
	v_fma_f64 v[37:38], v[53:54], v[37:38], -v[39:40]
	s_waitcnt vmcnt(1) lgkmcnt(0)
	v_mul_f64 v[51:52], v[6:7], v[43:44]
	v_mul_f64 v[43:44], v[8:9], v[43:44]
	v_add_f64 v[2:3], v[2:3], 0
	v_add_f64 v[39:40], v[49:50], 0
	s_delay_alu instid0(VALU_DEP_4) | instskip(NEXT) | instid1(VALU_DEP_4)
	v_fma_f64 v[8:9], v[8:9], v[41:42], v[51:52]
	v_fma_f64 v[6:7], v[6:7], v[41:42], -v[43:44]
	s_delay_alu instid0(VALU_DEP_4) | instskip(NEXT) | instid1(VALU_DEP_4)
	v_add_f64 v[2:3], v[2:3], v[37:38]
	v_add_f64 v[10:11], v[39:40], v[10:11]
	s_delay_alu instid0(VALU_DEP_2) | instskip(NEXT) | instid1(VALU_DEP_2)
	v_add_f64 v[2:3], v[2:3], v[6:7]
	v_add_f64 v[8:9], v[10:11], v[8:9]
	s_waitcnt vmcnt(0)
	s_delay_alu instid0(VALU_DEP_2) | instskip(NEXT) | instid1(VALU_DEP_2)
	v_add_f64 v[6:7], v[45:46], -v[2:3]
	v_add_f64 v[8:9], v[47:48], -v[8:9]
	scratch_store_b128 off, v[6:9], off offset:64
	v_cmpx_lt_u32_e32 3, v29
	s_cbranch_execz .LBB7_55
; %bb.54:
	scratch_load_b128 v[6:9], v30, off
	v_mov_b32_e32 v2, v1
	v_mov_b32_e32 v3, v1
	;; [unrolled: 1-line block ×3, first 2 shown]
	scratch_store_b128 off, v[1:4], off offset:48
	s_waitcnt vmcnt(0)
	ds_store_b128 v5, v[6:9]
.LBB7_55:
	s_or_b32 exec_lo, exec_lo, s2
	s_waitcnt lgkmcnt(0)
	s_waitcnt_vscnt null, 0x0
	s_barrier
	buffer_gl0_inv
	s_clause 0x4
	scratch_load_b128 v[6:9], off, off offset:64
	scratch_load_b128 v[37:40], off, off offset:80
	;; [unrolled: 1-line block ×5, first 2 shown]
	ds_load_b128 v[53:56], v1 offset:192
	ds_load_b128 v[57:60], v1 offset:208
	s_mov_b32 s2, exec_lo
	s_waitcnt vmcnt(4) lgkmcnt(1)
	v_mul_f64 v[2:3], v[55:56], v[8:9]
	v_mul_f64 v[8:9], v[53:54], v[8:9]
	s_waitcnt vmcnt(3) lgkmcnt(0)
	v_mul_f64 v[10:11], v[57:58], v[39:40]
	v_mul_f64 v[39:40], v[59:60], v[39:40]
	s_delay_alu instid0(VALU_DEP_4) | instskip(NEXT) | instid1(VALU_DEP_4)
	v_fma_f64 v[53:54], v[53:54], v[6:7], -v[2:3]
	v_fma_f64 v[55:56], v[55:56], v[6:7], v[8:9]
	ds_load_b128 v[6:9], v1 offset:224
	ds_load_b128 v[1:4], v1 offset:240
	v_fma_f64 v[10:11], v[59:60], v[37:38], v[10:11]
	v_fma_f64 v[37:38], v[57:58], v[37:38], -v[39:40]
	s_waitcnt vmcnt(2) lgkmcnt(1)
	v_mul_f64 v[61:62], v[6:7], v[43:44]
	v_mul_f64 v[43:44], v[8:9], v[43:44]
	v_add_f64 v[39:40], v[53:54], 0
	v_add_f64 v[53:54], v[55:56], 0
	s_waitcnt vmcnt(1) lgkmcnt(0)
	v_mul_f64 v[55:56], v[1:2], v[47:48]
	v_mul_f64 v[47:48], v[3:4], v[47:48]
	v_fma_f64 v[8:9], v[8:9], v[41:42], v[61:62]
	v_fma_f64 v[6:7], v[6:7], v[41:42], -v[43:44]
	v_add_f64 v[37:38], v[39:40], v[37:38]
	v_add_f64 v[10:11], v[53:54], v[10:11]
	v_fma_f64 v[3:4], v[3:4], v[45:46], v[55:56]
	v_fma_f64 v[1:2], v[1:2], v[45:46], -v[47:48]
	s_delay_alu instid0(VALU_DEP_4) | instskip(NEXT) | instid1(VALU_DEP_4)
	v_add_f64 v[6:7], v[37:38], v[6:7]
	v_add_f64 v[8:9], v[10:11], v[8:9]
	s_delay_alu instid0(VALU_DEP_2) | instskip(NEXT) | instid1(VALU_DEP_2)
	v_add_f64 v[1:2], v[6:7], v[1:2]
	v_add_f64 v[3:4], v[8:9], v[3:4]
	s_waitcnt vmcnt(0)
	s_delay_alu instid0(VALU_DEP_2) | instskip(NEXT) | instid1(VALU_DEP_2)
	v_add_f64 v[1:2], v[49:50], -v[1:2]
	v_add_f64 v[3:4], v[51:52], -v[3:4]
	scratch_store_b128 off, v[1:4], off offset:48
	v_cmpx_lt_u32_e32 2, v29
	s_cbranch_execz .LBB7_57
; %bb.56:
	scratch_load_b128 v[1:4], v33, off
	v_mov_b32_e32 v6, 0
	s_delay_alu instid0(VALU_DEP_1)
	v_mov_b32_e32 v7, v6
	v_mov_b32_e32 v8, v6
	;; [unrolled: 1-line block ×3, first 2 shown]
	scratch_store_b128 off, v[6:9], off offset:32
	s_waitcnt vmcnt(0)
	ds_store_b128 v5, v[1:4]
.LBB7_57:
	s_or_b32 exec_lo, exec_lo, s2
	s_waitcnt lgkmcnt(0)
	s_waitcnt_vscnt null, 0x0
	s_barrier
	buffer_gl0_inv
	s_clause 0x5
	scratch_load_b128 v[6:9], off, off offset:48
	scratch_load_b128 v[37:40], off, off offset:64
	;; [unrolled: 1-line block ×6, first 2 shown]
	v_mov_b32_e32 v1, 0
	ds_load_b128 v[57:60], v1 offset:176
	ds_load_b128 v[61:64], v1 offset:192
	s_mov_b32 s2, exec_lo
	s_waitcnt vmcnt(5) lgkmcnt(1)
	v_mul_f64 v[2:3], v[59:60], v[8:9]
	v_mul_f64 v[8:9], v[57:58], v[8:9]
	s_waitcnt vmcnt(4) lgkmcnt(0)
	v_mul_f64 v[10:11], v[61:62], v[39:40]
	v_mul_f64 v[39:40], v[63:64], v[39:40]
	s_delay_alu instid0(VALU_DEP_4) | instskip(NEXT) | instid1(VALU_DEP_4)
	v_fma_f64 v[2:3], v[57:58], v[6:7], -v[2:3]
	v_fma_f64 v[65:66], v[59:60], v[6:7], v[8:9]
	ds_load_b128 v[6:9], v1 offset:208
	ds_load_b128 v[57:60], v1 offset:224
	v_fma_f64 v[10:11], v[63:64], v[37:38], v[10:11]
	v_fma_f64 v[37:38], v[61:62], v[37:38], -v[39:40]
	s_waitcnt vmcnt(3) lgkmcnt(1)
	v_mul_f64 v[67:68], v[6:7], v[43:44]
	v_mul_f64 v[43:44], v[8:9], v[43:44]
	s_waitcnt vmcnt(2) lgkmcnt(0)
	v_mul_f64 v[61:62], v[57:58], v[47:48]
	v_mul_f64 v[47:48], v[59:60], v[47:48]
	v_add_f64 v[2:3], v[2:3], 0
	v_add_f64 v[39:40], v[65:66], 0
	v_fma_f64 v[63:64], v[8:9], v[41:42], v[67:68]
	v_fma_f64 v[41:42], v[6:7], v[41:42], -v[43:44]
	ds_load_b128 v[6:9], v1 offset:240
	v_fma_f64 v[43:44], v[59:60], v[45:46], v[61:62]
	v_fma_f64 v[45:46], v[57:58], v[45:46], -v[47:48]
	v_add_f64 v[2:3], v[2:3], v[37:38]
	v_add_f64 v[10:11], v[39:40], v[10:11]
	s_waitcnt vmcnt(1) lgkmcnt(0)
	v_mul_f64 v[37:38], v[6:7], v[51:52]
	v_mul_f64 v[39:40], v[8:9], v[51:52]
	s_delay_alu instid0(VALU_DEP_4) | instskip(NEXT) | instid1(VALU_DEP_4)
	v_add_f64 v[2:3], v[2:3], v[41:42]
	v_add_f64 v[10:11], v[10:11], v[63:64]
	s_delay_alu instid0(VALU_DEP_4) | instskip(NEXT) | instid1(VALU_DEP_4)
	v_fma_f64 v[8:9], v[8:9], v[49:50], v[37:38]
	v_fma_f64 v[6:7], v[6:7], v[49:50], -v[39:40]
	s_delay_alu instid0(VALU_DEP_4) | instskip(NEXT) | instid1(VALU_DEP_4)
	v_add_f64 v[2:3], v[2:3], v[45:46]
	v_add_f64 v[10:11], v[10:11], v[43:44]
	s_delay_alu instid0(VALU_DEP_2) | instskip(NEXT) | instid1(VALU_DEP_2)
	v_add_f64 v[2:3], v[2:3], v[6:7]
	v_add_f64 v[8:9], v[10:11], v[8:9]
	s_waitcnt vmcnt(0)
	s_delay_alu instid0(VALU_DEP_2) | instskip(NEXT) | instid1(VALU_DEP_2)
	v_add_f64 v[6:7], v[53:54], -v[2:3]
	v_add_f64 v[8:9], v[55:56], -v[8:9]
	scratch_store_b128 off, v[6:9], off offset:32
	v_cmpx_lt_u32_e32 1, v29
	s_cbranch_execz .LBB7_59
; %bb.58:
	scratch_load_b128 v[6:9], v31, off
	v_mov_b32_e32 v2, v1
	v_mov_b32_e32 v3, v1
	;; [unrolled: 1-line block ×3, first 2 shown]
	scratch_store_b128 off, v[1:4], off offset:16
	s_waitcnt vmcnt(0)
	ds_store_b128 v5, v[6:9]
.LBB7_59:
	s_or_b32 exec_lo, exec_lo, s2
	s_waitcnt lgkmcnt(0)
	s_waitcnt_vscnt null, 0x0
	s_barrier
	buffer_gl0_inv
	s_clause 0x5
	scratch_load_b128 v[6:9], off, off offset:32
	scratch_load_b128 v[37:40], off, off offset:48
	;; [unrolled: 1-line block ×6, first 2 shown]
	ds_load_b128 v[57:60], v1 offset:160
	ds_load_b128 v[65:68], v1 offset:176
	scratch_load_b128 v[61:64], off, off offset:16
	s_mov_b32 s2, exec_lo
	s_waitcnt vmcnt(6) lgkmcnt(1)
	v_mul_f64 v[2:3], v[59:60], v[8:9]
	v_mul_f64 v[8:9], v[57:58], v[8:9]
	s_waitcnt vmcnt(5) lgkmcnt(0)
	v_mul_f64 v[10:11], v[65:66], v[39:40]
	v_mul_f64 v[39:40], v[67:68], v[39:40]
	s_delay_alu instid0(VALU_DEP_4) | instskip(NEXT) | instid1(VALU_DEP_4)
	v_fma_f64 v[2:3], v[57:58], v[6:7], -v[2:3]
	v_fma_f64 v[69:70], v[59:60], v[6:7], v[8:9]
	ds_load_b128 v[6:9], v1 offset:192
	ds_load_b128 v[57:60], v1 offset:208
	v_fma_f64 v[10:11], v[67:68], v[37:38], v[10:11]
	v_fma_f64 v[37:38], v[65:66], v[37:38], -v[39:40]
	s_waitcnt vmcnt(4) lgkmcnt(1)
	v_mul_f64 v[71:72], v[6:7], v[43:44]
	v_mul_f64 v[43:44], v[8:9], v[43:44]
	s_waitcnt vmcnt(3) lgkmcnt(0)
	v_mul_f64 v[65:66], v[57:58], v[47:48]
	v_mul_f64 v[47:48], v[59:60], v[47:48]
	v_add_f64 v[2:3], v[2:3], 0
	v_add_f64 v[39:40], v[69:70], 0
	v_fma_f64 v[67:68], v[8:9], v[41:42], v[71:72]
	v_fma_f64 v[41:42], v[6:7], v[41:42], -v[43:44]
	s_delay_alu instid0(VALU_DEP_4) | instskip(NEXT) | instid1(VALU_DEP_4)
	v_add_f64 v[37:38], v[2:3], v[37:38]
	v_add_f64 v[10:11], v[39:40], v[10:11]
	ds_load_b128 v[6:9], v1 offset:224
	ds_load_b128 v[1:4], v1 offset:240
	s_waitcnt vmcnt(2) lgkmcnt(1)
	v_mul_f64 v[39:40], v[6:7], v[51:52]
	v_mul_f64 v[43:44], v[8:9], v[51:52]
	v_fma_f64 v[51:52], v[59:60], v[45:46], v[65:66]
	v_fma_f64 v[45:46], v[57:58], v[45:46], -v[47:48]
	s_waitcnt vmcnt(1) lgkmcnt(0)
	v_mul_f64 v[47:48], v[3:4], v[55:56]
	v_add_f64 v[37:38], v[37:38], v[41:42]
	v_add_f64 v[10:11], v[10:11], v[67:68]
	v_mul_f64 v[41:42], v[1:2], v[55:56]
	v_fma_f64 v[8:9], v[8:9], v[49:50], v[39:40]
	v_fma_f64 v[6:7], v[6:7], v[49:50], -v[43:44]
	v_fma_f64 v[1:2], v[1:2], v[53:54], -v[47:48]
	v_add_f64 v[37:38], v[37:38], v[45:46]
	v_add_f64 v[10:11], v[10:11], v[51:52]
	v_fma_f64 v[3:4], v[3:4], v[53:54], v[41:42]
	s_delay_alu instid0(VALU_DEP_3) | instskip(NEXT) | instid1(VALU_DEP_3)
	v_add_f64 v[6:7], v[37:38], v[6:7]
	v_add_f64 v[8:9], v[10:11], v[8:9]
	s_delay_alu instid0(VALU_DEP_2) | instskip(NEXT) | instid1(VALU_DEP_2)
	v_add_f64 v[1:2], v[6:7], v[1:2]
	v_add_f64 v[3:4], v[8:9], v[3:4]
	s_waitcnt vmcnt(0)
	s_delay_alu instid0(VALU_DEP_2) | instskip(NEXT) | instid1(VALU_DEP_2)
	v_add_f64 v[1:2], v[61:62], -v[1:2]
	v_add_f64 v[3:4], v[63:64], -v[3:4]
	scratch_store_b128 off, v[1:4], off offset:16
	v_cmpx_ne_u32_e32 0, v29
	s_cbranch_execz .LBB7_61
; %bb.60:
	scratch_load_b128 v[1:4], off, off
	v_mov_b32_e32 v6, 0
	s_delay_alu instid0(VALU_DEP_1)
	v_mov_b32_e32 v7, v6
	v_mov_b32_e32 v8, v6
	;; [unrolled: 1-line block ×3, first 2 shown]
	scratch_store_b128 off, v[6:9], off
	s_waitcnt vmcnt(0)
	ds_store_b128 v5, v[1:4]
.LBB7_61:
	s_or_b32 exec_lo, exec_lo, s2
	s_waitcnt lgkmcnt(0)
	s_waitcnt_vscnt null, 0x0
	s_barrier
	buffer_gl0_inv
	s_clause 0x6
	scratch_load_b128 v[1:4], off, off offset:16
	scratch_load_b128 v[5:8], off, off offset:32
	;; [unrolled: 1-line block ×7, first 2 shown]
	v_mov_b32_e32 v73, 0
	scratch_load_b128 v[57:60], off, off
	s_and_b32 vcc_lo, exec_lo, s20
	ds_load_b128 v[53:56], v73 offset:144
	ds_load_b128 v[61:64], v73 offset:160
	s_waitcnt vmcnt(7) lgkmcnt(1)
	v_mul_f64 v[65:66], v[55:56], v[3:4]
	v_mul_f64 v[3:4], v[53:54], v[3:4]
	s_waitcnt vmcnt(6) lgkmcnt(0)
	v_mul_f64 v[67:68], v[61:62], v[7:8]
	v_mul_f64 v[7:8], v[63:64], v[7:8]
	s_delay_alu instid0(VALU_DEP_4) | instskip(NEXT) | instid1(VALU_DEP_4)
	v_fma_f64 v[65:66], v[53:54], v[1:2], -v[65:66]
	v_fma_f64 v[69:70], v[55:56], v[1:2], v[3:4]
	ds_load_b128 v[1:4], v73 offset:176
	ds_load_b128 v[53:56], v73 offset:192
	v_fma_f64 v[63:64], v[63:64], v[5:6], v[67:68]
	v_fma_f64 v[5:6], v[61:62], v[5:6], -v[7:8]
	s_waitcnt vmcnt(5) lgkmcnt(1)
	v_mul_f64 v[71:72], v[1:2], v[11:12]
	v_mul_f64 v[11:12], v[3:4], v[11:12]
	v_add_f64 v[7:8], v[65:66], 0
	v_add_f64 v[61:62], v[69:70], 0
	s_waitcnt vmcnt(4) lgkmcnt(0)
	v_mul_f64 v[65:66], v[53:54], v[39:40]
	v_mul_f64 v[39:40], v[55:56], v[39:40]
	v_fma_f64 v[67:68], v[3:4], v[9:10], v[71:72]
	v_fma_f64 v[9:10], v[1:2], v[9:10], -v[11:12]
	v_add_f64 v[11:12], v[7:8], v[5:6]
	v_add_f64 v[61:62], v[61:62], v[63:64]
	ds_load_b128 v[1:4], v73 offset:208
	ds_load_b128 v[5:8], v73 offset:224
	v_fma_f64 v[55:56], v[55:56], v[37:38], v[65:66]
	v_fma_f64 v[37:38], v[53:54], v[37:38], -v[39:40]
	s_waitcnt vmcnt(3) lgkmcnt(1)
	v_mul_f64 v[63:64], v[1:2], v[43:44]
	v_mul_f64 v[43:44], v[3:4], v[43:44]
	s_waitcnt vmcnt(2) lgkmcnt(0)
	v_mul_f64 v[39:40], v[5:6], v[47:48]
	v_mul_f64 v[47:48], v[7:8], v[47:48]
	v_add_f64 v[9:10], v[11:12], v[9:10]
	v_add_f64 v[11:12], v[61:62], v[67:68]
	v_fma_f64 v[53:54], v[3:4], v[41:42], v[63:64]
	v_fma_f64 v[41:42], v[1:2], v[41:42], -v[43:44]
	ds_load_b128 v[1:4], v73 offset:240
	v_fma_f64 v[7:8], v[7:8], v[45:46], v[39:40]
	v_fma_f64 v[5:6], v[5:6], v[45:46], -v[47:48]
	v_add_f64 v[9:10], v[9:10], v[37:38]
	v_add_f64 v[11:12], v[11:12], v[55:56]
	s_waitcnt vmcnt(1) lgkmcnt(0)
	v_mul_f64 v[37:38], v[1:2], v[51:52]
	v_mul_f64 v[43:44], v[3:4], v[51:52]
	s_delay_alu instid0(VALU_DEP_4) | instskip(NEXT) | instid1(VALU_DEP_4)
	v_add_f64 v[9:10], v[9:10], v[41:42]
	v_add_f64 v[11:12], v[11:12], v[53:54]
	s_delay_alu instid0(VALU_DEP_4) | instskip(NEXT) | instid1(VALU_DEP_4)
	v_fma_f64 v[3:4], v[3:4], v[49:50], v[37:38]
	v_fma_f64 v[1:2], v[1:2], v[49:50], -v[43:44]
	s_delay_alu instid0(VALU_DEP_4) | instskip(NEXT) | instid1(VALU_DEP_4)
	v_add_f64 v[5:6], v[9:10], v[5:6]
	v_add_f64 v[7:8], v[11:12], v[7:8]
	s_delay_alu instid0(VALU_DEP_2) | instskip(NEXT) | instid1(VALU_DEP_2)
	v_add_f64 v[1:2], v[5:6], v[1:2]
	v_add_f64 v[3:4], v[7:8], v[3:4]
	s_waitcnt vmcnt(0)
	s_delay_alu instid0(VALU_DEP_2) | instskip(NEXT) | instid1(VALU_DEP_2)
	v_add_f64 v[1:2], v[57:58], -v[1:2]
	v_add_f64 v[3:4], v[59:60], -v[3:4]
	scratch_store_b128 off, v[1:4], off
	s_cbranch_vccz .LBB7_77
; %bb.62:
	v_dual_mov_b32 v1, s16 :: v_dual_mov_b32 v2, s17
	s_load_b64 s[0:1], s[0:1], 0x4
	flat_load_b32 v1, v[1:2] offset:24
	v_bfe_u32 v2, v0, 10, 10
	v_bfe_u32 v0, v0, 20, 10
	s_waitcnt lgkmcnt(0)
	s_lshr_b32 s0, s0, 16
	s_delay_alu instid0(VALU_DEP_2) | instskip(SKIP_1) | instid1(SALU_CYCLE_1)
	v_mul_u32_u24_e32 v2, s1, v2
	s_mul_i32 s0, s0, s1
	v_mul_u32_u24_e32 v3, s0, v29
	s_mov_b32 s0, exec_lo
	s_delay_alu instid0(VALU_DEP_1) | instskip(NEXT) | instid1(VALU_DEP_1)
	v_add3_u32 v0, v3, v2, v0
	v_lshl_add_u32 v0, v0, 4, 0x108
	s_waitcnt vmcnt(0)
	v_cmpx_ne_u32_e32 7, v1
	s_cbranch_execz .LBB7_64
; %bb.63:
	v_lshl_add_u32 v9, v1, 4, 0
	s_clause 0x1
	scratch_load_b128 v[1:4], v36, off
	scratch_load_b128 v[5:8], v9, off offset:-16
	s_waitcnt vmcnt(1)
	ds_store_2addr_b64 v0, v[1:2], v[3:4] offset1:1
	s_waitcnt vmcnt(0)
	s_clause 0x1
	scratch_store_b128 v36, v[5:8], off
	scratch_store_b128 v9, v[1:4], off offset:-16
.LBB7_64:
	s_or_b32 exec_lo, exec_lo, s0
	v_dual_mov_b32 v1, s16 :: v_dual_mov_b32 v2, s17
	s_mov_b32 s0, exec_lo
	flat_load_b32 v1, v[1:2] offset:20
	s_waitcnt vmcnt(0) lgkmcnt(0)
	v_cmpx_ne_u32_e32 6, v1
	s_cbranch_execz .LBB7_66
; %bb.65:
	v_lshl_add_u32 v9, v1, 4, 0
	s_clause 0x1
	scratch_load_b128 v[1:4], v32, off
	scratch_load_b128 v[5:8], v9, off offset:-16
	s_waitcnt vmcnt(1)
	ds_store_2addr_b64 v0, v[1:2], v[3:4] offset1:1
	s_waitcnt vmcnt(0)
	s_clause 0x1
	scratch_store_b128 v32, v[5:8], off
	scratch_store_b128 v9, v[1:4], off offset:-16
.LBB7_66:
	s_or_b32 exec_lo, exec_lo, s0
	v_dual_mov_b32 v1, s16 :: v_dual_mov_b32 v2, s17
	s_mov_b32 s0, exec_lo
	flat_load_b32 v1, v[1:2] offset:16
	s_waitcnt vmcnt(0) lgkmcnt(0)
	;; [unrolled: 19-line block ×5, first 2 shown]
	v_cmpx_ne_u32_e32 2, v1
	s_cbranch_execz .LBB7_74
; %bb.73:
	v_lshl_add_u32 v9, v1, 4, 0
	s_clause 0x1
	scratch_load_b128 v[1:4], v31, off
	scratch_load_b128 v[5:8], v9, off offset:-16
	s_waitcnt vmcnt(1)
	ds_store_2addr_b64 v0, v[1:2], v[3:4] offset1:1
	s_waitcnt vmcnt(0)
	s_clause 0x1
	scratch_store_b128 v31, v[5:8], off
	scratch_store_b128 v9, v[1:4], off offset:-16
.LBB7_74:
	s_or_b32 exec_lo, exec_lo, s0
	v_dual_mov_b32 v1, s16 :: v_dual_mov_b32 v2, s17
	s_mov_b32 s0, exec_lo
	flat_load_b32 v1, v[1:2]
	s_waitcnt vmcnt(0) lgkmcnt(0)
	v_cmpx_ne_u32_e32 1, v1
	s_cbranch_execz .LBB7_76
; %bb.75:
	v_lshl_add_u32 v9, v1, 4, 0
	scratch_load_b128 v[1:4], off, off
	scratch_load_b128 v[5:8], v9, off offset:-16
	s_waitcnt vmcnt(1)
	ds_store_2addr_b64 v0, v[1:2], v[3:4] offset1:1
	s_waitcnt vmcnt(0)
	scratch_store_b128 off, v[5:8], off
	scratch_store_b128 v9, v[1:4], off offset:-16
.LBB7_76:
	s_or_b32 exec_lo, exec_lo, s0
.LBB7_77:
	scratch_load_b128 v[0:3], off, off
	s_clause 0x6
	scratch_load_b128 v[4:7], v31, off
	scratch_load_b128 v[8:11], v33, off
	;; [unrolled: 1-line block ×7, first 2 shown]
	s_waitcnt vmcnt(7)
	global_store_b128 v[13:14], v[0:3], off
	s_waitcnt vmcnt(6)
	global_store_b128 v[15:16], v[4:7], off
	;; [unrolled: 2-line block ×8, first 2 shown]
	s_endpgm
	.section	.rodata,"a",@progbits
	.p2align	6, 0x0
	.amdhsa_kernel _ZN9rocsolver6v33100L18getri_kernel_smallILi8E19rocblas_complex_numIdEPS3_EEvT1_iilPiilS6_bb
		.amdhsa_group_segment_fixed_size 1288
		.amdhsa_private_segment_fixed_size 144
		.amdhsa_kernarg_size 60
		.amdhsa_user_sgpr_count 15
		.amdhsa_user_sgpr_dispatch_ptr 1
		.amdhsa_user_sgpr_queue_ptr 0
		.amdhsa_user_sgpr_kernarg_segment_ptr 1
		.amdhsa_user_sgpr_dispatch_id 0
		.amdhsa_user_sgpr_private_segment_size 0
		.amdhsa_wavefront_size32 1
		.amdhsa_uses_dynamic_stack 0
		.amdhsa_enable_private_segment 1
		.amdhsa_system_sgpr_workgroup_id_x 1
		.amdhsa_system_sgpr_workgroup_id_y 0
		.amdhsa_system_sgpr_workgroup_id_z 0
		.amdhsa_system_sgpr_workgroup_info 0
		.amdhsa_system_vgpr_workitem_id 2
		.amdhsa_next_free_vgpr 74
		.amdhsa_next_free_sgpr 22
		.amdhsa_reserve_vcc 1
		.amdhsa_float_round_mode_32 0
		.amdhsa_float_round_mode_16_64 0
		.amdhsa_float_denorm_mode_32 3
		.amdhsa_float_denorm_mode_16_64 3
		.amdhsa_dx10_clamp 1
		.amdhsa_ieee_mode 1
		.amdhsa_fp16_overflow 0
		.amdhsa_workgroup_processor_mode 1
		.amdhsa_memory_ordered 1
		.amdhsa_forward_progress 0
		.amdhsa_shared_vgpr_count 0
		.amdhsa_exception_fp_ieee_invalid_op 0
		.amdhsa_exception_fp_denorm_src 0
		.amdhsa_exception_fp_ieee_div_zero 0
		.amdhsa_exception_fp_ieee_overflow 0
		.amdhsa_exception_fp_ieee_underflow 0
		.amdhsa_exception_fp_ieee_inexact 0
		.amdhsa_exception_int_div_zero 0
	.end_amdhsa_kernel
	.section	.text._ZN9rocsolver6v33100L18getri_kernel_smallILi8E19rocblas_complex_numIdEPS3_EEvT1_iilPiilS6_bb,"axG",@progbits,_ZN9rocsolver6v33100L18getri_kernel_smallILi8E19rocblas_complex_numIdEPS3_EEvT1_iilPiilS6_bb,comdat
.Lfunc_end7:
	.size	_ZN9rocsolver6v33100L18getri_kernel_smallILi8E19rocblas_complex_numIdEPS3_EEvT1_iilPiilS6_bb, .Lfunc_end7-_ZN9rocsolver6v33100L18getri_kernel_smallILi8E19rocblas_complex_numIdEPS3_EEvT1_iilPiilS6_bb
                                        ; -- End function
	.section	.AMDGPU.csdata,"",@progbits
; Kernel info:
; codeLenInByte = 7420
; NumSgprs: 24
; NumVgprs: 74
; ScratchSize: 144
; MemoryBound: 0
; FloatMode: 240
; IeeeMode: 1
; LDSByteSize: 1288 bytes/workgroup (compile time only)
; SGPRBlocks: 2
; VGPRBlocks: 9
; NumSGPRsForWavesPerEU: 24
; NumVGPRsForWavesPerEU: 74
; Occupancy: 16
; WaveLimiterHint : 1
; COMPUTE_PGM_RSRC2:SCRATCH_EN: 1
; COMPUTE_PGM_RSRC2:USER_SGPR: 15
; COMPUTE_PGM_RSRC2:TRAP_HANDLER: 0
; COMPUTE_PGM_RSRC2:TGID_X_EN: 1
; COMPUTE_PGM_RSRC2:TGID_Y_EN: 0
; COMPUTE_PGM_RSRC2:TGID_Z_EN: 0
; COMPUTE_PGM_RSRC2:TIDIG_COMP_CNT: 2
	.section	.text._ZN9rocsolver6v33100L18getri_kernel_smallILi9E19rocblas_complex_numIdEPS3_EEvT1_iilPiilS6_bb,"axG",@progbits,_ZN9rocsolver6v33100L18getri_kernel_smallILi9E19rocblas_complex_numIdEPS3_EEvT1_iilPiilS6_bb,comdat
	.globl	_ZN9rocsolver6v33100L18getri_kernel_smallILi9E19rocblas_complex_numIdEPS3_EEvT1_iilPiilS6_bb ; -- Begin function _ZN9rocsolver6v33100L18getri_kernel_smallILi9E19rocblas_complex_numIdEPS3_EEvT1_iilPiilS6_bb
	.p2align	8
	.type	_ZN9rocsolver6v33100L18getri_kernel_smallILi9E19rocblas_complex_numIdEPS3_EEvT1_iilPiilS6_bb,@function
_ZN9rocsolver6v33100L18getri_kernel_smallILi9E19rocblas_complex_numIdEPS3_EEvT1_iilPiilS6_bb: ; @_ZN9rocsolver6v33100L18getri_kernel_smallILi9E19rocblas_complex_numIdEPS3_EEvT1_iilPiilS6_bb
; %bb.0:
	v_and_b32_e32 v31, 0x3ff, v0
	s_mov_b32 s4, exec_lo
	s_delay_alu instid0(VALU_DEP_1)
	v_cmpx_gt_u32_e32 9, v31
	s_cbranch_execz .LBB8_50
; %bb.1:
	s_mov_b32 s18, s15
	s_clause 0x2
	s_load_b32 s21, s[2:3], 0x38
	s_load_b128 s[12:15], s[2:3], 0x10
	s_load_b128 s[4:7], s[2:3], 0x28
                                        ; implicit-def: $sgpr16_sgpr17
	s_waitcnt lgkmcnt(0)
	s_bitcmp1_b32 s21, 8
	s_cselect_b32 s20, -1, 0
	s_bfe_u32 s8, s21, 0x10008
	s_ashr_i32 s19, s18, 31
	s_cmp_eq_u32 s8, 0
	s_cbranch_scc1 .LBB8_3
; %bb.2:
	s_load_b32 s8, s[2:3], 0x20
	s_mul_i32 s5, s18, s5
	s_mul_hi_u32 s9, s18, s4
	s_mul_i32 s10, s19, s4
	s_add_i32 s5, s9, s5
	s_mul_i32 s4, s18, s4
	s_add_i32 s5, s5, s10
	s_delay_alu instid0(SALU_CYCLE_1)
	s_lshl_b64 s[4:5], s[4:5], 2
	s_waitcnt lgkmcnt(0)
	s_ashr_i32 s9, s8, 31
	s_add_u32 s10, s14, s4
	s_addc_u32 s11, s15, s5
	s_lshl_b64 s[4:5], s[8:9], 2
	s_delay_alu instid0(SALU_CYCLE_1)
	s_add_u32 s16, s10, s4
	s_addc_u32 s17, s11, s5
.LBB8_3:
	s_load_b128 s[8:11], s[2:3], 0x0
	s_mul_i32 s2, s18, s13
	s_mul_hi_u32 s3, s18, s12
	s_mul_i32 s4, s19, s12
	s_add_i32 s3, s3, s2
	s_mul_i32 s2, s18, s12
	s_add_i32 s3, s3, s4
	v_lshlrev_b32_e32 v40, 4, v31
	s_lshl_b64 s[2:3], s[2:3], 4
	v_add_nc_u32_e64 v35, 0, 32
	s_waitcnt lgkmcnt(0)
	v_add3_u32 v5, s11, s11, v31
	s_ashr_i32 s5, s10, 31
	s_mov_b32 s4, s10
	s_add_u32 s8, s8, s2
	s_addc_u32 s9, s9, s3
	v_add_nc_u32_e32 v7, s11, v5
	s_lshl_b64 s[2:3], s[4:5], 4
	v_ashrrev_i32_e32 v6, 31, v5
	s_add_u32 s2, s8, s2
	s_addc_u32 s3, s9, s3
	v_add_nc_u32_e32 v19, s11, v7
	v_add_co_u32 v13, s8, s2, v40
	v_ashrrev_i32_e32 v8, 31, v7
	s_mov_b32 s4, s11
	s_ashr_i32 s5, s11, 31
	v_add_co_ci_u32_e64 v14, null, s3, 0, s8
	v_lshlrev_b64 v[5:6], 4, v[5:6]
	s_lshl_b64 s[4:5], s[4:5], 4
	v_ashrrev_i32_e32 v20, 31, v19
	v_add_nc_u32_e32 v21, s11, v19
	v_add_co_u32 v15, vcc_lo, v13, s4
	v_lshlrev_b64 v[23:24], 4, v[7:8]
	v_add_co_ci_u32_e32 v16, vcc_lo, s5, v14, vcc_lo
	v_add_co_u32 v17, vcc_lo, s2, v5
	v_lshlrev_b64 v[25:26], 4, v[19:20]
	v_ashrrev_i32_e32 v22, 31, v21
	v_add_nc_u32_e32 v27, s11, v21
	v_add_co_ci_u32_e32 v18, vcc_lo, s3, v6, vcc_lo
	v_add_co_u32 v19, vcc_lo, s2, v23
	v_add_co_ci_u32_e32 v20, vcc_lo, s3, v24, vcc_lo
	v_lshlrev_b64 v[23:24], 4, v[21:22]
	v_add_co_u32 v21, vcc_lo, s2, v25
	v_add_nc_u32_e32 v25, s11, v27
	v_ashrrev_i32_e32 v28, 31, v27
	v_add_co_ci_u32_e32 v22, vcc_lo, s3, v26, vcc_lo
	v_add_co_u32 v23, vcc_lo, s2, v23
	s_delay_alu instid0(VALU_DEP_4) | instskip(SKIP_3) | instid1(VALU_DEP_4)
	v_add_nc_u32_e32 v29, s11, v25
	v_ashrrev_i32_e32 v26, 31, v25
	v_lshlrev_b64 v[27:28], 4, v[27:28]
	v_add_co_ci_u32_e32 v24, vcc_lo, s3, v24, vcc_lo
	v_ashrrev_i32_e32 v30, 31, v29
	s_delay_alu instid0(VALU_DEP_4)
	v_lshlrev_b64 v[32:33], 4, v[25:26]
	global_load_b128 v[1:4], v40, s[2:3]
	v_add_co_u32 v25, vcc_lo, s2, v27
	v_lshlrev_b64 v[29:30], 4, v[29:30]
	v_add_co_ci_u32_e32 v26, vcc_lo, s3, v28, vcc_lo
	v_add_co_u32 v27, vcc_lo, s2, v32
	s_clause 0x1
	global_load_b128 v[5:8], v[15:16], off
	global_load_b128 v[9:12], v[17:18], off
	v_add_co_ci_u32_e32 v28, vcc_lo, s3, v33, vcc_lo
	s_clause 0x2
	global_load_b128 v[36:39], v[19:20], off
	global_load_b128 v[41:44], v[21:22], off
	;; [unrolled: 1-line block ×3, first 2 shown]
	v_add_co_u32 v29, vcc_lo, s2, v29
	v_add_co_ci_u32_e32 v30, vcc_lo, s3, v30, vcc_lo
	s_clause 0x2
	global_load_b128 v[49:52], v[25:26], off
	global_load_b128 v[53:56], v[27:28], off
	;; [unrolled: 1-line block ×3, first 2 shown]
	s_movk_i32 s2, 0x50
	s_movk_i32 s3, 0x80
	v_add_nc_u32_e64 v34, s2, 0
	s_movk_i32 s2, 0x60
	v_add_nc_u32_e64 v33, 0, 16
	v_add_nc_u32_e64 v32, 0, 48
	s_bitcmp0_b32 s21, 0
	s_waitcnt vmcnt(8)
	scratch_store_b128 off, v[1:4], off
	s_waitcnt vmcnt(7)
	scratch_store_b128 off, v[5:8], off offset:16
	s_waitcnt vmcnt(6)
	scratch_store_b128 off, v[9:12], off offset:32
	;; [unrolled: 2-line block ×3, first 2 shown]
	v_add_nc_u32_e64 v38, s2, 0
	s_movk_i32 s2, 0x70
	v_add_nc_u32_e64 v36, 0, 64
	v_add_nc_u32_e64 v39, s2, 0
	;; [unrolled: 1-line block ×3, first 2 shown]
	s_mov_b32 s3, -1
	s_waitcnt vmcnt(4)
	scratch_store_b128 off, v[41:44], off offset:64
	s_waitcnt vmcnt(3)
	scratch_store_b128 off, v[45:48], off offset:80
	;; [unrolled: 2-line block ×5, first 2 shown]
	s_cbranch_scc1 .LBB8_48
; %bb.4:
	v_cmp_eq_u32_e64 s2, 0, v31
	s_delay_alu instid0(VALU_DEP_1)
	s_and_saveexec_b32 s3, s2
	s_cbranch_execz .LBB8_6
; %bb.5:
	v_mov_b32_e32 v1, 0
	ds_store_b32 v1, v1 offset:288
.LBB8_6:
	s_or_b32 exec_lo, exec_lo, s3
	s_waitcnt lgkmcnt(0)
	s_waitcnt_vscnt null, 0x0
	s_barrier
	buffer_gl0_inv
	scratch_load_b128 v[1:4], v40, off
	s_waitcnt vmcnt(0)
	v_cmp_eq_f64_e32 vcc_lo, 0, v[1:2]
	v_cmp_eq_f64_e64 s3, 0, v[3:4]
	s_delay_alu instid0(VALU_DEP_1) | instskip(NEXT) | instid1(SALU_CYCLE_1)
	s_and_b32 s3, vcc_lo, s3
	s_and_saveexec_b32 s4, s3
	s_cbranch_execz .LBB8_10
; %bb.7:
	v_mov_b32_e32 v1, 0
	s_mov_b32 s5, 0
	ds_load_b32 v2, v1 offset:288
	s_waitcnt lgkmcnt(0)
	v_readfirstlane_b32 s3, v2
	v_add_nc_u32_e32 v2, 1, v31
	s_delay_alu instid0(VALU_DEP_2) | instskip(NEXT) | instid1(VALU_DEP_1)
	s_cmp_eq_u32 s3, 0
	v_cmp_gt_i32_e32 vcc_lo, s3, v2
	s_cselect_b32 s8, -1, 0
	s_delay_alu instid0(SALU_CYCLE_1) | instskip(NEXT) | instid1(SALU_CYCLE_1)
	s_or_b32 s8, s8, vcc_lo
	s_and_b32 exec_lo, exec_lo, s8
	s_cbranch_execz .LBB8_10
; %bb.8:
	v_mov_b32_e32 v3, s3
.LBB8_9:                                ; =>This Inner Loop Header: Depth=1
	ds_cmpstore_rtn_b32 v3, v1, v2, v3 offset:288
	s_waitcnt lgkmcnt(0)
	v_cmp_ne_u32_e32 vcc_lo, 0, v3
	v_cmp_le_i32_e64 s3, v3, v2
	s_delay_alu instid0(VALU_DEP_1) | instskip(NEXT) | instid1(SALU_CYCLE_1)
	s_and_b32 s3, vcc_lo, s3
	s_and_b32 s3, exec_lo, s3
	s_delay_alu instid0(SALU_CYCLE_1) | instskip(NEXT) | instid1(SALU_CYCLE_1)
	s_or_b32 s5, s3, s5
	s_and_not1_b32 exec_lo, exec_lo, s5
	s_cbranch_execnz .LBB8_9
.LBB8_10:
	s_or_b32 exec_lo, exec_lo, s4
	v_mov_b32_e32 v1, 0
	s_barrier
	buffer_gl0_inv
	ds_load_b32 v2, v1 offset:288
	s_and_saveexec_b32 s3, s2
	s_cbranch_execz .LBB8_12
; %bb.11:
	s_lshl_b64 s[4:5], s[18:19], 2
	s_delay_alu instid0(SALU_CYCLE_1)
	s_add_u32 s4, s6, s4
	s_addc_u32 s5, s7, s5
	s_waitcnt lgkmcnt(0)
	global_store_b32 v1, v2, s[4:5]
.LBB8_12:
	s_or_b32 exec_lo, exec_lo, s3
	s_waitcnt lgkmcnt(0)
	v_cmp_ne_u32_e32 vcc_lo, 0, v2
	s_mov_b32 s3, 0
	s_cbranch_vccnz .LBB8_48
; %bb.13:
	v_add_nc_u32_e32 v41, 0, v40
                                        ; implicit-def: $vgpr9_vgpr10
	scratch_load_b128 v[1:4], v41, off
	s_waitcnt vmcnt(0)
	v_cmp_gt_f64_e32 vcc_lo, 0, v[1:2]
	v_xor_b32_e32 v6, 0x80000000, v2
	v_xor_b32_e32 v7, 0x80000000, v4
	s_delay_alu instid0(VALU_DEP_2) | instskip(SKIP_1) | instid1(VALU_DEP_3)
	v_cndmask_b32_e32 v6, v2, v6, vcc_lo
	v_cmp_gt_f64_e32 vcc_lo, 0, v[3:4]
	v_dual_mov_b32 v5, v1 :: v_dual_cndmask_b32 v8, v4, v7
	v_mov_b32_e32 v7, v3
	s_delay_alu instid0(VALU_DEP_1) | instskip(SKIP_1) | instid1(SALU_CYCLE_1)
	v_cmp_ngt_f64_e32 vcc_lo, v[5:6], v[7:8]
                                        ; implicit-def: $vgpr5_vgpr6
	s_and_saveexec_b32 s3, vcc_lo
	s_xor_b32 s3, exec_lo, s3
	s_cbranch_execz .LBB8_15
; %bb.14:
	v_div_scale_f64 v[5:6], null, v[3:4], v[3:4], v[1:2]
	v_div_scale_f64 v[11:12], vcc_lo, v[1:2], v[3:4], v[1:2]
	s_delay_alu instid0(VALU_DEP_2) | instskip(SKIP_2) | instid1(VALU_DEP_1)
	v_rcp_f64_e32 v[7:8], v[5:6]
	s_waitcnt_depctr 0xfff
	v_fma_f64 v[9:10], -v[5:6], v[7:8], 1.0
	v_fma_f64 v[7:8], v[7:8], v[9:10], v[7:8]
	s_delay_alu instid0(VALU_DEP_1) | instskip(NEXT) | instid1(VALU_DEP_1)
	v_fma_f64 v[9:10], -v[5:6], v[7:8], 1.0
	v_fma_f64 v[7:8], v[7:8], v[9:10], v[7:8]
	s_delay_alu instid0(VALU_DEP_1) | instskip(NEXT) | instid1(VALU_DEP_1)
	v_mul_f64 v[9:10], v[11:12], v[7:8]
	v_fma_f64 v[5:6], -v[5:6], v[9:10], v[11:12]
	s_delay_alu instid0(VALU_DEP_1) | instskip(NEXT) | instid1(VALU_DEP_1)
	v_div_fmas_f64 v[5:6], v[5:6], v[7:8], v[9:10]
	v_div_fixup_f64 v[5:6], v[5:6], v[3:4], v[1:2]
	s_delay_alu instid0(VALU_DEP_1) | instskip(NEXT) | instid1(VALU_DEP_1)
	v_fma_f64 v[1:2], v[1:2], v[5:6], v[3:4]
	v_div_scale_f64 v[3:4], null, v[1:2], v[1:2], 1.0
	v_div_scale_f64 v[11:12], vcc_lo, 1.0, v[1:2], 1.0
	s_delay_alu instid0(VALU_DEP_2) | instskip(SKIP_2) | instid1(VALU_DEP_1)
	v_rcp_f64_e32 v[7:8], v[3:4]
	s_waitcnt_depctr 0xfff
	v_fma_f64 v[9:10], -v[3:4], v[7:8], 1.0
	v_fma_f64 v[7:8], v[7:8], v[9:10], v[7:8]
	s_delay_alu instid0(VALU_DEP_1) | instskip(NEXT) | instid1(VALU_DEP_1)
	v_fma_f64 v[9:10], -v[3:4], v[7:8], 1.0
	v_fma_f64 v[7:8], v[7:8], v[9:10], v[7:8]
	s_delay_alu instid0(VALU_DEP_1) | instskip(NEXT) | instid1(VALU_DEP_1)
	v_mul_f64 v[9:10], v[11:12], v[7:8]
	v_fma_f64 v[3:4], -v[3:4], v[9:10], v[11:12]
	s_delay_alu instid0(VALU_DEP_1) | instskip(NEXT) | instid1(VALU_DEP_1)
	v_div_fmas_f64 v[3:4], v[3:4], v[7:8], v[9:10]
	v_div_fixup_f64 v[7:8], v[3:4], v[1:2], 1.0
                                        ; implicit-def: $vgpr1_vgpr2
	s_delay_alu instid0(VALU_DEP_1) | instskip(SKIP_1) | instid1(VALU_DEP_2)
	v_mul_f64 v[5:6], v[5:6], v[7:8]
	v_xor_b32_e32 v8, 0x80000000, v8
	v_xor_b32_e32 v10, 0x80000000, v6
	s_delay_alu instid0(VALU_DEP_3)
	v_mov_b32_e32 v9, v5
.LBB8_15:
	s_and_not1_saveexec_b32 s3, s3
	s_cbranch_execz .LBB8_17
; %bb.16:
	v_div_scale_f64 v[5:6], null, v[1:2], v[1:2], v[3:4]
	v_div_scale_f64 v[11:12], vcc_lo, v[3:4], v[1:2], v[3:4]
	s_delay_alu instid0(VALU_DEP_2) | instskip(SKIP_2) | instid1(VALU_DEP_1)
	v_rcp_f64_e32 v[7:8], v[5:6]
	s_waitcnt_depctr 0xfff
	v_fma_f64 v[9:10], -v[5:6], v[7:8], 1.0
	v_fma_f64 v[7:8], v[7:8], v[9:10], v[7:8]
	s_delay_alu instid0(VALU_DEP_1) | instskip(NEXT) | instid1(VALU_DEP_1)
	v_fma_f64 v[9:10], -v[5:6], v[7:8], 1.0
	v_fma_f64 v[7:8], v[7:8], v[9:10], v[7:8]
	s_delay_alu instid0(VALU_DEP_1) | instskip(NEXT) | instid1(VALU_DEP_1)
	v_mul_f64 v[9:10], v[11:12], v[7:8]
	v_fma_f64 v[5:6], -v[5:6], v[9:10], v[11:12]
	s_delay_alu instid0(VALU_DEP_1) | instskip(NEXT) | instid1(VALU_DEP_1)
	v_div_fmas_f64 v[5:6], v[5:6], v[7:8], v[9:10]
	v_div_fixup_f64 v[7:8], v[5:6], v[1:2], v[3:4]
	s_delay_alu instid0(VALU_DEP_1) | instskip(NEXT) | instid1(VALU_DEP_1)
	v_fma_f64 v[1:2], v[3:4], v[7:8], v[1:2]
	v_div_scale_f64 v[3:4], null, v[1:2], v[1:2], 1.0
	s_delay_alu instid0(VALU_DEP_1) | instskip(SKIP_2) | instid1(VALU_DEP_1)
	v_rcp_f64_e32 v[5:6], v[3:4]
	s_waitcnt_depctr 0xfff
	v_fma_f64 v[9:10], -v[3:4], v[5:6], 1.0
	v_fma_f64 v[5:6], v[5:6], v[9:10], v[5:6]
	s_delay_alu instid0(VALU_DEP_1) | instskip(NEXT) | instid1(VALU_DEP_1)
	v_fma_f64 v[9:10], -v[3:4], v[5:6], 1.0
	v_fma_f64 v[5:6], v[5:6], v[9:10], v[5:6]
	v_div_scale_f64 v[9:10], vcc_lo, 1.0, v[1:2], 1.0
	s_delay_alu instid0(VALU_DEP_1) | instskip(NEXT) | instid1(VALU_DEP_1)
	v_mul_f64 v[11:12], v[9:10], v[5:6]
	v_fma_f64 v[3:4], -v[3:4], v[11:12], v[9:10]
	s_delay_alu instid0(VALU_DEP_1) | instskip(NEXT) | instid1(VALU_DEP_1)
	v_div_fmas_f64 v[3:4], v[3:4], v[5:6], v[11:12]
	v_div_fixup_f64 v[5:6], v[3:4], v[1:2], 1.0
	s_delay_alu instid0(VALU_DEP_1)
	v_mul_f64 v[7:8], v[7:8], -v[5:6]
	v_xor_b32_e32 v10, 0x80000000, v6
	v_mov_b32_e32 v9, v5
.LBB8_17:
	s_or_b32 exec_lo, exec_lo, s3
	scratch_store_b128 v41, v[5:8], off
	scratch_load_b128 v[1:4], v33, off
	v_xor_b32_e32 v12, 0x80000000, v8
	v_mov_b32_e32 v11, v7
	v_add_nc_u32_e32 v5, 0x90, v40
	ds_store_b128 v40, v[9:12]
	s_waitcnt vmcnt(0)
	ds_store_b128 v40, v[1:4] offset:144
	s_waitcnt lgkmcnt(0)
	s_waitcnt_vscnt null, 0x0
	s_barrier
	buffer_gl0_inv
	s_and_saveexec_b32 s3, s2
	s_cbranch_execz .LBB8_19
; %bb.18:
	scratch_load_b128 v[1:4], v41, off
	ds_load_b128 v[6:9], v5
	v_mov_b32_e32 v10, 0
	ds_load_b128 v[42:45], v10 offset:16
	s_waitcnt vmcnt(0) lgkmcnt(1)
	v_mul_f64 v[10:11], v[6:7], v[3:4]
	v_mul_f64 v[3:4], v[8:9], v[3:4]
	s_delay_alu instid0(VALU_DEP_2) | instskip(NEXT) | instid1(VALU_DEP_2)
	v_fma_f64 v[8:9], v[8:9], v[1:2], v[10:11]
	v_fma_f64 v[1:2], v[6:7], v[1:2], -v[3:4]
	s_delay_alu instid0(VALU_DEP_2) | instskip(NEXT) | instid1(VALU_DEP_2)
	v_add_f64 v[3:4], v[8:9], 0
	v_add_f64 v[1:2], v[1:2], 0
	s_waitcnt lgkmcnt(0)
	s_delay_alu instid0(VALU_DEP_2) | instskip(NEXT) | instid1(VALU_DEP_2)
	v_mul_f64 v[6:7], v[3:4], v[44:45]
	v_mul_f64 v[8:9], v[1:2], v[44:45]
	s_delay_alu instid0(VALU_DEP_2) | instskip(NEXT) | instid1(VALU_DEP_2)
	v_fma_f64 v[1:2], v[1:2], v[42:43], -v[6:7]
	v_fma_f64 v[3:4], v[3:4], v[42:43], v[8:9]
	scratch_store_b128 off, v[1:4], off offset:16
.LBB8_19:
	s_or_b32 exec_lo, exec_lo, s3
	s_waitcnt_vscnt null, 0x0
	s_barrier
	buffer_gl0_inv
	scratch_load_b128 v[1:4], v35, off
	s_mov_b32 s3, exec_lo
	s_waitcnt vmcnt(0)
	ds_store_b128 v5, v[1:4]
	s_waitcnt lgkmcnt(0)
	s_barrier
	buffer_gl0_inv
	v_cmpx_gt_u32_e32 2, v31
	s_cbranch_execz .LBB8_23
; %bb.20:
	scratch_load_b128 v[1:4], v41, off
	ds_load_b128 v[6:9], v5
	s_waitcnt vmcnt(0) lgkmcnt(0)
	v_mul_f64 v[10:11], v[8:9], v[3:4]
	v_mul_f64 v[3:4], v[6:7], v[3:4]
	s_delay_alu instid0(VALU_DEP_2) | instskip(NEXT) | instid1(VALU_DEP_2)
	v_fma_f64 v[6:7], v[6:7], v[1:2], -v[10:11]
	v_fma_f64 v[3:4], v[8:9], v[1:2], v[3:4]
	s_delay_alu instid0(VALU_DEP_2) | instskip(NEXT) | instid1(VALU_DEP_2)
	v_add_f64 v[1:2], v[6:7], 0
	v_add_f64 v[3:4], v[3:4], 0
	s_and_saveexec_b32 s4, s2
	s_cbranch_execz .LBB8_22
; %bb.21:
	scratch_load_b128 v[6:9], off, off offset:16
	v_mov_b32_e32 v10, 0
	ds_load_b128 v[42:45], v10 offset:160
	s_waitcnt vmcnt(0) lgkmcnt(0)
	v_mul_f64 v[10:11], v[42:43], v[8:9]
	v_mul_f64 v[8:9], v[44:45], v[8:9]
	s_delay_alu instid0(VALU_DEP_2) | instskip(NEXT) | instid1(VALU_DEP_2)
	v_fma_f64 v[10:11], v[44:45], v[6:7], v[10:11]
	v_fma_f64 v[6:7], v[42:43], v[6:7], -v[8:9]
	s_delay_alu instid0(VALU_DEP_2) | instskip(NEXT) | instid1(VALU_DEP_2)
	v_add_f64 v[3:4], v[3:4], v[10:11]
	v_add_f64 v[1:2], v[1:2], v[6:7]
.LBB8_22:
	s_or_b32 exec_lo, exec_lo, s4
	v_mov_b32_e32 v6, 0
	ds_load_b128 v[6:9], v6 offset:32
	s_waitcnt lgkmcnt(0)
	v_mul_f64 v[10:11], v[3:4], v[8:9]
	v_mul_f64 v[8:9], v[1:2], v[8:9]
	s_delay_alu instid0(VALU_DEP_2) | instskip(NEXT) | instid1(VALU_DEP_2)
	v_fma_f64 v[1:2], v[1:2], v[6:7], -v[10:11]
	v_fma_f64 v[3:4], v[3:4], v[6:7], v[8:9]
	scratch_store_b128 off, v[1:4], off offset:32
.LBB8_23:
	s_or_b32 exec_lo, exec_lo, s3
	s_waitcnt_vscnt null, 0x0
	s_barrier
	buffer_gl0_inv
	scratch_load_b128 v[1:4], v32, off
	v_add_nc_u32_e32 v6, -1, v31
	s_mov_b32 s2, exec_lo
	s_waitcnt vmcnt(0)
	ds_store_b128 v5, v[1:4]
	s_waitcnt lgkmcnt(0)
	s_barrier
	buffer_gl0_inv
	v_cmpx_gt_u32_e32 3, v31
	s_cbranch_execz .LBB8_27
; %bb.24:
	v_dual_mov_b32 v1, 0 :: v_dual_add_nc_u32 v8, 0x90, v40
	v_dual_mov_b32 v2, 0 :: v_dual_add_nc_u32 v7, -1, v31
	v_or_b32_e32 v9, 8, v41
	s_mov_b32 s3, 0
	s_delay_alu instid0(VALU_DEP_2)
	v_dual_mov_b32 v4, v2 :: v_dual_mov_b32 v3, v1
	.p2align	6
.LBB8_25:                               ; =>This Inner Loop Header: Depth=1
	scratch_load_b128 v[42:45], v9, off offset:-8
	ds_load_b128 v[46:49], v8
	v_add_nc_u32_e32 v7, 1, v7
	v_add_nc_u32_e32 v8, 16, v8
	;; [unrolled: 1-line block ×3, first 2 shown]
	s_delay_alu instid0(VALU_DEP_3) | instskip(SKIP_4) | instid1(VALU_DEP_2)
	v_cmp_lt_u32_e32 vcc_lo, 1, v7
	s_or_b32 s3, vcc_lo, s3
	s_waitcnt vmcnt(0) lgkmcnt(0)
	v_mul_f64 v[10:11], v[48:49], v[44:45]
	v_mul_f64 v[44:45], v[46:47], v[44:45]
	v_fma_f64 v[10:11], v[46:47], v[42:43], -v[10:11]
	s_delay_alu instid0(VALU_DEP_2) | instskip(NEXT) | instid1(VALU_DEP_2)
	v_fma_f64 v[42:43], v[48:49], v[42:43], v[44:45]
	v_add_f64 v[3:4], v[3:4], v[10:11]
	s_delay_alu instid0(VALU_DEP_2)
	v_add_f64 v[1:2], v[1:2], v[42:43]
	s_and_not1_b32 exec_lo, exec_lo, s3
	s_cbranch_execnz .LBB8_25
; %bb.26:
	s_or_b32 exec_lo, exec_lo, s3
	v_mov_b32_e32 v7, 0
	ds_load_b128 v[7:10], v7 offset:48
	s_waitcnt lgkmcnt(0)
	v_mul_f64 v[11:12], v[1:2], v[9:10]
	v_mul_f64 v[42:43], v[3:4], v[9:10]
	s_delay_alu instid0(VALU_DEP_2) | instskip(NEXT) | instid1(VALU_DEP_2)
	v_fma_f64 v[9:10], v[3:4], v[7:8], -v[11:12]
	v_fma_f64 v[11:12], v[1:2], v[7:8], v[42:43]
	scratch_store_b128 off, v[9:12], off offset:48
.LBB8_27:
	s_or_b32 exec_lo, exec_lo, s2
	s_waitcnt_vscnt null, 0x0
	s_barrier
	buffer_gl0_inv
	scratch_load_b128 v[1:4], v36, off
	s_mov_b32 s2, exec_lo
	s_waitcnt vmcnt(0)
	ds_store_b128 v5, v[1:4]
	s_waitcnt lgkmcnt(0)
	s_barrier
	buffer_gl0_inv
	v_cmpx_gt_u32_e32 4, v31
	s_cbranch_execz .LBB8_31
; %bb.28:
	v_dual_mov_b32 v1, 0 :: v_dual_add_nc_u32 v8, 0x90, v40
	v_dual_mov_b32 v2, 0 :: v_dual_add_nc_u32 v7, -1, v31
	v_or_b32_e32 v9, 8, v41
	s_mov_b32 s3, 0
	s_delay_alu instid0(VALU_DEP_2)
	v_dual_mov_b32 v4, v2 :: v_dual_mov_b32 v3, v1
	.p2align	6
.LBB8_29:                               ; =>This Inner Loop Header: Depth=1
	scratch_load_b128 v[42:45], v9, off offset:-8
	ds_load_b128 v[46:49], v8
	v_add_nc_u32_e32 v7, 1, v7
	v_add_nc_u32_e32 v8, 16, v8
	v_add_nc_u32_e32 v9, 16, v9
	s_delay_alu instid0(VALU_DEP_3) | instskip(SKIP_4) | instid1(VALU_DEP_2)
	v_cmp_lt_u32_e32 vcc_lo, 2, v7
	s_or_b32 s3, vcc_lo, s3
	s_waitcnt vmcnt(0) lgkmcnt(0)
	v_mul_f64 v[10:11], v[48:49], v[44:45]
	v_mul_f64 v[44:45], v[46:47], v[44:45]
	v_fma_f64 v[10:11], v[46:47], v[42:43], -v[10:11]
	s_delay_alu instid0(VALU_DEP_2) | instskip(NEXT) | instid1(VALU_DEP_2)
	v_fma_f64 v[42:43], v[48:49], v[42:43], v[44:45]
	v_add_f64 v[3:4], v[3:4], v[10:11]
	s_delay_alu instid0(VALU_DEP_2)
	v_add_f64 v[1:2], v[1:2], v[42:43]
	s_and_not1_b32 exec_lo, exec_lo, s3
	s_cbranch_execnz .LBB8_29
; %bb.30:
	s_or_b32 exec_lo, exec_lo, s3
	v_mov_b32_e32 v7, 0
	ds_load_b128 v[7:10], v7 offset:64
	s_waitcnt lgkmcnt(0)
	v_mul_f64 v[11:12], v[1:2], v[9:10]
	v_mul_f64 v[42:43], v[3:4], v[9:10]
	s_delay_alu instid0(VALU_DEP_2) | instskip(NEXT) | instid1(VALU_DEP_2)
	v_fma_f64 v[9:10], v[3:4], v[7:8], -v[11:12]
	v_fma_f64 v[11:12], v[1:2], v[7:8], v[42:43]
	scratch_store_b128 off, v[9:12], off offset:64
.LBB8_31:
	s_or_b32 exec_lo, exec_lo, s2
	s_waitcnt_vscnt null, 0x0
	s_barrier
	buffer_gl0_inv
	scratch_load_b128 v[1:4], v34, off
	s_mov_b32 s2, exec_lo
	s_waitcnt vmcnt(0)
	ds_store_b128 v5, v[1:4]
	s_waitcnt lgkmcnt(0)
	s_barrier
	buffer_gl0_inv
	v_cmpx_gt_u32_e32 5, v31
	s_cbranch_execz .LBB8_35
; %bb.32:
	v_dual_mov_b32 v1, 0 :: v_dual_add_nc_u32 v8, 0x90, v40
	v_dual_mov_b32 v2, 0 :: v_dual_add_nc_u32 v7, -1, v31
	v_or_b32_e32 v9, 8, v41
	s_mov_b32 s3, 0
	s_delay_alu instid0(VALU_DEP_2)
	v_dual_mov_b32 v4, v2 :: v_dual_mov_b32 v3, v1
	.p2align	6
.LBB8_33:                               ; =>This Inner Loop Header: Depth=1
	scratch_load_b128 v[42:45], v9, off offset:-8
	ds_load_b128 v[46:49], v8
	v_add_nc_u32_e32 v7, 1, v7
	v_add_nc_u32_e32 v8, 16, v8
	;; [unrolled: 1-line block ×3, first 2 shown]
	s_delay_alu instid0(VALU_DEP_3) | instskip(SKIP_4) | instid1(VALU_DEP_2)
	v_cmp_lt_u32_e32 vcc_lo, 3, v7
	s_or_b32 s3, vcc_lo, s3
	s_waitcnt vmcnt(0) lgkmcnt(0)
	v_mul_f64 v[10:11], v[48:49], v[44:45]
	v_mul_f64 v[44:45], v[46:47], v[44:45]
	v_fma_f64 v[10:11], v[46:47], v[42:43], -v[10:11]
	s_delay_alu instid0(VALU_DEP_2) | instskip(NEXT) | instid1(VALU_DEP_2)
	v_fma_f64 v[42:43], v[48:49], v[42:43], v[44:45]
	v_add_f64 v[3:4], v[3:4], v[10:11]
	s_delay_alu instid0(VALU_DEP_2)
	v_add_f64 v[1:2], v[1:2], v[42:43]
	s_and_not1_b32 exec_lo, exec_lo, s3
	s_cbranch_execnz .LBB8_33
; %bb.34:
	s_or_b32 exec_lo, exec_lo, s3
	v_mov_b32_e32 v7, 0
	ds_load_b128 v[7:10], v7 offset:80
	s_waitcnt lgkmcnt(0)
	v_mul_f64 v[11:12], v[1:2], v[9:10]
	v_mul_f64 v[42:43], v[3:4], v[9:10]
	s_delay_alu instid0(VALU_DEP_2) | instskip(NEXT) | instid1(VALU_DEP_2)
	v_fma_f64 v[9:10], v[3:4], v[7:8], -v[11:12]
	v_fma_f64 v[11:12], v[1:2], v[7:8], v[42:43]
	scratch_store_b128 off, v[9:12], off offset:80
.LBB8_35:
	s_or_b32 exec_lo, exec_lo, s2
	s_waitcnt_vscnt null, 0x0
	s_barrier
	buffer_gl0_inv
	scratch_load_b128 v[1:4], v38, off
	s_mov_b32 s2, exec_lo
	s_waitcnt vmcnt(0)
	ds_store_b128 v5, v[1:4]
	s_waitcnt lgkmcnt(0)
	s_barrier
	buffer_gl0_inv
	v_cmpx_gt_u32_e32 6, v31
	s_cbranch_execz .LBB8_39
; %bb.36:
	v_dual_mov_b32 v1, 0 :: v_dual_add_nc_u32 v8, 0x90, v40
	v_dual_mov_b32 v2, 0 :: v_dual_add_nc_u32 v7, -1, v31
	v_or_b32_e32 v9, 8, v41
	s_mov_b32 s3, 0
	s_delay_alu instid0(VALU_DEP_2)
	v_dual_mov_b32 v4, v2 :: v_dual_mov_b32 v3, v1
	.p2align	6
.LBB8_37:                               ; =>This Inner Loop Header: Depth=1
	scratch_load_b128 v[42:45], v9, off offset:-8
	ds_load_b128 v[46:49], v8
	v_add_nc_u32_e32 v7, 1, v7
	v_add_nc_u32_e32 v8, 16, v8
	;; [unrolled: 1-line block ×3, first 2 shown]
	s_delay_alu instid0(VALU_DEP_3) | instskip(SKIP_4) | instid1(VALU_DEP_2)
	v_cmp_lt_u32_e32 vcc_lo, 4, v7
	s_or_b32 s3, vcc_lo, s3
	s_waitcnt vmcnt(0) lgkmcnt(0)
	v_mul_f64 v[10:11], v[48:49], v[44:45]
	v_mul_f64 v[44:45], v[46:47], v[44:45]
	v_fma_f64 v[10:11], v[46:47], v[42:43], -v[10:11]
	s_delay_alu instid0(VALU_DEP_2) | instskip(NEXT) | instid1(VALU_DEP_2)
	v_fma_f64 v[42:43], v[48:49], v[42:43], v[44:45]
	v_add_f64 v[3:4], v[3:4], v[10:11]
	s_delay_alu instid0(VALU_DEP_2)
	v_add_f64 v[1:2], v[1:2], v[42:43]
	s_and_not1_b32 exec_lo, exec_lo, s3
	s_cbranch_execnz .LBB8_37
; %bb.38:
	s_or_b32 exec_lo, exec_lo, s3
	v_mov_b32_e32 v7, 0
	ds_load_b128 v[7:10], v7 offset:96
	s_waitcnt lgkmcnt(0)
	v_mul_f64 v[11:12], v[1:2], v[9:10]
	v_mul_f64 v[42:43], v[3:4], v[9:10]
	s_delay_alu instid0(VALU_DEP_2) | instskip(NEXT) | instid1(VALU_DEP_2)
	v_fma_f64 v[9:10], v[3:4], v[7:8], -v[11:12]
	v_fma_f64 v[11:12], v[1:2], v[7:8], v[42:43]
	scratch_store_b128 off, v[9:12], off offset:96
.LBB8_39:
	s_or_b32 exec_lo, exec_lo, s2
	s_waitcnt_vscnt null, 0x0
	s_barrier
	buffer_gl0_inv
	scratch_load_b128 v[1:4], v39, off
	s_mov_b32 s2, exec_lo
	s_waitcnt vmcnt(0)
	ds_store_b128 v5, v[1:4]
	s_waitcnt lgkmcnt(0)
	s_barrier
	buffer_gl0_inv
	v_cmpx_gt_u32_e32 7, v31
	s_cbranch_execz .LBB8_43
; %bb.40:
	v_dual_mov_b32 v1, 0 :: v_dual_add_nc_u32 v8, 0x90, v40
	v_dual_mov_b32 v2, 0 :: v_dual_add_nc_u32 v7, -1, v31
	v_or_b32_e32 v9, 8, v41
	s_mov_b32 s3, 0
	s_delay_alu instid0(VALU_DEP_2)
	v_dual_mov_b32 v4, v2 :: v_dual_mov_b32 v3, v1
	.p2align	6
.LBB8_41:                               ; =>This Inner Loop Header: Depth=1
	scratch_load_b128 v[42:45], v9, off offset:-8
	ds_load_b128 v[46:49], v8
	v_add_nc_u32_e32 v7, 1, v7
	v_add_nc_u32_e32 v8, 16, v8
	;; [unrolled: 1-line block ×3, first 2 shown]
	s_delay_alu instid0(VALU_DEP_3) | instskip(SKIP_4) | instid1(VALU_DEP_2)
	v_cmp_lt_u32_e32 vcc_lo, 5, v7
	s_or_b32 s3, vcc_lo, s3
	s_waitcnt vmcnt(0) lgkmcnt(0)
	v_mul_f64 v[10:11], v[48:49], v[44:45]
	v_mul_f64 v[44:45], v[46:47], v[44:45]
	v_fma_f64 v[10:11], v[46:47], v[42:43], -v[10:11]
	s_delay_alu instid0(VALU_DEP_2) | instskip(NEXT) | instid1(VALU_DEP_2)
	v_fma_f64 v[42:43], v[48:49], v[42:43], v[44:45]
	v_add_f64 v[3:4], v[3:4], v[10:11]
	s_delay_alu instid0(VALU_DEP_2)
	v_add_f64 v[1:2], v[1:2], v[42:43]
	s_and_not1_b32 exec_lo, exec_lo, s3
	s_cbranch_execnz .LBB8_41
; %bb.42:
	s_or_b32 exec_lo, exec_lo, s3
	v_mov_b32_e32 v7, 0
	ds_load_b128 v[7:10], v7 offset:112
	s_waitcnt lgkmcnt(0)
	v_mul_f64 v[11:12], v[1:2], v[9:10]
	v_mul_f64 v[42:43], v[3:4], v[9:10]
	s_delay_alu instid0(VALU_DEP_2) | instskip(NEXT) | instid1(VALU_DEP_2)
	v_fma_f64 v[9:10], v[3:4], v[7:8], -v[11:12]
	v_fma_f64 v[11:12], v[1:2], v[7:8], v[42:43]
	scratch_store_b128 off, v[9:12], off offset:112
.LBB8_43:
	s_or_b32 exec_lo, exec_lo, s2
	s_waitcnt_vscnt null, 0x0
	s_barrier
	buffer_gl0_inv
	scratch_load_b128 v[1:4], v37, off
	s_mov_b32 s2, exec_lo
	s_waitcnt vmcnt(0)
	ds_store_b128 v5, v[1:4]
	s_waitcnt lgkmcnt(0)
	s_barrier
	buffer_gl0_inv
	v_cmpx_ne_u32_e32 8, v31
	s_cbranch_execz .LBB8_47
; %bb.44:
	v_mov_b32_e32 v1, 0
	v_mov_b32_e32 v2, 0
	v_or_b32_e32 v7, 8, v41
	s_mov_b32 s3, 0
	s_delay_alu instid0(VALU_DEP_2)
	v_dual_mov_b32 v4, v2 :: v_dual_mov_b32 v3, v1
	.p2align	6
.LBB8_45:                               ; =>This Inner Loop Header: Depth=1
	scratch_load_b128 v[8:11], v7, off offset:-8
	ds_load_b128 v[40:43], v5
	v_add_nc_u32_e32 v6, 1, v6
	v_add_nc_u32_e32 v5, 16, v5
	v_add_nc_u32_e32 v7, 16, v7
	s_delay_alu instid0(VALU_DEP_3) | instskip(SKIP_4) | instid1(VALU_DEP_2)
	v_cmp_lt_u32_e32 vcc_lo, 6, v6
	s_or_b32 s3, vcc_lo, s3
	s_waitcnt vmcnt(0) lgkmcnt(0)
	v_mul_f64 v[44:45], v[42:43], v[10:11]
	v_mul_f64 v[10:11], v[40:41], v[10:11]
	v_fma_f64 v[40:41], v[40:41], v[8:9], -v[44:45]
	s_delay_alu instid0(VALU_DEP_2) | instskip(NEXT) | instid1(VALU_DEP_2)
	v_fma_f64 v[8:9], v[42:43], v[8:9], v[10:11]
	v_add_f64 v[3:4], v[3:4], v[40:41]
	s_delay_alu instid0(VALU_DEP_2)
	v_add_f64 v[1:2], v[1:2], v[8:9]
	s_and_not1_b32 exec_lo, exec_lo, s3
	s_cbranch_execnz .LBB8_45
; %bb.46:
	s_or_b32 exec_lo, exec_lo, s3
	v_mov_b32_e32 v5, 0
	ds_load_b128 v[5:8], v5 offset:128
	s_waitcnt lgkmcnt(0)
	v_mul_f64 v[9:10], v[1:2], v[7:8]
	v_mul_f64 v[7:8], v[3:4], v[7:8]
	s_delay_alu instid0(VALU_DEP_2) | instskip(NEXT) | instid1(VALU_DEP_2)
	v_fma_f64 v[3:4], v[3:4], v[5:6], -v[9:10]
	v_fma_f64 v[5:6], v[1:2], v[5:6], v[7:8]
	scratch_store_b128 off, v[3:6], off offset:128
.LBB8_47:
	s_or_b32 exec_lo, exec_lo, s2
	s_mov_b32 s3, -1
	s_waitcnt_vscnt null, 0x0
	s_barrier
	buffer_gl0_inv
.LBB8_48:
	s_and_b32 vcc_lo, exec_lo, s3
	s_cbranch_vccz .LBB8_50
; %bb.49:
	s_lshl_b64 s[2:3], s[18:19], 2
	v_mov_b32_e32 v1, 0
	s_add_u32 s2, s6, s2
	s_addc_u32 s3, s7, s3
	global_load_b32 v1, v1, s[2:3]
	s_waitcnt vmcnt(0)
	v_cmp_ne_u32_e32 vcc_lo, 0, v1
	s_cbranch_vccz .LBB8_51
.LBB8_50:
	s_endpgm
.LBB8_51:
	v_lshl_add_u32 v5, v31, 4, 0x90
	s_mov_b32 s2, exec_lo
	v_cmpx_eq_u32_e32 8, v31
	s_cbranch_execz .LBB8_53
; %bb.52:
	scratch_load_b128 v[1:4], v39, off
	v_mov_b32_e32 v6, 0
	s_delay_alu instid0(VALU_DEP_1)
	v_mov_b32_e32 v7, v6
	v_mov_b32_e32 v8, v6
	;; [unrolled: 1-line block ×3, first 2 shown]
	scratch_store_b128 off, v[6:9], off offset:112
	s_waitcnt vmcnt(0)
	ds_store_b128 v5, v[1:4]
.LBB8_53:
	s_or_b32 exec_lo, exec_lo, s2
	s_waitcnt lgkmcnt(0)
	s_waitcnt_vscnt null, 0x0
	s_barrier
	buffer_gl0_inv
	s_clause 0x1
	scratch_load_b128 v[6:9], off, off offset:128
	scratch_load_b128 v[40:43], off, off offset:112
	v_mov_b32_e32 v1, 0
	s_mov_b32 s2, exec_lo
	ds_load_b128 v[44:47], v1 offset:272
	s_waitcnt vmcnt(1) lgkmcnt(0)
	v_mul_f64 v[2:3], v[46:47], v[8:9]
	v_mul_f64 v[8:9], v[44:45], v[8:9]
	s_delay_alu instid0(VALU_DEP_2) | instskip(NEXT) | instid1(VALU_DEP_2)
	v_fma_f64 v[2:3], v[44:45], v[6:7], -v[2:3]
	v_fma_f64 v[6:7], v[46:47], v[6:7], v[8:9]
	s_delay_alu instid0(VALU_DEP_2) | instskip(NEXT) | instid1(VALU_DEP_2)
	v_add_f64 v[2:3], v[2:3], 0
	v_add_f64 v[8:9], v[6:7], 0
	s_waitcnt vmcnt(0)
	s_delay_alu instid0(VALU_DEP_2) | instskip(NEXT) | instid1(VALU_DEP_2)
	v_add_f64 v[6:7], v[40:41], -v[2:3]
	v_add_f64 v[8:9], v[42:43], -v[8:9]
	scratch_store_b128 off, v[6:9], off offset:112
	v_cmpx_lt_u32_e32 6, v31
	s_cbranch_execz .LBB8_55
; %bb.54:
	scratch_load_b128 v[6:9], v38, off
	v_mov_b32_e32 v2, v1
	v_mov_b32_e32 v3, v1
	;; [unrolled: 1-line block ×3, first 2 shown]
	scratch_store_b128 off, v[1:4], off offset:96
	s_waitcnt vmcnt(0)
	ds_store_b128 v5, v[6:9]
.LBB8_55:
	s_or_b32 exec_lo, exec_lo, s2
	s_waitcnt lgkmcnt(0)
	s_waitcnt_vscnt null, 0x0
	s_barrier
	buffer_gl0_inv
	s_clause 0x2
	scratch_load_b128 v[6:9], off, off offset:112
	scratch_load_b128 v[40:43], off, off offset:128
	;; [unrolled: 1-line block ×3, first 2 shown]
	ds_load_b128 v[48:51], v1 offset:256
	ds_load_b128 v[1:4], v1 offset:272
	s_mov_b32 s2, exec_lo
	s_waitcnt vmcnt(2) lgkmcnt(1)
	v_mul_f64 v[10:11], v[50:51], v[8:9]
	v_mul_f64 v[8:9], v[48:49], v[8:9]
	s_waitcnt vmcnt(1) lgkmcnt(0)
	v_mul_f64 v[52:53], v[1:2], v[42:43]
	v_mul_f64 v[42:43], v[3:4], v[42:43]
	s_delay_alu instid0(VALU_DEP_4) | instskip(NEXT) | instid1(VALU_DEP_4)
	v_fma_f64 v[10:11], v[48:49], v[6:7], -v[10:11]
	v_fma_f64 v[6:7], v[50:51], v[6:7], v[8:9]
	s_delay_alu instid0(VALU_DEP_4) | instskip(NEXT) | instid1(VALU_DEP_4)
	v_fma_f64 v[3:4], v[3:4], v[40:41], v[52:53]
	v_fma_f64 v[1:2], v[1:2], v[40:41], -v[42:43]
	s_delay_alu instid0(VALU_DEP_4) | instskip(NEXT) | instid1(VALU_DEP_4)
	v_add_f64 v[8:9], v[10:11], 0
	v_add_f64 v[6:7], v[6:7], 0
	s_delay_alu instid0(VALU_DEP_2) | instskip(NEXT) | instid1(VALU_DEP_2)
	v_add_f64 v[1:2], v[8:9], v[1:2]
	v_add_f64 v[3:4], v[6:7], v[3:4]
	s_waitcnt vmcnt(0)
	s_delay_alu instid0(VALU_DEP_2) | instskip(NEXT) | instid1(VALU_DEP_2)
	v_add_f64 v[1:2], v[44:45], -v[1:2]
	v_add_f64 v[3:4], v[46:47], -v[3:4]
	scratch_store_b128 off, v[1:4], off offset:96
	v_cmpx_lt_u32_e32 5, v31
	s_cbranch_execz .LBB8_57
; %bb.56:
	scratch_load_b128 v[1:4], v34, off
	v_mov_b32_e32 v6, 0
	s_delay_alu instid0(VALU_DEP_1)
	v_mov_b32_e32 v7, v6
	v_mov_b32_e32 v8, v6
	;; [unrolled: 1-line block ×3, first 2 shown]
	scratch_store_b128 off, v[6:9], off offset:80
	s_waitcnt vmcnt(0)
	ds_store_b128 v5, v[1:4]
.LBB8_57:
	s_or_b32 exec_lo, exec_lo, s2
	s_waitcnt lgkmcnt(0)
	s_waitcnt_vscnt null, 0x0
	s_barrier
	buffer_gl0_inv
	s_clause 0x3
	scratch_load_b128 v[6:9], off, off offset:96
	scratch_load_b128 v[40:43], off, off offset:112
	;; [unrolled: 1-line block ×4, first 2 shown]
	v_mov_b32_e32 v1, 0
	ds_load_b128 v[52:55], v1 offset:240
	ds_load_b128 v[56:59], v1 offset:256
	s_mov_b32 s2, exec_lo
	s_waitcnt vmcnt(3) lgkmcnt(1)
	v_mul_f64 v[2:3], v[54:55], v[8:9]
	v_mul_f64 v[8:9], v[52:53], v[8:9]
	s_waitcnt vmcnt(2) lgkmcnt(0)
	v_mul_f64 v[10:11], v[56:57], v[42:43]
	v_mul_f64 v[42:43], v[58:59], v[42:43]
	s_delay_alu instid0(VALU_DEP_4) | instskip(NEXT) | instid1(VALU_DEP_4)
	v_fma_f64 v[2:3], v[52:53], v[6:7], -v[2:3]
	v_fma_f64 v[52:53], v[54:55], v[6:7], v[8:9]
	ds_load_b128 v[6:9], v1 offset:272
	v_fma_f64 v[10:11], v[58:59], v[40:41], v[10:11]
	v_fma_f64 v[40:41], v[56:57], v[40:41], -v[42:43]
	s_waitcnt vmcnt(1) lgkmcnt(0)
	v_mul_f64 v[54:55], v[6:7], v[46:47]
	v_mul_f64 v[46:47], v[8:9], v[46:47]
	v_add_f64 v[2:3], v[2:3], 0
	v_add_f64 v[42:43], v[52:53], 0
	s_delay_alu instid0(VALU_DEP_4) | instskip(NEXT) | instid1(VALU_DEP_4)
	v_fma_f64 v[8:9], v[8:9], v[44:45], v[54:55]
	v_fma_f64 v[6:7], v[6:7], v[44:45], -v[46:47]
	s_delay_alu instid0(VALU_DEP_4) | instskip(NEXT) | instid1(VALU_DEP_4)
	v_add_f64 v[2:3], v[2:3], v[40:41]
	v_add_f64 v[10:11], v[42:43], v[10:11]
	s_delay_alu instid0(VALU_DEP_2) | instskip(NEXT) | instid1(VALU_DEP_2)
	v_add_f64 v[2:3], v[2:3], v[6:7]
	v_add_f64 v[8:9], v[10:11], v[8:9]
	s_waitcnt vmcnt(0)
	s_delay_alu instid0(VALU_DEP_2) | instskip(NEXT) | instid1(VALU_DEP_2)
	v_add_f64 v[6:7], v[48:49], -v[2:3]
	v_add_f64 v[8:9], v[50:51], -v[8:9]
	scratch_store_b128 off, v[6:9], off offset:80
	v_cmpx_lt_u32_e32 4, v31
	s_cbranch_execz .LBB8_59
; %bb.58:
	scratch_load_b128 v[6:9], v36, off
	v_mov_b32_e32 v2, v1
	v_mov_b32_e32 v3, v1
	;; [unrolled: 1-line block ×3, first 2 shown]
	scratch_store_b128 off, v[1:4], off offset:64
	s_waitcnt vmcnt(0)
	ds_store_b128 v5, v[6:9]
.LBB8_59:
	s_or_b32 exec_lo, exec_lo, s2
	s_waitcnt lgkmcnt(0)
	s_waitcnt_vscnt null, 0x0
	s_barrier
	buffer_gl0_inv
	s_clause 0x4
	scratch_load_b128 v[6:9], off, off offset:80
	scratch_load_b128 v[40:43], off, off offset:96
	scratch_load_b128 v[44:47], off, off offset:112
	scratch_load_b128 v[48:51], off, off offset:128
	scratch_load_b128 v[52:55], off, off offset:64
	ds_load_b128 v[56:59], v1 offset:224
	ds_load_b128 v[60:63], v1 offset:240
	s_mov_b32 s2, exec_lo
	s_waitcnt vmcnt(4) lgkmcnt(1)
	v_mul_f64 v[2:3], v[58:59], v[8:9]
	v_mul_f64 v[8:9], v[56:57], v[8:9]
	s_waitcnt vmcnt(3) lgkmcnt(0)
	v_mul_f64 v[10:11], v[60:61], v[42:43]
	v_mul_f64 v[42:43], v[62:63], v[42:43]
	s_delay_alu instid0(VALU_DEP_4) | instskip(NEXT) | instid1(VALU_DEP_4)
	v_fma_f64 v[56:57], v[56:57], v[6:7], -v[2:3]
	v_fma_f64 v[58:59], v[58:59], v[6:7], v[8:9]
	ds_load_b128 v[6:9], v1 offset:256
	ds_load_b128 v[1:4], v1 offset:272
	v_fma_f64 v[10:11], v[62:63], v[40:41], v[10:11]
	v_fma_f64 v[40:41], v[60:61], v[40:41], -v[42:43]
	s_waitcnt vmcnt(2) lgkmcnt(1)
	v_mul_f64 v[64:65], v[6:7], v[46:47]
	v_mul_f64 v[46:47], v[8:9], v[46:47]
	v_add_f64 v[42:43], v[56:57], 0
	v_add_f64 v[56:57], v[58:59], 0
	s_waitcnt vmcnt(1) lgkmcnt(0)
	v_mul_f64 v[58:59], v[1:2], v[50:51]
	v_mul_f64 v[50:51], v[3:4], v[50:51]
	v_fma_f64 v[8:9], v[8:9], v[44:45], v[64:65]
	v_fma_f64 v[6:7], v[6:7], v[44:45], -v[46:47]
	v_add_f64 v[40:41], v[42:43], v[40:41]
	v_add_f64 v[10:11], v[56:57], v[10:11]
	v_fma_f64 v[3:4], v[3:4], v[48:49], v[58:59]
	v_fma_f64 v[1:2], v[1:2], v[48:49], -v[50:51]
	s_delay_alu instid0(VALU_DEP_4) | instskip(NEXT) | instid1(VALU_DEP_4)
	v_add_f64 v[6:7], v[40:41], v[6:7]
	v_add_f64 v[8:9], v[10:11], v[8:9]
	s_delay_alu instid0(VALU_DEP_2) | instskip(NEXT) | instid1(VALU_DEP_2)
	v_add_f64 v[1:2], v[6:7], v[1:2]
	v_add_f64 v[3:4], v[8:9], v[3:4]
	s_waitcnt vmcnt(0)
	s_delay_alu instid0(VALU_DEP_2) | instskip(NEXT) | instid1(VALU_DEP_2)
	v_add_f64 v[1:2], v[52:53], -v[1:2]
	v_add_f64 v[3:4], v[54:55], -v[3:4]
	scratch_store_b128 off, v[1:4], off offset:64
	v_cmpx_lt_u32_e32 3, v31
	s_cbranch_execz .LBB8_61
; %bb.60:
	scratch_load_b128 v[1:4], v32, off
	v_mov_b32_e32 v6, 0
	s_delay_alu instid0(VALU_DEP_1)
	v_mov_b32_e32 v7, v6
	v_mov_b32_e32 v8, v6
	;; [unrolled: 1-line block ×3, first 2 shown]
	scratch_store_b128 off, v[6:9], off offset:48
	s_waitcnt vmcnt(0)
	ds_store_b128 v5, v[1:4]
.LBB8_61:
	s_or_b32 exec_lo, exec_lo, s2
	s_waitcnt lgkmcnt(0)
	s_waitcnt_vscnt null, 0x0
	s_barrier
	buffer_gl0_inv
	s_clause 0x5
	scratch_load_b128 v[6:9], off, off offset:64
	scratch_load_b128 v[40:43], off, off offset:80
	;; [unrolled: 1-line block ×6, first 2 shown]
	v_mov_b32_e32 v1, 0
	ds_load_b128 v[60:63], v1 offset:208
	ds_load_b128 v[64:67], v1 offset:224
	s_mov_b32 s2, exec_lo
	s_waitcnt vmcnt(5) lgkmcnt(1)
	v_mul_f64 v[2:3], v[62:63], v[8:9]
	v_mul_f64 v[8:9], v[60:61], v[8:9]
	s_waitcnt vmcnt(4) lgkmcnt(0)
	v_mul_f64 v[10:11], v[64:65], v[42:43]
	v_mul_f64 v[42:43], v[66:67], v[42:43]
	s_delay_alu instid0(VALU_DEP_4) | instskip(NEXT) | instid1(VALU_DEP_4)
	v_fma_f64 v[2:3], v[60:61], v[6:7], -v[2:3]
	v_fma_f64 v[68:69], v[62:63], v[6:7], v[8:9]
	ds_load_b128 v[6:9], v1 offset:240
	ds_load_b128 v[60:63], v1 offset:256
	v_fma_f64 v[10:11], v[66:67], v[40:41], v[10:11]
	v_fma_f64 v[40:41], v[64:65], v[40:41], -v[42:43]
	s_waitcnt vmcnt(3) lgkmcnt(1)
	v_mul_f64 v[70:71], v[6:7], v[46:47]
	v_mul_f64 v[46:47], v[8:9], v[46:47]
	s_waitcnt vmcnt(2) lgkmcnt(0)
	v_mul_f64 v[64:65], v[60:61], v[50:51]
	v_mul_f64 v[50:51], v[62:63], v[50:51]
	v_add_f64 v[2:3], v[2:3], 0
	v_add_f64 v[42:43], v[68:69], 0
	v_fma_f64 v[66:67], v[8:9], v[44:45], v[70:71]
	v_fma_f64 v[44:45], v[6:7], v[44:45], -v[46:47]
	ds_load_b128 v[6:9], v1 offset:272
	v_fma_f64 v[46:47], v[62:63], v[48:49], v[64:65]
	v_fma_f64 v[48:49], v[60:61], v[48:49], -v[50:51]
	v_add_f64 v[2:3], v[2:3], v[40:41]
	v_add_f64 v[10:11], v[42:43], v[10:11]
	s_waitcnt vmcnt(1) lgkmcnt(0)
	v_mul_f64 v[40:41], v[6:7], v[54:55]
	v_mul_f64 v[42:43], v[8:9], v[54:55]
	s_delay_alu instid0(VALU_DEP_4) | instskip(NEXT) | instid1(VALU_DEP_4)
	v_add_f64 v[2:3], v[2:3], v[44:45]
	v_add_f64 v[10:11], v[10:11], v[66:67]
	s_delay_alu instid0(VALU_DEP_4) | instskip(NEXT) | instid1(VALU_DEP_4)
	v_fma_f64 v[8:9], v[8:9], v[52:53], v[40:41]
	v_fma_f64 v[6:7], v[6:7], v[52:53], -v[42:43]
	s_delay_alu instid0(VALU_DEP_4) | instskip(NEXT) | instid1(VALU_DEP_4)
	v_add_f64 v[2:3], v[2:3], v[48:49]
	v_add_f64 v[10:11], v[10:11], v[46:47]
	s_delay_alu instid0(VALU_DEP_2) | instskip(NEXT) | instid1(VALU_DEP_2)
	v_add_f64 v[2:3], v[2:3], v[6:7]
	v_add_f64 v[8:9], v[10:11], v[8:9]
	s_waitcnt vmcnt(0)
	s_delay_alu instid0(VALU_DEP_2) | instskip(NEXT) | instid1(VALU_DEP_2)
	v_add_f64 v[6:7], v[56:57], -v[2:3]
	v_add_f64 v[8:9], v[58:59], -v[8:9]
	scratch_store_b128 off, v[6:9], off offset:48
	v_cmpx_lt_u32_e32 2, v31
	s_cbranch_execz .LBB8_63
; %bb.62:
	scratch_load_b128 v[6:9], v35, off
	v_mov_b32_e32 v2, v1
	v_mov_b32_e32 v3, v1
	;; [unrolled: 1-line block ×3, first 2 shown]
	scratch_store_b128 off, v[1:4], off offset:32
	s_waitcnt vmcnt(0)
	ds_store_b128 v5, v[6:9]
.LBB8_63:
	s_or_b32 exec_lo, exec_lo, s2
	s_waitcnt lgkmcnt(0)
	s_waitcnt_vscnt null, 0x0
	s_barrier
	buffer_gl0_inv
	s_clause 0x5
	scratch_load_b128 v[6:9], off, off offset:48
	scratch_load_b128 v[40:43], off, off offset:64
	;; [unrolled: 1-line block ×6, first 2 shown]
	ds_load_b128 v[60:63], v1 offset:192
	ds_load_b128 v[68:71], v1 offset:208
	scratch_load_b128 v[64:67], off, off offset:32
	s_mov_b32 s2, exec_lo
	s_waitcnt vmcnt(6) lgkmcnt(1)
	v_mul_f64 v[2:3], v[62:63], v[8:9]
	v_mul_f64 v[8:9], v[60:61], v[8:9]
	s_waitcnt vmcnt(5) lgkmcnt(0)
	v_mul_f64 v[10:11], v[68:69], v[42:43]
	v_mul_f64 v[42:43], v[70:71], v[42:43]
	s_delay_alu instid0(VALU_DEP_4) | instskip(NEXT) | instid1(VALU_DEP_4)
	v_fma_f64 v[2:3], v[60:61], v[6:7], -v[2:3]
	v_fma_f64 v[72:73], v[62:63], v[6:7], v[8:9]
	ds_load_b128 v[6:9], v1 offset:224
	ds_load_b128 v[60:63], v1 offset:240
	v_fma_f64 v[10:11], v[70:71], v[40:41], v[10:11]
	v_fma_f64 v[40:41], v[68:69], v[40:41], -v[42:43]
	s_waitcnt vmcnt(4) lgkmcnt(1)
	v_mul_f64 v[74:75], v[6:7], v[46:47]
	v_mul_f64 v[46:47], v[8:9], v[46:47]
	s_waitcnt vmcnt(3) lgkmcnt(0)
	v_mul_f64 v[68:69], v[60:61], v[50:51]
	v_mul_f64 v[50:51], v[62:63], v[50:51]
	v_add_f64 v[2:3], v[2:3], 0
	v_add_f64 v[42:43], v[72:73], 0
	v_fma_f64 v[70:71], v[8:9], v[44:45], v[74:75]
	v_fma_f64 v[44:45], v[6:7], v[44:45], -v[46:47]
	s_delay_alu instid0(VALU_DEP_4) | instskip(NEXT) | instid1(VALU_DEP_4)
	v_add_f64 v[40:41], v[2:3], v[40:41]
	v_add_f64 v[10:11], v[42:43], v[10:11]
	ds_load_b128 v[6:9], v1 offset:256
	ds_load_b128 v[1:4], v1 offset:272
	s_waitcnt vmcnt(2) lgkmcnt(1)
	v_mul_f64 v[42:43], v[6:7], v[54:55]
	v_mul_f64 v[46:47], v[8:9], v[54:55]
	v_fma_f64 v[54:55], v[62:63], v[48:49], v[68:69]
	v_fma_f64 v[48:49], v[60:61], v[48:49], -v[50:51]
	s_waitcnt vmcnt(1) lgkmcnt(0)
	v_mul_f64 v[50:51], v[3:4], v[58:59]
	v_add_f64 v[40:41], v[40:41], v[44:45]
	v_add_f64 v[10:11], v[10:11], v[70:71]
	v_mul_f64 v[44:45], v[1:2], v[58:59]
	v_fma_f64 v[8:9], v[8:9], v[52:53], v[42:43]
	v_fma_f64 v[6:7], v[6:7], v[52:53], -v[46:47]
	v_fma_f64 v[1:2], v[1:2], v[56:57], -v[50:51]
	v_add_f64 v[40:41], v[40:41], v[48:49]
	v_add_f64 v[10:11], v[10:11], v[54:55]
	v_fma_f64 v[3:4], v[3:4], v[56:57], v[44:45]
	s_delay_alu instid0(VALU_DEP_3) | instskip(NEXT) | instid1(VALU_DEP_3)
	v_add_f64 v[6:7], v[40:41], v[6:7]
	v_add_f64 v[8:9], v[10:11], v[8:9]
	s_delay_alu instid0(VALU_DEP_2) | instskip(NEXT) | instid1(VALU_DEP_2)
	v_add_f64 v[1:2], v[6:7], v[1:2]
	v_add_f64 v[3:4], v[8:9], v[3:4]
	s_waitcnt vmcnt(0)
	s_delay_alu instid0(VALU_DEP_2) | instskip(NEXT) | instid1(VALU_DEP_2)
	v_add_f64 v[1:2], v[64:65], -v[1:2]
	v_add_f64 v[3:4], v[66:67], -v[3:4]
	scratch_store_b128 off, v[1:4], off offset:32
	v_cmpx_lt_u32_e32 1, v31
	s_cbranch_execz .LBB8_65
; %bb.64:
	scratch_load_b128 v[1:4], v33, off
	v_mov_b32_e32 v6, 0
	s_delay_alu instid0(VALU_DEP_1)
	v_mov_b32_e32 v7, v6
	v_mov_b32_e32 v8, v6
	;; [unrolled: 1-line block ×3, first 2 shown]
	scratch_store_b128 off, v[6:9], off offset:16
	s_waitcnt vmcnt(0)
	ds_store_b128 v5, v[1:4]
.LBB8_65:
	s_or_b32 exec_lo, exec_lo, s2
	s_waitcnt lgkmcnt(0)
	s_waitcnt_vscnt null, 0x0
	s_barrier
	buffer_gl0_inv
	s_clause 0x6
	scratch_load_b128 v[6:9], off, off offset:32
	scratch_load_b128 v[40:43], off, off offset:48
	;; [unrolled: 1-line block ×7, first 2 shown]
	v_mov_b32_e32 v1, 0
	scratch_load_b128 v[68:71], off, off offset:16
	s_mov_b32 s2, exec_lo
	ds_load_b128 v[64:67], v1 offset:176
	ds_load_b128 v[72:75], v1 offset:192
	s_waitcnt vmcnt(7) lgkmcnt(1)
	v_mul_f64 v[2:3], v[66:67], v[8:9]
	v_mul_f64 v[8:9], v[64:65], v[8:9]
	s_waitcnt vmcnt(6) lgkmcnt(0)
	v_mul_f64 v[10:11], v[72:73], v[42:43]
	v_mul_f64 v[42:43], v[74:75], v[42:43]
	s_delay_alu instid0(VALU_DEP_4) | instskip(NEXT) | instid1(VALU_DEP_4)
	v_fma_f64 v[2:3], v[64:65], v[6:7], -v[2:3]
	v_fma_f64 v[76:77], v[66:67], v[6:7], v[8:9]
	ds_load_b128 v[6:9], v1 offset:208
	ds_load_b128 v[64:67], v1 offset:224
	v_fma_f64 v[10:11], v[74:75], v[40:41], v[10:11]
	v_fma_f64 v[40:41], v[72:73], v[40:41], -v[42:43]
	s_waitcnt vmcnt(5) lgkmcnt(1)
	v_mul_f64 v[78:79], v[6:7], v[46:47]
	v_mul_f64 v[46:47], v[8:9], v[46:47]
	s_waitcnt vmcnt(4) lgkmcnt(0)
	v_mul_f64 v[72:73], v[64:65], v[50:51]
	v_mul_f64 v[50:51], v[66:67], v[50:51]
	v_add_f64 v[2:3], v[2:3], 0
	v_add_f64 v[42:43], v[76:77], 0
	v_fma_f64 v[74:75], v[8:9], v[44:45], v[78:79]
	v_fma_f64 v[44:45], v[6:7], v[44:45], -v[46:47]
	v_fma_f64 v[66:67], v[66:67], v[48:49], v[72:73]
	v_fma_f64 v[48:49], v[64:65], v[48:49], -v[50:51]
	v_add_f64 v[2:3], v[2:3], v[40:41]
	v_add_f64 v[10:11], v[42:43], v[10:11]
	ds_load_b128 v[6:9], v1 offset:240
	ds_load_b128 v[40:43], v1 offset:256
	s_waitcnt vmcnt(3) lgkmcnt(1)
	v_mul_f64 v[46:47], v[6:7], v[54:55]
	v_mul_f64 v[54:55], v[8:9], v[54:55]
	s_waitcnt vmcnt(2) lgkmcnt(0)
	v_mul_f64 v[50:51], v[42:43], v[58:59]
	v_add_f64 v[2:3], v[2:3], v[44:45]
	v_add_f64 v[10:11], v[10:11], v[74:75]
	v_mul_f64 v[44:45], v[40:41], v[58:59]
	v_fma_f64 v[46:47], v[8:9], v[52:53], v[46:47]
	v_fma_f64 v[52:53], v[6:7], v[52:53], -v[54:55]
	ds_load_b128 v[6:9], v1 offset:272
	v_fma_f64 v[40:41], v[40:41], v[56:57], -v[50:51]
	v_add_f64 v[2:3], v[2:3], v[48:49]
	v_add_f64 v[10:11], v[10:11], v[66:67]
	v_fma_f64 v[42:43], v[42:43], v[56:57], v[44:45]
	s_waitcnt vmcnt(1) lgkmcnt(0)
	v_mul_f64 v[48:49], v[6:7], v[62:63]
	v_mul_f64 v[54:55], v[8:9], v[62:63]
	v_add_f64 v[2:3], v[2:3], v[52:53]
	v_add_f64 v[10:11], v[10:11], v[46:47]
	s_delay_alu instid0(VALU_DEP_4) | instskip(NEXT) | instid1(VALU_DEP_4)
	v_fma_f64 v[8:9], v[8:9], v[60:61], v[48:49]
	v_fma_f64 v[6:7], v[6:7], v[60:61], -v[54:55]
	s_delay_alu instid0(VALU_DEP_4) | instskip(NEXT) | instid1(VALU_DEP_4)
	v_add_f64 v[2:3], v[2:3], v[40:41]
	v_add_f64 v[10:11], v[10:11], v[42:43]
	s_delay_alu instid0(VALU_DEP_2) | instskip(NEXT) | instid1(VALU_DEP_2)
	v_add_f64 v[2:3], v[2:3], v[6:7]
	v_add_f64 v[8:9], v[10:11], v[8:9]
	s_waitcnt vmcnt(0)
	s_delay_alu instid0(VALU_DEP_2) | instskip(NEXT) | instid1(VALU_DEP_2)
	v_add_f64 v[6:7], v[68:69], -v[2:3]
	v_add_f64 v[8:9], v[70:71], -v[8:9]
	scratch_store_b128 off, v[6:9], off offset:16
	v_cmpx_ne_u32_e32 0, v31
	s_cbranch_execz .LBB8_67
; %bb.66:
	scratch_load_b128 v[6:9], off, off
	v_mov_b32_e32 v2, v1
	v_mov_b32_e32 v3, v1
	;; [unrolled: 1-line block ×3, first 2 shown]
	scratch_store_b128 off, v[1:4], off
	s_waitcnt vmcnt(0)
	ds_store_b128 v5, v[6:9]
.LBB8_67:
	s_or_b32 exec_lo, exec_lo, s2
	s_waitcnt lgkmcnt(0)
	s_waitcnt_vscnt null, 0x0
	s_barrier
	buffer_gl0_inv
	s_clause 0x7
	scratch_load_b128 v[2:5], off, off offset:16
	scratch_load_b128 v[6:9], off, off offset:32
	;; [unrolled: 1-line block ×8, first 2 shown]
	ds_load_b128 v[64:67], v1 offset:160
	ds_load_b128 v[68:71], v1 offset:176
	scratch_load_b128 v[72:75], off, off
	s_and_b32 vcc_lo, exec_lo, s20
	s_waitcnt vmcnt(8) lgkmcnt(1)
	v_mul_f64 v[10:11], v[66:67], v[4:5]
	v_mul_f64 v[4:5], v[64:65], v[4:5]
	s_waitcnt vmcnt(7) lgkmcnt(0)
	v_mul_f64 v[76:77], v[68:69], v[8:9]
	v_mul_f64 v[78:79], v[70:71], v[8:9]
	s_delay_alu instid0(VALU_DEP_4) | instskip(NEXT) | instid1(VALU_DEP_4)
	v_fma_f64 v[64:65], v[64:65], v[2:3], -v[10:11]
	v_fma_f64 v[66:67], v[66:67], v[2:3], v[4:5]
	ds_load_b128 v[2:5], v1 offset:192
	ds_load_b128 v[8:11], v1 offset:208
	v_fma_f64 v[70:71], v[70:71], v[6:7], v[76:77]
	v_fma_f64 v[6:7], v[68:69], v[6:7], -v[78:79]
	s_waitcnt vmcnt(6) lgkmcnt(1)
	v_mul_f64 v[80:81], v[2:3], v[42:43]
	v_mul_f64 v[42:43], v[4:5], v[42:43]
	s_waitcnt vmcnt(5) lgkmcnt(0)
	v_mul_f64 v[68:69], v[8:9], v[46:47]
	v_mul_f64 v[46:47], v[10:11], v[46:47]
	v_add_f64 v[64:65], v[64:65], 0
	v_add_f64 v[66:67], v[66:67], 0
	v_fma_f64 v[76:77], v[4:5], v[40:41], v[80:81]
	v_fma_f64 v[78:79], v[2:3], v[40:41], -v[42:43]
	ds_load_b128 v[2:5], v1 offset:224
	ds_load_b128 v[40:43], v1 offset:240
	v_fma_f64 v[10:11], v[10:11], v[44:45], v[68:69]
	v_fma_f64 v[8:9], v[8:9], v[44:45], -v[46:47]
	v_add_f64 v[6:7], v[64:65], v[6:7]
	v_add_f64 v[64:65], v[66:67], v[70:71]
	s_waitcnt vmcnt(4) lgkmcnt(1)
	v_mul_f64 v[66:67], v[2:3], v[50:51]
	v_mul_f64 v[50:51], v[4:5], v[50:51]
	s_waitcnt vmcnt(3) lgkmcnt(0)
	v_mul_f64 v[46:47], v[40:41], v[54:55]
	v_mul_f64 v[54:55], v[42:43], v[54:55]
	v_add_f64 v[6:7], v[6:7], v[78:79]
	v_add_f64 v[44:45], v[64:65], v[76:77]
	v_fma_f64 v[64:65], v[4:5], v[48:49], v[66:67]
	v_fma_f64 v[48:49], v[2:3], v[48:49], -v[50:51]
	v_fma_f64 v[42:43], v[42:43], v[52:53], v[46:47]
	v_fma_f64 v[40:41], v[40:41], v[52:53], -v[54:55]
	v_add_f64 v[50:51], v[6:7], v[8:9]
	v_add_f64 v[10:11], v[44:45], v[10:11]
	ds_load_b128 v[2:5], v1 offset:256
	ds_load_b128 v[6:9], v1 offset:272
	s_waitcnt vmcnt(2) lgkmcnt(1)
	v_mul_f64 v[44:45], v[2:3], v[58:59]
	v_mul_f64 v[58:59], v[4:5], v[58:59]
	v_add_f64 v[46:47], v[50:51], v[48:49]
	v_add_f64 v[10:11], v[10:11], v[64:65]
	s_waitcnt vmcnt(1) lgkmcnt(0)
	v_mul_f64 v[48:49], v[6:7], v[62:63]
	v_mul_f64 v[50:51], v[8:9], v[62:63]
	v_fma_f64 v[4:5], v[4:5], v[56:57], v[44:45]
	v_fma_f64 v[1:2], v[2:3], v[56:57], -v[58:59]
	v_add_f64 v[40:41], v[46:47], v[40:41]
	v_add_f64 v[10:11], v[10:11], v[42:43]
	v_fma_f64 v[8:9], v[8:9], v[60:61], v[48:49]
	v_fma_f64 v[6:7], v[6:7], v[60:61], -v[50:51]
	s_delay_alu instid0(VALU_DEP_4) | instskip(NEXT) | instid1(VALU_DEP_4)
	v_add_f64 v[1:2], v[40:41], v[1:2]
	v_add_f64 v[3:4], v[10:11], v[4:5]
	s_delay_alu instid0(VALU_DEP_2) | instskip(NEXT) | instid1(VALU_DEP_2)
	v_add_f64 v[1:2], v[1:2], v[6:7]
	v_add_f64 v[3:4], v[3:4], v[8:9]
	s_waitcnt vmcnt(0)
	s_delay_alu instid0(VALU_DEP_2) | instskip(NEXT) | instid1(VALU_DEP_2)
	v_add_f64 v[1:2], v[72:73], -v[1:2]
	v_add_f64 v[3:4], v[74:75], -v[3:4]
	scratch_store_b128 off, v[1:4], off
	s_cbranch_vccz .LBB8_85
; %bb.68:
	v_dual_mov_b32 v1, s16 :: v_dual_mov_b32 v2, s17
	s_load_b64 s[0:1], s[0:1], 0x4
	flat_load_b32 v1, v[1:2] offset:28
	v_bfe_u32 v2, v0, 10, 10
	v_bfe_u32 v0, v0, 20, 10
	s_waitcnt lgkmcnt(0)
	s_lshr_b32 s0, s0, 16
	s_delay_alu instid0(VALU_DEP_2) | instskip(SKIP_1) | instid1(SALU_CYCLE_1)
	v_mul_u32_u24_e32 v2, s1, v2
	s_mul_i32 s0, s0, s1
	v_mul_u32_u24_e32 v3, s0, v31
	s_mov_b32 s0, exec_lo
	s_delay_alu instid0(VALU_DEP_1) | instskip(NEXT) | instid1(VALU_DEP_1)
	v_add3_u32 v0, v3, v2, v0
	v_lshl_add_u32 v0, v0, 4, 0x128
	s_waitcnt vmcnt(0)
	v_cmpx_ne_u32_e32 8, v1
	s_cbranch_execz .LBB8_70
; %bb.69:
	v_lshl_add_u32 v9, v1, 4, 0
	s_clause 0x1
	scratch_load_b128 v[1:4], v39, off
	scratch_load_b128 v[5:8], v9, off offset:-16
	s_waitcnt vmcnt(1)
	ds_store_2addr_b64 v0, v[1:2], v[3:4] offset1:1
	s_waitcnt vmcnt(0)
	s_clause 0x1
	scratch_store_b128 v39, v[5:8], off
	scratch_store_b128 v9, v[1:4], off offset:-16
.LBB8_70:
	s_or_b32 exec_lo, exec_lo, s0
	v_dual_mov_b32 v1, s16 :: v_dual_mov_b32 v2, s17
	s_mov_b32 s0, exec_lo
	flat_load_b32 v1, v[1:2] offset:24
	s_waitcnt vmcnt(0) lgkmcnt(0)
	v_cmpx_ne_u32_e32 7, v1
	s_cbranch_execz .LBB8_72
; %bb.71:
	v_lshl_add_u32 v9, v1, 4, 0
	s_clause 0x1
	scratch_load_b128 v[1:4], v38, off
	scratch_load_b128 v[5:8], v9, off offset:-16
	s_waitcnt vmcnt(1)
	ds_store_2addr_b64 v0, v[1:2], v[3:4] offset1:1
	s_waitcnt vmcnt(0)
	s_clause 0x1
	scratch_store_b128 v38, v[5:8], off
	scratch_store_b128 v9, v[1:4], off offset:-16
.LBB8_72:
	s_or_b32 exec_lo, exec_lo, s0
	v_dual_mov_b32 v1, s16 :: v_dual_mov_b32 v2, s17
	s_mov_b32 s0, exec_lo
	flat_load_b32 v1, v[1:2] offset:20
	s_waitcnt vmcnt(0) lgkmcnt(0)
	;; [unrolled: 19-line block ×6, first 2 shown]
	v_cmpx_ne_u32_e32 2, v1
	s_cbranch_execz .LBB8_82
; %bb.81:
	v_lshl_add_u32 v9, v1, 4, 0
	s_clause 0x1
	scratch_load_b128 v[1:4], v33, off
	scratch_load_b128 v[5:8], v9, off offset:-16
	s_waitcnt vmcnt(1)
	ds_store_2addr_b64 v0, v[1:2], v[3:4] offset1:1
	s_waitcnt vmcnt(0)
	s_clause 0x1
	scratch_store_b128 v33, v[5:8], off
	scratch_store_b128 v9, v[1:4], off offset:-16
.LBB8_82:
	s_or_b32 exec_lo, exec_lo, s0
	v_dual_mov_b32 v1, s16 :: v_dual_mov_b32 v2, s17
	s_mov_b32 s0, exec_lo
	flat_load_b32 v1, v[1:2]
	s_waitcnt vmcnt(0) lgkmcnt(0)
	v_cmpx_ne_u32_e32 1, v1
	s_cbranch_execz .LBB8_84
; %bb.83:
	v_lshl_add_u32 v9, v1, 4, 0
	scratch_load_b128 v[1:4], off, off
	scratch_load_b128 v[5:8], v9, off offset:-16
	s_waitcnt vmcnt(1)
	ds_store_2addr_b64 v0, v[1:2], v[3:4] offset1:1
	s_waitcnt vmcnt(0)
	scratch_store_b128 off, v[5:8], off
	scratch_store_b128 v9, v[1:4], off offset:-16
.LBB8_84:
	s_or_b32 exec_lo, exec_lo, s0
.LBB8_85:
	scratch_load_b128 v[0:3], off, off
	s_clause 0x7
	scratch_load_b128 v[4:7], v33, off
	scratch_load_b128 v[8:11], v35, off
	;; [unrolled: 1-line block ×8, first 2 shown]
	s_waitcnt vmcnt(8)
	global_store_b128 v[13:14], v[0:3], off
	s_waitcnt vmcnt(7)
	global_store_b128 v[15:16], v[4:7], off
	;; [unrolled: 2-line block ×9, first 2 shown]
	s_endpgm
	.section	.rodata,"a",@progbits
	.p2align	6, 0x0
	.amdhsa_kernel _ZN9rocsolver6v33100L18getri_kernel_smallILi9E19rocblas_complex_numIdEPS3_EEvT1_iilPiilS6_bb
		.amdhsa_group_segment_fixed_size 1320
		.amdhsa_private_segment_fixed_size 160
		.amdhsa_kernarg_size 60
		.amdhsa_user_sgpr_count 15
		.amdhsa_user_sgpr_dispatch_ptr 1
		.amdhsa_user_sgpr_queue_ptr 0
		.amdhsa_user_sgpr_kernarg_segment_ptr 1
		.amdhsa_user_sgpr_dispatch_id 0
		.amdhsa_user_sgpr_private_segment_size 0
		.amdhsa_wavefront_size32 1
		.amdhsa_uses_dynamic_stack 0
		.amdhsa_enable_private_segment 1
		.amdhsa_system_sgpr_workgroup_id_x 1
		.amdhsa_system_sgpr_workgroup_id_y 0
		.amdhsa_system_sgpr_workgroup_id_z 0
		.amdhsa_system_sgpr_workgroup_info 0
		.amdhsa_system_vgpr_workitem_id 2
		.amdhsa_next_free_vgpr 82
		.amdhsa_next_free_sgpr 22
		.amdhsa_reserve_vcc 1
		.amdhsa_float_round_mode_32 0
		.amdhsa_float_round_mode_16_64 0
		.amdhsa_float_denorm_mode_32 3
		.amdhsa_float_denorm_mode_16_64 3
		.amdhsa_dx10_clamp 1
		.amdhsa_ieee_mode 1
		.amdhsa_fp16_overflow 0
		.amdhsa_workgroup_processor_mode 1
		.amdhsa_memory_ordered 1
		.amdhsa_forward_progress 0
		.amdhsa_shared_vgpr_count 0
		.amdhsa_exception_fp_ieee_invalid_op 0
		.amdhsa_exception_fp_denorm_src 0
		.amdhsa_exception_fp_ieee_div_zero 0
		.amdhsa_exception_fp_ieee_overflow 0
		.amdhsa_exception_fp_ieee_underflow 0
		.amdhsa_exception_fp_ieee_inexact 0
		.amdhsa_exception_int_div_zero 0
	.end_amdhsa_kernel
	.section	.text._ZN9rocsolver6v33100L18getri_kernel_smallILi9E19rocblas_complex_numIdEPS3_EEvT1_iilPiilS6_bb,"axG",@progbits,_ZN9rocsolver6v33100L18getri_kernel_smallILi9E19rocblas_complex_numIdEPS3_EEvT1_iilPiilS6_bb,comdat
.Lfunc_end8:
	.size	_ZN9rocsolver6v33100L18getri_kernel_smallILi9E19rocblas_complex_numIdEPS3_EEvT1_iilPiilS6_bb, .Lfunc_end8-_ZN9rocsolver6v33100L18getri_kernel_smallILi9E19rocblas_complex_numIdEPS3_EEvT1_iilPiilS6_bb
                                        ; -- End function
	.section	.AMDGPU.csdata,"",@progbits
; Kernel info:
; codeLenInByte = 8560
; NumSgprs: 24
; NumVgprs: 82
; ScratchSize: 160
; MemoryBound: 0
; FloatMode: 240
; IeeeMode: 1
; LDSByteSize: 1320 bytes/workgroup (compile time only)
; SGPRBlocks: 2
; VGPRBlocks: 10
; NumSGPRsForWavesPerEU: 24
; NumVGPRsForWavesPerEU: 82
; Occupancy: 16
; WaveLimiterHint : 1
; COMPUTE_PGM_RSRC2:SCRATCH_EN: 1
; COMPUTE_PGM_RSRC2:USER_SGPR: 15
; COMPUTE_PGM_RSRC2:TRAP_HANDLER: 0
; COMPUTE_PGM_RSRC2:TGID_X_EN: 1
; COMPUTE_PGM_RSRC2:TGID_Y_EN: 0
; COMPUTE_PGM_RSRC2:TGID_Z_EN: 0
; COMPUTE_PGM_RSRC2:TIDIG_COMP_CNT: 2
	.section	.text._ZN9rocsolver6v33100L18getri_kernel_smallILi10E19rocblas_complex_numIdEPS3_EEvT1_iilPiilS6_bb,"axG",@progbits,_ZN9rocsolver6v33100L18getri_kernel_smallILi10E19rocblas_complex_numIdEPS3_EEvT1_iilPiilS6_bb,comdat
	.globl	_ZN9rocsolver6v33100L18getri_kernel_smallILi10E19rocblas_complex_numIdEPS3_EEvT1_iilPiilS6_bb ; -- Begin function _ZN9rocsolver6v33100L18getri_kernel_smallILi10E19rocblas_complex_numIdEPS3_EEvT1_iilPiilS6_bb
	.p2align	8
	.type	_ZN9rocsolver6v33100L18getri_kernel_smallILi10E19rocblas_complex_numIdEPS3_EEvT1_iilPiilS6_bb,@function
_ZN9rocsolver6v33100L18getri_kernel_smallILi10E19rocblas_complex_numIdEPS3_EEvT1_iilPiilS6_bb: ; @_ZN9rocsolver6v33100L18getri_kernel_smallILi10E19rocblas_complex_numIdEPS3_EEvT1_iilPiilS6_bb
; %bb.0:
	v_and_b32_e32 v33, 0x3ff, v0
	s_mov_b32 s4, exec_lo
	s_delay_alu instid0(VALU_DEP_1)
	v_cmpx_gt_u32_e32 10, v33
	s_cbranch_execz .LBB9_54
; %bb.1:
	s_mov_b32 s18, s15
	s_clause 0x2
	s_load_b32 s21, s[2:3], 0x38
	s_load_b128 s[12:15], s[2:3], 0x10
	s_load_b128 s[4:7], s[2:3], 0x28
                                        ; implicit-def: $sgpr16_sgpr17
	s_waitcnt lgkmcnt(0)
	s_bitcmp1_b32 s21, 8
	s_cselect_b32 s20, -1, 0
	s_bfe_u32 s8, s21, 0x10008
	s_ashr_i32 s19, s18, 31
	s_cmp_eq_u32 s8, 0
	s_cbranch_scc1 .LBB9_3
; %bb.2:
	s_load_b32 s8, s[2:3], 0x20
	s_mul_i32 s5, s18, s5
	s_mul_hi_u32 s9, s18, s4
	s_mul_i32 s10, s19, s4
	s_add_i32 s5, s9, s5
	s_mul_i32 s4, s18, s4
	s_add_i32 s5, s5, s10
	s_delay_alu instid0(SALU_CYCLE_1)
	s_lshl_b64 s[4:5], s[4:5], 2
	s_waitcnt lgkmcnt(0)
	s_ashr_i32 s9, s8, 31
	s_add_u32 s10, s14, s4
	s_addc_u32 s11, s15, s5
	s_lshl_b64 s[4:5], s[8:9], 2
	s_delay_alu instid0(SALU_CYCLE_1)
	s_add_u32 s16, s10, s4
	s_addc_u32 s17, s11, s5
.LBB9_3:
	s_load_b128 s[8:11], s[2:3], 0x0
	s_mul_i32 s2, s18, s13
	s_mul_hi_u32 s3, s18, s12
	s_mul_i32 s4, s19, s12
	s_add_i32 s3, s3, s2
	s_mul_i32 s2, s18, s12
	s_add_i32 s3, s3, s4
	v_lshlrev_b32_e32 v43, 4, v33
	s_lshl_b64 s[2:3], s[2:3], 4
	v_add_nc_u32_e64 v35, 0, 16
	v_add_nc_u32_e64 v37, 0, 32
	;; [unrolled: 1-line block ×3, first 2 shown]
	s_waitcnt lgkmcnt(0)
	v_add3_u32 v1, s11, s11, v33
	s_ashr_i32 s5, s10, 31
	s_mov_b32 s4, s10
	s_add_u32 s8, s8, s2
	s_addc_u32 s9, s9, s3
	v_add_nc_u32_e32 v5, s11, v1
	s_lshl_b64 s[2:3], s[4:5], 4
	v_ashrrev_i32_e32 v2, 31, v1
	s_add_u32 s2, s8, s2
	s_addc_u32 s3, s9, s3
	v_add_nc_u32_e32 v19, s11, v5
	v_add_co_u32 v13, s8, s2, v43
	v_ashrrev_i32_e32 v6, 31, v5
	s_mov_b32 s4, s11
	s_delay_alu instid0(VALU_DEP_3) | instskip(SKIP_3) | instid1(VALU_DEP_3)
	v_add_nc_u32_e32 v25, s11, v19
	s_ashr_i32 s5, s11, 31
	v_add_co_ci_u32_e64 v14, null, s3, 0, s8
	v_lshlrev_b64 v[1:2], 4, v[1:2]
	v_add_nc_u32_e32 v27, s11, v25
	s_lshl_b64 s[4:5], s[4:5], 4
	v_ashrrev_i32_e32 v20, 31, v19
	v_add_co_u32 v15, vcc_lo, v13, s4
	v_lshlrev_b64 v[21:22], 4, v[5:6]
	v_add_nc_u32_e32 v29, s11, v27
	v_add_co_ci_u32_e32 v16, vcc_lo, s5, v14, vcc_lo
	v_add_co_u32 v17, vcc_lo, s2, v1
	v_lshlrev_b64 v[23:24], 4, v[19:20]
	v_add_co_ci_u32_e32 v18, vcc_lo, s3, v2, vcc_lo
	v_add_co_u32 v19, vcc_lo, s2, v21
	v_ashrrev_i32_e32 v26, 31, v25
	v_ashrrev_i32_e32 v28, 31, v27
	;; [unrolled: 1-line block ×3, first 2 shown]
	v_add_co_ci_u32_e32 v20, vcc_lo, s3, v22, vcc_lo
	v_add_co_u32 v21, vcc_lo, s2, v23
	v_add_co_ci_u32_e32 v22, vcc_lo, s3, v24, vcc_lo
	v_lshlrev_b64 v[23:24], 4, v[25:26]
	v_lshlrev_b64 v[25:26], 4, v[27:28]
	;; [unrolled: 1-line block ×3, first 2 shown]
	v_add_nc_u32_e32 v29, s11, v29
	s_clause 0x2
	global_load_b128 v[1:4], v43, s[2:3]
	global_load_b128 v[5:8], v[15:16], off
	global_load_b128 v[9:12], v[17:18], off
	v_add_co_u32 v23, vcc_lo, s2, v23
	v_add_nc_u32_e32 v31, s11, v29
	v_ashrrev_i32_e32 v30, 31, v29
	v_add_co_ci_u32_e32 v24, vcc_lo, s3, v24, vcc_lo
	v_add_co_u32 v25, vcc_lo, s2, v25
	s_delay_alu instid0(VALU_DEP_4) | instskip(NEXT) | instid1(VALU_DEP_4)
	v_ashrrev_i32_e32 v32, 31, v31
	v_lshlrev_b64 v[29:30], 4, v[29:30]
	v_add_co_ci_u32_e32 v26, vcc_lo, s3, v26, vcc_lo
	v_add_co_u32 v27, vcc_lo, s2, v27
	s_delay_alu instid0(VALU_DEP_4)
	v_lshlrev_b64 v[31:32], 4, v[31:32]
	v_add_co_ci_u32_e32 v28, vcc_lo, s3, v28, vcc_lo
	v_add_co_u32 v29, vcc_lo, s2, v29
	v_add_co_ci_u32_e32 v30, vcc_lo, s3, v30, vcc_lo
	s_clause 0x1
	global_load_b128 v[38:41], v[19:20], off
	global_load_b128 v[44:47], v[21:22], off
	v_add_co_u32 v31, vcc_lo, s2, v31
	v_add_co_ci_u32_e32 v32, vcc_lo, s3, v32, vcc_lo
	s_clause 0x4
	global_load_b128 v[48:51], v[23:24], off
	global_load_b128 v[52:55], v[25:26], off
	;; [unrolled: 1-line block ×5, first 2 shown]
	s_movk_i32 s2, 0x50
	s_movk_i32 s3, 0x70
	v_add_nc_u32_e64 v36, s2, 0
	s_movk_i32 s2, 0x60
	s_bitcmp0_b32 s21, 0
	s_waitcnt vmcnt(9)
	scratch_store_b128 off, v[1:4], off
	s_waitcnt vmcnt(8)
	scratch_store_b128 off, v[5:8], off offset:16
	s_waitcnt vmcnt(7)
	scratch_store_b128 off, v[9:12], off offset:32
	;; [unrolled: 2-line block ×3, first 2 shown]
	v_add_nc_u32_e64 v40, s2, 0
	v_add_nc_u32_e64 v39, s3, 0
	s_movk_i32 s2, 0x80
	s_movk_i32 s3, 0x90
	v_add_nc_u32_e64 v38, 0, 64
	v_add_nc_u32_e64 v42, s2, 0
	v_add_nc_u32_e64 v41, s3, 0
	s_mov_b32 s3, -1
	s_waitcnt vmcnt(5)
	scratch_store_b128 off, v[44:47], off offset:64
	s_waitcnt vmcnt(4)
	scratch_store_b128 off, v[48:51], off offset:80
	;; [unrolled: 2-line block ×6, first 2 shown]
	s_cbranch_scc1 .LBB9_52
; %bb.4:
	v_cmp_eq_u32_e64 s2, 0, v33
	s_delay_alu instid0(VALU_DEP_1)
	s_and_saveexec_b32 s3, s2
	s_cbranch_execz .LBB9_6
; %bb.5:
	v_mov_b32_e32 v1, 0
	ds_store_b32 v1, v1 offset:320
.LBB9_6:
	s_or_b32 exec_lo, exec_lo, s3
	s_waitcnt lgkmcnt(0)
	s_waitcnt_vscnt null, 0x0
	s_barrier
	buffer_gl0_inv
	scratch_load_b128 v[1:4], v43, off
	s_waitcnt vmcnt(0)
	v_cmp_eq_f64_e32 vcc_lo, 0, v[1:2]
	v_cmp_eq_f64_e64 s3, 0, v[3:4]
	s_delay_alu instid0(VALU_DEP_1) | instskip(NEXT) | instid1(SALU_CYCLE_1)
	s_and_b32 s3, vcc_lo, s3
	s_and_saveexec_b32 s4, s3
	s_cbranch_execz .LBB9_10
; %bb.7:
	v_mov_b32_e32 v1, 0
	s_mov_b32 s5, 0
	ds_load_b32 v2, v1 offset:320
	s_waitcnt lgkmcnt(0)
	v_readfirstlane_b32 s3, v2
	v_add_nc_u32_e32 v2, 1, v33
	s_delay_alu instid0(VALU_DEP_2) | instskip(NEXT) | instid1(VALU_DEP_1)
	s_cmp_eq_u32 s3, 0
	v_cmp_gt_i32_e32 vcc_lo, s3, v2
	s_cselect_b32 s8, -1, 0
	s_delay_alu instid0(SALU_CYCLE_1) | instskip(NEXT) | instid1(SALU_CYCLE_1)
	s_or_b32 s8, s8, vcc_lo
	s_and_b32 exec_lo, exec_lo, s8
	s_cbranch_execz .LBB9_10
; %bb.8:
	v_mov_b32_e32 v3, s3
.LBB9_9:                                ; =>This Inner Loop Header: Depth=1
	ds_cmpstore_rtn_b32 v3, v1, v2, v3 offset:320
	s_waitcnt lgkmcnt(0)
	v_cmp_ne_u32_e32 vcc_lo, 0, v3
	v_cmp_le_i32_e64 s3, v3, v2
	s_delay_alu instid0(VALU_DEP_1) | instskip(NEXT) | instid1(SALU_CYCLE_1)
	s_and_b32 s3, vcc_lo, s3
	s_and_b32 s3, exec_lo, s3
	s_delay_alu instid0(SALU_CYCLE_1) | instskip(NEXT) | instid1(SALU_CYCLE_1)
	s_or_b32 s5, s3, s5
	s_and_not1_b32 exec_lo, exec_lo, s5
	s_cbranch_execnz .LBB9_9
.LBB9_10:
	s_or_b32 exec_lo, exec_lo, s4
	v_mov_b32_e32 v1, 0
	s_barrier
	buffer_gl0_inv
	ds_load_b32 v2, v1 offset:320
	s_and_saveexec_b32 s3, s2
	s_cbranch_execz .LBB9_12
; %bb.11:
	s_lshl_b64 s[4:5], s[18:19], 2
	s_delay_alu instid0(SALU_CYCLE_1)
	s_add_u32 s4, s6, s4
	s_addc_u32 s5, s7, s5
	s_waitcnt lgkmcnt(0)
	global_store_b32 v1, v2, s[4:5]
.LBB9_12:
	s_or_b32 exec_lo, exec_lo, s3
	s_waitcnt lgkmcnt(0)
	v_cmp_ne_u32_e32 vcc_lo, 0, v2
	s_mov_b32 s3, 0
	s_cbranch_vccnz .LBB9_52
; %bb.13:
	v_add_nc_u32_e32 v44, 0, v43
                                        ; implicit-def: $vgpr9_vgpr10
	scratch_load_b128 v[1:4], v44, off
	s_waitcnt vmcnt(0)
	v_mov_b32_e32 v5, v1
	v_cmp_gt_f64_e32 vcc_lo, 0, v[1:2]
	v_xor_b32_e32 v6, 0x80000000, v2
	v_xor_b32_e32 v7, 0x80000000, v4
	s_delay_alu instid0(VALU_DEP_2) | instskip(SKIP_1) | instid1(VALU_DEP_3)
	v_cndmask_b32_e32 v6, v2, v6, vcc_lo
	v_cmp_gt_f64_e32 vcc_lo, 0, v[3:4]
	v_dual_cndmask_b32 v8, v4, v7 :: v_dual_mov_b32 v7, v3
	s_delay_alu instid0(VALU_DEP_1) | instskip(SKIP_1) | instid1(SALU_CYCLE_1)
	v_cmp_ngt_f64_e32 vcc_lo, v[5:6], v[7:8]
                                        ; implicit-def: $vgpr5_vgpr6
	s_and_saveexec_b32 s3, vcc_lo
	s_xor_b32 s3, exec_lo, s3
	s_cbranch_execz .LBB9_15
; %bb.14:
	v_div_scale_f64 v[5:6], null, v[3:4], v[3:4], v[1:2]
	v_div_scale_f64 v[11:12], vcc_lo, v[1:2], v[3:4], v[1:2]
	s_delay_alu instid0(VALU_DEP_2) | instskip(SKIP_2) | instid1(VALU_DEP_1)
	v_rcp_f64_e32 v[7:8], v[5:6]
	s_waitcnt_depctr 0xfff
	v_fma_f64 v[9:10], -v[5:6], v[7:8], 1.0
	v_fma_f64 v[7:8], v[7:8], v[9:10], v[7:8]
	s_delay_alu instid0(VALU_DEP_1) | instskip(NEXT) | instid1(VALU_DEP_1)
	v_fma_f64 v[9:10], -v[5:6], v[7:8], 1.0
	v_fma_f64 v[7:8], v[7:8], v[9:10], v[7:8]
	s_delay_alu instid0(VALU_DEP_1) | instskip(NEXT) | instid1(VALU_DEP_1)
	v_mul_f64 v[9:10], v[11:12], v[7:8]
	v_fma_f64 v[5:6], -v[5:6], v[9:10], v[11:12]
	s_delay_alu instid0(VALU_DEP_1) | instskip(NEXT) | instid1(VALU_DEP_1)
	v_div_fmas_f64 v[5:6], v[5:6], v[7:8], v[9:10]
	v_div_fixup_f64 v[5:6], v[5:6], v[3:4], v[1:2]
	s_delay_alu instid0(VALU_DEP_1) | instskip(NEXT) | instid1(VALU_DEP_1)
	v_fma_f64 v[1:2], v[1:2], v[5:6], v[3:4]
	v_div_scale_f64 v[3:4], null, v[1:2], v[1:2], 1.0
	v_div_scale_f64 v[11:12], vcc_lo, 1.0, v[1:2], 1.0
	s_delay_alu instid0(VALU_DEP_2) | instskip(SKIP_2) | instid1(VALU_DEP_1)
	v_rcp_f64_e32 v[7:8], v[3:4]
	s_waitcnt_depctr 0xfff
	v_fma_f64 v[9:10], -v[3:4], v[7:8], 1.0
	v_fma_f64 v[7:8], v[7:8], v[9:10], v[7:8]
	s_delay_alu instid0(VALU_DEP_1) | instskip(NEXT) | instid1(VALU_DEP_1)
	v_fma_f64 v[9:10], -v[3:4], v[7:8], 1.0
	v_fma_f64 v[7:8], v[7:8], v[9:10], v[7:8]
	s_delay_alu instid0(VALU_DEP_1) | instskip(NEXT) | instid1(VALU_DEP_1)
	v_mul_f64 v[9:10], v[11:12], v[7:8]
	v_fma_f64 v[3:4], -v[3:4], v[9:10], v[11:12]
	s_delay_alu instid0(VALU_DEP_1) | instskip(NEXT) | instid1(VALU_DEP_1)
	v_div_fmas_f64 v[3:4], v[3:4], v[7:8], v[9:10]
	v_div_fixup_f64 v[7:8], v[3:4], v[1:2], 1.0
                                        ; implicit-def: $vgpr1_vgpr2
	s_delay_alu instid0(VALU_DEP_1) | instskip(SKIP_1) | instid1(VALU_DEP_2)
	v_mul_f64 v[5:6], v[5:6], v[7:8]
	v_xor_b32_e32 v8, 0x80000000, v8
	v_xor_b32_e32 v10, 0x80000000, v6
	s_delay_alu instid0(VALU_DEP_3)
	v_mov_b32_e32 v9, v5
.LBB9_15:
	s_and_not1_saveexec_b32 s3, s3
	s_cbranch_execz .LBB9_17
; %bb.16:
	v_div_scale_f64 v[5:6], null, v[1:2], v[1:2], v[3:4]
	v_div_scale_f64 v[11:12], vcc_lo, v[3:4], v[1:2], v[3:4]
	s_delay_alu instid0(VALU_DEP_2) | instskip(SKIP_2) | instid1(VALU_DEP_1)
	v_rcp_f64_e32 v[7:8], v[5:6]
	s_waitcnt_depctr 0xfff
	v_fma_f64 v[9:10], -v[5:6], v[7:8], 1.0
	v_fma_f64 v[7:8], v[7:8], v[9:10], v[7:8]
	s_delay_alu instid0(VALU_DEP_1) | instskip(NEXT) | instid1(VALU_DEP_1)
	v_fma_f64 v[9:10], -v[5:6], v[7:8], 1.0
	v_fma_f64 v[7:8], v[7:8], v[9:10], v[7:8]
	s_delay_alu instid0(VALU_DEP_1) | instskip(NEXT) | instid1(VALU_DEP_1)
	v_mul_f64 v[9:10], v[11:12], v[7:8]
	v_fma_f64 v[5:6], -v[5:6], v[9:10], v[11:12]
	s_delay_alu instid0(VALU_DEP_1) | instskip(NEXT) | instid1(VALU_DEP_1)
	v_div_fmas_f64 v[5:6], v[5:6], v[7:8], v[9:10]
	v_div_fixup_f64 v[7:8], v[5:6], v[1:2], v[3:4]
	s_delay_alu instid0(VALU_DEP_1) | instskip(NEXT) | instid1(VALU_DEP_1)
	v_fma_f64 v[1:2], v[3:4], v[7:8], v[1:2]
	v_div_scale_f64 v[3:4], null, v[1:2], v[1:2], 1.0
	s_delay_alu instid0(VALU_DEP_1) | instskip(SKIP_2) | instid1(VALU_DEP_1)
	v_rcp_f64_e32 v[5:6], v[3:4]
	s_waitcnt_depctr 0xfff
	v_fma_f64 v[9:10], -v[3:4], v[5:6], 1.0
	v_fma_f64 v[5:6], v[5:6], v[9:10], v[5:6]
	s_delay_alu instid0(VALU_DEP_1) | instskip(NEXT) | instid1(VALU_DEP_1)
	v_fma_f64 v[9:10], -v[3:4], v[5:6], 1.0
	v_fma_f64 v[5:6], v[5:6], v[9:10], v[5:6]
	v_div_scale_f64 v[9:10], vcc_lo, 1.0, v[1:2], 1.0
	s_delay_alu instid0(VALU_DEP_1) | instskip(NEXT) | instid1(VALU_DEP_1)
	v_mul_f64 v[11:12], v[9:10], v[5:6]
	v_fma_f64 v[3:4], -v[3:4], v[11:12], v[9:10]
	s_delay_alu instid0(VALU_DEP_1) | instskip(NEXT) | instid1(VALU_DEP_1)
	v_div_fmas_f64 v[3:4], v[3:4], v[5:6], v[11:12]
	v_div_fixup_f64 v[5:6], v[3:4], v[1:2], 1.0
	s_delay_alu instid0(VALU_DEP_1)
	v_mul_f64 v[7:8], v[7:8], -v[5:6]
	v_xor_b32_e32 v10, 0x80000000, v6
	v_mov_b32_e32 v9, v5
.LBB9_17:
	s_or_b32 exec_lo, exec_lo, s3
	scratch_store_b128 v44, v[5:8], off
	scratch_load_b128 v[1:4], v35, off
	v_xor_b32_e32 v12, 0x80000000, v8
	v_mov_b32_e32 v11, v7
	v_add_nc_u32_e32 v5, 0xa0, v43
	ds_store_b128 v43, v[9:12]
	s_waitcnt vmcnt(0)
	ds_store_b128 v43, v[1:4] offset:160
	s_waitcnt lgkmcnt(0)
	s_waitcnt_vscnt null, 0x0
	s_barrier
	buffer_gl0_inv
	s_and_saveexec_b32 s3, s2
	s_cbranch_execz .LBB9_19
; %bb.18:
	scratch_load_b128 v[1:4], v44, off
	ds_load_b128 v[6:9], v5
	v_mov_b32_e32 v10, 0
	ds_load_b128 v[45:48], v10 offset:16
	s_waitcnt vmcnt(0) lgkmcnt(1)
	v_mul_f64 v[10:11], v[6:7], v[3:4]
	v_mul_f64 v[3:4], v[8:9], v[3:4]
	s_delay_alu instid0(VALU_DEP_2) | instskip(NEXT) | instid1(VALU_DEP_2)
	v_fma_f64 v[8:9], v[8:9], v[1:2], v[10:11]
	v_fma_f64 v[1:2], v[6:7], v[1:2], -v[3:4]
	s_delay_alu instid0(VALU_DEP_2) | instskip(NEXT) | instid1(VALU_DEP_2)
	v_add_f64 v[3:4], v[8:9], 0
	v_add_f64 v[1:2], v[1:2], 0
	s_waitcnt lgkmcnt(0)
	s_delay_alu instid0(VALU_DEP_2) | instskip(NEXT) | instid1(VALU_DEP_2)
	v_mul_f64 v[6:7], v[3:4], v[47:48]
	v_mul_f64 v[8:9], v[1:2], v[47:48]
	s_delay_alu instid0(VALU_DEP_2) | instskip(NEXT) | instid1(VALU_DEP_2)
	v_fma_f64 v[1:2], v[1:2], v[45:46], -v[6:7]
	v_fma_f64 v[3:4], v[3:4], v[45:46], v[8:9]
	scratch_store_b128 off, v[1:4], off offset:16
.LBB9_19:
	s_or_b32 exec_lo, exec_lo, s3
	s_waitcnt_vscnt null, 0x0
	s_barrier
	buffer_gl0_inv
	scratch_load_b128 v[1:4], v37, off
	s_mov_b32 s3, exec_lo
	s_waitcnt vmcnt(0)
	ds_store_b128 v5, v[1:4]
	s_waitcnt lgkmcnt(0)
	s_barrier
	buffer_gl0_inv
	v_cmpx_gt_u32_e32 2, v33
	s_cbranch_execz .LBB9_23
; %bb.20:
	scratch_load_b128 v[1:4], v44, off
	ds_load_b128 v[6:9], v5
	s_waitcnt vmcnt(0) lgkmcnt(0)
	v_mul_f64 v[10:11], v[8:9], v[3:4]
	v_mul_f64 v[3:4], v[6:7], v[3:4]
	s_delay_alu instid0(VALU_DEP_2) | instskip(NEXT) | instid1(VALU_DEP_2)
	v_fma_f64 v[6:7], v[6:7], v[1:2], -v[10:11]
	v_fma_f64 v[3:4], v[8:9], v[1:2], v[3:4]
	s_delay_alu instid0(VALU_DEP_2) | instskip(NEXT) | instid1(VALU_DEP_2)
	v_add_f64 v[1:2], v[6:7], 0
	v_add_f64 v[3:4], v[3:4], 0
	s_and_saveexec_b32 s4, s2
	s_cbranch_execz .LBB9_22
; %bb.21:
	scratch_load_b128 v[6:9], off, off offset:16
	v_mov_b32_e32 v10, 0
	ds_load_b128 v[45:48], v10 offset:176
	s_waitcnt vmcnt(0) lgkmcnt(0)
	v_mul_f64 v[10:11], v[45:46], v[8:9]
	v_mul_f64 v[8:9], v[47:48], v[8:9]
	s_delay_alu instid0(VALU_DEP_2) | instskip(NEXT) | instid1(VALU_DEP_2)
	v_fma_f64 v[10:11], v[47:48], v[6:7], v[10:11]
	v_fma_f64 v[6:7], v[45:46], v[6:7], -v[8:9]
	s_delay_alu instid0(VALU_DEP_2) | instskip(NEXT) | instid1(VALU_DEP_2)
	v_add_f64 v[3:4], v[3:4], v[10:11]
	v_add_f64 v[1:2], v[1:2], v[6:7]
.LBB9_22:
	s_or_b32 exec_lo, exec_lo, s4
	v_mov_b32_e32 v6, 0
	ds_load_b128 v[6:9], v6 offset:32
	s_waitcnt lgkmcnt(0)
	v_mul_f64 v[10:11], v[3:4], v[8:9]
	v_mul_f64 v[8:9], v[1:2], v[8:9]
	s_delay_alu instid0(VALU_DEP_2) | instskip(NEXT) | instid1(VALU_DEP_2)
	v_fma_f64 v[1:2], v[1:2], v[6:7], -v[10:11]
	v_fma_f64 v[3:4], v[3:4], v[6:7], v[8:9]
	scratch_store_b128 off, v[1:4], off offset:32
.LBB9_23:
	s_or_b32 exec_lo, exec_lo, s3
	s_waitcnt_vscnt null, 0x0
	s_barrier
	buffer_gl0_inv
	scratch_load_b128 v[1:4], v34, off
	v_add_nc_u32_e32 v6, -1, v33
	s_mov_b32 s2, exec_lo
	s_waitcnt vmcnt(0)
	ds_store_b128 v5, v[1:4]
	s_waitcnt lgkmcnt(0)
	s_barrier
	buffer_gl0_inv
	v_cmpx_gt_u32_e32 3, v33
	s_cbranch_execz .LBB9_27
; %bb.24:
	v_dual_mov_b32 v1, 0 :: v_dual_add_nc_u32 v8, 0xa0, v43
	v_dual_mov_b32 v2, 0 :: v_dual_add_nc_u32 v7, -1, v33
	v_or_b32_e32 v9, 8, v44
	s_mov_b32 s3, 0
	s_delay_alu instid0(VALU_DEP_2)
	v_dual_mov_b32 v4, v2 :: v_dual_mov_b32 v3, v1
	.p2align	6
.LBB9_25:                               ; =>This Inner Loop Header: Depth=1
	scratch_load_b128 v[45:48], v9, off offset:-8
	ds_load_b128 v[49:52], v8
	v_add_nc_u32_e32 v7, 1, v7
	v_add_nc_u32_e32 v8, 16, v8
	;; [unrolled: 1-line block ×3, first 2 shown]
	s_delay_alu instid0(VALU_DEP_3) | instskip(SKIP_4) | instid1(VALU_DEP_2)
	v_cmp_lt_u32_e32 vcc_lo, 1, v7
	s_or_b32 s3, vcc_lo, s3
	s_waitcnt vmcnt(0) lgkmcnt(0)
	v_mul_f64 v[10:11], v[51:52], v[47:48]
	v_mul_f64 v[47:48], v[49:50], v[47:48]
	v_fma_f64 v[10:11], v[49:50], v[45:46], -v[10:11]
	s_delay_alu instid0(VALU_DEP_2) | instskip(NEXT) | instid1(VALU_DEP_2)
	v_fma_f64 v[45:46], v[51:52], v[45:46], v[47:48]
	v_add_f64 v[3:4], v[3:4], v[10:11]
	s_delay_alu instid0(VALU_DEP_2)
	v_add_f64 v[1:2], v[1:2], v[45:46]
	s_and_not1_b32 exec_lo, exec_lo, s3
	s_cbranch_execnz .LBB9_25
; %bb.26:
	s_or_b32 exec_lo, exec_lo, s3
	v_mov_b32_e32 v7, 0
	ds_load_b128 v[7:10], v7 offset:48
	s_waitcnt lgkmcnt(0)
	v_mul_f64 v[11:12], v[1:2], v[9:10]
	v_mul_f64 v[45:46], v[3:4], v[9:10]
	s_delay_alu instid0(VALU_DEP_2) | instskip(NEXT) | instid1(VALU_DEP_2)
	v_fma_f64 v[9:10], v[3:4], v[7:8], -v[11:12]
	v_fma_f64 v[11:12], v[1:2], v[7:8], v[45:46]
	scratch_store_b128 off, v[9:12], off offset:48
.LBB9_27:
	s_or_b32 exec_lo, exec_lo, s2
	s_waitcnt_vscnt null, 0x0
	s_barrier
	buffer_gl0_inv
	scratch_load_b128 v[1:4], v38, off
	s_mov_b32 s2, exec_lo
	s_waitcnt vmcnt(0)
	ds_store_b128 v5, v[1:4]
	s_waitcnt lgkmcnt(0)
	s_barrier
	buffer_gl0_inv
	v_cmpx_gt_u32_e32 4, v33
	s_cbranch_execz .LBB9_31
; %bb.28:
	v_dual_mov_b32 v1, 0 :: v_dual_add_nc_u32 v8, 0xa0, v43
	v_dual_mov_b32 v2, 0 :: v_dual_add_nc_u32 v7, -1, v33
	v_or_b32_e32 v9, 8, v44
	s_mov_b32 s3, 0
	s_delay_alu instid0(VALU_DEP_2)
	v_dual_mov_b32 v4, v2 :: v_dual_mov_b32 v3, v1
	.p2align	6
.LBB9_29:                               ; =>This Inner Loop Header: Depth=1
	scratch_load_b128 v[45:48], v9, off offset:-8
	ds_load_b128 v[49:52], v8
	v_add_nc_u32_e32 v7, 1, v7
	v_add_nc_u32_e32 v8, 16, v8
	;; [unrolled: 1-line block ×3, first 2 shown]
	s_delay_alu instid0(VALU_DEP_3) | instskip(SKIP_4) | instid1(VALU_DEP_2)
	v_cmp_lt_u32_e32 vcc_lo, 2, v7
	s_or_b32 s3, vcc_lo, s3
	s_waitcnt vmcnt(0) lgkmcnt(0)
	v_mul_f64 v[10:11], v[51:52], v[47:48]
	v_mul_f64 v[47:48], v[49:50], v[47:48]
	v_fma_f64 v[10:11], v[49:50], v[45:46], -v[10:11]
	s_delay_alu instid0(VALU_DEP_2) | instskip(NEXT) | instid1(VALU_DEP_2)
	v_fma_f64 v[45:46], v[51:52], v[45:46], v[47:48]
	v_add_f64 v[3:4], v[3:4], v[10:11]
	s_delay_alu instid0(VALU_DEP_2)
	v_add_f64 v[1:2], v[1:2], v[45:46]
	s_and_not1_b32 exec_lo, exec_lo, s3
	s_cbranch_execnz .LBB9_29
; %bb.30:
	s_or_b32 exec_lo, exec_lo, s3
	v_mov_b32_e32 v7, 0
	ds_load_b128 v[7:10], v7 offset:64
	s_waitcnt lgkmcnt(0)
	v_mul_f64 v[11:12], v[1:2], v[9:10]
	v_mul_f64 v[45:46], v[3:4], v[9:10]
	s_delay_alu instid0(VALU_DEP_2) | instskip(NEXT) | instid1(VALU_DEP_2)
	v_fma_f64 v[9:10], v[3:4], v[7:8], -v[11:12]
	v_fma_f64 v[11:12], v[1:2], v[7:8], v[45:46]
	scratch_store_b128 off, v[9:12], off offset:64
.LBB9_31:
	s_or_b32 exec_lo, exec_lo, s2
	s_waitcnt_vscnt null, 0x0
	s_barrier
	buffer_gl0_inv
	scratch_load_b128 v[1:4], v36, off
	s_mov_b32 s2, exec_lo
	s_waitcnt vmcnt(0)
	ds_store_b128 v5, v[1:4]
	s_waitcnt lgkmcnt(0)
	s_barrier
	buffer_gl0_inv
	v_cmpx_gt_u32_e32 5, v33
	s_cbranch_execz .LBB9_35
; %bb.32:
	v_dual_mov_b32 v1, 0 :: v_dual_add_nc_u32 v8, 0xa0, v43
	v_dual_mov_b32 v2, 0 :: v_dual_add_nc_u32 v7, -1, v33
	v_or_b32_e32 v9, 8, v44
	s_mov_b32 s3, 0
	s_delay_alu instid0(VALU_DEP_2)
	v_dual_mov_b32 v4, v2 :: v_dual_mov_b32 v3, v1
	.p2align	6
.LBB9_33:                               ; =>This Inner Loop Header: Depth=1
	scratch_load_b128 v[45:48], v9, off offset:-8
	ds_load_b128 v[49:52], v8
	v_add_nc_u32_e32 v7, 1, v7
	v_add_nc_u32_e32 v8, 16, v8
	;; [unrolled: 1-line block ×3, first 2 shown]
	s_delay_alu instid0(VALU_DEP_3) | instskip(SKIP_4) | instid1(VALU_DEP_2)
	v_cmp_lt_u32_e32 vcc_lo, 3, v7
	s_or_b32 s3, vcc_lo, s3
	s_waitcnt vmcnt(0) lgkmcnt(0)
	v_mul_f64 v[10:11], v[51:52], v[47:48]
	v_mul_f64 v[47:48], v[49:50], v[47:48]
	v_fma_f64 v[10:11], v[49:50], v[45:46], -v[10:11]
	s_delay_alu instid0(VALU_DEP_2) | instskip(NEXT) | instid1(VALU_DEP_2)
	v_fma_f64 v[45:46], v[51:52], v[45:46], v[47:48]
	v_add_f64 v[3:4], v[3:4], v[10:11]
	s_delay_alu instid0(VALU_DEP_2)
	v_add_f64 v[1:2], v[1:2], v[45:46]
	s_and_not1_b32 exec_lo, exec_lo, s3
	s_cbranch_execnz .LBB9_33
; %bb.34:
	s_or_b32 exec_lo, exec_lo, s3
	v_mov_b32_e32 v7, 0
	ds_load_b128 v[7:10], v7 offset:80
	s_waitcnt lgkmcnt(0)
	v_mul_f64 v[11:12], v[1:2], v[9:10]
	v_mul_f64 v[45:46], v[3:4], v[9:10]
	s_delay_alu instid0(VALU_DEP_2) | instskip(NEXT) | instid1(VALU_DEP_2)
	v_fma_f64 v[9:10], v[3:4], v[7:8], -v[11:12]
	v_fma_f64 v[11:12], v[1:2], v[7:8], v[45:46]
	scratch_store_b128 off, v[9:12], off offset:80
.LBB9_35:
	s_or_b32 exec_lo, exec_lo, s2
	s_waitcnt_vscnt null, 0x0
	s_barrier
	buffer_gl0_inv
	scratch_load_b128 v[1:4], v40, off
	s_mov_b32 s2, exec_lo
	s_waitcnt vmcnt(0)
	ds_store_b128 v5, v[1:4]
	s_waitcnt lgkmcnt(0)
	s_barrier
	buffer_gl0_inv
	v_cmpx_gt_u32_e32 6, v33
	s_cbranch_execz .LBB9_39
; %bb.36:
	v_dual_mov_b32 v1, 0 :: v_dual_add_nc_u32 v8, 0xa0, v43
	v_dual_mov_b32 v2, 0 :: v_dual_add_nc_u32 v7, -1, v33
	v_or_b32_e32 v9, 8, v44
	s_mov_b32 s3, 0
	s_delay_alu instid0(VALU_DEP_2)
	v_dual_mov_b32 v4, v2 :: v_dual_mov_b32 v3, v1
	.p2align	6
.LBB9_37:                               ; =>This Inner Loop Header: Depth=1
	scratch_load_b128 v[45:48], v9, off offset:-8
	ds_load_b128 v[49:52], v8
	v_add_nc_u32_e32 v7, 1, v7
	v_add_nc_u32_e32 v8, 16, v8
	;; [unrolled: 1-line block ×3, first 2 shown]
	s_delay_alu instid0(VALU_DEP_3) | instskip(SKIP_4) | instid1(VALU_DEP_2)
	v_cmp_lt_u32_e32 vcc_lo, 4, v7
	s_or_b32 s3, vcc_lo, s3
	s_waitcnt vmcnt(0) lgkmcnt(0)
	v_mul_f64 v[10:11], v[51:52], v[47:48]
	v_mul_f64 v[47:48], v[49:50], v[47:48]
	v_fma_f64 v[10:11], v[49:50], v[45:46], -v[10:11]
	s_delay_alu instid0(VALU_DEP_2) | instskip(NEXT) | instid1(VALU_DEP_2)
	v_fma_f64 v[45:46], v[51:52], v[45:46], v[47:48]
	v_add_f64 v[3:4], v[3:4], v[10:11]
	s_delay_alu instid0(VALU_DEP_2)
	v_add_f64 v[1:2], v[1:2], v[45:46]
	s_and_not1_b32 exec_lo, exec_lo, s3
	s_cbranch_execnz .LBB9_37
; %bb.38:
	s_or_b32 exec_lo, exec_lo, s3
	v_mov_b32_e32 v7, 0
	ds_load_b128 v[7:10], v7 offset:96
	s_waitcnt lgkmcnt(0)
	v_mul_f64 v[11:12], v[1:2], v[9:10]
	v_mul_f64 v[45:46], v[3:4], v[9:10]
	s_delay_alu instid0(VALU_DEP_2) | instskip(NEXT) | instid1(VALU_DEP_2)
	v_fma_f64 v[9:10], v[3:4], v[7:8], -v[11:12]
	v_fma_f64 v[11:12], v[1:2], v[7:8], v[45:46]
	scratch_store_b128 off, v[9:12], off offset:96
.LBB9_39:
	s_or_b32 exec_lo, exec_lo, s2
	s_waitcnt_vscnt null, 0x0
	s_barrier
	buffer_gl0_inv
	scratch_load_b128 v[1:4], v39, off
	s_mov_b32 s2, exec_lo
	s_waitcnt vmcnt(0)
	ds_store_b128 v5, v[1:4]
	s_waitcnt lgkmcnt(0)
	s_barrier
	buffer_gl0_inv
	v_cmpx_gt_u32_e32 7, v33
	s_cbranch_execz .LBB9_43
; %bb.40:
	v_dual_mov_b32 v1, 0 :: v_dual_add_nc_u32 v8, 0xa0, v43
	v_dual_mov_b32 v2, 0 :: v_dual_add_nc_u32 v7, -1, v33
	v_or_b32_e32 v9, 8, v44
	s_mov_b32 s3, 0
	s_delay_alu instid0(VALU_DEP_2)
	v_dual_mov_b32 v4, v2 :: v_dual_mov_b32 v3, v1
	.p2align	6
.LBB9_41:                               ; =>This Inner Loop Header: Depth=1
	scratch_load_b128 v[45:48], v9, off offset:-8
	ds_load_b128 v[49:52], v8
	v_add_nc_u32_e32 v7, 1, v7
	v_add_nc_u32_e32 v8, 16, v8
	;; [unrolled: 1-line block ×3, first 2 shown]
	s_delay_alu instid0(VALU_DEP_3) | instskip(SKIP_4) | instid1(VALU_DEP_2)
	v_cmp_lt_u32_e32 vcc_lo, 5, v7
	s_or_b32 s3, vcc_lo, s3
	s_waitcnt vmcnt(0) lgkmcnt(0)
	v_mul_f64 v[10:11], v[51:52], v[47:48]
	v_mul_f64 v[47:48], v[49:50], v[47:48]
	v_fma_f64 v[10:11], v[49:50], v[45:46], -v[10:11]
	s_delay_alu instid0(VALU_DEP_2) | instskip(NEXT) | instid1(VALU_DEP_2)
	v_fma_f64 v[45:46], v[51:52], v[45:46], v[47:48]
	v_add_f64 v[3:4], v[3:4], v[10:11]
	s_delay_alu instid0(VALU_DEP_2)
	v_add_f64 v[1:2], v[1:2], v[45:46]
	s_and_not1_b32 exec_lo, exec_lo, s3
	s_cbranch_execnz .LBB9_41
; %bb.42:
	s_or_b32 exec_lo, exec_lo, s3
	v_mov_b32_e32 v7, 0
	ds_load_b128 v[7:10], v7 offset:112
	s_waitcnt lgkmcnt(0)
	v_mul_f64 v[11:12], v[1:2], v[9:10]
	v_mul_f64 v[45:46], v[3:4], v[9:10]
	s_delay_alu instid0(VALU_DEP_2) | instskip(NEXT) | instid1(VALU_DEP_2)
	v_fma_f64 v[9:10], v[3:4], v[7:8], -v[11:12]
	v_fma_f64 v[11:12], v[1:2], v[7:8], v[45:46]
	scratch_store_b128 off, v[9:12], off offset:112
.LBB9_43:
	s_or_b32 exec_lo, exec_lo, s2
	s_waitcnt_vscnt null, 0x0
	s_barrier
	buffer_gl0_inv
	scratch_load_b128 v[1:4], v42, off
	s_mov_b32 s2, exec_lo
	s_waitcnt vmcnt(0)
	ds_store_b128 v5, v[1:4]
	s_waitcnt lgkmcnt(0)
	s_barrier
	buffer_gl0_inv
	v_cmpx_gt_u32_e32 8, v33
	s_cbranch_execz .LBB9_47
; %bb.44:
	v_dual_mov_b32 v1, 0 :: v_dual_add_nc_u32 v8, 0xa0, v43
	v_dual_mov_b32 v2, 0 :: v_dual_add_nc_u32 v7, -1, v33
	v_or_b32_e32 v9, 8, v44
	s_mov_b32 s3, 0
	s_delay_alu instid0(VALU_DEP_2)
	v_dual_mov_b32 v4, v2 :: v_dual_mov_b32 v3, v1
	.p2align	6
.LBB9_45:                               ; =>This Inner Loop Header: Depth=1
	scratch_load_b128 v[45:48], v9, off offset:-8
	ds_load_b128 v[49:52], v8
	v_add_nc_u32_e32 v7, 1, v7
	v_add_nc_u32_e32 v8, 16, v8
	;; [unrolled: 1-line block ×3, first 2 shown]
	s_delay_alu instid0(VALU_DEP_3) | instskip(SKIP_4) | instid1(VALU_DEP_2)
	v_cmp_lt_u32_e32 vcc_lo, 6, v7
	s_or_b32 s3, vcc_lo, s3
	s_waitcnt vmcnt(0) lgkmcnt(0)
	v_mul_f64 v[10:11], v[51:52], v[47:48]
	v_mul_f64 v[47:48], v[49:50], v[47:48]
	v_fma_f64 v[10:11], v[49:50], v[45:46], -v[10:11]
	s_delay_alu instid0(VALU_DEP_2) | instskip(NEXT) | instid1(VALU_DEP_2)
	v_fma_f64 v[45:46], v[51:52], v[45:46], v[47:48]
	v_add_f64 v[3:4], v[3:4], v[10:11]
	s_delay_alu instid0(VALU_DEP_2)
	v_add_f64 v[1:2], v[1:2], v[45:46]
	s_and_not1_b32 exec_lo, exec_lo, s3
	s_cbranch_execnz .LBB9_45
; %bb.46:
	s_or_b32 exec_lo, exec_lo, s3
	v_mov_b32_e32 v7, 0
	ds_load_b128 v[7:10], v7 offset:128
	s_waitcnt lgkmcnt(0)
	v_mul_f64 v[11:12], v[1:2], v[9:10]
	v_mul_f64 v[45:46], v[3:4], v[9:10]
	s_delay_alu instid0(VALU_DEP_2) | instskip(NEXT) | instid1(VALU_DEP_2)
	v_fma_f64 v[9:10], v[3:4], v[7:8], -v[11:12]
	v_fma_f64 v[11:12], v[1:2], v[7:8], v[45:46]
	scratch_store_b128 off, v[9:12], off offset:128
.LBB9_47:
	s_or_b32 exec_lo, exec_lo, s2
	s_waitcnt_vscnt null, 0x0
	s_barrier
	buffer_gl0_inv
	scratch_load_b128 v[1:4], v41, off
	s_mov_b32 s2, exec_lo
	s_waitcnt vmcnt(0)
	ds_store_b128 v5, v[1:4]
	s_waitcnt lgkmcnt(0)
	s_barrier
	buffer_gl0_inv
	v_cmpx_ne_u32_e32 9, v33
	s_cbranch_execz .LBB9_51
; %bb.48:
	v_mov_b32_e32 v1, 0
	v_mov_b32_e32 v2, 0
	v_or_b32_e32 v7, 8, v44
	s_mov_b32 s3, 0
	s_delay_alu instid0(VALU_DEP_2)
	v_dual_mov_b32 v4, v2 :: v_dual_mov_b32 v3, v1
	.p2align	6
.LBB9_49:                               ; =>This Inner Loop Header: Depth=1
	scratch_load_b128 v[8:11], v7, off offset:-8
	ds_load_b128 v[43:46], v5
	v_add_nc_u32_e32 v6, 1, v6
	v_add_nc_u32_e32 v5, 16, v5
	;; [unrolled: 1-line block ×3, first 2 shown]
	s_delay_alu instid0(VALU_DEP_3) | instskip(SKIP_4) | instid1(VALU_DEP_2)
	v_cmp_lt_u32_e32 vcc_lo, 7, v6
	s_or_b32 s3, vcc_lo, s3
	s_waitcnt vmcnt(0) lgkmcnt(0)
	v_mul_f64 v[47:48], v[45:46], v[10:11]
	v_mul_f64 v[10:11], v[43:44], v[10:11]
	v_fma_f64 v[43:44], v[43:44], v[8:9], -v[47:48]
	s_delay_alu instid0(VALU_DEP_2) | instskip(NEXT) | instid1(VALU_DEP_2)
	v_fma_f64 v[8:9], v[45:46], v[8:9], v[10:11]
	v_add_f64 v[3:4], v[3:4], v[43:44]
	s_delay_alu instid0(VALU_DEP_2)
	v_add_f64 v[1:2], v[1:2], v[8:9]
	s_and_not1_b32 exec_lo, exec_lo, s3
	s_cbranch_execnz .LBB9_49
; %bb.50:
	s_or_b32 exec_lo, exec_lo, s3
	v_mov_b32_e32 v5, 0
	ds_load_b128 v[5:8], v5 offset:144
	s_waitcnt lgkmcnt(0)
	v_mul_f64 v[9:10], v[1:2], v[7:8]
	v_mul_f64 v[7:8], v[3:4], v[7:8]
	s_delay_alu instid0(VALU_DEP_2) | instskip(NEXT) | instid1(VALU_DEP_2)
	v_fma_f64 v[3:4], v[3:4], v[5:6], -v[9:10]
	v_fma_f64 v[5:6], v[1:2], v[5:6], v[7:8]
	scratch_store_b128 off, v[3:6], off offset:144
.LBB9_51:
	s_or_b32 exec_lo, exec_lo, s2
	s_mov_b32 s3, -1
	s_waitcnt_vscnt null, 0x0
	s_barrier
	buffer_gl0_inv
.LBB9_52:
	s_and_b32 vcc_lo, exec_lo, s3
	s_cbranch_vccz .LBB9_54
; %bb.53:
	s_lshl_b64 s[2:3], s[18:19], 2
	v_mov_b32_e32 v1, 0
	s_add_u32 s2, s6, s2
	s_addc_u32 s3, s7, s3
	global_load_b32 v1, v1, s[2:3]
	s_waitcnt vmcnt(0)
	v_cmp_ne_u32_e32 vcc_lo, 0, v1
	s_cbranch_vccz .LBB9_55
.LBB9_54:
	s_endpgm
.LBB9_55:
	v_lshl_add_u32 v5, v33, 4, 0xa0
	s_mov_b32 s2, exec_lo
	v_cmpx_eq_u32_e32 9, v33
	s_cbranch_execz .LBB9_57
; %bb.56:
	scratch_load_b128 v[1:4], v42, off
	v_mov_b32_e32 v6, 0
	s_delay_alu instid0(VALU_DEP_1)
	v_mov_b32_e32 v7, v6
	v_mov_b32_e32 v8, v6
	;; [unrolled: 1-line block ×3, first 2 shown]
	scratch_store_b128 off, v[6:9], off offset:128
	s_waitcnt vmcnt(0)
	ds_store_b128 v5, v[1:4]
.LBB9_57:
	s_or_b32 exec_lo, exec_lo, s2
	s_waitcnt lgkmcnt(0)
	s_waitcnt_vscnt null, 0x0
	s_barrier
	buffer_gl0_inv
	s_clause 0x1
	scratch_load_b128 v[6:9], off, off offset:144
	scratch_load_b128 v[43:46], off, off offset:128
	v_mov_b32_e32 v1, 0
	s_mov_b32 s2, exec_lo
	ds_load_b128 v[47:50], v1 offset:304
	s_waitcnt vmcnt(1) lgkmcnt(0)
	v_mul_f64 v[2:3], v[49:50], v[8:9]
	v_mul_f64 v[8:9], v[47:48], v[8:9]
	s_delay_alu instid0(VALU_DEP_2) | instskip(NEXT) | instid1(VALU_DEP_2)
	v_fma_f64 v[2:3], v[47:48], v[6:7], -v[2:3]
	v_fma_f64 v[6:7], v[49:50], v[6:7], v[8:9]
	s_delay_alu instid0(VALU_DEP_2) | instskip(NEXT) | instid1(VALU_DEP_2)
	v_add_f64 v[2:3], v[2:3], 0
	v_add_f64 v[8:9], v[6:7], 0
	s_waitcnt vmcnt(0)
	s_delay_alu instid0(VALU_DEP_2) | instskip(NEXT) | instid1(VALU_DEP_2)
	v_add_f64 v[6:7], v[43:44], -v[2:3]
	v_add_f64 v[8:9], v[45:46], -v[8:9]
	scratch_store_b128 off, v[6:9], off offset:128
	v_cmpx_lt_u32_e32 7, v33
	s_cbranch_execz .LBB9_59
; %bb.58:
	scratch_load_b128 v[6:9], v39, off
	v_mov_b32_e32 v2, v1
	v_mov_b32_e32 v3, v1
	;; [unrolled: 1-line block ×3, first 2 shown]
	scratch_store_b128 off, v[1:4], off offset:112
	s_waitcnt vmcnt(0)
	ds_store_b128 v5, v[6:9]
.LBB9_59:
	s_or_b32 exec_lo, exec_lo, s2
	s_waitcnt lgkmcnt(0)
	s_waitcnt_vscnt null, 0x0
	s_barrier
	buffer_gl0_inv
	s_clause 0x2
	scratch_load_b128 v[6:9], off, off offset:128
	scratch_load_b128 v[43:46], off, off offset:144
	;; [unrolled: 1-line block ×3, first 2 shown]
	ds_load_b128 v[51:54], v1 offset:288
	ds_load_b128 v[1:4], v1 offset:304
	s_mov_b32 s2, exec_lo
	s_waitcnt vmcnt(2) lgkmcnt(1)
	v_mul_f64 v[10:11], v[53:54], v[8:9]
	v_mul_f64 v[8:9], v[51:52], v[8:9]
	s_waitcnt vmcnt(1) lgkmcnt(0)
	v_mul_f64 v[55:56], v[1:2], v[45:46]
	v_mul_f64 v[45:46], v[3:4], v[45:46]
	s_delay_alu instid0(VALU_DEP_4) | instskip(NEXT) | instid1(VALU_DEP_4)
	v_fma_f64 v[10:11], v[51:52], v[6:7], -v[10:11]
	v_fma_f64 v[6:7], v[53:54], v[6:7], v[8:9]
	s_delay_alu instid0(VALU_DEP_4) | instskip(NEXT) | instid1(VALU_DEP_4)
	v_fma_f64 v[3:4], v[3:4], v[43:44], v[55:56]
	v_fma_f64 v[1:2], v[1:2], v[43:44], -v[45:46]
	s_delay_alu instid0(VALU_DEP_4) | instskip(NEXT) | instid1(VALU_DEP_4)
	v_add_f64 v[8:9], v[10:11], 0
	v_add_f64 v[6:7], v[6:7], 0
	s_delay_alu instid0(VALU_DEP_2) | instskip(NEXT) | instid1(VALU_DEP_2)
	v_add_f64 v[1:2], v[8:9], v[1:2]
	v_add_f64 v[3:4], v[6:7], v[3:4]
	s_waitcnt vmcnt(0)
	s_delay_alu instid0(VALU_DEP_2) | instskip(NEXT) | instid1(VALU_DEP_2)
	v_add_f64 v[1:2], v[47:48], -v[1:2]
	v_add_f64 v[3:4], v[49:50], -v[3:4]
	scratch_store_b128 off, v[1:4], off offset:112
	v_cmpx_lt_u32_e32 6, v33
	s_cbranch_execz .LBB9_61
; %bb.60:
	scratch_load_b128 v[1:4], v40, off
	v_mov_b32_e32 v6, 0
	s_delay_alu instid0(VALU_DEP_1)
	v_mov_b32_e32 v7, v6
	v_mov_b32_e32 v8, v6
	;; [unrolled: 1-line block ×3, first 2 shown]
	scratch_store_b128 off, v[6:9], off offset:96
	s_waitcnt vmcnt(0)
	ds_store_b128 v5, v[1:4]
.LBB9_61:
	s_or_b32 exec_lo, exec_lo, s2
	s_waitcnt lgkmcnt(0)
	s_waitcnt_vscnt null, 0x0
	s_barrier
	buffer_gl0_inv
	s_clause 0x3
	scratch_load_b128 v[6:9], off, off offset:112
	scratch_load_b128 v[43:46], off, off offset:128
	scratch_load_b128 v[47:50], off, off offset:144
	scratch_load_b128 v[51:54], off, off offset:96
	v_mov_b32_e32 v1, 0
	ds_load_b128 v[55:58], v1 offset:272
	ds_load_b128 v[59:62], v1 offset:288
	s_mov_b32 s2, exec_lo
	s_waitcnt vmcnt(3) lgkmcnt(1)
	v_mul_f64 v[2:3], v[57:58], v[8:9]
	v_mul_f64 v[8:9], v[55:56], v[8:9]
	s_waitcnt vmcnt(2) lgkmcnt(0)
	v_mul_f64 v[10:11], v[59:60], v[45:46]
	v_mul_f64 v[45:46], v[61:62], v[45:46]
	s_delay_alu instid0(VALU_DEP_4) | instskip(NEXT) | instid1(VALU_DEP_4)
	v_fma_f64 v[2:3], v[55:56], v[6:7], -v[2:3]
	v_fma_f64 v[55:56], v[57:58], v[6:7], v[8:9]
	ds_load_b128 v[6:9], v1 offset:304
	v_fma_f64 v[10:11], v[61:62], v[43:44], v[10:11]
	v_fma_f64 v[43:44], v[59:60], v[43:44], -v[45:46]
	s_waitcnt vmcnt(1) lgkmcnt(0)
	v_mul_f64 v[57:58], v[6:7], v[49:50]
	v_mul_f64 v[49:50], v[8:9], v[49:50]
	v_add_f64 v[2:3], v[2:3], 0
	v_add_f64 v[45:46], v[55:56], 0
	s_delay_alu instid0(VALU_DEP_4) | instskip(NEXT) | instid1(VALU_DEP_4)
	v_fma_f64 v[8:9], v[8:9], v[47:48], v[57:58]
	v_fma_f64 v[6:7], v[6:7], v[47:48], -v[49:50]
	s_delay_alu instid0(VALU_DEP_4) | instskip(NEXT) | instid1(VALU_DEP_4)
	v_add_f64 v[2:3], v[2:3], v[43:44]
	v_add_f64 v[10:11], v[45:46], v[10:11]
	s_delay_alu instid0(VALU_DEP_2) | instskip(NEXT) | instid1(VALU_DEP_2)
	v_add_f64 v[2:3], v[2:3], v[6:7]
	v_add_f64 v[8:9], v[10:11], v[8:9]
	s_waitcnt vmcnt(0)
	s_delay_alu instid0(VALU_DEP_2) | instskip(NEXT) | instid1(VALU_DEP_2)
	v_add_f64 v[6:7], v[51:52], -v[2:3]
	v_add_f64 v[8:9], v[53:54], -v[8:9]
	scratch_store_b128 off, v[6:9], off offset:96
	v_cmpx_lt_u32_e32 5, v33
	s_cbranch_execz .LBB9_63
; %bb.62:
	scratch_load_b128 v[6:9], v36, off
	v_mov_b32_e32 v2, v1
	v_mov_b32_e32 v3, v1
	;; [unrolled: 1-line block ×3, first 2 shown]
	scratch_store_b128 off, v[1:4], off offset:80
	s_waitcnt vmcnt(0)
	ds_store_b128 v5, v[6:9]
.LBB9_63:
	s_or_b32 exec_lo, exec_lo, s2
	s_waitcnt lgkmcnt(0)
	s_waitcnt_vscnt null, 0x0
	s_barrier
	buffer_gl0_inv
	s_clause 0x4
	scratch_load_b128 v[6:9], off, off offset:96
	scratch_load_b128 v[43:46], off, off offset:112
	;; [unrolled: 1-line block ×5, first 2 shown]
	ds_load_b128 v[59:62], v1 offset:256
	ds_load_b128 v[63:66], v1 offset:272
	s_mov_b32 s2, exec_lo
	s_waitcnt vmcnt(4) lgkmcnt(1)
	v_mul_f64 v[2:3], v[61:62], v[8:9]
	v_mul_f64 v[8:9], v[59:60], v[8:9]
	s_waitcnt vmcnt(3) lgkmcnt(0)
	v_mul_f64 v[10:11], v[63:64], v[45:46]
	v_mul_f64 v[45:46], v[65:66], v[45:46]
	s_delay_alu instid0(VALU_DEP_4) | instskip(NEXT) | instid1(VALU_DEP_4)
	v_fma_f64 v[59:60], v[59:60], v[6:7], -v[2:3]
	v_fma_f64 v[61:62], v[61:62], v[6:7], v[8:9]
	ds_load_b128 v[6:9], v1 offset:288
	ds_load_b128 v[1:4], v1 offset:304
	v_fma_f64 v[10:11], v[65:66], v[43:44], v[10:11]
	v_fma_f64 v[43:44], v[63:64], v[43:44], -v[45:46]
	s_waitcnt vmcnt(2) lgkmcnt(1)
	v_mul_f64 v[67:68], v[6:7], v[49:50]
	v_mul_f64 v[49:50], v[8:9], v[49:50]
	v_add_f64 v[45:46], v[59:60], 0
	v_add_f64 v[59:60], v[61:62], 0
	s_waitcnt vmcnt(1) lgkmcnt(0)
	v_mul_f64 v[61:62], v[1:2], v[53:54]
	v_mul_f64 v[53:54], v[3:4], v[53:54]
	v_fma_f64 v[8:9], v[8:9], v[47:48], v[67:68]
	v_fma_f64 v[6:7], v[6:7], v[47:48], -v[49:50]
	v_add_f64 v[43:44], v[45:46], v[43:44]
	v_add_f64 v[10:11], v[59:60], v[10:11]
	v_fma_f64 v[3:4], v[3:4], v[51:52], v[61:62]
	v_fma_f64 v[1:2], v[1:2], v[51:52], -v[53:54]
	s_delay_alu instid0(VALU_DEP_4) | instskip(NEXT) | instid1(VALU_DEP_4)
	v_add_f64 v[6:7], v[43:44], v[6:7]
	v_add_f64 v[8:9], v[10:11], v[8:9]
	s_delay_alu instid0(VALU_DEP_2) | instskip(NEXT) | instid1(VALU_DEP_2)
	v_add_f64 v[1:2], v[6:7], v[1:2]
	v_add_f64 v[3:4], v[8:9], v[3:4]
	s_waitcnt vmcnt(0)
	s_delay_alu instid0(VALU_DEP_2) | instskip(NEXT) | instid1(VALU_DEP_2)
	v_add_f64 v[1:2], v[55:56], -v[1:2]
	v_add_f64 v[3:4], v[57:58], -v[3:4]
	scratch_store_b128 off, v[1:4], off offset:80
	v_cmpx_lt_u32_e32 4, v33
	s_cbranch_execz .LBB9_65
; %bb.64:
	scratch_load_b128 v[1:4], v38, off
	v_mov_b32_e32 v6, 0
	s_delay_alu instid0(VALU_DEP_1)
	v_mov_b32_e32 v7, v6
	v_mov_b32_e32 v8, v6
	v_mov_b32_e32 v9, v6
	scratch_store_b128 off, v[6:9], off offset:64
	s_waitcnt vmcnt(0)
	ds_store_b128 v5, v[1:4]
.LBB9_65:
	s_or_b32 exec_lo, exec_lo, s2
	s_waitcnt lgkmcnt(0)
	s_waitcnt_vscnt null, 0x0
	s_barrier
	buffer_gl0_inv
	s_clause 0x5
	scratch_load_b128 v[6:9], off, off offset:80
	scratch_load_b128 v[43:46], off, off offset:96
	;; [unrolled: 1-line block ×6, first 2 shown]
	v_mov_b32_e32 v1, 0
	ds_load_b128 v[63:66], v1 offset:240
	ds_load_b128 v[67:70], v1 offset:256
	s_mov_b32 s2, exec_lo
	s_waitcnt vmcnt(5) lgkmcnt(1)
	v_mul_f64 v[2:3], v[65:66], v[8:9]
	v_mul_f64 v[8:9], v[63:64], v[8:9]
	s_waitcnt vmcnt(4) lgkmcnt(0)
	v_mul_f64 v[10:11], v[67:68], v[45:46]
	v_mul_f64 v[45:46], v[69:70], v[45:46]
	s_delay_alu instid0(VALU_DEP_4) | instskip(NEXT) | instid1(VALU_DEP_4)
	v_fma_f64 v[2:3], v[63:64], v[6:7], -v[2:3]
	v_fma_f64 v[71:72], v[65:66], v[6:7], v[8:9]
	ds_load_b128 v[6:9], v1 offset:272
	ds_load_b128 v[63:66], v1 offset:288
	v_fma_f64 v[10:11], v[69:70], v[43:44], v[10:11]
	v_fma_f64 v[43:44], v[67:68], v[43:44], -v[45:46]
	s_waitcnt vmcnt(3) lgkmcnt(1)
	v_mul_f64 v[73:74], v[6:7], v[49:50]
	v_mul_f64 v[49:50], v[8:9], v[49:50]
	s_waitcnt vmcnt(2) lgkmcnt(0)
	v_mul_f64 v[67:68], v[63:64], v[53:54]
	v_mul_f64 v[53:54], v[65:66], v[53:54]
	v_add_f64 v[2:3], v[2:3], 0
	v_add_f64 v[45:46], v[71:72], 0
	v_fma_f64 v[69:70], v[8:9], v[47:48], v[73:74]
	v_fma_f64 v[47:48], v[6:7], v[47:48], -v[49:50]
	ds_load_b128 v[6:9], v1 offset:304
	v_fma_f64 v[49:50], v[65:66], v[51:52], v[67:68]
	v_fma_f64 v[51:52], v[63:64], v[51:52], -v[53:54]
	v_add_f64 v[2:3], v[2:3], v[43:44]
	v_add_f64 v[10:11], v[45:46], v[10:11]
	s_waitcnt vmcnt(1) lgkmcnt(0)
	v_mul_f64 v[43:44], v[6:7], v[57:58]
	v_mul_f64 v[45:46], v[8:9], v[57:58]
	s_delay_alu instid0(VALU_DEP_4) | instskip(NEXT) | instid1(VALU_DEP_4)
	v_add_f64 v[2:3], v[2:3], v[47:48]
	v_add_f64 v[10:11], v[10:11], v[69:70]
	s_delay_alu instid0(VALU_DEP_4) | instskip(NEXT) | instid1(VALU_DEP_4)
	v_fma_f64 v[8:9], v[8:9], v[55:56], v[43:44]
	v_fma_f64 v[6:7], v[6:7], v[55:56], -v[45:46]
	s_delay_alu instid0(VALU_DEP_4) | instskip(NEXT) | instid1(VALU_DEP_4)
	v_add_f64 v[2:3], v[2:3], v[51:52]
	v_add_f64 v[10:11], v[10:11], v[49:50]
	s_delay_alu instid0(VALU_DEP_2) | instskip(NEXT) | instid1(VALU_DEP_2)
	v_add_f64 v[2:3], v[2:3], v[6:7]
	v_add_f64 v[8:9], v[10:11], v[8:9]
	s_waitcnt vmcnt(0)
	s_delay_alu instid0(VALU_DEP_2) | instskip(NEXT) | instid1(VALU_DEP_2)
	v_add_f64 v[6:7], v[59:60], -v[2:3]
	v_add_f64 v[8:9], v[61:62], -v[8:9]
	scratch_store_b128 off, v[6:9], off offset:64
	v_cmpx_lt_u32_e32 3, v33
	s_cbranch_execz .LBB9_67
; %bb.66:
	scratch_load_b128 v[6:9], v34, off
	v_mov_b32_e32 v2, v1
	v_mov_b32_e32 v3, v1
	;; [unrolled: 1-line block ×3, first 2 shown]
	scratch_store_b128 off, v[1:4], off offset:48
	s_waitcnt vmcnt(0)
	ds_store_b128 v5, v[6:9]
.LBB9_67:
	s_or_b32 exec_lo, exec_lo, s2
	s_waitcnt lgkmcnt(0)
	s_waitcnt_vscnt null, 0x0
	s_barrier
	buffer_gl0_inv
	s_clause 0x5
	scratch_load_b128 v[6:9], off, off offset:64
	scratch_load_b128 v[43:46], off, off offset:80
	;; [unrolled: 1-line block ×6, first 2 shown]
	ds_load_b128 v[63:66], v1 offset:224
	ds_load_b128 v[71:74], v1 offset:240
	scratch_load_b128 v[67:70], off, off offset:48
	s_mov_b32 s2, exec_lo
	s_waitcnt vmcnt(6) lgkmcnt(1)
	v_mul_f64 v[2:3], v[65:66], v[8:9]
	v_mul_f64 v[8:9], v[63:64], v[8:9]
	s_waitcnt vmcnt(5) lgkmcnt(0)
	v_mul_f64 v[10:11], v[71:72], v[45:46]
	v_mul_f64 v[45:46], v[73:74], v[45:46]
	s_delay_alu instid0(VALU_DEP_4) | instskip(NEXT) | instid1(VALU_DEP_4)
	v_fma_f64 v[2:3], v[63:64], v[6:7], -v[2:3]
	v_fma_f64 v[75:76], v[65:66], v[6:7], v[8:9]
	ds_load_b128 v[6:9], v1 offset:256
	ds_load_b128 v[63:66], v1 offset:272
	v_fma_f64 v[10:11], v[73:74], v[43:44], v[10:11]
	v_fma_f64 v[43:44], v[71:72], v[43:44], -v[45:46]
	s_waitcnt vmcnt(4) lgkmcnt(1)
	v_mul_f64 v[77:78], v[6:7], v[49:50]
	v_mul_f64 v[49:50], v[8:9], v[49:50]
	s_waitcnt vmcnt(3) lgkmcnt(0)
	v_mul_f64 v[71:72], v[63:64], v[53:54]
	v_mul_f64 v[53:54], v[65:66], v[53:54]
	v_add_f64 v[2:3], v[2:3], 0
	v_add_f64 v[45:46], v[75:76], 0
	v_fma_f64 v[73:74], v[8:9], v[47:48], v[77:78]
	v_fma_f64 v[47:48], v[6:7], v[47:48], -v[49:50]
	s_delay_alu instid0(VALU_DEP_4) | instskip(NEXT) | instid1(VALU_DEP_4)
	v_add_f64 v[43:44], v[2:3], v[43:44]
	v_add_f64 v[10:11], v[45:46], v[10:11]
	ds_load_b128 v[6:9], v1 offset:288
	ds_load_b128 v[1:4], v1 offset:304
	s_waitcnt vmcnt(2) lgkmcnt(1)
	v_mul_f64 v[45:46], v[6:7], v[57:58]
	v_mul_f64 v[49:50], v[8:9], v[57:58]
	v_fma_f64 v[57:58], v[65:66], v[51:52], v[71:72]
	v_fma_f64 v[51:52], v[63:64], v[51:52], -v[53:54]
	s_waitcnt vmcnt(1) lgkmcnt(0)
	v_mul_f64 v[53:54], v[3:4], v[61:62]
	v_add_f64 v[43:44], v[43:44], v[47:48]
	v_add_f64 v[10:11], v[10:11], v[73:74]
	v_mul_f64 v[47:48], v[1:2], v[61:62]
	v_fma_f64 v[8:9], v[8:9], v[55:56], v[45:46]
	v_fma_f64 v[6:7], v[6:7], v[55:56], -v[49:50]
	v_fma_f64 v[1:2], v[1:2], v[59:60], -v[53:54]
	v_add_f64 v[43:44], v[43:44], v[51:52]
	v_add_f64 v[10:11], v[10:11], v[57:58]
	v_fma_f64 v[3:4], v[3:4], v[59:60], v[47:48]
	s_delay_alu instid0(VALU_DEP_3) | instskip(NEXT) | instid1(VALU_DEP_3)
	v_add_f64 v[6:7], v[43:44], v[6:7]
	v_add_f64 v[8:9], v[10:11], v[8:9]
	s_delay_alu instid0(VALU_DEP_2) | instskip(NEXT) | instid1(VALU_DEP_2)
	v_add_f64 v[1:2], v[6:7], v[1:2]
	v_add_f64 v[3:4], v[8:9], v[3:4]
	s_waitcnt vmcnt(0)
	s_delay_alu instid0(VALU_DEP_2) | instskip(NEXT) | instid1(VALU_DEP_2)
	v_add_f64 v[1:2], v[67:68], -v[1:2]
	v_add_f64 v[3:4], v[69:70], -v[3:4]
	scratch_store_b128 off, v[1:4], off offset:48
	v_cmpx_lt_u32_e32 2, v33
	s_cbranch_execz .LBB9_69
; %bb.68:
	scratch_load_b128 v[1:4], v37, off
	v_mov_b32_e32 v6, 0
	s_delay_alu instid0(VALU_DEP_1)
	v_mov_b32_e32 v7, v6
	v_mov_b32_e32 v8, v6
	;; [unrolled: 1-line block ×3, first 2 shown]
	scratch_store_b128 off, v[6:9], off offset:32
	s_waitcnt vmcnt(0)
	ds_store_b128 v5, v[1:4]
.LBB9_69:
	s_or_b32 exec_lo, exec_lo, s2
	s_waitcnt lgkmcnt(0)
	s_waitcnt_vscnt null, 0x0
	s_barrier
	buffer_gl0_inv
	s_clause 0x6
	scratch_load_b128 v[6:9], off, off offset:48
	scratch_load_b128 v[43:46], off, off offset:64
	;; [unrolled: 1-line block ×7, first 2 shown]
	v_mov_b32_e32 v1, 0
	scratch_load_b128 v[71:74], off, off offset:32
	s_mov_b32 s2, exec_lo
	ds_load_b128 v[67:70], v1 offset:208
	ds_load_b128 v[75:78], v1 offset:224
	s_waitcnt vmcnt(7) lgkmcnt(1)
	v_mul_f64 v[2:3], v[69:70], v[8:9]
	v_mul_f64 v[8:9], v[67:68], v[8:9]
	s_waitcnt vmcnt(6) lgkmcnt(0)
	v_mul_f64 v[10:11], v[75:76], v[45:46]
	v_mul_f64 v[45:46], v[77:78], v[45:46]
	s_delay_alu instid0(VALU_DEP_4) | instskip(NEXT) | instid1(VALU_DEP_4)
	v_fma_f64 v[2:3], v[67:68], v[6:7], -v[2:3]
	v_fma_f64 v[79:80], v[69:70], v[6:7], v[8:9]
	ds_load_b128 v[6:9], v1 offset:240
	ds_load_b128 v[67:70], v1 offset:256
	v_fma_f64 v[10:11], v[77:78], v[43:44], v[10:11]
	v_fma_f64 v[43:44], v[75:76], v[43:44], -v[45:46]
	s_waitcnt vmcnt(5) lgkmcnt(1)
	v_mul_f64 v[81:82], v[6:7], v[49:50]
	v_mul_f64 v[49:50], v[8:9], v[49:50]
	s_waitcnt vmcnt(4) lgkmcnt(0)
	v_mul_f64 v[75:76], v[67:68], v[53:54]
	v_mul_f64 v[53:54], v[69:70], v[53:54]
	v_add_f64 v[2:3], v[2:3], 0
	v_add_f64 v[45:46], v[79:80], 0
	v_fma_f64 v[77:78], v[8:9], v[47:48], v[81:82]
	v_fma_f64 v[47:48], v[6:7], v[47:48], -v[49:50]
	v_fma_f64 v[69:70], v[69:70], v[51:52], v[75:76]
	v_fma_f64 v[51:52], v[67:68], v[51:52], -v[53:54]
	v_add_f64 v[2:3], v[2:3], v[43:44]
	v_add_f64 v[10:11], v[45:46], v[10:11]
	ds_load_b128 v[6:9], v1 offset:272
	ds_load_b128 v[43:46], v1 offset:288
	s_waitcnt vmcnt(3) lgkmcnt(1)
	v_mul_f64 v[49:50], v[6:7], v[57:58]
	v_mul_f64 v[57:58], v[8:9], v[57:58]
	s_waitcnt vmcnt(2) lgkmcnt(0)
	v_mul_f64 v[53:54], v[45:46], v[61:62]
	v_add_f64 v[2:3], v[2:3], v[47:48]
	v_add_f64 v[10:11], v[10:11], v[77:78]
	v_mul_f64 v[47:48], v[43:44], v[61:62]
	v_fma_f64 v[49:50], v[8:9], v[55:56], v[49:50]
	v_fma_f64 v[55:56], v[6:7], v[55:56], -v[57:58]
	ds_load_b128 v[6:9], v1 offset:304
	v_fma_f64 v[43:44], v[43:44], v[59:60], -v[53:54]
	v_add_f64 v[2:3], v[2:3], v[51:52]
	v_add_f64 v[10:11], v[10:11], v[69:70]
	v_fma_f64 v[45:46], v[45:46], v[59:60], v[47:48]
	s_waitcnt vmcnt(1) lgkmcnt(0)
	v_mul_f64 v[51:52], v[6:7], v[65:66]
	v_mul_f64 v[57:58], v[8:9], v[65:66]
	v_add_f64 v[2:3], v[2:3], v[55:56]
	v_add_f64 v[10:11], v[10:11], v[49:50]
	s_delay_alu instid0(VALU_DEP_4) | instskip(NEXT) | instid1(VALU_DEP_4)
	v_fma_f64 v[8:9], v[8:9], v[63:64], v[51:52]
	v_fma_f64 v[6:7], v[6:7], v[63:64], -v[57:58]
	s_delay_alu instid0(VALU_DEP_4) | instskip(NEXT) | instid1(VALU_DEP_4)
	v_add_f64 v[2:3], v[2:3], v[43:44]
	v_add_f64 v[10:11], v[10:11], v[45:46]
	s_delay_alu instid0(VALU_DEP_2) | instskip(NEXT) | instid1(VALU_DEP_2)
	v_add_f64 v[2:3], v[2:3], v[6:7]
	v_add_f64 v[8:9], v[10:11], v[8:9]
	s_waitcnt vmcnt(0)
	s_delay_alu instid0(VALU_DEP_2) | instskip(NEXT) | instid1(VALU_DEP_2)
	v_add_f64 v[6:7], v[71:72], -v[2:3]
	v_add_f64 v[8:9], v[73:74], -v[8:9]
	scratch_store_b128 off, v[6:9], off offset:32
	v_cmpx_lt_u32_e32 1, v33
	s_cbranch_execz .LBB9_71
; %bb.70:
	scratch_load_b128 v[6:9], v35, off
	v_mov_b32_e32 v2, v1
	v_mov_b32_e32 v3, v1
	v_mov_b32_e32 v4, v1
	scratch_store_b128 off, v[1:4], off offset:16
	s_waitcnt vmcnt(0)
	ds_store_b128 v5, v[6:9]
.LBB9_71:
	s_or_b32 exec_lo, exec_lo, s2
	s_waitcnt lgkmcnt(0)
	s_waitcnt_vscnt null, 0x0
	s_barrier
	buffer_gl0_inv
	s_clause 0x7
	scratch_load_b128 v[6:9], off, off offset:32
	scratch_load_b128 v[43:46], off, off offset:48
	;; [unrolled: 1-line block ×8, first 2 shown]
	ds_load_b128 v[71:74], v1 offset:192
	ds_load_b128 v[75:78], v1 offset:208
	scratch_load_b128 v[79:82], off, off offset:16
	s_mov_b32 s2, exec_lo
	s_waitcnt vmcnt(8) lgkmcnt(1)
	v_mul_f64 v[2:3], v[73:74], v[8:9]
	v_mul_f64 v[8:9], v[71:72], v[8:9]
	s_waitcnt vmcnt(7) lgkmcnt(0)
	v_mul_f64 v[10:11], v[75:76], v[45:46]
	v_mul_f64 v[45:46], v[77:78], v[45:46]
	s_delay_alu instid0(VALU_DEP_4) | instskip(NEXT) | instid1(VALU_DEP_4)
	v_fma_f64 v[2:3], v[71:72], v[6:7], -v[2:3]
	v_fma_f64 v[83:84], v[73:74], v[6:7], v[8:9]
	ds_load_b128 v[6:9], v1 offset:224
	ds_load_b128 v[71:74], v1 offset:240
	v_fma_f64 v[10:11], v[77:78], v[43:44], v[10:11]
	v_fma_f64 v[43:44], v[75:76], v[43:44], -v[45:46]
	s_waitcnt vmcnt(6) lgkmcnt(1)
	v_mul_f64 v[85:86], v[6:7], v[49:50]
	v_mul_f64 v[49:50], v[8:9], v[49:50]
	s_waitcnt vmcnt(5) lgkmcnt(0)
	v_mul_f64 v[75:76], v[71:72], v[53:54]
	v_mul_f64 v[53:54], v[73:74], v[53:54]
	v_add_f64 v[2:3], v[2:3], 0
	v_add_f64 v[45:46], v[83:84], 0
	v_fma_f64 v[77:78], v[8:9], v[47:48], v[85:86]
	v_fma_f64 v[47:48], v[6:7], v[47:48], -v[49:50]
	v_fma_f64 v[73:74], v[73:74], v[51:52], v[75:76]
	v_fma_f64 v[51:52], v[71:72], v[51:52], -v[53:54]
	v_add_f64 v[2:3], v[2:3], v[43:44]
	v_add_f64 v[10:11], v[45:46], v[10:11]
	ds_load_b128 v[6:9], v1 offset:256
	ds_load_b128 v[43:46], v1 offset:272
	s_waitcnt vmcnt(4) lgkmcnt(1)
	v_mul_f64 v[49:50], v[6:7], v[57:58]
	v_mul_f64 v[57:58], v[8:9], v[57:58]
	s_waitcnt vmcnt(3) lgkmcnt(0)
	v_mul_f64 v[53:54], v[45:46], v[61:62]
	v_add_f64 v[2:3], v[2:3], v[47:48]
	v_add_f64 v[10:11], v[10:11], v[77:78]
	v_mul_f64 v[47:48], v[43:44], v[61:62]
	v_fma_f64 v[49:50], v[8:9], v[55:56], v[49:50]
	v_fma_f64 v[55:56], v[6:7], v[55:56], -v[57:58]
	v_fma_f64 v[43:44], v[43:44], v[59:60], -v[53:54]
	v_add_f64 v[51:52], v[2:3], v[51:52]
	v_add_f64 v[10:11], v[10:11], v[73:74]
	ds_load_b128 v[6:9], v1 offset:288
	ds_load_b128 v[1:4], v1 offset:304
	v_fma_f64 v[45:46], v[45:46], v[59:60], v[47:48]
	s_waitcnt vmcnt(2) lgkmcnt(1)
	v_mul_f64 v[57:58], v[6:7], v[65:66]
	v_mul_f64 v[61:62], v[8:9], v[65:66]
	v_add_f64 v[47:48], v[51:52], v[55:56]
	v_add_f64 v[10:11], v[10:11], v[49:50]
	s_waitcnt vmcnt(1) lgkmcnt(0)
	v_mul_f64 v[49:50], v[1:2], v[69:70]
	v_mul_f64 v[51:52], v[3:4], v[69:70]
	v_fma_f64 v[8:9], v[8:9], v[63:64], v[57:58]
	v_fma_f64 v[6:7], v[6:7], v[63:64], -v[61:62]
	v_add_f64 v[43:44], v[47:48], v[43:44]
	v_add_f64 v[10:11], v[10:11], v[45:46]
	v_fma_f64 v[3:4], v[3:4], v[67:68], v[49:50]
	v_fma_f64 v[1:2], v[1:2], v[67:68], -v[51:52]
	s_delay_alu instid0(VALU_DEP_4) | instskip(NEXT) | instid1(VALU_DEP_4)
	v_add_f64 v[6:7], v[43:44], v[6:7]
	v_add_f64 v[8:9], v[10:11], v[8:9]
	s_delay_alu instid0(VALU_DEP_2) | instskip(NEXT) | instid1(VALU_DEP_2)
	v_add_f64 v[1:2], v[6:7], v[1:2]
	v_add_f64 v[3:4], v[8:9], v[3:4]
	s_waitcnt vmcnt(0)
	s_delay_alu instid0(VALU_DEP_2) | instskip(NEXT) | instid1(VALU_DEP_2)
	v_add_f64 v[1:2], v[79:80], -v[1:2]
	v_add_f64 v[3:4], v[81:82], -v[3:4]
	scratch_store_b128 off, v[1:4], off offset:16
	v_cmpx_ne_u32_e32 0, v33
	s_cbranch_execz .LBB9_73
; %bb.72:
	scratch_load_b128 v[1:4], off, off
	v_mov_b32_e32 v6, 0
	s_delay_alu instid0(VALU_DEP_1)
	v_mov_b32_e32 v7, v6
	v_mov_b32_e32 v8, v6
	;; [unrolled: 1-line block ×3, first 2 shown]
	scratch_store_b128 off, v[6:9], off
	s_waitcnt vmcnt(0)
	ds_store_b128 v5, v[1:4]
.LBB9_73:
	s_or_b32 exec_lo, exec_lo, s2
	s_waitcnt lgkmcnt(0)
	s_waitcnt_vscnt null, 0x0
	s_barrier
	buffer_gl0_inv
	s_clause 0x7
	scratch_load_b128 v[1:4], off, off offset:16
	scratch_load_b128 v[5:8], off, off offset:32
	;; [unrolled: 1-line block ×8, first 2 shown]
	v_mov_b32_e32 v87, 0
	s_and_b32 vcc_lo, exec_lo, s20
	ds_load_b128 v[63:66], v87 offset:176
	s_clause 0x1
	scratch_load_b128 v[67:70], off, off offset:144
	scratch_load_b128 v[71:74], off, off
	ds_load_b128 v[75:78], v87 offset:192
	s_waitcnt vmcnt(9) lgkmcnt(1)
	v_mul_f64 v[79:80], v[65:66], v[3:4]
	v_mul_f64 v[3:4], v[63:64], v[3:4]
	s_waitcnt vmcnt(8) lgkmcnt(0)
	v_mul_f64 v[81:82], v[75:76], v[7:8]
	v_mul_f64 v[7:8], v[77:78], v[7:8]
	s_delay_alu instid0(VALU_DEP_4) | instskip(NEXT) | instid1(VALU_DEP_4)
	v_fma_f64 v[79:80], v[63:64], v[1:2], -v[79:80]
	v_fma_f64 v[83:84], v[65:66], v[1:2], v[3:4]
	ds_load_b128 v[1:4], v87 offset:208
	ds_load_b128 v[63:66], v87 offset:224
	v_fma_f64 v[77:78], v[77:78], v[5:6], v[81:82]
	v_fma_f64 v[5:6], v[75:76], v[5:6], -v[7:8]
	s_waitcnt vmcnt(7) lgkmcnt(1)
	v_mul_f64 v[85:86], v[1:2], v[11:12]
	v_mul_f64 v[11:12], v[3:4], v[11:12]
	v_add_f64 v[7:8], v[79:80], 0
	v_add_f64 v[75:76], v[83:84], 0
	s_waitcnt vmcnt(6) lgkmcnt(0)
	v_mul_f64 v[79:80], v[63:64], v[45:46]
	v_mul_f64 v[45:46], v[65:66], v[45:46]
	v_fma_f64 v[81:82], v[3:4], v[9:10], v[85:86]
	v_fma_f64 v[9:10], v[1:2], v[9:10], -v[11:12]
	v_add_f64 v[11:12], v[7:8], v[5:6]
	v_add_f64 v[75:76], v[75:76], v[77:78]
	ds_load_b128 v[1:4], v87 offset:240
	ds_load_b128 v[5:8], v87 offset:256
	v_fma_f64 v[65:66], v[65:66], v[43:44], v[79:80]
	v_fma_f64 v[43:44], v[63:64], v[43:44], -v[45:46]
	s_waitcnt vmcnt(5) lgkmcnt(1)
	v_mul_f64 v[77:78], v[1:2], v[49:50]
	v_mul_f64 v[49:50], v[3:4], v[49:50]
	s_waitcnt vmcnt(4) lgkmcnt(0)
	v_mul_f64 v[45:46], v[5:6], v[53:54]
	v_mul_f64 v[53:54], v[7:8], v[53:54]
	v_add_f64 v[9:10], v[11:12], v[9:10]
	v_add_f64 v[11:12], v[75:76], v[81:82]
	v_fma_f64 v[63:64], v[3:4], v[47:48], v[77:78]
	v_fma_f64 v[47:48], v[1:2], v[47:48], -v[49:50]
	v_fma_f64 v[7:8], v[7:8], v[51:52], v[45:46]
	v_fma_f64 v[5:6], v[5:6], v[51:52], -v[53:54]
	v_add_f64 v[43:44], v[9:10], v[43:44]
	v_add_f64 v[49:50], v[11:12], v[65:66]
	ds_load_b128 v[1:4], v87 offset:272
	ds_load_b128 v[9:12], v87 offset:288
	s_waitcnt vmcnt(3) lgkmcnt(1)
	v_mul_f64 v[65:66], v[1:2], v[57:58]
	v_mul_f64 v[57:58], v[3:4], v[57:58]
	v_add_f64 v[43:44], v[43:44], v[47:48]
	v_add_f64 v[45:46], v[49:50], v[63:64]
	s_waitcnt vmcnt(2) lgkmcnt(0)
	v_mul_f64 v[47:48], v[9:10], v[61:62]
	v_mul_f64 v[49:50], v[11:12], v[61:62]
	v_fma_f64 v[51:52], v[3:4], v[55:56], v[65:66]
	v_fma_f64 v[53:54], v[1:2], v[55:56], -v[57:58]
	ds_load_b128 v[1:4], v87 offset:304
	v_add_f64 v[5:6], v[43:44], v[5:6]
	v_add_f64 v[7:8], v[45:46], v[7:8]
	v_fma_f64 v[11:12], v[11:12], v[59:60], v[47:48]
	v_fma_f64 v[9:10], v[9:10], v[59:60], -v[49:50]
	s_waitcnt vmcnt(1) lgkmcnt(0)
	v_mul_f64 v[43:44], v[1:2], v[69:70]
	v_mul_f64 v[45:46], v[3:4], v[69:70]
	v_add_f64 v[5:6], v[5:6], v[53:54]
	v_add_f64 v[7:8], v[7:8], v[51:52]
	s_delay_alu instid0(VALU_DEP_4) | instskip(NEXT) | instid1(VALU_DEP_4)
	v_fma_f64 v[3:4], v[3:4], v[67:68], v[43:44]
	v_fma_f64 v[1:2], v[1:2], v[67:68], -v[45:46]
	s_delay_alu instid0(VALU_DEP_4) | instskip(NEXT) | instid1(VALU_DEP_4)
	v_add_f64 v[5:6], v[5:6], v[9:10]
	v_add_f64 v[7:8], v[7:8], v[11:12]
	s_delay_alu instid0(VALU_DEP_2) | instskip(NEXT) | instid1(VALU_DEP_2)
	v_add_f64 v[1:2], v[5:6], v[1:2]
	v_add_f64 v[3:4], v[7:8], v[3:4]
	s_waitcnt vmcnt(0)
	s_delay_alu instid0(VALU_DEP_2) | instskip(NEXT) | instid1(VALU_DEP_2)
	v_add_f64 v[1:2], v[71:72], -v[1:2]
	v_add_f64 v[3:4], v[73:74], -v[3:4]
	scratch_store_b128 off, v[1:4], off
	s_cbranch_vccz .LBB9_93
; %bb.74:
	v_dual_mov_b32 v1, s16 :: v_dual_mov_b32 v2, s17
	s_load_b64 s[0:1], s[0:1], 0x4
	flat_load_b32 v1, v[1:2] offset:32
	v_bfe_u32 v2, v0, 10, 10
	v_bfe_u32 v0, v0, 20, 10
	s_waitcnt lgkmcnt(0)
	s_lshr_b32 s0, s0, 16
	s_delay_alu instid0(VALU_DEP_2) | instskip(SKIP_1) | instid1(SALU_CYCLE_1)
	v_mul_u32_u24_e32 v2, s1, v2
	s_mul_i32 s0, s0, s1
	v_mul_u32_u24_e32 v3, s0, v33
	s_mov_b32 s0, exec_lo
	s_delay_alu instid0(VALU_DEP_1) | instskip(NEXT) | instid1(VALU_DEP_1)
	v_add3_u32 v0, v3, v2, v0
	v_lshl_add_u32 v0, v0, 4, 0x148
	s_waitcnt vmcnt(0)
	v_cmpx_ne_u32_e32 9, v1
	s_cbranch_execz .LBB9_76
; %bb.75:
	v_lshl_add_u32 v9, v1, 4, 0
	s_clause 0x1
	scratch_load_b128 v[1:4], v42, off
	scratch_load_b128 v[5:8], v9, off offset:-16
	s_waitcnt vmcnt(1)
	ds_store_2addr_b64 v0, v[1:2], v[3:4] offset1:1
	s_waitcnt vmcnt(0)
	s_clause 0x1
	scratch_store_b128 v42, v[5:8], off
	scratch_store_b128 v9, v[1:4], off offset:-16
.LBB9_76:
	s_or_b32 exec_lo, exec_lo, s0
	v_dual_mov_b32 v1, s16 :: v_dual_mov_b32 v2, s17
	s_mov_b32 s0, exec_lo
	flat_load_b32 v1, v[1:2] offset:28
	s_waitcnt vmcnt(0) lgkmcnt(0)
	v_cmpx_ne_u32_e32 8, v1
	s_cbranch_execz .LBB9_78
; %bb.77:
	v_lshl_add_u32 v9, v1, 4, 0
	s_clause 0x1
	scratch_load_b128 v[1:4], v39, off
	scratch_load_b128 v[5:8], v9, off offset:-16
	s_waitcnt vmcnt(1)
	ds_store_2addr_b64 v0, v[1:2], v[3:4] offset1:1
	s_waitcnt vmcnt(0)
	s_clause 0x1
	scratch_store_b128 v39, v[5:8], off
	scratch_store_b128 v9, v[1:4], off offset:-16
.LBB9_78:
	s_or_b32 exec_lo, exec_lo, s0
	v_dual_mov_b32 v1, s16 :: v_dual_mov_b32 v2, s17
	s_mov_b32 s0, exec_lo
	flat_load_b32 v1, v[1:2] offset:24
	s_waitcnt vmcnt(0) lgkmcnt(0)
	;; [unrolled: 19-line block ×7, first 2 shown]
	v_cmpx_ne_u32_e32 2, v1
	s_cbranch_execz .LBB9_90
; %bb.89:
	v_lshl_add_u32 v9, v1, 4, 0
	s_clause 0x1
	scratch_load_b128 v[1:4], v35, off
	scratch_load_b128 v[5:8], v9, off offset:-16
	s_waitcnt vmcnt(1)
	ds_store_2addr_b64 v0, v[1:2], v[3:4] offset1:1
	s_waitcnt vmcnt(0)
	s_clause 0x1
	scratch_store_b128 v35, v[5:8], off
	scratch_store_b128 v9, v[1:4], off offset:-16
.LBB9_90:
	s_or_b32 exec_lo, exec_lo, s0
	v_dual_mov_b32 v1, s16 :: v_dual_mov_b32 v2, s17
	s_mov_b32 s0, exec_lo
	flat_load_b32 v1, v[1:2]
	s_waitcnt vmcnt(0) lgkmcnt(0)
	v_cmpx_ne_u32_e32 1, v1
	s_cbranch_execz .LBB9_92
; %bb.91:
	v_lshl_add_u32 v9, v1, 4, 0
	scratch_load_b128 v[1:4], off, off
	scratch_load_b128 v[5:8], v9, off offset:-16
	s_waitcnt vmcnt(1)
	ds_store_2addr_b64 v0, v[1:2], v[3:4] offset1:1
	s_waitcnt vmcnt(0)
	scratch_store_b128 off, v[5:8], off
	scratch_store_b128 v9, v[1:4], off offset:-16
.LBB9_92:
	s_or_b32 exec_lo, exec_lo, s0
.LBB9_93:
	scratch_load_b128 v[0:3], off, off
	s_clause 0x8
	scratch_load_b128 v[4:7], v35, off
	scratch_load_b128 v[8:11], v37, off
	;; [unrolled: 1-line block ×9, first 2 shown]
	s_waitcnt vmcnt(9)
	global_store_b128 v[13:14], v[0:3], off
	s_waitcnt vmcnt(8)
	global_store_b128 v[15:16], v[4:7], off
	;; [unrolled: 2-line block ×10, first 2 shown]
	s_endpgm
	.section	.rodata,"a",@progbits
	.p2align	6, 0x0
	.amdhsa_kernel _ZN9rocsolver6v33100L18getri_kernel_smallILi10E19rocblas_complex_numIdEPS3_EEvT1_iilPiilS6_bb
		.amdhsa_group_segment_fixed_size 1352
		.amdhsa_private_segment_fixed_size 176
		.amdhsa_kernarg_size 60
		.amdhsa_user_sgpr_count 15
		.amdhsa_user_sgpr_dispatch_ptr 1
		.amdhsa_user_sgpr_queue_ptr 0
		.amdhsa_user_sgpr_kernarg_segment_ptr 1
		.amdhsa_user_sgpr_dispatch_id 0
		.amdhsa_user_sgpr_private_segment_size 0
		.amdhsa_wavefront_size32 1
		.amdhsa_uses_dynamic_stack 0
		.amdhsa_enable_private_segment 1
		.amdhsa_system_sgpr_workgroup_id_x 1
		.amdhsa_system_sgpr_workgroup_id_y 0
		.amdhsa_system_sgpr_workgroup_id_z 0
		.amdhsa_system_sgpr_workgroup_info 0
		.amdhsa_system_vgpr_workitem_id 2
		.amdhsa_next_free_vgpr 88
		.amdhsa_next_free_sgpr 22
		.amdhsa_reserve_vcc 1
		.amdhsa_float_round_mode_32 0
		.amdhsa_float_round_mode_16_64 0
		.amdhsa_float_denorm_mode_32 3
		.amdhsa_float_denorm_mode_16_64 3
		.amdhsa_dx10_clamp 1
		.amdhsa_ieee_mode 1
		.amdhsa_fp16_overflow 0
		.amdhsa_workgroup_processor_mode 1
		.amdhsa_memory_ordered 1
		.amdhsa_forward_progress 0
		.amdhsa_shared_vgpr_count 0
		.amdhsa_exception_fp_ieee_invalid_op 0
		.amdhsa_exception_fp_denorm_src 0
		.amdhsa_exception_fp_ieee_div_zero 0
		.amdhsa_exception_fp_ieee_overflow 0
		.amdhsa_exception_fp_ieee_underflow 0
		.amdhsa_exception_fp_ieee_inexact 0
		.amdhsa_exception_int_div_zero 0
	.end_amdhsa_kernel
	.section	.text._ZN9rocsolver6v33100L18getri_kernel_smallILi10E19rocblas_complex_numIdEPS3_EEvT1_iilPiilS6_bb,"axG",@progbits,_ZN9rocsolver6v33100L18getri_kernel_smallILi10E19rocblas_complex_numIdEPS3_EEvT1_iilPiilS6_bb,comdat
.Lfunc_end9:
	.size	_ZN9rocsolver6v33100L18getri_kernel_smallILi10E19rocblas_complex_numIdEPS3_EEvT1_iilPiilS6_bb, .Lfunc_end9-_ZN9rocsolver6v33100L18getri_kernel_smallILi10E19rocblas_complex_numIdEPS3_EEvT1_iilPiilS6_bb
                                        ; -- End function
	.section	.AMDGPU.csdata,"",@progbits
; Kernel info:
; codeLenInByte = 9788
; NumSgprs: 24
; NumVgprs: 88
; ScratchSize: 176
; MemoryBound: 0
; FloatMode: 240
; IeeeMode: 1
; LDSByteSize: 1352 bytes/workgroup (compile time only)
; SGPRBlocks: 2
; VGPRBlocks: 10
; NumSGPRsForWavesPerEU: 24
; NumVGPRsForWavesPerEU: 88
; Occupancy: 16
; WaveLimiterHint : 1
; COMPUTE_PGM_RSRC2:SCRATCH_EN: 1
; COMPUTE_PGM_RSRC2:USER_SGPR: 15
; COMPUTE_PGM_RSRC2:TRAP_HANDLER: 0
; COMPUTE_PGM_RSRC2:TGID_X_EN: 1
; COMPUTE_PGM_RSRC2:TGID_Y_EN: 0
; COMPUTE_PGM_RSRC2:TGID_Z_EN: 0
; COMPUTE_PGM_RSRC2:TIDIG_COMP_CNT: 2
	.section	.text._ZN9rocsolver6v33100L18getri_kernel_smallILi11E19rocblas_complex_numIdEPS3_EEvT1_iilPiilS6_bb,"axG",@progbits,_ZN9rocsolver6v33100L18getri_kernel_smallILi11E19rocblas_complex_numIdEPS3_EEvT1_iilPiilS6_bb,comdat
	.globl	_ZN9rocsolver6v33100L18getri_kernel_smallILi11E19rocblas_complex_numIdEPS3_EEvT1_iilPiilS6_bb ; -- Begin function _ZN9rocsolver6v33100L18getri_kernel_smallILi11E19rocblas_complex_numIdEPS3_EEvT1_iilPiilS6_bb
	.p2align	8
	.type	_ZN9rocsolver6v33100L18getri_kernel_smallILi11E19rocblas_complex_numIdEPS3_EEvT1_iilPiilS6_bb,@function
_ZN9rocsolver6v33100L18getri_kernel_smallILi11E19rocblas_complex_numIdEPS3_EEvT1_iilPiilS6_bb: ; @_ZN9rocsolver6v33100L18getri_kernel_smallILi11E19rocblas_complex_numIdEPS3_EEvT1_iilPiilS6_bb
; %bb.0:
	v_and_b32_e32 v35, 0x3ff, v0
	s_mov_b32 s4, exec_lo
	s_delay_alu instid0(VALU_DEP_1)
	v_cmpx_gt_u32_e32 11, v35
	s_cbranch_execz .LBB10_58
; %bb.1:
	s_mov_b32 s18, s15
	s_clause 0x2
	s_load_b32 s21, s[2:3], 0x38
	s_load_b128 s[12:15], s[2:3], 0x10
	s_load_b128 s[4:7], s[2:3], 0x28
                                        ; implicit-def: $sgpr16_sgpr17
	s_waitcnt lgkmcnt(0)
	s_bitcmp1_b32 s21, 8
	s_cselect_b32 s20, -1, 0
	s_bfe_u32 s8, s21, 0x10008
	s_ashr_i32 s19, s18, 31
	s_cmp_eq_u32 s8, 0
	s_cbranch_scc1 .LBB10_3
; %bb.2:
	s_load_b32 s8, s[2:3], 0x20
	s_mul_i32 s5, s18, s5
	s_mul_hi_u32 s9, s18, s4
	s_mul_i32 s10, s19, s4
	s_add_i32 s5, s9, s5
	s_mul_i32 s4, s18, s4
	s_add_i32 s5, s5, s10
	s_delay_alu instid0(SALU_CYCLE_1)
	s_lshl_b64 s[4:5], s[4:5], 2
	s_waitcnt lgkmcnt(0)
	s_ashr_i32 s9, s8, 31
	s_add_u32 s10, s14, s4
	s_addc_u32 s11, s15, s5
	s_lshl_b64 s[4:5], s[8:9], 2
	s_delay_alu instid0(SALU_CYCLE_1)
	s_add_u32 s16, s10, s4
	s_addc_u32 s17, s11, s5
.LBB10_3:
	s_load_b128 s[8:11], s[2:3], 0x0
	s_mul_i32 s2, s18, s13
	s_mul_hi_u32 s3, s18, s12
	s_mul_i32 s4, s19, s12
	s_add_i32 s3, s3, s2
	s_mul_i32 s2, s18, s12
	s_add_i32 s3, s3, s4
	v_lshlrev_b32_e32 v46, 4, v35
	s_lshl_b64 s[2:3], s[2:3], 4
	v_add_nc_u32_e64 v37, 0, 16
	v_add_nc_u32_e64 v39, 0, 32
	;; [unrolled: 1-line block ×3, first 2 shown]
	s_waitcnt lgkmcnt(0)
	v_add3_u32 v1, s11, s11, v35
	s_ashr_i32 s5, s10, 31
	s_mov_b32 s4, s10
	s_add_u32 s8, s8, s2
	s_addc_u32 s9, s9, s3
	v_add_nc_u32_e32 v5, s11, v1
	s_lshl_b64 s[2:3], s[4:5], 4
	v_ashrrev_i32_e32 v2, 31, v1
	s_add_u32 s2, s8, s2
	s_addc_u32 s3, s9, s3
	v_add_nc_u32_e32 v19, s11, v5
	v_add_co_u32 v13, s8, s2, v46
	v_ashrrev_i32_e32 v6, 31, v5
	s_mov_b32 s4, s11
	s_delay_alu instid0(VALU_DEP_3) | instskip(SKIP_3) | instid1(VALU_DEP_3)
	v_add_nc_u32_e32 v25, s11, v19
	s_ashr_i32 s5, s11, 31
	v_add_co_ci_u32_e64 v14, null, s3, 0, s8
	v_lshlrev_b64 v[1:2], 4, v[1:2]
	v_add_nc_u32_e32 v27, s11, v25
	s_lshl_b64 s[4:5], s[4:5], 4
	v_ashrrev_i32_e32 v20, 31, v19
	v_add_co_u32 v15, vcc_lo, v13, s4
	v_lshlrev_b64 v[21:22], 4, v[5:6]
	v_add_nc_u32_e32 v29, s11, v27
	v_add_co_ci_u32_e32 v16, vcc_lo, s5, v14, vcc_lo
	v_add_co_u32 v17, vcc_lo, s2, v1
	v_lshlrev_b64 v[23:24], 4, v[19:20]
	v_add_co_ci_u32_e32 v18, vcc_lo, s3, v2, vcc_lo
	v_add_co_u32 v19, vcc_lo, s2, v21
	v_ashrrev_i32_e32 v26, 31, v25
	v_ashrrev_i32_e32 v28, 31, v27
	;; [unrolled: 1-line block ×3, first 2 shown]
	v_add_co_ci_u32_e32 v20, vcc_lo, s3, v22, vcc_lo
	v_add_co_u32 v21, vcc_lo, s2, v23
	v_add_co_ci_u32_e32 v22, vcc_lo, s3, v24, vcc_lo
	v_lshlrev_b64 v[23:24], 4, v[25:26]
	v_lshlrev_b64 v[25:26], 4, v[27:28]
	;; [unrolled: 1-line block ×3, first 2 shown]
	v_add_nc_u32_e32 v29, s11, v29
	s_clause 0x2
	global_load_b128 v[1:4], v46, s[2:3]
	global_load_b128 v[5:8], v[15:16], off
	global_load_b128 v[9:12], v[17:18], off
	v_add_co_u32 v23, vcc_lo, s2, v23
	v_add_nc_u32_e32 v31, s11, v29
	v_ashrrev_i32_e32 v30, 31, v29
	v_add_co_ci_u32_e32 v24, vcc_lo, s3, v24, vcc_lo
	v_add_co_u32 v25, vcc_lo, s2, v25
	s_delay_alu instid0(VALU_DEP_4) | instskip(SKIP_3) | instid1(VALU_DEP_4)
	v_add_nc_u32_e32 v33, s11, v31
	v_ashrrev_i32_e32 v32, 31, v31
	v_lshlrev_b64 v[29:30], 4, v[29:30]
	v_add_co_ci_u32_e32 v26, vcc_lo, s3, v26, vcc_lo
	v_ashrrev_i32_e32 v34, 31, v33
	v_add_co_u32 v27, vcc_lo, s2, v27
	v_lshlrev_b64 v[31:32], 4, v[31:32]
	v_add_co_ci_u32_e32 v28, vcc_lo, s3, v28, vcc_lo
	v_add_co_u32 v29, vcc_lo, s2, v29
	v_lshlrev_b64 v[33:34], 4, v[33:34]
	v_add_co_ci_u32_e32 v30, vcc_lo, s3, v30, vcc_lo
	s_clause 0x1
	global_load_b128 v[40:43], v[19:20], off
	global_load_b128 v[47:50], v[21:22], off
	v_add_co_u32 v31, vcc_lo, s2, v31
	v_add_co_ci_u32_e32 v32, vcc_lo, s3, v32, vcc_lo
	v_add_co_u32 v33, vcc_lo, s2, v33
	v_add_co_ci_u32_e32 v34, vcc_lo, s3, v34, vcc_lo
	s_clause 0x5
	global_load_b128 v[51:54], v[23:24], off
	global_load_b128 v[55:58], v[25:26], off
	;; [unrolled: 1-line block ×6, first 2 shown]
	s_movk_i32 s2, 0x50
	s_movk_i32 s3, 0x70
	v_add_nc_u32_e64 v38, s2, 0
	s_movk_i32 s2, 0x60
	s_bitcmp0_b32 s21, 0
	s_waitcnt vmcnt(10)
	scratch_store_b128 off, v[1:4], off
	s_waitcnt vmcnt(9)
	scratch_store_b128 off, v[5:8], off offset:16
	s_waitcnt vmcnt(8)
	scratch_store_b128 off, v[9:12], off offset:32
	;; [unrolled: 2-line block ×3, first 2 shown]
	v_add_nc_u32_e64 v42, s2, 0
	s_movk_i32 s2, 0x80
	v_add_nc_u32_e64 v41, s3, 0
	v_add_nc_u32_e64 v44, s2, 0
	s_movk_i32 s2, 0x90
	s_movk_i32 s3, 0xa0
	v_add_nc_u32_e64 v40, 0, 64
	v_add_nc_u32_e64 v45, s2, 0
	;; [unrolled: 1-line block ×3, first 2 shown]
	s_mov_b32 s3, -1
	s_waitcnt vmcnt(6)
	scratch_store_b128 off, v[47:50], off offset:64
	s_waitcnt vmcnt(5)
	scratch_store_b128 off, v[51:54], off offset:80
	s_waitcnt vmcnt(4)
	scratch_store_b128 off, v[55:58], off offset:96
	s_waitcnt vmcnt(3)
	scratch_store_b128 off, v[59:62], off offset:112
	s_waitcnt vmcnt(2)
	scratch_store_b128 off, v[63:66], off offset:128
	s_waitcnt vmcnt(1)
	scratch_store_b128 off, v[67:70], off offset:144
	s_waitcnt vmcnt(0)
	scratch_store_b128 off, v[71:74], off offset:160
	s_cbranch_scc1 .LBB10_56
; %bb.4:
	v_cmp_eq_u32_e64 s2, 0, v35
	s_delay_alu instid0(VALU_DEP_1)
	s_and_saveexec_b32 s3, s2
	s_cbranch_execz .LBB10_6
; %bb.5:
	v_mov_b32_e32 v1, 0
	ds_store_b32 v1, v1 offset:352
.LBB10_6:
	s_or_b32 exec_lo, exec_lo, s3
	s_waitcnt lgkmcnt(0)
	s_waitcnt_vscnt null, 0x0
	s_barrier
	buffer_gl0_inv
	scratch_load_b128 v[1:4], v46, off
	s_waitcnt vmcnt(0)
	v_cmp_eq_f64_e32 vcc_lo, 0, v[1:2]
	v_cmp_eq_f64_e64 s3, 0, v[3:4]
	s_delay_alu instid0(VALU_DEP_1) | instskip(NEXT) | instid1(SALU_CYCLE_1)
	s_and_b32 s3, vcc_lo, s3
	s_and_saveexec_b32 s4, s3
	s_cbranch_execz .LBB10_10
; %bb.7:
	v_mov_b32_e32 v1, 0
	s_mov_b32 s5, 0
	ds_load_b32 v2, v1 offset:352
	s_waitcnt lgkmcnt(0)
	v_readfirstlane_b32 s3, v2
	v_add_nc_u32_e32 v2, 1, v35
	s_delay_alu instid0(VALU_DEP_2) | instskip(NEXT) | instid1(VALU_DEP_1)
	s_cmp_eq_u32 s3, 0
	v_cmp_gt_i32_e32 vcc_lo, s3, v2
	s_cselect_b32 s8, -1, 0
	s_delay_alu instid0(SALU_CYCLE_1) | instskip(NEXT) | instid1(SALU_CYCLE_1)
	s_or_b32 s8, s8, vcc_lo
	s_and_b32 exec_lo, exec_lo, s8
	s_cbranch_execz .LBB10_10
; %bb.8:
	v_mov_b32_e32 v3, s3
.LBB10_9:                               ; =>This Inner Loop Header: Depth=1
	ds_cmpstore_rtn_b32 v3, v1, v2, v3 offset:352
	s_waitcnt lgkmcnt(0)
	v_cmp_ne_u32_e32 vcc_lo, 0, v3
	v_cmp_le_i32_e64 s3, v3, v2
	s_delay_alu instid0(VALU_DEP_1) | instskip(NEXT) | instid1(SALU_CYCLE_1)
	s_and_b32 s3, vcc_lo, s3
	s_and_b32 s3, exec_lo, s3
	s_delay_alu instid0(SALU_CYCLE_1) | instskip(NEXT) | instid1(SALU_CYCLE_1)
	s_or_b32 s5, s3, s5
	s_and_not1_b32 exec_lo, exec_lo, s5
	s_cbranch_execnz .LBB10_9
.LBB10_10:
	s_or_b32 exec_lo, exec_lo, s4
	v_mov_b32_e32 v1, 0
	s_barrier
	buffer_gl0_inv
	ds_load_b32 v2, v1 offset:352
	s_and_saveexec_b32 s3, s2
	s_cbranch_execz .LBB10_12
; %bb.11:
	s_lshl_b64 s[4:5], s[18:19], 2
	s_delay_alu instid0(SALU_CYCLE_1)
	s_add_u32 s4, s6, s4
	s_addc_u32 s5, s7, s5
	s_waitcnt lgkmcnt(0)
	global_store_b32 v1, v2, s[4:5]
.LBB10_12:
	s_or_b32 exec_lo, exec_lo, s3
	s_waitcnt lgkmcnt(0)
	v_cmp_ne_u32_e32 vcc_lo, 0, v2
	s_mov_b32 s3, 0
	s_cbranch_vccnz .LBB10_56
; %bb.13:
	v_add_nc_u32_e32 v47, 0, v46
                                        ; implicit-def: $vgpr9_vgpr10
	scratch_load_b128 v[1:4], v47, off
	s_waitcnt vmcnt(0)
	v_cmp_gt_f64_e32 vcc_lo, 0, v[1:2]
	v_xor_b32_e32 v6, 0x80000000, v2
	v_mov_b32_e32 v5, v1
	v_xor_b32_e32 v7, 0x80000000, v4
	s_delay_alu instid0(VALU_DEP_3) | instskip(SKIP_1) | instid1(VALU_DEP_3)
	v_cndmask_b32_e32 v6, v2, v6, vcc_lo
	v_cmp_gt_f64_e32 vcc_lo, 0, v[3:4]
	v_dual_cndmask_b32 v8, v4, v7 :: v_dual_mov_b32 v7, v3
	s_delay_alu instid0(VALU_DEP_1) | instskip(SKIP_1) | instid1(SALU_CYCLE_1)
	v_cmp_ngt_f64_e32 vcc_lo, v[5:6], v[7:8]
                                        ; implicit-def: $vgpr5_vgpr6
	s_and_saveexec_b32 s3, vcc_lo
	s_xor_b32 s3, exec_lo, s3
	s_cbranch_execz .LBB10_15
; %bb.14:
	v_div_scale_f64 v[5:6], null, v[3:4], v[3:4], v[1:2]
	v_div_scale_f64 v[11:12], vcc_lo, v[1:2], v[3:4], v[1:2]
	s_delay_alu instid0(VALU_DEP_2) | instskip(SKIP_2) | instid1(VALU_DEP_1)
	v_rcp_f64_e32 v[7:8], v[5:6]
	s_waitcnt_depctr 0xfff
	v_fma_f64 v[9:10], -v[5:6], v[7:8], 1.0
	v_fma_f64 v[7:8], v[7:8], v[9:10], v[7:8]
	s_delay_alu instid0(VALU_DEP_1) | instskip(NEXT) | instid1(VALU_DEP_1)
	v_fma_f64 v[9:10], -v[5:6], v[7:8], 1.0
	v_fma_f64 v[7:8], v[7:8], v[9:10], v[7:8]
	s_delay_alu instid0(VALU_DEP_1) | instskip(NEXT) | instid1(VALU_DEP_1)
	v_mul_f64 v[9:10], v[11:12], v[7:8]
	v_fma_f64 v[5:6], -v[5:6], v[9:10], v[11:12]
	s_delay_alu instid0(VALU_DEP_1) | instskip(NEXT) | instid1(VALU_DEP_1)
	v_div_fmas_f64 v[5:6], v[5:6], v[7:8], v[9:10]
	v_div_fixup_f64 v[5:6], v[5:6], v[3:4], v[1:2]
	s_delay_alu instid0(VALU_DEP_1) | instskip(NEXT) | instid1(VALU_DEP_1)
	v_fma_f64 v[1:2], v[1:2], v[5:6], v[3:4]
	v_div_scale_f64 v[3:4], null, v[1:2], v[1:2], 1.0
	v_div_scale_f64 v[11:12], vcc_lo, 1.0, v[1:2], 1.0
	s_delay_alu instid0(VALU_DEP_2) | instskip(SKIP_2) | instid1(VALU_DEP_1)
	v_rcp_f64_e32 v[7:8], v[3:4]
	s_waitcnt_depctr 0xfff
	v_fma_f64 v[9:10], -v[3:4], v[7:8], 1.0
	v_fma_f64 v[7:8], v[7:8], v[9:10], v[7:8]
	s_delay_alu instid0(VALU_DEP_1) | instskip(NEXT) | instid1(VALU_DEP_1)
	v_fma_f64 v[9:10], -v[3:4], v[7:8], 1.0
	v_fma_f64 v[7:8], v[7:8], v[9:10], v[7:8]
	s_delay_alu instid0(VALU_DEP_1) | instskip(NEXT) | instid1(VALU_DEP_1)
	v_mul_f64 v[9:10], v[11:12], v[7:8]
	v_fma_f64 v[3:4], -v[3:4], v[9:10], v[11:12]
	s_delay_alu instid0(VALU_DEP_1) | instskip(NEXT) | instid1(VALU_DEP_1)
	v_div_fmas_f64 v[3:4], v[3:4], v[7:8], v[9:10]
	v_div_fixup_f64 v[7:8], v[3:4], v[1:2], 1.0
                                        ; implicit-def: $vgpr1_vgpr2
	s_delay_alu instid0(VALU_DEP_1) | instskip(SKIP_1) | instid1(VALU_DEP_2)
	v_mul_f64 v[5:6], v[5:6], v[7:8]
	v_xor_b32_e32 v8, 0x80000000, v8
	v_xor_b32_e32 v10, 0x80000000, v6
	s_delay_alu instid0(VALU_DEP_3)
	v_mov_b32_e32 v9, v5
.LBB10_15:
	s_and_not1_saveexec_b32 s3, s3
	s_cbranch_execz .LBB10_17
; %bb.16:
	v_div_scale_f64 v[5:6], null, v[1:2], v[1:2], v[3:4]
	v_div_scale_f64 v[11:12], vcc_lo, v[3:4], v[1:2], v[3:4]
	s_delay_alu instid0(VALU_DEP_2) | instskip(SKIP_2) | instid1(VALU_DEP_1)
	v_rcp_f64_e32 v[7:8], v[5:6]
	s_waitcnt_depctr 0xfff
	v_fma_f64 v[9:10], -v[5:6], v[7:8], 1.0
	v_fma_f64 v[7:8], v[7:8], v[9:10], v[7:8]
	s_delay_alu instid0(VALU_DEP_1) | instskip(NEXT) | instid1(VALU_DEP_1)
	v_fma_f64 v[9:10], -v[5:6], v[7:8], 1.0
	v_fma_f64 v[7:8], v[7:8], v[9:10], v[7:8]
	s_delay_alu instid0(VALU_DEP_1) | instskip(NEXT) | instid1(VALU_DEP_1)
	v_mul_f64 v[9:10], v[11:12], v[7:8]
	v_fma_f64 v[5:6], -v[5:6], v[9:10], v[11:12]
	s_delay_alu instid0(VALU_DEP_1) | instskip(NEXT) | instid1(VALU_DEP_1)
	v_div_fmas_f64 v[5:6], v[5:6], v[7:8], v[9:10]
	v_div_fixup_f64 v[7:8], v[5:6], v[1:2], v[3:4]
	s_delay_alu instid0(VALU_DEP_1) | instskip(NEXT) | instid1(VALU_DEP_1)
	v_fma_f64 v[1:2], v[3:4], v[7:8], v[1:2]
	v_div_scale_f64 v[3:4], null, v[1:2], v[1:2], 1.0
	s_delay_alu instid0(VALU_DEP_1) | instskip(SKIP_2) | instid1(VALU_DEP_1)
	v_rcp_f64_e32 v[5:6], v[3:4]
	s_waitcnt_depctr 0xfff
	v_fma_f64 v[9:10], -v[3:4], v[5:6], 1.0
	v_fma_f64 v[5:6], v[5:6], v[9:10], v[5:6]
	s_delay_alu instid0(VALU_DEP_1) | instskip(NEXT) | instid1(VALU_DEP_1)
	v_fma_f64 v[9:10], -v[3:4], v[5:6], 1.0
	v_fma_f64 v[5:6], v[5:6], v[9:10], v[5:6]
	v_div_scale_f64 v[9:10], vcc_lo, 1.0, v[1:2], 1.0
	s_delay_alu instid0(VALU_DEP_1) | instskip(NEXT) | instid1(VALU_DEP_1)
	v_mul_f64 v[11:12], v[9:10], v[5:6]
	v_fma_f64 v[3:4], -v[3:4], v[11:12], v[9:10]
	s_delay_alu instid0(VALU_DEP_1) | instskip(NEXT) | instid1(VALU_DEP_1)
	v_div_fmas_f64 v[3:4], v[3:4], v[5:6], v[11:12]
	v_div_fixup_f64 v[5:6], v[3:4], v[1:2], 1.0
	s_delay_alu instid0(VALU_DEP_1)
	v_mul_f64 v[7:8], v[7:8], -v[5:6]
	v_xor_b32_e32 v10, 0x80000000, v6
	v_mov_b32_e32 v9, v5
.LBB10_17:
	s_or_b32 exec_lo, exec_lo, s3
	scratch_store_b128 v47, v[5:8], off
	scratch_load_b128 v[1:4], v37, off
	v_xor_b32_e32 v12, 0x80000000, v8
	v_mov_b32_e32 v11, v7
	v_add_nc_u32_e32 v5, 0xb0, v46
	ds_store_b128 v46, v[9:12]
	s_waitcnt vmcnt(0)
	ds_store_b128 v46, v[1:4] offset:176
	s_waitcnt lgkmcnt(0)
	s_waitcnt_vscnt null, 0x0
	s_barrier
	buffer_gl0_inv
	s_and_saveexec_b32 s3, s2
	s_cbranch_execz .LBB10_19
; %bb.18:
	scratch_load_b128 v[1:4], v47, off
	ds_load_b128 v[6:9], v5
	v_mov_b32_e32 v10, 0
	ds_load_b128 v[48:51], v10 offset:16
	s_waitcnt vmcnt(0) lgkmcnt(1)
	v_mul_f64 v[10:11], v[6:7], v[3:4]
	v_mul_f64 v[3:4], v[8:9], v[3:4]
	s_delay_alu instid0(VALU_DEP_2) | instskip(NEXT) | instid1(VALU_DEP_2)
	v_fma_f64 v[8:9], v[8:9], v[1:2], v[10:11]
	v_fma_f64 v[1:2], v[6:7], v[1:2], -v[3:4]
	s_delay_alu instid0(VALU_DEP_2) | instskip(NEXT) | instid1(VALU_DEP_2)
	v_add_f64 v[3:4], v[8:9], 0
	v_add_f64 v[1:2], v[1:2], 0
	s_waitcnt lgkmcnt(0)
	s_delay_alu instid0(VALU_DEP_2) | instskip(NEXT) | instid1(VALU_DEP_2)
	v_mul_f64 v[6:7], v[3:4], v[50:51]
	v_mul_f64 v[8:9], v[1:2], v[50:51]
	s_delay_alu instid0(VALU_DEP_2) | instskip(NEXT) | instid1(VALU_DEP_2)
	v_fma_f64 v[1:2], v[1:2], v[48:49], -v[6:7]
	v_fma_f64 v[3:4], v[3:4], v[48:49], v[8:9]
	scratch_store_b128 off, v[1:4], off offset:16
.LBB10_19:
	s_or_b32 exec_lo, exec_lo, s3
	s_waitcnt_vscnt null, 0x0
	s_barrier
	buffer_gl0_inv
	scratch_load_b128 v[1:4], v39, off
	s_mov_b32 s3, exec_lo
	s_waitcnt vmcnt(0)
	ds_store_b128 v5, v[1:4]
	s_waitcnt lgkmcnt(0)
	s_barrier
	buffer_gl0_inv
	v_cmpx_gt_u32_e32 2, v35
	s_cbranch_execz .LBB10_23
; %bb.20:
	scratch_load_b128 v[1:4], v47, off
	ds_load_b128 v[6:9], v5
	s_waitcnt vmcnt(0) lgkmcnt(0)
	v_mul_f64 v[10:11], v[8:9], v[3:4]
	v_mul_f64 v[3:4], v[6:7], v[3:4]
	s_delay_alu instid0(VALU_DEP_2) | instskip(NEXT) | instid1(VALU_DEP_2)
	v_fma_f64 v[6:7], v[6:7], v[1:2], -v[10:11]
	v_fma_f64 v[3:4], v[8:9], v[1:2], v[3:4]
	s_delay_alu instid0(VALU_DEP_2) | instskip(NEXT) | instid1(VALU_DEP_2)
	v_add_f64 v[1:2], v[6:7], 0
	v_add_f64 v[3:4], v[3:4], 0
	s_and_saveexec_b32 s4, s2
	s_cbranch_execz .LBB10_22
; %bb.21:
	scratch_load_b128 v[6:9], off, off offset:16
	v_mov_b32_e32 v10, 0
	ds_load_b128 v[48:51], v10 offset:192
	s_waitcnt vmcnt(0) lgkmcnt(0)
	v_mul_f64 v[10:11], v[48:49], v[8:9]
	v_mul_f64 v[8:9], v[50:51], v[8:9]
	s_delay_alu instid0(VALU_DEP_2) | instskip(NEXT) | instid1(VALU_DEP_2)
	v_fma_f64 v[10:11], v[50:51], v[6:7], v[10:11]
	v_fma_f64 v[6:7], v[48:49], v[6:7], -v[8:9]
	s_delay_alu instid0(VALU_DEP_2) | instskip(NEXT) | instid1(VALU_DEP_2)
	v_add_f64 v[3:4], v[3:4], v[10:11]
	v_add_f64 v[1:2], v[1:2], v[6:7]
.LBB10_22:
	s_or_b32 exec_lo, exec_lo, s4
	v_mov_b32_e32 v6, 0
	ds_load_b128 v[6:9], v6 offset:32
	s_waitcnt lgkmcnt(0)
	v_mul_f64 v[10:11], v[3:4], v[8:9]
	v_mul_f64 v[8:9], v[1:2], v[8:9]
	s_delay_alu instid0(VALU_DEP_2) | instskip(NEXT) | instid1(VALU_DEP_2)
	v_fma_f64 v[1:2], v[1:2], v[6:7], -v[10:11]
	v_fma_f64 v[3:4], v[3:4], v[6:7], v[8:9]
	scratch_store_b128 off, v[1:4], off offset:32
.LBB10_23:
	s_or_b32 exec_lo, exec_lo, s3
	s_waitcnt_vscnt null, 0x0
	s_barrier
	buffer_gl0_inv
	scratch_load_b128 v[1:4], v36, off
	v_add_nc_u32_e32 v6, -1, v35
	s_mov_b32 s2, exec_lo
	s_waitcnt vmcnt(0)
	ds_store_b128 v5, v[1:4]
	s_waitcnt lgkmcnt(0)
	s_barrier
	buffer_gl0_inv
	v_cmpx_gt_u32_e32 3, v35
	s_cbranch_execz .LBB10_27
; %bb.24:
	v_dual_mov_b32 v1, 0 :: v_dual_add_nc_u32 v8, 0xb0, v46
	v_dual_mov_b32 v2, 0 :: v_dual_add_nc_u32 v7, -1, v35
	v_or_b32_e32 v9, 8, v47
	s_mov_b32 s3, 0
	s_delay_alu instid0(VALU_DEP_2)
	v_dual_mov_b32 v4, v2 :: v_dual_mov_b32 v3, v1
	.p2align	6
.LBB10_25:                              ; =>This Inner Loop Header: Depth=1
	scratch_load_b128 v[48:51], v9, off offset:-8
	ds_load_b128 v[52:55], v8
	v_add_nc_u32_e32 v7, 1, v7
	v_add_nc_u32_e32 v8, 16, v8
	v_add_nc_u32_e32 v9, 16, v9
	s_delay_alu instid0(VALU_DEP_3) | instskip(SKIP_4) | instid1(VALU_DEP_2)
	v_cmp_lt_u32_e32 vcc_lo, 1, v7
	s_or_b32 s3, vcc_lo, s3
	s_waitcnt vmcnt(0) lgkmcnt(0)
	v_mul_f64 v[10:11], v[54:55], v[50:51]
	v_mul_f64 v[50:51], v[52:53], v[50:51]
	v_fma_f64 v[10:11], v[52:53], v[48:49], -v[10:11]
	s_delay_alu instid0(VALU_DEP_2) | instskip(NEXT) | instid1(VALU_DEP_2)
	v_fma_f64 v[48:49], v[54:55], v[48:49], v[50:51]
	v_add_f64 v[3:4], v[3:4], v[10:11]
	s_delay_alu instid0(VALU_DEP_2)
	v_add_f64 v[1:2], v[1:2], v[48:49]
	s_and_not1_b32 exec_lo, exec_lo, s3
	s_cbranch_execnz .LBB10_25
; %bb.26:
	s_or_b32 exec_lo, exec_lo, s3
	v_mov_b32_e32 v7, 0
	ds_load_b128 v[7:10], v7 offset:48
	s_waitcnt lgkmcnt(0)
	v_mul_f64 v[11:12], v[1:2], v[9:10]
	v_mul_f64 v[48:49], v[3:4], v[9:10]
	s_delay_alu instid0(VALU_DEP_2) | instskip(NEXT) | instid1(VALU_DEP_2)
	v_fma_f64 v[9:10], v[3:4], v[7:8], -v[11:12]
	v_fma_f64 v[11:12], v[1:2], v[7:8], v[48:49]
	scratch_store_b128 off, v[9:12], off offset:48
.LBB10_27:
	s_or_b32 exec_lo, exec_lo, s2
	s_waitcnt_vscnt null, 0x0
	s_barrier
	buffer_gl0_inv
	scratch_load_b128 v[1:4], v40, off
	s_mov_b32 s2, exec_lo
	s_waitcnt vmcnt(0)
	ds_store_b128 v5, v[1:4]
	s_waitcnt lgkmcnt(0)
	s_barrier
	buffer_gl0_inv
	v_cmpx_gt_u32_e32 4, v35
	s_cbranch_execz .LBB10_31
; %bb.28:
	v_dual_mov_b32 v1, 0 :: v_dual_add_nc_u32 v8, 0xb0, v46
	v_dual_mov_b32 v2, 0 :: v_dual_add_nc_u32 v7, -1, v35
	v_or_b32_e32 v9, 8, v47
	s_mov_b32 s3, 0
	s_delay_alu instid0(VALU_DEP_2)
	v_dual_mov_b32 v4, v2 :: v_dual_mov_b32 v3, v1
	.p2align	6
.LBB10_29:                              ; =>This Inner Loop Header: Depth=1
	scratch_load_b128 v[48:51], v9, off offset:-8
	ds_load_b128 v[52:55], v8
	v_add_nc_u32_e32 v7, 1, v7
	v_add_nc_u32_e32 v8, 16, v8
	;; [unrolled: 1-line block ×3, first 2 shown]
	s_delay_alu instid0(VALU_DEP_3) | instskip(SKIP_4) | instid1(VALU_DEP_2)
	v_cmp_lt_u32_e32 vcc_lo, 2, v7
	s_or_b32 s3, vcc_lo, s3
	s_waitcnt vmcnt(0) lgkmcnt(0)
	v_mul_f64 v[10:11], v[54:55], v[50:51]
	v_mul_f64 v[50:51], v[52:53], v[50:51]
	v_fma_f64 v[10:11], v[52:53], v[48:49], -v[10:11]
	s_delay_alu instid0(VALU_DEP_2) | instskip(NEXT) | instid1(VALU_DEP_2)
	v_fma_f64 v[48:49], v[54:55], v[48:49], v[50:51]
	v_add_f64 v[3:4], v[3:4], v[10:11]
	s_delay_alu instid0(VALU_DEP_2)
	v_add_f64 v[1:2], v[1:2], v[48:49]
	s_and_not1_b32 exec_lo, exec_lo, s3
	s_cbranch_execnz .LBB10_29
; %bb.30:
	s_or_b32 exec_lo, exec_lo, s3
	v_mov_b32_e32 v7, 0
	ds_load_b128 v[7:10], v7 offset:64
	s_waitcnt lgkmcnt(0)
	v_mul_f64 v[11:12], v[1:2], v[9:10]
	v_mul_f64 v[48:49], v[3:4], v[9:10]
	s_delay_alu instid0(VALU_DEP_2) | instskip(NEXT) | instid1(VALU_DEP_2)
	v_fma_f64 v[9:10], v[3:4], v[7:8], -v[11:12]
	v_fma_f64 v[11:12], v[1:2], v[7:8], v[48:49]
	scratch_store_b128 off, v[9:12], off offset:64
.LBB10_31:
	s_or_b32 exec_lo, exec_lo, s2
	s_waitcnt_vscnt null, 0x0
	s_barrier
	buffer_gl0_inv
	scratch_load_b128 v[1:4], v38, off
	s_mov_b32 s2, exec_lo
	s_waitcnt vmcnt(0)
	ds_store_b128 v5, v[1:4]
	s_waitcnt lgkmcnt(0)
	s_barrier
	buffer_gl0_inv
	v_cmpx_gt_u32_e32 5, v35
	s_cbranch_execz .LBB10_35
; %bb.32:
	v_dual_mov_b32 v1, 0 :: v_dual_add_nc_u32 v8, 0xb0, v46
	v_dual_mov_b32 v2, 0 :: v_dual_add_nc_u32 v7, -1, v35
	v_or_b32_e32 v9, 8, v47
	s_mov_b32 s3, 0
	s_delay_alu instid0(VALU_DEP_2)
	v_dual_mov_b32 v4, v2 :: v_dual_mov_b32 v3, v1
	.p2align	6
.LBB10_33:                              ; =>This Inner Loop Header: Depth=1
	scratch_load_b128 v[48:51], v9, off offset:-8
	ds_load_b128 v[52:55], v8
	v_add_nc_u32_e32 v7, 1, v7
	v_add_nc_u32_e32 v8, 16, v8
	;; [unrolled: 1-line block ×3, first 2 shown]
	s_delay_alu instid0(VALU_DEP_3) | instskip(SKIP_4) | instid1(VALU_DEP_2)
	v_cmp_lt_u32_e32 vcc_lo, 3, v7
	s_or_b32 s3, vcc_lo, s3
	s_waitcnt vmcnt(0) lgkmcnt(0)
	v_mul_f64 v[10:11], v[54:55], v[50:51]
	v_mul_f64 v[50:51], v[52:53], v[50:51]
	v_fma_f64 v[10:11], v[52:53], v[48:49], -v[10:11]
	s_delay_alu instid0(VALU_DEP_2) | instskip(NEXT) | instid1(VALU_DEP_2)
	v_fma_f64 v[48:49], v[54:55], v[48:49], v[50:51]
	v_add_f64 v[3:4], v[3:4], v[10:11]
	s_delay_alu instid0(VALU_DEP_2)
	v_add_f64 v[1:2], v[1:2], v[48:49]
	s_and_not1_b32 exec_lo, exec_lo, s3
	s_cbranch_execnz .LBB10_33
; %bb.34:
	s_or_b32 exec_lo, exec_lo, s3
	v_mov_b32_e32 v7, 0
	ds_load_b128 v[7:10], v7 offset:80
	s_waitcnt lgkmcnt(0)
	v_mul_f64 v[11:12], v[1:2], v[9:10]
	v_mul_f64 v[48:49], v[3:4], v[9:10]
	s_delay_alu instid0(VALU_DEP_2) | instskip(NEXT) | instid1(VALU_DEP_2)
	v_fma_f64 v[9:10], v[3:4], v[7:8], -v[11:12]
	v_fma_f64 v[11:12], v[1:2], v[7:8], v[48:49]
	scratch_store_b128 off, v[9:12], off offset:80
.LBB10_35:
	s_or_b32 exec_lo, exec_lo, s2
	s_waitcnt_vscnt null, 0x0
	s_barrier
	buffer_gl0_inv
	scratch_load_b128 v[1:4], v42, off
	s_mov_b32 s2, exec_lo
	s_waitcnt vmcnt(0)
	ds_store_b128 v5, v[1:4]
	s_waitcnt lgkmcnt(0)
	s_barrier
	buffer_gl0_inv
	v_cmpx_gt_u32_e32 6, v35
	s_cbranch_execz .LBB10_39
; %bb.36:
	v_dual_mov_b32 v1, 0 :: v_dual_add_nc_u32 v8, 0xb0, v46
	v_dual_mov_b32 v2, 0 :: v_dual_add_nc_u32 v7, -1, v35
	v_or_b32_e32 v9, 8, v47
	s_mov_b32 s3, 0
	s_delay_alu instid0(VALU_DEP_2)
	v_dual_mov_b32 v4, v2 :: v_dual_mov_b32 v3, v1
	.p2align	6
.LBB10_37:                              ; =>This Inner Loop Header: Depth=1
	scratch_load_b128 v[48:51], v9, off offset:-8
	ds_load_b128 v[52:55], v8
	v_add_nc_u32_e32 v7, 1, v7
	v_add_nc_u32_e32 v8, 16, v8
	;; [unrolled: 1-line block ×3, first 2 shown]
	s_delay_alu instid0(VALU_DEP_3) | instskip(SKIP_4) | instid1(VALU_DEP_2)
	v_cmp_lt_u32_e32 vcc_lo, 4, v7
	s_or_b32 s3, vcc_lo, s3
	s_waitcnt vmcnt(0) lgkmcnt(0)
	v_mul_f64 v[10:11], v[54:55], v[50:51]
	v_mul_f64 v[50:51], v[52:53], v[50:51]
	v_fma_f64 v[10:11], v[52:53], v[48:49], -v[10:11]
	s_delay_alu instid0(VALU_DEP_2) | instskip(NEXT) | instid1(VALU_DEP_2)
	v_fma_f64 v[48:49], v[54:55], v[48:49], v[50:51]
	v_add_f64 v[3:4], v[3:4], v[10:11]
	s_delay_alu instid0(VALU_DEP_2)
	v_add_f64 v[1:2], v[1:2], v[48:49]
	s_and_not1_b32 exec_lo, exec_lo, s3
	s_cbranch_execnz .LBB10_37
; %bb.38:
	s_or_b32 exec_lo, exec_lo, s3
	v_mov_b32_e32 v7, 0
	ds_load_b128 v[7:10], v7 offset:96
	s_waitcnt lgkmcnt(0)
	v_mul_f64 v[11:12], v[1:2], v[9:10]
	v_mul_f64 v[48:49], v[3:4], v[9:10]
	s_delay_alu instid0(VALU_DEP_2) | instskip(NEXT) | instid1(VALU_DEP_2)
	v_fma_f64 v[9:10], v[3:4], v[7:8], -v[11:12]
	v_fma_f64 v[11:12], v[1:2], v[7:8], v[48:49]
	scratch_store_b128 off, v[9:12], off offset:96
.LBB10_39:
	s_or_b32 exec_lo, exec_lo, s2
	s_waitcnt_vscnt null, 0x0
	s_barrier
	buffer_gl0_inv
	scratch_load_b128 v[1:4], v41, off
	s_mov_b32 s2, exec_lo
	s_waitcnt vmcnt(0)
	ds_store_b128 v5, v[1:4]
	s_waitcnt lgkmcnt(0)
	s_barrier
	buffer_gl0_inv
	v_cmpx_gt_u32_e32 7, v35
	s_cbranch_execz .LBB10_43
; %bb.40:
	v_dual_mov_b32 v1, 0 :: v_dual_add_nc_u32 v8, 0xb0, v46
	v_dual_mov_b32 v2, 0 :: v_dual_add_nc_u32 v7, -1, v35
	v_or_b32_e32 v9, 8, v47
	s_mov_b32 s3, 0
	s_delay_alu instid0(VALU_DEP_2)
	v_dual_mov_b32 v4, v2 :: v_dual_mov_b32 v3, v1
	.p2align	6
.LBB10_41:                              ; =>This Inner Loop Header: Depth=1
	scratch_load_b128 v[48:51], v9, off offset:-8
	ds_load_b128 v[52:55], v8
	v_add_nc_u32_e32 v7, 1, v7
	v_add_nc_u32_e32 v8, 16, v8
	;; [unrolled: 1-line block ×3, first 2 shown]
	s_delay_alu instid0(VALU_DEP_3) | instskip(SKIP_4) | instid1(VALU_DEP_2)
	v_cmp_lt_u32_e32 vcc_lo, 5, v7
	s_or_b32 s3, vcc_lo, s3
	s_waitcnt vmcnt(0) lgkmcnt(0)
	v_mul_f64 v[10:11], v[54:55], v[50:51]
	v_mul_f64 v[50:51], v[52:53], v[50:51]
	v_fma_f64 v[10:11], v[52:53], v[48:49], -v[10:11]
	s_delay_alu instid0(VALU_DEP_2) | instskip(NEXT) | instid1(VALU_DEP_2)
	v_fma_f64 v[48:49], v[54:55], v[48:49], v[50:51]
	v_add_f64 v[3:4], v[3:4], v[10:11]
	s_delay_alu instid0(VALU_DEP_2)
	v_add_f64 v[1:2], v[1:2], v[48:49]
	s_and_not1_b32 exec_lo, exec_lo, s3
	s_cbranch_execnz .LBB10_41
; %bb.42:
	s_or_b32 exec_lo, exec_lo, s3
	v_mov_b32_e32 v7, 0
	ds_load_b128 v[7:10], v7 offset:112
	s_waitcnt lgkmcnt(0)
	v_mul_f64 v[11:12], v[1:2], v[9:10]
	v_mul_f64 v[48:49], v[3:4], v[9:10]
	s_delay_alu instid0(VALU_DEP_2) | instskip(NEXT) | instid1(VALU_DEP_2)
	v_fma_f64 v[9:10], v[3:4], v[7:8], -v[11:12]
	v_fma_f64 v[11:12], v[1:2], v[7:8], v[48:49]
	scratch_store_b128 off, v[9:12], off offset:112
.LBB10_43:
	s_or_b32 exec_lo, exec_lo, s2
	s_waitcnt_vscnt null, 0x0
	s_barrier
	buffer_gl0_inv
	scratch_load_b128 v[1:4], v44, off
	s_mov_b32 s2, exec_lo
	s_waitcnt vmcnt(0)
	ds_store_b128 v5, v[1:4]
	s_waitcnt lgkmcnt(0)
	s_barrier
	buffer_gl0_inv
	v_cmpx_gt_u32_e32 8, v35
	s_cbranch_execz .LBB10_47
; %bb.44:
	v_dual_mov_b32 v1, 0 :: v_dual_add_nc_u32 v8, 0xb0, v46
	v_dual_mov_b32 v2, 0 :: v_dual_add_nc_u32 v7, -1, v35
	v_or_b32_e32 v9, 8, v47
	s_mov_b32 s3, 0
	s_delay_alu instid0(VALU_DEP_2)
	v_dual_mov_b32 v4, v2 :: v_dual_mov_b32 v3, v1
	.p2align	6
.LBB10_45:                              ; =>This Inner Loop Header: Depth=1
	scratch_load_b128 v[48:51], v9, off offset:-8
	ds_load_b128 v[52:55], v8
	v_add_nc_u32_e32 v7, 1, v7
	v_add_nc_u32_e32 v8, 16, v8
	;; [unrolled: 1-line block ×3, first 2 shown]
	s_delay_alu instid0(VALU_DEP_3) | instskip(SKIP_4) | instid1(VALU_DEP_2)
	v_cmp_lt_u32_e32 vcc_lo, 6, v7
	s_or_b32 s3, vcc_lo, s3
	s_waitcnt vmcnt(0) lgkmcnt(0)
	v_mul_f64 v[10:11], v[54:55], v[50:51]
	v_mul_f64 v[50:51], v[52:53], v[50:51]
	v_fma_f64 v[10:11], v[52:53], v[48:49], -v[10:11]
	s_delay_alu instid0(VALU_DEP_2) | instskip(NEXT) | instid1(VALU_DEP_2)
	v_fma_f64 v[48:49], v[54:55], v[48:49], v[50:51]
	v_add_f64 v[3:4], v[3:4], v[10:11]
	s_delay_alu instid0(VALU_DEP_2)
	v_add_f64 v[1:2], v[1:2], v[48:49]
	s_and_not1_b32 exec_lo, exec_lo, s3
	s_cbranch_execnz .LBB10_45
; %bb.46:
	s_or_b32 exec_lo, exec_lo, s3
	v_mov_b32_e32 v7, 0
	ds_load_b128 v[7:10], v7 offset:128
	s_waitcnt lgkmcnt(0)
	v_mul_f64 v[11:12], v[1:2], v[9:10]
	v_mul_f64 v[48:49], v[3:4], v[9:10]
	s_delay_alu instid0(VALU_DEP_2) | instskip(NEXT) | instid1(VALU_DEP_2)
	v_fma_f64 v[9:10], v[3:4], v[7:8], -v[11:12]
	v_fma_f64 v[11:12], v[1:2], v[7:8], v[48:49]
	scratch_store_b128 off, v[9:12], off offset:128
.LBB10_47:
	s_or_b32 exec_lo, exec_lo, s2
	s_waitcnt_vscnt null, 0x0
	s_barrier
	buffer_gl0_inv
	scratch_load_b128 v[1:4], v45, off
	s_mov_b32 s2, exec_lo
	s_waitcnt vmcnt(0)
	ds_store_b128 v5, v[1:4]
	s_waitcnt lgkmcnt(0)
	s_barrier
	buffer_gl0_inv
	v_cmpx_gt_u32_e32 9, v35
	s_cbranch_execz .LBB10_51
; %bb.48:
	v_dual_mov_b32 v1, 0 :: v_dual_add_nc_u32 v8, 0xb0, v46
	v_dual_mov_b32 v2, 0 :: v_dual_add_nc_u32 v7, -1, v35
	v_or_b32_e32 v9, 8, v47
	s_mov_b32 s3, 0
	s_delay_alu instid0(VALU_DEP_2)
	v_dual_mov_b32 v4, v2 :: v_dual_mov_b32 v3, v1
	.p2align	6
.LBB10_49:                              ; =>This Inner Loop Header: Depth=1
	scratch_load_b128 v[48:51], v9, off offset:-8
	ds_load_b128 v[52:55], v8
	v_add_nc_u32_e32 v7, 1, v7
	v_add_nc_u32_e32 v8, 16, v8
	v_add_nc_u32_e32 v9, 16, v9
	s_delay_alu instid0(VALU_DEP_3) | instskip(SKIP_4) | instid1(VALU_DEP_2)
	v_cmp_lt_u32_e32 vcc_lo, 7, v7
	s_or_b32 s3, vcc_lo, s3
	s_waitcnt vmcnt(0) lgkmcnt(0)
	v_mul_f64 v[10:11], v[54:55], v[50:51]
	v_mul_f64 v[50:51], v[52:53], v[50:51]
	v_fma_f64 v[10:11], v[52:53], v[48:49], -v[10:11]
	s_delay_alu instid0(VALU_DEP_2) | instskip(NEXT) | instid1(VALU_DEP_2)
	v_fma_f64 v[48:49], v[54:55], v[48:49], v[50:51]
	v_add_f64 v[3:4], v[3:4], v[10:11]
	s_delay_alu instid0(VALU_DEP_2)
	v_add_f64 v[1:2], v[1:2], v[48:49]
	s_and_not1_b32 exec_lo, exec_lo, s3
	s_cbranch_execnz .LBB10_49
; %bb.50:
	s_or_b32 exec_lo, exec_lo, s3
	v_mov_b32_e32 v7, 0
	ds_load_b128 v[7:10], v7 offset:144
	s_waitcnt lgkmcnt(0)
	v_mul_f64 v[11:12], v[1:2], v[9:10]
	v_mul_f64 v[48:49], v[3:4], v[9:10]
	s_delay_alu instid0(VALU_DEP_2) | instskip(NEXT) | instid1(VALU_DEP_2)
	v_fma_f64 v[9:10], v[3:4], v[7:8], -v[11:12]
	v_fma_f64 v[11:12], v[1:2], v[7:8], v[48:49]
	scratch_store_b128 off, v[9:12], off offset:144
.LBB10_51:
	s_or_b32 exec_lo, exec_lo, s2
	s_waitcnt_vscnt null, 0x0
	s_barrier
	buffer_gl0_inv
	scratch_load_b128 v[1:4], v43, off
	s_mov_b32 s2, exec_lo
	s_waitcnt vmcnt(0)
	ds_store_b128 v5, v[1:4]
	s_waitcnt lgkmcnt(0)
	s_barrier
	buffer_gl0_inv
	v_cmpx_ne_u32_e32 10, v35
	s_cbranch_execz .LBB10_55
; %bb.52:
	v_mov_b32_e32 v1, 0
	v_mov_b32_e32 v2, 0
	v_or_b32_e32 v7, 8, v47
	s_mov_b32 s3, 0
	s_delay_alu instid0(VALU_DEP_2)
	v_dual_mov_b32 v4, v2 :: v_dual_mov_b32 v3, v1
	.p2align	6
.LBB10_53:                              ; =>This Inner Loop Header: Depth=1
	scratch_load_b128 v[8:11], v7, off offset:-8
	ds_load_b128 v[46:49], v5
	v_add_nc_u32_e32 v6, 1, v6
	v_add_nc_u32_e32 v5, 16, v5
	;; [unrolled: 1-line block ×3, first 2 shown]
	s_delay_alu instid0(VALU_DEP_3) | instskip(SKIP_4) | instid1(VALU_DEP_2)
	v_cmp_lt_u32_e32 vcc_lo, 8, v6
	s_or_b32 s3, vcc_lo, s3
	s_waitcnt vmcnt(0) lgkmcnt(0)
	v_mul_f64 v[50:51], v[48:49], v[10:11]
	v_mul_f64 v[10:11], v[46:47], v[10:11]
	v_fma_f64 v[46:47], v[46:47], v[8:9], -v[50:51]
	s_delay_alu instid0(VALU_DEP_2) | instskip(NEXT) | instid1(VALU_DEP_2)
	v_fma_f64 v[8:9], v[48:49], v[8:9], v[10:11]
	v_add_f64 v[3:4], v[3:4], v[46:47]
	s_delay_alu instid0(VALU_DEP_2)
	v_add_f64 v[1:2], v[1:2], v[8:9]
	s_and_not1_b32 exec_lo, exec_lo, s3
	s_cbranch_execnz .LBB10_53
; %bb.54:
	s_or_b32 exec_lo, exec_lo, s3
	v_mov_b32_e32 v5, 0
	ds_load_b128 v[5:8], v5 offset:160
	s_waitcnt lgkmcnt(0)
	v_mul_f64 v[9:10], v[1:2], v[7:8]
	v_mul_f64 v[7:8], v[3:4], v[7:8]
	s_delay_alu instid0(VALU_DEP_2) | instskip(NEXT) | instid1(VALU_DEP_2)
	v_fma_f64 v[3:4], v[3:4], v[5:6], -v[9:10]
	v_fma_f64 v[5:6], v[1:2], v[5:6], v[7:8]
	scratch_store_b128 off, v[3:6], off offset:160
.LBB10_55:
	s_or_b32 exec_lo, exec_lo, s2
	s_mov_b32 s3, -1
	s_waitcnt_vscnt null, 0x0
	s_barrier
	buffer_gl0_inv
.LBB10_56:
	s_and_b32 vcc_lo, exec_lo, s3
	s_cbranch_vccz .LBB10_58
; %bb.57:
	s_lshl_b64 s[2:3], s[18:19], 2
	v_mov_b32_e32 v1, 0
	s_add_u32 s2, s6, s2
	s_addc_u32 s3, s7, s3
	global_load_b32 v1, v1, s[2:3]
	s_waitcnt vmcnt(0)
	v_cmp_ne_u32_e32 vcc_lo, 0, v1
	s_cbranch_vccz .LBB10_59
.LBB10_58:
	s_endpgm
.LBB10_59:
	v_lshl_add_u32 v5, v35, 4, 0xb0
	s_mov_b32 s2, exec_lo
	v_cmpx_eq_u32_e32 10, v35
	s_cbranch_execz .LBB10_61
; %bb.60:
	scratch_load_b128 v[1:4], v45, off
	v_mov_b32_e32 v6, 0
	s_delay_alu instid0(VALU_DEP_1)
	v_mov_b32_e32 v7, v6
	v_mov_b32_e32 v8, v6
	;; [unrolled: 1-line block ×3, first 2 shown]
	scratch_store_b128 off, v[6:9], off offset:144
	s_waitcnt vmcnt(0)
	ds_store_b128 v5, v[1:4]
.LBB10_61:
	s_or_b32 exec_lo, exec_lo, s2
	s_waitcnt lgkmcnt(0)
	s_waitcnt_vscnt null, 0x0
	s_barrier
	buffer_gl0_inv
	s_clause 0x1
	scratch_load_b128 v[6:9], off, off offset:160
	scratch_load_b128 v[46:49], off, off offset:144
	v_mov_b32_e32 v1, 0
	s_mov_b32 s2, exec_lo
	ds_load_b128 v[50:53], v1 offset:336
	s_waitcnt vmcnt(1) lgkmcnt(0)
	v_mul_f64 v[2:3], v[52:53], v[8:9]
	v_mul_f64 v[8:9], v[50:51], v[8:9]
	s_delay_alu instid0(VALU_DEP_2) | instskip(NEXT) | instid1(VALU_DEP_2)
	v_fma_f64 v[2:3], v[50:51], v[6:7], -v[2:3]
	v_fma_f64 v[6:7], v[52:53], v[6:7], v[8:9]
	s_delay_alu instid0(VALU_DEP_2) | instskip(NEXT) | instid1(VALU_DEP_2)
	v_add_f64 v[2:3], v[2:3], 0
	v_add_f64 v[8:9], v[6:7], 0
	s_waitcnt vmcnt(0)
	s_delay_alu instid0(VALU_DEP_2) | instskip(NEXT) | instid1(VALU_DEP_2)
	v_add_f64 v[6:7], v[46:47], -v[2:3]
	v_add_f64 v[8:9], v[48:49], -v[8:9]
	scratch_store_b128 off, v[6:9], off offset:144
	v_cmpx_lt_u32_e32 8, v35
	s_cbranch_execz .LBB10_63
; %bb.62:
	scratch_load_b128 v[6:9], v44, off
	v_mov_b32_e32 v2, v1
	v_mov_b32_e32 v3, v1
	;; [unrolled: 1-line block ×3, first 2 shown]
	scratch_store_b128 off, v[1:4], off offset:128
	s_waitcnt vmcnt(0)
	ds_store_b128 v5, v[6:9]
.LBB10_63:
	s_or_b32 exec_lo, exec_lo, s2
	s_waitcnt lgkmcnt(0)
	s_waitcnt_vscnt null, 0x0
	s_barrier
	buffer_gl0_inv
	s_clause 0x2
	scratch_load_b128 v[6:9], off, off offset:144
	scratch_load_b128 v[46:49], off, off offset:160
	;; [unrolled: 1-line block ×3, first 2 shown]
	ds_load_b128 v[54:57], v1 offset:320
	ds_load_b128 v[1:4], v1 offset:336
	s_mov_b32 s2, exec_lo
	s_waitcnt vmcnt(2) lgkmcnt(1)
	v_mul_f64 v[10:11], v[56:57], v[8:9]
	v_mul_f64 v[8:9], v[54:55], v[8:9]
	s_waitcnt vmcnt(1) lgkmcnt(0)
	v_mul_f64 v[58:59], v[1:2], v[48:49]
	v_mul_f64 v[48:49], v[3:4], v[48:49]
	s_delay_alu instid0(VALU_DEP_4) | instskip(NEXT) | instid1(VALU_DEP_4)
	v_fma_f64 v[10:11], v[54:55], v[6:7], -v[10:11]
	v_fma_f64 v[6:7], v[56:57], v[6:7], v[8:9]
	s_delay_alu instid0(VALU_DEP_4) | instskip(NEXT) | instid1(VALU_DEP_4)
	v_fma_f64 v[3:4], v[3:4], v[46:47], v[58:59]
	v_fma_f64 v[1:2], v[1:2], v[46:47], -v[48:49]
	s_delay_alu instid0(VALU_DEP_4) | instskip(NEXT) | instid1(VALU_DEP_4)
	v_add_f64 v[8:9], v[10:11], 0
	v_add_f64 v[6:7], v[6:7], 0
	s_delay_alu instid0(VALU_DEP_2) | instskip(NEXT) | instid1(VALU_DEP_2)
	v_add_f64 v[1:2], v[8:9], v[1:2]
	v_add_f64 v[3:4], v[6:7], v[3:4]
	s_waitcnt vmcnt(0)
	s_delay_alu instid0(VALU_DEP_2) | instskip(NEXT) | instid1(VALU_DEP_2)
	v_add_f64 v[1:2], v[50:51], -v[1:2]
	v_add_f64 v[3:4], v[52:53], -v[3:4]
	scratch_store_b128 off, v[1:4], off offset:128
	v_cmpx_lt_u32_e32 7, v35
	s_cbranch_execz .LBB10_65
; %bb.64:
	scratch_load_b128 v[1:4], v41, off
	v_mov_b32_e32 v6, 0
	s_delay_alu instid0(VALU_DEP_1)
	v_mov_b32_e32 v7, v6
	v_mov_b32_e32 v8, v6
	;; [unrolled: 1-line block ×3, first 2 shown]
	scratch_store_b128 off, v[6:9], off offset:112
	s_waitcnt vmcnt(0)
	ds_store_b128 v5, v[1:4]
.LBB10_65:
	s_or_b32 exec_lo, exec_lo, s2
	s_waitcnt lgkmcnt(0)
	s_waitcnt_vscnt null, 0x0
	s_barrier
	buffer_gl0_inv
	s_clause 0x3
	scratch_load_b128 v[6:9], off, off offset:128
	scratch_load_b128 v[46:49], off, off offset:144
	;; [unrolled: 1-line block ×4, first 2 shown]
	v_mov_b32_e32 v1, 0
	ds_load_b128 v[58:61], v1 offset:304
	ds_load_b128 v[62:65], v1 offset:320
	s_mov_b32 s2, exec_lo
	s_waitcnt vmcnt(3) lgkmcnt(1)
	v_mul_f64 v[2:3], v[60:61], v[8:9]
	v_mul_f64 v[8:9], v[58:59], v[8:9]
	s_waitcnt vmcnt(2) lgkmcnt(0)
	v_mul_f64 v[10:11], v[62:63], v[48:49]
	v_mul_f64 v[48:49], v[64:65], v[48:49]
	s_delay_alu instid0(VALU_DEP_4) | instskip(NEXT) | instid1(VALU_DEP_4)
	v_fma_f64 v[2:3], v[58:59], v[6:7], -v[2:3]
	v_fma_f64 v[58:59], v[60:61], v[6:7], v[8:9]
	ds_load_b128 v[6:9], v1 offset:336
	v_fma_f64 v[10:11], v[64:65], v[46:47], v[10:11]
	v_fma_f64 v[46:47], v[62:63], v[46:47], -v[48:49]
	s_waitcnt vmcnt(1) lgkmcnt(0)
	v_mul_f64 v[60:61], v[6:7], v[52:53]
	v_mul_f64 v[52:53], v[8:9], v[52:53]
	v_add_f64 v[2:3], v[2:3], 0
	v_add_f64 v[48:49], v[58:59], 0
	s_delay_alu instid0(VALU_DEP_4) | instskip(NEXT) | instid1(VALU_DEP_4)
	v_fma_f64 v[8:9], v[8:9], v[50:51], v[60:61]
	v_fma_f64 v[6:7], v[6:7], v[50:51], -v[52:53]
	s_delay_alu instid0(VALU_DEP_4) | instskip(NEXT) | instid1(VALU_DEP_4)
	v_add_f64 v[2:3], v[2:3], v[46:47]
	v_add_f64 v[10:11], v[48:49], v[10:11]
	s_delay_alu instid0(VALU_DEP_2) | instskip(NEXT) | instid1(VALU_DEP_2)
	v_add_f64 v[2:3], v[2:3], v[6:7]
	v_add_f64 v[8:9], v[10:11], v[8:9]
	s_waitcnt vmcnt(0)
	s_delay_alu instid0(VALU_DEP_2) | instskip(NEXT) | instid1(VALU_DEP_2)
	v_add_f64 v[6:7], v[54:55], -v[2:3]
	v_add_f64 v[8:9], v[56:57], -v[8:9]
	scratch_store_b128 off, v[6:9], off offset:112
	v_cmpx_lt_u32_e32 6, v35
	s_cbranch_execz .LBB10_67
; %bb.66:
	scratch_load_b128 v[6:9], v42, off
	v_mov_b32_e32 v2, v1
	v_mov_b32_e32 v3, v1
	;; [unrolled: 1-line block ×3, first 2 shown]
	scratch_store_b128 off, v[1:4], off offset:96
	s_waitcnt vmcnt(0)
	ds_store_b128 v5, v[6:9]
.LBB10_67:
	s_or_b32 exec_lo, exec_lo, s2
	s_waitcnt lgkmcnt(0)
	s_waitcnt_vscnt null, 0x0
	s_barrier
	buffer_gl0_inv
	s_clause 0x4
	scratch_load_b128 v[6:9], off, off offset:112
	scratch_load_b128 v[46:49], off, off offset:128
	;; [unrolled: 1-line block ×5, first 2 shown]
	ds_load_b128 v[62:65], v1 offset:288
	ds_load_b128 v[66:69], v1 offset:304
	s_mov_b32 s2, exec_lo
	s_waitcnt vmcnt(4) lgkmcnt(1)
	v_mul_f64 v[2:3], v[64:65], v[8:9]
	v_mul_f64 v[8:9], v[62:63], v[8:9]
	s_waitcnt vmcnt(3) lgkmcnt(0)
	v_mul_f64 v[10:11], v[66:67], v[48:49]
	v_mul_f64 v[48:49], v[68:69], v[48:49]
	s_delay_alu instid0(VALU_DEP_4) | instskip(NEXT) | instid1(VALU_DEP_4)
	v_fma_f64 v[62:63], v[62:63], v[6:7], -v[2:3]
	v_fma_f64 v[64:65], v[64:65], v[6:7], v[8:9]
	ds_load_b128 v[6:9], v1 offset:320
	ds_load_b128 v[1:4], v1 offset:336
	v_fma_f64 v[10:11], v[68:69], v[46:47], v[10:11]
	v_fma_f64 v[46:47], v[66:67], v[46:47], -v[48:49]
	s_waitcnt vmcnt(2) lgkmcnt(1)
	v_mul_f64 v[70:71], v[6:7], v[52:53]
	v_mul_f64 v[52:53], v[8:9], v[52:53]
	v_add_f64 v[48:49], v[62:63], 0
	v_add_f64 v[62:63], v[64:65], 0
	s_waitcnt vmcnt(1) lgkmcnt(0)
	v_mul_f64 v[64:65], v[1:2], v[56:57]
	v_mul_f64 v[56:57], v[3:4], v[56:57]
	v_fma_f64 v[8:9], v[8:9], v[50:51], v[70:71]
	v_fma_f64 v[6:7], v[6:7], v[50:51], -v[52:53]
	v_add_f64 v[46:47], v[48:49], v[46:47]
	v_add_f64 v[10:11], v[62:63], v[10:11]
	v_fma_f64 v[3:4], v[3:4], v[54:55], v[64:65]
	v_fma_f64 v[1:2], v[1:2], v[54:55], -v[56:57]
	s_delay_alu instid0(VALU_DEP_4) | instskip(NEXT) | instid1(VALU_DEP_4)
	v_add_f64 v[6:7], v[46:47], v[6:7]
	v_add_f64 v[8:9], v[10:11], v[8:9]
	s_delay_alu instid0(VALU_DEP_2) | instskip(NEXT) | instid1(VALU_DEP_2)
	v_add_f64 v[1:2], v[6:7], v[1:2]
	v_add_f64 v[3:4], v[8:9], v[3:4]
	s_waitcnt vmcnt(0)
	s_delay_alu instid0(VALU_DEP_2) | instskip(NEXT) | instid1(VALU_DEP_2)
	v_add_f64 v[1:2], v[58:59], -v[1:2]
	v_add_f64 v[3:4], v[60:61], -v[3:4]
	scratch_store_b128 off, v[1:4], off offset:96
	v_cmpx_lt_u32_e32 5, v35
	s_cbranch_execz .LBB10_69
; %bb.68:
	scratch_load_b128 v[1:4], v38, off
	v_mov_b32_e32 v6, 0
	s_delay_alu instid0(VALU_DEP_1)
	v_mov_b32_e32 v7, v6
	v_mov_b32_e32 v8, v6
	;; [unrolled: 1-line block ×3, first 2 shown]
	scratch_store_b128 off, v[6:9], off offset:80
	s_waitcnt vmcnt(0)
	ds_store_b128 v5, v[1:4]
.LBB10_69:
	s_or_b32 exec_lo, exec_lo, s2
	s_waitcnt lgkmcnt(0)
	s_waitcnt_vscnt null, 0x0
	s_barrier
	buffer_gl0_inv
	s_clause 0x5
	scratch_load_b128 v[6:9], off, off offset:96
	scratch_load_b128 v[46:49], off, off offset:112
	;; [unrolled: 1-line block ×6, first 2 shown]
	v_mov_b32_e32 v1, 0
	ds_load_b128 v[66:69], v1 offset:272
	ds_load_b128 v[70:73], v1 offset:288
	s_mov_b32 s2, exec_lo
	s_waitcnt vmcnt(5) lgkmcnt(1)
	v_mul_f64 v[2:3], v[68:69], v[8:9]
	v_mul_f64 v[8:9], v[66:67], v[8:9]
	s_waitcnt vmcnt(4) lgkmcnt(0)
	v_mul_f64 v[10:11], v[70:71], v[48:49]
	v_mul_f64 v[48:49], v[72:73], v[48:49]
	s_delay_alu instid0(VALU_DEP_4) | instskip(NEXT) | instid1(VALU_DEP_4)
	v_fma_f64 v[2:3], v[66:67], v[6:7], -v[2:3]
	v_fma_f64 v[74:75], v[68:69], v[6:7], v[8:9]
	ds_load_b128 v[6:9], v1 offset:304
	ds_load_b128 v[66:69], v1 offset:320
	v_fma_f64 v[10:11], v[72:73], v[46:47], v[10:11]
	v_fma_f64 v[46:47], v[70:71], v[46:47], -v[48:49]
	s_waitcnt vmcnt(3) lgkmcnt(1)
	v_mul_f64 v[76:77], v[6:7], v[52:53]
	v_mul_f64 v[52:53], v[8:9], v[52:53]
	s_waitcnt vmcnt(2) lgkmcnt(0)
	v_mul_f64 v[70:71], v[66:67], v[56:57]
	v_mul_f64 v[56:57], v[68:69], v[56:57]
	v_add_f64 v[2:3], v[2:3], 0
	v_add_f64 v[48:49], v[74:75], 0
	v_fma_f64 v[72:73], v[8:9], v[50:51], v[76:77]
	v_fma_f64 v[50:51], v[6:7], v[50:51], -v[52:53]
	ds_load_b128 v[6:9], v1 offset:336
	v_fma_f64 v[52:53], v[68:69], v[54:55], v[70:71]
	v_fma_f64 v[54:55], v[66:67], v[54:55], -v[56:57]
	v_add_f64 v[2:3], v[2:3], v[46:47]
	v_add_f64 v[10:11], v[48:49], v[10:11]
	s_waitcnt vmcnt(1) lgkmcnt(0)
	v_mul_f64 v[46:47], v[6:7], v[60:61]
	v_mul_f64 v[48:49], v[8:9], v[60:61]
	s_delay_alu instid0(VALU_DEP_4) | instskip(NEXT) | instid1(VALU_DEP_4)
	v_add_f64 v[2:3], v[2:3], v[50:51]
	v_add_f64 v[10:11], v[10:11], v[72:73]
	s_delay_alu instid0(VALU_DEP_4) | instskip(NEXT) | instid1(VALU_DEP_4)
	v_fma_f64 v[8:9], v[8:9], v[58:59], v[46:47]
	v_fma_f64 v[6:7], v[6:7], v[58:59], -v[48:49]
	s_delay_alu instid0(VALU_DEP_4) | instskip(NEXT) | instid1(VALU_DEP_4)
	v_add_f64 v[2:3], v[2:3], v[54:55]
	v_add_f64 v[10:11], v[10:11], v[52:53]
	s_delay_alu instid0(VALU_DEP_2) | instskip(NEXT) | instid1(VALU_DEP_2)
	v_add_f64 v[2:3], v[2:3], v[6:7]
	v_add_f64 v[8:9], v[10:11], v[8:9]
	s_waitcnt vmcnt(0)
	s_delay_alu instid0(VALU_DEP_2) | instskip(NEXT) | instid1(VALU_DEP_2)
	v_add_f64 v[6:7], v[62:63], -v[2:3]
	v_add_f64 v[8:9], v[64:65], -v[8:9]
	scratch_store_b128 off, v[6:9], off offset:80
	v_cmpx_lt_u32_e32 4, v35
	s_cbranch_execz .LBB10_71
; %bb.70:
	scratch_load_b128 v[6:9], v40, off
	v_mov_b32_e32 v2, v1
	v_mov_b32_e32 v3, v1
	;; [unrolled: 1-line block ×3, first 2 shown]
	scratch_store_b128 off, v[1:4], off offset:64
	s_waitcnt vmcnt(0)
	ds_store_b128 v5, v[6:9]
.LBB10_71:
	s_or_b32 exec_lo, exec_lo, s2
	s_waitcnt lgkmcnt(0)
	s_waitcnt_vscnt null, 0x0
	s_barrier
	buffer_gl0_inv
	s_clause 0x5
	scratch_load_b128 v[6:9], off, off offset:80
	scratch_load_b128 v[46:49], off, off offset:96
	scratch_load_b128 v[50:53], off, off offset:112
	scratch_load_b128 v[54:57], off, off offset:128
	scratch_load_b128 v[58:61], off, off offset:144
	scratch_load_b128 v[62:65], off, off offset:160
	ds_load_b128 v[66:69], v1 offset:256
	ds_load_b128 v[74:77], v1 offset:272
	scratch_load_b128 v[70:73], off, off offset:64
	s_mov_b32 s2, exec_lo
	s_waitcnt vmcnt(6) lgkmcnt(1)
	v_mul_f64 v[2:3], v[68:69], v[8:9]
	v_mul_f64 v[8:9], v[66:67], v[8:9]
	s_waitcnt vmcnt(5) lgkmcnt(0)
	v_mul_f64 v[10:11], v[74:75], v[48:49]
	v_mul_f64 v[48:49], v[76:77], v[48:49]
	s_delay_alu instid0(VALU_DEP_4) | instskip(NEXT) | instid1(VALU_DEP_4)
	v_fma_f64 v[2:3], v[66:67], v[6:7], -v[2:3]
	v_fma_f64 v[78:79], v[68:69], v[6:7], v[8:9]
	ds_load_b128 v[6:9], v1 offset:288
	ds_load_b128 v[66:69], v1 offset:304
	v_fma_f64 v[10:11], v[76:77], v[46:47], v[10:11]
	v_fma_f64 v[46:47], v[74:75], v[46:47], -v[48:49]
	s_waitcnt vmcnt(4) lgkmcnt(1)
	v_mul_f64 v[80:81], v[6:7], v[52:53]
	v_mul_f64 v[52:53], v[8:9], v[52:53]
	s_waitcnt vmcnt(3) lgkmcnt(0)
	v_mul_f64 v[74:75], v[66:67], v[56:57]
	v_mul_f64 v[56:57], v[68:69], v[56:57]
	v_add_f64 v[2:3], v[2:3], 0
	v_add_f64 v[48:49], v[78:79], 0
	v_fma_f64 v[76:77], v[8:9], v[50:51], v[80:81]
	v_fma_f64 v[50:51], v[6:7], v[50:51], -v[52:53]
	s_delay_alu instid0(VALU_DEP_4) | instskip(NEXT) | instid1(VALU_DEP_4)
	v_add_f64 v[46:47], v[2:3], v[46:47]
	v_add_f64 v[10:11], v[48:49], v[10:11]
	ds_load_b128 v[6:9], v1 offset:320
	ds_load_b128 v[1:4], v1 offset:336
	s_waitcnt vmcnt(2) lgkmcnt(1)
	v_mul_f64 v[48:49], v[6:7], v[60:61]
	v_mul_f64 v[52:53], v[8:9], v[60:61]
	v_fma_f64 v[60:61], v[68:69], v[54:55], v[74:75]
	v_fma_f64 v[54:55], v[66:67], v[54:55], -v[56:57]
	s_waitcnt vmcnt(1) lgkmcnt(0)
	v_mul_f64 v[56:57], v[3:4], v[64:65]
	v_add_f64 v[46:47], v[46:47], v[50:51]
	v_add_f64 v[10:11], v[10:11], v[76:77]
	v_mul_f64 v[50:51], v[1:2], v[64:65]
	v_fma_f64 v[8:9], v[8:9], v[58:59], v[48:49]
	v_fma_f64 v[6:7], v[6:7], v[58:59], -v[52:53]
	v_fma_f64 v[1:2], v[1:2], v[62:63], -v[56:57]
	v_add_f64 v[46:47], v[46:47], v[54:55]
	v_add_f64 v[10:11], v[10:11], v[60:61]
	v_fma_f64 v[3:4], v[3:4], v[62:63], v[50:51]
	s_delay_alu instid0(VALU_DEP_3) | instskip(NEXT) | instid1(VALU_DEP_3)
	v_add_f64 v[6:7], v[46:47], v[6:7]
	v_add_f64 v[8:9], v[10:11], v[8:9]
	s_delay_alu instid0(VALU_DEP_2) | instskip(NEXT) | instid1(VALU_DEP_2)
	v_add_f64 v[1:2], v[6:7], v[1:2]
	v_add_f64 v[3:4], v[8:9], v[3:4]
	s_waitcnt vmcnt(0)
	s_delay_alu instid0(VALU_DEP_2) | instskip(NEXT) | instid1(VALU_DEP_2)
	v_add_f64 v[1:2], v[70:71], -v[1:2]
	v_add_f64 v[3:4], v[72:73], -v[3:4]
	scratch_store_b128 off, v[1:4], off offset:64
	v_cmpx_lt_u32_e32 3, v35
	s_cbranch_execz .LBB10_73
; %bb.72:
	scratch_load_b128 v[1:4], v36, off
	v_mov_b32_e32 v6, 0
	s_delay_alu instid0(VALU_DEP_1)
	v_mov_b32_e32 v7, v6
	v_mov_b32_e32 v8, v6
	;; [unrolled: 1-line block ×3, first 2 shown]
	scratch_store_b128 off, v[6:9], off offset:48
	s_waitcnt vmcnt(0)
	ds_store_b128 v5, v[1:4]
.LBB10_73:
	s_or_b32 exec_lo, exec_lo, s2
	s_waitcnt lgkmcnt(0)
	s_waitcnt_vscnt null, 0x0
	s_barrier
	buffer_gl0_inv
	s_clause 0x6
	scratch_load_b128 v[6:9], off, off offset:64
	scratch_load_b128 v[46:49], off, off offset:80
	;; [unrolled: 1-line block ×7, first 2 shown]
	v_mov_b32_e32 v1, 0
	scratch_load_b128 v[74:77], off, off offset:48
	s_mov_b32 s2, exec_lo
	ds_load_b128 v[70:73], v1 offset:240
	ds_load_b128 v[78:81], v1 offset:256
	s_waitcnt vmcnt(7) lgkmcnt(1)
	v_mul_f64 v[2:3], v[72:73], v[8:9]
	v_mul_f64 v[8:9], v[70:71], v[8:9]
	s_waitcnt vmcnt(6) lgkmcnt(0)
	v_mul_f64 v[10:11], v[78:79], v[48:49]
	v_mul_f64 v[48:49], v[80:81], v[48:49]
	s_delay_alu instid0(VALU_DEP_4) | instskip(NEXT) | instid1(VALU_DEP_4)
	v_fma_f64 v[2:3], v[70:71], v[6:7], -v[2:3]
	v_fma_f64 v[82:83], v[72:73], v[6:7], v[8:9]
	ds_load_b128 v[6:9], v1 offset:272
	ds_load_b128 v[70:73], v1 offset:288
	v_fma_f64 v[10:11], v[80:81], v[46:47], v[10:11]
	v_fma_f64 v[46:47], v[78:79], v[46:47], -v[48:49]
	s_waitcnt vmcnt(5) lgkmcnt(1)
	v_mul_f64 v[84:85], v[6:7], v[52:53]
	v_mul_f64 v[52:53], v[8:9], v[52:53]
	s_waitcnt vmcnt(4) lgkmcnt(0)
	v_mul_f64 v[78:79], v[70:71], v[56:57]
	v_mul_f64 v[56:57], v[72:73], v[56:57]
	v_add_f64 v[2:3], v[2:3], 0
	v_add_f64 v[48:49], v[82:83], 0
	v_fma_f64 v[80:81], v[8:9], v[50:51], v[84:85]
	v_fma_f64 v[50:51], v[6:7], v[50:51], -v[52:53]
	v_fma_f64 v[72:73], v[72:73], v[54:55], v[78:79]
	v_fma_f64 v[54:55], v[70:71], v[54:55], -v[56:57]
	v_add_f64 v[2:3], v[2:3], v[46:47]
	v_add_f64 v[10:11], v[48:49], v[10:11]
	ds_load_b128 v[6:9], v1 offset:304
	ds_load_b128 v[46:49], v1 offset:320
	s_waitcnt vmcnt(3) lgkmcnt(1)
	v_mul_f64 v[52:53], v[6:7], v[60:61]
	v_mul_f64 v[60:61], v[8:9], v[60:61]
	s_waitcnt vmcnt(2) lgkmcnt(0)
	v_mul_f64 v[56:57], v[48:49], v[64:65]
	v_add_f64 v[2:3], v[2:3], v[50:51]
	v_add_f64 v[10:11], v[10:11], v[80:81]
	v_mul_f64 v[50:51], v[46:47], v[64:65]
	v_fma_f64 v[52:53], v[8:9], v[58:59], v[52:53]
	v_fma_f64 v[58:59], v[6:7], v[58:59], -v[60:61]
	ds_load_b128 v[6:9], v1 offset:336
	v_fma_f64 v[46:47], v[46:47], v[62:63], -v[56:57]
	v_add_f64 v[2:3], v[2:3], v[54:55]
	v_add_f64 v[10:11], v[10:11], v[72:73]
	v_fma_f64 v[48:49], v[48:49], v[62:63], v[50:51]
	s_waitcnt vmcnt(1) lgkmcnt(0)
	v_mul_f64 v[54:55], v[6:7], v[68:69]
	v_mul_f64 v[60:61], v[8:9], v[68:69]
	v_add_f64 v[2:3], v[2:3], v[58:59]
	v_add_f64 v[10:11], v[10:11], v[52:53]
	s_delay_alu instid0(VALU_DEP_4) | instskip(NEXT) | instid1(VALU_DEP_4)
	v_fma_f64 v[8:9], v[8:9], v[66:67], v[54:55]
	v_fma_f64 v[6:7], v[6:7], v[66:67], -v[60:61]
	s_delay_alu instid0(VALU_DEP_4) | instskip(NEXT) | instid1(VALU_DEP_4)
	v_add_f64 v[2:3], v[2:3], v[46:47]
	v_add_f64 v[10:11], v[10:11], v[48:49]
	s_delay_alu instid0(VALU_DEP_2) | instskip(NEXT) | instid1(VALU_DEP_2)
	v_add_f64 v[2:3], v[2:3], v[6:7]
	v_add_f64 v[8:9], v[10:11], v[8:9]
	s_waitcnt vmcnt(0)
	s_delay_alu instid0(VALU_DEP_2) | instskip(NEXT) | instid1(VALU_DEP_2)
	v_add_f64 v[6:7], v[74:75], -v[2:3]
	v_add_f64 v[8:9], v[76:77], -v[8:9]
	scratch_store_b128 off, v[6:9], off offset:48
	v_cmpx_lt_u32_e32 2, v35
	s_cbranch_execz .LBB10_75
; %bb.74:
	scratch_load_b128 v[6:9], v39, off
	v_mov_b32_e32 v2, v1
	v_mov_b32_e32 v3, v1
	;; [unrolled: 1-line block ×3, first 2 shown]
	scratch_store_b128 off, v[1:4], off offset:32
	s_waitcnt vmcnt(0)
	ds_store_b128 v5, v[6:9]
.LBB10_75:
	s_or_b32 exec_lo, exec_lo, s2
	s_waitcnt lgkmcnt(0)
	s_waitcnt_vscnt null, 0x0
	s_barrier
	buffer_gl0_inv
	s_clause 0x7
	scratch_load_b128 v[6:9], off, off offset:48
	scratch_load_b128 v[46:49], off, off offset:64
	;; [unrolled: 1-line block ×8, first 2 shown]
	ds_load_b128 v[74:77], v1 offset:224
	ds_load_b128 v[78:81], v1 offset:240
	scratch_load_b128 v[82:85], off, off offset:32
	s_mov_b32 s2, exec_lo
	s_waitcnt vmcnt(8) lgkmcnt(1)
	v_mul_f64 v[2:3], v[76:77], v[8:9]
	v_mul_f64 v[8:9], v[74:75], v[8:9]
	s_waitcnt vmcnt(7) lgkmcnt(0)
	v_mul_f64 v[10:11], v[78:79], v[48:49]
	v_mul_f64 v[48:49], v[80:81], v[48:49]
	s_delay_alu instid0(VALU_DEP_4) | instskip(NEXT) | instid1(VALU_DEP_4)
	v_fma_f64 v[2:3], v[74:75], v[6:7], -v[2:3]
	v_fma_f64 v[86:87], v[76:77], v[6:7], v[8:9]
	ds_load_b128 v[6:9], v1 offset:256
	ds_load_b128 v[74:77], v1 offset:272
	v_fma_f64 v[10:11], v[80:81], v[46:47], v[10:11]
	v_fma_f64 v[46:47], v[78:79], v[46:47], -v[48:49]
	s_waitcnt vmcnt(6) lgkmcnt(1)
	v_mul_f64 v[88:89], v[6:7], v[52:53]
	v_mul_f64 v[52:53], v[8:9], v[52:53]
	s_waitcnt vmcnt(5) lgkmcnt(0)
	v_mul_f64 v[78:79], v[74:75], v[56:57]
	v_mul_f64 v[56:57], v[76:77], v[56:57]
	v_add_f64 v[2:3], v[2:3], 0
	v_add_f64 v[48:49], v[86:87], 0
	v_fma_f64 v[80:81], v[8:9], v[50:51], v[88:89]
	v_fma_f64 v[50:51], v[6:7], v[50:51], -v[52:53]
	v_fma_f64 v[76:77], v[76:77], v[54:55], v[78:79]
	v_fma_f64 v[54:55], v[74:75], v[54:55], -v[56:57]
	v_add_f64 v[2:3], v[2:3], v[46:47]
	v_add_f64 v[10:11], v[48:49], v[10:11]
	ds_load_b128 v[6:9], v1 offset:288
	ds_load_b128 v[46:49], v1 offset:304
	s_waitcnt vmcnt(4) lgkmcnt(1)
	v_mul_f64 v[52:53], v[6:7], v[60:61]
	v_mul_f64 v[60:61], v[8:9], v[60:61]
	s_waitcnt vmcnt(3) lgkmcnt(0)
	v_mul_f64 v[56:57], v[48:49], v[64:65]
	v_add_f64 v[2:3], v[2:3], v[50:51]
	v_add_f64 v[10:11], v[10:11], v[80:81]
	v_mul_f64 v[50:51], v[46:47], v[64:65]
	v_fma_f64 v[52:53], v[8:9], v[58:59], v[52:53]
	v_fma_f64 v[58:59], v[6:7], v[58:59], -v[60:61]
	v_fma_f64 v[46:47], v[46:47], v[62:63], -v[56:57]
	v_add_f64 v[54:55], v[2:3], v[54:55]
	v_add_f64 v[10:11], v[10:11], v[76:77]
	ds_load_b128 v[6:9], v1 offset:320
	ds_load_b128 v[1:4], v1 offset:336
	v_fma_f64 v[48:49], v[48:49], v[62:63], v[50:51]
	s_waitcnt vmcnt(2) lgkmcnt(1)
	v_mul_f64 v[60:61], v[6:7], v[68:69]
	v_mul_f64 v[64:65], v[8:9], v[68:69]
	v_add_f64 v[50:51], v[54:55], v[58:59]
	v_add_f64 v[10:11], v[10:11], v[52:53]
	s_waitcnt vmcnt(1) lgkmcnt(0)
	v_mul_f64 v[52:53], v[1:2], v[72:73]
	v_mul_f64 v[54:55], v[3:4], v[72:73]
	v_fma_f64 v[8:9], v[8:9], v[66:67], v[60:61]
	v_fma_f64 v[6:7], v[6:7], v[66:67], -v[64:65]
	v_add_f64 v[46:47], v[50:51], v[46:47]
	v_add_f64 v[10:11], v[10:11], v[48:49]
	v_fma_f64 v[3:4], v[3:4], v[70:71], v[52:53]
	v_fma_f64 v[1:2], v[1:2], v[70:71], -v[54:55]
	s_delay_alu instid0(VALU_DEP_4) | instskip(NEXT) | instid1(VALU_DEP_4)
	v_add_f64 v[6:7], v[46:47], v[6:7]
	v_add_f64 v[8:9], v[10:11], v[8:9]
	s_delay_alu instid0(VALU_DEP_2) | instskip(NEXT) | instid1(VALU_DEP_2)
	v_add_f64 v[1:2], v[6:7], v[1:2]
	v_add_f64 v[3:4], v[8:9], v[3:4]
	s_waitcnt vmcnt(0)
	s_delay_alu instid0(VALU_DEP_2) | instskip(NEXT) | instid1(VALU_DEP_2)
	v_add_f64 v[1:2], v[82:83], -v[1:2]
	v_add_f64 v[3:4], v[84:85], -v[3:4]
	scratch_store_b128 off, v[1:4], off offset:32
	v_cmpx_lt_u32_e32 1, v35
	s_cbranch_execz .LBB10_77
; %bb.76:
	scratch_load_b128 v[1:4], v37, off
	v_mov_b32_e32 v6, 0
	s_delay_alu instid0(VALU_DEP_1)
	v_mov_b32_e32 v7, v6
	v_mov_b32_e32 v8, v6
	;; [unrolled: 1-line block ×3, first 2 shown]
	scratch_store_b128 off, v[6:9], off offset:16
	s_waitcnt vmcnt(0)
	ds_store_b128 v5, v[1:4]
.LBB10_77:
	s_or_b32 exec_lo, exec_lo, s2
	s_waitcnt lgkmcnt(0)
	s_waitcnt_vscnt null, 0x0
	s_barrier
	buffer_gl0_inv
	s_clause 0x7
	scratch_load_b128 v[6:9], off, off offset:32
	scratch_load_b128 v[46:49], off, off offset:48
	;; [unrolled: 1-line block ×8, first 2 shown]
	v_mov_b32_e32 v1, 0
	s_mov_b32 s2, exec_lo
	ds_load_b128 v[74:77], v1 offset:208
	s_clause 0x1
	scratch_load_b128 v[78:81], off, off offset:160
	scratch_load_b128 v[82:85], off, off offset:16
	ds_load_b128 v[86:89], v1 offset:224
	s_waitcnt vmcnt(9) lgkmcnt(1)
	v_mul_f64 v[2:3], v[76:77], v[8:9]
	v_mul_f64 v[8:9], v[74:75], v[8:9]
	s_waitcnt vmcnt(8) lgkmcnt(0)
	v_mul_f64 v[10:11], v[86:87], v[48:49]
	v_mul_f64 v[48:49], v[88:89], v[48:49]
	s_delay_alu instid0(VALU_DEP_4) | instskip(NEXT) | instid1(VALU_DEP_4)
	v_fma_f64 v[2:3], v[74:75], v[6:7], -v[2:3]
	v_fma_f64 v[90:91], v[76:77], v[6:7], v[8:9]
	ds_load_b128 v[6:9], v1 offset:240
	ds_load_b128 v[74:77], v1 offset:256
	v_fma_f64 v[10:11], v[88:89], v[46:47], v[10:11]
	v_fma_f64 v[46:47], v[86:87], v[46:47], -v[48:49]
	s_waitcnt vmcnt(7) lgkmcnt(1)
	v_mul_f64 v[92:93], v[6:7], v[52:53]
	v_mul_f64 v[52:53], v[8:9], v[52:53]
	s_waitcnt vmcnt(6) lgkmcnt(0)
	v_mul_f64 v[86:87], v[74:75], v[56:57]
	v_mul_f64 v[56:57], v[76:77], v[56:57]
	v_add_f64 v[2:3], v[2:3], 0
	v_add_f64 v[48:49], v[90:91], 0
	v_fma_f64 v[88:89], v[8:9], v[50:51], v[92:93]
	v_fma_f64 v[50:51], v[6:7], v[50:51], -v[52:53]
	v_fma_f64 v[76:77], v[76:77], v[54:55], v[86:87]
	v_fma_f64 v[54:55], v[74:75], v[54:55], -v[56:57]
	v_add_f64 v[2:3], v[2:3], v[46:47]
	v_add_f64 v[10:11], v[48:49], v[10:11]
	ds_load_b128 v[6:9], v1 offset:272
	ds_load_b128 v[46:49], v1 offset:288
	s_waitcnt vmcnt(5) lgkmcnt(1)
	v_mul_f64 v[52:53], v[6:7], v[60:61]
	v_mul_f64 v[60:61], v[8:9], v[60:61]
	s_waitcnt vmcnt(4) lgkmcnt(0)
	v_mul_f64 v[56:57], v[46:47], v[64:65]
	v_mul_f64 v[64:65], v[48:49], v[64:65]
	v_add_f64 v[2:3], v[2:3], v[50:51]
	v_add_f64 v[10:11], v[10:11], v[88:89]
	v_fma_f64 v[74:75], v[8:9], v[58:59], v[52:53]
	v_fma_f64 v[58:59], v[6:7], v[58:59], -v[60:61]
	ds_load_b128 v[6:9], v1 offset:304
	ds_load_b128 v[50:53], v1 offset:320
	v_fma_f64 v[48:49], v[48:49], v[62:63], v[56:57]
	v_fma_f64 v[46:47], v[46:47], v[62:63], -v[64:65]
	v_add_f64 v[2:3], v[2:3], v[54:55]
	v_add_f64 v[10:11], v[10:11], v[76:77]
	s_waitcnt vmcnt(3) lgkmcnt(1)
	v_mul_f64 v[54:55], v[6:7], v[68:69]
	v_mul_f64 v[60:61], v[8:9], v[68:69]
	s_waitcnt vmcnt(2) lgkmcnt(0)
	v_mul_f64 v[56:57], v[50:51], v[72:73]
	v_add_f64 v[2:3], v[2:3], v[58:59]
	v_add_f64 v[10:11], v[10:11], v[74:75]
	v_mul_f64 v[58:59], v[52:53], v[72:73]
	v_fma_f64 v[54:55], v[8:9], v[66:67], v[54:55]
	v_fma_f64 v[60:61], v[6:7], v[66:67], -v[60:61]
	ds_load_b128 v[6:9], v1 offset:336
	v_fma_f64 v[52:53], v[52:53], v[70:71], v[56:57]
	v_add_f64 v[2:3], v[2:3], v[46:47]
	v_add_f64 v[10:11], v[10:11], v[48:49]
	s_waitcnt vmcnt(1) lgkmcnt(0)
	v_mul_f64 v[46:47], v[6:7], v[80:81]
	v_mul_f64 v[48:49], v[8:9], v[80:81]
	v_fma_f64 v[50:51], v[50:51], v[70:71], -v[58:59]
	v_add_f64 v[2:3], v[2:3], v[60:61]
	v_add_f64 v[10:11], v[10:11], v[54:55]
	v_fma_f64 v[8:9], v[8:9], v[78:79], v[46:47]
	v_fma_f64 v[6:7], v[6:7], v[78:79], -v[48:49]
	s_delay_alu instid0(VALU_DEP_4) | instskip(NEXT) | instid1(VALU_DEP_4)
	v_add_f64 v[2:3], v[2:3], v[50:51]
	v_add_f64 v[10:11], v[10:11], v[52:53]
	s_delay_alu instid0(VALU_DEP_2) | instskip(NEXT) | instid1(VALU_DEP_2)
	v_add_f64 v[2:3], v[2:3], v[6:7]
	v_add_f64 v[8:9], v[10:11], v[8:9]
	s_waitcnt vmcnt(0)
	s_delay_alu instid0(VALU_DEP_2) | instskip(NEXT) | instid1(VALU_DEP_2)
	v_add_f64 v[6:7], v[82:83], -v[2:3]
	v_add_f64 v[8:9], v[84:85], -v[8:9]
	scratch_store_b128 off, v[6:9], off offset:16
	v_cmpx_ne_u32_e32 0, v35
	s_cbranch_execz .LBB10_79
; %bb.78:
	scratch_load_b128 v[6:9], off, off
	v_mov_b32_e32 v2, v1
	v_mov_b32_e32 v3, v1
	;; [unrolled: 1-line block ×3, first 2 shown]
	scratch_store_b128 off, v[1:4], off
	s_waitcnt vmcnt(0)
	ds_store_b128 v5, v[6:9]
.LBB10_79:
	s_or_b32 exec_lo, exec_lo, s2
	s_waitcnt lgkmcnt(0)
	s_waitcnt_vscnt null, 0x0
	s_barrier
	buffer_gl0_inv
	s_clause 0x8
	scratch_load_b128 v[2:5], off, off offset:16
	scratch_load_b128 v[6:9], off, off offset:32
	;; [unrolled: 1-line block ×9, first 2 shown]
	ds_load_b128 v[74:77], v1 offset:192
	ds_load_b128 v[78:81], v1 offset:208
	s_clause 0x1
	scratch_load_b128 v[82:85], off, off
	scratch_load_b128 v[86:89], off, off offset:160
	s_and_b32 vcc_lo, exec_lo, s20
	s_waitcnt vmcnt(10) lgkmcnt(1)
	v_mul_f64 v[10:11], v[76:77], v[4:5]
	v_mul_f64 v[4:5], v[74:75], v[4:5]
	s_waitcnt vmcnt(9) lgkmcnt(0)
	v_mul_f64 v[90:91], v[78:79], v[8:9]
	v_mul_f64 v[92:93], v[80:81], v[8:9]
	s_delay_alu instid0(VALU_DEP_4) | instskip(NEXT) | instid1(VALU_DEP_4)
	v_fma_f64 v[74:75], v[74:75], v[2:3], -v[10:11]
	v_fma_f64 v[76:77], v[76:77], v[2:3], v[4:5]
	ds_load_b128 v[2:5], v1 offset:224
	ds_load_b128 v[8:11], v1 offset:240
	v_fma_f64 v[80:81], v[80:81], v[6:7], v[90:91]
	v_fma_f64 v[6:7], v[78:79], v[6:7], -v[92:93]
	s_waitcnt vmcnt(8) lgkmcnt(1)
	v_mul_f64 v[94:95], v[2:3], v[48:49]
	v_mul_f64 v[48:49], v[4:5], v[48:49]
	s_waitcnt vmcnt(7) lgkmcnt(0)
	v_mul_f64 v[78:79], v[8:9], v[52:53]
	v_mul_f64 v[52:53], v[10:11], v[52:53]
	v_add_f64 v[74:75], v[74:75], 0
	v_add_f64 v[76:77], v[76:77], 0
	v_fma_f64 v[90:91], v[4:5], v[46:47], v[94:95]
	v_fma_f64 v[92:93], v[2:3], v[46:47], -v[48:49]
	ds_load_b128 v[2:5], v1 offset:256
	ds_load_b128 v[46:49], v1 offset:272
	v_fma_f64 v[10:11], v[10:11], v[50:51], v[78:79]
	v_fma_f64 v[8:9], v[8:9], v[50:51], -v[52:53]
	v_add_f64 v[6:7], v[74:75], v[6:7]
	v_add_f64 v[74:75], v[76:77], v[80:81]
	s_waitcnt vmcnt(6) lgkmcnt(1)
	v_mul_f64 v[76:77], v[2:3], v[56:57]
	v_mul_f64 v[56:57], v[4:5], v[56:57]
	s_waitcnt vmcnt(5) lgkmcnt(0)
	v_mul_f64 v[52:53], v[46:47], v[60:61]
	v_mul_f64 v[60:61], v[48:49], v[60:61]
	v_add_f64 v[6:7], v[6:7], v[92:93]
	v_add_f64 v[50:51], v[74:75], v[90:91]
	v_fma_f64 v[74:75], v[4:5], v[54:55], v[76:77]
	v_fma_f64 v[54:55], v[2:3], v[54:55], -v[56:57]
	v_fma_f64 v[48:49], v[48:49], v[58:59], v[52:53]
	v_fma_f64 v[46:47], v[46:47], v[58:59], -v[60:61]
	v_add_f64 v[56:57], v[6:7], v[8:9]
	v_add_f64 v[10:11], v[50:51], v[10:11]
	ds_load_b128 v[2:5], v1 offset:288
	ds_load_b128 v[6:9], v1 offset:304
	s_waitcnt vmcnt(4) lgkmcnt(1)
	v_mul_f64 v[50:51], v[2:3], v[64:65]
	v_mul_f64 v[64:65], v[4:5], v[64:65]
	v_add_f64 v[52:53], v[56:57], v[54:55]
	v_add_f64 v[10:11], v[10:11], v[74:75]
	s_waitcnt vmcnt(3) lgkmcnt(0)
	v_mul_f64 v[54:55], v[6:7], v[68:69]
	v_mul_f64 v[56:57], v[8:9], v[68:69]
	v_fma_f64 v[50:51], v[4:5], v[62:63], v[50:51]
	v_fma_f64 v[58:59], v[2:3], v[62:63], -v[64:65]
	v_add_f64 v[52:53], v[52:53], v[46:47]
	v_add_f64 v[10:11], v[10:11], v[48:49]
	ds_load_b128 v[2:5], v1 offset:320
	ds_load_b128 v[46:49], v1 offset:336
	v_fma_f64 v[8:9], v[8:9], v[66:67], v[54:55]
	v_fma_f64 v[6:7], v[6:7], v[66:67], -v[56:57]
	s_waitcnt vmcnt(2) lgkmcnt(1)
	v_mul_f64 v[60:61], v[2:3], v[72:73]
	v_mul_f64 v[62:63], v[4:5], v[72:73]
	s_waitcnt vmcnt(0) lgkmcnt(0)
	v_mul_f64 v[54:55], v[48:49], v[88:89]
	v_add_f64 v[52:53], v[52:53], v[58:59]
	v_add_f64 v[10:11], v[10:11], v[50:51]
	v_mul_f64 v[50:51], v[46:47], v[88:89]
	v_fma_f64 v[4:5], v[4:5], v[70:71], v[60:61]
	v_fma_f64 v[1:2], v[2:3], v[70:71], -v[62:63]
	v_fma_f64 v[46:47], v[46:47], v[86:87], -v[54:55]
	v_add_f64 v[6:7], v[52:53], v[6:7]
	v_add_f64 v[8:9], v[10:11], v[8:9]
	v_fma_f64 v[10:11], v[48:49], v[86:87], v[50:51]
	s_delay_alu instid0(VALU_DEP_3) | instskip(NEXT) | instid1(VALU_DEP_3)
	v_add_f64 v[1:2], v[6:7], v[1:2]
	v_add_f64 v[3:4], v[8:9], v[4:5]
	s_delay_alu instid0(VALU_DEP_2) | instskip(NEXT) | instid1(VALU_DEP_2)
	v_add_f64 v[1:2], v[1:2], v[46:47]
	v_add_f64 v[3:4], v[3:4], v[10:11]
	s_delay_alu instid0(VALU_DEP_2) | instskip(NEXT) | instid1(VALU_DEP_2)
	v_add_f64 v[1:2], v[82:83], -v[1:2]
	v_add_f64 v[3:4], v[84:85], -v[3:4]
	scratch_store_b128 off, v[1:4], off
	s_cbranch_vccz .LBB10_101
; %bb.80:
	v_dual_mov_b32 v1, s16 :: v_dual_mov_b32 v2, s17
	s_load_b64 s[0:1], s[0:1], 0x4
	flat_load_b32 v1, v[1:2] offset:36
	v_bfe_u32 v2, v0, 10, 10
	v_bfe_u32 v0, v0, 20, 10
	s_waitcnt lgkmcnt(0)
	s_lshr_b32 s0, s0, 16
	s_delay_alu instid0(VALU_DEP_2) | instskip(SKIP_1) | instid1(SALU_CYCLE_1)
	v_mul_u32_u24_e32 v2, s1, v2
	s_mul_i32 s0, s0, s1
	v_mul_u32_u24_e32 v3, s0, v35
	s_mov_b32 s0, exec_lo
	s_delay_alu instid0(VALU_DEP_1) | instskip(NEXT) | instid1(VALU_DEP_1)
	v_add3_u32 v0, v3, v2, v0
	v_lshl_add_u32 v0, v0, 4, 0x168
	s_waitcnt vmcnt(0)
	v_cmpx_ne_u32_e32 10, v1
	s_cbranch_execz .LBB10_82
; %bb.81:
	v_lshl_add_u32 v9, v1, 4, 0
	s_clause 0x1
	scratch_load_b128 v[1:4], v45, off
	scratch_load_b128 v[5:8], v9, off offset:-16
	s_waitcnt vmcnt(1)
	ds_store_2addr_b64 v0, v[1:2], v[3:4] offset1:1
	s_waitcnt vmcnt(0)
	s_clause 0x1
	scratch_store_b128 v45, v[5:8], off
	scratch_store_b128 v9, v[1:4], off offset:-16
.LBB10_82:
	s_or_b32 exec_lo, exec_lo, s0
	v_dual_mov_b32 v1, s16 :: v_dual_mov_b32 v2, s17
	s_mov_b32 s0, exec_lo
	flat_load_b32 v1, v[1:2] offset:32
	s_waitcnt vmcnt(0) lgkmcnt(0)
	v_cmpx_ne_u32_e32 9, v1
	s_cbranch_execz .LBB10_84
; %bb.83:
	v_lshl_add_u32 v9, v1, 4, 0
	s_clause 0x1
	scratch_load_b128 v[1:4], v44, off
	scratch_load_b128 v[5:8], v9, off offset:-16
	s_waitcnt vmcnt(1)
	ds_store_2addr_b64 v0, v[1:2], v[3:4] offset1:1
	s_waitcnt vmcnt(0)
	s_clause 0x1
	scratch_store_b128 v44, v[5:8], off
	scratch_store_b128 v9, v[1:4], off offset:-16
.LBB10_84:
	s_or_b32 exec_lo, exec_lo, s0
	v_dual_mov_b32 v1, s16 :: v_dual_mov_b32 v2, s17
	s_mov_b32 s0, exec_lo
	flat_load_b32 v1, v[1:2] offset:28
	s_waitcnt vmcnt(0) lgkmcnt(0)
	;; [unrolled: 19-line block ×8, first 2 shown]
	v_cmpx_ne_u32_e32 2, v1
	s_cbranch_execz .LBB10_98
; %bb.97:
	v_lshl_add_u32 v9, v1, 4, 0
	s_clause 0x1
	scratch_load_b128 v[1:4], v37, off
	scratch_load_b128 v[5:8], v9, off offset:-16
	s_waitcnt vmcnt(1)
	ds_store_2addr_b64 v0, v[1:2], v[3:4] offset1:1
	s_waitcnt vmcnt(0)
	s_clause 0x1
	scratch_store_b128 v37, v[5:8], off
	scratch_store_b128 v9, v[1:4], off offset:-16
.LBB10_98:
	s_or_b32 exec_lo, exec_lo, s0
	v_dual_mov_b32 v1, s16 :: v_dual_mov_b32 v2, s17
	s_mov_b32 s0, exec_lo
	flat_load_b32 v1, v[1:2]
	s_waitcnt vmcnt(0) lgkmcnt(0)
	v_cmpx_ne_u32_e32 1, v1
	s_cbranch_execz .LBB10_100
; %bb.99:
	v_lshl_add_u32 v9, v1, 4, 0
	scratch_load_b128 v[1:4], off, off
	scratch_load_b128 v[5:8], v9, off offset:-16
	s_waitcnt vmcnt(1)
	ds_store_2addr_b64 v0, v[1:2], v[3:4] offset1:1
	s_waitcnt vmcnt(0)
	scratch_store_b128 off, v[5:8], off
	scratch_store_b128 v9, v[1:4], off offset:-16
.LBB10_100:
	s_or_b32 exec_lo, exec_lo, s0
.LBB10_101:
	scratch_load_b128 v[0:3], off, off
	s_clause 0x9
	scratch_load_b128 v[4:7], v37, off
	scratch_load_b128 v[8:11], v39, off
	;; [unrolled: 1-line block ×10, first 2 shown]
	s_waitcnt vmcnt(10)
	global_store_b128 v[13:14], v[0:3], off
	s_waitcnt vmcnt(9)
	global_store_b128 v[15:16], v[4:7], off
	;; [unrolled: 2-line block ×11, first 2 shown]
	s_endpgm
	.section	.rodata,"a",@progbits
	.p2align	6, 0x0
	.amdhsa_kernel _ZN9rocsolver6v33100L18getri_kernel_smallILi11E19rocblas_complex_numIdEPS3_EEvT1_iilPiilS6_bb
		.amdhsa_group_segment_fixed_size 1384
		.amdhsa_private_segment_fixed_size 192
		.amdhsa_kernarg_size 60
		.amdhsa_user_sgpr_count 15
		.amdhsa_user_sgpr_dispatch_ptr 1
		.amdhsa_user_sgpr_queue_ptr 0
		.amdhsa_user_sgpr_kernarg_segment_ptr 1
		.amdhsa_user_sgpr_dispatch_id 0
		.amdhsa_user_sgpr_private_segment_size 0
		.amdhsa_wavefront_size32 1
		.amdhsa_uses_dynamic_stack 0
		.amdhsa_enable_private_segment 1
		.amdhsa_system_sgpr_workgroup_id_x 1
		.amdhsa_system_sgpr_workgroup_id_y 0
		.amdhsa_system_sgpr_workgroup_id_z 0
		.amdhsa_system_sgpr_workgroup_info 0
		.amdhsa_system_vgpr_workitem_id 2
		.amdhsa_next_free_vgpr 96
		.amdhsa_next_free_sgpr 22
		.amdhsa_reserve_vcc 1
		.amdhsa_float_round_mode_32 0
		.amdhsa_float_round_mode_16_64 0
		.amdhsa_float_denorm_mode_32 3
		.amdhsa_float_denorm_mode_16_64 3
		.amdhsa_dx10_clamp 1
		.amdhsa_ieee_mode 1
		.amdhsa_fp16_overflow 0
		.amdhsa_workgroup_processor_mode 1
		.amdhsa_memory_ordered 1
		.amdhsa_forward_progress 0
		.amdhsa_shared_vgpr_count 0
		.amdhsa_exception_fp_ieee_invalid_op 0
		.amdhsa_exception_fp_denorm_src 0
		.amdhsa_exception_fp_ieee_div_zero 0
		.amdhsa_exception_fp_ieee_overflow 0
		.amdhsa_exception_fp_ieee_underflow 0
		.amdhsa_exception_fp_ieee_inexact 0
		.amdhsa_exception_int_div_zero 0
	.end_amdhsa_kernel
	.section	.text._ZN9rocsolver6v33100L18getri_kernel_smallILi11E19rocblas_complex_numIdEPS3_EEvT1_iilPiilS6_bb,"axG",@progbits,_ZN9rocsolver6v33100L18getri_kernel_smallILi11E19rocblas_complex_numIdEPS3_EEvT1_iilPiilS6_bb,comdat
.Lfunc_end10:
	.size	_ZN9rocsolver6v33100L18getri_kernel_smallILi11E19rocblas_complex_numIdEPS3_EEvT1_iilPiilS6_bb, .Lfunc_end10-_ZN9rocsolver6v33100L18getri_kernel_smallILi11E19rocblas_complex_numIdEPS3_EEvT1_iilPiilS6_bb
                                        ; -- End function
	.section	.AMDGPU.csdata,"",@progbits
; Kernel info:
; codeLenInByte = 11052
; NumSgprs: 24
; NumVgprs: 96
; ScratchSize: 192
; MemoryBound: 0
; FloatMode: 240
; IeeeMode: 1
; LDSByteSize: 1384 bytes/workgroup (compile time only)
; SGPRBlocks: 2
; VGPRBlocks: 11
; NumSGPRsForWavesPerEU: 24
; NumVGPRsForWavesPerEU: 96
; Occupancy: 16
; WaveLimiterHint : 1
; COMPUTE_PGM_RSRC2:SCRATCH_EN: 1
; COMPUTE_PGM_RSRC2:USER_SGPR: 15
; COMPUTE_PGM_RSRC2:TRAP_HANDLER: 0
; COMPUTE_PGM_RSRC2:TGID_X_EN: 1
; COMPUTE_PGM_RSRC2:TGID_Y_EN: 0
; COMPUTE_PGM_RSRC2:TGID_Z_EN: 0
; COMPUTE_PGM_RSRC2:TIDIG_COMP_CNT: 2
	.section	.text._ZN9rocsolver6v33100L18getri_kernel_smallILi12E19rocblas_complex_numIdEPS3_EEvT1_iilPiilS6_bb,"axG",@progbits,_ZN9rocsolver6v33100L18getri_kernel_smallILi12E19rocblas_complex_numIdEPS3_EEvT1_iilPiilS6_bb,comdat
	.globl	_ZN9rocsolver6v33100L18getri_kernel_smallILi12E19rocblas_complex_numIdEPS3_EEvT1_iilPiilS6_bb ; -- Begin function _ZN9rocsolver6v33100L18getri_kernel_smallILi12E19rocblas_complex_numIdEPS3_EEvT1_iilPiilS6_bb
	.p2align	8
	.type	_ZN9rocsolver6v33100L18getri_kernel_smallILi12E19rocblas_complex_numIdEPS3_EEvT1_iilPiilS6_bb,@function
_ZN9rocsolver6v33100L18getri_kernel_smallILi12E19rocblas_complex_numIdEPS3_EEvT1_iilPiilS6_bb: ; @_ZN9rocsolver6v33100L18getri_kernel_smallILi12E19rocblas_complex_numIdEPS3_EEvT1_iilPiilS6_bb
; %bb.0:
	v_and_b32_e32 v37, 0x3ff, v0
	s_mov_b32 s4, exec_lo
	s_delay_alu instid0(VALU_DEP_1)
	v_cmpx_gt_u32_e32 12, v37
	s_cbranch_execz .LBB11_62
; %bb.1:
	s_mov_b32 s18, s15
	s_clause 0x2
	s_load_b32 s21, s[2:3], 0x38
	s_load_b128 s[12:15], s[2:3], 0x10
	s_load_b128 s[4:7], s[2:3], 0x28
                                        ; implicit-def: $sgpr16_sgpr17
	s_waitcnt lgkmcnt(0)
	s_bitcmp1_b32 s21, 8
	s_cselect_b32 s20, -1, 0
	s_bfe_u32 s8, s21, 0x10008
	s_ashr_i32 s19, s18, 31
	s_cmp_eq_u32 s8, 0
	s_cbranch_scc1 .LBB11_3
; %bb.2:
	s_load_b32 s8, s[2:3], 0x20
	s_mul_i32 s5, s18, s5
	s_mul_hi_u32 s9, s18, s4
	s_mul_i32 s10, s19, s4
	s_add_i32 s5, s9, s5
	s_mul_i32 s4, s18, s4
	s_add_i32 s5, s5, s10
	s_delay_alu instid0(SALU_CYCLE_1)
	s_lshl_b64 s[4:5], s[4:5], 2
	s_waitcnt lgkmcnt(0)
	s_ashr_i32 s9, s8, 31
	s_add_u32 s10, s14, s4
	s_addc_u32 s11, s15, s5
	s_lshl_b64 s[4:5], s[8:9], 2
	s_delay_alu instid0(SALU_CYCLE_1)
	s_add_u32 s16, s10, s4
	s_addc_u32 s17, s11, s5
.LBB11_3:
	s_load_b128 s[8:11], s[2:3], 0x0
	s_mul_i32 s2, s18, s13
	s_mul_hi_u32 s3, s18, s12
	s_mul_i32 s4, s19, s12
	s_add_i32 s3, s3, s2
	s_mul_i32 s2, s18, s12
	s_add_i32 s3, s3, s4
	v_lshlrev_b32_e32 v49, 4, v37
	s_lshl_b64 s[2:3], s[2:3], 4
	v_add_nc_u32_e64 v41, 0, 32
	s_waitcnt lgkmcnt(0)
	v_add3_u32 v5, s11, s11, v37
	s_ashr_i32 s5, s10, 31
	s_mov_b32 s4, s10
	s_add_u32 s8, s8, s2
	s_addc_u32 s9, s9, s3
	v_add_nc_u32_e32 v7, s11, v5
	s_lshl_b64 s[2:3], s[4:5], 4
	v_ashrrev_i32_e32 v6, 31, v5
	s_add_u32 s2, s8, s2
	s_addc_u32 s3, s9, s3
	v_add_nc_u32_e32 v9, s11, v7
	v_add_co_u32 v13, s8, s2, v49
	s_mov_b32 s4, s11
	s_ashr_i32 s5, s11, 31
	s_delay_alu instid0(VALU_DEP_2)
	v_add_nc_u32_e32 v23, s11, v9
	v_add_co_ci_u32_e64 v14, null, s3, 0, s8
	v_lshlrev_b64 v[5:6], 4, v[5:6]
	v_ashrrev_i32_e32 v8, 31, v7
	s_lshl_b64 s[4:5], s[4:5], 4
	v_ashrrev_i32_e32 v10, 31, v9
	v_add_co_u32 v15, vcc_lo, v13, s4
	v_add_nc_u32_e32 v25, s11, v23
	v_add_co_ci_u32_e32 v16, vcc_lo, s5, v14, vcc_lo
	v_lshlrev_b64 v[7:8], 4, v[7:8]
	v_add_co_u32 v17, vcc_lo, s2, v5
	v_ashrrev_i32_e32 v24, 31, v23
	v_add_co_ci_u32_e32 v18, vcc_lo, s3, v6, vcc_lo
	v_lshlrev_b64 v[5:6], 4, v[9:10]
	v_add_nc_u32_e32 v28, s11, v25
	v_ashrrev_i32_e32 v26, 31, v25
	v_add_co_u32 v19, vcc_lo, s2, v7
	v_lshlrev_b64 v[23:24], 4, v[23:24]
	v_add_co_ci_u32_e32 v20, vcc_lo, s3, v8, vcc_lo
	v_add_nc_u32_e32 v30, s11, v28
	v_add_co_u32 v21, vcc_lo, s2, v5
	v_lshlrev_b64 v[26:27], 4, v[25:26]
	v_add_co_ci_u32_e32 v22, vcc_lo, s3, v6, vcc_lo
	v_add_co_u32 v23, vcc_lo, s2, v23
	v_ashrrev_i32_e32 v29, 31, v28
	v_add_nc_u32_e32 v32, s11, v30
	v_add_co_ci_u32_e32 v24, vcc_lo, s3, v24, vcc_lo
	v_add_co_u32 v25, vcc_lo, s2, v26
	v_ashrrev_i32_e32 v31, 31, v30
	v_add_co_ci_u32_e32 v26, vcc_lo, s3, v27, vcc_lo
	v_lshlrev_b64 v[27:28], 4, v[28:29]
	v_ashrrev_i32_e32 v33, 31, v32
	v_add_nc_u32_e32 v35, s11, v32
	v_lshlrev_b64 v[29:30], 4, v[30:31]
	s_clause 0x2
	global_load_b128 v[1:4], v49, s[2:3]
	global_load_b128 v[5:8], v[15:16], off
	global_load_b128 v[9:12], v[17:18], off
	v_add_co_u32 v27, vcc_lo, s2, v27
	v_lshlrev_b64 v[33:34], 4, v[32:33]
	v_add_nc_u32_e32 v38, s11, v35
	v_add_co_ci_u32_e32 v28, vcc_lo, s3, v28, vcc_lo
	v_add_co_u32 v29, vcc_lo, s2, v29
	v_ashrrev_i32_e32 v36, 31, v35
	v_add_co_ci_u32_e32 v30, vcc_lo, s3, v30, vcc_lo
	v_add_co_u32 v31, vcc_lo, s2, v33
	v_ashrrev_i32_e32 v39, 31, v38
	v_add_co_ci_u32_e32 v32, vcc_lo, s3, v34, vcc_lo
	v_lshlrev_b64 v[33:34], 4, v[35:36]
	s_clause 0x1
	global_load_b128 v[42:45], v[19:20], off
	global_load_b128 v[50:53], v[21:22], off
	v_lshlrev_b64 v[35:36], 4, v[38:39]
	s_clause 0x4
	global_load_b128 v[54:57], v[23:24], off
	global_load_b128 v[58:61], v[25:26], off
	global_load_b128 v[62:65], v[27:28], off
	global_load_b128 v[66:69], v[29:30], off
	global_load_b128 v[70:73], v[31:32], off
	v_add_nc_u32_e64 v39, 0, 16
	v_add_co_u32 v33, vcc_lo, s2, v33
	v_add_co_ci_u32_e32 v34, vcc_lo, s3, v34, vcc_lo
	v_add_co_u32 v35, vcc_lo, s2, v35
	v_add_co_ci_u32_e32 v36, vcc_lo, s3, v36, vcc_lo
	s_clause 0x1
	global_load_b128 v[74:77], v[33:34], off
	global_load_b128 v[78:81], v[35:36], off
	s_movk_i32 s2, 0x50
	s_movk_i32 s3, 0x70
	v_add_nc_u32_e64 v40, s2, 0
	s_movk_i32 s2, 0x60
	v_add_nc_u32_e64 v38, 0, 48
	s_bitcmp0_b32 s21, 0
	s_waitcnt vmcnt(11)
	scratch_store_b128 off, v[1:4], off
	s_waitcnt vmcnt(10)
	scratch_store_b128 off, v[5:8], off offset:16
	s_waitcnt vmcnt(9)
	scratch_store_b128 off, v[9:12], off offset:32
	;; [unrolled: 2-line block ×3, first 2 shown]
	v_add_nc_u32_e64 v44, s2, 0
	v_add_nc_u32_e64 v43, s3, 0
	s_movk_i32 s2, 0x80
	s_movk_i32 s3, 0x90
	v_add_nc_u32_e64 v46, s2, 0
	v_add_nc_u32_e64 v45, s3, 0
	s_movk_i32 s2, 0xa0
	s_movk_i32 s3, 0xb0
	v_add_nc_u32_e64 v42, 0, 64
	v_add_nc_u32_e64 v48, s2, 0
	v_add_nc_u32_e64 v47, s3, 0
	s_mov_b32 s3, -1
	s_waitcnt vmcnt(7)
	scratch_store_b128 off, v[50:53], off offset:64
	s_waitcnt vmcnt(6)
	scratch_store_b128 off, v[54:57], off offset:80
	s_waitcnt vmcnt(5)
	scratch_store_b128 off, v[58:61], off offset:96
	s_waitcnt vmcnt(4)
	scratch_store_b128 off, v[62:65], off offset:112
	s_waitcnt vmcnt(3)
	scratch_store_b128 off, v[66:69], off offset:128
	s_waitcnt vmcnt(2)
	scratch_store_b128 off, v[70:73], off offset:144
	s_waitcnt vmcnt(1)
	scratch_store_b128 off, v[74:77], off offset:160
	s_waitcnt vmcnt(0)
	scratch_store_b128 off, v[78:81], off offset:176
	s_cbranch_scc1 .LBB11_60
; %bb.4:
	v_cmp_eq_u32_e64 s2, 0, v37
	s_delay_alu instid0(VALU_DEP_1)
	s_and_saveexec_b32 s3, s2
	s_cbranch_execz .LBB11_6
; %bb.5:
	v_mov_b32_e32 v1, 0
	ds_store_b32 v1, v1 offset:384
.LBB11_6:
	s_or_b32 exec_lo, exec_lo, s3
	s_waitcnt lgkmcnt(0)
	s_waitcnt_vscnt null, 0x0
	s_barrier
	buffer_gl0_inv
	scratch_load_b128 v[1:4], v49, off
	s_waitcnt vmcnt(0)
	v_cmp_eq_f64_e32 vcc_lo, 0, v[1:2]
	v_cmp_eq_f64_e64 s3, 0, v[3:4]
	s_delay_alu instid0(VALU_DEP_1) | instskip(NEXT) | instid1(SALU_CYCLE_1)
	s_and_b32 s3, vcc_lo, s3
	s_and_saveexec_b32 s4, s3
	s_cbranch_execz .LBB11_10
; %bb.7:
	v_mov_b32_e32 v1, 0
	s_mov_b32 s5, 0
	ds_load_b32 v2, v1 offset:384
	s_waitcnt lgkmcnt(0)
	v_readfirstlane_b32 s3, v2
	v_add_nc_u32_e32 v2, 1, v37
	s_delay_alu instid0(VALU_DEP_2) | instskip(NEXT) | instid1(VALU_DEP_1)
	s_cmp_eq_u32 s3, 0
	v_cmp_gt_i32_e32 vcc_lo, s3, v2
	s_cselect_b32 s8, -1, 0
	s_delay_alu instid0(SALU_CYCLE_1) | instskip(NEXT) | instid1(SALU_CYCLE_1)
	s_or_b32 s8, s8, vcc_lo
	s_and_b32 exec_lo, exec_lo, s8
	s_cbranch_execz .LBB11_10
; %bb.8:
	v_mov_b32_e32 v3, s3
.LBB11_9:                               ; =>This Inner Loop Header: Depth=1
	ds_cmpstore_rtn_b32 v3, v1, v2, v3 offset:384
	s_waitcnt lgkmcnt(0)
	v_cmp_ne_u32_e32 vcc_lo, 0, v3
	v_cmp_le_i32_e64 s3, v3, v2
	s_delay_alu instid0(VALU_DEP_1) | instskip(NEXT) | instid1(SALU_CYCLE_1)
	s_and_b32 s3, vcc_lo, s3
	s_and_b32 s3, exec_lo, s3
	s_delay_alu instid0(SALU_CYCLE_1) | instskip(NEXT) | instid1(SALU_CYCLE_1)
	s_or_b32 s5, s3, s5
	s_and_not1_b32 exec_lo, exec_lo, s5
	s_cbranch_execnz .LBB11_9
.LBB11_10:
	s_or_b32 exec_lo, exec_lo, s4
	v_mov_b32_e32 v1, 0
	s_barrier
	buffer_gl0_inv
	ds_load_b32 v2, v1 offset:384
	s_and_saveexec_b32 s3, s2
	s_cbranch_execz .LBB11_12
; %bb.11:
	s_lshl_b64 s[4:5], s[18:19], 2
	s_delay_alu instid0(SALU_CYCLE_1)
	s_add_u32 s4, s6, s4
	s_addc_u32 s5, s7, s5
	s_waitcnt lgkmcnt(0)
	global_store_b32 v1, v2, s[4:5]
.LBB11_12:
	s_or_b32 exec_lo, exec_lo, s3
	s_waitcnt lgkmcnt(0)
	v_cmp_ne_u32_e32 vcc_lo, 0, v2
	s_mov_b32 s3, 0
	s_cbranch_vccnz .LBB11_60
; %bb.13:
	v_add_nc_u32_e32 v50, 0, v49
                                        ; implicit-def: $vgpr9_vgpr10
	scratch_load_b128 v[1:4], v50, off
	s_waitcnt vmcnt(0)
	v_mov_b32_e32 v5, v1
	v_cmp_gt_f64_e32 vcc_lo, 0, v[1:2]
	v_xor_b32_e32 v6, 0x80000000, v2
	v_xor_b32_e32 v7, 0x80000000, v4
	s_delay_alu instid0(VALU_DEP_2) | instskip(SKIP_1) | instid1(VALU_DEP_3)
	v_cndmask_b32_e32 v6, v2, v6, vcc_lo
	v_cmp_gt_f64_e32 vcc_lo, 0, v[3:4]
	v_dual_cndmask_b32 v8, v4, v7 :: v_dual_mov_b32 v7, v3
	s_delay_alu instid0(VALU_DEP_1) | instskip(SKIP_1) | instid1(SALU_CYCLE_1)
	v_cmp_ngt_f64_e32 vcc_lo, v[5:6], v[7:8]
                                        ; implicit-def: $vgpr5_vgpr6
	s_and_saveexec_b32 s3, vcc_lo
	s_xor_b32 s3, exec_lo, s3
	s_cbranch_execz .LBB11_15
; %bb.14:
	v_div_scale_f64 v[5:6], null, v[3:4], v[3:4], v[1:2]
	v_div_scale_f64 v[11:12], vcc_lo, v[1:2], v[3:4], v[1:2]
	s_delay_alu instid0(VALU_DEP_2) | instskip(SKIP_2) | instid1(VALU_DEP_1)
	v_rcp_f64_e32 v[7:8], v[5:6]
	s_waitcnt_depctr 0xfff
	v_fma_f64 v[9:10], -v[5:6], v[7:8], 1.0
	v_fma_f64 v[7:8], v[7:8], v[9:10], v[7:8]
	s_delay_alu instid0(VALU_DEP_1) | instskip(NEXT) | instid1(VALU_DEP_1)
	v_fma_f64 v[9:10], -v[5:6], v[7:8], 1.0
	v_fma_f64 v[7:8], v[7:8], v[9:10], v[7:8]
	s_delay_alu instid0(VALU_DEP_1) | instskip(NEXT) | instid1(VALU_DEP_1)
	v_mul_f64 v[9:10], v[11:12], v[7:8]
	v_fma_f64 v[5:6], -v[5:6], v[9:10], v[11:12]
	s_delay_alu instid0(VALU_DEP_1) | instskip(NEXT) | instid1(VALU_DEP_1)
	v_div_fmas_f64 v[5:6], v[5:6], v[7:8], v[9:10]
	v_div_fixup_f64 v[5:6], v[5:6], v[3:4], v[1:2]
	s_delay_alu instid0(VALU_DEP_1) | instskip(NEXT) | instid1(VALU_DEP_1)
	v_fma_f64 v[1:2], v[1:2], v[5:6], v[3:4]
	v_div_scale_f64 v[3:4], null, v[1:2], v[1:2], 1.0
	v_div_scale_f64 v[11:12], vcc_lo, 1.0, v[1:2], 1.0
	s_delay_alu instid0(VALU_DEP_2) | instskip(SKIP_2) | instid1(VALU_DEP_1)
	v_rcp_f64_e32 v[7:8], v[3:4]
	s_waitcnt_depctr 0xfff
	v_fma_f64 v[9:10], -v[3:4], v[7:8], 1.0
	v_fma_f64 v[7:8], v[7:8], v[9:10], v[7:8]
	s_delay_alu instid0(VALU_DEP_1) | instskip(NEXT) | instid1(VALU_DEP_1)
	v_fma_f64 v[9:10], -v[3:4], v[7:8], 1.0
	v_fma_f64 v[7:8], v[7:8], v[9:10], v[7:8]
	s_delay_alu instid0(VALU_DEP_1) | instskip(NEXT) | instid1(VALU_DEP_1)
	v_mul_f64 v[9:10], v[11:12], v[7:8]
	v_fma_f64 v[3:4], -v[3:4], v[9:10], v[11:12]
	s_delay_alu instid0(VALU_DEP_1) | instskip(NEXT) | instid1(VALU_DEP_1)
	v_div_fmas_f64 v[3:4], v[3:4], v[7:8], v[9:10]
	v_div_fixup_f64 v[7:8], v[3:4], v[1:2], 1.0
                                        ; implicit-def: $vgpr1_vgpr2
	s_delay_alu instid0(VALU_DEP_1) | instskip(SKIP_1) | instid1(VALU_DEP_2)
	v_mul_f64 v[5:6], v[5:6], v[7:8]
	v_xor_b32_e32 v8, 0x80000000, v8
	v_xor_b32_e32 v10, 0x80000000, v6
	s_delay_alu instid0(VALU_DEP_3)
	v_mov_b32_e32 v9, v5
.LBB11_15:
	s_and_not1_saveexec_b32 s3, s3
	s_cbranch_execz .LBB11_17
; %bb.16:
	v_div_scale_f64 v[5:6], null, v[1:2], v[1:2], v[3:4]
	v_div_scale_f64 v[11:12], vcc_lo, v[3:4], v[1:2], v[3:4]
	s_delay_alu instid0(VALU_DEP_2) | instskip(SKIP_2) | instid1(VALU_DEP_1)
	v_rcp_f64_e32 v[7:8], v[5:6]
	s_waitcnt_depctr 0xfff
	v_fma_f64 v[9:10], -v[5:6], v[7:8], 1.0
	v_fma_f64 v[7:8], v[7:8], v[9:10], v[7:8]
	s_delay_alu instid0(VALU_DEP_1) | instskip(NEXT) | instid1(VALU_DEP_1)
	v_fma_f64 v[9:10], -v[5:6], v[7:8], 1.0
	v_fma_f64 v[7:8], v[7:8], v[9:10], v[7:8]
	s_delay_alu instid0(VALU_DEP_1) | instskip(NEXT) | instid1(VALU_DEP_1)
	v_mul_f64 v[9:10], v[11:12], v[7:8]
	v_fma_f64 v[5:6], -v[5:6], v[9:10], v[11:12]
	s_delay_alu instid0(VALU_DEP_1) | instskip(NEXT) | instid1(VALU_DEP_1)
	v_div_fmas_f64 v[5:6], v[5:6], v[7:8], v[9:10]
	v_div_fixup_f64 v[7:8], v[5:6], v[1:2], v[3:4]
	s_delay_alu instid0(VALU_DEP_1) | instskip(NEXT) | instid1(VALU_DEP_1)
	v_fma_f64 v[1:2], v[3:4], v[7:8], v[1:2]
	v_div_scale_f64 v[3:4], null, v[1:2], v[1:2], 1.0
	s_delay_alu instid0(VALU_DEP_1) | instskip(SKIP_2) | instid1(VALU_DEP_1)
	v_rcp_f64_e32 v[5:6], v[3:4]
	s_waitcnt_depctr 0xfff
	v_fma_f64 v[9:10], -v[3:4], v[5:6], 1.0
	v_fma_f64 v[5:6], v[5:6], v[9:10], v[5:6]
	s_delay_alu instid0(VALU_DEP_1) | instskip(NEXT) | instid1(VALU_DEP_1)
	v_fma_f64 v[9:10], -v[3:4], v[5:6], 1.0
	v_fma_f64 v[5:6], v[5:6], v[9:10], v[5:6]
	v_div_scale_f64 v[9:10], vcc_lo, 1.0, v[1:2], 1.0
	s_delay_alu instid0(VALU_DEP_1) | instskip(NEXT) | instid1(VALU_DEP_1)
	v_mul_f64 v[11:12], v[9:10], v[5:6]
	v_fma_f64 v[3:4], -v[3:4], v[11:12], v[9:10]
	s_delay_alu instid0(VALU_DEP_1) | instskip(NEXT) | instid1(VALU_DEP_1)
	v_div_fmas_f64 v[3:4], v[3:4], v[5:6], v[11:12]
	v_div_fixup_f64 v[5:6], v[3:4], v[1:2], 1.0
	s_delay_alu instid0(VALU_DEP_1)
	v_mul_f64 v[7:8], v[7:8], -v[5:6]
	v_xor_b32_e32 v10, 0x80000000, v6
	v_mov_b32_e32 v9, v5
.LBB11_17:
	s_or_b32 exec_lo, exec_lo, s3
	scratch_store_b128 v50, v[5:8], off
	scratch_load_b128 v[1:4], v39, off
	v_xor_b32_e32 v12, 0x80000000, v8
	v_mov_b32_e32 v11, v7
	v_add_nc_u32_e32 v5, 0xc0, v49
	ds_store_b128 v49, v[9:12]
	s_waitcnt vmcnt(0)
	ds_store_b128 v49, v[1:4] offset:192
	s_waitcnt lgkmcnt(0)
	s_waitcnt_vscnt null, 0x0
	s_barrier
	buffer_gl0_inv
	s_and_saveexec_b32 s3, s2
	s_cbranch_execz .LBB11_19
; %bb.18:
	scratch_load_b128 v[1:4], v50, off
	ds_load_b128 v[6:9], v5
	v_mov_b32_e32 v10, 0
	ds_load_b128 v[51:54], v10 offset:16
	s_waitcnt vmcnt(0) lgkmcnt(1)
	v_mul_f64 v[10:11], v[6:7], v[3:4]
	v_mul_f64 v[3:4], v[8:9], v[3:4]
	s_delay_alu instid0(VALU_DEP_2) | instskip(NEXT) | instid1(VALU_DEP_2)
	v_fma_f64 v[8:9], v[8:9], v[1:2], v[10:11]
	v_fma_f64 v[1:2], v[6:7], v[1:2], -v[3:4]
	s_delay_alu instid0(VALU_DEP_2) | instskip(NEXT) | instid1(VALU_DEP_2)
	v_add_f64 v[3:4], v[8:9], 0
	v_add_f64 v[1:2], v[1:2], 0
	s_waitcnt lgkmcnt(0)
	s_delay_alu instid0(VALU_DEP_2) | instskip(NEXT) | instid1(VALU_DEP_2)
	v_mul_f64 v[6:7], v[3:4], v[53:54]
	v_mul_f64 v[8:9], v[1:2], v[53:54]
	s_delay_alu instid0(VALU_DEP_2) | instskip(NEXT) | instid1(VALU_DEP_2)
	v_fma_f64 v[1:2], v[1:2], v[51:52], -v[6:7]
	v_fma_f64 v[3:4], v[3:4], v[51:52], v[8:9]
	scratch_store_b128 off, v[1:4], off offset:16
.LBB11_19:
	s_or_b32 exec_lo, exec_lo, s3
	s_waitcnt_vscnt null, 0x0
	s_barrier
	buffer_gl0_inv
	scratch_load_b128 v[1:4], v41, off
	s_mov_b32 s3, exec_lo
	s_waitcnt vmcnt(0)
	ds_store_b128 v5, v[1:4]
	s_waitcnt lgkmcnt(0)
	s_barrier
	buffer_gl0_inv
	v_cmpx_gt_u32_e32 2, v37
	s_cbranch_execz .LBB11_23
; %bb.20:
	scratch_load_b128 v[1:4], v50, off
	ds_load_b128 v[6:9], v5
	s_waitcnt vmcnt(0) lgkmcnt(0)
	v_mul_f64 v[10:11], v[8:9], v[3:4]
	v_mul_f64 v[3:4], v[6:7], v[3:4]
	s_delay_alu instid0(VALU_DEP_2) | instskip(NEXT) | instid1(VALU_DEP_2)
	v_fma_f64 v[6:7], v[6:7], v[1:2], -v[10:11]
	v_fma_f64 v[3:4], v[8:9], v[1:2], v[3:4]
	s_delay_alu instid0(VALU_DEP_2) | instskip(NEXT) | instid1(VALU_DEP_2)
	v_add_f64 v[1:2], v[6:7], 0
	v_add_f64 v[3:4], v[3:4], 0
	s_and_saveexec_b32 s4, s2
	s_cbranch_execz .LBB11_22
; %bb.21:
	scratch_load_b128 v[6:9], off, off offset:16
	v_mov_b32_e32 v10, 0
	ds_load_b128 v[51:54], v10 offset:208
	s_waitcnt vmcnt(0) lgkmcnt(0)
	v_mul_f64 v[10:11], v[51:52], v[8:9]
	v_mul_f64 v[8:9], v[53:54], v[8:9]
	s_delay_alu instid0(VALU_DEP_2) | instskip(NEXT) | instid1(VALU_DEP_2)
	v_fma_f64 v[10:11], v[53:54], v[6:7], v[10:11]
	v_fma_f64 v[6:7], v[51:52], v[6:7], -v[8:9]
	s_delay_alu instid0(VALU_DEP_2) | instskip(NEXT) | instid1(VALU_DEP_2)
	v_add_f64 v[3:4], v[3:4], v[10:11]
	v_add_f64 v[1:2], v[1:2], v[6:7]
.LBB11_22:
	s_or_b32 exec_lo, exec_lo, s4
	v_mov_b32_e32 v6, 0
	ds_load_b128 v[6:9], v6 offset:32
	s_waitcnt lgkmcnt(0)
	v_mul_f64 v[10:11], v[3:4], v[8:9]
	v_mul_f64 v[8:9], v[1:2], v[8:9]
	s_delay_alu instid0(VALU_DEP_2) | instskip(NEXT) | instid1(VALU_DEP_2)
	v_fma_f64 v[1:2], v[1:2], v[6:7], -v[10:11]
	v_fma_f64 v[3:4], v[3:4], v[6:7], v[8:9]
	scratch_store_b128 off, v[1:4], off offset:32
.LBB11_23:
	s_or_b32 exec_lo, exec_lo, s3
	s_waitcnt_vscnt null, 0x0
	s_barrier
	buffer_gl0_inv
	scratch_load_b128 v[1:4], v38, off
	v_add_nc_u32_e32 v6, -1, v37
	s_mov_b32 s2, exec_lo
	s_waitcnt vmcnt(0)
	ds_store_b128 v5, v[1:4]
	s_waitcnt lgkmcnt(0)
	s_barrier
	buffer_gl0_inv
	v_cmpx_gt_u32_e32 3, v37
	s_cbranch_execz .LBB11_27
; %bb.24:
	v_dual_mov_b32 v1, 0 :: v_dual_add_nc_u32 v8, 0xc0, v49
	v_dual_mov_b32 v2, 0 :: v_dual_add_nc_u32 v7, -1, v37
	v_or_b32_e32 v9, 8, v50
	s_mov_b32 s3, 0
	s_delay_alu instid0(VALU_DEP_2)
	v_dual_mov_b32 v4, v2 :: v_dual_mov_b32 v3, v1
	.p2align	6
.LBB11_25:                              ; =>This Inner Loop Header: Depth=1
	scratch_load_b128 v[51:54], v9, off offset:-8
	ds_load_b128 v[55:58], v8
	v_add_nc_u32_e32 v7, 1, v7
	v_add_nc_u32_e32 v8, 16, v8
	;; [unrolled: 1-line block ×3, first 2 shown]
	s_delay_alu instid0(VALU_DEP_3) | instskip(SKIP_4) | instid1(VALU_DEP_2)
	v_cmp_lt_u32_e32 vcc_lo, 1, v7
	s_or_b32 s3, vcc_lo, s3
	s_waitcnt vmcnt(0) lgkmcnt(0)
	v_mul_f64 v[10:11], v[57:58], v[53:54]
	v_mul_f64 v[53:54], v[55:56], v[53:54]
	v_fma_f64 v[10:11], v[55:56], v[51:52], -v[10:11]
	s_delay_alu instid0(VALU_DEP_2) | instskip(NEXT) | instid1(VALU_DEP_2)
	v_fma_f64 v[51:52], v[57:58], v[51:52], v[53:54]
	v_add_f64 v[3:4], v[3:4], v[10:11]
	s_delay_alu instid0(VALU_DEP_2)
	v_add_f64 v[1:2], v[1:2], v[51:52]
	s_and_not1_b32 exec_lo, exec_lo, s3
	s_cbranch_execnz .LBB11_25
; %bb.26:
	s_or_b32 exec_lo, exec_lo, s3
	v_mov_b32_e32 v7, 0
	ds_load_b128 v[7:10], v7 offset:48
	s_waitcnt lgkmcnt(0)
	v_mul_f64 v[11:12], v[1:2], v[9:10]
	v_mul_f64 v[51:52], v[3:4], v[9:10]
	s_delay_alu instid0(VALU_DEP_2) | instskip(NEXT) | instid1(VALU_DEP_2)
	v_fma_f64 v[9:10], v[3:4], v[7:8], -v[11:12]
	v_fma_f64 v[11:12], v[1:2], v[7:8], v[51:52]
	scratch_store_b128 off, v[9:12], off offset:48
.LBB11_27:
	s_or_b32 exec_lo, exec_lo, s2
	s_waitcnt_vscnt null, 0x0
	s_barrier
	buffer_gl0_inv
	scratch_load_b128 v[1:4], v42, off
	s_mov_b32 s2, exec_lo
	s_waitcnt vmcnt(0)
	ds_store_b128 v5, v[1:4]
	s_waitcnt lgkmcnt(0)
	s_barrier
	buffer_gl0_inv
	v_cmpx_gt_u32_e32 4, v37
	s_cbranch_execz .LBB11_31
; %bb.28:
	v_dual_mov_b32 v1, 0 :: v_dual_add_nc_u32 v8, 0xc0, v49
	v_dual_mov_b32 v2, 0 :: v_dual_add_nc_u32 v7, -1, v37
	v_or_b32_e32 v9, 8, v50
	s_mov_b32 s3, 0
	s_delay_alu instid0(VALU_DEP_2)
	v_dual_mov_b32 v4, v2 :: v_dual_mov_b32 v3, v1
	.p2align	6
.LBB11_29:                              ; =>This Inner Loop Header: Depth=1
	scratch_load_b128 v[51:54], v9, off offset:-8
	ds_load_b128 v[55:58], v8
	v_add_nc_u32_e32 v7, 1, v7
	v_add_nc_u32_e32 v8, 16, v8
	;; [unrolled: 1-line block ×3, first 2 shown]
	s_delay_alu instid0(VALU_DEP_3) | instskip(SKIP_4) | instid1(VALU_DEP_2)
	v_cmp_lt_u32_e32 vcc_lo, 2, v7
	s_or_b32 s3, vcc_lo, s3
	s_waitcnt vmcnt(0) lgkmcnt(0)
	v_mul_f64 v[10:11], v[57:58], v[53:54]
	v_mul_f64 v[53:54], v[55:56], v[53:54]
	v_fma_f64 v[10:11], v[55:56], v[51:52], -v[10:11]
	s_delay_alu instid0(VALU_DEP_2) | instskip(NEXT) | instid1(VALU_DEP_2)
	v_fma_f64 v[51:52], v[57:58], v[51:52], v[53:54]
	v_add_f64 v[3:4], v[3:4], v[10:11]
	s_delay_alu instid0(VALU_DEP_2)
	v_add_f64 v[1:2], v[1:2], v[51:52]
	s_and_not1_b32 exec_lo, exec_lo, s3
	s_cbranch_execnz .LBB11_29
; %bb.30:
	s_or_b32 exec_lo, exec_lo, s3
	v_mov_b32_e32 v7, 0
	ds_load_b128 v[7:10], v7 offset:64
	s_waitcnt lgkmcnt(0)
	v_mul_f64 v[11:12], v[1:2], v[9:10]
	v_mul_f64 v[51:52], v[3:4], v[9:10]
	s_delay_alu instid0(VALU_DEP_2) | instskip(NEXT) | instid1(VALU_DEP_2)
	v_fma_f64 v[9:10], v[3:4], v[7:8], -v[11:12]
	v_fma_f64 v[11:12], v[1:2], v[7:8], v[51:52]
	scratch_store_b128 off, v[9:12], off offset:64
.LBB11_31:
	s_or_b32 exec_lo, exec_lo, s2
	s_waitcnt_vscnt null, 0x0
	s_barrier
	buffer_gl0_inv
	scratch_load_b128 v[1:4], v40, off
	s_mov_b32 s2, exec_lo
	s_waitcnt vmcnt(0)
	ds_store_b128 v5, v[1:4]
	s_waitcnt lgkmcnt(0)
	s_barrier
	buffer_gl0_inv
	v_cmpx_gt_u32_e32 5, v37
	s_cbranch_execz .LBB11_35
; %bb.32:
	v_dual_mov_b32 v1, 0 :: v_dual_add_nc_u32 v8, 0xc0, v49
	v_dual_mov_b32 v2, 0 :: v_dual_add_nc_u32 v7, -1, v37
	v_or_b32_e32 v9, 8, v50
	s_mov_b32 s3, 0
	s_delay_alu instid0(VALU_DEP_2)
	v_dual_mov_b32 v4, v2 :: v_dual_mov_b32 v3, v1
	.p2align	6
.LBB11_33:                              ; =>This Inner Loop Header: Depth=1
	scratch_load_b128 v[51:54], v9, off offset:-8
	ds_load_b128 v[55:58], v8
	v_add_nc_u32_e32 v7, 1, v7
	v_add_nc_u32_e32 v8, 16, v8
	v_add_nc_u32_e32 v9, 16, v9
	s_delay_alu instid0(VALU_DEP_3) | instskip(SKIP_4) | instid1(VALU_DEP_2)
	v_cmp_lt_u32_e32 vcc_lo, 3, v7
	s_or_b32 s3, vcc_lo, s3
	s_waitcnt vmcnt(0) lgkmcnt(0)
	v_mul_f64 v[10:11], v[57:58], v[53:54]
	v_mul_f64 v[53:54], v[55:56], v[53:54]
	v_fma_f64 v[10:11], v[55:56], v[51:52], -v[10:11]
	s_delay_alu instid0(VALU_DEP_2) | instskip(NEXT) | instid1(VALU_DEP_2)
	v_fma_f64 v[51:52], v[57:58], v[51:52], v[53:54]
	v_add_f64 v[3:4], v[3:4], v[10:11]
	s_delay_alu instid0(VALU_DEP_2)
	v_add_f64 v[1:2], v[1:2], v[51:52]
	s_and_not1_b32 exec_lo, exec_lo, s3
	s_cbranch_execnz .LBB11_33
; %bb.34:
	s_or_b32 exec_lo, exec_lo, s3
	v_mov_b32_e32 v7, 0
	ds_load_b128 v[7:10], v7 offset:80
	s_waitcnt lgkmcnt(0)
	v_mul_f64 v[11:12], v[1:2], v[9:10]
	v_mul_f64 v[51:52], v[3:4], v[9:10]
	s_delay_alu instid0(VALU_DEP_2) | instskip(NEXT) | instid1(VALU_DEP_2)
	v_fma_f64 v[9:10], v[3:4], v[7:8], -v[11:12]
	v_fma_f64 v[11:12], v[1:2], v[7:8], v[51:52]
	scratch_store_b128 off, v[9:12], off offset:80
.LBB11_35:
	s_or_b32 exec_lo, exec_lo, s2
	s_waitcnt_vscnt null, 0x0
	s_barrier
	buffer_gl0_inv
	scratch_load_b128 v[1:4], v44, off
	s_mov_b32 s2, exec_lo
	s_waitcnt vmcnt(0)
	ds_store_b128 v5, v[1:4]
	s_waitcnt lgkmcnt(0)
	s_barrier
	buffer_gl0_inv
	v_cmpx_gt_u32_e32 6, v37
	s_cbranch_execz .LBB11_39
; %bb.36:
	v_dual_mov_b32 v1, 0 :: v_dual_add_nc_u32 v8, 0xc0, v49
	v_dual_mov_b32 v2, 0 :: v_dual_add_nc_u32 v7, -1, v37
	v_or_b32_e32 v9, 8, v50
	s_mov_b32 s3, 0
	s_delay_alu instid0(VALU_DEP_2)
	v_dual_mov_b32 v4, v2 :: v_dual_mov_b32 v3, v1
	.p2align	6
.LBB11_37:                              ; =>This Inner Loop Header: Depth=1
	scratch_load_b128 v[51:54], v9, off offset:-8
	ds_load_b128 v[55:58], v8
	v_add_nc_u32_e32 v7, 1, v7
	v_add_nc_u32_e32 v8, 16, v8
	;; [unrolled: 1-line block ×3, first 2 shown]
	s_delay_alu instid0(VALU_DEP_3) | instskip(SKIP_4) | instid1(VALU_DEP_2)
	v_cmp_lt_u32_e32 vcc_lo, 4, v7
	s_or_b32 s3, vcc_lo, s3
	s_waitcnt vmcnt(0) lgkmcnt(0)
	v_mul_f64 v[10:11], v[57:58], v[53:54]
	v_mul_f64 v[53:54], v[55:56], v[53:54]
	v_fma_f64 v[10:11], v[55:56], v[51:52], -v[10:11]
	s_delay_alu instid0(VALU_DEP_2) | instskip(NEXT) | instid1(VALU_DEP_2)
	v_fma_f64 v[51:52], v[57:58], v[51:52], v[53:54]
	v_add_f64 v[3:4], v[3:4], v[10:11]
	s_delay_alu instid0(VALU_DEP_2)
	v_add_f64 v[1:2], v[1:2], v[51:52]
	s_and_not1_b32 exec_lo, exec_lo, s3
	s_cbranch_execnz .LBB11_37
; %bb.38:
	s_or_b32 exec_lo, exec_lo, s3
	v_mov_b32_e32 v7, 0
	ds_load_b128 v[7:10], v7 offset:96
	s_waitcnt lgkmcnt(0)
	v_mul_f64 v[11:12], v[1:2], v[9:10]
	v_mul_f64 v[51:52], v[3:4], v[9:10]
	s_delay_alu instid0(VALU_DEP_2) | instskip(NEXT) | instid1(VALU_DEP_2)
	v_fma_f64 v[9:10], v[3:4], v[7:8], -v[11:12]
	v_fma_f64 v[11:12], v[1:2], v[7:8], v[51:52]
	scratch_store_b128 off, v[9:12], off offset:96
.LBB11_39:
	s_or_b32 exec_lo, exec_lo, s2
	s_waitcnt_vscnt null, 0x0
	s_barrier
	buffer_gl0_inv
	scratch_load_b128 v[1:4], v43, off
	s_mov_b32 s2, exec_lo
	s_waitcnt vmcnt(0)
	ds_store_b128 v5, v[1:4]
	s_waitcnt lgkmcnt(0)
	s_barrier
	buffer_gl0_inv
	v_cmpx_gt_u32_e32 7, v37
	s_cbranch_execz .LBB11_43
; %bb.40:
	v_dual_mov_b32 v1, 0 :: v_dual_add_nc_u32 v8, 0xc0, v49
	v_dual_mov_b32 v2, 0 :: v_dual_add_nc_u32 v7, -1, v37
	v_or_b32_e32 v9, 8, v50
	s_mov_b32 s3, 0
	s_delay_alu instid0(VALU_DEP_2)
	v_dual_mov_b32 v4, v2 :: v_dual_mov_b32 v3, v1
	.p2align	6
.LBB11_41:                              ; =>This Inner Loop Header: Depth=1
	scratch_load_b128 v[51:54], v9, off offset:-8
	ds_load_b128 v[55:58], v8
	v_add_nc_u32_e32 v7, 1, v7
	v_add_nc_u32_e32 v8, 16, v8
	;; [unrolled: 1-line block ×3, first 2 shown]
	s_delay_alu instid0(VALU_DEP_3) | instskip(SKIP_4) | instid1(VALU_DEP_2)
	v_cmp_lt_u32_e32 vcc_lo, 5, v7
	s_or_b32 s3, vcc_lo, s3
	s_waitcnt vmcnt(0) lgkmcnt(0)
	v_mul_f64 v[10:11], v[57:58], v[53:54]
	v_mul_f64 v[53:54], v[55:56], v[53:54]
	v_fma_f64 v[10:11], v[55:56], v[51:52], -v[10:11]
	s_delay_alu instid0(VALU_DEP_2) | instskip(NEXT) | instid1(VALU_DEP_2)
	v_fma_f64 v[51:52], v[57:58], v[51:52], v[53:54]
	v_add_f64 v[3:4], v[3:4], v[10:11]
	s_delay_alu instid0(VALU_DEP_2)
	v_add_f64 v[1:2], v[1:2], v[51:52]
	s_and_not1_b32 exec_lo, exec_lo, s3
	s_cbranch_execnz .LBB11_41
; %bb.42:
	s_or_b32 exec_lo, exec_lo, s3
	v_mov_b32_e32 v7, 0
	ds_load_b128 v[7:10], v7 offset:112
	s_waitcnt lgkmcnt(0)
	v_mul_f64 v[11:12], v[1:2], v[9:10]
	v_mul_f64 v[51:52], v[3:4], v[9:10]
	s_delay_alu instid0(VALU_DEP_2) | instskip(NEXT) | instid1(VALU_DEP_2)
	v_fma_f64 v[9:10], v[3:4], v[7:8], -v[11:12]
	v_fma_f64 v[11:12], v[1:2], v[7:8], v[51:52]
	scratch_store_b128 off, v[9:12], off offset:112
.LBB11_43:
	s_or_b32 exec_lo, exec_lo, s2
	s_waitcnt_vscnt null, 0x0
	s_barrier
	buffer_gl0_inv
	scratch_load_b128 v[1:4], v46, off
	s_mov_b32 s2, exec_lo
	s_waitcnt vmcnt(0)
	ds_store_b128 v5, v[1:4]
	s_waitcnt lgkmcnt(0)
	s_barrier
	buffer_gl0_inv
	v_cmpx_gt_u32_e32 8, v37
	s_cbranch_execz .LBB11_47
; %bb.44:
	v_dual_mov_b32 v1, 0 :: v_dual_add_nc_u32 v8, 0xc0, v49
	v_dual_mov_b32 v2, 0 :: v_dual_add_nc_u32 v7, -1, v37
	v_or_b32_e32 v9, 8, v50
	s_mov_b32 s3, 0
	s_delay_alu instid0(VALU_DEP_2)
	v_dual_mov_b32 v4, v2 :: v_dual_mov_b32 v3, v1
	.p2align	6
.LBB11_45:                              ; =>This Inner Loop Header: Depth=1
	scratch_load_b128 v[51:54], v9, off offset:-8
	ds_load_b128 v[55:58], v8
	v_add_nc_u32_e32 v7, 1, v7
	v_add_nc_u32_e32 v8, 16, v8
	v_add_nc_u32_e32 v9, 16, v9
	s_delay_alu instid0(VALU_DEP_3) | instskip(SKIP_4) | instid1(VALU_DEP_2)
	v_cmp_lt_u32_e32 vcc_lo, 6, v7
	s_or_b32 s3, vcc_lo, s3
	s_waitcnt vmcnt(0) lgkmcnt(0)
	v_mul_f64 v[10:11], v[57:58], v[53:54]
	v_mul_f64 v[53:54], v[55:56], v[53:54]
	v_fma_f64 v[10:11], v[55:56], v[51:52], -v[10:11]
	s_delay_alu instid0(VALU_DEP_2) | instskip(NEXT) | instid1(VALU_DEP_2)
	v_fma_f64 v[51:52], v[57:58], v[51:52], v[53:54]
	v_add_f64 v[3:4], v[3:4], v[10:11]
	s_delay_alu instid0(VALU_DEP_2)
	v_add_f64 v[1:2], v[1:2], v[51:52]
	s_and_not1_b32 exec_lo, exec_lo, s3
	s_cbranch_execnz .LBB11_45
; %bb.46:
	s_or_b32 exec_lo, exec_lo, s3
	v_mov_b32_e32 v7, 0
	ds_load_b128 v[7:10], v7 offset:128
	s_waitcnt lgkmcnt(0)
	v_mul_f64 v[11:12], v[1:2], v[9:10]
	v_mul_f64 v[51:52], v[3:4], v[9:10]
	s_delay_alu instid0(VALU_DEP_2) | instskip(NEXT) | instid1(VALU_DEP_2)
	v_fma_f64 v[9:10], v[3:4], v[7:8], -v[11:12]
	v_fma_f64 v[11:12], v[1:2], v[7:8], v[51:52]
	scratch_store_b128 off, v[9:12], off offset:128
.LBB11_47:
	s_or_b32 exec_lo, exec_lo, s2
	s_waitcnt_vscnt null, 0x0
	s_barrier
	buffer_gl0_inv
	scratch_load_b128 v[1:4], v45, off
	s_mov_b32 s2, exec_lo
	s_waitcnt vmcnt(0)
	ds_store_b128 v5, v[1:4]
	s_waitcnt lgkmcnt(0)
	s_barrier
	buffer_gl0_inv
	v_cmpx_gt_u32_e32 9, v37
	s_cbranch_execz .LBB11_51
; %bb.48:
	v_dual_mov_b32 v1, 0 :: v_dual_add_nc_u32 v8, 0xc0, v49
	v_dual_mov_b32 v2, 0 :: v_dual_add_nc_u32 v7, -1, v37
	v_or_b32_e32 v9, 8, v50
	s_mov_b32 s3, 0
	s_delay_alu instid0(VALU_DEP_2)
	v_dual_mov_b32 v4, v2 :: v_dual_mov_b32 v3, v1
	.p2align	6
.LBB11_49:                              ; =>This Inner Loop Header: Depth=1
	scratch_load_b128 v[51:54], v9, off offset:-8
	ds_load_b128 v[55:58], v8
	v_add_nc_u32_e32 v7, 1, v7
	v_add_nc_u32_e32 v8, 16, v8
	;; [unrolled: 1-line block ×3, first 2 shown]
	s_delay_alu instid0(VALU_DEP_3) | instskip(SKIP_4) | instid1(VALU_DEP_2)
	v_cmp_lt_u32_e32 vcc_lo, 7, v7
	s_or_b32 s3, vcc_lo, s3
	s_waitcnt vmcnt(0) lgkmcnt(0)
	v_mul_f64 v[10:11], v[57:58], v[53:54]
	v_mul_f64 v[53:54], v[55:56], v[53:54]
	v_fma_f64 v[10:11], v[55:56], v[51:52], -v[10:11]
	s_delay_alu instid0(VALU_DEP_2) | instskip(NEXT) | instid1(VALU_DEP_2)
	v_fma_f64 v[51:52], v[57:58], v[51:52], v[53:54]
	v_add_f64 v[3:4], v[3:4], v[10:11]
	s_delay_alu instid0(VALU_DEP_2)
	v_add_f64 v[1:2], v[1:2], v[51:52]
	s_and_not1_b32 exec_lo, exec_lo, s3
	s_cbranch_execnz .LBB11_49
; %bb.50:
	s_or_b32 exec_lo, exec_lo, s3
	v_mov_b32_e32 v7, 0
	ds_load_b128 v[7:10], v7 offset:144
	s_waitcnt lgkmcnt(0)
	v_mul_f64 v[11:12], v[1:2], v[9:10]
	v_mul_f64 v[51:52], v[3:4], v[9:10]
	s_delay_alu instid0(VALU_DEP_2) | instskip(NEXT) | instid1(VALU_DEP_2)
	v_fma_f64 v[9:10], v[3:4], v[7:8], -v[11:12]
	v_fma_f64 v[11:12], v[1:2], v[7:8], v[51:52]
	scratch_store_b128 off, v[9:12], off offset:144
.LBB11_51:
	s_or_b32 exec_lo, exec_lo, s2
	s_waitcnt_vscnt null, 0x0
	s_barrier
	buffer_gl0_inv
	scratch_load_b128 v[1:4], v48, off
	s_mov_b32 s2, exec_lo
	s_waitcnt vmcnt(0)
	ds_store_b128 v5, v[1:4]
	s_waitcnt lgkmcnt(0)
	s_barrier
	buffer_gl0_inv
	v_cmpx_gt_u32_e32 10, v37
	s_cbranch_execz .LBB11_55
; %bb.52:
	v_dual_mov_b32 v1, 0 :: v_dual_add_nc_u32 v8, 0xc0, v49
	v_dual_mov_b32 v2, 0 :: v_dual_add_nc_u32 v7, -1, v37
	v_or_b32_e32 v9, 8, v50
	s_mov_b32 s3, 0
	s_delay_alu instid0(VALU_DEP_2)
	v_dual_mov_b32 v4, v2 :: v_dual_mov_b32 v3, v1
	.p2align	6
.LBB11_53:                              ; =>This Inner Loop Header: Depth=1
	scratch_load_b128 v[51:54], v9, off offset:-8
	ds_load_b128 v[55:58], v8
	v_add_nc_u32_e32 v7, 1, v7
	v_add_nc_u32_e32 v8, 16, v8
	;; [unrolled: 1-line block ×3, first 2 shown]
	s_delay_alu instid0(VALU_DEP_3) | instskip(SKIP_4) | instid1(VALU_DEP_2)
	v_cmp_lt_u32_e32 vcc_lo, 8, v7
	s_or_b32 s3, vcc_lo, s3
	s_waitcnt vmcnt(0) lgkmcnt(0)
	v_mul_f64 v[10:11], v[57:58], v[53:54]
	v_mul_f64 v[53:54], v[55:56], v[53:54]
	v_fma_f64 v[10:11], v[55:56], v[51:52], -v[10:11]
	s_delay_alu instid0(VALU_DEP_2) | instskip(NEXT) | instid1(VALU_DEP_2)
	v_fma_f64 v[51:52], v[57:58], v[51:52], v[53:54]
	v_add_f64 v[3:4], v[3:4], v[10:11]
	s_delay_alu instid0(VALU_DEP_2)
	v_add_f64 v[1:2], v[1:2], v[51:52]
	s_and_not1_b32 exec_lo, exec_lo, s3
	s_cbranch_execnz .LBB11_53
; %bb.54:
	s_or_b32 exec_lo, exec_lo, s3
	v_mov_b32_e32 v7, 0
	ds_load_b128 v[7:10], v7 offset:160
	s_waitcnt lgkmcnt(0)
	v_mul_f64 v[11:12], v[1:2], v[9:10]
	v_mul_f64 v[51:52], v[3:4], v[9:10]
	s_delay_alu instid0(VALU_DEP_2) | instskip(NEXT) | instid1(VALU_DEP_2)
	v_fma_f64 v[9:10], v[3:4], v[7:8], -v[11:12]
	v_fma_f64 v[11:12], v[1:2], v[7:8], v[51:52]
	scratch_store_b128 off, v[9:12], off offset:160
.LBB11_55:
	s_or_b32 exec_lo, exec_lo, s2
	s_waitcnt_vscnt null, 0x0
	s_barrier
	buffer_gl0_inv
	scratch_load_b128 v[1:4], v47, off
	s_mov_b32 s2, exec_lo
	s_waitcnt vmcnt(0)
	ds_store_b128 v5, v[1:4]
	s_waitcnt lgkmcnt(0)
	s_barrier
	buffer_gl0_inv
	v_cmpx_ne_u32_e32 11, v37
	s_cbranch_execz .LBB11_59
; %bb.56:
	v_mov_b32_e32 v1, 0
	v_mov_b32_e32 v2, 0
	v_or_b32_e32 v7, 8, v50
	s_mov_b32 s3, 0
	s_delay_alu instid0(VALU_DEP_2)
	v_dual_mov_b32 v4, v2 :: v_dual_mov_b32 v3, v1
	.p2align	6
.LBB11_57:                              ; =>This Inner Loop Header: Depth=1
	scratch_load_b128 v[8:11], v7, off offset:-8
	ds_load_b128 v[49:52], v5
	v_add_nc_u32_e32 v6, 1, v6
	v_add_nc_u32_e32 v5, 16, v5
	;; [unrolled: 1-line block ×3, first 2 shown]
	s_delay_alu instid0(VALU_DEP_3) | instskip(SKIP_4) | instid1(VALU_DEP_2)
	v_cmp_lt_u32_e32 vcc_lo, 9, v6
	s_or_b32 s3, vcc_lo, s3
	s_waitcnt vmcnt(0) lgkmcnt(0)
	v_mul_f64 v[53:54], v[51:52], v[10:11]
	v_mul_f64 v[10:11], v[49:50], v[10:11]
	v_fma_f64 v[49:50], v[49:50], v[8:9], -v[53:54]
	s_delay_alu instid0(VALU_DEP_2) | instskip(NEXT) | instid1(VALU_DEP_2)
	v_fma_f64 v[8:9], v[51:52], v[8:9], v[10:11]
	v_add_f64 v[3:4], v[3:4], v[49:50]
	s_delay_alu instid0(VALU_DEP_2)
	v_add_f64 v[1:2], v[1:2], v[8:9]
	s_and_not1_b32 exec_lo, exec_lo, s3
	s_cbranch_execnz .LBB11_57
; %bb.58:
	s_or_b32 exec_lo, exec_lo, s3
	v_mov_b32_e32 v5, 0
	ds_load_b128 v[5:8], v5 offset:176
	s_waitcnt lgkmcnt(0)
	v_mul_f64 v[9:10], v[1:2], v[7:8]
	v_mul_f64 v[7:8], v[3:4], v[7:8]
	s_delay_alu instid0(VALU_DEP_2) | instskip(NEXT) | instid1(VALU_DEP_2)
	v_fma_f64 v[3:4], v[3:4], v[5:6], -v[9:10]
	v_fma_f64 v[5:6], v[1:2], v[5:6], v[7:8]
	scratch_store_b128 off, v[3:6], off offset:176
.LBB11_59:
	s_or_b32 exec_lo, exec_lo, s2
	s_mov_b32 s3, -1
	s_waitcnt_vscnt null, 0x0
	s_barrier
	buffer_gl0_inv
.LBB11_60:
	s_and_b32 vcc_lo, exec_lo, s3
	s_cbranch_vccz .LBB11_62
; %bb.61:
	s_lshl_b64 s[2:3], s[18:19], 2
	v_mov_b32_e32 v1, 0
	s_add_u32 s2, s6, s2
	s_addc_u32 s3, s7, s3
	global_load_b32 v1, v1, s[2:3]
	s_waitcnt vmcnt(0)
	v_cmp_ne_u32_e32 vcc_lo, 0, v1
	s_cbranch_vccz .LBB11_63
.LBB11_62:
	s_endpgm
.LBB11_63:
	v_lshl_add_u32 v5, v37, 4, 0xc0
	s_mov_b32 s2, exec_lo
	v_cmpx_eq_u32_e32 11, v37
	s_cbranch_execz .LBB11_65
; %bb.64:
	scratch_load_b128 v[1:4], v48, off
	v_mov_b32_e32 v6, 0
	s_delay_alu instid0(VALU_DEP_1)
	v_mov_b32_e32 v7, v6
	v_mov_b32_e32 v8, v6
	;; [unrolled: 1-line block ×3, first 2 shown]
	scratch_store_b128 off, v[6:9], off offset:160
	s_waitcnt vmcnt(0)
	ds_store_b128 v5, v[1:4]
.LBB11_65:
	s_or_b32 exec_lo, exec_lo, s2
	s_waitcnt lgkmcnt(0)
	s_waitcnt_vscnt null, 0x0
	s_barrier
	buffer_gl0_inv
	s_clause 0x1
	scratch_load_b128 v[6:9], off, off offset:176
	scratch_load_b128 v[49:52], off, off offset:160
	v_mov_b32_e32 v1, 0
	s_mov_b32 s2, exec_lo
	ds_load_b128 v[53:56], v1 offset:368
	s_waitcnt vmcnt(1) lgkmcnt(0)
	v_mul_f64 v[2:3], v[55:56], v[8:9]
	v_mul_f64 v[8:9], v[53:54], v[8:9]
	s_delay_alu instid0(VALU_DEP_2) | instskip(NEXT) | instid1(VALU_DEP_2)
	v_fma_f64 v[2:3], v[53:54], v[6:7], -v[2:3]
	v_fma_f64 v[6:7], v[55:56], v[6:7], v[8:9]
	s_delay_alu instid0(VALU_DEP_2) | instskip(NEXT) | instid1(VALU_DEP_2)
	v_add_f64 v[2:3], v[2:3], 0
	v_add_f64 v[8:9], v[6:7], 0
	s_waitcnt vmcnt(0)
	s_delay_alu instid0(VALU_DEP_2) | instskip(NEXT) | instid1(VALU_DEP_2)
	v_add_f64 v[6:7], v[49:50], -v[2:3]
	v_add_f64 v[8:9], v[51:52], -v[8:9]
	scratch_store_b128 off, v[6:9], off offset:160
	v_cmpx_lt_u32_e32 9, v37
	s_cbranch_execz .LBB11_67
; %bb.66:
	scratch_load_b128 v[6:9], v45, off
	v_mov_b32_e32 v2, v1
	v_mov_b32_e32 v3, v1
	;; [unrolled: 1-line block ×3, first 2 shown]
	scratch_store_b128 off, v[1:4], off offset:144
	s_waitcnt vmcnt(0)
	ds_store_b128 v5, v[6:9]
.LBB11_67:
	s_or_b32 exec_lo, exec_lo, s2
	s_waitcnt lgkmcnt(0)
	s_waitcnt_vscnt null, 0x0
	s_barrier
	buffer_gl0_inv
	s_clause 0x2
	scratch_load_b128 v[6:9], off, off offset:160
	scratch_load_b128 v[49:52], off, off offset:176
	;; [unrolled: 1-line block ×3, first 2 shown]
	ds_load_b128 v[57:60], v1 offset:352
	ds_load_b128 v[1:4], v1 offset:368
	s_mov_b32 s2, exec_lo
	s_waitcnt vmcnt(2) lgkmcnt(1)
	v_mul_f64 v[10:11], v[59:60], v[8:9]
	v_mul_f64 v[8:9], v[57:58], v[8:9]
	s_waitcnt vmcnt(1) lgkmcnt(0)
	v_mul_f64 v[61:62], v[1:2], v[51:52]
	v_mul_f64 v[51:52], v[3:4], v[51:52]
	s_delay_alu instid0(VALU_DEP_4) | instskip(NEXT) | instid1(VALU_DEP_4)
	v_fma_f64 v[10:11], v[57:58], v[6:7], -v[10:11]
	v_fma_f64 v[6:7], v[59:60], v[6:7], v[8:9]
	s_delay_alu instid0(VALU_DEP_4) | instskip(NEXT) | instid1(VALU_DEP_4)
	v_fma_f64 v[3:4], v[3:4], v[49:50], v[61:62]
	v_fma_f64 v[1:2], v[1:2], v[49:50], -v[51:52]
	s_delay_alu instid0(VALU_DEP_4) | instskip(NEXT) | instid1(VALU_DEP_4)
	v_add_f64 v[8:9], v[10:11], 0
	v_add_f64 v[6:7], v[6:7], 0
	s_delay_alu instid0(VALU_DEP_2) | instskip(NEXT) | instid1(VALU_DEP_2)
	v_add_f64 v[1:2], v[8:9], v[1:2]
	v_add_f64 v[3:4], v[6:7], v[3:4]
	s_waitcnt vmcnt(0)
	s_delay_alu instid0(VALU_DEP_2) | instskip(NEXT) | instid1(VALU_DEP_2)
	v_add_f64 v[1:2], v[53:54], -v[1:2]
	v_add_f64 v[3:4], v[55:56], -v[3:4]
	scratch_store_b128 off, v[1:4], off offset:144
	v_cmpx_lt_u32_e32 8, v37
	s_cbranch_execz .LBB11_69
; %bb.68:
	scratch_load_b128 v[1:4], v46, off
	v_mov_b32_e32 v6, 0
	s_delay_alu instid0(VALU_DEP_1)
	v_mov_b32_e32 v7, v6
	v_mov_b32_e32 v8, v6
	;; [unrolled: 1-line block ×3, first 2 shown]
	scratch_store_b128 off, v[6:9], off offset:128
	s_waitcnt vmcnt(0)
	ds_store_b128 v5, v[1:4]
.LBB11_69:
	s_or_b32 exec_lo, exec_lo, s2
	s_waitcnt lgkmcnt(0)
	s_waitcnt_vscnt null, 0x0
	s_barrier
	buffer_gl0_inv
	s_clause 0x3
	scratch_load_b128 v[6:9], off, off offset:144
	scratch_load_b128 v[49:52], off, off offset:160
	;; [unrolled: 1-line block ×4, first 2 shown]
	v_mov_b32_e32 v1, 0
	ds_load_b128 v[61:64], v1 offset:336
	ds_load_b128 v[65:68], v1 offset:352
	s_mov_b32 s2, exec_lo
	s_waitcnt vmcnt(3) lgkmcnt(1)
	v_mul_f64 v[2:3], v[63:64], v[8:9]
	v_mul_f64 v[8:9], v[61:62], v[8:9]
	s_waitcnt vmcnt(2) lgkmcnt(0)
	v_mul_f64 v[10:11], v[65:66], v[51:52]
	v_mul_f64 v[51:52], v[67:68], v[51:52]
	s_delay_alu instid0(VALU_DEP_4) | instskip(NEXT) | instid1(VALU_DEP_4)
	v_fma_f64 v[2:3], v[61:62], v[6:7], -v[2:3]
	v_fma_f64 v[61:62], v[63:64], v[6:7], v[8:9]
	ds_load_b128 v[6:9], v1 offset:368
	v_fma_f64 v[10:11], v[67:68], v[49:50], v[10:11]
	v_fma_f64 v[49:50], v[65:66], v[49:50], -v[51:52]
	s_waitcnt vmcnt(1) lgkmcnt(0)
	v_mul_f64 v[63:64], v[6:7], v[55:56]
	v_mul_f64 v[55:56], v[8:9], v[55:56]
	v_add_f64 v[2:3], v[2:3], 0
	v_add_f64 v[51:52], v[61:62], 0
	s_delay_alu instid0(VALU_DEP_4) | instskip(NEXT) | instid1(VALU_DEP_4)
	v_fma_f64 v[8:9], v[8:9], v[53:54], v[63:64]
	v_fma_f64 v[6:7], v[6:7], v[53:54], -v[55:56]
	s_delay_alu instid0(VALU_DEP_4) | instskip(NEXT) | instid1(VALU_DEP_4)
	v_add_f64 v[2:3], v[2:3], v[49:50]
	v_add_f64 v[10:11], v[51:52], v[10:11]
	s_delay_alu instid0(VALU_DEP_2) | instskip(NEXT) | instid1(VALU_DEP_2)
	v_add_f64 v[2:3], v[2:3], v[6:7]
	v_add_f64 v[8:9], v[10:11], v[8:9]
	s_waitcnt vmcnt(0)
	s_delay_alu instid0(VALU_DEP_2) | instskip(NEXT) | instid1(VALU_DEP_2)
	v_add_f64 v[6:7], v[57:58], -v[2:3]
	v_add_f64 v[8:9], v[59:60], -v[8:9]
	scratch_store_b128 off, v[6:9], off offset:128
	v_cmpx_lt_u32_e32 7, v37
	s_cbranch_execz .LBB11_71
; %bb.70:
	scratch_load_b128 v[6:9], v43, off
	v_mov_b32_e32 v2, v1
	v_mov_b32_e32 v3, v1
	;; [unrolled: 1-line block ×3, first 2 shown]
	scratch_store_b128 off, v[1:4], off offset:112
	s_waitcnt vmcnt(0)
	ds_store_b128 v5, v[6:9]
.LBB11_71:
	s_or_b32 exec_lo, exec_lo, s2
	s_waitcnt lgkmcnt(0)
	s_waitcnt_vscnt null, 0x0
	s_barrier
	buffer_gl0_inv
	s_clause 0x4
	scratch_load_b128 v[6:9], off, off offset:128
	scratch_load_b128 v[49:52], off, off offset:144
	;; [unrolled: 1-line block ×5, first 2 shown]
	ds_load_b128 v[65:68], v1 offset:320
	ds_load_b128 v[69:72], v1 offset:336
	s_mov_b32 s2, exec_lo
	s_waitcnt vmcnt(4) lgkmcnt(1)
	v_mul_f64 v[2:3], v[67:68], v[8:9]
	v_mul_f64 v[8:9], v[65:66], v[8:9]
	s_waitcnt vmcnt(3) lgkmcnt(0)
	v_mul_f64 v[10:11], v[69:70], v[51:52]
	v_mul_f64 v[51:52], v[71:72], v[51:52]
	s_delay_alu instid0(VALU_DEP_4) | instskip(NEXT) | instid1(VALU_DEP_4)
	v_fma_f64 v[65:66], v[65:66], v[6:7], -v[2:3]
	v_fma_f64 v[67:68], v[67:68], v[6:7], v[8:9]
	ds_load_b128 v[6:9], v1 offset:352
	ds_load_b128 v[1:4], v1 offset:368
	v_fma_f64 v[10:11], v[71:72], v[49:50], v[10:11]
	v_fma_f64 v[49:50], v[69:70], v[49:50], -v[51:52]
	s_waitcnt vmcnt(2) lgkmcnt(1)
	v_mul_f64 v[73:74], v[6:7], v[55:56]
	v_mul_f64 v[55:56], v[8:9], v[55:56]
	v_add_f64 v[51:52], v[65:66], 0
	v_add_f64 v[65:66], v[67:68], 0
	s_waitcnt vmcnt(1) lgkmcnt(0)
	v_mul_f64 v[67:68], v[1:2], v[59:60]
	v_mul_f64 v[59:60], v[3:4], v[59:60]
	v_fma_f64 v[8:9], v[8:9], v[53:54], v[73:74]
	v_fma_f64 v[6:7], v[6:7], v[53:54], -v[55:56]
	v_add_f64 v[49:50], v[51:52], v[49:50]
	v_add_f64 v[10:11], v[65:66], v[10:11]
	v_fma_f64 v[3:4], v[3:4], v[57:58], v[67:68]
	v_fma_f64 v[1:2], v[1:2], v[57:58], -v[59:60]
	s_delay_alu instid0(VALU_DEP_4) | instskip(NEXT) | instid1(VALU_DEP_4)
	v_add_f64 v[6:7], v[49:50], v[6:7]
	v_add_f64 v[8:9], v[10:11], v[8:9]
	s_delay_alu instid0(VALU_DEP_2) | instskip(NEXT) | instid1(VALU_DEP_2)
	v_add_f64 v[1:2], v[6:7], v[1:2]
	v_add_f64 v[3:4], v[8:9], v[3:4]
	s_waitcnt vmcnt(0)
	s_delay_alu instid0(VALU_DEP_2) | instskip(NEXT) | instid1(VALU_DEP_2)
	v_add_f64 v[1:2], v[61:62], -v[1:2]
	v_add_f64 v[3:4], v[63:64], -v[3:4]
	scratch_store_b128 off, v[1:4], off offset:112
	v_cmpx_lt_u32_e32 6, v37
	s_cbranch_execz .LBB11_73
; %bb.72:
	scratch_load_b128 v[1:4], v44, off
	v_mov_b32_e32 v6, 0
	s_delay_alu instid0(VALU_DEP_1)
	v_mov_b32_e32 v7, v6
	v_mov_b32_e32 v8, v6
	v_mov_b32_e32 v9, v6
	scratch_store_b128 off, v[6:9], off offset:96
	s_waitcnt vmcnt(0)
	ds_store_b128 v5, v[1:4]
.LBB11_73:
	s_or_b32 exec_lo, exec_lo, s2
	s_waitcnt lgkmcnt(0)
	s_waitcnt_vscnt null, 0x0
	s_barrier
	buffer_gl0_inv
	s_clause 0x5
	scratch_load_b128 v[6:9], off, off offset:112
	scratch_load_b128 v[49:52], off, off offset:128
	;; [unrolled: 1-line block ×6, first 2 shown]
	v_mov_b32_e32 v1, 0
	ds_load_b128 v[69:72], v1 offset:304
	ds_load_b128 v[73:76], v1 offset:320
	s_mov_b32 s2, exec_lo
	s_waitcnt vmcnt(5) lgkmcnt(1)
	v_mul_f64 v[2:3], v[71:72], v[8:9]
	v_mul_f64 v[8:9], v[69:70], v[8:9]
	s_waitcnt vmcnt(4) lgkmcnt(0)
	v_mul_f64 v[10:11], v[73:74], v[51:52]
	v_mul_f64 v[51:52], v[75:76], v[51:52]
	s_delay_alu instid0(VALU_DEP_4) | instskip(NEXT) | instid1(VALU_DEP_4)
	v_fma_f64 v[2:3], v[69:70], v[6:7], -v[2:3]
	v_fma_f64 v[77:78], v[71:72], v[6:7], v[8:9]
	ds_load_b128 v[6:9], v1 offset:336
	ds_load_b128 v[69:72], v1 offset:352
	v_fma_f64 v[10:11], v[75:76], v[49:50], v[10:11]
	v_fma_f64 v[49:50], v[73:74], v[49:50], -v[51:52]
	s_waitcnt vmcnt(3) lgkmcnt(1)
	v_mul_f64 v[79:80], v[6:7], v[55:56]
	v_mul_f64 v[55:56], v[8:9], v[55:56]
	s_waitcnt vmcnt(2) lgkmcnt(0)
	v_mul_f64 v[73:74], v[69:70], v[59:60]
	v_mul_f64 v[59:60], v[71:72], v[59:60]
	v_add_f64 v[2:3], v[2:3], 0
	v_add_f64 v[51:52], v[77:78], 0
	v_fma_f64 v[75:76], v[8:9], v[53:54], v[79:80]
	v_fma_f64 v[53:54], v[6:7], v[53:54], -v[55:56]
	ds_load_b128 v[6:9], v1 offset:368
	v_fma_f64 v[55:56], v[71:72], v[57:58], v[73:74]
	v_fma_f64 v[57:58], v[69:70], v[57:58], -v[59:60]
	v_add_f64 v[2:3], v[2:3], v[49:50]
	v_add_f64 v[10:11], v[51:52], v[10:11]
	s_waitcnt vmcnt(1) lgkmcnt(0)
	v_mul_f64 v[49:50], v[6:7], v[63:64]
	v_mul_f64 v[51:52], v[8:9], v[63:64]
	s_delay_alu instid0(VALU_DEP_4) | instskip(NEXT) | instid1(VALU_DEP_4)
	v_add_f64 v[2:3], v[2:3], v[53:54]
	v_add_f64 v[10:11], v[10:11], v[75:76]
	s_delay_alu instid0(VALU_DEP_4) | instskip(NEXT) | instid1(VALU_DEP_4)
	v_fma_f64 v[8:9], v[8:9], v[61:62], v[49:50]
	v_fma_f64 v[6:7], v[6:7], v[61:62], -v[51:52]
	s_delay_alu instid0(VALU_DEP_4) | instskip(NEXT) | instid1(VALU_DEP_4)
	v_add_f64 v[2:3], v[2:3], v[57:58]
	v_add_f64 v[10:11], v[10:11], v[55:56]
	s_delay_alu instid0(VALU_DEP_2) | instskip(NEXT) | instid1(VALU_DEP_2)
	v_add_f64 v[2:3], v[2:3], v[6:7]
	v_add_f64 v[8:9], v[10:11], v[8:9]
	s_waitcnt vmcnt(0)
	s_delay_alu instid0(VALU_DEP_2) | instskip(NEXT) | instid1(VALU_DEP_2)
	v_add_f64 v[6:7], v[65:66], -v[2:3]
	v_add_f64 v[8:9], v[67:68], -v[8:9]
	scratch_store_b128 off, v[6:9], off offset:96
	v_cmpx_lt_u32_e32 5, v37
	s_cbranch_execz .LBB11_75
; %bb.74:
	scratch_load_b128 v[6:9], v40, off
	v_mov_b32_e32 v2, v1
	v_mov_b32_e32 v3, v1
	;; [unrolled: 1-line block ×3, first 2 shown]
	scratch_store_b128 off, v[1:4], off offset:80
	s_waitcnt vmcnt(0)
	ds_store_b128 v5, v[6:9]
.LBB11_75:
	s_or_b32 exec_lo, exec_lo, s2
	s_waitcnt lgkmcnt(0)
	s_waitcnt_vscnt null, 0x0
	s_barrier
	buffer_gl0_inv
	s_clause 0x5
	scratch_load_b128 v[6:9], off, off offset:96
	scratch_load_b128 v[49:52], off, off offset:112
	;; [unrolled: 1-line block ×6, first 2 shown]
	ds_load_b128 v[69:72], v1 offset:288
	ds_load_b128 v[77:80], v1 offset:304
	scratch_load_b128 v[73:76], off, off offset:80
	s_mov_b32 s2, exec_lo
	s_waitcnt vmcnt(6) lgkmcnt(1)
	v_mul_f64 v[2:3], v[71:72], v[8:9]
	v_mul_f64 v[8:9], v[69:70], v[8:9]
	s_waitcnt vmcnt(5) lgkmcnt(0)
	v_mul_f64 v[10:11], v[77:78], v[51:52]
	v_mul_f64 v[51:52], v[79:80], v[51:52]
	s_delay_alu instid0(VALU_DEP_4) | instskip(NEXT) | instid1(VALU_DEP_4)
	v_fma_f64 v[2:3], v[69:70], v[6:7], -v[2:3]
	v_fma_f64 v[81:82], v[71:72], v[6:7], v[8:9]
	ds_load_b128 v[6:9], v1 offset:320
	ds_load_b128 v[69:72], v1 offset:336
	v_fma_f64 v[10:11], v[79:80], v[49:50], v[10:11]
	v_fma_f64 v[49:50], v[77:78], v[49:50], -v[51:52]
	s_waitcnt vmcnt(4) lgkmcnt(1)
	v_mul_f64 v[83:84], v[6:7], v[55:56]
	v_mul_f64 v[55:56], v[8:9], v[55:56]
	s_waitcnt vmcnt(3) lgkmcnt(0)
	v_mul_f64 v[77:78], v[69:70], v[59:60]
	v_mul_f64 v[59:60], v[71:72], v[59:60]
	v_add_f64 v[2:3], v[2:3], 0
	v_add_f64 v[51:52], v[81:82], 0
	v_fma_f64 v[79:80], v[8:9], v[53:54], v[83:84]
	v_fma_f64 v[53:54], v[6:7], v[53:54], -v[55:56]
	s_delay_alu instid0(VALU_DEP_4) | instskip(NEXT) | instid1(VALU_DEP_4)
	v_add_f64 v[49:50], v[2:3], v[49:50]
	v_add_f64 v[10:11], v[51:52], v[10:11]
	ds_load_b128 v[6:9], v1 offset:352
	ds_load_b128 v[1:4], v1 offset:368
	s_waitcnt vmcnt(2) lgkmcnt(1)
	v_mul_f64 v[51:52], v[6:7], v[63:64]
	v_mul_f64 v[55:56], v[8:9], v[63:64]
	v_fma_f64 v[63:64], v[71:72], v[57:58], v[77:78]
	v_fma_f64 v[57:58], v[69:70], v[57:58], -v[59:60]
	s_waitcnt vmcnt(1) lgkmcnt(0)
	v_mul_f64 v[59:60], v[3:4], v[67:68]
	v_add_f64 v[49:50], v[49:50], v[53:54]
	v_add_f64 v[10:11], v[10:11], v[79:80]
	v_mul_f64 v[53:54], v[1:2], v[67:68]
	v_fma_f64 v[8:9], v[8:9], v[61:62], v[51:52]
	v_fma_f64 v[6:7], v[6:7], v[61:62], -v[55:56]
	v_fma_f64 v[1:2], v[1:2], v[65:66], -v[59:60]
	v_add_f64 v[49:50], v[49:50], v[57:58]
	v_add_f64 v[10:11], v[10:11], v[63:64]
	v_fma_f64 v[3:4], v[3:4], v[65:66], v[53:54]
	s_delay_alu instid0(VALU_DEP_3) | instskip(NEXT) | instid1(VALU_DEP_3)
	v_add_f64 v[6:7], v[49:50], v[6:7]
	v_add_f64 v[8:9], v[10:11], v[8:9]
	s_delay_alu instid0(VALU_DEP_2) | instskip(NEXT) | instid1(VALU_DEP_2)
	v_add_f64 v[1:2], v[6:7], v[1:2]
	v_add_f64 v[3:4], v[8:9], v[3:4]
	s_waitcnt vmcnt(0)
	s_delay_alu instid0(VALU_DEP_2) | instskip(NEXT) | instid1(VALU_DEP_2)
	v_add_f64 v[1:2], v[73:74], -v[1:2]
	v_add_f64 v[3:4], v[75:76], -v[3:4]
	scratch_store_b128 off, v[1:4], off offset:80
	v_cmpx_lt_u32_e32 4, v37
	s_cbranch_execz .LBB11_77
; %bb.76:
	scratch_load_b128 v[1:4], v42, off
	v_mov_b32_e32 v6, 0
	s_delay_alu instid0(VALU_DEP_1)
	v_mov_b32_e32 v7, v6
	v_mov_b32_e32 v8, v6
	v_mov_b32_e32 v9, v6
	scratch_store_b128 off, v[6:9], off offset:64
	s_waitcnt vmcnt(0)
	ds_store_b128 v5, v[1:4]
.LBB11_77:
	s_or_b32 exec_lo, exec_lo, s2
	s_waitcnt lgkmcnt(0)
	s_waitcnt_vscnt null, 0x0
	s_barrier
	buffer_gl0_inv
	s_clause 0x6
	scratch_load_b128 v[6:9], off, off offset:80
	scratch_load_b128 v[49:52], off, off offset:96
	;; [unrolled: 1-line block ×7, first 2 shown]
	v_mov_b32_e32 v1, 0
	scratch_load_b128 v[77:80], off, off offset:64
	s_mov_b32 s2, exec_lo
	ds_load_b128 v[73:76], v1 offset:272
	ds_load_b128 v[81:84], v1 offset:288
	s_waitcnt vmcnt(7) lgkmcnt(1)
	v_mul_f64 v[2:3], v[75:76], v[8:9]
	v_mul_f64 v[8:9], v[73:74], v[8:9]
	s_waitcnt vmcnt(6) lgkmcnt(0)
	v_mul_f64 v[10:11], v[81:82], v[51:52]
	v_mul_f64 v[51:52], v[83:84], v[51:52]
	s_delay_alu instid0(VALU_DEP_4) | instskip(NEXT) | instid1(VALU_DEP_4)
	v_fma_f64 v[2:3], v[73:74], v[6:7], -v[2:3]
	v_fma_f64 v[85:86], v[75:76], v[6:7], v[8:9]
	ds_load_b128 v[6:9], v1 offset:304
	ds_load_b128 v[73:76], v1 offset:320
	v_fma_f64 v[10:11], v[83:84], v[49:50], v[10:11]
	v_fma_f64 v[49:50], v[81:82], v[49:50], -v[51:52]
	s_waitcnt vmcnt(5) lgkmcnt(1)
	v_mul_f64 v[87:88], v[6:7], v[55:56]
	v_mul_f64 v[55:56], v[8:9], v[55:56]
	s_waitcnt vmcnt(4) lgkmcnt(0)
	v_mul_f64 v[81:82], v[73:74], v[59:60]
	v_mul_f64 v[59:60], v[75:76], v[59:60]
	v_add_f64 v[2:3], v[2:3], 0
	v_add_f64 v[51:52], v[85:86], 0
	v_fma_f64 v[83:84], v[8:9], v[53:54], v[87:88]
	v_fma_f64 v[53:54], v[6:7], v[53:54], -v[55:56]
	v_fma_f64 v[75:76], v[75:76], v[57:58], v[81:82]
	v_fma_f64 v[57:58], v[73:74], v[57:58], -v[59:60]
	v_add_f64 v[2:3], v[2:3], v[49:50]
	v_add_f64 v[10:11], v[51:52], v[10:11]
	ds_load_b128 v[6:9], v1 offset:336
	ds_load_b128 v[49:52], v1 offset:352
	s_waitcnt vmcnt(3) lgkmcnt(1)
	v_mul_f64 v[55:56], v[6:7], v[63:64]
	v_mul_f64 v[63:64], v[8:9], v[63:64]
	s_waitcnt vmcnt(2) lgkmcnt(0)
	v_mul_f64 v[59:60], v[51:52], v[67:68]
	v_add_f64 v[2:3], v[2:3], v[53:54]
	v_add_f64 v[10:11], v[10:11], v[83:84]
	v_mul_f64 v[53:54], v[49:50], v[67:68]
	v_fma_f64 v[55:56], v[8:9], v[61:62], v[55:56]
	v_fma_f64 v[61:62], v[6:7], v[61:62], -v[63:64]
	ds_load_b128 v[6:9], v1 offset:368
	v_fma_f64 v[49:50], v[49:50], v[65:66], -v[59:60]
	v_add_f64 v[2:3], v[2:3], v[57:58]
	v_add_f64 v[10:11], v[10:11], v[75:76]
	v_fma_f64 v[51:52], v[51:52], v[65:66], v[53:54]
	s_waitcnt vmcnt(1) lgkmcnt(0)
	v_mul_f64 v[57:58], v[6:7], v[71:72]
	v_mul_f64 v[63:64], v[8:9], v[71:72]
	v_add_f64 v[2:3], v[2:3], v[61:62]
	v_add_f64 v[10:11], v[10:11], v[55:56]
	s_delay_alu instid0(VALU_DEP_4) | instskip(NEXT) | instid1(VALU_DEP_4)
	v_fma_f64 v[8:9], v[8:9], v[69:70], v[57:58]
	v_fma_f64 v[6:7], v[6:7], v[69:70], -v[63:64]
	s_delay_alu instid0(VALU_DEP_4) | instskip(NEXT) | instid1(VALU_DEP_4)
	v_add_f64 v[2:3], v[2:3], v[49:50]
	v_add_f64 v[10:11], v[10:11], v[51:52]
	s_delay_alu instid0(VALU_DEP_2) | instskip(NEXT) | instid1(VALU_DEP_2)
	v_add_f64 v[2:3], v[2:3], v[6:7]
	v_add_f64 v[8:9], v[10:11], v[8:9]
	s_waitcnt vmcnt(0)
	s_delay_alu instid0(VALU_DEP_2) | instskip(NEXT) | instid1(VALU_DEP_2)
	v_add_f64 v[6:7], v[77:78], -v[2:3]
	v_add_f64 v[8:9], v[79:80], -v[8:9]
	scratch_store_b128 off, v[6:9], off offset:64
	v_cmpx_lt_u32_e32 3, v37
	s_cbranch_execz .LBB11_79
; %bb.78:
	scratch_load_b128 v[6:9], v38, off
	v_mov_b32_e32 v2, v1
	v_mov_b32_e32 v3, v1
	;; [unrolled: 1-line block ×3, first 2 shown]
	scratch_store_b128 off, v[1:4], off offset:48
	s_waitcnt vmcnt(0)
	ds_store_b128 v5, v[6:9]
.LBB11_79:
	s_or_b32 exec_lo, exec_lo, s2
	s_waitcnt lgkmcnt(0)
	s_waitcnt_vscnt null, 0x0
	s_barrier
	buffer_gl0_inv
	s_clause 0x7
	scratch_load_b128 v[6:9], off, off offset:64
	scratch_load_b128 v[49:52], off, off offset:80
	;; [unrolled: 1-line block ×8, first 2 shown]
	ds_load_b128 v[77:80], v1 offset:256
	ds_load_b128 v[81:84], v1 offset:272
	scratch_load_b128 v[85:88], off, off offset:48
	s_mov_b32 s2, exec_lo
	s_waitcnt vmcnt(8) lgkmcnt(1)
	v_mul_f64 v[2:3], v[79:80], v[8:9]
	v_mul_f64 v[8:9], v[77:78], v[8:9]
	s_waitcnt vmcnt(7) lgkmcnt(0)
	v_mul_f64 v[10:11], v[81:82], v[51:52]
	v_mul_f64 v[51:52], v[83:84], v[51:52]
	s_delay_alu instid0(VALU_DEP_4) | instskip(NEXT) | instid1(VALU_DEP_4)
	v_fma_f64 v[2:3], v[77:78], v[6:7], -v[2:3]
	v_fma_f64 v[89:90], v[79:80], v[6:7], v[8:9]
	ds_load_b128 v[6:9], v1 offset:288
	ds_load_b128 v[77:80], v1 offset:304
	v_fma_f64 v[10:11], v[83:84], v[49:50], v[10:11]
	v_fma_f64 v[49:50], v[81:82], v[49:50], -v[51:52]
	s_waitcnt vmcnt(6) lgkmcnt(1)
	v_mul_f64 v[91:92], v[6:7], v[55:56]
	v_mul_f64 v[55:56], v[8:9], v[55:56]
	s_waitcnt vmcnt(5) lgkmcnt(0)
	v_mul_f64 v[81:82], v[77:78], v[59:60]
	v_mul_f64 v[59:60], v[79:80], v[59:60]
	v_add_f64 v[2:3], v[2:3], 0
	v_add_f64 v[51:52], v[89:90], 0
	v_fma_f64 v[83:84], v[8:9], v[53:54], v[91:92]
	v_fma_f64 v[53:54], v[6:7], v[53:54], -v[55:56]
	v_fma_f64 v[79:80], v[79:80], v[57:58], v[81:82]
	v_fma_f64 v[57:58], v[77:78], v[57:58], -v[59:60]
	v_add_f64 v[2:3], v[2:3], v[49:50]
	v_add_f64 v[10:11], v[51:52], v[10:11]
	ds_load_b128 v[6:9], v1 offset:320
	ds_load_b128 v[49:52], v1 offset:336
	s_waitcnt vmcnt(4) lgkmcnt(1)
	v_mul_f64 v[55:56], v[6:7], v[63:64]
	v_mul_f64 v[63:64], v[8:9], v[63:64]
	s_waitcnt vmcnt(3) lgkmcnt(0)
	v_mul_f64 v[59:60], v[51:52], v[67:68]
	v_add_f64 v[2:3], v[2:3], v[53:54]
	v_add_f64 v[10:11], v[10:11], v[83:84]
	v_mul_f64 v[53:54], v[49:50], v[67:68]
	v_fma_f64 v[55:56], v[8:9], v[61:62], v[55:56]
	v_fma_f64 v[61:62], v[6:7], v[61:62], -v[63:64]
	v_fma_f64 v[49:50], v[49:50], v[65:66], -v[59:60]
	v_add_f64 v[57:58], v[2:3], v[57:58]
	v_add_f64 v[10:11], v[10:11], v[79:80]
	ds_load_b128 v[6:9], v1 offset:352
	ds_load_b128 v[1:4], v1 offset:368
	v_fma_f64 v[51:52], v[51:52], v[65:66], v[53:54]
	s_waitcnt vmcnt(2) lgkmcnt(1)
	v_mul_f64 v[63:64], v[6:7], v[71:72]
	v_mul_f64 v[67:68], v[8:9], v[71:72]
	v_add_f64 v[53:54], v[57:58], v[61:62]
	v_add_f64 v[10:11], v[10:11], v[55:56]
	s_waitcnt vmcnt(1) lgkmcnt(0)
	v_mul_f64 v[55:56], v[1:2], v[75:76]
	v_mul_f64 v[57:58], v[3:4], v[75:76]
	v_fma_f64 v[8:9], v[8:9], v[69:70], v[63:64]
	v_fma_f64 v[6:7], v[6:7], v[69:70], -v[67:68]
	v_add_f64 v[49:50], v[53:54], v[49:50]
	v_add_f64 v[10:11], v[10:11], v[51:52]
	v_fma_f64 v[3:4], v[3:4], v[73:74], v[55:56]
	v_fma_f64 v[1:2], v[1:2], v[73:74], -v[57:58]
	s_delay_alu instid0(VALU_DEP_4) | instskip(NEXT) | instid1(VALU_DEP_4)
	v_add_f64 v[6:7], v[49:50], v[6:7]
	v_add_f64 v[8:9], v[10:11], v[8:9]
	s_delay_alu instid0(VALU_DEP_2) | instskip(NEXT) | instid1(VALU_DEP_2)
	v_add_f64 v[1:2], v[6:7], v[1:2]
	v_add_f64 v[3:4], v[8:9], v[3:4]
	s_waitcnt vmcnt(0)
	s_delay_alu instid0(VALU_DEP_2) | instskip(NEXT) | instid1(VALU_DEP_2)
	v_add_f64 v[1:2], v[85:86], -v[1:2]
	v_add_f64 v[3:4], v[87:88], -v[3:4]
	scratch_store_b128 off, v[1:4], off offset:48
	v_cmpx_lt_u32_e32 2, v37
	s_cbranch_execz .LBB11_81
; %bb.80:
	scratch_load_b128 v[1:4], v41, off
	v_mov_b32_e32 v6, 0
	s_delay_alu instid0(VALU_DEP_1)
	v_mov_b32_e32 v7, v6
	v_mov_b32_e32 v8, v6
	;; [unrolled: 1-line block ×3, first 2 shown]
	scratch_store_b128 off, v[6:9], off offset:32
	s_waitcnt vmcnt(0)
	ds_store_b128 v5, v[1:4]
.LBB11_81:
	s_or_b32 exec_lo, exec_lo, s2
	s_waitcnt lgkmcnt(0)
	s_waitcnt_vscnt null, 0x0
	s_barrier
	buffer_gl0_inv
	s_clause 0x7
	scratch_load_b128 v[6:9], off, off offset:48
	scratch_load_b128 v[49:52], off, off offset:64
	;; [unrolled: 1-line block ×8, first 2 shown]
	v_mov_b32_e32 v1, 0
	s_mov_b32 s2, exec_lo
	ds_load_b128 v[77:80], v1 offset:240
	s_clause 0x1
	scratch_load_b128 v[81:84], off, off offset:176
	scratch_load_b128 v[85:88], off, off offset:32
	ds_load_b128 v[89:92], v1 offset:256
	s_waitcnt vmcnt(9) lgkmcnt(1)
	v_mul_f64 v[2:3], v[79:80], v[8:9]
	v_mul_f64 v[8:9], v[77:78], v[8:9]
	s_waitcnt vmcnt(8) lgkmcnt(0)
	v_mul_f64 v[10:11], v[89:90], v[51:52]
	v_mul_f64 v[51:52], v[91:92], v[51:52]
	s_delay_alu instid0(VALU_DEP_4) | instskip(NEXT) | instid1(VALU_DEP_4)
	v_fma_f64 v[2:3], v[77:78], v[6:7], -v[2:3]
	v_fma_f64 v[93:94], v[79:80], v[6:7], v[8:9]
	ds_load_b128 v[6:9], v1 offset:272
	ds_load_b128 v[77:80], v1 offset:288
	v_fma_f64 v[10:11], v[91:92], v[49:50], v[10:11]
	v_fma_f64 v[49:50], v[89:90], v[49:50], -v[51:52]
	s_waitcnt vmcnt(7) lgkmcnt(1)
	v_mul_f64 v[95:96], v[6:7], v[55:56]
	v_mul_f64 v[55:56], v[8:9], v[55:56]
	s_waitcnt vmcnt(6) lgkmcnt(0)
	v_mul_f64 v[89:90], v[77:78], v[59:60]
	v_mul_f64 v[59:60], v[79:80], v[59:60]
	v_add_f64 v[2:3], v[2:3], 0
	v_add_f64 v[51:52], v[93:94], 0
	v_fma_f64 v[91:92], v[8:9], v[53:54], v[95:96]
	v_fma_f64 v[53:54], v[6:7], v[53:54], -v[55:56]
	v_fma_f64 v[79:80], v[79:80], v[57:58], v[89:90]
	v_fma_f64 v[57:58], v[77:78], v[57:58], -v[59:60]
	v_add_f64 v[2:3], v[2:3], v[49:50]
	v_add_f64 v[10:11], v[51:52], v[10:11]
	ds_load_b128 v[6:9], v1 offset:304
	ds_load_b128 v[49:52], v1 offset:320
	s_waitcnt vmcnt(5) lgkmcnt(1)
	v_mul_f64 v[55:56], v[6:7], v[63:64]
	v_mul_f64 v[63:64], v[8:9], v[63:64]
	s_waitcnt vmcnt(4) lgkmcnt(0)
	v_mul_f64 v[59:60], v[49:50], v[67:68]
	v_mul_f64 v[67:68], v[51:52], v[67:68]
	v_add_f64 v[2:3], v[2:3], v[53:54]
	v_add_f64 v[10:11], v[10:11], v[91:92]
	v_fma_f64 v[77:78], v[8:9], v[61:62], v[55:56]
	v_fma_f64 v[61:62], v[6:7], v[61:62], -v[63:64]
	ds_load_b128 v[6:9], v1 offset:336
	ds_load_b128 v[53:56], v1 offset:352
	v_fma_f64 v[51:52], v[51:52], v[65:66], v[59:60]
	v_fma_f64 v[49:50], v[49:50], v[65:66], -v[67:68]
	v_add_f64 v[2:3], v[2:3], v[57:58]
	v_add_f64 v[10:11], v[10:11], v[79:80]
	s_waitcnt vmcnt(3) lgkmcnt(1)
	v_mul_f64 v[57:58], v[6:7], v[71:72]
	v_mul_f64 v[63:64], v[8:9], v[71:72]
	s_waitcnt vmcnt(2) lgkmcnt(0)
	v_mul_f64 v[59:60], v[53:54], v[75:76]
	v_add_f64 v[2:3], v[2:3], v[61:62]
	v_add_f64 v[10:11], v[10:11], v[77:78]
	v_mul_f64 v[61:62], v[55:56], v[75:76]
	v_fma_f64 v[57:58], v[8:9], v[69:70], v[57:58]
	v_fma_f64 v[63:64], v[6:7], v[69:70], -v[63:64]
	ds_load_b128 v[6:9], v1 offset:368
	v_fma_f64 v[55:56], v[55:56], v[73:74], v[59:60]
	v_add_f64 v[2:3], v[2:3], v[49:50]
	v_add_f64 v[10:11], v[10:11], v[51:52]
	s_waitcnt vmcnt(1) lgkmcnt(0)
	v_mul_f64 v[49:50], v[6:7], v[83:84]
	v_mul_f64 v[51:52], v[8:9], v[83:84]
	v_fma_f64 v[53:54], v[53:54], v[73:74], -v[61:62]
	v_add_f64 v[2:3], v[2:3], v[63:64]
	v_add_f64 v[10:11], v[10:11], v[57:58]
	v_fma_f64 v[8:9], v[8:9], v[81:82], v[49:50]
	v_fma_f64 v[6:7], v[6:7], v[81:82], -v[51:52]
	s_delay_alu instid0(VALU_DEP_4) | instskip(NEXT) | instid1(VALU_DEP_4)
	v_add_f64 v[2:3], v[2:3], v[53:54]
	v_add_f64 v[10:11], v[10:11], v[55:56]
	s_delay_alu instid0(VALU_DEP_2) | instskip(NEXT) | instid1(VALU_DEP_2)
	v_add_f64 v[2:3], v[2:3], v[6:7]
	v_add_f64 v[8:9], v[10:11], v[8:9]
	s_waitcnt vmcnt(0)
	s_delay_alu instid0(VALU_DEP_2) | instskip(NEXT) | instid1(VALU_DEP_2)
	v_add_f64 v[6:7], v[85:86], -v[2:3]
	v_add_f64 v[8:9], v[87:88], -v[8:9]
	scratch_store_b128 off, v[6:9], off offset:32
	v_cmpx_lt_u32_e32 1, v37
	s_cbranch_execz .LBB11_83
; %bb.82:
	scratch_load_b128 v[6:9], v39, off
	v_mov_b32_e32 v2, v1
	v_mov_b32_e32 v3, v1
	v_mov_b32_e32 v4, v1
	scratch_store_b128 off, v[1:4], off offset:16
	s_waitcnt vmcnt(0)
	ds_store_b128 v5, v[6:9]
.LBB11_83:
	s_or_b32 exec_lo, exec_lo, s2
	s_waitcnt lgkmcnt(0)
	s_waitcnt_vscnt null, 0x0
	s_barrier
	buffer_gl0_inv
	s_clause 0x8
	scratch_load_b128 v[6:9], off, off offset:32
	scratch_load_b128 v[49:52], off, off offset:48
	;; [unrolled: 1-line block ×9, first 2 shown]
	ds_load_b128 v[81:84], v1 offset:224
	ds_load_b128 v[85:88], v1 offset:240
	scratch_load_b128 v[89:92], off, off offset:16
	s_mov_b32 s2, exec_lo
	s_waitcnt vmcnt(9) lgkmcnt(1)
	v_mul_f64 v[2:3], v[83:84], v[8:9]
	v_mul_f64 v[93:94], v[81:82], v[8:9]
	scratch_load_b128 v[8:11], off, off offset:176
	s_waitcnt vmcnt(9) lgkmcnt(0)
	v_mul_f64 v[97:98], v[85:86], v[51:52]
	v_mul_f64 v[51:52], v[87:88], v[51:52]
	v_fma_f64 v[2:3], v[81:82], v[6:7], -v[2:3]
	v_fma_f64 v[6:7], v[83:84], v[6:7], v[93:94]
	ds_load_b128 v[81:84], v1 offset:256
	ds_load_b128 v[93:96], v1 offset:272
	v_fma_f64 v[87:88], v[87:88], v[49:50], v[97:98]
	v_fma_f64 v[49:50], v[85:86], v[49:50], -v[51:52]
	s_waitcnt vmcnt(8) lgkmcnt(1)
	v_mul_f64 v[99:100], v[81:82], v[55:56]
	v_mul_f64 v[55:56], v[83:84], v[55:56]
	s_waitcnt vmcnt(7) lgkmcnt(0)
	v_mul_f64 v[85:86], v[93:94], v[59:60]
	v_mul_f64 v[59:60], v[95:96], v[59:60]
	v_add_f64 v[2:3], v[2:3], 0
	v_add_f64 v[6:7], v[6:7], 0
	v_fma_f64 v[83:84], v[83:84], v[53:54], v[99:100]
	v_fma_f64 v[81:82], v[81:82], v[53:54], -v[55:56]
	v_fma_f64 v[85:86], v[95:96], v[57:58], v[85:86]
	v_fma_f64 v[57:58], v[93:94], v[57:58], -v[59:60]
	v_add_f64 v[2:3], v[2:3], v[49:50]
	v_add_f64 v[6:7], v[6:7], v[87:88]
	ds_load_b128 v[49:52], v1 offset:288
	ds_load_b128 v[53:56], v1 offset:304
	s_waitcnt vmcnt(6) lgkmcnt(1)
	v_mul_f64 v[87:88], v[49:50], v[63:64]
	v_mul_f64 v[63:64], v[51:52], v[63:64]
	v_add_f64 v[2:3], v[2:3], v[81:82]
	v_add_f64 v[6:7], v[6:7], v[83:84]
	s_waitcnt vmcnt(5) lgkmcnt(0)
	v_mul_f64 v[81:82], v[53:54], v[67:68]
	v_mul_f64 v[67:68], v[55:56], v[67:68]
	v_fma_f64 v[83:84], v[51:52], v[61:62], v[87:88]
	v_fma_f64 v[61:62], v[49:50], v[61:62], -v[63:64]
	v_add_f64 v[2:3], v[2:3], v[57:58]
	v_add_f64 v[6:7], v[6:7], v[85:86]
	ds_load_b128 v[49:52], v1 offset:320
	ds_load_b128 v[57:60], v1 offset:336
	v_fma_f64 v[55:56], v[55:56], v[65:66], v[81:82]
	v_fma_f64 v[53:54], v[53:54], v[65:66], -v[67:68]
	s_waitcnt vmcnt(4) lgkmcnt(1)
	v_mul_f64 v[63:64], v[49:50], v[71:72]
	v_mul_f64 v[71:72], v[51:52], v[71:72]
	s_waitcnt vmcnt(3) lgkmcnt(0)
	v_mul_f64 v[65:66], v[59:60], v[75:76]
	v_add_f64 v[2:3], v[2:3], v[61:62]
	v_add_f64 v[6:7], v[6:7], v[83:84]
	v_mul_f64 v[61:62], v[57:58], v[75:76]
	v_fma_f64 v[63:64], v[51:52], v[69:70], v[63:64]
	v_fma_f64 v[67:68], v[49:50], v[69:70], -v[71:72]
	v_fma_f64 v[57:58], v[57:58], v[73:74], -v[65:66]
	v_add_f64 v[53:54], v[2:3], v[53:54]
	v_add_f64 v[6:7], v[6:7], v[55:56]
	ds_load_b128 v[49:52], v1 offset:352
	ds_load_b128 v[1:4], v1 offset:368
	v_fma_f64 v[59:60], v[59:60], v[73:74], v[61:62]
	s_waitcnt vmcnt(2) lgkmcnt(1)
	v_mul_f64 v[55:56], v[49:50], v[79:80]
	v_mul_f64 v[69:70], v[51:52], v[79:80]
	v_add_f64 v[53:54], v[53:54], v[67:68]
	v_add_f64 v[6:7], v[6:7], v[63:64]
	s_waitcnt vmcnt(0) lgkmcnt(0)
	v_mul_f64 v[61:62], v[1:2], v[10:11]
	v_mul_f64 v[10:11], v[3:4], v[10:11]
	v_fma_f64 v[51:52], v[51:52], v[77:78], v[55:56]
	v_fma_f64 v[49:50], v[49:50], v[77:78], -v[69:70]
	v_add_f64 v[53:54], v[53:54], v[57:58]
	v_add_f64 v[6:7], v[6:7], v[59:60]
	v_fma_f64 v[3:4], v[3:4], v[8:9], v[61:62]
	v_fma_f64 v[1:2], v[1:2], v[8:9], -v[10:11]
	s_delay_alu instid0(VALU_DEP_4) | instskip(NEXT) | instid1(VALU_DEP_4)
	v_add_f64 v[8:9], v[53:54], v[49:50]
	v_add_f64 v[6:7], v[6:7], v[51:52]
	s_delay_alu instid0(VALU_DEP_2) | instskip(NEXT) | instid1(VALU_DEP_2)
	v_add_f64 v[1:2], v[8:9], v[1:2]
	v_add_f64 v[3:4], v[6:7], v[3:4]
	s_delay_alu instid0(VALU_DEP_2) | instskip(NEXT) | instid1(VALU_DEP_2)
	v_add_f64 v[1:2], v[89:90], -v[1:2]
	v_add_f64 v[3:4], v[91:92], -v[3:4]
	scratch_store_b128 off, v[1:4], off offset:16
	v_cmpx_ne_u32_e32 0, v37
	s_cbranch_execz .LBB11_85
; %bb.84:
	scratch_load_b128 v[1:4], off, off
	v_mov_b32_e32 v6, 0
	s_delay_alu instid0(VALU_DEP_1)
	v_mov_b32_e32 v7, v6
	v_mov_b32_e32 v8, v6
	;; [unrolled: 1-line block ×3, first 2 shown]
	scratch_store_b128 off, v[6:9], off
	s_waitcnt vmcnt(0)
	ds_store_b128 v5, v[1:4]
.LBB11_85:
	s_or_b32 exec_lo, exec_lo, s2
	s_waitcnt lgkmcnt(0)
	s_waitcnt_vscnt null, 0x0
	s_barrier
	buffer_gl0_inv
	s_clause 0x7
	scratch_load_b128 v[1:4], off, off offset:16
	scratch_load_b128 v[5:8], off, off offset:32
	;; [unrolled: 1-line block ×8, first 2 shown]
	v_mov_b32_e32 v101, 0
	s_and_b32 vcc_lo, exec_lo, s20
	ds_load_b128 v[69:72], v101 offset:208
	s_clause 0x1
	scratch_load_b128 v[73:76], off, off offset:144
	scratch_load_b128 v[77:80], off, off
	ds_load_b128 v[81:84], v101 offset:224
	scratch_load_b128 v[85:88], off, off offset:160
	s_waitcnt vmcnt(10) lgkmcnt(1)
	v_mul_f64 v[89:90], v[71:72], v[3:4]
	v_mul_f64 v[3:4], v[69:70], v[3:4]
	s_delay_alu instid0(VALU_DEP_2) | instskip(NEXT) | instid1(VALU_DEP_2)
	v_fma_f64 v[95:96], v[69:70], v[1:2], -v[89:90]
	v_fma_f64 v[97:98], v[71:72], v[1:2], v[3:4]
	scratch_load_b128 v[69:72], off, off offset:176
	ds_load_b128 v[1:4], v101 offset:240
	s_waitcnt vmcnt(10) lgkmcnt(1)
	v_mul_f64 v[93:94], v[81:82], v[7:8]
	v_mul_f64 v[7:8], v[83:84], v[7:8]
	ds_load_b128 v[89:92], v101 offset:256
	s_waitcnt vmcnt(9) lgkmcnt(1)
	v_mul_f64 v[99:100], v[1:2], v[11:12]
	v_mul_f64 v[11:12], v[3:4], v[11:12]
	v_fma_f64 v[83:84], v[83:84], v[5:6], v[93:94]
	v_fma_f64 v[5:6], v[81:82], v[5:6], -v[7:8]
	v_add_f64 v[7:8], v[95:96], 0
	v_add_f64 v[81:82], v[97:98], 0
	s_waitcnt vmcnt(8) lgkmcnt(0)
	v_mul_f64 v[93:94], v[89:90], v[51:52]
	v_mul_f64 v[51:52], v[91:92], v[51:52]
	v_fma_f64 v[95:96], v[3:4], v[9:10], v[99:100]
	v_fma_f64 v[9:10], v[1:2], v[9:10], -v[11:12]
	v_add_f64 v[11:12], v[7:8], v[5:6]
	v_add_f64 v[81:82], v[81:82], v[83:84]
	ds_load_b128 v[1:4], v101 offset:272
	ds_load_b128 v[5:8], v101 offset:288
	v_fma_f64 v[91:92], v[91:92], v[49:50], v[93:94]
	v_fma_f64 v[49:50], v[89:90], v[49:50], -v[51:52]
	s_waitcnt vmcnt(7) lgkmcnt(1)
	v_mul_f64 v[83:84], v[1:2], v[55:56]
	v_mul_f64 v[55:56], v[3:4], v[55:56]
	s_waitcnt vmcnt(6) lgkmcnt(0)
	v_mul_f64 v[51:52], v[5:6], v[59:60]
	v_mul_f64 v[59:60], v[7:8], v[59:60]
	v_add_f64 v[9:10], v[11:12], v[9:10]
	v_add_f64 v[11:12], v[81:82], v[95:96]
	v_fma_f64 v[81:82], v[3:4], v[53:54], v[83:84]
	v_fma_f64 v[53:54], v[1:2], v[53:54], -v[55:56]
	v_fma_f64 v[7:8], v[7:8], v[57:58], v[51:52]
	v_fma_f64 v[5:6], v[5:6], v[57:58], -v[59:60]
	v_add_f64 v[49:50], v[9:10], v[49:50]
	v_add_f64 v[55:56], v[11:12], v[91:92]
	ds_load_b128 v[1:4], v101 offset:304
	ds_load_b128 v[9:12], v101 offset:320
	s_waitcnt vmcnt(5) lgkmcnt(1)
	v_mul_f64 v[83:84], v[1:2], v[63:64]
	v_mul_f64 v[63:64], v[3:4], v[63:64]
	v_add_f64 v[49:50], v[49:50], v[53:54]
	v_add_f64 v[51:52], v[55:56], v[81:82]
	s_waitcnt vmcnt(4) lgkmcnt(0)
	v_mul_f64 v[53:54], v[9:10], v[67:68]
	v_mul_f64 v[55:56], v[11:12], v[67:68]
	v_fma_f64 v[57:58], v[3:4], v[61:62], v[83:84]
	v_fma_f64 v[59:60], v[1:2], v[61:62], -v[63:64]
	v_add_f64 v[49:50], v[49:50], v[5:6]
	v_add_f64 v[51:52], v[51:52], v[7:8]
	ds_load_b128 v[1:4], v101 offset:336
	ds_load_b128 v[5:8], v101 offset:352
	v_fma_f64 v[11:12], v[11:12], v[65:66], v[53:54]
	v_fma_f64 v[9:10], v[9:10], v[65:66], -v[55:56]
	s_waitcnt vmcnt(3) lgkmcnt(1)
	v_mul_f64 v[61:62], v[1:2], v[75:76]
	v_mul_f64 v[63:64], v[3:4], v[75:76]
	s_waitcnt vmcnt(1) lgkmcnt(0)
	v_mul_f64 v[53:54], v[5:6], v[87:88]
	v_mul_f64 v[55:56], v[7:8], v[87:88]
	v_add_f64 v[49:50], v[49:50], v[59:60]
	v_add_f64 v[51:52], v[51:52], v[57:58]
	v_fma_f64 v[57:58], v[3:4], v[73:74], v[61:62]
	v_fma_f64 v[59:60], v[1:2], v[73:74], -v[63:64]
	ds_load_b128 v[1:4], v101 offset:368
	v_fma_f64 v[7:8], v[7:8], v[85:86], v[53:54]
	v_fma_f64 v[5:6], v[5:6], v[85:86], -v[55:56]
	v_add_f64 v[9:10], v[49:50], v[9:10]
	v_add_f64 v[11:12], v[51:52], v[11:12]
	s_waitcnt vmcnt(0) lgkmcnt(0)
	v_mul_f64 v[49:50], v[1:2], v[71:72]
	v_mul_f64 v[51:52], v[3:4], v[71:72]
	s_delay_alu instid0(VALU_DEP_4) | instskip(NEXT) | instid1(VALU_DEP_4)
	v_add_f64 v[9:10], v[9:10], v[59:60]
	v_add_f64 v[11:12], v[11:12], v[57:58]
	s_delay_alu instid0(VALU_DEP_4) | instskip(NEXT) | instid1(VALU_DEP_4)
	v_fma_f64 v[3:4], v[3:4], v[69:70], v[49:50]
	v_fma_f64 v[1:2], v[1:2], v[69:70], -v[51:52]
	s_delay_alu instid0(VALU_DEP_4) | instskip(NEXT) | instid1(VALU_DEP_4)
	v_add_f64 v[5:6], v[9:10], v[5:6]
	v_add_f64 v[7:8], v[11:12], v[7:8]
	s_delay_alu instid0(VALU_DEP_2) | instskip(NEXT) | instid1(VALU_DEP_2)
	v_add_f64 v[1:2], v[5:6], v[1:2]
	v_add_f64 v[3:4], v[7:8], v[3:4]
	s_delay_alu instid0(VALU_DEP_2) | instskip(NEXT) | instid1(VALU_DEP_2)
	v_add_f64 v[1:2], v[77:78], -v[1:2]
	v_add_f64 v[3:4], v[79:80], -v[3:4]
	scratch_store_b128 off, v[1:4], off
	s_cbranch_vccz .LBB11_109
; %bb.86:
	v_dual_mov_b32 v1, s16 :: v_dual_mov_b32 v2, s17
	s_load_b64 s[0:1], s[0:1], 0x4
	flat_load_b32 v1, v[1:2] offset:40
	v_bfe_u32 v2, v0, 10, 10
	v_bfe_u32 v0, v0, 20, 10
	s_waitcnt lgkmcnt(0)
	s_lshr_b32 s0, s0, 16
	s_delay_alu instid0(VALU_DEP_2) | instskip(SKIP_1) | instid1(SALU_CYCLE_1)
	v_mul_u32_u24_e32 v2, s1, v2
	s_mul_i32 s0, s0, s1
	v_mul_u32_u24_e32 v3, s0, v37
	s_mov_b32 s0, exec_lo
	s_delay_alu instid0(VALU_DEP_1) | instskip(NEXT) | instid1(VALU_DEP_1)
	v_add3_u32 v0, v3, v2, v0
	v_lshl_add_u32 v0, v0, 4, 0x188
	s_waitcnt vmcnt(0)
	v_cmpx_ne_u32_e32 11, v1
	s_cbranch_execz .LBB11_88
; %bb.87:
	v_lshl_add_u32 v9, v1, 4, 0
	s_clause 0x1
	scratch_load_b128 v[1:4], v48, off
	scratch_load_b128 v[5:8], v9, off offset:-16
	s_waitcnt vmcnt(1)
	ds_store_2addr_b64 v0, v[1:2], v[3:4] offset1:1
	s_waitcnt vmcnt(0)
	s_clause 0x1
	scratch_store_b128 v48, v[5:8], off
	scratch_store_b128 v9, v[1:4], off offset:-16
.LBB11_88:
	s_or_b32 exec_lo, exec_lo, s0
	v_dual_mov_b32 v1, s16 :: v_dual_mov_b32 v2, s17
	s_mov_b32 s0, exec_lo
	flat_load_b32 v1, v[1:2] offset:36
	s_waitcnt vmcnt(0) lgkmcnt(0)
	v_cmpx_ne_u32_e32 10, v1
	s_cbranch_execz .LBB11_90
; %bb.89:
	v_lshl_add_u32 v9, v1, 4, 0
	s_clause 0x1
	scratch_load_b128 v[1:4], v45, off
	scratch_load_b128 v[5:8], v9, off offset:-16
	s_waitcnt vmcnt(1)
	ds_store_2addr_b64 v0, v[1:2], v[3:4] offset1:1
	s_waitcnt vmcnt(0)
	s_clause 0x1
	scratch_store_b128 v45, v[5:8], off
	scratch_store_b128 v9, v[1:4], off offset:-16
.LBB11_90:
	s_or_b32 exec_lo, exec_lo, s0
	v_dual_mov_b32 v1, s16 :: v_dual_mov_b32 v2, s17
	s_mov_b32 s0, exec_lo
	flat_load_b32 v1, v[1:2] offset:32
	s_waitcnt vmcnt(0) lgkmcnt(0)
	;; [unrolled: 19-line block ×9, first 2 shown]
	v_cmpx_ne_u32_e32 2, v1
	s_cbranch_execz .LBB11_106
; %bb.105:
	v_lshl_add_u32 v9, v1, 4, 0
	s_clause 0x1
	scratch_load_b128 v[1:4], v39, off
	scratch_load_b128 v[5:8], v9, off offset:-16
	s_waitcnt vmcnt(1)
	ds_store_2addr_b64 v0, v[1:2], v[3:4] offset1:1
	s_waitcnt vmcnt(0)
	s_clause 0x1
	scratch_store_b128 v39, v[5:8], off
	scratch_store_b128 v9, v[1:4], off offset:-16
.LBB11_106:
	s_or_b32 exec_lo, exec_lo, s0
	v_dual_mov_b32 v1, s16 :: v_dual_mov_b32 v2, s17
	s_mov_b32 s0, exec_lo
	flat_load_b32 v1, v[1:2]
	s_waitcnt vmcnt(0) lgkmcnt(0)
	v_cmpx_ne_u32_e32 1, v1
	s_cbranch_execz .LBB11_108
; %bb.107:
	v_lshl_add_u32 v9, v1, 4, 0
	scratch_load_b128 v[1:4], off, off
	scratch_load_b128 v[5:8], v9, off offset:-16
	s_waitcnt vmcnt(1)
	ds_store_2addr_b64 v0, v[1:2], v[3:4] offset1:1
	s_waitcnt vmcnt(0)
	scratch_store_b128 off, v[5:8], off
	scratch_store_b128 v9, v[1:4], off offset:-16
.LBB11_108:
	s_or_b32 exec_lo, exec_lo, s0
.LBB11_109:
	scratch_load_b128 v[0:3], off, off
	s_clause 0xa
	scratch_load_b128 v[4:7], v39, off
	scratch_load_b128 v[8:11], v41, off
	;; [unrolled: 1-line block ×11, first 2 shown]
	s_waitcnt vmcnt(11)
	global_store_b128 v[13:14], v[0:3], off
	s_waitcnt vmcnt(10)
	global_store_b128 v[15:16], v[4:7], off
	;; [unrolled: 2-line block ×12, first 2 shown]
	s_endpgm
	.section	.rodata,"a",@progbits
	.p2align	6, 0x0
	.amdhsa_kernel _ZN9rocsolver6v33100L18getri_kernel_smallILi12E19rocblas_complex_numIdEPS3_EEvT1_iilPiilS6_bb
		.amdhsa_group_segment_fixed_size 1416
		.amdhsa_private_segment_fixed_size 208
		.amdhsa_kernarg_size 60
		.amdhsa_user_sgpr_count 15
		.amdhsa_user_sgpr_dispatch_ptr 1
		.amdhsa_user_sgpr_queue_ptr 0
		.amdhsa_user_sgpr_kernarg_segment_ptr 1
		.amdhsa_user_sgpr_dispatch_id 0
		.amdhsa_user_sgpr_private_segment_size 0
		.amdhsa_wavefront_size32 1
		.amdhsa_uses_dynamic_stack 0
		.amdhsa_enable_private_segment 1
		.amdhsa_system_sgpr_workgroup_id_x 1
		.amdhsa_system_sgpr_workgroup_id_y 0
		.amdhsa_system_sgpr_workgroup_id_z 0
		.amdhsa_system_sgpr_workgroup_info 0
		.amdhsa_system_vgpr_workitem_id 2
		.amdhsa_next_free_vgpr 102
		.amdhsa_next_free_sgpr 22
		.amdhsa_reserve_vcc 1
		.amdhsa_float_round_mode_32 0
		.amdhsa_float_round_mode_16_64 0
		.amdhsa_float_denorm_mode_32 3
		.amdhsa_float_denorm_mode_16_64 3
		.amdhsa_dx10_clamp 1
		.amdhsa_ieee_mode 1
		.amdhsa_fp16_overflow 0
		.amdhsa_workgroup_processor_mode 1
		.amdhsa_memory_ordered 1
		.amdhsa_forward_progress 0
		.amdhsa_shared_vgpr_count 0
		.amdhsa_exception_fp_ieee_invalid_op 0
		.amdhsa_exception_fp_denorm_src 0
		.amdhsa_exception_fp_ieee_div_zero 0
		.amdhsa_exception_fp_ieee_overflow 0
		.amdhsa_exception_fp_ieee_underflow 0
		.amdhsa_exception_fp_ieee_inexact 0
		.amdhsa_exception_int_div_zero 0
	.end_amdhsa_kernel
	.section	.text._ZN9rocsolver6v33100L18getri_kernel_smallILi12E19rocblas_complex_numIdEPS3_EEvT1_iilPiilS6_bb,"axG",@progbits,_ZN9rocsolver6v33100L18getri_kernel_smallILi12E19rocblas_complex_numIdEPS3_EEvT1_iilPiilS6_bb,comdat
.Lfunc_end11:
	.size	_ZN9rocsolver6v33100L18getri_kernel_smallILi12E19rocblas_complex_numIdEPS3_EEvT1_iilPiilS6_bb, .Lfunc_end11-_ZN9rocsolver6v33100L18getri_kernel_smallILi12E19rocblas_complex_numIdEPS3_EEvT1_iilPiilS6_bb
                                        ; -- End function
	.section	.AMDGPU.csdata,"",@progbits
; Kernel info:
; codeLenInByte = 12404
; NumSgprs: 24
; NumVgprs: 102
; ScratchSize: 208
; MemoryBound: 0
; FloatMode: 240
; IeeeMode: 1
; LDSByteSize: 1416 bytes/workgroup (compile time only)
; SGPRBlocks: 2
; VGPRBlocks: 12
; NumSGPRsForWavesPerEU: 24
; NumVGPRsForWavesPerEU: 102
; Occupancy: 12
; WaveLimiterHint : 1
; COMPUTE_PGM_RSRC2:SCRATCH_EN: 1
; COMPUTE_PGM_RSRC2:USER_SGPR: 15
; COMPUTE_PGM_RSRC2:TRAP_HANDLER: 0
; COMPUTE_PGM_RSRC2:TGID_X_EN: 1
; COMPUTE_PGM_RSRC2:TGID_Y_EN: 0
; COMPUTE_PGM_RSRC2:TGID_Z_EN: 0
; COMPUTE_PGM_RSRC2:TIDIG_COMP_CNT: 2
	.section	.text._ZN9rocsolver6v33100L18getri_kernel_smallILi13E19rocblas_complex_numIdEPS3_EEvT1_iilPiilS6_bb,"axG",@progbits,_ZN9rocsolver6v33100L18getri_kernel_smallILi13E19rocblas_complex_numIdEPS3_EEvT1_iilPiilS6_bb,comdat
	.globl	_ZN9rocsolver6v33100L18getri_kernel_smallILi13E19rocblas_complex_numIdEPS3_EEvT1_iilPiilS6_bb ; -- Begin function _ZN9rocsolver6v33100L18getri_kernel_smallILi13E19rocblas_complex_numIdEPS3_EEvT1_iilPiilS6_bb
	.p2align	8
	.type	_ZN9rocsolver6v33100L18getri_kernel_smallILi13E19rocblas_complex_numIdEPS3_EEvT1_iilPiilS6_bb,@function
_ZN9rocsolver6v33100L18getri_kernel_smallILi13E19rocblas_complex_numIdEPS3_EEvT1_iilPiilS6_bb: ; @_ZN9rocsolver6v33100L18getri_kernel_smallILi13E19rocblas_complex_numIdEPS3_EEvT1_iilPiilS6_bb
; %bb.0:
	v_and_b32_e32 v39, 0x3ff, v0
	s_mov_b32 s4, exec_lo
	s_delay_alu instid0(VALU_DEP_1)
	v_cmpx_gt_u32_e32 13, v39
	s_cbranch_execz .LBB12_66
; %bb.1:
	s_mov_b32 s18, s15
	s_clause 0x2
	s_load_b32 s21, s[2:3], 0x38
	s_load_b128 s[12:15], s[2:3], 0x10
	s_load_b128 s[4:7], s[2:3], 0x28
                                        ; implicit-def: $sgpr16_sgpr17
	s_waitcnt lgkmcnt(0)
	s_bitcmp1_b32 s21, 8
	s_cselect_b32 s20, -1, 0
	s_bfe_u32 s8, s21, 0x10008
	s_ashr_i32 s19, s18, 31
	s_cmp_eq_u32 s8, 0
	s_cbranch_scc1 .LBB12_3
; %bb.2:
	s_load_b32 s8, s[2:3], 0x20
	s_mul_i32 s5, s18, s5
	s_mul_hi_u32 s9, s18, s4
	s_mul_i32 s10, s19, s4
	s_add_i32 s5, s9, s5
	s_mul_i32 s4, s18, s4
	s_add_i32 s5, s5, s10
	s_delay_alu instid0(SALU_CYCLE_1)
	s_lshl_b64 s[4:5], s[4:5], 2
	s_waitcnt lgkmcnt(0)
	s_ashr_i32 s9, s8, 31
	s_add_u32 s10, s14, s4
	s_addc_u32 s11, s15, s5
	s_lshl_b64 s[4:5], s[8:9], 2
	s_delay_alu instid0(SALU_CYCLE_1)
	s_add_u32 s16, s10, s4
	s_addc_u32 s17, s11, s5
.LBB12_3:
	s_load_b128 s[8:11], s[2:3], 0x0
	s_mul_i32 s2, s18, s13
	s_mul_hi_u32 s3, s18, s12
	s_mul_i32 s4, s19, s12
	s_add_i32 s3, s3, s2
	s_mul_i32 s2, s18, s12
	s_add_i32 s3, s3, s4
	v_lshlrev_b32_e32 v52, 4, v39
	s_lshl_b64 s[2:3], s[2:3], 4
	v_add_nc_u32_e64 v43, 0, 32
	s_waitcnt lgkmcnt(0)
	v_add3_u32 v5, s11, s11, v39
	s_ashr_i32 s5, s10, 31
	s_mov_b32 s4, s10
	s_add_u32 s8, s8, s2
	s_addc_u32 s9, s9, s3
	v_add_nc_u32_e32 v7, s11, v5
	s_lshl_b64 s[2:3], s[4:5], 4
	v_ashrrev_i32_e32 v6, 31, v5
	s_add_u32 s2, s8, s2
	s_addc_u32 s3, s9, s3
	v_add_nc_u32_e32 v9, s11, v7
	v_add_co_u32 v13, s8, s2, v52
	s_mov_b32 s4, s11
	s_ashr_i32 s5, s11, 31
	s_delay_alu instid0(VALU_DEP_2)
	v_add_nc_u32_e32 v23, s11, v9
	v_add_co_ci_u32_e64 v14, null, s3, 0, s8
	v_lshlrev_b64 v[5:6], 4, v[5:6]
	v_ashrrev_i32_e32 v8, 31, v7
	s_lshl_b64 s[4:5], s[4:5], 4
	v_ashrrev_i32_e32 v10, 31, v9
	v_add_co_u32 v15, vcc_lo, v13, s4
	v_add_nc_u32_e32 v25, s11, v23
	v_add_co_ci_u32_e32 v16, vcc_lo, s5, v14, vcc_lo
	v_lshlrev_b64 v[7:8], 4, v[7:8]
	v_add_co_u32 v17, vcc_lo, s2, v5
	v_ashrrev_i32_e32 v24, 31, v23
	v_add_co_ci_u32_e32 v18, vcc_lo, s3, v6, vcc_lo
	v_lshlrev_b64 v[5:6], 4, v[9:10]
	v_add_nc_u32_e32 v28, s11, v25
	v_ashrrev_i32_e32 v26, 31, v25
	v_add_co_u32 v19, vcc_lo, s2, v7
	v_lshlrev_b64 v[23:24], 4, v[23:24]
	v_add_co_ci_u32_e32 v20, vcc_lo, s3, v8, vcc_lo
	v_add_nc_u32_e32 v30, s11, v28
	v_add_co_u32 v21, vcc_lo, s2, v5
	v_lshlrev_b64 v[26:27], 4, v[25:26]
	v_add_co_ci_u32_e32 v22, vcc_lo, s3, v6, vcc_lo
	v_add_co_u32 v23, vcc_lo, s2, v23
	v_ashrrev_i32_e32 v29, 31, v28
	v_add_nc_u32_e32 v32, s11, v30
	v_add_co_ci_u32_e32 v24, vcc_lo, s3, v24, vcc_lo
	v_add_co_u32 v25, vcc_lo, s2, v26
	v_ashrrev_i32_e32 v31, 31, v30
	v_add_co_ci_u32_e32 v26, vcc_lo, s3, v27, vcc_lo
	v_lshlrev_b64 v[27:28], 4, v[28:29]
	v_ashrrev_i32_e32 v33, 31, v32
	s_delay_alu instid0(VALU_DEP_4)
	v_lshlrev_b64 v[29:30], 4, v[30:31]
	v_add_nc_u32_e32 v35, s11, v32
	s_clause 0x2
	global_load_b128 v[1:4], v52, s[2:3]
	global_load_b128 v[5:8], v[15:16], off
	global_load_b128 v[9:12], v[17:18], off
	v_add_co_u32 v27, vcc_lo, s2, v27
	v_lshlrev_b64 v[33:34], 4, v[32:33]
	v_add_co_ci_u32_e32 v28, vcc_lo, s3, v28, vcc_lo
	v_add_co_u32 v29, vcc_lo, s2, v29
	v_ashrrev_i32_e32 v36, 31, v35
	v_add_nc_u32_e32 v37, s11, v35
	v_add_co_ci_u32_e32 v30, vcc_lo, s3, v30, vcc_lo
	v_add_co_u32 v31, vcc_lo, s2, v33
	v_add_co_ci_u32_e32 v32, vcc_lo, s3, v34, vcc_lo
	v_lshlrev_b64 v[33:34], 4, v[35:36]
	v_add_nc_u32_e32 v35, s11, v37
	v_ashrrev_i32_e32 v38, 31, v37
	s_clause 0x6
	global_load_b128 v[44:47], v[19:20], off
	global_load_b128 v[48:51], v[21:22], off
	;; [unrolled: 1-line block ×7, first 2 shown]
	v_ashrrev_i32_e32 v36, 31, v35
	v_lshlrev_b64 v[37:38], 4, v[37:38]
	v_add_co_u32 v33, vcc_lo, s2, v33
	v_add_co_ci_u32_e32 v34, vcc_lo, s3, v34, vcc_lo
	s_delay_alu instid0(VALU_DEP_4) | instskip(NEXT) | instid1(VALU_DEP_4)
	v_lshlrev_b64 v[40:41], 4, v[35:36]
	v_add_co_u32 v35, vcc_lo, s2, v37
	v_add_co_ci_u32_e32 v36, vcc_lo, s3, v38, vcc_lo
	s_bitcmp0_b32 s21, 0
	s_delay_alu instid0(VALU_DEP_3) | instskip(NEXT) | instid1(VALU_DEP_4)
	v_add_co_u32 v37, vcc_lo, s2, v40
	v_add_co_ci_u32_e32 v38, vcc_lo, s3, v41, vcc_lo
	s_clause 0x2
	global_load_b128 v[73:76], v[33:34], off
	global_load_b128 v[77:80], v[35:36], off
	;; [unrolled: 1-line block ×3, first 2 shown]
	s_movk_i32 s2, 0x50
	s_movk_i32 s3, 0x70
	v_add_nc_u32_e64 v42, s2, 0
	s_movk_i32 s2, 0x60
	v_add_nc_u32_e64 v41, 0, 16
	v_add_nc_u32_e64 v40, 0, 48
	s_waitcnt vmcnt(12)
	scratch_store_b128 off, v[1:4], off
	s_waitcnt vmcnt(11)
	scratch_store_b128 off, v[5:8], off offset:16
	s_waitcnt vmcnt(10)
	scratch_store_b128 off, v[9:12], off offset:32
	;; [unrolled: 2-line block ×3, first 2 shown]
	v_add_nc_u32_e64 v46, s2, 0
	s_movk_i32 s2, 0x80
	s_waitcnt vmcnt(8)
	scratch_store_b128 off, v[48:51], off offset:64
	s_waitcnt vmcnt(7)
	scratch_store_b128 off, v[53:56], off offset:80
	v_add_nc_u32_e64 v45, s3, 0
	s_movk_i32 s3, 0x90
	v_add_nc_u32_e64 v48, s2, 0
	s_movk_i32 s2, 0xa0
	v_add_nc_u32_e64 v47, s3, 0
	v_add_nc_u32_e64 v50, s2, 0
	s_movk_i32 s2, 0xb0
	s_movk_i32 s3, 0xc0
	v_add_nc_u32_e64 v44, 0, 64
	v_add_nc_u32_e64 v51, s2, 0
	;; [unrolled: 1-line block ×3, first 2 shown]
	s_mov_b32 s3, -1
	s_waitcnt vmcnt(6)
	scratch_store_b128 off, v[57:60], off offset:96
	s_waitcnt vmcnt(5)
	scratch_store_b128 off, v[61:64], off offset:112
	;; [unrolled: 2-line block ×7, first 2 shown]
	s_cbranch_scc1 .LBB12_64
; %bb.4:
	v_cmp_eq_u32_e64 s2, 0, v39
	s_delay_alu instid0(VALU_DEP_1)
	s_and_saveexec_b32 s3, s2
	s_cbranch_execz .LBB12_6
; %bb.5:
	v_mov_b32_e32 v1, 0
	ds_store_b32 v1, v1 offset:416
.LBB12_6:
	s_or_b32 exec_lo, exec_lo, s3
	s_waitcnt lgkmcnt(0)
	s_waitcnt_vscnt null, 0x0
	s_barrier
	buffer_gl0_inv
	scratch_load_b128 v[1:4], v52, off
	s_waitcnt vmcnt(0)
	v_cmp_eq_f64_e32 vcc_lo, 0, v[1:2]
	v_cmp_eq_f64_e64 s3, 0, v[3:4]
	s_delay_alu instid0(VALU_DEP_1) | instskip(NEXT) | instid1(SALU_CYCLE_1)
	s_and_b32 s3, vcc_lo, s3
	s_and_saveexec_b32 s4, s3
	s_cbranch_execz .LBB12_10
; %bb.7:
	v_mov_b32_e32 v1, 0
	s_mov_b32 s5, 0
	ds_load_b32 v2, v1 offset:416
	s_waitcnt lgkmcnt(0)
	v_readfirstlane_b32 s3, v2
	v_add_nc_u32_e32 v2, 1, v39
	s_delay_alu instid0(VALU_DEP_2) | instskip(NEXT) | instid1(VALU_DEP_1)
	s_cmp_eq_u32 s3, 0
	v_cmp_gt_i32_e32 vcc_lo, s3, v2
	s_cselect_b32 s8, -1, 0
	s_delay_alu instid0(SALU_CYCLE_1) | instskip(NEXT) | instid1(SALU_CYCLE_1)
	s_or_b32 s8, s8, vcc_lo
	s_and_b32 exec_lo, exec_lo, s8
	s_cbranch_execz .LBB12_10
; %bb.8:
	v_mov_b32_e32 v3, s3
.LBB12_9:                               ; =>This Inner Loop Header: Depth=1
	ds_cmpstore_rtn_b32 v3, v1, v2, v3 offset:416
	s_waitcnt lgkmcnt(0)
	v_cmp_ne_u32_e32 vcc_lo, 0, v3
	v_cmp_le_i32_e64 s3, v3, v2
	s_delay_alu instid0(VALU_DEP_1) | instskip(NEXT) | instid1(SALU_CYCLE_1)
	s_and_b32 s3, vcc_lo, s3
	s_and_b32 s3, exec_lo, s3
	s_delay_alu instid0(SALU_CYCLE_1) | instskip(NEXT) | instid1(SALU_CYCLE_1)
	s_or_b32 s5, s3, s5
	s_and_not1_b32 exec_lo, exec_lo, s5
	s_cbranch_execnz .LBB12_9
.LBB12_10:
	s_or_b32 exec_lo, exec_lo, s4
	v_mov_b32_e32 v1, 0
	s_barrier
	buffer_gl0_inv
	ds_load_b32 v2, v1 offset:416
	s_and_saveexec_b32 s3, s2
	s_cbranch_execz .LBB12_12
; %bb.11:
	s_lshl_b64 s[4:5], s[18:19], 2
	s_delay_alu instid0(SALU_CYCLE_1)
	s_add_u32 s4, s6, s4
	s_addc_u32 s5, s7, s5
	s_waitcnt lgkmcnt(0)
	global_store_b32 v1, v2, s[4:5]
.LBB12_12:
	s_or_b32 exec_lo, exec_lo, s3
	s_waitcnt lgkmcnt(0)
	v_cmp_ne_u32_e32 vcc_lo, 0, v2
	s_mov_b32 s3, 0
	s_cbranch_vccnz .LBB12_64
; %bb.13:
	v_add_nc_u32_e32 v53, 0, v52
                                        ; implicit-def: $vgpr9_vgpr10
	scratch_load_b128 v[1:4], v53, off
	s_waitcnt vmcnt(0)
	v_cmp_gt_f64_e32 vcc_lo, 0, v[1:2]
	v_xor_b32_e32 v6, 0x80000000, v2
	v_xor_b32_e32 v7, 0x80000000, v4
	s_delay_alu instid0(VALU_DEP_2) | instskip(SKIP_1) | instid1(VALU_DEP_3)
	v_cndmask_b32_e32 v6, v2, v6, vcc_lo
	v_cmp_gt_f64_e32 vcc_lo, 0, v[3:4]
	v_dual_mov_b32 v5, v1 :: v_dual_cndmask_b32 v8, v4, v7
	v_mov_b32_e32 v7, v3
	s_delay_alu instid0(VALU_DEP_1) | instskip(SKIP_1) | instid1(SALU_CYCLE_1)
	v_cmp_ngt_f64_e32 vcc_lo, v[5:6], v[7:8]
                                        ; implicit-def: $vgpr5_vgpr6
	s_and_saveexec_b32 s3, vcc_lo
	s_xor_b32 s3, exec_lo, s3
	s_cbranch_execz .LBB12_15
; %bb.14:
	v_div_scale_f64 v[5:6], null, v[3:4], v[3:4], v[1:2]
	v_div_scale_f64 v[11:12], vcc_lo, v[1:2], v[3:4], v[1:2]
	s_delay_alu instid0(VALU_DEP_2) | instskip(SKIP_2) | instid1(VALU_DEP_1)
	v_rcp_f64_e32 v[7:8], v[5:6]
	s_waitcnt_depctr 0xfff
	v_fma_f64 v[9:10], -v[5:6], v[7:8], 1.0
	v_fma_f64 v[7:8], v[7:8], v[9:10], v[7:8]
	s_delay_alu instid0(VALU_DEP_1) | instskip(NEXT) | instid1(VALU_DEP_1)
	v_fma_f64 v[9:10], -v[5:6], v[7:8], 1.0
	v_fma_f64 v[7:8], v[7:8], v[9:10], v[7:8]
	s_delay_alu instid0(VALU_DEP_1) | instskip(NEXT) | instid1(VALU_DEP_1)
	v_mul_f64 v[9:10], v[11:12], v[7:8]
	v_fma_f64 v[5:6], -v[5:6], v[9:10], v[11:12]
	s_delay_alu instid0(VALU_DEP_1) | instskip(NEXT) | instid1(VALU_DEP_1)
	v_div_fmas_f64 v[5:6], v[5:6], v[7:8], v[9:10]
	v_div_fixup_f64 v[5:6], v[5:6], v[3:4], v[1:2]
	s_delay_alu instid0(VALU_DEP_1) | instskip(NEXT) | instid1(VALU_DEP_1)
	v_fma_f64 v[1:2], v[1:2], v[5:6], v[3:4]
	v_div_scale_f64 v[3:4], null, v[1:2], v[1:2], 1.0
	v_div_scale_f64 v[11:12], vcc_lo, 1.0, v[1:2], 1.0
	s_delay_alu instid0(VALU_DEP_2) | instskip(SKIP_2) | instid1(VALU_DEP_1)
	v_rcp_f64_e32 v[7:8], v[3:4]
	s_waitcnt_depctr 0xfff
	v_fma_f64 v[9:10], -v[3:4], v[7:8], 1.0
	v_fma_f64 v[7:8], v[7:8], v[9:10], v[7:8]
	s_delay_alu instid0(VALU_DEP_1) | instskip(NEXT) | instid1(VALU_DEP_1)
	v_fma_f64 v[9:10], -v[3:4], v[7:8], 1.0
	v_fma_f64 v[7:8], v[7:8], v[9:10], v[7:8]
	s_delay_alu instid0(VALU_DEP_1) | instskip(NEXT) | instid1(VALU_DEP_1)
	v_mul_f64 v[9:10], v[11:12], v[7:8]
	v_fma_f64 v[3:4], -v[3:4], v[9:10], v[11:12]
	s_delay_alu instid0(VALU_DEP_1) | instskip(NEXT) | instid1(VALU_DEP_1)
	v_div_fmas_f64 v[3:4], v[3:4], v[7:8], v[9:10]
	v_div_fixup_f64 v[7:8], v[3:4], v[1:2], 1.0
                                        ; implicit-def: $vgpr1_vgpr2
	s_delay_alu instid0(VALU_DEP_1) | instskip(SKIP_1) | instid1(VALU_DEP_2)
	v_mul_f64 v[5:6], v[5:6], v[7:8]
	v_xor_b32_e32 v8, 0x80000000, v8
	v_xor_b32_e32 v10, 0x80000000, v6
	s_delay_alu instid0(VALU_DEP_3)
	v_mov_b32_e32 v9, v5
.LBB12_15:
	s_and_not1_saveexec_b32 s3, s3
	s_cbranch_execz .LBB12_17
; %bb.16:
	v_div_scale_f64 v[5:6], null, v[1:2], v[1:2], v[3:4]
	v_div_scale_f64 v[11:12], vcc_lo, v[3:4], v[1:2], v[3:4]
	s_delay_alu instid0(VALU_DEP_2) | instskip(SKIP_2) | instid1(VALU_DEP_1)
	v_rcp_f64_e32 v[7:8], v[5:6]
	s_waitcnt_depctr 0xfff
	v_fma_f64 v[9:10], -v[5:6], v[7:8], 1.0
	v_fma_f64 v[7:8], v[7:8], v[9:10], v[7:8]
	s_delay_alu instid0(VALU_DEP_1) | instskip(NEXT) | instid1(VALU_DEP_1)
	v_fma_f64 v[9:10], -v[5:6], v[7:8], 1.0
	v_fma_f64 v[7:8], v[7:8], v[9:10], v[7:8]
	s_delay_alu instid0(VALU_DEP_1) | instskip(NEXT) | instid1(VALU_DEP_1)
	v_mul_f64 v[9:10], v[11:12], v[7:8]
	v_fma_f64 v[5:6], -v[5:6], v[9:10], v[11:12]
	s_delay_alu instid0(VALU_DEP_1) | instskip(NEXT) | instid1(VALU_DEP_1)
	v_div_fmas_f64 v[5:6], v[5:6], v[7:8], v[9:10]
	v_div_fixup_f64 v[7:8], v[5:6], v[1:2], v[3:4]
	s_delay_alu instid0(VALU_DEP_1) | instskip(NEXT) | instid1(VALU_DEP_1)
	v_fma_f64 v[1:2], v[3:4], v[7:8], v[1:2]
	v_div_scale_f64 v[3:4], null, v[1:2], v[1:2], 1.0
	s_delay_alu instid0(VALU_DEP_1) | instskip(SKIP_2) | instid1(VALU_DEP_1)
	v_rcp_f64_e32 v[5:6], v[3:4]
	s_waitcnt_depctr 0xfff
	v_fma_f64 v[9:10], -v[3:4], v[5:6], 1.0
	v_fma_f64 v[5:6], v[5:6], v[9:10], v[5:6]
	s_delay_alu instid0(VALU_DEP_1) | instskip(NEXT) | instid1(VALU_DEP_1)
	v_fma_f64 v[9:10], -v[3:4], v[5:6], 1.0
	v_fma_f64 v[5:6], v[5:6], v[9:10], v[5:6]
	v_div_scale_f64 v[9:10], vcc_lo, 1.0, v[1:2], 1.0
	s_delay_alu instid0(VALU_DEP_1) | instskip(NEXT) | instid1(VALU_DEP_1)
	v_mul_f64 v[11:12], v[9:10], v[5:6]
	v_fma_f64 v[3:4], -v[3:4], v[11:12], v[9:10]
	s_delay_alu instid0(VALU_DEP_1) | instskip(NEXT) | instid1(VALU_DEP_1)
	v_div_fmas_f64 v[3:4], v[3:4], v[5:6], v[11:12]
	v_div_fixup_f64 v[5:6], v[3:4], v[1:2], 1.0
	s_delay_alu instid0(VALU_DEP_1)
	v_mul_f64 v[7:8], v[7:8], -v[5:6]
	v_xor_b32_e32 v10, 0x80000000, v6
	v_mov_b32_e32 v9, v5
.LBB12_17:
	s_or_b32 exec_lo, exec_lo, s3
	scratch_store_b128 v53, v[5:8], off
	scratch_load_b128 v[1:4], v41, off
	v_xor_b32_e32 v12, 0x80000000, v8
	v_mov_b32_e32 v11, v7
	v_add_nc_u32_e32 v5, 0xd0, v52
	ds_store_b128 v52, v[9:12]
	s_waitcnt vmcnt(0)
	ds_store_b128 v52, v[1:4] offset:208
	s_waitcnt lgkmcnt(0)
	s_waitcnt_vscnt null, 0x0
	s_barrier
	buffer_gl0_inv
	s_and_saveexec_b32 s3, s2
	s_cbranch_execz .LBB12_19
; %bb.18:
	scratch_load_b128 v[1:4], v53, off
	ds_load_b128 v[6:9], v5
	v_mov_b32_e32 v10, 0
	ds_load_b128 v[54:57], v10 offset:16
	s_waitcnt vmcnt(0) lgkmcnt(1)
	v_mul_f64 v[10:11], v[6:7], v[3:4]
	v_mul_f64 v[3:4], v[8:9], v[3:4]
	s_delay_alu instid0(VALU_DEP_2) | instskip(NEXT) | instid1(VALU_DEP_2)
	v_fma_f64 v[8:9], v[8:9], v[1:2], v[10:11]
	v_fma_f64 v[1:2], v[6:7], v[1:2], -v[3:4]
	s_delay_alu instid0(VALU_DEP_2) | instskip(NEXT) | instid1(VALU_DEP_2)
	v_add_f64 v[3:4], v[8:9], 0
	v_add_f64 v[1:2], v[1:2], 0
	s_waitcnt lgkmcnt(0)
	s_delay_alu instid0(VALU_DEP_2) | instskip(NEXT) | instid1(VALU_DEP_2)
	v_mul_f64 v[6:7], v[3:4], v[56:57]
	v_mul_f64 v[8:9], v[1:2], v[56:57]
	s_delay_alu instid0(VALU_DEP_2) | instskip(NEXT) | instid1(VALU_DEP_2)
	v_fma_f64 v[1:2], v[1:2], v[54:55], -v[6:7]
	v_fma_f64 v[3:4], v[3:4], v[54:55], v[8:9]
	scratch_store_b128 off, v[1:4], off offset:16
.LBB12_19:
	s_or_b32 exec_lo, exec_lo, s3
	s_waitcnt_vscnt null, 0x0
	s_barrier
	buffer_gl0_inv
	scratch_load_b128 v[1:4], v43, off
	s_mov_b32 s3, exec_lo
	s_waitcnt vmcnt(0)
	ds_store_b128 v5, v[1:4]
	s_waitcnt lgkmcnt(0)
	s_barrier
	buffer_gl0_inv
	v_cmpx_gt_u32_e32 2, v39
	s_cbranch_execz .LBB12_23
; %bb.20:
	scratch_load_b128 v[1:4], v53, off
	ds_load_b128 v[6:9], v5
	s_waitcnt vmcnt(0) lgkmcnt(0)
	v_mul_f64 v[10:11], v[8:9], v[3:4]
	v_mul_f64 v[3:4], v[6:7], v[3:4]
	s_delay_alu instid0(VALU_DEP_2) | instskip(NEXT) | instid1(VALU_DEP_2)
	v_fma_f64 v[6:7], v[6:7], v[1:2], -v[10:11]
	v_fma_f64 v[3:4], v[8:9], v[1:2], v[3:4]
	s_delay_alu instid0(VALU_DEP_2) | instskip(NEXT) | instid1(VALU_DEP_2)
	v_add_f64 v[1:2], v[6:7], 0
	v_add_f64 v[3:4], v[3:4], 0
	s_and_saveexec_b32 s4, s2
	s_cbranch_execz .LBB12_22
; %bb.21:
	scratch_load_b128 v[6:9], off, off offset:16
	v_mov_b32_e32 v10, 0
	ds_load_b128 v[54:57], v10 offset:224
	s_waitcnt vmcnt(0) lgkmcnt(0)
	v_mul_f64 v[10:11], v[54:55], v[8:9]
	v_mul_f64 v[8:9], v[56:57], v[8:9]
	s_delay_alu instid0(VALU_DEP_2) | instskip(NEXT) | instid1(VALU_DEP_2)
	v_fma_f64 v[10:11], v[56:57], v[6:7], v[10:11]
	v_fma_f64 v[6:7], v[54:55], v[6:7], -v[8:9]
	s_delay_alu instid0(VALU_DEP_2) | instskip(NEXT) | instid1(VALU_DEP_2)
	v_add_f64 v[3:4], v[3:4], v[10:11]
	v_add_f64 v[1:2], v[1:2], v[6:7]
.LBB12_22:
	s_or_b32 exec_lo, exec_lo, s4
	v_mov_b32_e32 v6, 0
	ds_load_b128 v[6:9], v6 offset:32
	s_waitcnt lgkmcnt(0)
	v_mul_f64 v[10:11], v[3:4], v[8:9]
	v_mul_f64 v[8:9], v[1:2], v[8:9]
	s_delay_alu instid0(VALU_DEP_2) | instskip(NEXT) | instid1(VALU_DEP_2)
	v_fma_f64 v[1:2], v[1:2], v[6:7], -v[10:11]
	v_fma_f64 v[3:4], v[3:4], v[6:7], v[8:9]
	scratch_store_b128 off, v[1:4], off offset:32
.LBB12_23:
	s_or_b32 exec_lo, exec_lo, s3
	s_waitcnt_vscnt null, 0x0
	s_barrier
	buffer_gl0_inv
	scratch_load_b128 v[1:4], v40, off
	v_add_nc_u32_e32 v6, -1, v39
	s_mov_b32 s2, exec_lo
	s_waitcnt vmcnt(0)
	ds_store_b128 v5, v[1:4]
	s_waitcnt lgkmcnt(0)
	s_barrier
	buffer_gl0_inv
	v_cmpx_gt_u32_e32 3, v39
	s_cbranch_execz .LBB12_27
; %bb.24:
	v_dual_mov_b32 v1, 0 :: v_dual_add_nc_u32 v8, 0xd0, v52
	v_dual_mov_b32 v2, 0 :: v_dual_add_nc_u32 v7, -1, v39
	v_or_b32_e32 v9, 8, v53
	s_mov_b32 s3, 0
	s_delay_alu instid0(VALU_DEP_2)
	v_dual_mov_b32 v4, v2 :: v_dual_mov_b32 v3, v1
	.p2align	6
.LBB12_25:                              ; =>This Inner Loop Header: Depth=1
	scratch_load_b128 v[54:57], v9, off offset:-8
	ds_load_b128 v[58:61], v8
	v_add_nc_u32_e32 v7, 1, v7
	v_add_nc_u32_e32 v8, 16, v8
	;; [unrolled: 1-line block ×3, first 2 shown]
	s_delay_alu instid0(VALU_DEP_3) | instskip(SKIP_4) | instid1(VALU_DEP_2)
	v_cmp_lt_u32_e32 vcc_lo, 1, v7
	s_or_b32 s3, vcc_lo, s3
	s_waitcnt vmcnt(0) lgkmcnt(0)
	v_mul_f64 v[10:11], v[60:61], v[56:57]
	v_mul_f64 v[56:57], v[58:59], v[56:57]
	v_fma_f64 v[10:11], v[58:59], v[54:55], -v[10:11]
	s_delay_alu instid0(VALU_DEP_2) | instskip(NEXT) | instid1(VALU_DEP_2)
	v_fma_f64 v[54:55], v[60:61], v[54:55], v[56:57]
	v_add_f64 v[3:4], v[3:4], v[10:11]
	s_delay_alu instid0(VALU_DEP_2)
	v_add_f64 v[1:2], v[1:2], v[54:55]
	s_and_not1_b32 exec_lo, exec_lo, s3
	s_cbranch_execnz .LBB12_25
; %bb.26:
	s_or_b32 exec_lo, exec_lo, s3
	v_mov_b32_e32 v7, 0
	ds_load_b128 v[7:10], v7 offset:48
	s_waitcnt lgkmcnt(0)
	v_mul_f64 v[11:12], v[1:2], v[9:10]
	v_mul_f64 v[54:55], v[3:4], v[9:10]
	s_delay_alu instid0(VALU_DEP_2) | instskip(NEXT) | instid1(VALU_DEP_2)
	v_fma_f64 v[9:10], v[3:4], v[7:8], -v[11:12]
	v_fma_f64 v[11:12], v[1:2], v[7:8], v[54:55]
	scratch_store_b128 off, v[9:12], off offset:48
.LBB12_27:
	s_or_b32 exec_lo, exec_lo, s2
	s_waitcnt_vscnt null, 0x0
	s_barrier
	buffer_gl0_inv
	scratch_load_b128 v[1:4], v44, off
	s_mov_b32 s2, exec_lo
	s_waitcnt vmcnt(0)
	ds_store_b128 v5, v[1:4]
	s_waitcnt lgkmcnt(0)
	s_barrier
	buffer_gl0_inv
	v_cmpx_gt_u32_e32 4, v39
	s_cbranch_execz .LBB12_31
; %bb.28:
	v_dual_mov_b32 v1, 0 :: v_dual_add_nc_u32 v8, 0xd0, v52
	v_dual_mov_b32 v2, 0 :: v_dual_add_nc_u32 v7, -1, v39
	v_or_b32_e32 v9, 8, v53
	s_mov_b32 s3, 0
	s_delay_alu instid0(VALU_DEP_2)
	v_dual_mov_b32 v4, v2 :: v_dual_mov_b32 v3, v1
	.p2align	6
.LBB12_29:                              ; =>This Inner Loop Header: Depth=1
	scratch_load_b128 v[54:57], v9, off offset:-8
	ds_load_b128 v[58:61], v8
	v_add_nc_u32_e32 v7, 1, v7
	v_add_nc_u32_e32 v8, 16, v8
	v_add_nc_u32_e32 v9, 16, v9
	s_delay_alu instid0(VALU_DEP_3) | instskip(SKIP_4) | instid1(VALU_DEP_2)
	v_cmp_lt_u32_e32 vcc_lo, 2, v7
	s_or_b32 s3, vcc_lo, s3
	s_waitcnt vmcnt(0) lgkmcnt(0)
	v_mul_f64 v[10:11], v[60:61], v[56:57]
	v_mul_f64 v[56:57], v[58:59], v[56:57]
	v_fma_f64 v[10:11], v[58:59], v[54:55], -v[10:11]
	s_delay_alu instid0(VALU_DEP_2) | instskip(NEXT) | instid1(VALU_DEP_2)
	v_fma_f64 v[54:55], v[60:61], v[54:55], v[56:57]
	v_add_f64 v[3:4], v[3:4], v[10:11]
	s_delay_alu instid0(VALU_DEP_2)
	v_add_f64 v[1:2], v[1:2], v[54:55]
	s_and_not1_b32 exec_lo, exec_lo, s3
	s_cbranch_execnz .LBB12_29
; %bb.30:
	s_or_b32 exec_lo, exec_lo, s3
	v_mov_b32_e32 v7, 0
	ds_load_b128 v[7:10], v7 offset:64
	s_waitcnt lgkmcnt(0)
	v_mul_f64 v[11:12], v[1:2], v[9:10]
	v_mul_f64 v[54:55], v[3:4], v[9:10]
	s_delay_alu instid0(VALU_DEP_2) | instskip(NEXT) | instid1(VALU_DEP_2)
	v_fma_f64 v[9:10], v[3:4], v[7:8], -v[11:12]
	v_fma_f64 v[11:12], v[1:2], v[7:8], v[54:55]
	scratch_store_b128 off, v[9:12], off offset:64
.LBB12_31:
	s_or_b32 exec_lo, exec_lo, s2
	s_waitcnt_vscnt null, 0x0
	s_barrier
	buffer_gl0_inv
	scratch_load_b128 v[1:4], v42, off
	s_mov_b32 s2, exec_lo
	s_waitcnt vmcnt(0)
	ds_store_b128 v5, v[1:4]
	s_waitcnt lgkmcnt(0)
	s_barrier
	buffer_gl0_inv
	v_cmpx_gt_u32_e32 5, v39
	s_cbranch_execz .LBB12_35
; %bb.32:
	v_dual_mov_b32 v1, 0 :: v_dual_add_nc_u32 v8, 0xd0, v52
	v_dual_mov_b32 v2, 0 :: v_dual_add_nc_u32 v7, -1, v39
	v_or_b32_e32 v9, 8, v53
	s_mov_b32 s3, 0
	s_delay_alu instid0(VALU_DEP_2)
	v_dual_mov_b32 v4, v2 :: v_dual_mov_b32 v3, v1
	.p2align	6
.LBB12_33:                              ; =>This Inner Loop Header: Depth=1
	scratch_load_b128 v[54:57], v9, off offset:-8
	ds_load_b128 v[58:61], v8
	v_add_nc_u32_e32 v7, 1, v7
	v_add_nc_u32_e32 v8, 16, v8
	;; [unrolled: 1-line block ×3, first 2 shown]
	s_delay_alu instid0(VALU_DEP_3) | instskip(SKIP_4) | instid1(VALU_DEP_2)
	v_cmp_lt_u32_e32 vcc_lo, 3, v7
	s_or_b32 s3, vcc_lo, s3
	s_waitcnt vmcnt(0) lgkmcnt(0)
	v_mul_f64 v[10:11], v[60:61], v[56:57]
	v_mul_f64 v[56:57], v[58:59], v[56:57]
	v_fma_f64 v[10:11], v[58:59], v[54:55], -v[10:11]
	s_delay_alu instid0(VALU_DEP_2) | instskip(NEXT) | instid1(VALU_DEP_2)
	v_fma_f64 v[54:55], v[60:61], v[54:55], v[56:57]
	v_add_f64 v[3:4], v[3:4], v[10:11]
	s_delay_alu instid0(VALU_DEP_2)
	v_add_f64 v[1:2], v[1:2], v[54:55]
	s_and_not1_b32 exec_lo, exec_lo, s3
	s_cbranch_execnz .LBB12_33
; %bb.34:
	s_or_b32 exec_lo, exec_lo, s3
	v_mov_b32_e32 v7, 0
	ds_load_b128 v[7:10], v7 offset:80
	s_waitcnt lgkmcnt(0)
	v_mul_f64 v[11:12], v[1:2], v[9:10]
	v_mul_f64 v[54:55], v[3:4], v[9:10]
	s_delay_alu instid0(VALU_DEP_2) | instskip(NEXT) | instid1(VALU_DEP_2)
	v_fma_f64 v[9:10], v[3:4], v[7:8], -v[11:12]
	v_fma_f64 v[11:12], v[1:2], v[7:8], v[54:55]
	scratch_store_b128 off, v[9:12], off offset:80
.LBB12_35:
	s_or_b32 exec_lo, exec_lo, s2
	s_waitcnt_vscnt null, 0x0
	s_barrier
	buffer_gl0_inv
	scratch_load_b128 v[1:4], v46, off
	s_mov_b32 s2, exec_lo
	s_waitcnt vmcnt(0)
	ds_store_b128 v5, v[1:4]
	s_waitcnt lgkmcnt(0)
	s_barrier
	buffer_gl0_inv
	v_cmpx_gt_u32_e32 6, v39
	s_cbranch_execz .LBB12_39
; %bb.36:
	v_dual_mov_b32 v1, 0 :: v_dual_add_nc_u32 v8, 0xd0, v52
	v_dual_mov_b32 v2, 0 :: v_dual_add_nc_u32 v7, -1, v39
	v_or_b32_e32 v9, 8, v53
	s_mov_b32 s3, 0
	s_delay_alu instid0(VALU_DEP_2)
	v_dual_mov_b32 v4, v2 :: v_dual_mov_b32 v3, v1
	.p2align	6
.LBB12_37:                              ; =>This Inner Loop Header: Depth=1
	scratch_load_b128 v[54:57], v9, off offset:-8
	ds_load_b128 v[58:61], v8
	v_add_nc_u32_e32 v7, 1, v7
	v_add_nc_u32_e32 v8, 16, v8
	;; [unrolled: 1-line block ×3, first 2 shown]
	s_delay_alu instid0(VALU_DEP_3) | instskip(SKIP_4) | instid1(VALU_DEP_2)
	v_cmp_lt_u32_e32 vcc_lo, 4, v7
	s_or_b32 s3, vcc_lo, s3
	s_waitcnt vmcnt(0) lgkmcnt(0)
	v_mul_f64 v[10:11], v[60:61], v[56:57]
	v_mul_f64 v[56:57], v[58:59], v[56:57]
	v_fma_f64 v[10:11], v[58:59], v[54:55], -v[10:11]
	s_delay_alu instid0(VALU_DEP_2) | instskip(NEXT) | instid1(VALU_DEP_2)
	v_fma_f64 v[54:55], v[60:61], v[54:55], v[56:57]
	v_add_f64 v[3:4], v[3:4], v[10:11]
	s_delay_alu instid0(VALU_DEP_2)
	v_add_f64 v[1:2], v[1:2], v[54:55]
	s_and_not1_b32 exec_lo, exec_lo, s3
	s_cbranch_execnz .LBB12_37
; %bb.38:
	s_or_b32 exec_lo, exec_lo, s3
	v_mov_b32_e32 v7, 0
	ds_load_b128 v[7:10], v7 offset:96
	s_waitcnt lgkmcnt(0)
	v_mul_f64 v[11:12], v[1:2], v[9:10]
	v_mul_f64 v[54:55], v[3:4], v[9:10]
	s_delay_alu instid0(VALU_DEP_2) | instskip(NEXT) | instid1(VALU_DEP_2)
	v_fma_f64 v[9:10], v[3:4], v[7:8], -v[11:12]
	v_fma_f64 v[11:12], v[1:2], v[7:8], v[54:55]
	scratch_store_b128 off, v[9:12], off offset:96
.LBB12_39:
	s_or_b32 exec_lo, exec_lo, s2
	s_waitcnt_vscnt null, 0x0
	s_barrier
	buffer_gl0_inv
	scratch_load_b128 v[1:4], v45, off
	s_mov_b32 s2, exec_lo
	s_waitcnt vmcnt(0)
	ds_store_b128 v5, v[1:4]
	s_waitcnt lgkmcnt(0)
	s_barrier
	buffer_gl0_inv
	v_cmpx_gt_u32_e32 7, v39
	s_cbranch_execz .LBB12_43
; %bb.40:
	v_dual_mov_b32 v1, 0 :: v_dual_add_nc_u32 v8, 0xd0, v52
	v_dual_mov_b32 v2, 0 :: v_dual_add_nc_u32 v7, -1, v39
	v_or_b32_e32 v9, 8, v53
	s_mov_b32 s3, 0
	s_delay_alu instid0(VALU_DEP_2)
	v_dual_mov_b32 v4, v2 :: v_dual_mov_b32 v3, v1
	.p2align	6
.LBB12_41:                              ; =>This Inner Loop Header: Depth=1
	scratch_load_b128 v[54:57], v9, off offset:-8
	ds_load_b128 v[58:61], v8
	v_add_nc_u32_e32 v7, 1, v7
	v_add_nc_u32_e32 v8, 16, v8
	;; [unrolled: 1-line block ×3, first 2 shown]
	s_delay_alu instid0(VALU_DEP_3) | instskip(SKIP_4) | instid1(VALU_DEP_2)
	v_cmp_lt_u32_e32 vcc_lo, 5, v7
	s_or_b32 s3, vcc_lo, s3
	s_waitcnt vmcnt(0) lgkmcnt(0)
	v_mul_f64 v[10:11], v[60:61], v[56:57]
	v_mul_f64 v[56:57], v[58:59], v[56:57]
	v_fma_f64 v[10:11], v[58:59], v[54:55], -v[10:11]
	s_delay_alu instid0(VALU_DEP_2) | instskip(NEXT) | instid1(VALU_DEP_2)
	v_fma_f64 v[54:55], v[60:61], v[54:55], v[56:57]
	v_add_f64 v[3:4], v[3:4], v[10:11]
	s_delay_alu instid0(VALU_DEP_2)
	v_add_f64 v[1:2], v[1:2], v[54:55]
	s_and_not1_b32 exec_lo, exec_lo, s3
	s_cbranch_execnz .LBB12_41
; %bb.42:
	s_or_b32 exec_lo, exec_lo, s3
	v_mov_b32_e32 v7, 0
	ds_load_b128 v[7:10], v7 offset:112
	s_waitcnt lgkmcnt(0)
	v_mul_f64 v[11:12], v[1:2], v[9:10]
	v_mul_f64 v[54:55], v[3:4], v[9:10]
	s_delay_alu instid0(VALU_DEP_2) | instskip(NEXT) | instid1(VALU_DEP_2)
	v_fma_f64 v[9:10], v[3:4], v[7:8], -v[11:12]
	v_fma_f64 v[11:12], v[1:2], v[7:8], v[54:55]
	scratch_store_b128 off, v[9:12], off offset:112
.LBB12_43:
	s_or_b32 exec_lo, exec_lo, s2
	s_waitcnt_vscnt null, 0x0
	s_barrier
	buffer_gl0_inv
	scratch_load_b128 v[1:4], v48, off
	s_mov_b32 s2, exec_lo
	s_waitcnt vmcnt(0)
	ds_store_b128 v5, v[1:4]
	s_waitcnt lgkmcnt(0)
	s_barrier
	buffer_gl0_inv
	v_cmpx_gt_u32_e32 8, v39
	s_cbranch_execz .LBB12_47
; %bb.44:
	v_dual_mov_b32 v1, 0 :: v_dual_add_nc_u32 v8, 0xd0, v52
	v_dual_mov_b32 v2, 0 :: v_dual_add_nc_u32 v7, -1, v39
	v_or_b32_e32 v9, 8, v53
	s_mov_b32 s3, 0
	s_delay_alu instid0(VALU_DEP_2)
	v_dual_mov_b32 v4, v2 :: v_dual_mov_b32 v3, v1
	.p2align	6
.LBB12_45:                              ; =>This Inner Loop Header: Depth=1
	scratch_load_b128 v[54:57], v9, off offset:-8
	ds_load_b128 v[58:61], v8
	v_add_nc_u32_e32 v7, 1, v7
	v_add_nc_u32_e32 v8, 16, v8
	;; [unrolled: 1-line block ×3, first 2 shown]
	s_delay_alu instid0(VALU_DEP_3) | instskip(SKIP_4) | instid1(VALU_DEP_2)
	v_cmp_lt_u32_e32 vcc_lo, 6, v7
	s_or_b32 s3, vcc_lo, s3
	s_waitcnt vmcnt(0) lgkmcnt(0)
	v_mul_f64 v[10:11], v[60:61], v[56:57]
	v_mul_f64 v[56:57], v[58:59], v[56:57]
	v_fma_f64 v[10:11], v[58:59], v[54:55], -v[10:11]
	s_delay_alu instid0(VALU_DEP_2) | instskip(NEXT) | instid1(VALU_DEP_2)
	v_fma_f64 v[54:55], v[60:61], v[54:55], v[56:57]
	v_add_f64 v[3:4], v[3:4], v[10:11]
	s_delay_alu instid0(VALU_DEP_2)
	v_add_f64 v[1:2], v[1:2], v[54:55]
	s_and_not1_b32 exec_lo, exec_lo, s3
	s_cbranch_execnz .LBB12_45
; %bb.46:
	s_or_b32 exec_lo, exec_lo, s3
	v_mov_b32_e32 v7, 0
	ds_load_b128 v[7:10], v7 offset:128
	s_waitcnt lgkmcnt(0)
	v_mul_f64 v[11:12], v[1:2], v[9:10]
	v_mul_f64 v[54:55], v[3:4], v[9:10]
	s_delay_alu instid0(VALU_DEP_2) | instskip(NEXT) | instid1(VALU_DEP_2)
	v_fma_f64 v[9:10], v[3:4], v[7:8], -v[11:12]
	v_fma_f64 v[11:12], v[1:2], v[7:8], v[54:55]
	scratch_store_b128 off, v[9:12], off offset:128
.LBB12_47:
	s_or_b32 exec_lo, exec_lo, s2
	s_waitcnt_vscnt null, 0x0
	s_barrier
	buffer_gl0_inv
	scratch_load_b128 v[1:4], v47, off
	s_mov_b32 s2, exec_lo
	s_waitcnt vmcnt(0)
	ds_store_b128 v5, v[1:4]
	s_waitcnt lgkmcnt(0)
	s_barrier
	buffer_gl0_inv
	v_cmpx_gt_u32_e32 9, v39
	s_cbranch_execz .LBB12_51
; %bb.48:
	v_dual_mov_b32 v1, 0 :: v_dual_add_nc_u32 v8, 0xd0, v52
	v_dual_mov_b32 v2, 0 :: v_dual_add_nc_u32 v7, -1, v39
	v_or_b32_e32 v9, 8, v53
	s_mov_b32 s3, 0
	s_delay_alu instid0(VALU_DEP_2)
	v_dual_mov_b32 v4, v2 :: v_dual_mov_b32 v3, v1
	.p2align	6
.LBB12_49:                              ; =>This Inner Loop Header: Depth=1
	scratch_load_b128 v[54:57], v9, off offset:-8
	ds_load_b128 v[58:61], v8
	v_add_nc_u32_e32 v7, 1, v7
	v_add_nc_u32_e32 v8, 16, v8
	;; [unrolled: 1-line block ×3, first 2 shown]
	s_delay_alu instid0(VALU_DEP_3) | instskip(SKIP_4) | instid1(VALU_DEP_2)
	v_cmp_lt_u32_e32 vcc_lo, 7, v7
	s_or_b32 s3, vcc_lo, s3
	s_waitcnt vmcnt(0) lgkmcnt(0)
	v_mul_f64 v[10:11], v[60:61], v[56:57]
	v_mul_f64 v[56:57], v[58:59], v[56:57]
	v_fma_f64 v[10:11], v[58:59], v[54:55], -v[10:11]
	s_delay_alu instid0(VALU_DEP_2) | instskip(NEXT) | instid1(VALU_DEP_2)
	v_fma_f64 v[54:55], v[60:61], v[54:55], v[56:57]
	v_add_f64 v[3:4], v[3:4], v[10:11]
	s_delay_alu instid0(VALU_DEP_2)
	v_add_f64 v[1:2], v[1:2], v[54:55]
	s_and_not1_b32 exec_lo, exec_lo, s3
	s_cbranch_execnz .LBB12_49
; %bb.50:
	s_or_b32 exec_lo, exec_lo, s3
	v_mov_b32_e32 v7, 0
	ds_load_b128 v[7:10], v7 offset:144
	s_waitcnt lgkmcnt(0)
	v_mul_f64 v[11:12], v[1:2], v[9:10]
	v_mul_f64 v[54:55], v[3:4], v[9:10]
	s_delay_alu instid0(VALU_DEP_2) | instskip(NEXT) | instid1(VALU_DEP_2)
	v_fma_f64 v[9:10], v[3:4], v[7:8], -v[11:12]
	v_fma_f64 v[11:12], v[1:2], v[7:8], v[54:55]
	scratch_store_b128 off, v[9:12], off offset:144
.LBB12_51:
	s_or_b32 exec_lo, exec_lo, s2
	s_waitcnt_vscnt null, 0x0
	s_barrier
	buffer_gl0_inv
	scratch_load_b128 v[1:4], v50, off
	s_mov_b32 s2, exec_lo
	s_waitcnt vmcnt(0)
	ds_store_b128 v5, v[1:4]
	s_waitcnt lgkmcnt(0)
	s_barrier
	buffer_gl0_inv
	v_cmpx_gt_u32_e32 10, v39
	s_cbranch_execz .LBB12_55
; %bb.52:
	v_dual_mov_b32 v1, 0 :: v_dual_add_nc_u32 v8, 0xd0, v52
	v_dual_mov_b32 v2, 0 :: v_dual_add_nc_u32 v7, -1, v39
	v_or_b32_e32 v9, 8, v53
	s_mov_b32 s3, 0
	s_delay_alu instid0(VALU_DEP_2)
	v_dual_mov_b32 v4, v2 :: v_dual_mov_b32 v3, v1
	.p2align	6
.LBB12_53:                              ; =>This Inner Loop Header: Depth=1
	scratch_load_b128 v[54:57], v9, off offset:-8
	ds_load_b128 v[58:61], v8
	v_add_nc_u32_e32 v7, 1, v7
	v_add_nc_u32_e32 v8, 16, v8
	;; [unrolled: 1-line block ×3, first 2 shown]
	s_delay_alu instid0(VALU_DEP_3) | instskip(SKIP_4) | instid1(VALU_DEP_2)
	v_cmp_lt_u32_e32 vcc_lo, 8, v7
	s_or_b32 s3, vcc_lo, s3
	s_waitcnt vmcnt(0) lgkmcnt(0)
	v_mul_f64 v[10:11], v[60:61], v[56:57]
	v_mul_f64 v[56:57], v[58:59], v[56:57]
	v_fma_f64 v[10:11], v[58:59], v[54:55], -v[10:11]
	s_delay_alu instid0(VALU_DEP_2) | instskip(NEXT) | instid1(VALU_DEP_2)
	v_fma_f64 v[54:55], v[60:61], v[54:55], v[56:57]
	v_add_f64 v[3:4], v[3:4], v[10:11]
	s_delay_alu instid0(VALU_DEP_2)
	v_add_f64 v[1:2], v[1:2], v[54:55]
	s_and_not1_b32 exec_lo, exec_lo, s3
	s_cbranch_execnz .LBB12_53
; %bb.54:
	s_or_b32 exec_lo, exec_lo, s3
	v_mov_b32_e32 v7, 0
	ds_load_b128 v[7:10], v7 offset:160
	s_waitcnt lgkmcnt(0)
	v_mul_f64 v[11:12], v[1:2], v[9:10]
	v_mul_f64 v[54:55], v[3:4], v[9:10]
	s_delay_alu instid0(VALU_DEP_2) | instskip(NEXT) | instid1(VALU_DEP_2)
	v_fma_f64 v[9:10], v[3:4], v[7:8], -v[11:12]
	v_fma_f64 v[11:12], v[1:2], v[7:8], v[54:55]
	scratch_store_b128 off, v[9:12], off offset:160
.LBB12_55:
	s_or_b32 exec_lo, exec_lo, s2
	s_waitcnt_vscnt null, 0x0
	s_barrier
	buffer_gl0_inv
	scratch_load_b128 v[1:4], v51, off
	s_mov_b32 s2, exec_lo
	s_waitcnt vmcnt(0)
	ds_store_b128 v5, v[1:4]
	s_waitcnt lgkmcnt(0)
	s_barrier
	buffer_gl0_inv
	v_cmpx_gt_u32_e32 11, v39
	s_cbranch_execz .LBB12_59
; %bb.56:
	v_dual_mov_b32 v1, 0 :: v_dual_add_nc_u32 v8, 0xd0, v52
	v_dual_mov_b32 v2, 0 :: v_dual_add_nc_u32 v7, -1, v39
	v_or_b32_e32 v9, 8, v53
	s_mov_b32 s3, 0
	s_delay_alu instid0(VALU_DEP_2)
	v_dual_mov_b32 v4, v2 :: v_dual_mov_b32 v3, v1
	.p2align	6
.LBB12_57:                              ; =>This Inner Loop Header: Depth=1
	scratch_load_b128 v[54:57], v9, off offset:-8
	ds_load_b128 v[58:61], v8
	v_add_nc_u32_e32 v7, 1, v7
	v_add_nc_u32_e32 v8, 16, v8
	;; [unrolled: 1-line block ×3, first 2 shown]
	s_delay_alu instid0(VALU_DEP_3) | instskip(SKIP_4) | instid1(VALU_DEP_2)
	v_cmp_lt_u32_e32 vcc_lo, 9, v7
	s_or_b32 s3, vcc_lo, s3
	s_waitcnt vmcnt(0) lgkmcnt(0)
	v_mul_f64 v[10:11], v[60:61], v[56:57]
	v_mul_f64 v[56:57], v[58:59], v[56:57]
	v_fma_f64 v[10:11], v[58:59], v[54:55], -v[10:11]
	s_delay_alu instid0(VALU_DEP_2) | instskip(NEXT) | instid1(VALU_DEP_2)
	v_fma_f64 v[54:55], v[60:61], v[54:55], v[56:57]
	v_add_f64 v[3:4], v[3:4], v[10:11]
	s_delay_alu instid0(VALU_DEP_2)
	v_add_f64 v[1:2], v[1:2], v[54:55]
	s_and_not1_b32 exec_lo, exec_lo, s3
	s_cbranch_execnz .LBB12_57
; %bb.58:
	s_or_b32 exec_lo, exec_lo, s3
	v_mov_b32_e32 v7, 0
	ds_load_b128 v[7:10], v7 offset:176
	s_waitcnt lgkmcnt(0)
	v_mul_f64 v[11:12], v[1:2], v[9:10]
	v_mul_f64 v[54:55], v[3:4], v[9:10]
	s_delay_alu instid0(VALU_DEP_2) | instskip(NEXT) | instid1(VALU_DEP_2)
	v_fma_f64 v[9:10], v[3:4], v[7:8], -v[11:12]
	v_fma_f64 v[11:12], v[1:2], v[7:8], v[54:55]
	scratch_store_b128 off, v[9:12], off offset:176
.LBB12_59:
	s_or_b32 exec_lo, exec_lo, s2
	s_waitcnt_vscnt null, 0x0
	s_barrier
	buffer_gl0_inv
	scratch_load_b128 v[1:4], v49, off
	s_mov_b32 s2, exec_lo
	s_waitcnt vmcnt(0)
	ds_store_b128 v5, v[1:4]
	s_waitcnt lgkmcnt(0)
	s_barrier
	buffer_gl0_inv
	v_cmpx_ne_u32_e32 12, v39
	s_cbranch_execz .LBB12_63
; %bb.60:
	v_mov_b32_e32 v1, 0
	v_mov_b32_e32 v2, 0
	v_or_b32_e32 v7, 8, v53
	s_mov_b32 s3, 0
	s_delay_alu instid0(VALU_DEP_2)
	v_dual_mov_b32 v4, v2 :: v_dual_mov_b32 v3, v1
	.p2align	6
.LBB12_61:                              ; =>This Inner Loop Header: Depth=1
	scratch_load_b128 v[8:11], v7, off offset:-8
	ds_load_b128 v[52:55], v5
	v_add_nc_u32_e32 v6, 1, v6
	v_add_nc_u32_e32 v5, 16, v5
	v_add_nc_u32_e32 v7, 16, v7
	s_delay_alu instid0(VALU_DEP_3) | instskip(SKIP_4) | instid1(VALU_DEP_2)
	v_cmp_lt_u32_e32 vcc_lo, 10, v6
	s_or_b32 s3, vcc_lo, s3
	s_waitcnt vmcnt(0) lgkmcnt(0)
	v_mul_f64 v[56:57], v[54:55], v[10:11]
	v_mul_f64 v[10:11], v[52:53], v[10:11]
	v_fma_f64 v[52:53], v[52:53], v[8:9], -v[56:57]
	s_delay_alu instid0(VALU_DEP_2) | instskip(NEXT) | instid1(VALU_DEP_2)
	v_fma_f64 v[8:9], v[54:55], v[8:9], v[10:11]
	v_add_f64 v[3:4], v[3:4], v[52:53]
	s_delay_alu instid0(VALU_DEP_2)
	v_add_f64 v[1:2], v[1:2], v[8:9]
	s_and_not1_b32 exec_lo, exec_lo, s3
	s_cbranch_execnz .LBB12_61
; %bb.62:
	s_or_b32 exec_lo, exec_lo, s3
	v_mov_b32_e32 v5, 0
	ds_load_b128 v[5:8], v5 offset:192
	s_waitcnt lgkmcnt(0)
	v_mul_f64 v[9:10], v[1:2], v[7:8]
	v_mul_f64 v[7:8], v[3:4], v[7:8]
	s_delay_alu instid0(VALU_DEP_2) | instskip(NEXT) | instid1(VALU_DEP_2)
	v_fma_f64 v[3:4], v[3:4], v[5:6], -v[9:10]
	v_fma_f64 v[5:6], v[1:2], v[5:6], v[7:8]
	scratch_store_b128 off, v[3:6], off offset:192
.LBB12_63:
	s_or_b32 exec_lo, exec_lo, s2
	s_mov_b32 s3, -1
	s_waitcnt_vscnt null, 0x0
	s_barrier
	buffer_gl0_inv
.LBB12_64:
	s_and_b32 vcc_lo, exec_lo, s3
	s_cbranch_vccz .LBB12_66
; %bb.65:
	s_lshl_b64 s[2:3], s[18:19], 2
	v_mov_b32_e32 v1, 0
	s_add_u32 s2, s6, s2
	s_addc_u32 s3, s7, s3
	global_load_b32 v1, v1, s[2:3]
	s_waitcnt vmcnt(0)
	v_cmp_ne_u32_e32 vcc_lo, 0, v1
	s_cbranch_vccz .LBB12_67
.LBB12_66:
	s_endpgm
.LBB12_67:
	v_lshl_add_u32 v5, v39, 4, 0xd0
	s_mov_b32 s2, exec_lo
	v_cmpx_eq_u32_e32 12, v39
	s_cbranch_execz .LBB12_69
; %bb.68:
	scratch_load_b128 v[1:4], v51, off
	v_mov_b32_e32 v6, 0
	s_delay_alu instid0(VALU_DEP_1)
	v_mov_b32_e32 v7, v6
	v_mov_b32_e32 v8, v6
	;; [unrolled: 1-line block ×3, first 2 shown]
	scratch_store_b128 off, v[6:9], off offset:176
	s_waitcnt vmcnt(0)
	ds_store_b128 v5, v[1:4]
.LBB12_69:
	s_or_b32 exec_lo, exec_lo, s2
	s_waitcnt lgkmcnt(0)
	s_waitcnt_vscnt null, 0x0
	s_barrier
	buffer_gl0_inv
	s_clause 0x1
	scratch_load_b128 v[6:9], off, off offset:192
	scratch_load_b128 v[52:55], off, off offset:176
	v_mov_b32_e32 v1, 0
	s_mov_b32 s2, exec_lo
	ds_load_b128 v[56:59], v1 offset:400
	s_waitcnt vmcnt(1) lgkmcnt(0)
	v_mul_f64 v[2:3], v[58:59], v[8:9]
	v_mul_f64 v[8:9], v[56:57], v[8:9]
	s_delay_alu instid0(VALU_DEP_2) | instskip(NEXT) | instid1(VALU_DEP_2)
	v_fma_f64 v[2:3], v[56:57], v[6:7], -v[2:3]
	v_fma_f64 v[6:7], v[58:59], v[6:7], v[8:9]
	s_delay_alu instid0(VALU_DEP_2) | instskip(NEXT) | instid1(VALU_DEP_2)
	v_add_f64 v[2:3], v[2:3], 0
	v_add_f64 v[8:9], v[6:7], 0
	s_waitcnt vmcnt(0)
	s_delay_alu instid0(VALU_DEP_2) | instskip(NEXT) | instid1(VALU_DEP_2)
	v_add_f64 v[6:7], v[52:53], -v[2:3]
	v_add_f64 v[8:9], v[54:55], -v[8:9]
	scratch_store_b128 off, v[6:9], off offset:176
	v_cmpx_lt_u32_e32 10, v39
	s_cbranch_execz .LBB12_71
; %bb.70:
	scratch_load_b128 v[6:9], v50, off
	v_mov_b32_e32 v2, v1
	v_mov_b32_e32 v3, v1
	;; [unrolled: 1-line block ×3, first 2 shown]
	scratch_store_b128 off, v[1:4], off offset:160
	s_waitcnt vmcnt(0)
	ds_store_b128 v5, v[6:9]
.LBB12_71:
	s_or_b32 exec_lo, exec_lo, s2
	s_waitcnt lgkmcnt(0)
	s_waitcnt_vscnt null, 0x0
	s_barrier
	buffer_gl0_inv
	s_clause 0x2
	scratch_load_b128 v[6:9], off, off offset:176
	scratch_load_b128 v[52:55], off, off offset:192
	;; [unrolled: 1-line block ×3, first 2 shown]
	ds_load_b128 v[60:63], v1 offset:384
	ds_load_b128 v[1:4], v1 offset:400
	s_mov_b32 s2, exec_lo
	s_waitcnt vmcnt(2) lgkmcnt(1)
	v_mul_f64 v[10:11], v[62:63], v[8:9]
	v_mul_f64 v[8:9], v[60:61], v[8:9]
	s_waitcnt vmcnt(1) lgkmcnt(0)
	v_mul_f64 v[64:65], v[1:2], v[54:55]
	v_mul_f64 v[54:55], v[3:4], v[54:55]
	s_delay_alu instid0(VALU_DEP_4) | instskip(NEXT) | instid1(VALU_DEP_4)
	v_fma_f64 v[10:11], v[60:61], v[6:7], -v[10:11]
	v_fma_f64 v[6:7], v[62:63], v[6:7], v[8:9]
	s_delay_alu instid0(VALU_DEP_4) | instskip(NEXT) | instid1(VALU_DEP_4)
	v_fma_f64 v[3:4], v[3:4], v[52:53], v[64:65]
	v_fma_f64 v[1:2], v[1:2], v[52:53], -v[54:55]
	s_delay_alu instid0(VALU_DEP_4) | instskip(NEXT) | instid1(VALU_DEP_4)
	v_add_f64 v[8:9], v[10:11], 0
	v_add_f64 v[6:7], v[6:7], 0
	s_delay_alu instid0(VALU_DEP_2) | instskip(NEXT) | instid1(VALU_DEP_2)
	v_add_f64 v[1:2], v[8:9], v[1:2]
	v_add_f64 v[3:4], v[6:7], v[3:4]
	s_waitcnt vmcnt(0)
	s_delay_alu instid0(VALU_DEP_2) | instskip(NEXT) | instid1(VALU_DEP_2)
	v_add_f64 v[1:2], v[56:57], -v[1:2]
	v_add_f64 v[3:4], v[58:59], -v[3:4]
	scratch_store_b128 off, v[1:4], off offset:160
	v_cmpx_lt_u32_e32 9, v39
	s_cbranch_execz .LBB12_73
; %bb.72:
	scratch_load_b128 v[1:4], v47, off
	v_mov_b32_e32 v6, 0
	s_delay_alu instid0(VALU_DEP_1)
	v_mov_b32_e32 v7, v6
	v_mov_b32_e32 v8, v6
	;; [unrolled: 1-line block ×3, first 2 shown]
	scratch_store_b128 off, v[6:9], off offset:144
	s_waitcnt vmcnt(0)
	ds_store_b128 v5, v[1:4]
.LBB12_73:
	s_or_b32 exec_lo, exec_lo, s2
	s_waitcnt lgkmcnt(0)
	s_waitcnt_vscnt null, 0x0
	s_barrier
	buffer_gl0_inv
	s_clause 0x3
	scratch_load_b128 v[6:9], off, off offset:160
	scratch_load_b128 v[52:55], off, off offset:176
	scratch_load_b128 v[56:59], off, off offset:192
	scratch_load_b128 v[60:63], off, off offset:144
	v_mov_b32_e32 v1, 0
	ds_load_b128 v[64:67], v1 offset:368
	ds_load_b128 v[68:71], v1 offset:384
	s_mov_b32 s2, exec_lo
	s_waitcnt vmcnt(3) lgkmcnt(1)
	v_mul_f64 v[2:3], v[66:67], v[8:9]
	v_mul_f64 v[8:9], v[64:65], v[8:9]
	s_waitcnt vmcnt(2) lgkmcnt(0)
	v_mul_f64 v[10:11], v[68:69], v[54:55]
	v_mul_f64 v[54:55], v[70:71], v[54:55]
	s_delay_alu instid0(VALU_DEP_4) | instskip(NEXT) | instid1(VALU_DEP_4)
	v_fma_f64 v[2:3], v[64:65], v[6:7], -v[2:3]
	v_fma_f64 v[64:65], v[66:67], v[6:7], v[8:9]
	ds_load_b128 v[6:9], v1 offset:400
	v_fma_f64 v[10:11], v[70:71], v[52:53], v[10:11]
	v_fma_f64 v[52:53], v[68:69], v[52:53], -v[54:55]
	s_waitcnt vmcnt(1) lgkmcnt(0)
	v_mul_f64 v[66:67], v[6:7], v[58:59]
	v_mul_f64 v[58:59], v[8:9], v[58:59]
	v_add_f64 v[2:3], v[2:3], 0
	v_add_f64 v[54:55], v[64:65], 0
	s_delay_alu instid0(VALU_DEP_4) | instskip(NEXT) | instid1(VALU_DEP_4)
	v_fma_f64 v[8:9], v[8:9], v[56:57], v[66:67]
	v_fma_f64 v[6:7], v[6:7], v[56:57], -v[58:59]
	s_delay_alu instid0(VALU_DEP_4) | instskip(NEXT) | instid1(VALU_DEP_4)
	v_add_f64 v[2:3], v[2:3], v[52:53]
	v_add_f64 v[10:11], v[54:55], v[10:11]
	s_delay_alu instid0(VALU_DEP_2) | instskip(NEXT) | instid1(VALU_DEP_2)
	v_add_f64 v[2:3], v[2:3], v[6:7]
	v_add_f64 v[8:9], v[10:11], v[8:9]
	s_waitcnt vmcnt(0)
	s_delay_alu instid0(VALU_DEP_2) | instskip(NEXT) | instid1(VALU_DEP_2)
	v_add_f64 v[6:7], v[60:61], -v[2:3]
	v_add_f64 v[8:9], v[62:63], -v[8:9]
	scratch_store_b128 off, v[6:9], off offset:144
	v_cmpx_lt_u32_e32 8, v39
	s_cbranch_execz .LBB12_75
; %bb.74:
	scratch_load_b128 v[6:9], v48, off
	v_mov_b32_e32 v2, v1
	v_mov_b32_e32 v3, v1
	;; [unrolled: 1-line block ×3, first 2 shown]
	scratch_store_b128 off, v[1:4], off offset:128
	s_waitcnt vmcnt(0)
	ds_store_b128 v5, v[6:9]
.LBB12_75:
	s_or_b32 exec_lo, exec_lo, s2
	s_waitcnt lgkmcnt(0)
	s_waitcnt_vscnt null, 0x0
	s_barrier
	buffer_gl0_inv
	s_clause 0x4
	scratch_load_b128 v[6:9], off, off offset:144
	scratch_load_b128 v[52:55], off, off offset:160
	;; [unrolled: 1-line block ×5, first 2 shown]
	ds_load_b128 v[68:71], v1 offset:352
	ds_load_b128 v[72:75], v1 offset:368
	s_mov_b32 s2, exec_lo
	s_waitcnt vmcnt(4) lgkmcnt(1)
	v_mul_f64 v[2:3], v[70:71], v[8:9]
	v_mul_f64 v[8:9], v[68:69], v[8:9]
	s_waitcnt vmcnt(3) lgkmcnt(0)
	v_mul_f64 v[10:11], v[72:73], v[54:55]
	v_mul_f64 v[54:55], v[74:75], v[54:55]
	s_delay_alu instid0(VALU_DEP_4) | instskip(NEXT) | instid1(VALU_DEP_4)
	v_fma_f64 v[68:69], v[68:69], v[6:7], -v[2:3]
	v_fma_f64 v[70:71], v[70:71], v[6:7], v[8:9]
	ds_load_b128 v[6:9], v1 offset:384
	ds_load_b128 v[1:4], v1 offset:400
	v_fma_f64 v[10:11], v[74:75], v[52:53], v[10:11]
	v_fma_f64 v[52:53], v[72:73], v[52:53], -v[54:55]
	s_waitcnt vmcnt(2) lgkmcnt(1)
	v_mul_f64 v[76:77], v[6:7], v[58:59]
	v_mul_f64 v[58:59], v[8:9], v[58:59]
	v_add_f64 v[54:55], v[68:69], 0
	v_add_f64 v[68:69], v[70:71], 0
	s_waitcnt vmcnt(1) lgkmcnt(0)
	v_mul_f64 v[70:71], v[1:2], v[62:63]
	v_mul_f64 v[62:63], v[3:4], v[62:63]
	v_fma_f64 v[8:9], v[8:9], v[56:57], v[76:77]
	v_fma_f64 v[6:7], v[6:7], v[56:57], -v[58:59]
	v_add_f64 v[52:53], v[54:55], v[52:53]
	v_add_f64 v[10:11], v[68:69], v[10:11]
	v_fma_f64 v[3:4], v[3:4], v[60:61], v[70:71]
	v_fma_f64 v[1:2], v[1:2], v[60:61], -v[62:63]
	s_delay_alu instid0(VALU_DEP_4) | instskip(NEXT) | instid1(VALU_DEP_4)
	v_add_f64 v[6:7], v[52:53], v[6:7]
	v_add_f64 v[8:9], v[10:11], v[8:9]
	s_delay_alu instid0(VALU_DEP_2) | instskip(NEXT) | instid1(VALU_DEP_2)
	v_add_f64 v[1:2], v[6:7], v[1:2]
	v_add_f64 v[3:4], v[8:9], v[3:4]
	s_waitcnt vmcnt(0)
	s_delay_alu instid0(VALU_DEP_2) | instskip(NEXT) | instid1(VALU_DEP_2)
	v_add_f64 v[1:2], v[64:65], -v[1:2]
	v_add_f64 v[3:4], v[66:67], -v[3:4]
	scratch_store_b128 off, v[1:4], off offset:128
	v_cmpx_lt_u32_e32 7, v39
	s_cbranch_execz .LBB12_77
; %bb.76:
	scratch_load_b128 v[1:4], v45, off
	v_mov_b32_e32 v6, 0
	s_delay_alu instid0(VALU_DEP_1)
	v_mov_b32_e32 v7, v6
	v_mov_b32_e32 v8, v6
	;; [unrolled: 1-line block ×3, first 2 shown]
	scratch_store_b128 off, v[6:9], off offset:112
	s_waitcnt vmcnt(0)
	ds_store_b128 v5, v[1:4]
.LBB12_77:
	s_or_b32 exec_lo, exec_lo, s2
	s_waitcnt lgkmcnt(0)
	s_waitcnt_vscnt null, 0x0
	s_barrier
	buffer_gl0_inv
	s_clause 0x5
	scratch_load_b128 v[6:9], off, off offset:128
	scratch_load_b128 v[52:55], off, off offset:144
	;; [unrolled: 1-line block ×6, first 2 shown]
	v_mov_b32_e32 v1, 0
	ds_load_b128 v[72:75], v1 offset:336
	ds_load_b128 v[76:79], v1 offset:352
	s_mov_b32 s2, exec_lo
	s_waitcnt vmcnt(5) lgkmcnt(1)
	v_mul_f64 v[2:3], v[74:75], v[8:9]
	v_mul_f64 v[8:9], v[72:73], v[8:9]
	s_waitcnt vmcnt(4) lgkmcnt(0)
	v_mul_f64 v[10:11], v[76:77], v[54:55]
	v_mul_f64 v[54:55], v[78:79], v[54:55]
	s_delay_alu instid0(VALU_DEP_4) | instskip(NEXT) | instid1(VALU_DEP_4)
	v_fma_f64 v[2:3], v[72:73], v[6:7], -v[2:3]
	v_fma_f64 v[80:81], v[74:75], v[6:7], v[8:9]
	ds_load_b128 v[6:9], v1 offset:368
	ds_load_b128 v[72:75], v1 offset:384
	v_fma_f64 v[10:11], v[78:79], v[52:53], v[10:11]
	v_fma_f64 v[52:53], v[76:77], v[52:53], -v[54:55]
	s_waitcnt vmcnt(3) lgkmcnt(1)
	v_mul_f64 v[82:83], v[6:7], v[58:59]
	v_mul_f64 v[58:59], v[8:9], v[58:59]
	s_waitcnt vmcnt(2) lgkmcnt(0)
	v_mul_f64 v[76:77], v[72:73], v[62:63]
	v_mul_f64 v[62:63], v[74:75], v[62:63]
	v_add_f64 v[2:3], v[2:3], 0
	v_add_f64 v[54:55], v[80:81], 0
	v_fma_f64 v[78:79], v[8:9], v[56:57], v[82:83]
	v_fma_f64 v[56:57], v[6:7], v[56:57], -v[58:59]
	ds_load_b128 v[6:9], v1 offset:400
	v_fma_f64 v[58:59], v[74:75], v[60:61], v[76:77]
	v_fma_f64 v[60:61], v[72:73], v[60:61], -v[62:63]
	v_add_f64 v[2:3], v[2:3], v[52:53]
	v_add_f64 v[10:11], v[54:55], v[10:11]
	s_waitcnt vmcnt(1) lgkmcnt(0)
	v_mul_f64 v[52:53], v[6:7], v[66:67]
	v_mul_f64 v[54:55], v[8:9], v[66:67]
	s_delay_alu instid0(VALU_DEP_4) | instskip(NEXT) | instid1(VALU_DEP_4)
	v_add_f64 v[2:3], v[2:3], v[56:57]
	v_add_f64 v[10:11], v[10:11], v[78:79]
	s_delay_alu instid0(VALU_DEP_4) | instskip(NEXT) | instid1(VALU_DEP_4)
	v_fma_f64 v[8:9], v[8:9], v[64:65], v[52:53]
	v_fma_f64 v[6:7], v[6:7], v[64:65], -v[54:55]
	s_delay_alu instid0(VALU_DEP_4) | instskip(NEXT) | instid1(VALU_DEP_4)
	v_add_f64 v[2:3], v[2:3], v[60:61]
	v_add_f64 v[10:11], v[10:11], v[58:59]
	s_delay_alu instid0(VALU_DEP_2) | instskip(NEXT) | instid1(VALU_DEP_2)
	v_add_f64 v[2:3], v[2:3], v[6:7]
	v_add_f64 v[8:9], v[10:11], v[8:9]
	s_waitcnt vmcnt(0)
	s_delay_alu instid0(VALU_DEP_2) | instskip(NEXT) | instid1(VALU_DEP_2)
	v_add_f64 v[6:7], v[68:69], -v[2:3]
	v_add_f64 v[8:9], v[70:71], -v[8:9]
	scratch_store_b128 off, v[6:9], off offset:112
	v_cmpx_lt_u32_e32 6, v39
	s_cbranch_execz .LBB12_79
; %bb.78:
	scratch_load_b128 v[6:9], v46, off
	v_mov_b32_e32 v2, v1
	v_mov_b32_e32 v3, v1
	;; [unrolled: 1-line block ×3, first 2 shown]
	scratch_store_b128 off, v[1:4], off offset:96
	s_waitcnt vmcnt(0)
	ds_store_b128 v5, v[6:9]
.LBB12_79:
	s_or_b32 exec_lo, exec_lo, s2
	s_waitcnt lgkmcnt(0)
	s_waitcnt_vscnt null, 0x0
	s_barrier
	buffer_gl0_inv
	s_clause 0x5
	scratch_load_b128 v[6:9], off, off offset:112
	scratch_load_b128 v[52:55], off, off offset:128
	;; [unrolled: 1-line block ×6, first 2 shown]
	ds_load_b128 v[72:75], v1 offset:320
	ds_load_b128 v[80:83], v1 offset:336
	scratch_load_b128 v[76:79], off, off offset:96
	s_mov_b32 s2, exec_lo
	s_waitcnt vmcnt(6) lgkmcnt(1)
	v_mul_f64 v[2:3], v[74:75], v[8:9]
	v_mul_f64 v[8:9], v[72:73], v[8:9]
	s_waitcnt vmcnt(5) lgkmcnt(0)
	v_mul_f64 v[10:11], v[80:81], v[54:55]
	v_mul_f64 v[54:55], v[82:83], v[54:55]
	s_delay_alu instid0(VALU_DEP_4) | instskip(NEXT) | instid1(VALU_DEP_4)
	v_fma_f64 v[2:3], v[72:73], v[6:7], -v[2:3]
	v_fma_f64 v[84:85], v[74:75], v[6:7], v[8:9]
	ds_load_b128 v[6:9], v1 offset:352
	ds_load_b128 v[72:75], v1 offset:368
	v_fma_f64 v[10:11], v[82:83], v[52:53], v[10:11]
	v_fma_f64 v[52:53], v[80:81], v[52:53], -v[54:55]
	s_waitcnt vmcnt(4) lgkmcnt(1)
	v_mul_f64 v[86:87], v[6:7], v[58:59]
	v_mul_f64 v[58:59], v[8:9], v[58:59]
	s_waitcnt vmcnt(3) lgkmcnt(0)
	v_mul_f64 v[80:81], v[72:73], v[62:63]
	v_mul_f64 v[62:63], v[74:75], v[62:63]
	v_add_f64 v[2:3], v[2:3], 0
	v_add_f64 v[54:55], v[84:85], 0
	v_fma_f64 v[82:83], v[8:9], v[56:57], v[86:87]
	v_fma_f64 v[56:57], v[6:7], v[56:57], -v[58:59]
	s_delay_alu instid0(VALU_DEP_4) | instskip(NEXT) | instid1(VALU_DEP_4)
	v_add_f64 v[52:53], v[2:3], v[52:53]
	v_add_f64 v[10:11], v[54:55], v[10:11]
	ds_load_b128 v[6:9], v1 offset:384
	ds_load_b128 v[1:4], v1 offset:400
	s_waitcnt vmcnt(2) lgkmcnt(1)
	v_mul_f64 v[54:55], v[6:7], v[66:67]
	v_mul_f64 v[58:59], v[8:9], v[66:67]
	v_fma_f64 v[66:67], v[74:75], v[60:61], v[80:81]
	v_fma_f64 v[60:61], v[72:73], v[60:61], -v[62:63]
	s_waitcnt vmcnt(1) lgkmcnt(0)
	v_mul_f64 v[62:63], v[3:4], v[70:71]
	v_add_f64 v[52:53], v[52:53], v[56:57]
	v_add_f64 v[10:11], v[10:11], v[82:83]
	v_mul_f64 v[56:57], v[1:2], v[70:71]
	v_fma_f64 v[8:9], v[8:9], v[64:65], v[54:55]
	v_fma_f64 v[6:7], v[6:7], v[64:65], -v[58:59]
	v_fma_f64 v[1:2], v[1:2], v[68:69], -v[62:63]
	v_add_f64 v[52:53], v[52:53], v[60:61]
	v_add_f64 v[10:11], v[10:11], v[66:67]
	v_fma_f64 v[3:4], v[3:4], v[68:69], v[56:57]
	s_delay_alu instid0(VALU_DEP_3) | instskip(NEXT) | instid1(VALU_DEP_3)
	v_add_f64 v[6:7], v[52:53], v[6:7]
	v_add_f64 v[8:9], v[10:11], v[8:9]
	s_delay_alu instid0(VALU_DEP_2) | instskip(NEXT) | instid1(VALU_DEP_2)
	v_add_f64 v[1:2], v[6:7], v[1:2]
	v_add_f64 v[3:4], v[8:9], v[3:4]
	s_waitcnt vmcnt(0)
	s_delay_alu instid0(VALU_DEP_2) | instskip(NEXT) | instid1(VALU_DEP_2)
	v_add_f64 v[1:2], v[76:77], -v[1:2]
	v_add_f64 v[3:4], v[78:79], -v[3:4]
	scratch_store_b128 off, v[1:4], off offset:96
	v_cmpx_lt_u32_e32 5, v39
	s_cbranch_execz .LBB12_81
; %bb.80:
	scratch_load_b128 v[1:4], v42, off
	v_mov_b32_e32 v6, 0
	s_delay_alu instid0(VALU_DEP_1)
	v_mov_b32_e32 v7, v6
	v_mov_b32_e32 v8, v6
	;; [unrolled: 1-line block ×3, first 2 shown]
	scratch_store_b128 off, v[6:9], off offset:80
	s_waitcnt vmcnt(0)
	ds_store_b128 v5, v[1:4]
.LBB12_81:
	s_or_b32 exec_lo, exec_lo, s2
	s_waitcnt lgkmcnt(0)
	s_waitcnt_vscnt null, 0x0
	s_barrier
	buffer_gl0_inv
	s_clause 0x6
	scratch_load_b128 v[6:9], off, off offset:96
	scratch_load_b128 v[52:55], off, off offset:112
	;; [unrolled: 1-line block ×7, first 2 shown]
	v_mov_b32_e32 v1, 0
	scratch_load_b128 v[80:83], off, off offset:80
	s_mov_b32 s2, exec_lo
	ds_load_b128 v[76:79], v1 offset:304
	ds_load_b128 v[84:87], v1 offset:320
	s_waitcnt vmcnt(7) lgkmcnt(1)
	v_mul_f64 v[2:3], v[78:79], v[8:9]
	v_mul_f64 v[8:9], v[76:77], v[8:9]
	s_waitcnt vmcnt(6) lgkmcnt(0)
	v_mul_f64 v[10:11], v[84:85], v[54:55]
	v_mul_f64 v[54:55], v[86:87], v[54:55]
	s_delay_alu instid0(VALU_DEP_4) | instskip(NEXT) | instid1(VALU_DEP_4)
	v_fma_f64 v[2:3], v[76:77], v[6:7], -v[2:3]
	v_fma_f64 v[88:89], v[78:79], v[6:7], v[8:9]
	ds_load_b128 v[6:9], v1 offset:336
	ds_load_b128 v[76:79], v1 offset:352
	v_fma_f64 v[10:11], v[86:87], v[52:53], v[10:11]
	v_fma_f64 v[52:53], v[84:85], v[52:53], -v[54:55]
	s_waitcnt vmcnt(5) lgkmcnt(1)
	v_mul_f64 v[90:91], v[6:7], v[58:59]
	v_mul_f64 v[58:59], v[8:9], v[58:59]
	s_waitcnt vmcnt(4) lgkmcnt(0)
	v_mul_f64 v[84:85], v[76:77], v[62:63]
	v_mul_f64 v[62:63], v[78:79], v[62:63]
	v_add_f64 v[2:3], v[2:3], 0
	v_add_f64 v[54:55], v[88:89], 0
	v_fma_f64 v[86:87], v[8:9], v[56:57], v[90:91]
	v_fma_f64 v[56:57], v[6:7], v[56:57], -v[58:59]
	v_fma_f64 v[78:79], v[78:79], v[60:61], v[84:85]
	v_fma_f64 v[60:61], v[76:77], v[60:61], -v[62:63]
	v_add_f64 v[2:3], v[2:3], v[52:53]
	v_add_f64 v[10:11], v[54:55], v[10:11]
	ds_load_b128 v[6:9], v1 offset:368
	ds_load_b128 v[52:55], v1 offset:384
	s_waitcnt vmcnt(3) lgkmcnt(1)
	v_mul_f64 v[58:59], v[6:7], v[66:67]
	v_mul_f64 v[66:67], v[8:9], v[66:67]
	s_waitcnt vmcnt(2) lgkmcnt(0)
	v_mul_f64 v[62:63], v[54:55], v[70:71]
	v_add_f64 v[2:3], v[2:3], v[56:57]
	v_add_f64 v[10:11], v[10:11], v[86:87]
	v_mul_f64 v[56:57], v[52:53], v[70:71]
	v_fma_f64 v[58:59], v[8:9], v[64:65], v[58:59]
	v_fma_f64 v[64:65], v[6:7], v[64:65], -v[66:67]
	ds_load_b128 v[6:9], v1 offset:400
	v_fma_f64 v[52:53], v[52:53], v[68:69], -v[62:63]
	v_add_f64 v[2:3], v[2:3], v[60:61]
	v_add_f64 v[10:11], v[10:11], v[78:79]
	v_fma_f64 v[54:55], v[54:55], v[68:69], v[56:57]
	s_waitcnt vmcnt(1) lgkmcnt(0)
	v_mul_f64 v[60:61], v[6:7], v[74:75]
	v_mul_f64 v[66:67], v[8:9], v[74:75]
	v_add_f64 v[2:3], v[2:3], v[64:65]
	v_add_f64 v[10:11], v[10:11], v[58:59]
	s_delay_alu instid0(VALU_DEP_4) | instskip(NEXT) | instid1(VALU_DEP_4)
	v_fma_f64 v[8:9], v[8:9], v[72:73], v[60:61]
	v_fma_f64 v[6:7], v[6:7], v[72:73], -v[66:67]
	s_delay_alu instid0(VALU_DEP_4) | instskip(NEXT) | instid1(VALU_DEP_4)
	v_add_f64 v[2:3], v[2:3], v[52:53]
	v_add_f64 v[10:11], v[10:11], v[54:55]
	s_delay_alu instid0(VALU_DEP_2) | instskip(NEXT) | instid1(VALU_DEP_2)
	v_add_f64 v[2:3], v[2:3], v[6:7]
	v_add_f64 v[8:9], v[10:11], v[8:9]
	s_waitcnt vmcnt(0)
	s_delay_alu instid0(VALU_DEP_2) | instskip(NEXT) | instid1(VALU_DEP_2)
	v_add_f64 v[6:7], v[80:81], -v[2:3]
	v_add_f64 v[8:9], v[82:83], -v[8:9]
	scratch_store_b128 off, v[6:9], off offset:80
	v_cmpx_lt_u32_e32 4, v39
	s_cbranch_execz .LBB12_83
; %bb.82:
	scratch_load_b128 v[6:9], v44, off
	v_mov_b32_e32 v2, v1
	v_mov_b32_e32 v3, v1
	;; [unrolled: 1-line block ×3, first 2 shown]
	scratch_store_b128 off, v[1:4], off offset:64
	s_waitcnt vmcnt(0)
	ds_store_b128 v5, v[6:9]
.LBB12_83:
	s_or_b32 exec_lo, exec_lo, s2
	s_waitcnt lgkmcnt(0)
	s_waitcnt_vscnt null, 0x0
	s_barrier
	buffer_gl0_inv
	s_clause 0x7
	scratch_load_b128 v[6:9], off, off offset:80
	scratch_load_b128 v[52:55], off, off offset:96
	;; [unrolled: 1-line block ×8, first 2 shown]
	ds_load_b128 v[80:83], v1 offset:288
	ds_load_b128 v[84:87], v1 offset:304
	scratch_load_b128 v[88:91], off, off offset:64
	s_mov_b32 s2, exec_lo
	s_waitcnt vmcnt(8) lgkmcnt(1)
	v_mul_f64 v[2:3], v[82:83], v[8:9]
	v_mul_f64 v[8:9], v[80:81], v[8:9]
	s_waitcnt vmcnt(7) lgkmcnt(0)
	v_mul_f64 v[10:11], v[84:85], v[54:55]
	v_mul_f64 v[54:55], v[86:87], v[54:55]
	s_delay_alu instid0(VALU_DEP_4) | instskip(NEXT) | instid1(VALU_DEP_4)
	v_fma_f64 v[2:3], v[80:81], v[6:7], -v[2:3]
	v_fma_f64 v[92:93], v[82:83], v[6:7], v[8:9]
	ds_load_b128 v[6:9], v1 offset:320
	ds_load_b128 v[80:83], v1 offset:336
	v_fma_f64 v[10:11], v[86:87], v[52:53], v[10:11]
	v_fma_f64 v[52:53], v[84:85], v[52:53], -v[54:55]
	s_waitcnt vmcnt(6) lgkmcnt(1)
	v_mul_f64 v[94:95], v[6:7], v[58:59]
	v_mul_f64 v[58:59], v[8:9], v[58:59]
	s_waitcnt vmcnt(5) lgkmcnt(0)
	v_mul_f64 v[84:85], v[80:81], v[62:63]
	v_mul_f64 v[62:63], v[82:83], v[62:63]
	v_add_f64 v[2:3], v[2:3], 0
	v_add_f64 v[54:55], v[92:93], 0
	v_fma_f64 v[86:87], v[8:9], v[56:57], v[94:95]
	v_fma_f64 v[56:57], v[6:7], v[56:57], -v[58:59]
	v_fma_f64 v[82:83], v[82:83], v[60:61], v[84:85]
	v_fma_f64 v[60:61], v[80:81], v[60:61], -v[62:63]
	v_add_f64 v[2:3], v[2:3], v[52:53]
	v_add_f64 v[10:11], v[54:55], v[10:11]
	ds_load_b128 v[6:9], v1 offset:352
	ds_load_b128 v[52:55], v1 offset:368
	s_waitcnt vmcnt(4) lgkmcnt(1)
	v_mul_f64 v[58:59], v[6:7], v[66:67]
	v_mul_f64 v[66:67], v[8:9], v[66:67]
	s_waitcnt vmcnt(3) lgkmcnt(0)
	v_mul_f64 v[62:63], v[54:55], v[70:71]
	v_add_f64 v[2:3], v[2:3], v[56:57]
	v_add_f64 v[10:11], v[10:11], v[86:87]
	v_mul_f64 v[56:57], v[52:53], v[70:71]
	v_fma_f64 v[58:59], v[8:9], v[64:65], v[58:59]
	v_fma_f64 v[64:65], v[6:7], v[64:65], -v[66:67]
	v_fma_f64 v[52:53], v[52:53], v[68:69], -v[62:63]
	v_add_f64 v[60:61], v[2:3], v[60:61]
	v_add_f64 v[10:11], v[10:11], v[82:83]
	ds_load_b128 v[6:9], v1 offset:384
	ds_load_b128 v[1:4], v1 offset:400
	v_fma_f64 v[54:55], v[54:55], v[68:69], v[56:57]
	s_waitcnt vmcnt(2) lgkmcnt(1)
	v_mul_f64 v[66:67], v[6:7], v[74:75]
	v_mul_f64 v[70:71], v[8:9], v[74:75]
	v_add_f64 v[56:57], v[60:61], v[64:65]
	v_add_f64 v[10:11], v[10:11], v[58:59]
	s_waitcnt vmcnt(1) lgkmcnt(0)
	v_mul_f64 v[58:59], v[1:2], v[78:79]
	v_mul_f64 v[60:61], v[3:4], v[78:79]
	v_fma_f64 v[8:9], v[8:9], v[72:73], v[66:67]
	v_fma_f64 v[6:7], v[6:7], v[72:73], -v[70:71]
	v_add_f64 v[52:53], v[56:57], v[52:53]
	v_add_f64 v[10:11], v[10:11], v[54:55]
	v_fma_f64 v[3:4], v[3:4], v[76:77], v[58:59]
	v_fma_f64 v[1:2], v[1:2], v[76:77], -v[60:61]
	s_delay_alu instid0(VALU_DEP_4) | instskip(NEXT) | instid1(VALU_DEP_4)
	v_add_f64 v[6:7], v[52:53], v[6:7]
	v_add_f64 v[8:9], v[10:11], v[8:9]
	s_delay_alu instid0(VALU_DEP_2) | instskip(NEXT) | instid1(VALU_DEP_2)
	v_add_f64 v[1:2], v[6:7], v[1:2]
	v_add_f64 v[3:4], v[8:9], v[3:4]
	s_waitcnt vmcnt(0)
	s_delay_alu instid0(VALU_DEP_2) | instskip(NEXT) | instid1(VALU_DEP_2)
	v_add_f64 v[1:2], v[88:89], -v[1:2]
	v_add_f64 v[3:4], v[90:91], -v[3:4]
	scratch_store_b128 off, v[1:4], off offset:64
	v_cmpx_lt_u32_e32 3, v39
	s_cbranch_execz .LBB12_85
; %bb.84:
	scratch_load_b128 v[1:4], v40, off
	v_mov_b32_e32 v6, 0
	s_delay_alu instid0(VALU_DEP_1)
	v_mov_b32_e32 v7, v6
	v_mov_b32_e32 v8, v6
	v_mov_b32_e32 v9, v6
	scratch_store_b128 off, v[6:9], off offset:48
	s_waitcnt vmcnt(0)
	ds_store_b128 v5, v[1:4]
.LBB12_85:
	s_or_b32 exec_lo, exec_lo, s2
	s_waitcnt lgkmcnt(0)
	s_waitcnt_vscnt null, 0x0
	s_barrier
	buffer_gl0_inv
	s_clause 0x7
	scratch_load_b128 v[6:9], off, off offset:64
	scratch_load_b128 v[52:55], off, off offset:80
	;; [unrolled: 1-line block ×8, first 2 shown]
	v_mov_b32_e32 v1, 0
	s_mov_b32 s2, exec_lo
	ds_load_b128 v[80:83], v1 offset:272
	s_clause 0x1
	scratch_load_b128 v[84:87], off, off offset:192
	scratch_load_b128 v[88:91], off, off offset:48
	ds_load_b128 v[92:95], v1 offset:288
	s_waitcnt vmcnt(9) lgkmcnt(1)
	v_mul_f64 v[2:3], v[82:83], v[8:9]
	v_mul_f64 v[8:9], v[80:81], v[8:9]
	s_waitcnt vmcnt(8) lgkmcnt(0)
	v_mul_f64 v[10:11], v[92:93], v[54:55]
	v_mul_f64 v[54:55], v[94:95], v[54:55]
	s_delay_alu instid0(VALU_DEP_4) | instskip(NEXT) | instid1(VALU_DEP_4)
	v_fma_f64 v[2:3], v[80:81], v[6:7], -v[2:3]
	v_fma_f64 v[96:97], v[82:83], v[6:7], v[8:9]
	ds_load_b128 v[6:9], v1 offset:304
	ds_load_b128 v[80:83], v1 offset:320
	v_fma_f64 v[10:11], v[94:95], v[52:53], v[10:11]
	v_fma_f64 v[52:53], v[92:93], v[52:53], -v[54:55]
	s_waitcnt vmcnt(7) lgkmcnt(1)
	v_mul_f64 v[98:99], v[6:7], v[58:59]
	v_mul_f64 v[58:59], v[8:9], v[58:59]
	s_waitcnt vmcnt(6) lgkmcnt(0)
	v_mul_f64 v[92:93], v[80:81], v[62:63]
	v_mul_f64 v[62:63], v[82:83], v[62:63]
	v_add_f64 v[2:3], v[2:3], 0
	v_add_f64 v[54:55], v[96:97], 0
	v_fma_f64 v[94:95], v[8:9], v[56:57], v[98:99]
	v_fma_f64 v[56:57], v[6:7], v[56:57], -v[58:59]
	v_fma_f64 v[82:83], v[82:83], v[60:61], v[92:93]
	v_fma_f64 v[60:61], v[80:81], v[60:61], -v[62:63]
	v_add_f64 v[2:3], v[2:3], v[52:53]
	v_add_f64 v[10:11], v[54:55], v[10:11]
	ds_load_b128 v[6:9], v1 offset:336
	ds_load_b128 v[52:55], v1 offset:352
	s_waitcnt vmcnt(5) lgkmcnt(1)
	v_mul_f64 v[58:59], v[6:7], v[66:67]
	v_mul_f64 v[66:67], v[8:9], v[66:67]
	s_waitcnt vmcnt(4) lgkmcnt(0)
	v_mul_f64 v[62:63], v[52:53], v[70:71]
	v_mul_f64 v[70:71], v[54:55], v[70:71]
	v_add_f64 v[2:3], v[2:3], v[56:57]
	v_add_f64 v[10:11], v[10:11], v[94:95]
	v_fma_f64 v[80:81], v[8:9], v[64:65], v[58:59]
	v_fma_f64 v[64:65], v[6:7], v[64:65], -v[66:67]
	ds_load_b128 v[6:9], v1 offset:368
	ds_load_b128 v[56:59], v1 offset:384
	v_fma_f64 v[54:55], v[54:55], v[68:69], v[62:63]
	v_fma_f64 v[52:53], v[52:53], v[68:69], -v[70:71]
	v_add_f64 v[2:3], v[2:3], v[60:61]
	v_add_f64 v[10:11], v[10:11], v[82:83]
	s_waitcnt vmcnt(3) lgkmcnt(1)
	v_mul_f64 v[60:61], v[6:7], v[74:75]
	v_mul_f64 v[66:67], v[8:9], v[74:75]
	s_waitcnt vmcnt(2) lgkmcnt(0)
	v_mul_f64 v[62:63], v[56:57], v[78:79]
	v_add_f64 v[2:3], v[2:3], v[64:65]
	v_add_f64 v[10:11], v[10:11], v[80:81]
	v_mul_f64 v[64:65], v[58:59], v[78:79]
	v_fma_f64 v[60:61], v[8:9], v[72:73], v[60:61]
	v_fma_f64 v[66:67], v[6:7], v[72:73], -v[66:67]
	ds_load_b128 v[6:9], v1 offset:400
	v_fma_f64 v[58:59], v[58:59], v[76:77], v[62:63]
	v_add_f64 v[2:3], v[2:3], v[52:53]
	v_add_f64 v[10:11], v[10:11], v[54:55]
	s_waitcnt vmcnt(1) lgkmcnt(0)
	v_mul_f64 v[52:53], v[6:7], v[86:87]
	v_mul_f64 v[54:55], v[8:9], v[86:87]
	v_fma_f64 v[56:57], v[56:57], v[76:77], -v[64:65]
	v_add_f64 v[2:3], v[2:3], v[66:67]
	v_add_f64 v[10:11], v[10:11], v[60:61]
	v_fma_f64 v[8:9], v[8:9], v[84:85], v[52:53]
	v_fma_f64 v[6:7], v[6:7], v[84:85], -v[54:55]
	s_delay_alu instid0(VALU_DEP_4) | instskip(NEXT) | instid1(VALU_DEP_4)
	v_add_f64 v[2:3], v[2:3], v[56:57]
	v_add_f64 v[10:11], v[10:11], v[58:59]
	s_delay_alu instid0(VALU_DEP_2) | instskip(NEXT) | instid1(VALU_DEP_2)
	v_add_f64 v[2:3], v[2:3], v[6:7]
	v_add_f64 v[8:9], v[10:11], v[8:9]
	s_waitcnt vmcnt(0)
	s_delay_alu instid0(VALU_DEP_2) | instskip(NEXT) | instid1(VALU_DEP_2)
	v_add_f64 v[6:7], v[88:89], -v[2:3]
	v_add_f64 v[8:9], v[90:91], -v[8:9]
	scratch_store_b128 off, v[6:9], off offset:48
	v_cmpx_lt_u32_e32 2, v39
	s_cbranch_execz .LBB12_87
; %bb.86:
	scratch_load_b128 v[6:9], v43, off
	v_mov_b32_e32 v2, v1
	v_mov_b32_e32 v3, v1
	;; [unrolled: 1-line block ×3, first 2 shown]
	scratch_store_b128 off, v[1:4], off offset:32
	s_waitcnt vmcnt(0)
	ds_store_b128 v5, v[6:9]
.LBB12_87:
	s_or_b32 exec_lo, exec_lo, s2
	s_waitcnt lgkmcnt(0)
	s_waitcnt_vscnt null, 0x0
	s_barrier
	buffer_gl0_inv
	s_clause 0x8
	scratch_load_b128 v[6:9], off, off offset:48
	scratch_load_b128 v[52:55], off, off offset:64
	;; [unrolled: 1-line block ×9, first 2 shown]
	ds_load_b128 v[84:87], v1 offset:256
	ds_load_b128 v[88:91], v1 offset:272
	scratch_load_b128 v[92:95], off, off offset:32
	s_mov_b32 s2, exec_lo
	s_waitcnt vmcnt(9) lgkmcnt(1)
	v_mul_f64 v[2:3], v[86:87], v[8:9]
	v_mul_f64 v[96:97], v[84:85], v[8:9]
	scratch_load_b128 v[8:11], off, off offset:192
	s_waitcnt vmcnt(9) lgkmcnt(0)
	v_mul_f64 v[100:101], v[88:89], v[54:55]
	v_mul_f64 v[54:55], v[90:91], v[54:55]
	v_fma_f64 v[2:3], v[84:85], v[6:7], -v[2:3]
	v_fma_f64 v[6:7], v[86:87], v[6:7], v[96:97]
	ds_load_b128 v[84:87], v1 offset:288
	ds_load_b128 v[96:99], v1 offset:304
	v_fma_f64 v[90:91], v[90:91], v[52:53], v[100:101]
	v_fma_f64 v[52:53], v[88:89], v[52:53], -v[54:55]
	s_waitcnt vmcnt(8) lgkmcnt(1)
	v_mul_f64 v[102:103], v[84:85], v[58:59]
	v_mul_f64 v[58:59], v[86:87], v[58:59]
	s_waitcnt vmcnt(7) lgkmcnt(0)
	v_mul_f64 v[88:89], v[96:97], v[62:63]
	v_mul_f64 v[62:63], v[98:99], v[62:63]
	v_add_f64 v[2:3], v[2:3], 0
	v_add_f64 v[6:7], v[6:7], 0
	v_fma_f64 v[86:87], v[86:87], v[56:57], v[102:103]
	v_fma_f64 v[84:85], v[84:85], v[56:57], -v[58:59]
	v_fma_f64 v[88:89], v[98:99], v[60:61], v[88:89]
	v_fma_f64 v[60:61], v[96:97], v[60:61], -v[62:63]
	v_add_f64 v[2:3], v[2:3], v[52:53]
	v_add_f64 v[6:7], v[6:7], v[90:91]
	ds_load_b128 v[52:55], v1 offset:320
	ds_load_b128 v[56:59], v1 offset:336
	s_waitcnt vmcnt(6) lgkmcnt(1)
	v_mul_f64 v[90:91], v[52:53], v[66:67]
	v_mul_f64 v[66:67], v[54:55], v[66:67]
	v_add_f64 v[2:3], v[2:3], v[84:85]
	v_add_f64 v[6:7], v[6:7], v[86:87]
	s_waitcnt vmcnt(5) lgkmcnt(0)
	v_mul_f64 v[84:85], v[56:57], v[70:71]
	v_mul_f64 v[70:71], v[58:59], v[70:71]
	v_fma_f64 v[86:87], v[54:55], v[64:65], v[90:91]
	v_fma_f64 v[64:65], v[52:53], v[64:65], -v[66:67]
	v_add_f64 v[2:3], v[2:3], v[60:61]
	v_add_f64 v[6:7], v[6:7], v[88:89]
	ds_load_b128 v[52:55], v1 offset:352
	ds_load_b128 v[60:63], v1 offset:368
	v_fma_f64 v[58:59], v[58:59], v[68:69], v[84:85]
	v_fma_f64 v[56:57], v[56:57], v[68:69], -v[70:71]
	s_waitcnt vmcnt(4) lgkmcnt(1)
	v_mul_f64 v[66:67], v[52:53], v[74:75]
	v_mul_f64 v[74:75], v[54:55], v[74:75]
	s_waitcnt vmcnt(3) lgkmcnt(0)
	v_mul_f64 v[68:69], v[62:63], v[78:79]
	v_add_f64 v[2:3], v[2:3], v[64:65]
	v_add_f64 v[6:7], v[6:7], v[86:87]
	v_mul_f64 v[64:65], v[60:61], v[78:79]
	v_fma_f64 v[66:67], v[54:55], v[72:73], v[66:67]
	v_fma_f64 v[70:71], v[52:53], v[72:73], -v[74:75]
	v_fma_f64 v[60:61], v[60:61], v[76:77], -v[68:69]
	v_add_f64 v[56:57], v[2:3], v[56:57]
	v_add_f64 v[6:7], v[6:7], v[58:59]
	ds_load_b128 v[52:55], v1 offset:384
	ds_load_b128 v[1:4], v1 offset:400
	v_fma_f64 v[62:63], v[62:63], v[76:77], v[64:65]
	s_waitcnt vmcnt(2) lgkmcnt(1)
	v_mul_f64 v[58:59], v[52:53], v[82:83]
	v_mul_f64 v[72:73], v[54:55], v[82:83]
	v_add_f64 v[56:57], v[56:57], v[70:71]
	v_add_f64 v[6:7], v[6:7], v[66:67]
	s_waitcnt vmcnt(0) lgkmcnt(0)
	v_mul_f64 v[64:65], v[1:2], v[10:11]
	v_mul_f64 v[10:11], v[3:4], v[10:11]
	v_fma_f64 v[54:55], v[54:55], v[80:81], v[58:59]
	v_fma_f64 v[52:53], v[52:53], v[80:81], -v[72:73]
	v_add_f64 v[56:57], v[56:57], v[60:61]
	v_add_f64 v[6:7], v[6:7], v[62:63]
	v_fma_f64 v[3:4], v[3:4], v[8:9], v[64:65]
	v_fma_f64 v[1:2], v[1:2], v[8:9], -v[10:11]
	s_delay_alu instid0(VALU_DEP_4) | instskip(NEXT) | instid1(VALU_DEP_4)
	v_add_f64 v[8:9], v[56:57], v[52:53]
	v_add_f64 v[6:7], v[6:7], v[54:55]
	s_delay_alu instid0(VALU_DEP_2) | instskip(NEXT) | instid1(VALU_DEP_2)
	v_add_f64 v[1:2], v[8:9], v[1:2]
	v_add_f64 v[3:4], v[6:7], v[3:4]
	s_delay_alu instid0(VALU_DEP_2) | instskip(NEXT) | instid1(VALU_DEP_2)
	v_add_f64 v[1:2], v[92:93], -v[1:2]
	v_add_f64 v[3:4], v[94:95], -v[3:4]
	scratch_store_b128 off, v[1:4], off offset:32
	v_cmpx_lt_u32_e32 1, v39
	s_cbranch_execz .LBB12_89
; %bb.88:
	scratch_load_b128 v[1:4], v41, off
	v_mov_b32_e32 v6, 0
	s_delay_alu instid0(VALU_DEP_1)
	v_mov_b32_e32 v7, v6
	v_mov_b32_e32 v8, v6
	;; [unrolled: 1-line block ×3, first 2 shown]
	scratch_store_b128 off, v[6:9], off offset:16
	s_waitcnt vmcnt(0)
	ds_store_b128 v5, v[1:4]
.LBB12_89:
	s_or_b32 exec_lo, exec_lo, s2
	s_waitcnt lgkmcnt(0)
	s_waitcnt_vscnt null, 0x0
	s_barrier
	buffer_gl0_inv
	s_clause 0x7
	scratch_load_b128 v[6:9], off, off offset:32
	scratch_load_b128 v[52:55], off, off offset:48
	;; [unrolled: 1-line block ×8, first 2 shown]
	v_mov_b32_e32 v1, 0
	s_mov_b32 s2, exec_lo
	ds_load_b128 v[80:83], v1 offset:240
	s_clause 0x1
	scratch_load_b128 v[84:87], off, off offset:160
	scratch_load_b128 v[88:91], off, off offset:16
	ds_load_b128 v[92:95], v1 offset:256
	ds_load_b128 v[100:103], v1 offset:288
	s_waitcnt vmcnt(9) lgkmcnt(2)
	v_mul_f64 v[2:3], v[82:83], v[8:9]
	v_mul_f64 v[96:97], v[80:81], v[8:9]
	scratch_load_b128 v[8:11], off, off offset:176
	v_fma_f64 v[2:3], v[80:81], v[6:7], -v[2:3]
	v_fma_f64 v[6:7], v[82:83], v[6:7], v[96:97]
	scratch_load_b128 v[96:99], off, off offset:192
	ds_load_b128 v[80:83], v1 offset:272
	s_waitcnt vmcnt(10) lgkmcnt(2)
	v_mul_f64 v[104:105], v[92:93], v[54:55]
	v_mul_f64 v[54:55], v[94:95], v[54:55]
	s_waitcnt vmcnt(9) lgkmcnt(0)
	v_mul_f64 v[106:107], v[80:81], v[58:59]
	v_mul_f64 v[58:59], v[82:83], v[58:59]
	v_add_f64 v[2:3], v[2:3], 0
	v_add_f64 v[6:7], v[6:7], 0
	v_fma_f64 v[94:95], v[94:95], v[52:53], v[104:105]
	v_fma_f64 v[52:53], v[92:93], v[52:53], -v[54:55]
	s_waitcnt vmcnt(8)
	v_mul_f64 v[92:93], v[100:101], v[62:63]
	v_mul_f64 v[62:63], v[102:103], v[62:63]
	v_fma_f64 v[82:83], v[82:83], v[56:57], v[106:107]
	v_fma_f64 v[80:81], v[80:81], v[56:57], -v[58:59]
	v_add_f64 v[6:7], v[6:7], v[94:95]
	v_add_f64 v[2:3], v[2:3], v[52:53]
	ds_load_b128 v[52:55], v1 offset:304
	ds_load_b128 v[56:59], v1 offset:320
	v_fma_f64 v[92:93], v[102:103], v[60:61], v[92:93]
	v_fma_f64 v[60:61], v[100:101], v[60:61], -v[62:63]
	s_waitcnt vmcnt(7) lgkmcnt(1)
	v_mul_f64 v[94:95], v[52:53], v[66:67]
	v_mul_f64 v[66:67], v[54:55], v[66:67]
	v_add_f64 v[6:7], v[6:7], v[82:83]
	v_add_f64 v[2:3], v[2:3], v[80:81]
	s_waitcnt vmcnt(6) lgkmcnt(0)
	v_mul_f64 v[80:81], v[56:57], v[70:71]
	v_mul_f64 v[70:71], v[58:59], v[70:71]
	v_fma_f64 v[82:83], v[54:55], v[64:65], v[94:95]
	v_fma_f64 v[64:65], v[52:53], v[64:65], -v[66:67]
	v_add_f64 v[6:7], v[6:7], v[92:93]
	v_add_f64 v[2:3], v[2:3], v[60:61]
	ds_load_b128 v[52:55], v1 offset:336
	ds_load_b128 v[60:63], v1 offset:352
	v_fma_f64 v[58:59], v[58:59], v[68:69], v[80:81]
	v_fma_f64 v[56:57], v[56:57], v[68:69], -v[70:71]
	s_waitcnt vmcnt(5) lgkmcnt(1)
	v_mul_f64 v[66:67], v[52:53], v[74:75]
	v_mul_f64 v[74:75], v[54:55], v[74:75]
	s_waitcnt vmcnt(4) lgkmcnt(0)
	v_mul_f64 v[68:69], v[62:63], v[78:79]
	v_add_f64 v[6:7], v[6:7], v[82:83]
	v_add_f64 v[2:3], v[2:3], v[64:65]
	v_mul_f64 v[64:65], v[60:61], v[78:79]
	v_fma_f64 v[66:67], v[54:55], v[72:73], v[66:67]
	v_fma_f64 v[70:71], v[52:53], v[72:73], -v[74:75]
	v_fma_f64 v[60:61], v[60:61], v[76:77], -v[68:69]
	v_add_f64 v[6:7], v[6:7], v[58:59]
	v_add_f64 v[2:3], v[2:3], v[56:57]
	ds_load_b128 v[52:55], v1 offset:368
	ds_load_b128 v[56:59], v1 offset:384
	v_fma_f64 v[62:63], v[62:63], v[76:77], v[64:65]
	s_waitcnt vmcnt(3) lgkmcnt(1)
	v_mul_f64 v[72:73], v[52:53], v[86:87]
	v_mul_f64 v[74:75], v[54:55], v[86:87]
	v_add_f64 v[6:7], v[6:7], v[66:67]
	v_add_f64 v[2:3], v[2:3], v[70:71]
	s_waitcnt vmcnt(1) lgkmcnt(0)
	v_mul_f64 v[64:65], v[56:57], v[10:11]
	v_mul_f64 v[10:11], v[58:59], v[10:11]
	v_fma_f64 v[66:67], v[54:55], v[84:85], v[72:73]
	v_fma_f64 v[68:69], v[52:53], v[84:85], -v[74:75]
	ds_load_b128 v[52:55], v1 offset:400
	v_add_f64 v[6:7], v[6:7], v[62:63]
	v_add_f64 v[2:3], v[2:3], v[60:61]
	s_waitcnt vmcnt(0) lgkmcnt(0)
	v_mul_f64 v[60:61], v[52:53], v[98:99]
	v_mul_f64 v[62:63], v[54:55], v[98:99]
	v_fma_f64 v[58:59], v[58:59], v[8:9], v[64:65]
	v_fma_f64 v[8:9], v[56:57], v[8:9], -v[10:11]
	v_add_f64 v[6:7], v[6:7], v[66:67]
	v_add_f64 v[2:3], v[2:3], v[68:69]
	v_fma_f64 v[10:11], v[54:55], v[96:97], v[60:61]
	v_fma_f64 v[52:53], v[52:53], v[96:97], -v[62:63]
	s_delay_alu instid0(VALU_DEP_4) | instskip(NEXT) | instid1(VALU_DEP_4)
	v_add_f64 v[6:7], v[6:7], v[58:59]
	v_add_f64 v[2:3], v[2:3], v[8:9]
	s_delay_alu instid0(VALU_DEP_2) | instskip(NEXT) | instid1(VALU_DEP_2)
	v_add_f64 v[8:9], v[6:7], v[10:11]
	v_add_f64 v[2:3], v[2:3], v[52:53]
	s_delay_alu instid0(VALU_DEP_2) | instskip(NEXT) | instid1(VALU_DEP_2)
	v_add_f64 v[8:9], v[90:91], -v[8:9]
	v_add_f64 v[6:7], v[88:89], -v[2:3]
	scratch_store_b128 off, v[6:9], off offset:16
	v_cmpx_ne_u32_e32 0, v39
	s_cbranch_execz .LBB12_91
; %bb.90:
	scratch_load_b128 v[6:9], off, off
	v_mov_b32_e32 v2, v1
	v_mov_b32_e32 v3, v1
	;; [unrolled: 1-line block ×3, first 2 shown]
	scratch_store_b128 off, v[1:4], off
	s_waitcnt vmcnt(0)
	ds_store_b128 v5, v[6:9]
.LBB12_91:
	s_or_b32 exec_lo, exec_lo, s2
	s_waitcnt lgkmcnt(0)
	s_waitcnt_vscnt null, 0x0
	s_barrier
	buffer_gl0_inv
	s_clause 0x8
	scratch_load_b128 v[2:5], off, off offset:16
	scratch_load_b128 v[6:9], off, off offset:32
	;; [unrolled: 1-line block ×9, first 2 shown]
	ds_load_b128 v[80:83], v1 offset:224
	ds_load_b128 v[84:87], v1 offset:240
	s_clause 0x1
	scratch_load_b128 v[88:91], off, off
	scratch_load_b128 v[92:95], off, off offset:160
	s_and_b32 vcc_lo, exec_lo, s20
	s_waitcnt vmcnt(10) lgkmcnt(1)
	v_mul_f64 v[10:11], v[82:83], v[4:5]
	v_mul_f64 v[4:5], v[80:81], v[4:5]
	s_waitcnt vmcnt(9) lgkmcnt(0)
	v_mul_f64 v[96:97], v[84:85], v[8:9]
	v_mul_f64 v[98:99], v[86:87], v[8:9]
	s_delay_alu instid0(VALU_DEP_4) | instskip(NEXT) | instid1(VALU_DEP_4)
	v_fma_f64 v[100:101], v[80:81], v[2:3], -v[10:11]
	v_fma_f64 v[102:103], v[82:83], v[2:3], v[4:5]
	ds_load_b128 v[2:5], v1 offset:256
	ds_load_b128 v[80:83], v1 offset:272
	scratch_load_b128 v[8:11], off, off offset:176
	v_fma_f64 v[96:97], v[86:87], v[6:7], v[96:97]
	v_fma_f64 v[6:7], v[84:85], v[6:7], -v[98:99]
	scratch_load_b128 v[84:87], off, off offset:192
	s_waitcnt vmcnt(10) lgkmcnt(1)
	v_mul_f64 v[104:105], v[2:3], v[54:55]
	v_mul_f64 v[54:55], v[4:5], v[54:55]
	v_add_f64 v[98:99], v[100:101], 0
	v_add_f64 v[100:101], v[102:103], 0
	s_waitcnt vmcnt(9) lgkmcnt(0)
	v_mul_f64 v[102:103], v[80:81], v[58:59]
	v_mul_f64 v[58:59], v[82:83], v[58:59]
	v_fma_f64 v[104:105], v[4:5], v[52:53], v[104:105]
	v_fma_f64 v[106:107], v[2:3], v[52:53], -v[54:55]
	ds_load_b128 v[2:5], v1 offset:288
	ds_load_b128 v[52:55], v1 offset:304
	v_add_f64 v[6:7], v[98:99], v[6:7]
	v_add_f64 v[96:97], v[100:101], v[96:97]
	v_fma_f64 v[82:83], v[82:83], v[56:57], v[102:103]
	v_fma_f64 v[56:57], v[80:81], v[56:57], -v[58:59]
	s_waitcnt vmcnt(8) lgkmcnt(1)
	v_mul_f64 v[98:99], v[2:3], v[62:63]
	v_mul_f64 v[62:63], v[4:5], v[62:63]
	s_waitcnt vmcnt(7) lgkmcnt(0)
	v_mul_f64 v[80:81], v[52:53], v[66:67]
	v_mul_f64 v[66:67], v[54:55], v[66:67]
	v_add_f64 v[6:7], v[6:7], v[106:107]
	v_add_f64 v[58:59], v[96:97], v[104:105]
	v_fma_f64 v[96:97], v[4:5], v[60:61], v[98:99]
	v_fma_f64 v[60:61], v[2:3], v[60:61], -v[62:63]
	v_fma_f64 v[54:55], v[54:55], v[64:65], v[80:81]
	v_fma_f64 v[52:53], v[52:53], v[64:65], -v[66:67]
	v_add_f64 v[6:7], v[6:7], v[56:57]
	v_add_f64 v[62:63], v[58:59], v[82:83]
	ds_load_b128 v[2:5], v1 offset:320
	ds_load_b128 v[56:59], v1 offset:336
	s_waitcnt vmcnt(6) lgkmcnt(1)
	v_mul_f64 v[82:83], v[2:3], v[70:71]
	v_mul_f64 v[70:71], v[4:5], v[70:71]
	s_waitcnt vmcnt(5) lgkmcnt(0)
	v_mul_f64 v[64:65], v[58:59], v[74:75]
	v_add_f64 v[6:7], v[6:7], v[60:61]
	v_add_f64 v[60:61], v[62:63], v[96:97]
	v_mul_f64 v[62:63], v[56:57], v[74:75]
	v_fma_f64 v[66:67], v[4:5], v[68:69], v[82:83]
	v_fma_f64 v[68:69], v[2:3], v[68:69], -v[70:71]
	v_fma_f64 v[56:57], v[56:57], v[72:73], -v[64:65]
	v_add_f64 v[6:7], v[6:7], v[52:53]
	v_add_f64 v[60:61], v[60:61], v[54:55]
	ds_load_b128 v[2:5], v1 offset:352
	ds_load_b128 v[52:55], v1 offset:368
	v_fma_f64 v[58:59], v[58:59], v[72:73], v[62:63]
	s_waitcnt vmcnt(4) lgkmcnt(1)
	v_mul_f64 v[70:71], v[2:3], v[78:79]
	v_mul_f64 v[74:75], v[4:5], v[78:79]
	s_waitcnt vmcnt(2) lgkmcnt(0)
	v_mul_f64 v[62:63], v[52:53], v[94:95]
	v_mul_f64 v[64:65], v[54:55], v[94:95]
	v_add_f64 v[6:7], v[6:7], v[68:69]
	v_add_f64 v[60:61], v[60:61], v[66:67]
	v_fma_f64 v[66:67], v[4:5], v[76:77], v[70:71]
	v_fma_f64 v[68:69], v[2:3], v[76:77], -v[74:75]
	v_fma_f64 v[54:55], v[54:55], v[92:93], v[62:63]
	v_fma_f64 v[52:53], v[52:53], v[92:93], -v[64:65]
	v_add_f64 v[6:7], v[6:7], v[56:57]
	v_add_f64 v[60:61], v[60:61], v[58:59]
	ds_load_b128 v[2:5], v1 offset:384
	ds_load_b128 v[56:59], v1 offset:400
	s_waitcnt vmcnt(1) lgkmcnt(1)
	v_mul_f64 v[70:71], v[2:3], v[10:11]
	v_mul_f64 v[10:11], v[4:5], v[10:11]
	s_waitcnt vmcnt(0) lgkmcnt(0)
	v_mul_f64 v[62:63], v[56:57], v[86:87]
	v_mul_f64 v[64:65], v[58:59], v[86:87]
	v_add_f64 v[6:7], v[6:7], v[68:69]
	v_add_f64 v[60:61], v[60:61], v[66:67]
	v_fma_f64 v[4:5], v[4:5], v[8:9], v[70:71]
	v_fma_f64 v[1:2], v[2:3], v[8:9], -v[10:11]
	v_fma_f64 v[10:11], v[58:59], v[84:85], v[62:63]
	v_add_f64 v[6:7], v[6:7], v[52:53]
	v_add_f64 v[8:9], v[60:61], v[54:55]
	v_fma_f64 v[52:53], v[56:57], v[84:85], -v[64:65]
	s_delay_alu instid0(VALU_DEP_3) | instskip(NEXT) | instid1(VALU_DEP_3)
	v_add_f64 v[1:2], v[6:7], v[1:2]
	v_add_f64 v[3:4], v[8:9], v[4:5]
	s_delay_alu instid0(VALU_DEP_2) | instskip(NEXT) | instid1(VALU_DEP_2)
	v_add_f64 v[1:2], v[1:2], v[52:53]
	v_add_f64 v[3:4], v[3:4], v[10:11]
	s_delay_alu instid0(VALU_DEP_2) | instskip(NEXT) | instid1(VALU_DEP_2)
	v_add_f64 v[1:2], v[88:89], -v[1:2]
	v_add_f64 v[3:4], v[90:91], -v[3:4]
	scratch_store_b128 off, v[1:4], off
	s_cbranch_vccz .LBB12_117
; %bb.92:
	v_dual_mov_b32 v1, s16 :: v_dual_mov_b32 v2, s17
	s_load_b64 s[0:1], s[0:1], 0x4
	flat_load_b32 v1, v[1:2] offset:44
	v_bfe_u32 v2, v0, 10, 10
	v_bfe_u32 v0, v0, 20, 10
	s_waitcnt lgkmcnt(0)
	s_lshr_b32 s0, s0, 16
	s_delay_alu instid0(VALU_DEP_2) | instskip(SKIP_1) | instid1(SALU_CYCLE_1)
	v_mul_u32_u24_e32 v2, s1, v2
	s_mul_i32 s0, s0, s1
	v_mul_u32_u24_e32 v3, s0, v39
	s_mov_b32 s0, exec_lo
	s_delay_alu instid0(VALU_DEP_1) | instskip(NEXT) | instid1(VALU_DEP_1)
	v_add3_u32 v0, v3, v2, v0
	v_lshl_add_u32 v0, v0, 4, 0x1a8
	s_waitcnt vmcnt(0)
	v_cmpx_ne_u32_e32 12, v1
	s_cbranch_execz .LBB12_94
; %bb.93:
	v_lshl_add_u32 v9, v1, 4, 0
	s_clause 0x1
	scratch_load_b128 v[1:4], v51, off
	scratch_load_b128 v[5:8], v9, off offset:-16
	s_waitcnt vmcnt(1)
	ds_store_2addr_b64 v0, v[1:2], v[3:4] offset1:1
	s_waitcnt vmcnt(0)
	s_clause 0x1
	scratch_store_b128 v51, v[5:8], off
	scratch_store_b128 v9, v[1:4], off offset:-16
.LBB12_94:
	s_or_b32 exec_lo, exec_lo, s0
	v_dual_mov_b32 v1, s16 :: v_dual_mov_b32 v2, s17
	s_mov_b32 s0, exec_lo
	flat_load_b32 v1, v[1:2] offset:40
	s_waitcnt vmcnt(0) lgkmcnt(0)
	v_cmpx_ne_u32_e32 11, v1
	s_cbranch_execz .LBB12_96
; %bb.95:
	v_lshl_add_u32 v9, v1, 4, 0
	s_clause 0x1
	scratch_load_b128 v[1:4], v50, off
	scratch_load_b128 v[5:8], v9, off offset:-16
	s_waitcnt vmcnt(1)
	ds_store_2addr_b64 v0, v[1:2], v[3:4] offset1:1
	s_waitcnt vmcnt(0)
	s_clause 0x1
	scratch_store_b128 v50, v[5:8], off
	scratch_store_b128 v9, v[1:4], off offset:-16
.LBB12_96:
	s_or_b32 exec_lo, exec_lo, s0
	v_dual_mov_b32 v1, s16 :: v_dual_mov_b32 v2, s17
	s_mov_b32 s0, exec_lo
	flat_load_b32 v1, v[1:2] offset:36
	s_waitcnt vmcnt(0) lgkmcnt(0)
	;; [unrolled: 19-line block ×10, first 2 shown]
	v_cmpx_ne_u32_e32 2, v1
	s_cbranch_execz .LBB12_114
; %bb.113:
	v_lshl_add_u32 v9, v1, 4, 0
	s_clause 0x1
	scratch_load_b128 v[1:4], v41, off
	scratch_load_b128 v[5:8], v9, off offset:-16
	s_waitcnt vmcnt(1)
	ds_store_2addr_b64 v0, v[1:2], v[3:4] offset1:1
	s_waitcnt vmcnt(0)
	s_clause 0x1
	scratch_store_b128 v41, v[5:8], off
	scratch_store_b128 v9, v[1:4], off offset:-16
.LBB12_114:
	s_or_b32 exec_lo, exec_lo, s0
	v_dual_mov_b32 v1, s16 :: v_dual_mov_b32 v2, s17
	s_mov_b32 s0, exec_lo
	flat_load_b32 v1, v[1:2]
	s_waitcnt vmcnt(0) lgkmcnt(0)
	v_cmpx_ne_u32_e32 1, v1
	s_cbranch_execz .LBB12_116
; %bb.115:
	v_lshl_add_u32 v9, v1, 4, 0
	scratch_load_b128 v[1:4], off, off
	scratch_load_b128 v[5:8], v9, off offset:-16
	s_waitcnt vmcnt(1)
	ds_store_2addr_b64 v0, v[1:2], v[3:4] offset1:1
	s_waitcnt vmcnt(0)
	scratch_store_b128 off, v[5:8], off
	scratch_store_b128 v9, v[1:4], off offset:-16
.LBB12_116:
	s_or_b32 exec_lo, exec_lo, s0
.LBB12_117:
	scratch_load_b128 v[0:3], off, off
	s_clause 0xb
	scratch_load_b128 v[4:7], v41, off
	scratch_load_b128 v[8:11], v43, off
	scratch_load_b128 v[52:55], v40, off
	scratch_load_b128 v[56:59], v44, off
	scratch_load_b128 v[39:42], v42, off
	scratch_load_b128 v[60:63], v46, off
	scratch_load_b128 v[43:46], v45, off
	scratch_load_b128 v[64:67], v48, off
	scratch_load_b128 v[68:71], v47, off
	scratch_load_b128 v[72:75], v50, off
	scratch_load_b128 v[76:79], v51, off
	scratch_load_b128 v[47:50], v49, off
	s_waitcnt vmcnt(12)
	global_store_b128 v[13:14], v[0:3], off
	s_waitcnt vmcnt(11)
	global_store_b128 v[15:16], v[4:7], off
	s_waitcnt vmcnt(10)
	global_store_b128 v[17:18], v[8:11], off
	s_waitcnt vmcnt(9)
	global_store_b128 v[19:20], v[52:55], off
	s_waitcnt vmcnt(8)
	global_store_b128 v[21:22], v[56:59], off
	s_waitcnt vmcnt(7)
	global_store_b128 v[23:24], v[39:42], off
	s_waitcnt vmcnt(6)
	global_store_b128 v[25:26], v[60:63], off
	s_waitcnt vmcnt(5)
	global_store_b128 v[27:28], v[43:46], off
	s_waitcnt vmcnt(4)
	global_store_b128 v[29:30], v[64:67], off
	s_waitcnt vmcnt(3)
	global_store_b128 v[31:32], v[68:71], off
	s_waitcnt vmcnt(2)
	global_store_b128 v[33:34], v[72:75], off
	s_waitcnt vmcnt(1)
	global_store_b128 v[35:36], v[76:79], off
	s_waitcnt vmcnt(0)
	global_store_b128 v[37:38], v[47:50], off
	s_endpgm
	.section	.rodata,"a",@progbits
	.p2align	6, 0x0
	.amdhsa_kernel _ZN9rocsolver6v33100L18getri_kernel_smallILi13E19rocblas_complex_numIdEPS3_EEvT1_iilPiilS6_bb
		.amdhsa_group_segment_fixed_size 1448
		.amdhsa_private_segment_fixed_size 224
		.amdhsa_kernarg_size 60
		.amdhsa_user_sgpr_count 15
		.amdhsa_user_sgpr_dispatch_ptr 1
		.amdhsa_user_sgpr_queue_ptr 0
		.amdhsa_user_sgpr_kernarg_segment_ptr 1
		.amdhsa_user_sgpr_dispatch_id 0
		.amdhsa_user_sgpr_private_segment_size 0
		.amdhsa_wavefront_size32 1
		.amdhsa_uses_dynamic_stack 0
		.amdhsa_enable_private_segment 1
		.amdhsa_system_sgpr_workgroup_id_x 1
		.amdhsa_system_sgpr_workgroup_id_y 0
		.amdhsa_system_sgpr_workgroup_id_z 0
		.amdhsa_system_sgpr_workgroup_info 0
		.amdhsa_system_vgpr_workitem_id 2
		.amdhsa_next_free_vgpr 108
		.amdhsa_next_free_sgpr 22
		.amdhsa_reserve_vcc 1
		.amdhsa_float_round_mode_32 0
		.amdhsa_float_round_mode_16_64 0
		.amdhsa_float_denorm_mode_32 3
		.amdhsa_float_denorm_mode_16_64 3
		.amdhsa_dx10_clamp 1
		.amdhsa_ieee_mode 1
		.amdhsa_fp16_overflow 0
		.amdhsa_workgroup_processor_mode 1
		.amdhsa_memory_ordered 1
		.amdhsa_forward_progress 0
		.amdhsa_shared_vgpr_count 0
		.amdhsa_exception_fp_ieee_invalid_op 0
		.amdhsa_exception_fp_denorm_src 0
		.amdhsa_exception_fp_ieee_div_zero 0
		.amdhsa_exception_fp_ieee_overflow 0
		.amdhsa_exception_fp_ieee_underflow 0
		.amdhsa_exception_fp_ieee_inexact 0
		.amdhsa_exception_int_div_zero 0
	.end_amdhsa_kernel
	.section	.text._ZN9rocsolver6v33100L18getri_kernel_smallILi13E19rocblas_complex_numIdEPS3_EEvT1_iilPiilS6_bb,"axG",@progbits,_ZN9rocsolver6v33100L18getri_kernel_smallILi13E19rocblas_complex_numIdEPS3_EEvT1_iilPiilS6_bb,comdat
.Lfunc_end12:
	.size	_ZN9rocsolver6v33100L18getri_kernel_smallILi13E19rocblas_complex_numIdEPS3_EEvT1_iilPiilS6_bb, .Lfunc_end12-_ZN9rocsolver6v33100L18getri_kernel_smallILi13E19rocblas_complex_numIdEPS3_EEvT1_iilPiilS6_bb
                                        ; -- End function
	.section	.AMDGPU.csdata,"",@progbits
; Kernel info:
; codeLenInByte = 13808
; NumSgprs: 24
; NumVgprs: 108
; ScratchSize: 224
; MemoryBound: 0
; FloatMode: 240
; IeeeMode: 1
; LDSByteSize: 1448 bytes/workgroup (compile time only)
; SGPRBlocks: 2
; VGPRBlocks: 13
; NumSGPRsForWavesPerEU: 24
; NumVGPRsForWavesPerEU: 108
; Occupancy: 12
; WaveLimiterHint : 1
; COMPUTE_PGM_RSRC2:SCRATCH_EN: 1
; COMPUTE_PGM_RSRC2:USER_SGPR: 15
; COMPUTE_PGM_RSRC2:TRAP_HANDLER: 0
; COMPUTE_PGM_RSRC2:TGID_X_EN: 1
; COMPUTE_PGM_RSRC2:TGID_Y_EN: 0
; COMPUTE_PGM_RSRC2:TGID_Z_EN: 0
; COMPUTE_PGM_RSRC2:TIDIG_COMP_CNT: 2
	.section	.text._ZN9rocsolver6v33100L18getri_kernel_smallILi14E19rocblas_complex_numIdEPS3_EEvT1_iilPiilS6_bb,"axG",@progbits,_ZN9rocsolver6v33100L18getri_kernel_smallILi14E19rocblas_complex_numIdEPS3_EEvT1_iilPiilS6_bb,comdat
	.globl	_ZN9rocsolver6v33100L18getri_kernel_smallILi14E19rocblas_complex_numIdEPS3_EEvT1_iilPiilS6_bb ; -- Begin function _ZN9rocsolver6v33100L18getri_kernel_smallILi14E19rocblas_complex_numIdEPS3_EEvT1_iilPiilS6_bb
	.p2align	8
	.type	_ZN9rocsolver6v33100L18getri_kernel_smallILi14E19rocblas_complex_numIdEPS3_EEvT1_iilPiilS6_bb,@function
_ZN9rocsolver6v33100L18getri_kernel_smallILi14E19rocblas_complex_numIdEPS3_EEvT1_iilPiilS6_bb: ; @_ZN9rocsolver6v33100L18getri_kernel_smallILi14E19rocblas_complex_numIdEPS3_EEvT1_iilPiilS6_bb
; %bb.0:
	v_and_b32_e32 v41, 0x3ff, v0
	s_mov_b32 s4, exec_lo
	s_delay_alu instid0(VALU_DEP_1)
	v_cmpx_gt_u32_e32 14, v41
	s_cbranch_execz .LBB13_70
; %bb.1:
	s_mov_b32 s18, s15
	s_clause 0x2
	s_load_b32 s21, s[2:3], 0x38
	s_load_b128 s[12:15], s[2:3], 0x10
	s_load_b128 s[4:7], s[2:3], 0x28
                                        ; implicit-def: $sgpr16_sgpr17
	s_waitcnt lgkmcnt(0)
	s_bitcmp1_b32 s21, 8
	s_cselect_b32 s20, -1, 0
	s_bfe_u32 s8, s21, 0x10008
	s_ashr_i32 s19, s18, 31
	s_cmp_eq_u32 s8, 0
	s_cbranch_scc1 .LBB13_3
; %bb.2:
	s_load_b32 s8, s[2:3], 0x20
	s_mul_i32 s5, s18, s5
	s_mul_hi_u32 s9, s18, s4
	s_mul_i32 s10, s19, s4
	s_add_i32 s5, s9, s5
	s_mul_i32 s4, s18, s4
	s_add_i32 s5, s5, s10
	s_delay_alu instid0(SALU_CYCLE_1)
	s_lshl_b64 s[4:5], s[4:5], 2
	s_waitcnt lgkmcnt(0)
	s_ashr_i32 s9, s8, 31
	s_add_u32 s10, s14, s4
	s_addc_u32 s11, s15, s5
	s_lshl_b64 s[4:5], s[8:9], 2
	s_delay_alu instid0(SALU_CYCLE_1)
	s_add_u32 s16, s10, s4
	s_addc_u32 s17, s11, s5
.LBB13_3:
	s_load_b128 s[8:11], s[2:3], 0x0
	s_mul_i32 s2, s18, s13
	s_mul_hi_u32 s3, s18, s12
	s_mul_i32 s4, s19, s12
	s_add_i32 s3, s3, s2
	s_mul_i32 s2, s18, s12
	s_add_i32 s3, s3, s4
	v_lshlrev_b32_e32 v55, 4, v41
	s_lshl_b64 s[2:3], s[2:3], 4
	v_add_nc_u32_e64 v45, 0, 32
	s_waitcnt lgkmcnt(0)
	v_add3_u32 v5, s11, s11, v41
	s_ashr_i32 s5, s10, 31
	s_mov_b32 s4, s10
	s_add_u32 s8, s8, s2
	s_addc_u32 s9, s9, s3
	v_add_nc_u32_e32 v7, s11, v5
	s_lshl_b64 s[2:3], s[4:5], 4
	v_ashrrev_i32_e32 v6, 31, v5
	s_add_u32 s2, s8, s2
	s_addc_u32 s3, s9, s3
	v_add_nc_u32_e32 v19, s11, v7
	v_add_co_u32 v13, s8, s2, v55
	v_ashrrev_i32_e32 v8, 31, v7
	s_mov_b32 s4, s11
	s_ashr_i32 s5, s11, 31
	v_add_nc_u32_e32 v21, s11, v19
	v_add_co_ci_u32_e64 v14, null, s3, 0, s8
	v_lshlrev_b64 v[5:6], 4, v[5:6]
	s_lshl_b64 s[4:5], s[4:5], 4
	v_ashrrev_i32_e32 v20, 31, v19
	v_add_co_u32 v15, vcc_lo, v13, s4
	v_lshlrev_b64 v[23:24], 4, v[7:8]
	v_add_nc_u32_e32 v27, s11, v21
	v_add_co_ci_u32_e32 v16, vcc_lo, s5, v14, vcc_lo
	v_add_co_u32 v17, vcc_lo, s2, v5
	v_lshlrev_b64 v[25:26], 4, v[19:20]
	v_ashrrev_i32_e32 v22, 31, v21
	v_add_co_ci_u32_e32 v18, vcc_lo, s3, v6, vcc_lo
	v_add_co_u32 v19, vcc_lo, s2, v23
	v_ashrrev_i32_e32 v28, 31, v27
	v_add_co_ci_u32_e32 v20, vcc_lo, s3, v24, vcc_lo
	v_lshlrev_b64 v[23:24], 4, v[21:22]
	v_add_co_u32 v21, vcc_lo, s2, v25
	v_add_co_ci_u32_e32 v22, vcc_lo, s3, v26, vcc_lo
	v_lshlrev_b64 v[25:26], 4, v[27:28]
	v_add_nc_u32_e32 v27, s11, v27
	v_add_co_u32 v23, vcc_lo, s2, v23
	v_add_co_ci_u32_e32 v24, vcc_lo, s3, v24, vcc_lo
	s_delay_alu instid0(VALU_DEP_3) | instskip(SKIP_3) | instid1(VALU_DEP_4)
	v_add_nc_u32_e32 v29, s11, v27
	v_ashrrev_i32_e32 v28, 31, v27
	v_add_co_u32 v25, vcc_lo, s2, v25
	v_add_co_ci_u32_e32 v26, vcc_lo, s3, v26, vcc_lo
	v_add_nc_u32_e32 v32, s11, v29
	v_ashrrev_i32_e32 v30, 31, v29
	v_lshlrev_b64 v[27:28], 4, v[27:28]
	s_clause 0x2
	global_load_b128 v[1:4], v55, s[2:3]
	global_load_b128 v[5:8], v[15:16], off
	global_load_b128 v[9:12], v[17:18], off
	v_add_nc_u32_e32 v34, s11, v32
	v_lshlrev_b64 v[30:31], 4, v[29:30]
	v_ashrrev_i32_e32 v33, 31, v32
	v_add_co_u32 v27, vcc_lo, s2, v27
	s_delay_alu instid0(VALU_DEP_4)
	v_add_nc_u32_e32 v36, s11, v34
	v_add_co_ci_u32_e32 v28, vcc_lo, s3, v28, vcc_lo
	v_add_co_u32 v29, vcc_lo, s2, v30
	v_ashrrev_i32_e32 v35, 31, v34
	v_add_co_ci_u32_e32 v30, vcc_lo, s3, v31, vcc_lo
	v_lshlrev_b64 v[31:32], 4, v[32:33]
	v_ashrrev_i32_e32 v37, 31, v36
	v_add_nc_u32_e32 v39, s11, v36
	v_lshlrev_b64 v[33:34], 4, v[34:35]
	s_clause 0x3
	global_load_b128 v[46:49], v[19:20], off
	global_load_b128 v[50:53], v[21:22], off
	;; [unrolled: 1-line block ×4, first 2 shown]
	v_add_co_u32 v31, vcc_lo, s2, v31
	v_lshlrev_b64 v[37:38], 4, v[36:37]
	v_add_nc_u32_e32 v42, s11, v39
	v_add_co_ci_u32_e32 v32, vcc_lo, s3, v32, vcc_lo
	v_add_co_u32 v33, vcc_lo, s2, v33
	v_ashrrev_i32_e32 v40, 31, v39
	v_add_co_ci_u32_e32 v34, vcc_lo, s3, v34, vcc_lo
	v_add_co_u32 v35, vcc_lo, s2, v37
	v_ashrrev_i32_e32 v43, 31, v42
	v_add_co_ci_u32_e32 v36, vcc_lo, s3, v38, vcc_lo
	v_lshlrev_b64 v[37:38], 4, v[39:40]
	s_clause 0x1
	global_load_b128 v[64:67], v[27:28], off
	global_load_b128 v[68:71], v[29:30], off
	v_lshlrev_b64 v[39:40], 4, v[42:43]
	s_clause 0x2
	global_load_b128 v[72:75], v[31:32], off
	global_load_b128 v[76:79], v[33:34], off
	;; [unrolled: 1-line block ×3, first 2 shown]
	v_add_nc_u32_e64 v43, 0, 16
	v_add_nc_u32_e64 v42, 0, 48
	v_add_co_u32 v37, vcc_lo, s2, v37
	v_add_co_ci_u32_e32 v38, vcc_lo, s3, v38, vcc_lo
	v_add_co_u32 v39, vcc_lo, s2, v39
	v_add_co_ci_u32_e32 v40, vcc_lo, s3, v40, vcc_lo
	s_clause 0x1
	global_load_b128 v[84:87], v[37:38], off
	global_load_b128 v[88:91], v[39:40], off
	s_movk_i32 s2, 0x50
	s_movk_i32 s3, 0x70
	v_add_nc_u32_e64 v44, s2, 0
	s_movk_i32 s2, 0x60
	s_bitcmp0_b32 s21, 0
	s_waitcnt vmcnt(13)
	scratch_store_b128 off, v[1:4], off
	s_waitcnt vmcnt(12)
	scratch_store_b128 off, v[5:8], off offset:16
	s_waitcnt vmcnt(11)
	scratch_store_b128 off, v[9:12], off offset:32
	;; [unrolled: 2-line block ×3, first 2 shown]
	v_add_nc_u32_e64 v48, s2, 0
	v_add_nc_u32_e64 v47, s3, 0
	s_movk_i32 s2, 0x80
	s_movk_i32 s3, 0x90
	s_waitcnt vmcnt(9)
	scratch_store_b128 off, v[50:53], off offset:64
	s_waitcnt vmcnt(8)
	scratch_store_b128 off, v[56:59], off offset:80
	v_add_nc_u32_e64 v50, s2, 0
	v_add_nc_u32_e64 v49, s3, 0
	s_movk_i32 s2, 0xa0
	s_movk_i32 s3, 0xb0
	v_add_nc_u32_e64 v52, s2, 0
	v_add_nc_u32_e64 v51, s3, 0
	s_movk_i32 s2, 0xc0
	s_movk_i32 s3, 0xd0
	v_add_nc_u32_e64 v46, 0, 64
	v_add_nc_u32_e64 v54, s2, 0
	;; [unrolled: 1-line block ×3, first 2 shown]
	s_mov_b32 s3, -1
	s_waitcnt vmcnt(7)
	scratch_store_b128 off, v[60:63], off offset:96
	s_waitcnt vmcnt(6)
	scratch_store_b128 off, v[64:67], off offset:112
	;; [unrolled: 2-line block ×8, first 2 shown]
	s_cbranch_scc1 .LBB13_68
; %bb.4:
	v_cmp_eq_u32_e64 s2, 0, v41
	s_delay_alu instid0(VALU_DEP_1)
	s_and_saveexec_b32 s3, s2
	s_cbranch_execz .LBB13_6
; %bb.5:
	v_mov_b32_e32 v1, 0
	ds_store_b32 v1, v1 offset:448
.LBB13_6:
	s_or_b32 exec_lo, exec_lo, s3
	s_waitcnt lgkmcnt(0)
	s_waitcnt_vscnt null, 0x0
	s_barrier
	buffer_gl0_inv
	scratch_load_b128 v[1:4], v55, off
	s_waitcnt vmcnt(0)
	v_cmp_eq_f64_e32 vcc_lo, 0, v[1:2]
	v_cmp_eq_f64_e64 s3, 0, v[3:4]
	s_delay_alu instid0(VALU_DEP_1) | instskip(NEXT) | instid1(SALU_CYCLE_1)
	s_and_b32 s3, vcc_lo, s3
	s_and_saveexec_b32 s4, s3
	s_cbranch_execz .LBB13_10
; %bb.7:
	v_mov_b32_e32 v1, 0
	s_mov_b32 s5, 0
	ds_load_b32 v2, v1 offset:448
	s_waitcnt lgkmcnt(0)
	v_readfirstlane_b32 s3, v2
	v_add_nc_u32_e32 v2, 1, v41
	s_delay_alu instid0(VALU_DEP_2) | instskip(NEXT) | instid1(VALU_DEP_1)
	s_cmp_eq_u32 s3, 0
	v_cmp_gt_i32_e32 vcc_lo, s3, v2
	s_cselect_b32 s8, -1, 0
	s_delay_alu instid0(SALU_CYCLE_1) | instskip(NEXT) | instid1(SALU_CYCLE_1)
	s_or_b32 s8, s8, vcc_lo
	s_and_b32 exec_lo, exec_lo, s8
	s_cbranch_execz .LBB13_10
; %bb.8:
	v_mov_b32_e32 v3, s3
.LBB13_9:                               ; =>This Inner Loop Header: Depth=1
	ds_cmpstore_rtn_b32 v3, v1, v2, v3 offset:448
	s_waitcnt lgkmcnt(0)
	v_cmp_ne_u32_e32 vcc_lo, 0, v3
	v_cmp_le_i32_e64 s3, v3, v2
	s_delay_alu instid0(VALU_DEP_1) | instskip(NEXT) | instid1(SALU_CYCLE_1)
	s_and_b32 s3, vcc_lo, s3
	s_and_b32 s3, exec_lo, s3
	s_delay_alu instid0(SALU_CYCLE_1) | instskip(NEXT) | instid1(SALU_CYCLE_1)
	s_or_b32 s5, s3, s5
	s_and_not1_b32 exec_lo, exec_lo, s5
	s_cbranch_execnz .LBB13_9
.LBB13_10:
	s_or_b32 exec_lo, exec_lo, s4
	v_mov_b32_e32 v1, 0
	s_barrier
	buffer_gl0_inv
	ds_load_b32 v2, v1 offset:448
	s_and_saveexec_b32 s3, s2
	s_cbranch_execz .LBB13_12
; %bb.11:
	s_lshl_b64 s[4:5], s[18:19], 2
	s_delay_alu instid0(SALU_CYCLE_1)
	s_add_u32 s4, s6, s4
	s_addc_u32 s5, s7, s5
	s_waitcnt lgkmcnt(0)
	global_store_b32 v1, v2, s[4:5]
.LBB13_12:
	s_or_b32 exec_lo, exec_lo, s3
	s_waitcnt lgkmcnt(0)
	v_cmp_ne_u32_e32 vcc_lo, 0, v2
	s_mov_b32 s3, 0
	s_cbranch_vccnz .LBB13_68
; %bb.13:
	v_add_nc_u32_e32 v56, 0, v55
                                        ; implicit-def: $vgpr9_vgpr10
	scratch_load_b128 v[1:4], v56, off
	s_waitcnt vmcnt(0)
	v_mov_b32_e32 v5, v1
	v_cmp_gt_f64_e32 vcc_lo, 0, v[1:2]
	v_xor_b32_e32 v6, 0x80000000, v2
	v_xor_b32_e32 v7, 0x80000000, v4
	s_delay_alu instid0(VALU_DEP_2) | instskip(SKIP_1) | instid1(VALU_DEP_3)
	v_cndmask_b32_e32 v6, v2, v6, vcc_lo
	v_cmp_gt_f64_e32 vcc_lo, 0, v[3:4]
	v_dual_cndmask_b32 v8, v4, v7 :: v_dual_mov_b32 v7, v3
	s_delay_alu instid0(VALU_DEP_1) | instskip(SKIP_1) | instid1(SALU_CYCLE_1)
	v_cmp_ngt_f64_e32 vcc_lo, v[5:6], v[7:8]
                                        ; implicit-def: $vgpr5_vgpr6
	s_and_saveexec_b32 s3, vcc_lo
	s_xor_b32 s3, exec_lo, s3
	s_cbranch_execz .LBB13_15
; %bb.14:
	v_div_scale_f64 v[5:6], null, v[3:4], v[3:4], v[1:2]
	v_div_scale_f64 v[11:12], vcc_lo, v[1:2], v[3:4], v[1:2]
	s_delay_alu instid0(VALU_DEP_2) | instskip(SKIP_2) | instid1(VALU_DEP_1)
	v_rcp_f64_e32 v[7:8], v[5:6]
	s_waitcnt_depctr 0xfff
	v_fma_f64 v[9:10], -v[5:6], v[7:8], 1.0
	v_fma_f64 v[7:8], v[7:8], v[9:10], v[7:8]
	s_delay_alu instid0(VALU_DEP_1) | instskip(NEXT) | instid1(VALU_DEP_1)
	v_fma_f64 v[9:10], -v[5:6], v[7:8], 1.0
	v_fma_f64 v[7:8], v[7:8], v[9:10], v[7:8]
	s_delay_alu instid0(VALU_DEP_1) | instskip(NEXT) | instid1(VALU_DEP_1)
	v_mul_f64 v[9:10], v[11:12], v[7:8]
	v_fma_f64 v[5:6], -v[5:6], v[9:10], v[11:12]
	s_delay_alu instid0(VALU_DEP_1) | instskip(NEXT) | instid1(VALU_DEP_1)
	v_div_fmas_f64 v[5:6], v[5:6], v[7:8], v[9:10]
	v_div_fixup_f64 v[5:6], v[5:6], v[3:4], v[1:2]
	s_delay_alu instid0(VALU_DEP_1) | instskip(NEXT) | instid1(VALU_DEP_1)
	v_fma_f64 v[1:2], v[1:2], v[5:6], v[3:4]
	v_div_scale_f64 v[3:4], null, v[1:2], v[1:2], 1.0
	v_div_scale_f64 v[11:12], vcc_lo, 1.0, v[1:2], 1.0
	s_delay_alu instid0(VALU_DEP_2) | instskip(SKIP_2) | instid1(VALU_DEP_1)
	v_rcp_f64_e32 v[7:8], v[3:4]
	s_waitcnt_depctr 0xfff
	v_fma_f64 v[9:10], -v[3:4], v[7:8], 1.0
	v_fma_f64 v[7:8], v[7:8], v[9:10], v[7:8]
	s_delay_alu instid0(VALU_DEP_1) | instskip(NEXT) | instid1(VALU_DEP_1)
	v_fma_f64 v[9:10], -v[3:4], v[7:8], 1.0
	v_fma_f64 v[7:8], v[7:8], v[9:10], v[7:8]
	s_delay_alu instid0(VALU_DEP_1) | instskip(NEXT) | instid1(VALU_DEP_1)
	v_mul_f64 v[9:10], v[11:12], v[7:8]
	v_fma_f64 v[3:4], -v[3:4], v[9:10], v[11:12]
	s_delay_alu instid0(VALU_DEP_1) | instskip(NEXT) | instid1(VALU_DEP_1)
	v_div_fmas_f64 v[3:4], v[3:4], v[7:8], v[9:10]
	v_div_fixup_f64 v[7:8], v[3:4], v[1:2], 1.0
                                        ; implicit-def: $vgpr1_vgpr2
	s_delay_alu instid0(VALU_DEP_1) | instskip(SKIP_1) | instid1(VALU_DEP_2)
	v_mul_f64 v[5:6], v[5:6], v[7:8]
	v_xor_b32_e32 v8, 0x80000000, v8
	v_xor_b32_e32 v10, 0x80000000, v6
	s_delay_alu instid0(VALU_DEP_3)
	v_mov_b32_e32 v9, v5
.LBB13_15:
	s_and_not1_saveexec_b32 s3, s3
	s_cbranch_execz .LBB13_17
; %bb.16:
	v_div_scale_f64 v[5:6], null, v[1:2], v[1:2], v[3:4]
	v_div_scale_f64 v[11:12], vcc_lo, v[3:4], v[1:2], v[3:4]
	s_delay_alu instid0(VALU_DEP_2) | instskip(SKIP_2) | instid1(VALU_DEP_1)
	v_rcp_f64_e32 v[7:8], v[5:6]
	s_waitcnt_depctr 0xfff
	v_fma_f64 v[9:10], -v[5:6], v[7:8], 1.0
	v_fma_f64 v[7:8], v[7:8], v[9:10], v[7:8]
	s_delay_alu instid0(VALU_DEP_1) | instskip(NEXT) | instid1(VALU_DEP_1)
	v_fma_f64 v[9:10], -v[5:6], v[7:8], 1.0
	v_fma_f64 v[7:8], v[7:8], v[9:10], v[7:8]
	s_delay_alu instid0(VALU_DEP_1) | instskip(NEXT) | instid1(VALU_DEP_1)
	v_mul_f64 v[9:10], v[11:12], v[7:8]
	v_fma_f64 v[5:6], -v[5:6], v[9:10], v[11:12]
	s_delay_alu instid0(VALU_DEP_1) | instskip(NEXT) | instid1(VALU_DEP_1)
	v_div_fmas_f64 v[5:6], v[5:6], v[7:8], v[9:10]
	v_div_fixup_f64 v[7:8], v[5:6], v[1:2], v[3:4]
	s_delay_alu instid0(VALU_DEP_1) | instskip(NEXT) | instid1(VALU_DEP_1)
	v_fma_f64 v[1:2], v[3:4], v[7:8], v[1:2]
	v_div_scale_f64 v[3:4], null, v[1:2], v[1:2], 1.0
	s_delay_alu instid0(VALU_DEP_1) | instskip(SKIP_2) | instid1(VALU_DEP_1)
	v_rcp_f64_e32 v[5:6], v[3:4]
	s_waitcnt_depctr 0xfff
	v_fma_f64 v[9:10], -v[3:4], v[5:6], 1.0
	v_fma_f64 v[5:6], v[5:6], v[9:10], v[5:6]
	s_delay_alu instid0(VALU_DEP_1) | instskip(NEXT) | instid1(VALU_DEP_1)
	v_fma_f64 v[9:10], -v[3:4], v[5:6], 1.0
	v_fma_f64 v[5:6], v[5:6], v[9:10], v[5:6]
	v_div_scale_f64 v[9:10], vcc_lo, 1.0, v[1:2], 1.0
	s_delay_alu instid0(VALU_DEP_1) | instskip(NEXT) | instid1(VALU_DEP_1)
	v_mul_f64 v[11:12], v[9:10], v[5:6]
	v_fma_f64 v[3:4], -v[3:4], v[11:12], v[9:10]
	s_delay_alu instid0(VALU_DEP_1) | instskip(NEXT) | instid1(VALU_DEP_1)
	v_div_fmas_f64 v[3:4], v[3:4], v[5:6], v[11:12]
	v_div_fixup_f64 v[5:6], v[3:4], v[1:2], 1.0
	s_delay_alu instid0(VALU_DEP_1)
	v_mul_f64 v[7:8], v[7:8], -v[5:6]
	v_xor_b32_e32 v10, 0x80000000, v6
	v_mov_b32_e32 v9, v5
.LBB13_17:
	s_or_b32 exec_lo, exec_lo, s3
	scratch_store_b128 v56, v[5:8], off
	scratch_load_b128 v[1:4], v43, off
	v_xor_b32_e32 v12, 0x80000000, v8
	v_mov_b32_e32 v11, v7
	v_add_nc_u32_e32 v5, 0xe0, v55
	ds_store_b128 v55, v[9:12]
	s_waitcnt vmcnt(0)
	ds_store_b128 v55, v[1:4] offset:224
	s_waitcnt lgkmcnt(0)
	s_waitcnt_vscnt null, 0x0
	s_barrier
	buffer_gl0_inv
	s_and_saveexec_b32 s3, s2
	s_cbranch_execz .LBB13_19
; %bb.18:
	scratch_load_b128 v[1:4], v56, off
	ds_load_b128 v[6:9], v5
	v_mov_b32_e32 v10, 0
	ds_load_b128 v[57:60], v10 offset:16
	s_waitcnt vmcnt(0) lgkmcnt(1)
	v_mul_f64 v[10:11], v[6:7], v[3:4]
	v_mul_f64 v[3:4], v[8:9], v[3:4]
	s_delay_alu instid0(VALU_DEP_2) | instskip(NEXT) | instid1(VALU_DEP_2)
	v_fma_f64 v[8:9], v[8:9], v[1:2], v[10:11]
	v_fma_f64 v[1:2], v[6:7], v[1:2], -v[3:4]
	s_delay_alu instid0(VALU_DEP_2) | instskip(NEXT) | instid1(VALU_DEP_2)
	v_add_f64 v[3:4], v[8:9], 0
	v_add_f64 v[1:2], v[1:2], 0
	s_waitcnt lgkmcnt(0)
	s_delay_alu instid0(VALU_DEP_2) | instskip(NEXT) | instid1(VALU_DEP_2)
	v_mul_f64 v[6:7], v[3:4], v[59:60]
	v_mul_f64 v[8:9], v[1:2], v[59:60]
	s_delay_alu instid0(VALU_DEP_2) | instskip(NEXT) | instid1(VALU_DEP_2)
	v_fma_f64 v[1:2], v[1:2], v[57:58], -v[6:7]
	v_fma_f64 v[3:4], v[3:4], v[57:58], v[8:9]
	scratch_store_b128 off, v[1:4], off offset:16
.LBB13_19:
	s_or_b32 exec_lo, exec_lo, s3
	s_waitcnt_vscnt null, 0x0
	s_barrier
	buffer_gl0_inv
	scratch_load_b128 v[1:4], v45, off
	s_mov_b32 s3, exec_lo
	s_waitcnt vmcnt(0)
	ds_store_b128 v5, v[1:4]
	s_waitcnt lgkmcnt(0)
	s_barrier
	buffer_gl0_inv
	v_cmpx_gt_u32_e32 2, v41
	s_cbranch_execz .LBB13_23
; %bb.20:
	scratch_load_b128 v[1:4], v56, off
	ds_load_b128 v[6:9], v5
	s_waitcnt vmcnt(0) lgkmcnt(0)
	v_mul_f64 v[10:11], v[8:9], v[3:4]
	v_mul_f64 v[3:4], v[6:7], v[3:4]
	s_delay_alu instid0(VALU_DEP_2) | instskip(NEXT) | instid1(VALU_DEP_2)
	v_fma_f64 v[6:7], v[6:7], v[1:2], -v[10:11]
	v_fma_f64 v[3:4], v[8:9], v[1:2], v[3:4]
	s_delay_alu instid0(VALU_DEP_2) | instskip(NEXT) | instid1(VALU_DEP_2)
	v_add_f64 v[1:2], v[6:7], 0
	v_add_f64 v[3:4], v[3:4], 0
	s_and_saveexec_b32 s4, s2
	s_cbranch_execz .LBB13_22
; %bb.21:
	scratch_load_b128 v[6:9], off, off offset:16
	v_mov_b32_e32 v10, 0
	ds_load_b128 v[57:60], v10 offset:240
	s_waitcnt vmcnt(0) lgkmcnt(0)
	v_mul_f64 v[10:11], v[57:58], v[8:9]
	v_mul_f64 v[8:9], v[59:60], v[8:9]
	s_delay_alu instid0(VALU_DEP_2) | instskip(NEXT) | instid1(VALU_DEP_2)
	v_fma_f64 v[10:11], v[59:60], v[6:7], v[10:11]
	v_fma_f64 v[6:7], v[57:58], v[6:7], -v[8:9]
	s_delay_alu instid0(VALU_DEP_2) | instskip(NEXT) | instid1(VALU_DEP_2)
	v_add_f64 v[3:4], v[3:4], v[10:11]
	v_add_f64 v[1:2], v[1:2], v[6:7]
.LBB13_22:
	s_or_b32 exec_lo, exec_lo, s4
	v_mov_b32_e32 v6, 0
	ds_load_b128 v[6:9], v6 offset:32
	s_waitcnt lgkmcnt(0)
	v_mul_f64 v[10:11], v[3:4], v[8:9]
	v_mul_f64 v[8:9], v[1:2], v[8:9]
	s_delay_alu instid0(VALU_DEP_2) | instskip(NEXT) | instid1(VALU_DEP_2)
	v_fma_f64 v[1:2], v[1:2], v[6:7], -v[10:11]
	v_fma_f64 v[3:4], v[3:4], v[6:7], v[8:9]
	scratch_store_b128 off, v[1:4], off offset:32
.LBB13_23:
	s_or_b32 exec_lo, exec_lo, s3
	s_waitcnt_vscnt null, 0x0
	s_barrier
	buffer_gl0_inv
	scratch_load_b128 v[1:4], v42, off
	v_add_nc_u32_e32 v6, -1, v41
	s_mov_b32 s2, exec_lo
	s_waitcnt vmcnt(0)
	ds_store_b128 v5, v[1:4]
	s_waitcnt lgkmcnt(0)
	s_barrier
	buffer_gl0_inv
	v_cmpx_gt_u32_e32 3, v41
	s_cbranch_execz .LBB13_27
; %bb.24:
	v_dual_mov_b32 v1, 0 :: v_dual_add_nc_u32 v8, 0xe0, v55
	v_dual_mov_b32 v2, 0 :: v_dual_add_nc_u32 v7, -1, v41
	v_or_b32_e32 v9, 8, v56
	s_mov_b32 s3, 0
	s_delay_alu instid0(VALU_DEP_2)
	v_dual_mov_b32 v4, v2 :: v_dual_mov_b32 v3, v1
	.p2align	6
.LBB13_25:                              ; =>This Inner Loop Header: Depth=1
	scratch_load_b128 v[57:60], v9, off offset:-8
	ds_load_b128 v[61:64], v8
	v_add_nc_u32_e32 v7, 1, v7
	v_add_nc_u32_e32 v8, 16, v8
	;; [unrolled: 1-line block ×3, first 2 shown]
	s_delay_alu instid0(VALU_DEP_3) | instskip(SKIP_4) | instid1(VALU_DEP_2)
	v_cmp_lt_u32_e32 vcc_lo, 1, v7
	s_or_b32 s3, vcc_lo, s3
	s_waitcnt vmcnt(0) lgkmcnt(0)
	v_mul_f64 v[10:11], v[63:64], v[59:60]
	v_mul_f64 v[59:60], v[61:62], v[59:60]
	v_fma_f64 v[10:11], v[61:62], v[57:58], -v[10:11]
	s_delay_alu instid0(VALU_DEP_2) | instskip(NEXT) | instid1(VALU_DEP_2)
	v_fma_f64 v[57:58], v[63:64], v[57:58], v[59:60]
	v_add_f64 v[3:4], v[3:4], v[10:11]
	s_delay_alu instid0(VALU_DEP_2)
	v_add_f64 v[1:2], v[1:2], v[57:58]
	s_and_not1_b32 exec_lo, exec_lo, s3
	s_cbranch_execnz .LBB13_25
; %bb.26:
	s_or_b32 exec_lo, exec_lo, s3
	v_mov_b32_e32 v7, 0
	ds_load_b128 v[7:10], v7 offset:48
	s_waitcnt lgkmcnt(0)
	v_mul_f64 v[11:12], v[1:2], v[9:10]
	v_mul_f64 v[57:58], v[3:4], v[9:10]
	s_delay_alu instid0(VALU_DEP_2) | instskip(NEXT) | instid1(VALU_DEP_2)
	v_fma_f64 v[9:10], v[3:4], v[7:8], -v[11:12]
	v_fma_f64 v[11:12], v[1:2], v[7:8], v[57:58]
	scratch_store_b128 off, v[9:12], off offset:48
.LBB13_27:
	s_or_b32 exec_lo, exec_lo, s2
	s_waitcnt_vscnt null, 0x0
	s_barrier
	buffer_gl0_inv
	scratch_load_b128 v[1:4], v46, off
	s_mov_b32 s2, exec_lo
	s_waitcnt vmcnt(0)
	ds_store_b128 v5, v[1:4]
	s_waitcnt lgkmcnt(0)
	s_barrier
	buffer_gl0_inv
	v_cmpx_gt_u32_e32 4, v41
	s_cbranch_execz .LBB13_31
; %bb.28:
	v_dual_mov_b32 v1, 0 :: v_dual_add_nc_u32 v8, 0xe0, v55
	v_dual_mov_b32 v2, 0 :: v_dual_add_nc_u32 v7, -1, v41
	v_or_b32_e32 v9, 8, v56
	s_mov_b32 s3, 0
	s_delay_alu instid0(VALU_DEP_2)
	v_dual_mov_b32 v4, v2 :: v_dual_mov_b32 v3, v1
	.p2align	6
.LBB13_29:                              ; =>This Inner Loop Header: Depth=1
	scratch_load_b128 v[57:60], v9, off offset:-8
	ds_load_b128 v[61:64], v8
	v_add_nc_u32_e32 v7, 1, v7
	v_add_nc_u32_e32 v8, 16, v8
	;; [unrolled: 1-line block ×3, first 2 shown]
	s_delay_alu instid0(VALU_DEP_3) | instskip(SKIP_4) | instid1(VALU_DEP_2)
	v_cmp_lt_u32_e32 vcc_lo, 2, v7
	s_or_b32 s3, vcc_lo, s3
	s_waitcnt vmcnt(0) lgkmcnt(0)
	v_mul_f64 v[10:11], v[63:64], v[59:60]
	v_mul_f64 v[59:60], v[61:62], v[59:60]
	v_fma_f64 v[10:11], v[61:62], v[57:58], -v[10:11]
	s_delay_alu instid0(VALU_DEP_2) | instskip(NEXT) | instid1(VALU_DEP_2)
	v_fma_f64 v[57:58], v[63:64], v[57:58], v[59:60]
	v_add_f64 v[3:4], v[3:4], v[10:11]
	s_delay_alu instid0(VALU_DEP_2)
	v_add_f64 v[1:2], v[1:2], v[57:58]
	s_and_not1_b32 exec_lo, exec_lo, s3
	s_cbranch_execnz .LBB13_29
; %bb.30:
	s_or_b32 exec_lo, exec_lo, s3
	v_mov_b32_e32 v7, 0
	ds_load_b128 v[7:10], v7 offset:64
	s_waitcnt lgkmcnt(0)
	v_mul_f64 v[11:12], v[1:2], v[9:10]
	v_mul_f64 v[57:58], v[3:4], v[9:10]
	s_delay_alu instid0(VALU_DEP_2) | instskip(NEXT) | instid1(VALU_DEP_2)
	v_fma_f64 v[9:10], v[3:4], v[7:8], -v[11:12]
	v_fma_f64 v[11:12], v[1:2], v[7:8], v[57:58]
	scratch_store_b128 off, v[9:12], off offset:64
.LBB13_31:
	s_or_b32 exec_lo, exec_lo, s2
	s_waitcnt_vscnt null, 0x0
	s_barrier
	buffer_gl0_inv
	scratch_load_b128 v[1:4], v44, off
	s_mov_b32 s2, exec_lo
	s_waitcnt vmcnt(0)
	ds_store_b128 v5, v[1:4]
	s_waitcnt lgkmcnt(0)
	s_barrier
	buffer_gl0_inv
	v_cmpx_gt_u32_e32 5, v41
	s_cbranch_execz .LBB13_35
; %bb.32:
	v_dual_mov_b32 v1, 0 :: v_dual_add_nc_u32 v8, 0xe0, v55
	v_dual_mov_b32 v2, 0 :: v_dual_add_nc_u32 v7, -1, v41
	v_or_b32_e32 v9, 8, v56
	s_mov_b32 s3, 0
	s_delay_alu instid0(VALU_DEP_2)
	v_dual_mov_b32 v4, v2 :: v_dual_mov_b32 v3, v1
	.p2align	6
.LBB13_33:                              ; =>This Inner Loop Header: Depth=1
	scratch_load_b128 v[57:60], v9, off offset:-8
	ds_load_b128 v[61:64], v8
	v_add_nc_u32_e32 v7, 1, v7
	v_add_nc_u32_e32 v8, 16, v8
	;; [unrolled: 1-line block ×3, first 2 shown]
	s_delay_alu instid0(VALU_DEP_3) | instskip(SKIP_4) | instid1(VALU_DEP_2)
	v_cmp_lt_u32_e32 vcc_lo, 3, v7
	s_or_b32 s3, vcc_lo, s3
	s_waitcnt vmcnt(0) lgkmcnt(0)
	v_mul_f64 v[10:11], v[63:64], v[59:60]
	v_mul_f64 v[59:60], v[61:62], v[59:60]
	v_fma_f64 v[10:11], v[61:62], v[57:58], -v[10:11]
	s_delay_alu instid0(VALU_DEP_2) | instskip(NEXT) | instid1(VALU_DEP_2)
	v_fma_f64 v[57:58], v[63:64], v[57:58], v[59:60]
	v_add_f64 v[3:4], v[3:4], v[10:11]
	s_delay_alu instid0(VALU_DEP_2)
	v_add_f64 v[1:2], v[1:2], v[57:58]
	s_and_not1_b32 exec_lo, exec_lo, s3
	s_cbranch_execnz .LBB13_33
; %bb.34:
	s_or_b32 exec_lo, exec_lo, s3
	v_mov_b32_e32 v7, 0
	ds_load_b128 v[7:10], v7 offset:80
	s_waitcnt lgkmcnt(0)
	v_mul_f64 v[11:12], v[1:2], v[9:10]
	v_mul_f64 v[57:58], v[3:4], v[9:10]
	s_delay_alu instid0(VALU_DEP_2) | instskip(NEXT) | instid1(VALU_DEP_2)
	v_fma_f64 v[9:10], v[3:4], v[7:8], -v[11:12]
	v_fma_f64 v[11:12], v[1:2], v[7:8], v[57:58]
	scratch_store_b128 off, v[9:12], off offset:80
.LBB13_35:
	s_or_b32 exec_lo, exec_lo, s2
	s_waitcnt_vscnt null, 0x0
	s_barrier
	buffer_gl0_inv
	scratch_load_b128 v[1:4], v48, off
	s_mov_b32 s2, exec_lo
	s_waitcnt vmcnt(0)
	ds_store_b128 v5, v[1:4]
	s_waitcnt lgkmcnt(0)
	s_barrier
	buffer_gl0_inv
	v_cmpx_gt_u32_e32 6, v41
	s_cbranch_execz .LBB13_39
; %bb.36:
	v_dual_mov_b32 v1, 0 :: v_dual_add_nc_u32 v8, 0xe0, v55
	v_dual_mov_b32 v2, 0 :: v_dual_add_nc_u32 v7, -1, v41
	v_or_b32_e32 v9, 8, v56
	s_mov_b32 s3, 0
	s_delay_alu instid0(VALU_DEP_2)
	v_dual_mov_b32 v4, v2 :: v_dual_mov_b32 v3, v1
	.p2align	6
.LBB13_37:                              ; =>This Inner Loop Header: Depth=1
	scratch_load_b128 v[57:60], v9, off offset:-8
	ds_load_b128 v[61:64], v8
	v_add_nc_u32_e32 v7, 1, v7
	v_add_nc_u32_e32 v8, 16, v8
	;; [unrolled: 1-line block ×3, first 2 shown]
	s_delay_alu instid0(VALU_DEP_3) | instskip(SKIP_4) | instid1(VALU_DEP_2)
	v_cmp_lt_u32_e32 vcc_lo, 4, v7
	s_or_b32 s3, vcc_lo, s3
	s_waitcnt vmcnt(0) lgkmcnt(0)
	v_mul_f64 v[10:11], v[63:64], v[59:60]
	v_mul_f64 v[59:60], v[61:62], v[59:60]
	v_fma_f64 v[10:11], v[61:62], v[57:58], -v[10:11]
	s_delay_alu instid0(VALU_DEP_2) | instskip(NEXT) | instid1(VALU_DEP_2)
	v_fma_f64 v[57:58], v[63:64], v[57:58], v[59:60]
	v_add_f64 v[3:4], v[3:4], v[10:11]
	s_delay_alu instid0(VALU_DEP_2)
	v_add_f64 v[1:2], v[1:2], v[57:58]
	s_and_not1_b32 exec_lo, exec_lo, s3
	s_cbranch_execnz .LBB13_37
; %bb.38:
	s_or_b32 exec_lo, exec_lo, s3
	v_mov_b32_e32 v7, 0
	ds_load_b128 v[7:10], v7 offset:96
	s_waitcnt lgkmcnt(0)
	v_mul_f64 v[11:12], v[1:2], v[9:10]
	v_mul_f64 v[57:58], v[3:4], v[9:10]
	s_delay_alu instid0(VALU_DEP_2) | instskip(NEXT) | instid1(VALU_DEP_2)
	v_fma_f64 v[9:10], v[3:4], v[7:8], -v[11:12]
	v_fma_f64 v[11:12], v[1:2], v[7:8], v[57:58]
	scratch_store_b128 off, v[9:12], off offset:96
.LBB13_39:
	s_or_b32 exec_lo, exec_lo, s2
	s_waitcnt_vscnt null, 0x0
	s_barrier
	buffer_gl0_inv
	scratch_load_b128 v[1:4], v47, off
	s_mov_b32 s2, exec_lo
	s_waitcnt vmcnt(0)
	ds_store_b128 v5, v[1:4]
	s_waitcnt lgkmcnt(0)
	s_barrier
	buffer_gl0_inv
	v_cmpx_gt_u32_e32 7, v41
	s_cbranch_execz .LBB13_43
; %bb.40:
	v_dual_mov_b32 v1, 0 :: v_dual_add_nc_u32 v8, 0xe0, v55
	v_dual_mov_b32 v2, 0 :: v_dual_add_nc_u32 v7, -1, v41
	v_or_b32_e32 v9, 8, v56
	s_mov_b32 s3, 0
	s_delay_alu instid0(VALU_DEP_2)
	v_dual_mov_b32 v4, v2 :: v_dual_mov_b32 v3, v1
	.p2align	6
.LBB13_41:                              ; =>This Inner Loop Header: Depth=1
	scratch_load_b128 v[57:60], v9, off offset:-8
	ds_load_b128 v[61:64], v8
	v_add_nc_u32_e32 v7, 1, v7
	v_add_nc_u32_e32 v8, 16, v8
	;; [unrolled: 1-line block ×3, first 2 shown]
	s_delay_alu instid0(VALU_DEP_3) | instskip(SKIP_4) | instid1(VALU_DEP_2)
	v_cmp_lt_u32_e32 vcc_lo, 5, v7
	s_or_b32 s3, vcc_lo, s3
	s_waitcnt vmcnt(0) lgkmcnt(0)
	v_mul_f64 v[10:11], v[63:64], v[59:60]
	v_mul_f64 v[59:60], v[61:62], v[59:60]
	v_fma_f64 v[10:11], v[61:62], v[57:58], -v[10:11]
	s_delay_alu instid0(VALU_DEP_2) | instskip(NEXT) | instid1(VALU_DEP_2)
	v_fma_f64 v[57:58], v[63:64], v[57:58], v[59:60]
	v_add_f64 v[3:4], v[3:4], v[10:11]
	s_delay_alu instid0(VALU_DEP_2)
	v_add_f64 v[1:2], v[1:2], v[57:58]
	s_and_not1_b32 exec_lo, exec_lo, s3
	s_cbranch_execnz .LBB13_41
; %bb.42:
	s_or_b32 exec_lo, exec_lo, s3
	v_mov_b32_e32 v7, 0
	ds_load_b128 v[7:10], v7 offset:112
	s_waitcnt lgkmcnt(0)
	v_mul_f64 v[11:12], v[1:2], v[9:10]
	v_mul_f64 v[57:58], v[3:4], v[9:10]
	s_delay_alu instid0(VALU_DEP_2) | instskip(NEXT) | instid1(VALU_DEP_2)
	v_fma_f64 v[9:10], v[3:4], v[7:8], -v[11:12]
	v_fma_f64 v[11:12], v[1:2], v[7:8], v[57:58]
	scratch_store_b128 off, v[9:12], off offset:112
.LBB13_43:
	s_or_b32 exec_lo, exec_lo, s2
	s_waitcnt_vscnt null, 0x0
	s_barrier
	buffer_gl0_inv
	scratch_load_b128 v[1:4], v50, off
	s_mov_b32 s2, exec_lo
	s_waitcnt vmcnt(0)
	ds_store_b128 v5, v[1:4]
	s_waitcnt lgkmcnt(0)
	s_barrier
	buffer_gl0_inv
	v_cmpx_gt_u32_e32 8, v41
	s_cbranch_execz .LBB13_47
; %bb.44:
	v_dual_mov_b32 v1, 0 :: v_dual_add_nc_u32 v8, 0xe0, v55
	v_dual_mov_b32 v2, 0 :: v_dual_add_nc_u32 v7, -1, v41
	v_or_b32_e32 v9, 8, v56
	s_mov_b32 s3, 0
	s_delay_alu instid0(VALU_DEP_2)
	v_dual_mov_b32 v4, v2 :: v_dual_mov_b32 v3, v1
	.p2align	6
.LBB13_45:                              ; =>This Inner Loop Header: Depth=1
	scratch_load_b128 v[57:60], v9, off offset:-8
	ds_load_b128 v[61:64], v8
	v_add_nc_u32_e32 v7, 1, v7
	v_add_nc_u32_e32 v8, 16, v8
	v_add_nc_u32_e32 v9, 16, v9
	s_delay_alu instid0(VALU_DEP_3) | instskip(SKIP_4) | instid1(VALU_DEP_2)
	v_cmp_lt_u32_e32 vcc_lo, 6, v7
	s_or_b32 s3, vcc_lo, s3
	s_waitcnt vmcnt(0) lgkmcnt(0)
	v_mul_f64 v[10:11], v[63:64], v[59:60]
	v_mul_f64 v[59:60], v[61:62], v[59:60]
	v_fma_f64 v[10:11], v[61:62], v[57:58], -v[10:11]
	s_delay_alu instid0(VALU_DEP_2) | instskip(NEXT) | instid1(VALU_DEP_2)
	v_fma_f64 v[57:58], v[63:64], v[57:58], v[59:60]
	v_add_f64 v[3:4], v[3:4], v[10:11]
	s_delay_alu instid0(VALU_DEP_2)
	v_add_f64 v[1:2], v[1:2], v[57:58]
	s_and_not1_b32 exec_lo, exec_lo, s3
	s_cbranch_execnz .LBB13_45
; %bb.46:
	s_or_b32 exec_lo, exec_lo, s3
	v_mov_b32_e32 v7, 0
	ds_load_b128 v[7:10], v7 offset:128
	s_waitcnt lgkmcnt(0)
	v_mul_f64 v[11:12], v[1:2], v[9:10]
	v_mul_f64 v[57:58], v[3:4], v[9:10]
	s_delay_alu instid0(VALU_DEP_2) | instskip(NEXT) | instid1(VALU_DEP_2)
	v_fma_f64 v[9:10], v[3:4], v[7:8], -v[11:12]
	v_fma_f64 v[11:12], v[1:2], v[7:8], v[57:58]
	scratch_store_b128 off, v[9:12], off offset:128
.LBB13_47:
	s_or_b32 exec_lo, exec_lo, s2
	s_waitcnt_vscnt null, 0x0
	s_barrier
	buffer_gl0_inv
	scratch_load_b128 v[1:4], v49, off
	s_mov_b32 s2, exec_lo
	s_waitcnt vmcnt(0)
	ds_store_b128 v5, v[1:4]
	s_waitcnt lgkmcnt(0)
	s_barrier
	buffer_gl0_inv
	v_cmpx_gt_u32_e32 9, v41
	s_cbranch_execz .LBB13_51
; %bb.48:
	v_dual_mov_b32 v1, 0 :: v_dual_add_nc_u32 v8, 0xe0, v55
	v_dual_mov_b32 v2, 0 :: v_dual_add_nc_u32 v7, -1, v41
	v_or_b32_e32 v9, 8, v56
	s_mov_b32 s3, 0
	s_delay_alu instid0(VALU_DEP_2)
	v_dual_mov_b32 v4, v2 :: v_dual_mov_b32 v3, v1
	.p2align	6
.LBB13_49:                              ; =>This Inner Loop Header: Depth=1
	scratch_load_b128 v[57:60], v9, off offset:-8
	ds_load_b128 v[61:64], v8
	v_add_nc_u32_e32 v7, 1, v7
	v_add_nc_u32_e32 v8, 16, v8
	;; [unrolled: 1-line block ×3, first 2 shown]
	s_delay_alu instid0(VALU_DEP_3) | instskip(SKIP_4) | instid1(VALU_DEP_2)
	v_cmp_lt_u32_e32 vcc_lo, 7, v7
	s_or_b32 s3, vcc_lo, s3
	s_waitcnt vmcnt(0) lgkmcnt(0)
	v_mul_f64 v[10:11], v[63:64], v[59:60]
	v_mul_f64 v[59:60], v[61:62], v[59:60]
	v_fma_f64 v[10:11], v[61:62], v[57:58], -v[10:11]
	s_delay_alu instid0(VALU_DEP_2) | instskip(NEXT) | instid1(VALU_DEP_2)
	v_fma_f64 v[57:58], v[63:64], v[57:58], v[59:60]
	v_add_f64 v[3:4], v[3:4], v[10:11]
	s_delay_alu instid0(VALU_DEP_2)
	v_add_f64 v[1:2], v[1:2], v[57:58]
	s_and_not1_b32 exec_lo, exec_lo, s3
	s_cbranch_execnz .LBB13_49
; %bb.50:
	s_or_b32 exec_lo, exec_lo, s3
	v_mov_b32_e32 v7, 0
	ds_load_b128 v[7:10], v7 offset:144
	s_waitcnt lgkmcnt(0)
	v_mul_f64 v[11:12], v[1:2], v[9:10]
	v_mul_f64 v[57:58], v[3:4], v[9:10]
	s_delay_alu instid0(VALU_DEP_2) | instskip(NEXT) | instid1(VALU_DEP_2)
	v_fma_f64 v[9:10], v[3:4], v[7:8], -v[11:12]
	v_fma_f64 v[11:12], v[1:2], v[7:8], v[57:58]
	scratch_store_b128 off, v[9:12], off offset:144
.LBB13_51:
	s_or_b32 exec_lo, exec_lo, s2
	s_waitcnt_vscnt null, 0x0
	s_barrier
	buffer_gl0_inv
	scratch_load_b128 v[1:4], v52, off
	s_mov_b32 s2, exec_lo
	s_waitcnt vmcnt(0)
	ds_store_b128 v5, v[1:4]
	s_waitcnt lgkmcnt(0)
	s_barrier
	buffer_gl0_inv
	v_cmpx_gt_u32_e32 10, v41
	s_cbranch_execz .LBB13_55
; %bb.52:
	v_dual_mov_b32 v1, 0 :: v_dual_add_nc_u32 v8, 0xe0, v55
	v_dual_mov_b32 v2, 0 :: v_dual_add_nc_u32 v7, -1, v41
	v_or_b32_e32 v9, 8, v56
	s_mov_b32 s3, 0
	s_delay_alu instid0(VALU_DEP_2)
	v_dual_mov_b32 v4, v2 :: v_dual_mov_b32 v3, v1
	.p2align	6
.LBB13_53:                              ; =>This Inner Loop Header: Depth=1
	scratch_load_b128 v[57:60], v9, off offset:-8
	ds_load_b128 v[61:64], v8
	v_add_nc_u32_e32 v7, 1, v7
	v_add_nc_u32_e32 v8, 16, v8
	v_add_nc_u32_e32 v9, 16, v9
	s_delay_alu instid0(VALU_DEP_3) | instskip(SKIP_4) | instid1(VALU_DEP_2)
	v_cmp_lt_u32_e32 vcc_lo, 8, v7
	s_or_b32 s3, vcc_lo, s3
	s_waitcnt vmcnt(0) lgkmcnt(0)
	v_mul_f64 v[10:11], v[63:64], v[59:60]
	v_mul_f64 v[59:60], v[61:62], v[59:60]
	v_fma_f64 v[10:11], v[61:62], v[57:58], -v[10:11]
	s_delay_alu instid0(VALU_DEP_2) | instskip(NEXT) | instid1(VALU_DEP_2)
	v_fma_f64 v[57:58], v[63:64], v[57:58], v[59:60]
	v_add_f64 v[3:4], v[3:4], v[10:11]
	s_delay_alu instid0(VALU_DEP_2)
	v_add_f64 v[1:2], v[1:2], v[57:58]
	s_and_not1_b32 exec_lo, exec_lo, s3
	s_cbranch_execnz .LBB13_53
; %bb.54:
	s_or_b32 exec_lo, exec_lo, s3
	v_mov_b32_e32 v7, 0
	ds_load_b128 v[7:10], v7 offset:160
	s_waitcnt lgkmcnt(0)
	v_mul_f64 v[11:12], v[1:2], v[9:10]
	v_mul_f64 v[57:58], v[3:4], v[9:10]
	s_delay_alu instid0(VALU_DEP_2) | instskip(NEXT) | instid1(VALU_DEP_2)
	v_fma_f64 v[9:10], v[3:4], v[7:8], -v[11:12]
	v_fma_f64 v[11:12], v[1:2], v[7:8], v[57:58]
	scratch_store_b128 off, v[9:12], off offset:160
.LBB13_55:
	s_or_b32 exec_lo, exec_lo, s2
	s_waitcnt_vscnt null, 0x0
	s_barrier
	buffer_gl0_inv
	scratch_load_b128 v[1:4], v51, off
	s_mov_b32 s2, exec_lo
	s_waitcnt vmcnt(0)
	ds_store_b128 v5, v[1:4]
	s_waitcnt lgkmcnt(0)
	s_barrier
	buffer_gl0_inv
	v_cmpx_gt_u32_e32 11, v41
	s_cbranch_execz .LBB13_59
; %bb.56:
	v_dual_mov_b32 v1, 0 :: v_dual_add_nc_u32 v8, 0xe0, v55
	v_dual_mov_b32 v2, 0 :: v_dual_add_nc_u32 v7, -1, v41
	v_or_b32_e32 v9, 8, v56
	s_mov_b32 s3, 0
	s_delay_alu instid0(VALU_DEP_2)
	v_dual_mov_b32 v4, v2 :: v_dual_mov_b32 v3, v1
	.p2align	6
.LBB13_57:                              ; =>This Inner Loop Header: Depth=1
	scratch_load_b128 v[57:60], v9, off offset:-8
	ds_load_b128 v[61:64], v8
	v_add_nc_u32_e32 v7, 1, v7
	v_add_nc_u32_e32 v8, 16, v8
	;; [unrolled: 1-line block ×3, first 2 shown]
	s_delay_alu instid0(VALU_DEP_3) | instskip(SKIP_4) | instid1(VALU_DEP_2)
	v_cmp_lt_u32_e32 vcc_lo, 9, v7
	s_or_b32 s3, vcc_lo, s3
	s_waitcnt vmcnt(0) lgkmcnt(0)
	v_mul_f64 v[10:11], v[63:64], v[59:60]
	v_mul_f64 v[59:60], v[61:62], v[59:60]
	v_fma_f64 v[10:11], v[61:62], v[57:58], -v[10:11]
	s_delay_alu instid0(VALU_DEP_2) | instskip(NEXT) | instid1(VALU_DEP_2)
	v_fma_f64 v[57:58], v[63:64], v[57:58], v[59:60]
	v_add_f64 v[3:4], v[3:4], v[10:11]
	s_delay_alu instid0(VALU_DEP_2)
	v_add_f64 v[1:2], v[1:2], v[57:58]
	s_and_not1_b32 exec_lo, exec_lo, s3
	s_cbranch_execnz .LBB13_57
; %bb.58:
	s_or_b32 exec_lo, exec_lo, s3
	v_mov_b32_e32 v7, 0
	ds_load_b128 v[7:10], v7 offset:176
	s_waitcnt lgkmcnt(0)
	v_mul_f64 v[11:12], v[1:2], v[9:10]
	v_mul_f64 v[57:58], v[3:4], v[9:10]
	s_delay_alu instid0(VALU_DEP_2) | instskip(NEXT) | instid1(VALU_DEP_2)
	v_fma_f64 v[9:10], v[3:4], v[7:8], -v[11:12]
	v_fma_f64 v[11:12], v[1:2], v[7:8], v[57:58]
	scratch_store_b128 off, v[9:12], off offset:176
.LBB13_59:
	s_or_b32 exec_lo, exec_lo, s2
	s_waitcnt_vscnt null, 0x0
	s_barrier
	buffer_gl0_inv
	scratch_load_b128 v[1:4], v54, off
	s_mov_b32 s2, exec_lo
	s_waitcnt vmcnt(0)
	ds_store_b128 v5, v[1:4]
	s_waitcnt lgkmcnt(0)
	s_barrier
	buffer_gl0_inv
	v_cmpx_gt_u32_e32 12, v41
	s_cbranch_execz .LBB13_63
; %bb.60:
	v_dual_mov_b32 v1, 0 :: v_dual_add_nc_u32 v8, 0xe0, v55
	v_dual_mov_b32 v2, 0 :: v_dual_add_nc_u32 v7, -1, v41
	v_or_b32_e32 v9, 8, v56
	s_mov_b32 s3, 0
	s_delay_alu instid0(VALU_DEP_2)
	v_dual_mov_b32 v4, v2 :: v_dual_mov_b32 v3, v1
	.p2align	6
.LBB13_61:                              ; =>This Inner Loop Header: Depth=1
	scratch_load_b128 v[57:60], v9, off offset:-8
	ds_load_b128 v[61:64], v8
	v_add_nc_u32_e32 v7, 1, v7
	v_add_nc_u32_e32 v8, 16, v8
	;; [unrolled: 1-line block ×3, first 2 shown]
	s_delay_alu instid0(VALU_DEP_3) | instskip(SKIP_4) | instid1(VALU_DEP_2)
	v_cmp_lt_u32_e32 vcc_lo, 10, v7
	s_or_b32 s3, vcc_lo, s3
	s_waitcnt vmcnt(0) lgkmcnt(0)
	v_mul_f64 v[10:11], v[63:64], v[59:60]
	v_mul_f64 v[59:60], v[61:62], v[59:60]
	v_fma_f64 v[10:11], v[61:62], v[57:58], -v[10:11]
	s_delay_alu instid0(VALU_DEP_2) | instskip(NEXT) | instid1(VALU_DEP_2)
	v_fma_f64 v[57:58], v[63:64], v[57:58], v[59:60]
	v_add_f64 v[3:4], v[3:4], v[10:11]
	s_delay_alu instid0(VALU_DEP_2)
	v_add_f64 v[1:2], v[1:2], v[57:58]
	s_and_not1_b32 exec_lo, exec_lo, s3
	s_cbranch_execnz .LBB13_61
; %bb.62:
	s_or_b32 exec_lo, exec_lo, s3
	v_mov_b32_e32 v7, 0
	ds_load_b128 v[7:10], v7 offset:192
	s_waitcnt lgkmcnt(0)
	v_mul_f64 v[11:12], v[1:2], v[9:10]
	v_mul_f64 v[57:58], v[3:4], v[9:10]
	s_delay_alu instid0(VALU_DEP_2) | instskip(NEXT) | instid1(VALU_DEP_2)
	v_fma_f64 v[9:10], v[3:4], v[7:8], -v[11:12]
	v_fma_f64 v[11:12], v[1:2], v[7:8], v[57:58]
	scratch_store_b128 off, v[9:12], off offset:192
.LBB13_63:
	s_or_b32 exec_lo, exec_lo, s2
	s_waitcnt_vscnt null, 0x0
	s_barrier
	buffer_gl0_inv
	scratch_load_b128 v[1:4], v53, off
	s_mov_b32 s2, exec_lo
	s_waitcnt vmcnt(0)
	ds_store_b128 v5, v[1:4]
	s_waitcnt lgkmcnt(0)
	s_barrier
	buffer_gl0_inv
	v_cmpx_ne_u32_e32 13, v41
	s_cbranch_execz .LBB13_67
; %bb.64:
	v_mov_b32_e32 v1, 0
	v_mov_b32_e32 v2, 0
	v_or_b32_e32 v7, 8, v56
	s_mov_b32 s3, 0
	s_delay_alu instid0(VALU_DEP_2)
	v_dual_mov_b32 v4, v2 :: v_dual_mov_b32 v3, v1
	.p2align	6
.LBB13_65:                              ; =>This Inner Loop Header: Depth=1
	scratch_load_b128 v[8:11], v7, off offset:-8
	ds_load_b128 v[55:58], v5
	v_add_nc_u32_e32 v6, 1, v6
	v_add_nc_u32_e32 v5, 16, v5
	;; [unrolled: 1-line block ×3, first 2 shown]
	s_delay_alu instid0(VALU_DEP_3) | instskip(SKIP_4) | instid1(VALU_DEP_2)
	v_cmp_lt_u32_e32 vcc_lo, 11, v6
	s_or_b32 s3, vcc_lo, s3
	s_waitcnt vmcnt(0) lgkmcnt(0)
	v_mul_f64 v[59:60], v[57:58], v[10:11]
	v_mul_f64 v[10:11], v[55:56], v[10:11]
	v_fma_f64 v[55:56], v[55:56], v[8:9], -v[59:60]
	s_delay_alu instid0(VALU_DEP_2) | instskip(NEXT) | instid1(VALU_DEP_2)
	v_fma_f64 v[8:9], v[57:58], v[8:9], v[10:11]
	v_add_f64 v[3:4], v[3:4], v[55:56]
	s_delay_alu instid0(VALU_DEP_2)
	v_add_f64 v[1:2], v[1:2], v[8:9]
	s_and_not1_b32 exec_lo, exec_lo, s3
	s_cbranch_execnz .LBB13_65
; %bb.66:
	s_or_b32 exec_lo, exec_lo, s3
	v_mov_b32_e32 v5, 0
	ds_load_b128 v[5:8], v5 offset:208
	s_waitcnt lgkmcnt(0)
	v_mul_f64 v[9:10], v[1:2], v[7:8]
	v_mul_f64 v[7:8], v[3:4], v[7:8]
	s_delay_alu instid0(VALU_DEP_2) | instskip(NEXT) | instid1(VALU_DEP_2)
	v_fma_f64 v[3:4], v[3:4], v[5:6], -v[9:10]
	v_fma_f64 v[5:6], v[1:2], v[5:6], v[7:8]
	scratch_store_b128 off, v[3:6], off offset:208
.LBB13_67:
	s_or_b32 exec_lo, exec_lo, s2
	s_mov_b32 s3, -1
	s_waitcnt_vscnt null, 0x0
	s_barrier
	buffer_gl0_inv
.LBB13_68:
	s_and_b32 vcc_lo, exec_lo, s3
	s_cbranch_vccz .LBB13_70
; %bb.69:
	s_lshl_b64 s[2:3], s[18:19], 2
	v_mov_b32_e32 v1, 0
	s_add_u32 s2, s6, s2
	s_addc_u32 s3, s7, s3
	global_load_b32 v1, v1, s[2:3]
	s_waitcnt vmcnt(0)
	v_cmp_ne_u32_e32 vcc_lo, 0, v1
	s_cbranch_vccz .LBB13_71
.LBB13_70:
	s_endpgm
.LBB13_71:
	v_lshl_add_u32 v5, v41, 4, 0xe0
	s_mov_b32 s2, exec_lo
	v_cmpx_eq_u32_e32 13, v41
	s_cbranch_execz .LBB13_73
; %bb.72:
	scratch_load_b128 v[1:4], v54, off
	v_mov_b32_e32 v6, 0
	s_delay_alu instid0(VALU_DEP_1)
	v_mov_b32_e32 v7, v6
	v_mov_b32_e32 v8, v6
	;; [unrolled: 1-line block ×3, first 2 shown]
	scratch_store_b128 off, v[6:9], off offset:192
	s_waitcnt vmcnt(0)
	ds_store_b128 v5, v[1:4]
.LBB13_73:
	s_or_b32 exec_lo, exec_lo, s2
	s_waitcnt lgkmcnt(0)
	s_waitcnt_vscnt null, 0x0
	s_barrier
	buffer_gl0_inv
	s_clause 0x1
	scratch_load_b128 v[6:9], off, off offset:208
	scratch_load_b128 v[55:58], off, off offset:192
	v_mov_b32_e32 v1, 0
	s_mov_b32 s2, exec_lo
	ds_load_b128 v[59:62], v1 offset:432
	s_waitcnt vmcnt(1) lgkmcnt(0)
	v_mul_f64 v[2:3], v[61:62], v[8:9]
	v_mul_f64 v[8:9], v[59:60], v[8:9]
	s_delay_alu instid0(VALU_DEP_2) | instskip(NEXT) | instid1(VALU_DEP_2)
	v_fma_f64 v[2:3], v[59:60], v[6:7], -v[2:3]
	v_fma_f64 v[6:7], v[61:62], v[6:7], v[8:9]
	s_delay_alu instid0(VALU_DEP_2) | instskip(NEXT) | instid1(VALU_DEP_2)
	v_add_f64 v[2:3], v[2:3], 0
	v_add_f64 v[8:9], v[6:7], 0
	s_waitcnt vmcnt(0)
	s_delay_alu instid0(VALU_DEP_2) | instskip(NEXT) | instid1(VALU_DEP_2)
	v_add_f64 v[6:7], v[55:56], -v[2:3]
	v_add_f64 v[8:9], v[57:58], -v[8:9]
	scratch_store_b128 off, v[6:9], off offset:192
	v_cmpx_lt_u32_e32 11, v41
	s_cbranch_execz .LBB13_75
; %bb.74:
	scratch_load_b128 v[6:9], v51, off
	v_mov_b32_e32 v2, v1
	v_mov_b32_e32 v3, v1
	;; [unrolled: 1-line block ×3, first 2 shown]
	scratch_store_b128 off, v[1:4], off offset:176
	s_waitcnt vmcnt(0)
	ds_store_b128 v5, v[6:9]
.LBB13_75:
	s_or_b32 exec_lo, exec_lo, s2
	s_waitcnt lgkmcnt(0)
	s_waitcnt_vscnt null, 0x0
	s_barrier
	buffer_gl0_inv
	s_clause 0x2
	scratch_load_b128 v[6:9], off, off offset:192
	scratch_load_b128 v[55:58], off, off offset:208
	;; [unrolled: 1-line block ×3, first 2 shown]
	ds_load_b128 v[63:66], v1 offset:416
	ds_load_b128 v[1:4], v1 offset:432
	s_mov_b32 s2, exec_lo
	s_waitcnt vmcnt(2) lgkmcnt(1)
	v_mul_f64 v[10:11], v[65:66], v[8:9]
	v_mul_f64 v[8:9], v[63:64], v[8:9]
	s_waitcnt vmcnt(1) lgkmcnt(0)
	v_mul_f64 v[67:68], v[1:2], v[57:58]
	v_mul_f64 v[57:58], v[3:4], v[57:58]
	s_delay_alu instid0(VALU_DEP_4) | instskip(NEXT) | instid1(VALU_DEP_4)
	v_fma_f64 v[10:11], v[63:64], v[6:7], -v[10:11]
	v_fma_f64 v[6:7], v[65:66], v[6:7], v[8:9]
	s_delay_alu instid0(VALU_DEP_4) | instskip(NEXT) | instid1(VALU_DEP_4)
	v_fma_f64 v[3:4], v[3:4], v[55:56], v[67:68]
	v_fma_f64 v[1:2], v[1:2], v[55:56], -v[57:58]
	s_delay_alu instid0(VALU_DEP_4) | instskip(NEXT) | instid1(VALU_DEP_4)
	v_add_f64 v[8:9], v[10:11], 0
	v_add_f64 v[6:7], v[6:7], 0
	s_delay_alu instid0(VALU_DEP_2) | instskip(NEXT) | instid1(VALU_DEP_2)
	v_add_f64 v[1:2], v[8:9], v[1:2]
	v_add_f64 v[3:4], v[6:7], v[3:4]
	s_waitcnt vmcnt(0)
	s_delay_alu instid0(VALU_DEP_2) | instskip(NEXT) | instid1(VALU_DEP_2)
	v_add_f64 v[1:2], v[59:60], -v[1:2]
	v_add_f64 v[3:4], v[61:62], -v[3:4]
	scratch_store_b128 off, v[1:4], off offset:176
	v_cmpx_lt_u32_e32 10, v41
	s_cbranch_execz .LBB13_77
; %bb.76:
	scratch_load_b128 v[1:4], v52, off
	v_mov_b32_e32 v6, 0
	s_delay_alu instid0(VALU_DEP_1)
	v_mov_b32_e32 v7, v6
	v_mov_b32_e32 v8, v6
	;; [unrolled: 1-line block ×3, first 2 shown]
	scratch_store_b128 off, v[6:9], off offset:160
	s_waitcnt vmcnt(0)
	ds_store_b128 v5, v[1:4]
.LBB13_77:
	s_or_b32 exec_lo, exec_lo, s2
	s_waitcnt lgkmcnt(0)
	s_waitcnt_vscnt null, 0x0
	s_barrier
	buffer_gl0_inv
	s_clause 0x3
	scratch_load_b128 v[6:9], off, off offset:176
	scratch_load_b128 v[55:58], off, off offset:192
	;; [unrolled: 1-line block ×4, first 2 shown]
	v_mov_b32_e32 v1, 0
	ds_load_b128 v[67:70], v1 offset:400
	ds_load_b128 v[71:74], v1 offset:416
	s_mov_b32 s2, exec_lo
	s_waitcnt vmcnt(3) lgkmcnt(1)
	v_mul_f64 v[2:3], v[69:70], v[8:9]
	v_mul_f64 v[8:9], v[67:68], v[8:9]
	s_waitcnt vmcnt(2) lgkmcnt(0)
	v_mul_f64 v[10:11], v[71:72], v[57:58]
	v_mul_f64 v[57:58], v[73:74], v[57:58]
	s_delay_alu instid0(VALU_DEP_4) | instskip(NEXT) | instid1(VALU_DEP_4)
	v_fma_f64 v[2:3], v[67:68], v[6:7], -v[2:3]
	v_fma_f64 v[67:68], v[69:70], v[6:7], v[8:9]
	ds_load_b128 v[6:9], v1 offset:432
	v_fma_f64 v[10:11], v[73:74], v[55:56], v[10:11]
	v_fma_f64 v[55:56], v[71:72], v[55:56], -v[57:58]
	s_waitcnt vmcnt(1) lgkmcnt(0)
	v_mul_f64 v[69:70], v[6:7], v[61:62]
	v_mul_f64 v[61:62], v[8:9], v[61:62]
	v_add_f64 v[2:3], v[2:3], 0
	v_add_f64 v[57:58], v[67:68], 0
	s_delay_alu instid0(VALU_DEP_4) | instskip(NEXT) | instid1(VALU_DEP_4)
	v_fma_f64 v[8:9], v[8:9], v[59:60], v[69:70]
	v_fma_f64 v[6:7], v[6:7], v[59:60], -v[61:62]
	s_delay_alu instid0(VALU_DEP_4) | instskip(NEXT) | instid1(VALU_DEP_4)
	v_add_f64 v[2:3], v[2:3], v[55:56]
	v_add_f64 v[10:11], v[57:58], v[10:11]
	s_delay_alu instid0(VALU_DEP_2) | instskip(NEXT) | instid1(VALU_DEP_2)
	v_add_f64 v[2:3], v[2:3], v[6:7]
	v_add_f64 v[8:9], v[10:11], v[8:9]
	s_waitcnt vmcnt(0)
	s_delay_alu instid0(VALU_DEP_2) | instskip(NEXT) | instid1(VALU_DEP_2)
	v_add_f64 v[6:7], v[63:64], -v[2:3]
	v_add_f64 v[8:9], v[65:66], -v[8:9]
	scratch_store_b128 off, v[6:9], off offset:160
	v_cmpx_lt_u32_e32 9, v41
	s_cbranch_execz .LBB13_79
; %bb.78:
	scratch_load_b128 v[6:9], v49, off
	v_mov_b32_e32 v2, v1
	v_mov_b32_e32 v3, v1
	;; [unrolled: 1-line block ×3, first 2 shown]
	scratch_store_b128 off, v[1:4], off offset:144
	s_waitcnt vmcnt(0)
	ds_store_b128 v5, v[6:9]
.LBB13_79:
	s_or_b32 exec_lo, exec_lo, s2
	s_waitcnt lgkmcnt(0)
	s_waitcnt_vscnt null, 0x0
	s_barrier
	buffer_gl0_inv
	s_clause 0x4
	scratch_load_b128 v[6:9], off, off offset:160
	scratch_load_b128 v[55:58], off, off offset:176
	;; [unrolled: 1-line block ×5, first 2 shown]
	ds_load_b128 v[71:74], v1 offset:384
	ds_load_b128 v[75:78], v1 offset:400
	s_mov_b32 s2, exec_lo
	s_waitcnt vmcnt(4) lgkmcnt(1)
	v_mul_f64 v[2:3], v[73:74], v[8:9]
	v_mul_f64 v[8:9], v[71:72], v[8:9]
	s_waitcnt vmcnt(3) lgkmcnt(0)
	v_mul_f64 v[10:11], v[75:76], v[57:58]
	v_mul_f64 v[57:58], v[77:78], v[57:58]
	s_delay_alu instid0(VALU_DEP_4) | instskip(NEXT) | instid1(VALU_DEP_4)
	v_fma_f64 v[71:72], v[71:72], v[6:7], -v[2:3]
	v_fma_f64 v[73:74], v[73:74], v[6:7], v[8:9]
	ds_load_b128 v[6:9], v1 offset:416
	ds_load_b128 v[1:4], v1 offset:432
	v_fma_f64 v[10:11], v[77:78], v[55:56], v[10:11]
	v_fma_f64 v[55:56], v[75:76], v[55:56], -v[57:58]
	s_waitcnt vmcnt(2) lgkmcnt(1)
	v_mul_f64 v[79:80], v[6:7], v[61:62]
	v_mul_f64 v[61:62], v[8:9], v[61:62]
	v_add_f64 v[57:58], v[71:72], 0
	v_add_f64 v[71:72], v[73:74], 0
	s_waitcnt vmcnt(1) lgkmcnt(0)
	v_mul_f64 v[73:74], v[1:2], v[65:66]
	v_mul_f64 v[65:66], v[3:4], v[65:66]
	v_fma_f64 v[8:9], v[8:9], v[59:60], v[79:80]
	v_fma_f64 v[6:7], v[6:7], v[59:60], -v[61:62]
	v_add_f64 v[55:56], v[57:58], v[55:56]
	v_add_f64 v[10:11], v[71:72], v[10:11]
	v_fma_f64 v[3:4], v[3:4], v[63:64], v[73:74]
	v_fma_f64 v[1:2], v[1:2], v[63:64], -v[65:66]
	s_delay_alu instid0(VALU_DEP_4) | instskip(NEXT) | instid1(VALU_DEP_4)
	v_add_f64 v[6:7], v[55:56], v[6:7]
	v_add_f64 v[8:9], v[10:11], v[8:9]
	s_delay_alu instid0(VALU_DEP_2) | instskip(NEXT) | instid1(VALU_DEP_2)
	v_add_f64 v[1:2], v[6:7], v[1:2]
	v_add_f64 v[3:4], v[8:9], v[3:4]
	s_waitcnt vmcnt(0)
	s_delay_alu instid0(VALU_DEP_2) | instskip(NEXT) | instid1(VALU_DEP_2)
	v_add_f64 v[1:2], v[67:68], -v[1:2]
	v_add_f64 v[3:4], v[69:70], -v[3:4]
	scratch_store_b128 off, v[1:4], off offset:144
	v_cmpx_lt_u32_e32 8, v41
	s_cbranch_execz .LBB13_81
; %bb.80:
	scratch_load_b128 v[1:4], v50, off
	v_mov_b32_e32 v6, 0
	s_delay_alu instid0(VALU_DEP_1)
	v_mov_b32_e32 v7, v6
	v_mov_b32_e32 v8, v6
	;; [unrolled: 1-line block ×3, first 2 shown]
	scratch_store_b128 off, v[6:9], off offset:128
	s_waitcnt vmcnt(0)
	ds_store_b128 v5, v[1:4]
.LBB13_81:
	s_or_b32 exec_lo, exec_lo, s2
	s_waitcnt lgkmcnt(0)
	s_waitcnt_vscnt null, 0x0
	s_barrier
	buffer_gl0_inv
	s_clause 0x5
	scratch_load_b128 v[6:9], off, off offset:144
	scratch_load_b128 v[55:58], off, off offset:160
	;; [unrolled: 1-line block ×6, first 2 shown]
	v_mov_b32_e32 v1, 0
	ds_load_b128 v[75:78], v1 offset:368
	ds_load_b128 v[79:82], v1 offset:384
	s_mov_b32 s2, exec_lo
	s_waitcnt vmcnt(5) lgkmcnt(1)
	v_mul_f64 v[2:3], v[77:78], v[8:9]
	v_mul_f64 v[8:9], v[75:76], v[8:9]
	s_waitcnt vmcnt(4) lgkmcnt(0)
	v_mul_f64 v[10:11], v[79:80], v[57:58]
	v_mul_f64 v[57:58], v[81:82], v[57:58]
	s_delay_alu instid0(VALU_DEP_4) | instskip(NEXT) | instid1(VALU_DEP_4)
	v_fma_f64 v[2:3], v[75:76], v[6:7], -v[2:3]
	v_fma_f64 v[83:84], v[77:78], v[6:7], v[8:9]
	ds_load_b128 v[6:9], v1 offset:400
	ds_load_b128 v[75:78], v1 offset:416
	v_fma_f64 v[10:11], v[81:82], v[55:56], v[10:11]
	v_fma_f64 v[55:56], v[79:80], v[55:56], -v[57:58]
	s_waitcnt vmcnt(3) lgkmcnt(1)
	v_mul_f64 v[85:86], v[6:7], v[61:62]
	v_mul_f64 v[61:62], v[8:9], v[61:62]
	s_waitcnt vmcnt(2) lgkmcnt(0)
	v_mul_f64 v[79:80], v[75:76], v[65:66]
	v_mul_f64 v[65:66], v[77:78], v[65:66]
	v_add_f64 v[2:3], v[2:3], 0
	v_add_f64 v[57:58], v[83:84], 0
	v_fma_f64 v[81:82], v[8:9], v[59:60], v[85:86]
	v_fma_f64 v[59:60], v[6:7], v[59:60], -v[61:62]
	ds_load_b128 v[6:9], v1 offset:432
	v_fma_f64 v[61:62], v[77:78], v[63:64], v[79:80]
	v_fma_f64 v[63:64], v[75:76], v[63:64], -v[65:66]
	v_add_f64 v[2:3], v[2:3], v[55:56]
	v_add_f64 v[10:11], v[57:58], v[10:11]
	s_waitcnt vmcnt(1) lgkmcnt(0)
	v_mul_f64 v[55:56], v[6:7], v[69:70]
	v_mul_f64 v[57:58], v[8:9], v[69:70]
	s_delay_alu instid0(VALU_DEP_4) | instskip(NEXT) | instid1(VALU_DEP_4)
	v_add_f64 v[2:3], v[2:3], v[59:60]
	v_add_f64 v[10:11], v[10:11], v[81:82]
	s_delay_alu instid0(VALU_DEP_4) | instskip(NEXT) | instid1(VALU_DEP_4)
	v_fma_f64 v[8:9], v[8:9], v[67:68], v[55:56]
	v_fma_f64 v[6:7], v[6:7], v[67:68], -v[57:58]
	s_delay_alu instid0(VALU_DEP_4) | instskip(NEXT) | instid1(VALU_DEP_4)
	v_add_f64 v[2:3], v[2:3], v[63:64]
	v_add_f64 v[10:11], v[10:11], v[61:62]
	s_delay_alu instid0(VALU_DEP_2) | instskip(NEXT) | instid1(VALU_DEP_2)
	v_add_f64 v[2:3], v[2:3], v[6:7]
	v_add_f64 v[8:9], v[10:11], v[8:9]
	s_waitcnt vmcnt(0)
	s_delay_alu instid0(VALU_DEP_2) | instskip(NEXT) | instid1(VALU_DEP_2)
	v_add_f64 v[6:7], v[71:72], -v[2:3]
	v_add_f64 v[8:9], v[73:74], -v[8:9]
	scratch_store_b128 off, v[6:9], off offset:128
	v_cmpx_lt_u32_e32 7, v41
	s_cbranch_execz .LBB13_83
; %bb.82:
	scratch_load_b128 v[6:9], v47, off
	v_mov_b32_e32 v2, v1
	v_mov_b32_e32 v3, v1
	;; [unrolled: 1-line block ×3, first 2 shown]
	scratch_store_b128 off, v[1:4], off offset:112
	s_waitcnt vmcnt(0)
	ds_store_b128 v5, v[6:9]
.LBB13_83:
	s_or_b32 exec_lo, exec_lo, s2
	s_waitcnt lgkmcnt(0)
	s_waitcnt_vscnt null, 0x0
	s_barrier
	buffer_gl0_inv
	s_clause 0x5
	scratch_load_b128 v[6:9], off, off offset:128
	scratch_load_b128 v[55:58], off, off offset:144
	;; [unrolled: 1-line block ×6, first 2 shown]
	ds_load_b128 v[75:78], v1 offset:352
	ds_load_b128 v[83:86], v1 offset:368
	scratch_load_b128 v[79:82], off, off offset:112
	s_mov_b32 s2, exec_lo
	s_waitcnt vmcnt(6) lgkmcnt(1)
	v_mul_f64 v[2:3], v[77:78], v[8:9]
	v_mul_f64 v[8:9], v[75:76], v[8:9]
	s_waitcnt vmcnt(5) lgkmcnt(0)
	v_mul_f64 v[10:11], v[83:84], v[57:58]
	v_mul_f64 v[57:58], v[85:86], v[57:58]
	s_delay_alu instid0(VALU_DEP_4) | instskip(NEXT) | instid1(VALU_DEP_4)
	v_fma_f64 v[2:3], v[75:76], v[6:7], -v[2:3]
	v_fma_f64 v[87:88], v[77:78], v[6:7], v[8:9]
	ds_load_b128 v[6:9], v1 offset:384
	ds_load_b128 v[75:78], v1 offset:400
	v_fma_f64 v[10:11], v[85:86], v[55:56], v[10:11]
	v_fma_f64 v[55:56], v[83:84], v[55:56], -v[57:58]
	s_waitcnt vmcnt(4) lgkmcnt(1)
	v_mul_f64 v[89:90], v[6:7], v[61:62]
	v_mul_f64 v[61:62], v[8:9], v[61:62]
	s_waitcnt vmcnt(3) lgkmcnt(0)
	v_mul_f64 v[83:84], v[75:76], v[65:66]
	v_mul_f64 v[65:66], v[77:78], v[65:66]
	v_add_f64 v[2:3], v[2:3], 0
	v_add_f64 v[57:58], v[87:88], 0
	v_fma_f64 v[85:86], v[8:9], v[59:60], v[89:90]
	v_fma_f64 v[59:60], v[6:7], v[59:60], -v[61:62]
	s_delay_alu instid0(VALU_DEP_4) | instskip(NEXT) | instid1(VALU_DEP_4)
	v_add_f64 v[55:56], v[2:3], v[55:56]
	v_add_f64 v[10:11], v[57:58], v[10:11]
	ds_load_b128 v[6:9], v1 offset:416
	ds_load_b128 v[1:4], v1 offset:432
	s_waitcnt vmcnt(2) lgkmcnt(1)
	v_mul_f64 v[57:58], v[6:7], v[69:70]
	v_mul_f64 v[61:62], v[8:9], v[69:70]
	v_fma_f64 v[69:70], v[77:78], v[63:64], v[83:84]
	v_fma_f64 v[63:64], v[75:76], v[63:64], -v[65:66]
	s_waitcnt vmcnt(1) lgkmcnt(0)
	v_mul_f64 v[65:66], v[3:4], v[73:74]
	v_add_f64 v[55:56], v[55:56], v[59:60]
	v_add_f64 v[10:11], v[10:11], v[85:86]
	v_mul_f64 v[59:60], v[1:2], v[73:74]
	v_fma_f64 v[8:9], v[8:9], v[67:68], v[57:58]
	v_fma_f64 v[6:7], v[6:7], v[67:68], -v[61:62]
	v_fma_f64 v[1:2], v[1:2], v[71:72], -v[65:66]
	v_add_f64 v[55:56], v[55:56], v[63:64]
	v_add_f64 v[10:11], v[10:11], v[69:70]
	v_fma_f64 v[3:4], v[3:4], v[71:72], v[59:60]
	s_delay_alu instid0(VALU_DEP_3) | instskip(NEXT) | instid1(VALU_DEP_3)
	v_add_f64 v[6:7], v[55:56], v[6:7]
	v_add_f64 v[8:9], v[10:11], v[8:9]
	s_delay_alu instid0(VALU_DEP_2) | instskip(NEXT) | instid1(VALU_DEP_2)
	v_add_f64 v[1:2], v[6:7], v[1:2]
	v_add_f64 v[3:4], v[8:9], v[3:4]
	s_waitcnt vmcnt(0)
	s_delay_alu instid0(VALU_DEP_2) | instskip(NEXT) | instid1(VALU_DEP_2)
	v_add_f64 v[1:2], v[79:80], -v[1:2]
	v_add_f64 v[3:4], v[81:82], -v[3:4]
	scratch_store_b128 off, v[1:4], off offset:112
	v_cmpx_lt_u32_e32 6, v41
	s_cbranch_execz .LBB13_85
; %bb.84:
	scratch_load_b128 v[1:4], v48, off
	v_mov_b32_e32 v6, 0
	s_delay_alu instid0(VALU_DEP_1)
	v_mov_b32_e32 v7, v6
	v_mov_b32_e32 v8, v6
	;; [unrolled: 1-line block ×3, first 2 shown]
	scratch_store_b128 off, v[6:9], off offset:96
	s_waitcnt vmcnt(0)
	ds_store_b128 v5, v[1:4]
.LBB13_85:
	s_or_b32 exec_lo, exec_lo, s2
	s_waitcnt lgkmcnt(0)
	s_waitcnt_vscnt null, 0x0
	s_barrier
	buffer_gl0_inv
	s_clause 0x6
	scratch_load_b128 v[6:9], off, off offset:112
	scratch_load_b128 v[55:58], off, off offset:128
	;; [unrolled: 1-line block ×7, first 2 shown]
	v_mov_b32_e32 v1, 0
	scratch_load_b128 v[83:86], off, off offset:96
	s_mov_b32 s2, exec_lo
	ds_load_b128 v[79:82], v1 offset:336
	ds_load_b128 v[87:90], v1 offset:352
	s_waitcnt vmcnt(7) lgkmcnt(1)
	v_mul_f64 v[2:3], v[81:82], v[8:9]
	v_mul_f64 v[8:9], v[79:80], v[8:9]
	s_waitcnt vmcnt(6) lgkmcnt(0)
	v_mul_f64 v[10:11], v[87:88], v[57:58]
	v_mul_f64 v[57:58], v[89:90], v[57:58]
	s_delay_alu instid0(VALU_DEP_4) | instskip(NEXT) | instid1(VALU_DEP_4)
	v_fma_f64 v[2:3], v[79:80], v[6:7], -v[2:3]
	v_fma_f64 v[91:92], v[81:82], v[6:7], v[8:9]
	ds_load_b128 v[6:9], v1 offset:368
	ds_load_b128 v[79:82], v1 offset:384
	v_fma_f64 v[10:11], v[89:90], v[55:56], v[10:11]
	v_fma_f64 v[55:56], v[87:88], v[55:56], -v[57:58]
	s_waitcnt vmcnt(5) lgkmcnt(1)
	v_mul_f64 v[93:94], v[6:7], v[61:62]
	v_mul_f64 v[61:62], v[8:9], v[61:62]
	s_waitcnt vmcnt(4) lgkmcnt(0)
	v_mul_f64 v[87:88], v[79:80], v[65:66]
	v_mul_f64 v[65:66], v[81:82], v[65:66]
	v_add_f64 v[2:3], v[2:3], 0
	v_add_f64 v[57:58], v[91:92], 0
	v_fma_f64 v[89:90], v[8:9], v[59:60], v[93:94]
	v_fma_f64 v[59:60], v[6:7], v[59:60], -v[61:62]
	v_fma_f64 v[81:82], v[81:82], v[63:64], v[87:88]
	v_fma_f64 v[63:64], v[79:80], v[63:64], -v[65:66]
	v_add_f64 v[2:3], v[2:3], v[55:56]
	v_add_f64 v[10:11], v[57:58], v[10:11]
	ds_load_b128 v[6:9], v1 offset:400
	ds_load_b128 v[55:58], v1 offset:416
	s_waitcnt vmcnt(3) lgkmcnt(1)
	v_mul_f64 v[61:62], v[6:7], v[69:70]
	v_mul_f64 v[69:70], v[8:9], v[69:70]
	s_waitcnt vmcnt(2) lgkmcnt(0)
	v_mul_f64 v[65:66], v[57:58], v[73:74]
	v_add_f64 v[2:3], v[2:3], v[59:60]
	v_add_f64 v[10:11], v[10:11], v[89:90]
	v_mul_f64 v[59:60], v[55:56], v[73:74]
	v_fma_f64 v[61:62], v[8:9], v[67:68], v[61:62]
	v_fma_f64 v[67:68], v[6:7], v[67:68], -v[69:70]
	ds_load_b128 v[6:9], v1 offset:432
	v_fma_f64 v[55:56], v[55:56], v[71:72], -v[65:66]
	v_add_f64 v[2:3], v[2:3], v[63:64]
	v_add_f64 v[10:11], v[10:11], v[81:82]
	v_fma_f64 v[57:58], v[57:58], v[71:72], v[59:60]
	s_waitcnt vmcnt(1) lgkmcnt(0)
	v_mul_f64 v[63:64], v[6:7], v[77:78]
	v_mul_f64 v[69:70], v[8:9], v[77:78]
	v_add_f64 v[2:3], v[2:3], v[67:68]
	v_add_f64 v[10:11], v[10:11], v[61:62]
	s_delay_alu instid0(VALU_DEP_4) | instskip(NEXT) | instid1(VALU_DEP_4)
	v_fma_f64 v[8:9], v[8:9], v[75:76], v[63:64]
	v_fma_f64 v[6:7], v[6:7], v[75:76], -v[69:70]
	s_delay_alu instid0(VALU_DEP_4) | instskip(NEXT) | instid1(VALU_DEP_4)
	v_add_f64 v[2:3], v[2:3], v[55:56]
	v_add_f64 v[10:11], v[10:11], v[57:58]
	s_delay_alu instid0(VALU_DEP_2) | instskip(NEXT) | instid1(VALU_DEP_2)
	v_add_f64 v[2:3], v[2:3], v[6:7]
	v_add_f64 v[8:9], v[10:11], v[8:9]
	s_waitcnt vmcnt(0)
	s_delay_alu instid0(VALU_DEP_2) | instskip(NEXT) | instid1(VALU_DEP_2)
	v_add_f64 v[6:7], v[83:84], -v[2:3]
	v_add_f64 v[8:9], v[85:86], -v[8:9]
	scratch_store_b128 off, v[6:9], off offset:96
	v_cmpx_lt_u32_e32 5, v41
	s_cbranch_execz .LBB13_87
; %bb.86:
	scratch_load_b128 v[6:9], v44, off
	v_mov_b32_e32 v2, v1
	v_mov_b32_e32 v3, v1
	;; [unrolled: 1-line block ×3, first 2 shown]
	scratch_store_b128 off, v[1:4], off offset:80
	s_waitcnt vmcnt(0)
	ds_store_b128 v5, v[6:9]
.LBB13_87:
	s_or_b32 exec_lo, exec_lo, s2
	s_waitcnt lgkmcnt(0)
	s_waitcnt_vscnt null, 0x0
	s_barrier
	buffer_gl0_inv
	s_clause 0x7
	scratch_load_b128 v[6:9], off, off offset:96
	scratch_load_b128 v[55:58], off, off offset:112
	;; [unrolled: 1-line block ×8, first 2 shown]
	ds_load_b128 v[83:86], v1 offset:320
	ds_load_b128 v[87:90], v1 offset:336
	scratch_load_b128 v[91:94], off, off offset:80
	s_mov_b32 s2, exec_lo
	s_waitcnt vmcnt(8) lgkmcnt(1)
	v_mul_f64 v[2:3], v[85:86], v[8:9]
	v_mul_f64 v[8:9], v[83:84], v[8:9]
	s_waitcnt vmcnt(7) lgkmcnt(0)
	v_mul_f64 v[10:11], v[87:88], v[57:58]
	v_mul_f64 v[57:58], v[89:90], v[57:58]
	s_delay_alu instid0(VALU_DEP_4) | instskip(NEXT) | instid1(VALU_DEP_4)
	v_fma_f64 v[2:3], v[83:84], v[6:7], -v[2:3]
	v_fma_f64 v[95:96], v[85:86], v[6:7], v[8:9]
	ds_load_b128 v[6:9], v1 offset:352
	ds_load_b128 v[83:86], v1 offset:368
	v_fma_f64 v[10:11], v[89:90], v[55:56], v[10:11]
	v_fma_f64 v[55:56], v[87:88], v[55:56], -v[57:58]
	s_waitcnt vmcnt(6) lgkmcnt(1)
	v_mul_f64 v[97:98], v[6:7], v[61:62]
	v_mul_f64 v[61:62], v[8:9], v[61:62]
	s_waitcnt vmcnt(5) lgkmcnt(0)
	v_mul_f64 v[87:88], v[83:84], v[65:66]
	v_mul_f64 v[65:66], v[85:86], v[65:66]
	v_add_f64 v[2:3], v[2:3], 0
	v_add_f64 v[57:58], v[95:96], 0
	v_fma_f64 v[89:90], v[8:9], v[59:60], v[97:98]
	v_fma_f64 v[59:60], v[6:7], v[59:60], -v[61:62]
	v_fma_f64 v[85:86], v[85:86], v[63:64], v[87:88]
	v_fma_f64 v[63:64], v[83:84], v[63:64], -v[65:66]
	v_add_f64 v[2:3], v[2:3], v[55:56]
	v_add_f64 v[10:11], v[57:58], v[10:11]
	ds_load_b128 v[6:9], v1 offset:384
	ds_load_b128 v[55:58], v1 offset:400
	s_waitcnt vmcnt(4) lgkmcnt(1)
	v_mul_f64 v[61:62], v[6:7], v[69:70]
	v_mul_f64 v[69:70], v[8:9], v[69:70]
	s_waitcnt vmcnt(3) lgkmcnt(0)
	v_mul_f64 v[65:66], v[57:58], v[73:74]
	v_add_f64 v[2:3], v[2:3], v[59:60]
	v_add_f64 v[10:11], v[10:11], v[89:90]
	v_mul_f64 v[59:60], v[55:56], v[73:74]
	v_fma_f64 v[61:62], v[8:9], v[67:68], v[61:62]
	v_fma_f64 v[67:68], v[6:7], v[67:68], -v[69:70]
	v_fma_f64 v[55:56], v[55:56], v[71:72], -v[65:66]
	v_add_f64 v[63:64], v[2:3], v[63:64]
	v_add_f64 v[10:11], v[10:11], v[85:86]
	ds_load_b128 v[6:9], v1 offset:416
	ds_load_b128 v[1:4], v1 offset:432
	v_fma_f64 v[57:58], v[57:58], v[71:72], v[59:60]
	s_waitcnt vmcnt(2) lgkmcnt(1)
	v_mul_f64 v[69:70], v[6:7], v[77:78]
	v_mul_f64 v[73:74], v[8:9], v[77:78]
	v_add_f64 v[59:60], v[63:64], v[67:68]
	v_add_f64 v[10:11], v[10:11], v[61:62]
	s_waitcnt vmcnt(1) lgkmcnt(0)
	v_mul_f64 v[61:62], v[1:2], v[81:82]
	v_mul_f64 v[63:64], v[3:4], v[81:82]
	v_fma_f64 v[8:9], v[8:9], v[75:76], v[69:70]
	v_fma_f64 v[6:7], v[6:7], v[75:76], -v[73:74]
	v_add_f64 v[55:56], v[59:60], v[55:56]
	v_add_f64 v[10:11], v[10:11], v[57:58]
	v_fma_f64 v[3:4], v[3:4], v[79:80], v[61:62]
	v_fma_f64 v[1:2], v[1:2], v[79:80], -v[63:64]
	s_delay_alu instid0(VALU_DEP_4) | instskip(NEXT) | instid1(VALU_DEP_4)
	v_add_f64 v[6:7], v[55:56], v[6:7]
	v_add_f64 v[8:9], v[10:11], v[8:9]
	s_delay_alu instid0(VALU_DEP_2) | instskip(NEXT) | instid1(VALU_DEP_2)
	v_add_f64 v[1:2], v[6:7], v[1:2]
	v_add_f64 v[3:4], v[8:9], v[3:4]
	s_waitcnt vmcnt(0)
	s_delay_alu instid0(VALU_DEP_2) | instskip(NEXT) | instid1(VALU_DEP_2)
	v_add_f64 v[1:2], v[91:92], -v[1:2]
	v_add_f64 v[3:4], v[93:94], -v[3:4]
	scratch_store_b128 off, v[1:4], off offset:80
	v_cmpx_lt_u32_e32 4, v41
	s_cbranch_execz .LBB13_89
; %bb.88:
	scratch_load_b128 v[1:4], v46, off
	v_mov_b32_e32 v6, 0
	s_delay_alu instid0(VALU_DEP_1)
	v_mov_b32_e32 v7, v6
	v_mov_b32_e32 v8, v6
	;; [unrolled: 1-line block ×3, first 2 shown]
	scratch_store_b128 off, v[6:9], off offset:64
	s_waitcnt vmcnt(0)
	ds_store_b128 v5, v[1:4]
.LBB13_89:
	s_or_b32 exec_lo, exec_lo, s2
	s_waitcnt lgkmcnt(0)
	s_waitcnt_vscnt null, 0x0
	s_barrier
	buffer_gl0_inv
	s_clause 0x7
	scratch_load_b128 v[6:9], off, off offset:80
	scratch_load_b128 v[55:58], off, off offset:96
	scratch_load_b128 v[59:62], off, off offset:112
	scratch_load_b128 v[63:66], off, off offset:128
	scratch_load_b128 v[67:70], off, off offset:144
	scratch_load_b128 v[71:74], off, off offset:160
	scratch_load_b128 v[75:78], off, off offset:176
	scratch_load_b128 v[79:82], off, off offset:192
	v_mov_b32_e32 v1, 0
	s_mov_b32 s2, exec_lo
	ds_load_b128 v[83:86], v1 offset:304
	s_clause 0x1
	scratch_load_b128 v[87:90], off, off offset:208
	scratch_load_b128 v[91:94], off, off offset:64
	ds_load_b128 v[95:98], v1 offset:320
	s_waitcnt vmcnt(9) lgkmcnt(1)
	v_mul_f64 v[2:3], v[85:86], v[8:9]
	v_mul_f64 v[8:9], v[83:84], v[8:9]
	s_waitcnt vmcnt(8) lgkmcnt(0)
	v_mul_f64 v[10:11], v[95:96], v[57:58]
	v_mul_f64 v[57:58], v[97:98], v[57:58]
	s_delay_alu instid0(VALU_DEP_4) | instskip(NEXT) | instid1(VALU_DEP_4)
	v_fma_f64 v[2:3], v[83:84], v[6:7], -v[2:3]
	v_fma_f64 v[99:100], v[85:86], v[6:7], v[8:9]
	ds_load_b128 v[6:9], v1 offset:336
	ds_load_b128 v[83:86], v1 offset:352
	v_fma_f64 v[10:11], v[97:98], v[55:56], v[10:11]
	v_fma_f64 v[55:56], v[95:96], v[55:56], -v[57:58]
	s_waitcnt vmcnt(7) lgkmcnt(1)
	v_mul_f64 v[101:102], v[6:7], v[61:62]
	v_mul_f64 v[61:62], v[8:9], v[61:62]
	s_waitcnt vmcnt(6) lgkmcnt(0)
	v_mul_f64 v[95:96], v[83:84], v[65:66]
	v_mul_f64 v[65:66], v[85:86], v[65:66]
	v_add_f64 v[2:3], v[2:3], 0
	v_add_f64 v[57:58], v[99:100], 0
	v_fma_f64 v[97:98], v[8:9], v[59:60], v[101:102]
	v_fma_f64 v[59:60], v[6:7], v[59:60], -v[61:62]
	v_fma_f64 v[85:86], v[85:86], v[63:64], v[95:96]
	v_fma_f64 v[63:64], v[83:84], v[63:64], -v[65:66]
	v_add_f64 v[2:3], v[2:3], v[55:56]
	v_add_f64 v[10:11], v[57:58], v[10:11]
	ds_load_b128 v[6:9], v1 offset:368
	ds_load_b128 v[55:58], v1 offset:384
	s_waitcnt vmcnt(5) lgkmcnt(1)
	v_mul_f64 v[61:62], v[6:7], v[69:70]
	v_mul_f64 v[69:70], v[8:9], v[69:70]
	s_waitcnt vmcnt(4) lgkmcnt(0)
	v_mul_f64 v[65:66], v[55:56], v[73:74]
	v_mul_f64 v[73:74], v[57:58], v[73:74]
	v_add_f64 v[2:3], v[2:3], v[59:60]
	v_add_f64 v[10:11], v[10:11], v[97:98]
	v_fma_f64 v[83:84], v[8:9], v[67:68], v[61:62]
	v_fma_f64 v[67:68], v[6:7], v[67:68], -v[69:70]
	ds_load_b128 v[6:9], v1 offset:400
	ds_load_b128 v[59:62], v1 offset:416
	v_fma_f64 v[57:58], v[57:58], v[71:72], v[65:66]
	v_fma_f64 v[55:56], v[55:56], v[71:72], -v[73:74]
	v_add_f64 v[2:3], v[2:3], v[63:64]
	v_add_f64 v[10:11], v[10:11], v[85:86]
	s_waitcnt vmcnt(3) lgkmcnt(1)
	v_mul_f64 v[63:64], v[6:7], v[77:78]
	v_mul_f64 v[69:70], v[8:9], v[77:78]
	s_waitcnt vmcnt(2) lgkmcnt(0)
	v_mul_f64 v[65:66], v[59:60], v[81:82]
	v_add_f64 v[2:3], v[2:3], v[67:68]
	v_add_f64 v[10:11], v[10:11], v[83:84]
	v_mul_f64 v[67:68], v[61:62], v[81:82]
	v_fma_f64 v[63:64], v[8:9], v[75:76], v[63:64]
	v_fma_f64 v[69:70], v[6:7], v[75:76], -v[69:70]
	ds_load_b128 v[6:9], v1 offset:432
	v_fma_f64 v[61:62], v[61:62], v[79:80], v[65:66]
	v_add_f64 v[2:3], v[2:3], v[55:56]
	v_add_f64 v[10:11], v[10:11], v[57:58]
	s_waitcnt vmcnt(1) lgkmcnt(0)
	v_mul_f64 v[55:56], v[6:7], v[89:90]
	v_mul_f64 v[57:58], v[8:9], v[89:90]
	v_fma_f64 v[59:60], v[59:60], v[79:80], -v[67:68]
	v_add_f64 v[2:3], v[2:3], v[69:70]
	v_add_f64 v[10:11], v[10:11], v[63:64]
	v_fma_f64 v[8:9], v[8:9], v[87:88], v[55:56]
	v_fma_f64 v[6:7], v[6:7], v[87:88], -v[57:58]
	s_delay_alu instid0(VALU_DEP_4) | instskip(NEXT) | instid1(VALU_DEP_4)
	v_add_f64 v[2:3], v[2:3], v[59:60]
	v_add_f64 v[10:11], v[10:11], v[61:62]
	s_delay_alu instid0(VALU_DEP_2) | instskip(NEXT) | instid1(VALU_DEP_2)
	v_add_f64 v[2:3], v[2:3], v[6:7]
	v_add_f64 v[8:9], v[10:11], v[8:9]
	s_waitcnt vmcnt(0)
	s_delay_alu instid0(VALU_DEP_2) | instskip(NEXT) | instid1(VALU_DEP_2)
	v_add_f64 v[6:7], v[91:92], -v[2:3]
	v_add_f64 v[8:9], v[93:94], -v[8:9]
	scratch_store_b128 off, v[6:9], off offset:64
	v_cmpx_lt_u32_e32 3, v41
	s_cbranch_execz .LBB13_91
; %bb.90:
	scratch_load_b128 v[6:9], v42, off
	v_mov_b32_e32 v2, v1
	v_mov_b32_e32 v3, v1
	;; [unrolled: 1-line block ×3, first 2 shown]
	scratch_store_b128 off, v[1:4], off offset:48
	s_waitcnt vmcnt(0)
	ds_store_b128 v5, v[6:9]
.LBB13_91:
	s_or_b32 exec_lo, exec_lo, s2
	s_waitcnt lgkmcnt(0)
	s_waitcnt_vscnt null, 0x0
	s_barrier
	buffer_gl0_inv
	s_clause 0x8
	scratch_load_b128 v[6:9], off, off offset:64
	scratch_load_b128 v[55:58], off, off offset:80
	;; [unrolled: 1-line block ×9, first 2 shown]
	ds_load_b128 v[87:90], v1 offset:288
	ds_load_b128 v[91:94], v1 offset:304
	scratch_load_b128 v[95:98], off, off offset:48
	s_mov_b32 s2, exec_lo
	s_waitcnt vmcnt(9) lgkmcnt(1)
	v_mul_f64 v[2:3], v[89:90], v[8:9]
	v_mul_f64 v[99:100], v[87:88], v[8:9]
	scratch_load_b128 v[8:11], off, off offset:208
	s_waitcnt vmcnt(9) lgkmcnt(0)
	v_mul_f64 v[103:104], v[91:92], v[57:58]
	v_mul_f64 v[57:58], v[93:94], v[57:58]
	v_fma_f64 v[2:3], v[87:88], v[6:7], -v[2:3]
	v_fma_f64 v[6:7], v[89:90], v[6:7], v[99:100]
	ds_load_b128 v[87:90], v1 offset:320
	ds_load_b128 v[99:102], v1 offset:336
	v_fma_f64 v[93:94], v[93:94], v[55:56], v[103:104]
	v_fma_f64 v[55:56], v[91:92], v[55:56], -v[57:58]
	s_waitcnt vmcnt(8) lgkmcnt(1)
	v_mul_f64 v[105:106], v[87:88], v[61:62]
	v_mul_f64 v[61:62], v[89:90], v[61:62]
	s_waitcnt vmcnt(7) lgkmcnt(0)
	v_mul_f64 v[91:92], v[99:100], v[65:66]
	v_mul_f64 v[65:66], v[101:102], v[65:66]
	v_add_f64 v[2:3], v[2:3], 0
	v_add_f64 v[6:7], v[6:7], 0
	v_fma_f64 v[89:90], v[89:90], v[59:60], v[105:106]
	v_fma_f64 v[87:88], v[87:88], v[59:60], -v[61:62]
	v_fma_f64 v[91:92], v[101:102], v[63:64], v[91:92]
	v_fma_f64 v[63:64], v[99:100], v[63:64], -v[65:66]
	v_add_f64 v[2:3], v[2:3], v[55:56]
	v_add_f64 v[6:7], v[6:7], v[93:94]
	ds_load_b128 v[55:58], v1 offset:352
	ds_load_b128 v[59:62], v1 offset:368
	s_waitcnt vmcnt(6) lgkmcnt(1)
	v_mul_f64 v[93:94], v[55:56], v[69:70]
	v_mul_f64 v[69:70], v[57:58], v[69:70]
	v_add_f64 v[2:3], v[2:3], v[87:88]
	v_add_f64 v[6:7], v[6:7], v[89:90]
	s_waitcnt vmcnt(5) lgkmcnt(0)
	v_mul_f64 v[87:88], v[59:60], v[73:74]
	v_mul_f64 v[73:74], v[61:62], v[73:74]
	v_fma_f64 v[89:90], v[57:58], v[67:68], v[93:94]
	v_fma_f64 v[67:68], v[55:56], v[67:68], -v[69:70]
	v_add_f64 v[2:3], v[2:3], v[63:64]
	v_add_f64 v[6:7], v[6:7], v[91:92]
	ds_load_b128 v[55:58], v1 offset:384
	ds_load_b128 v[63:66], v1 offset:400
	v_fma_f64 v[61:62], v[61:62], v[71:72], v[87:88]
	v_fma_f64 v[59:60], v[59:60], v[71:72], -v[73:74]
	s_waitcnt vmcnt(4) lgkmcnt(1)
	v_mul_f64 v[69:70], v[55:56], v[77:78]
	v_mul_f64 v[77:78], v[57:58], v[77:78]
	s_waitcnt vmcnt(3) lgkmcnt(0)
	v_mul_f64 v[71:72], v[65:66], v[81:82]
	v_add_f64 v[2:3], v[2:3], v[67:68]
	v_add_f64 v[6:7], v[6:7], v[89:90]
	v_mul_f64 v[67:68], v[63:64], v[81:82]
	v_fma_f64 v[69:70], v[57:58], v[75:76], v[69:70]
	v_fma_f64 v[73:74], v[55:56], v[75:76], -v[77:78]
	v_fma_f64 v[63:64], v[63:64], v[79:80], -v[71:72]
	v_add_f64 v[59:60], v[2:3], v[59:60]
	v_add_f64 v[6:7], v[6:7], v[61:62]
	ds_load_b128 v[55:58], v1 offset:416
	ds_load_b128 v[1:4], v1 offset:432
	v_fma_f64 v[65:66], v[65:66], v[79:80], v[67:68]
	s_waitcnt vmcnt(2) lgkmcnt(1)
	v_mul_f64 v[61:62], v[55:56], v[85:86]
	v_mul_f64 v[75:76], v[57:58], v[85:86]
	v_add_f64 v[59:60], v[59:60], v[73:74]
	v_add_f64 v[6:7], v[6:7], v[69:70]
	s_waitcnt vmcnt(0) lgkmcnt(0)
	v_mul_f64 v[67:68], v[1:2], v[10:11]
	v_mul_f64 v[10:11], v[3:4], v[10:11]
	v_fma_f64 v[57:58], v[57:58], v[83:84], v[61:62]
	v_fma_f64 v[55:56], v[55:56], v[83:84], -v[75:76]
	v_add_f64 v[59:60], v[59:60], v[63:64]
	v_add_f64 v[6:7], v[6:7], v[65:66]
	v_fma_f64 v[3:4], v[3:4], v[8:9], v[67:68]
	v_fma_f64 v[1:2], v[1:2], v[8:9], -v[10:11]
	s_delay_alu instid0(VALU_DEP_4) | instskip(NEXT) | instid1(VALU_DEP_4)
	v_add_f64 v[8:9], v[59:60], v[55:56]
	v_add_f64 v[6:7], v[6:7], v[57:58]
	s_delay_alu instid0(VALU_DEP_2) | instskip(NEXT) | instid1(VALU_DEP_2)
	v_add_f64 v[1:2], v[8:9], v[1:2]
	v_add_f64 v[3:4], v[6:7], v[3:4]
	s_delay_alu instid0(VALU_DEP_2) | instskip(NEXT) | instid1(VALU_DEP_2)
	v_add_f64 v[1:2], v[95:96], -v[1:2]
	v_add_f64 v[3:4], v[97:98], -v[3:4]
	scratch_store_b128 off, v[1:4], off offset:48
	v_cmpx_lt_u32_e32 2, v41
	s_cbranch_execz .LBB13_93
; %bb.92:
	scratch_load_b128 v[1:4], v45, off
	v_mov_b32_e32 v6, 0
	s_delay_alu instid0(VALU_DEP_1)
	v_mov_b32_e32 v7, v6
	v_mov_b32_e32 v8, v6
	;; [unrolled: 1-line block ×3, first 2 shown]
	scratch_store_b128 off, v[6:9], off offset:32
	s_waitcnt vmcnt(0)
	ds_store_b128 v5, v[1:4]
.LBB13_93:
	s_or_b32 exec_lo, exec_lo, s2
	s_waitcnt lgkmcnt(0)
	s_waitcnt_vscnt null, 0x0
	s_barrier
	buffer_gl0_inv
	s_clause 0x7
	scratch_load_b128 v[6:9], off, off offset:48
	scratch_load_b128 v[55:58], off, off offset:64
	;; [unrolled: 1-line block ×8, first 2 shown]
	v_mov_b32_e32 v1, 0
	s_mov_b32 s2, exec_lo
	ds_load_b128 v[83:86], v1 offset:272
	s_clause 0x1
	scratch_load_b128 v[87:90], off, off offset:176
	scratch_load_b128 v[91:94], off, off offset:32
	ds_load_b128 v[95:98], v1 offset:288
	ds_load_b128 v[103:106], v1 offset:320
	s_waitcnt vmcnt(9) lgkmcnt(2)
	v_mul_f64 v[2:3], v[85:86], v[8:9]
	v_mul_f64 v[99:100], v[83:84], v[8:9]
	scratch_load_b128 v[8:11], off, off offset:192
	v_fma_f64 v[2:3], v[83:84], v[6:7], -v[2:3]
	v_fma_f64 v[6:7], v[85:86], v[6:7], v[99:100]
	scratch_load_b128 v[99:102], off, off offset:208
	ds_load_b128 v[83:86], v1 offset:304
	s_waitcnt vmcnt(10) lgkmcnt(2)
	v_mul_f64 v[107:108], v[95:96], v[57:58]
	v_mul_f64 v[57:58], v[97:98], v[57:58]
	s_waitcnt vmcnt(9) lgkmcnt(0)
	v_mul_f64 v[109:110], v[83:84], v[61:62]
	v_mul_f64 v[61:62], v[85:86], v[61:62]
	v_add_f64 v[2:3], v[2:3], 0
	v_add_f64 v[6:7], v[6:7], 0
	v_fma_f64 v[97:98], v[97:98], v[55:56], v[107:108]
	v_fma_f64 v[55:56], v[95:96], v[55:56], -v[57:58]
	s_waitcnt vmcnt(8)
	v_mul_f64 v[95:96], v[103:104], v[65:66]
	v_mul_f64 v[65:66], v[105:106], v[65:66]
	v_fma_f64 v[85:86], v[85:86], v[59:60], v[109:110]
	v_fma_f64 v[83:84], v[83:84], v[59:60], -v[61:62]
	v_add_f64 v[6:7], v[6:7], v[97:98]
	v_add_f64 v[2:3], v[2:3], v[55:56]
	ds_load_b128 v[55:58], v1 offset:336
	ds_load_b128 v[59:62], v1 offset:352
	v_fma_f64 v[95:96], v[105:106], v[63:64], v[95:96]
	v_fma_f64 v[63:64], v[103:104], v[63:64], -v[65:66]
	s_waitcnt vmcnt(7) lgkmcnt(1)
	v_mul_f64 v[97:98], v[55:56], v[69:70]
	v_mul_f64 v[69:70], v[57:58], v[69:70]
	v_add_f64 v[6:7], v[6:7], v[85:86]
	v_add_f64 v[2:3], v[2:3], v[83:84]
	s_waitcnt vmcnt(6) lgkmcnt(0)
	v_mul_f64 v[83:84], v[59:60], v[73:74]
	v_mul_f64 v[73:74], v[61:62], v[73:74]
	v_fma_f64 v[85:86], v[57:58], v[67:68], v[97:98]
	v_fma_f64 v[67:68], v[55:56], v[67:68], -v[69:70]
	v_add_f64 v[6:7], v[6:7], v[95:96]
	v_add_f64 v[2:3], v[2:3], v[63:64]
	ds_load_b128 v[55:58], v1 offset:368
	ds_load_b128 v[63:66], v1 offset:384
	v_fma_f64 v[61:62], v[61:62], v[71:72], v[83:84]
	v_fma_f64 v[59:60], v[59:60], v[71:72], -v[73:74]
	s_waitcnt vmcnt(5) lgkmcnt(1)
	v_mul_f64 v[69:70], v[55:56], v[77:78]
	v_mul_f64 v[77:78], v[57:58], v[77:78]
	s_waitcnt vmcnt(4) lgkmcnt(0)
	v_mul_f64 v[71:72], v[65:66], v[81:82]
	v_add_f64 v[6:7], v[6:7], v[85:86]
	v_add_f64 v[2:3], v[2:3], v[67:68]
	v_mul_f64 v[67:68], v[63:64], v[81:82]
	v_fma_f64 v[69:70], v[57:58], v[75:76], v[69:70]
	v_fma_f64 v[73:74], v[55:56], v[75:76], -v[77:78]
	v_fma_f64 v[63:64], v[63:64], v[79:80], -v[71:72]
	v_add_f64 v[6:7], v[6:7], v[61:62]
	v_add_f64 v[2:3], v[2:3], v[59:60]
	ds_load_b128 v[55:58], v1 offset:400
	ds_load_b128 v[59:62], v1 offset:416
	v_fma_f64 v[65:66], v[65:66], v[79:80], v[67:68]
	s_waitcnt vmcnt(3) lgkmcnt(1)
	v_mul_f64 v[75:76], v[55:56], v[89:90]
	v_mul_f64 v[77:78], v[57:58], v[89:90]
	v_add_f64 v[6:7], v[6:7], v[69:70]
	v_add_f64 v[2:3], v[2:3], v[73:74]
	s_waitcnt vmcnt(1) lgkmcnt(0)
	v_mul_f64 v[67:68], v[59:60], v[10:11]
	v_mul_f64 v[10:11], v[61:62], v[10:11]
	v_fma_f64 v[69:70], v[57:58], v[87:88], v[75:76]
	v_fma_f64 v[71:72], v[55:56], v[87:88], -v[77:78]
	ds_load_b128 v[55:58], v1 offset:432
	v_add_f64 v[6:7], v[6:7], v[65:66]
	v_add_f64 v[2:3], v[2:3], v[63:64]
	s_waitcnt vmcnt(0) lgkmcnt(0)
	v_mul_f64 v[63:64], v[55:56], v[101:102]
	v_mul_f64 v[65:66], v[57:58], v[101:102]
	v_fma_f64 v[61:62], v[61:62], v[8:9], v[67:68]
	v_fma_f64 v[8:9], v[59:60], v[8:9], -v[10:11]
	v_add_f64 v[6:7], v[6:7], v[69:70]
	v_add_f64 v[2:3], v[2:3], v[71:72]
	v_fma_f64 v[10:11], v[57:58], v[99:100], v[63:64]
	v_fma_f64 v[55:56], v[55:56], v[99:100], -v[65:66]
	s_delay_alu instid0(VALU_DEP_4) | instskip(NEXT) | instid1(VALU_DEP_4)
	v_add_f64 v[6:7], v[6:7], v[61:62]
	v_add_f64 v[2:3], v[2:3], v[8:9]
	s_delay_alu instid0(VALU_DEP_2) | instskip(NEXT) | instid1(VALU_DEP_2)
	v_add_f64 v[8:9], v[6:7], v[10:11]
	v_add_f64 v[2:3], v[2:3], v[55:56]
	s_delay_alu instid0(VALU_DEP_2) | instskip(NEXT) | instid1(VALU_DEP_2)
	v_add_f64 v[8:9], v[93:94], -v[8:9]
	v_add_f64 v[6:7], v[91:92], -v[2:3]
	scratch_store_b128 off, v[6:9], off offset:32
	v_cmpx_lt_u32_e32 1, v41
	s_cbranch_execz .LBB13_95
; %bb.94:
	scratch_load_b128 v[6:9], v43, off
	v_mov_b32_e32 v2, v1
	v_mov_b32_e32 v3, v1
	;; [unrolled: 1-line block ×3, first 2 shown]
	scratch_store_b128 off, v[1:4], off offset:16
	s_waitcnt vmcnt(0)
	ds_store_b128 v5, v[6:9]
.LBB13_95:
	s_or_b32 exec_lo, exec_lo, s2
	s_waitcnt lgkmcnt(0)
	s_waitcnt_vscnt null, 0x0
	s_barrier
	buffer_gl0_inv
	s_clause 0x8
	scratch_load_b128 v[6:9], off, off offset:32
	scratch_load_b128 v[55:58], off, off offset:48
	;; [unrolled: 1-line block ×9, first 2 shown]
	ds_load_b128 v[87:90], v1 offset:256
	ds_load_b128 v[91:94], v1 offset:272
	scratch_load_b128 v[95:98], off, off offset:16
	s_mov_b32 s2, exec_lo
	ds_load_b128 v[103:106], v1 offset:304
	s_waitcnt vmcnt(9) lgkmcnt(2)
	v_mul_f64 v[2:3], v[89:90], v[8:9]
	v_mul_f64 v[99:100], v[87:88], v[8:9]
	scratch_load_b128 v[8:11], off, off offset:176
	s_waitcnt vmcnt(9) lgkmcnt(1)
	v_mul_f64 v[107:108], v[91:92], v[57:58]
	v_mul_f64 v[57:58], v[93:94], v[57:58]
	v_fma_f64 v[2:3], v[87:88], v[6:7], -v[2:3]
	v_fma_f64 v[6:7], v[89:90], v[6:7], v[99:100]
	ds_load_b128 v[87:90], v1 offset:288
	scratch_load_b128 v[99:102], off, off offset:192
	v_fma_f64 v[93:94], v[93:94], v[55:56], v[107:108]
	v_fma_f64 v[91:92], v[91:92], v[55:56], -v[57:58]
	scratch_load_b128 v[55:58], off, off offset:208
	s_waitcnt vmcnt(9) lgkmcnt(1)
	v_mul_f64 v[107:108], v[103:104], v[65:66]
	v_mul_f64 v[65:66], v[105:106], v[65:66]
	s_waitcnt lgkmcnt(0)
	v_mul_f64 v[109:110], v[87:88], v[61:62]
	v_mul_f64 v[61:62], v[89:90], v[61:62]
	v_add_f64 v[2:3], v[2:3], 0
	v_add_f64 v[6:7], v[6:7], 0
	s_delay_alu instid0(VALU_DEP_4) | instskip(NEXT) | instid1(VALU_DEP_4)
	v_fma_f64 v[109:110], v[89:90], v[59:60], v[109:110]
	v_fma_f64 v[111:112], v[87:88], v[59:60], -v[61:62]
	ds_load_b128 v[59:62], v1 offset:320
	ds_load_b128 v[87:90], v1 offset:336
	v_add_f64 v[2:3], v[2:3], v[91:92]
	v_add_f64 v[6:7], v[6:7], v[93:94]
	v_fma_f64 v[93:94], v[105:106], v[63:64], v[107:108]
	v_fma_f64 v[63:64], v[103:104], v[63:64], -v[65:66]
	s_waitcnt vmcnt(8) lgkmcnt(1)
	v_mul_f64 v[91:92], v[59:60], v[69:70]
	v_mul_f64 v[69:70], v[61:62], v[69:70]
	s_waitcnt vmcnt(7) lgkmcnt(0)
	v_mul_f64 v[103:104], v[87:88], v[73:74]
	v_mul_f64 v[73:74], v[89:90], v[73:74]
	v_add_f64 v[2:3], v[2:3], v[111:112]
	v_add_f64 v[6:7], v[6:7], v[109:110]
	v_fma_f64 v[91:92], v[61:62], v[67:68], v[91:92]
	v_fma_f64 v[67:68], v[59:60], v[67:68], -v[69:70]
	v_fma_f64 v[89:90], v[89:90], v[71:72], v[103:104]
	v_fma_f64 v[71:72], v[87:88], v[71:72], -v[73:74]
	v_add_f64 v[2:3], v[2:3], v[63:64]
	v_add_f64 v[6:7], v[6:7], v[93:94]
	ds_load_b128 v[59:62], v1 offset:352
	ds_load_b128 v[63:66], v1 offset:368
	s_waitcnt vmcnt(6) lgkmcnt(1)
	v_mul_f64 v[69:70], v[59:60], v[77:78]
	v_mul_f64 v[77:78], v[61:62], v[77:78]
	s_waitcnt vmcnt(5) lgkmcnt(0)
	v_mul_f64 v[73:74], v[63:64], v[81:82]
	v_mul_f64 v[81:82], v[65:66], v[81:82]
	v_add_f64 v[2:3], v[2:3], v[67:68]
	v_add_f64 v[6:7], v[6:7], v[91:92]
	v_fma_f64 v[87:88], v[61:62], v[75:76], v[69:70]
	v_fma_f64 v[75:76], v[59:60], v[75:76], -v[77:78]
	ds_load_b128 v[59:62], v1 offset:384
	ds_load_b128 v[67:70], v1 offset:400
	v_fma_f64 v[65:66], v[65:66], v[79:80], v[73:74]
	v_fma_f64 v[63:64], v[63:64], v[79:80], -v[81:82]
	v_add_f64 v[2:3], v[2:3], v[71:72]
	v_add_f64 v[6:7], v[6:7], v[89:90]
	s_waitcnt vmcnt(4) lgkmcnt(1)
	v_mul_f64 v[71:72], v[59:60], v[85:86]
	v_mul_f64 v[77:78], v[61:62], v[85:86]
	s_delay_alu instid0(VALU_DEP_4) | instskip(NEXT) | instid1(VALU_DEP_4)
	v_add_f64 v[2:3], v[2:3], v[75:76]
	v_add_f64 v[6:7], v[6:7], v[87:88]
	s_delay_alu instid0(VALU_DEP_4) | instskip(NEXT) | instid1(VALU_DEP_4)
	v_fma_f64 v[71:72], v[61:62], v[83:84], v[71:72]
	v_fma_f64 v[75:76], v[59:60], v[83:84], -v[77:78]
	s_waitcnt vmcnt(2) lgkmcnt(0)
	v_mul_f64 v[73:74], v[67:68], v[10:11]
	v_mul_f64 v[10:11], v[69:70], v[10:11]
	v_add_f64 v[63:64], v[2:3], v[63:64]
	v_add_f64 v[6:7], v[6:7], v[65:66]
	ds_load_b128 v[59:62], v1 offset:416
	ds_load_b128 v[1:4], v1 offset:432
	v_fma_f64 v[69:70], v[69:70], v[8:9], v[73:74]
	v_fma_f64 v[8:9], v[67:68], v[8:9], -v[10:11]
	s_waitcnt vmcnt(1) lgkmcnt(1)
	v_mul_f64 v[65:66], v[59:60], v[101:102]
	v_mul_f64 v[77:78], v[61:62], v[101:102]
	v_add_f64 v[10:11], v[63:64], v[75:76]
	v_add_f64 v[6:7], v[6:7], v[71:72]
	s_waitcnt vmcnt(0) lgkmcnt(0)
	v_mul_f64 v[63:64], v[1:2], v[57:58]
	v_mul_f64 v[57:58], v[3:4], v[57:58]
	v_fma_f64 v[61:62], v[61:62], v[99:100], v[65:66]
	v_fma_f64 v[59:60], v[59:60], v[99:100], -v[77:78]
	v_add_f64 v[8:9], v[10:11], v[8:9]
	v_add_f64 v[6:7], v[6:7], v[69:70]
	v_fma_f64 v[3:4], v[3:4], v[55:56], v[63:64]
	v_fma_f64 v[1:2], v[1:2], v[55:56], -v[57:58]
	s_delay_alu instid0(VALU_DEP_4) | instskip(NEXT) | instid1(VALU_DEP_4)
	v_add_f64 v[8:9], v[8:9], v[59:60]
	v_add_f64 v[6:7], v[6:7], v[61:62]
	s_delay_alu instid0(VALU_DEP_2) | instskip(NEXT) | instid1(VALU_DEP_2)
	v_add_f64 v[1:2], v[8:9], v[1:2]
	v_add_f64 v[3:4], v[6:7], v[3:4]
	s_delay_alu instid0(VALU_DEP_2) | instskip(NEXT) | instid1(VALU_DEP_2)
	v_add_f64 v[1:2], v[95:96], -v[1:2]
	v_add_f64 v[3:4], v[97:98], -v[3:4]
	scratch_store_b128 off, v[1:4], off offset:16
	v_cmpx_ne_u32_e32 0, v41
	s_cbranch_execz .LBB13_97
; %bb.96:
	scratch_load_b128 v[1:4], off, off
	v_mov_b32_e32 v6, 0
	s_delay_alu instid0(VALU_DEP_1)
	v_mov_b32_e32 v7, v6
	v_mov_b32_e32 v8, v6
	;; [unrolled: 1-line block ×3, first 2 shown]
	scratch_store_b128 off, v[6:9], off
	s_waitcnt vmcnt(0)
	ds_store_b128 v5, v[1:4]
.LBB13_97:
	s_or_b32 exec_lo, exec_lo, s2
	s_waitcnt lgkmcnt(0)
	s_waitcnt_vscnt null, 0x0
	s_barrier
	buffer_gl0_inv
	s_clause 0x7
	scratch_load_b128 v[1:4], off, off offset:16
	scratch_load_b128 v[5:8], off, off offset:32
	;; [unrolled: 1-line block ×8, first 2 shown]
	v_mov_b32_e32 v111, 0
	s_and_b32 vcc_lo, exec_lo, s20
	ds_load_b128 v[75:78], v111 offset:240
	s_clause 0x1
	scratch_load_b128 v[79:82], off, off offset:144
	scratch_load_b128 v[83:86], off, off
	ds_load_b128 v[87:90], v111 offset:256
	scratch_load_b128 v[91:94], off, off offset:160
	s_waitcnt vmcnt(10) lgkmcnt(1)
	v_mul_f64 v[95:96], v[77:78], v[3:4]
	v_mul_f64 v[3:4], v[75:76], v[3:4]
	s_delay_alu instid0(VALU_DEP_2) | instskip(NEXT) | instid1(VALU_DEP_2)
	v_fma_f64 v[101:102], v[75:76], v[1:2], -v[95:96]
	v_fma_f64 v[103:104], v[77:78], v[1:2], v[3:4]
	scratch_load_b128 v[75:78], off, off offset:176
	ds_load_b128 v[1:4], v111 offset:272
	s_waitcnt vmcnt(10) lgkmcnt(1)
	v_mul_f64 v[99:100], v[87:88], v[7:8]
	v_mul_f64 v[7:8], v[89:90], v[7:8]
	ds_load_b128 v[95:98], v111 offset:288
	s_waitcnt vmcnt(9) lgkmcnt(1)
	v_mul_f64 v[105:106], v[1:2], v[11:12]
	v_mul_f64 v[11:12], v[3:4], v[11:12]
	v_fma_f64 v[89:90], v[89:90], v[5:6], v[99:100]
	v_fma_f64 v[87:88], v[87:88], v[5:6], -v[7:8]
	v_add_f64 v[99:100], v[101:102], 0
	v_add_f64 v[101:102], v[103:104], 0
	scratch_load_b128 v[5:8], off, off offset:192
	v_fma_f64 v[105:106], v[3:4], v[9:10], v[105:106]
	v_fma_f64 v[107:108], v[1:2], v[9:10], -v[11:12]
	scratch_load_b128 v[9:12], off, off offset:208
	ds_load_b128 v[1:4], v111 offset:304
	s_waitcnt vmcnt(10) lgkmcnt(1)
	v_mul_f64 v[103:104], v[95:96], v[57:58]
	v_mul_f64 v[57:58], v[97:98], v[57:58]
	v_add_f64 v[99:100], v[99:100], v[87:88]
	v_add_f64 v[101:102], v[101:102], v[89:90]
	s_waitcnt vmcnt(9) lgkmcnt(0)
	v_mul_f64 v[109:110], v[1:2], v[61:62]
	v_mul_f64 v[61:62], v[3:4], v[61:62]
	ds_load_b128 v[87:90], v111 offset:320
	v_fma_f64 v[97:98], v[97:98], v[55:56], v[103:104]
	v_fma_f64 v[55:56], v[95:96], v[55:56], -v[57:58]
	v_add_f64 v[57:58], v[99:100], v[107:108]
	v_add_f64 v[95:96], v[101:102], v[105:106]
	s_waitcnt vmcnt(8) lgkmcnt(0)
	v_mul_f64 v[99:100], v[87:88], v[65:66]
	v_mul_f64 v[65:66], v[89:90], v[65:66]
	v_fma_f64 v[101:102], v[3:4], v[59:60], v[109:110]
	v_fma_f64 v[59:60], v[1:2], v[59:60], -v[61:62]
	v_add_f64 v[61:62], v[57:58], v[55:56]
	v_add_f64 v[95:96], v[95:96], v[97:98]
	ds_load_b128 v[1:4], v111 offset:336
	ds_load_b128 v[55:58], v111 offset:352
	v_fma_f64 v[89:90], v[89:90], v[63:64], v[99:100]
	v_fma_f64 v[63:64], v[87:88], v[63:64], -v[65:66]
	s_waitcnt vmcnt(7) lgkmcnt(1)
	v_mul_f64 v[97:98], v[1:2], v[69:70]
	v_mul_f64 v[69:70], v[3:4], v[69:70]
	s_waitcnt vmcnt(6) lgkmcnt(0)
	v_mul_f64 v[65:66], v[55:56], v[73:74]
	v_mul_f64 v[73:74], v[57:58], v[73:74]
	v_add_f64 v[59:60], v[61:62], v[59:60]
	v_add_f64 v[61:62], v[95:96], v[101:102]
	v_fma_f64 v[87:88], v[3:4], v[67:68], v[97:98]
	v_fma_f64 v[67:68], v[1:2], v[67:68], -v[69:70]
	v_fma_f64 v[57:58], v[57:58], v[71:72], v[65:66]
	v_fma_f64 v[55:56], v[55:56], v[71:72], -v[73:74]
	v_add_f64 v[63:64], v[59:60], v[63:64]
	v_add_f64 v[69:70], v[61:62], v[89:90]
	ds_load_b128 v[1:4], v111 offset:368
	ds_load_b128 v[59:62], v111 offset:384
	s_waitcnt vmcnt(5) lgkmcnt(1)
	v_mul_f64 v[89:90], v[1:2], v[81:82]
	v_mul_f64 v[81:82], v[3:4], v[81:82]
	v_add_f64 v[63:64], v[63:64], v[67:68]
	v_add_f64 v[65:66], v[69:70], v[87:88]
	s_waitcnt vmcnt(3) lgkmcnt(0)
	v_mul_f64 v[67:68], v[59:60], v[93:94]
	v_mul_f64 v[69:70], v[61:62], v[93:94]
	v_fma_f64 v[71:72], v[3:4], v[79:80], v[89:90]
	v_fma_f64 v[73:74], v[1:2], v[79:80], -v[81:82]
	v_add_f64 v[63:64], v[63:64], v[55:56]
	v_add_f64 v[65:66], v[65:66], v[57:58]
	ds_load_b128 v[1:4], v111 offset:400
	ds_load_b128 v[55:58], v111 offset:416
	v_fma_f64 v[61:62], v[61:62], v[91:92], v[67:68]
	v_fma_f64 v[59:60], v[59:60], v[91:92], -v[69:70]
	s_waitcnt vmcnt(2) lgkmcnt(1)
	v_mul_f64 v[79:80], v[1:2], v[77:78]
	v_mul_f64 v[77:78], v[3:4], v[77:78]
	v_add_f64 v[63:64], v[63:64], v[73:74]
	v_add_f64 v[65:66], v[65:66], v[71:72]
	s_waitcnt vmcnt(1) lgkmcnt(0)
	v_mul_f64 v[67:68], v[55:56], v[7:8]
	v_mul_f64 v[7:8], v[57:58], v[7:8]
	v_fma_f64 v[69:70], v[3:4], v[75:76], v[79:80]
	v_fma_f64 v[71:72], v[1:2], v[75:76], -v[77:78]
	ds_load_b128 v[1:4], v111 offset:432
	v_add_f64 v[59:60], v[63:64], v[59:60]
	v_add_f64 v[61:62], v[65:66], v[61:62]
	s_waitcnt vmcnt(0) lgkmcnt(0)
	v_mul_f64 v[63:64], v[1:2], v[11:12]
	v_mul_f64 v[11:12], v[3:4], v[11:12]
	v_fma_f64 v[57:58], v[57:58], v[5:6], v[67:68]
	v_fma_f64 v[5:6], v[55:56], v[5:6], -v[7:8]
	v_add_f64 v[7:8], v[59:60], v[71:72]
	v_add_f64 v[55:56], v[61:62], v[69:70]
	v_fma_f64 v[3:4], v[3:4], v[9:10], v[63:64]
	v_fma_f64 v[1:2], v[1:2], v[9:10], -v[11:12]
	s_delay_alu instid0(VALU_DEP_4) | instskip(NEXT) | instid1(VALU_DEP_4)
	v_add_f64 v[5:6], v[7:8], v[5:6]
	v_add_f64 v[7:8], v[55:56], v[57:58]
	s_delay_alu instid0(VALU_DEP_2) | instskip(NEXT) | instid1(VALU_DEP_2)
	v_add_f64 v[1:2], v[5:6], v[1:2]
	v_add_f64 v[3:4], v[7:8], v[3:4]
	s_delay_alu instid0(VALU_DEP_2) | instskip(NEXT) | instid1(VALU_DEP_2)
	v_add_f64 v[1:2], v[83:84], -v[1:2]
	v_add_f64 v[3:4], v[85:86], -v[3:4]
	scratch_store_b128 off, v[1:4], off
	s_cbranch_vccz .LBB13_125
; %bb.98:
	v_dual_mov_b32 v1, s16 :: v_dual_mov_b32 v2, s17
	s_load_b64 s[0:1], s[0:1], 0x4
	flat_load_b32 v1, v[1:2] offset:48
	v_bfe_u32 v2, v0, 10, 10
	v_bfe_u32 v0, v0, 20, 10
	s_waitcnt lgkmcnt(0)
	s_lshr_b32 s0, s0, 16
	s_delay_alu instid0(VALU_DEP_2) | instskip(SKIP_1) | instid1(SALU_CYCLE_1)
	v_mul_u32_u24_e32 v2, s1, v2
	s_mul_i32 s0, s0, s1
	v_mul_u32_u24_e32 v3, s0, v41
	s_mov_b32 s0, exec_lo
	s_delay_alu instid0(VALU_DEP_1) | instskip(NEXT) | instid1(VALU_DEP_1)
	v_add3_u32 v0, v3, v2, v0
	v_lshl_add_u32 v0, v0, 4, 0x1c8
	s_waitcnt vmcnt(0)
	v_cmpx_ne_u32_e32 13, v1
	s_cbranch_execz .LBB13_100
; %bb.99:
	v_lshl_add_u32 v9, v1, 4, 0
	s_clause 0x1
	scratch_load_b128 v[1:4], v54, off
	scratch_load_b128 v[5:8], v9, off offset:-16
	s_waitcnt vmcnt(1)
	ds_store_2addr_b64 v0, v[1:2], v[3:4] offset1:1
	s_waitcnt vmcnt(0)
	s_clause 0x1
	scratch_store_b128 v54, v[5:8], off
	scratch_store_b128 v9, v[1:4], off offset:-16
.LBB13_100:
	s_or_b32 exec_lo, exec_lo, s0
	v_dual_mov_b32 v1, s16 :: v_dual_mov_b32 v2, s17
	s_mov_b32 s0, exec_lo
	flat_load_b32 v1, v[1:2] offset:44
	s_waitcnt vmcnt(0) lgkmcnt(0)
	v_cmpx_ne_u32_e32 12, v1
	s_cbranch_execz .LBB13_102
; %bb.101:
	v_lshl_add_u32 v9, v1, 4, 0
	s_clause 0x1
	scratch_load_b128 v[1:4], v51, off
	scratch_load_b128 v[5:8], v9, off offset:-16
	s_waitcnt vmcnt(1)
	ds_store_2addr_b64 v0, v[1:2], v[3:4] offset1:1
	s_waitcnt vmcnt(0)
	s_clause 0x1
	scratch_store_b128 v51, v[5:8], off
	scratch_store_b128 v9, v[1:4], off offset:-16
.LBB13_102:
	s_or_b32 exec_lo, exec_lo, s0
	v_dual_mov_b32 v1, s16 :: v_dual_mov_b32 v2, s17
	s_mov_b32 s0, exec_lo
	flat_load_b32 v1, v[1:2] offset:40
	s_waitcnt vmcnt(0) lgkmcnt(0)
	;; [unrolled: 19-line block ×11, first 2 shown]
	v_cmpx_ne_u32_e32 2, v1
	s_cbranch_execz .LBB13_122
; %bb.121:
	v_lshl_add_u32 v9, v1, 4, 0
	s_clause 0x1
	scratch_load_b128 v[1:4], v43, off
	scratch_load_b128 v[5:8], v9, off offset:-16
	s_waitcnt vmcnt(1)
	ds_store_2addr_b64 v0, v[1:2], v[3:4] offset1:1
	s_waitcnt vmcnt(0)
	s_clause 0x1
	scratch_store_b128 v43, v[5:8], off
	scratch_store_b128 v9, v[1:4], off offset:-16
.LBB13_122:
	s_or_b32 exec_lo, exec_lo, s0
	v_dual_mov_b32 v1, s16 :: v_dual_mov_b32 v2, s17
	s_mov_b32 s0, exec_lo
	flat_load_b32 v1, v[1:2]
	s_waitcnt vmcnt(0) lgkmcnt(0)
	v_cmpx_ne_u32_e32 1, v1
	s_cbranch_execz .LBB13_124
; %bb.123:
	v_lshl_add_u32 v9, v1, 4, 0
	scratch_load_b128 v[1:4], off, off
	scratch_load_b128 v[5:8], v9, off offset:-16
	s_waitcnt vmcnt(1)
	ds_store_2addr_b64 v0, v[1:2], v[3:4] offset1:1
	s_waitcnt vmcnt(0)
	scratch_store_b128 off, v[5:8], off
	scratch_store_b128 v9, v[1:4], off offset:-16
.LBB13_124:
	s_or_b32 exec_lo, exec_lo, s0
.LBB13_125:
	scratch_load_b128 v[0:3], off, off
	s_clause 0xc
	scratch_load_b128 v[4:7], v43, off
	scratch_load_b128 v[8:11], v45, off
	;; [unrolled: 1-line block ×13, first 2 shown]
	s_waitcnt vmcnt(13)
	global_store_b128 v[13:14], v[0:3], off
	s_waitcnt vmcnt(12)
	global_store_b128 v[15:16], v[4:7], off
	;; [unrolled: 2-line block ×14, first 2 shown]
	s_endpgm
	.section	.rodata,"a",@progbits
	.p2align	6, 0x0
	.amdhsa_kernel _ZN9rocsolver6v33100L18getri_kernel_smallILi14E19rocblas_complex_numIdEPS3_EEvT1_iilPiilS6_bb
		.amdhsa_group_segment_fixed_size 1480
		.amdhsa_private_segment_fixed_size 240
		.amdhsa_kernarg_size 60
		.amdhsa_user_sgpr_count 15
		.amdhsa_user_sgpr_dispatch_ptr 1
		.amdhsa_user_sgpr_queue_ptr 0
		.amdhsa_user_sgpr_kernarg_segment_ptr 1
		.amdhsa_user_sgpr_dispatch_id 0
		.amdhsa_user_sgpr_private_segment_size 0
		.amdhsa_wavefront_size32 1
		.amdhsa_uses_dynamic_stack 0
		.amdhsa_enable_private_segment 1
		.amdhsa_system_sgpr_workgroup_id_x 1
		.amdhsa_system_sgpr_workgroup_id_y 0
		.amdhsa_system_sgpr_workgroup_id_z 0
		.amdhsa_system_sgpr_workgroup_info 0
		.amdhsa_system_vgpr_workitem_id 2
		.amdhsa_next_free_vgpr 113
		.amdhsa_next_free_sgpr 22
		.amdhsa_reserve_vcc 1
		.amdhsa_float_round_mode_32 0
		.amdhsa_float_round_mode_16_64 0
		.amdhsa_float_denorm_mode_32 3
		.amdhsa_float_denorm_mode_16_64 3
		.amdhsa_dx10_clamp 1
		.amdhsa_ieee_mode 1
		.amdhsa_fp16_overflow 0
		.amdhsa_workgroup_processor_mode 1
		.amdhsa_memory_ordered 1
		.amdhsa_forward_progress 0
		.amdhsa_shared_vgpr_count 0
		.amdhsa_exception_fp_ieee_invalid_op 0
		.amdhsa_exception_fp_denorm_src 0
		.amdhsa_exception_fp_ieee_div_zero 0
		.amdhsa_exception_fp_ieee_overflow 0
		.amdhsa_exception_fp_ieee_underflow 0
		.amdhsa_exception_fp_ieee_inexact 0
		.amdhsa_exception_int_div_zero 0
	.end_amdhsa_kernel
	.section	.text._ZN9rocsolver6v33100L18getri_kernel_smallILi14E19rocblas_complex_numIdEPS3_EEvT1_iilPiilS6_bb,"axG",@progbits,_ZN9rocsolver6v33100L18getri_kernel_smallILi14E19rocblas_complex_numIdEPS3_EEvT1_iilPiilS6_bb,comdat
.Lfunc_end13:
	.size	_ZN9rocsolver6v33100L18getri_kernel_smallILi14E19rocblas_complex_numIdEPS3_EEvT1_iilPiilS6_bb, .Lfunc_end13-_ZN9rocsolver6v33100L18getri_kernel_smallILi14E19rocblas_complex_numIdEPS3_EEvT1_iilPiilS6_bb
                                        ; -- End function
	.section	.AMDGPU.csdata,"",@progbits
; Kernel info:
; codeLenInByte = 15300
; NumSgprs: 24
; NumVgprs: 113
; ScratchSize: 240
; MemoryBound: 0
; FloatMode: 240
; IeeeMode: 1
; LDSByteSize: 1480 bytes/workgroup (compile time only)
; SGPRBlocks: 2
; VGPRBlocks: 14
; NumSGPRsForWavesPerEU: 24
; NumVGPRsForWavesPerEU: 113
; Occupancy: 12
; WaveLimiterHint : 1
; COMPUTE_PGM_RSRC2:SCRATCH_EN: 1
; COMPUTE_PGM_RSRC2:USER_SGPR: 15
; COMPUTE_PGM_RSRC2:TRAP_HANDLER: 0
; COMPUTE_PGM_RSRC2:TGID_X_EN: 1
; COMPUTE_PGM_RSRC2:TGID_Y_EN: 0
; COMPUTE_PGM_RSRC2:TGID_Z_EN: 0
; COMPUTE_PGM_RSRC2:TIDIG_COMP_CNT: 2
	.section	.text._ZN9rocsolver6v33100L18getri_kernel_smallILi15E19rocblas_complex_numIdEPS3_EEvT1_iilPiilS6_bb,"axG",@progbits,_ZN9rocsolver6v33100L18getri_kernel_smallILi15E19rocblas_complex_numIdEPS3_EEvT1_iilPiilS6_bb,comdat
	.globl	_ZN9rocsolver6v33100L18getri_kernel_smallILi15E19rocblas_complex_numIdEPS3_EEvT1_iilPiilS6_bb ; -- Begin function _ZN9rocsolver6v33100L18getri_kernel_smallILi15E19rocblas_complex_numIdEPS3_EEvT1_iilPiilS6_bb
	.p2align	8
	.type	_ZN9rocsolver6v33100L18getri_kernel_smallILi15E19rocblas_complex_numIdEPS3_EEvT1_iilPiilS6_bb,@function
_ZN9rocsolver6v33100L18getri_kernel_smallILi15E19rocblas_complex_numIdEPS3_EEvT1_iilPiilS6_bb: ; @_ZN9rocsolver6v33100L18getri_kernel_smallILi15E19rocblas_complex_numIdEPS3_EEvT1_iilPiilS6_bb
; %bb.0:
	v_and_b32_e32 v43, 0x3ff, v0
	s_mov_b32 s4, exec_lo
	s_delay_alu instid0(VALU_DEP_1)
	v_cmpx_gt_u32_e32 15, v43
	s_cbranch_execz .LBB14_74
; %bb.1:
	s_mov_b32 s18, s15
	s_clause 0x2
	s_load_b32 s21, s[2:3], 0x38
	s_load_b128 s[12:15], s[2:3], 0x10
	s_load_b128 s[4:7], s[2:3], 0x28
                                        ; implicit-def: $sgpr16_sgpr17
	s_waitcnt lgkmcnt(0)
	s_bitcmp1_b32 s21, 8
	s_cselect_b32 s20, -1, 0
	s_bfe_u32 s8, s21, 0x10008
	s_ashr_i32 s19, s18, 31
	s_cmp_eq_u32 s8, 0
	s_cbranch_scc1 .LBB14_3
; %bb.2:
	s_load_b32 s8, s[2:3], 0x20
	s_mul_i32 s5, s18, s5
	s_mul_hi_u32 s9, s18, s4
	s_mul_i32 s10, s19, s4
	s_add_i32 s5, s9, s5
	s_mul_i32 s4, s18, s4
	s_add_i32 s5, s5, s10
	s_delay_alu instid0(SALU_CYCLE_1)
	s_lshl_b64 s[4:5], s[4:5], 2
	s_waitcnt lgkmcnt(0)
	s_ashr_i32 s9, s8, 31
	s_add_u32 s10, s14, s4
	s_addc_u32 s11, s15, s5
	s_lshl_b64 s[4:5], s[8:9], 2
	s_delay_alu instid0(SALU_CYCLE_1)
	s_add_u32 s16, s10, s4
	s_addc_u32 s17, s11, s5
.LBB14_3:
	s_load_b128 s[8:11], s[2:3], 0x0
	s_mul_i32 s2, s18, s13
	s_mul_hi_u32 s3, s18, s12
	s_mul_i32 s4, s19, s12
	s_add_i32 s3, s3, s2
	s_mul_i32 s2, s18, s12
	s_add_i32 s3, s3, s4
	v_lshlrev_b32_e32 v58, 4, v43
	s_lshl_b64 s[2:3], s[2:3], 4
	v_add_nc_u32_e64 v47, 0, 32
	s_waitcnt lgkmcnt(0)
	v_add3_u32 v5, s11, s11, v43
	s_ashr_i32 s5, s10, 31
	s_mov_b32 s4, s10
	s_add_u32 s8, s8, s2
	s_addc_u32 s9, s9, s3
	v_add_nc_u32_e32 v7, s11, v5
	s_lshl_b64 s[2:3], s[4:5], 4
	v_ashrrev_i32_e32 v6, 31, v5
	s_add_u32 s2, s8, s2
	s_addc_u32 s3, s9, s3
	v_add_nc_u32_e32 v19, s11, v7
	v_add_co_u32 v13, s8, s2, v58
	v_ashrrev_i32_e32 v8, 31, v7
	s_mov_b32 s4, s11
	s_ashr_i32 s5, s11, 31
	v_add_nc_u32_e32 v21, s11, v19
	v_add_co_ci_u32_e64 v14, null, s3, 0, s8
	v_lshlrev_b64 v[5:6], 4, v[5:6]
	s_lshl_b64 s[4:5], s[4:5], 4
	v_ashrrev_i32_e32 v20, 31, v19
	v_add_co_u32 v15, vcc_lo, v13, s4
	v_lshlrev_b64 v[23:24], 4, v[7:8]
	v_add_nc_u32_e32 v27, s11, v21
	v_add_co_ci_u32_e32 v16, vcc_lo, s5, v14, vcc_lo
	v_add_co_u32 v17, vcc_lo, s2, v5
	v_lshlrev_b64 v[25:26], 4, v[19:20]
	v_ashrrev_i32_e32 v22, 31, v21
	v_add_co_ci_u32_e32 v18, vcc_lo, s3, v6, vcc_lo
	v_add_co_u32 v19, vcc_lo, s2, v23
	v_ashrrev_i32_e32 v28, 31, v27
	v_add_co_ci_u32_e32 v20, vcc_lo, s3, v24, vcc_lo
	v_lshlrev_b64 v[23:24], 4, v[21:22]
	v_add_co_u32 v21, vcc_lo, s2, v25
	v_add_co_ci_u32_e32 v22, vcc_lo, s3, v26, vcc_lo
	v_lshlrev_b64 v[25:26], 4, v[27:28]
	v_add_nc_u32_e32 v27, s11, v27
	v_add_co_u32 v23, vcc_lo, s2, v23
	v_add_co_ci_u32_e32 v24, vcc_lo, s3, v24, vcc_lo
	s_delay_alu instid0(VALU_DEP_3) | instskip(SKIP_3) | instid1(VALU_DEP_4)
	v_add_nc_u32_e32 v29, s11, v27
	v_ashrrev_i32_e32 v28, 31, v27
	v_add_co_u32 v25, vcc_lo, s2, v25
	v_add_co_ci_u32_e32 v26, vcc_lo, s3, v26, vcc_lo
	v_add_nc_u32_e32 v32, s11, v29
	v_ashrrev_i32_e32 v30, 31, v29
	v_lshlrev_b64 v[27:28], 4, v[27:28]
	s_clause 0x2
	global_load_b128 v[1:4], v58, s[2:3]
	global_load_b128 v[5:8], v[15:16], off
	global_load_b128 v[9:12], v[17:18], off
	v_add_nc_u32_e32 v34, s11, v32
	v_lshlrev_b64 v[30:31], 4, v[29:30]
	v_ashrrev_i32_e32 v33, 31, v32
	v_add_co_u32 v27, vcc_lo, s2, v27
	s_delay_alu instid0(VALU_DEP_4)
	v_add_nc_u32_e32 v36, s11, v34
	v_add_co_ci_u32_e32 v28, vcc_lo, s3, v28, vcc_lo
	v_add_co_u32 v29, vcc_lo, s2, v30
	v_ashrrev_i32_e32 v35, 31, v34
	v_add_co_ci_u32_e32 v30, vcc_lo, s3, v31, vcc_lo
	v_lshlrev_b64 v[31:32], 4, v[32:33]
	v_ashrrev_i32_e32 v37, 31, v36
	s_delay_alu instid0(VALU_DEP_4)
	v_lshlrev_b64 v[33:34], 4, v[34:35]
	v_add_nc_u32_e32 v39, s11, v36
	s_clause 0x3
	global_load_b128 v[48:51], v[19:20], off
	global_load_b128 v[52:55], v[21:22], off
	global_load_b128 v[59:62], v[23:24], off
	global_load_b128 v[63:66], v[25:26], off
	v_add_co_u32 v31, vcc_lo, s2, v31
	v_lshlrev_b64 v[37:38], 4, v[36:37]
	v_add_co_ci_u32_e32 v32, vcc_lo, s3, v32, vcc_lo
	v_add_co_u32 v33, vcc_lo, s2, v33
	v_ashrrev_i32_e32 v40, 31, v39
	v_add_nc_u32_e32 v41, s11, v39
	v_add_co_ci_u32_e32 v34, vcc_lo, s3, v34, vcc_lo
	v_add_co_u32 v35, vcc_lo, s2, v37
	v_add_co_ci_u32_e32 v36, vcc_lo, s3, v38, vcc_lo
	v_lshlrev_b64 v[37:38], 4, v[39:40]
	v_add_nc_u32_e32 v39, s11, v41
	v_ashrrev_i32_e32 v42, 31, v41
	s_clause 0x4
	global_load_b128 v[67:70], v[27:28], off
	global_load_b128 v[71:74], v[29:30], off
	;; [unrolled: 1-line block ×5, first 2 shown]
	s_bitcmp0_b32 s21, 0
	v_ashrrev_i32_e32 v40, 31, v39
	v_lshlrev_b64 v[41:42], 4, v[41:42]
	v_add_co_u32 v37, vcc_lo, s2, v37
	v_add_co_ci_u32_e32 v38, vcc_lo, s3, v38, vcc_lo
	s_delay_alu instid0(VALU_DEP_4) | instskip(NEXT) | instid1(VALU_DEP_4)
	v_lshlrev_b64 v[44:45], 4, v[39:40]
	v_add_co_u32 v39, vcc_lo, s2, v41
	v_add_co_ci_u32_e32 v40, vcc_lo, s3, v42, vcc_lo
	s_delay_alu instid0(VALU_DEP_3) | instskip(NEXT) | instid1(VALU_DEP_4)
	v_add_co_u32 v41, vcc_lo, s2, v44
	v_add_co_ci_u32_e32 v42, vcc_lo, s3, v45, vcc_lo
	s_clause 0x2
	global_load_b128 v[87:90], v[37:38], off
	global_load_b128 v[91:94], v[39:40], off
	;; [unrolled: 1-line block ×3, first 2 shown]
	s_movk_i32 s2, 0x50
	s_movk_i32 s3, 0x70
	v_add_nc_u32_e64 v46, s2, 0
	s_movk_i32 s2, 0x60
	v_add_nc_u32_e64 v45, 0, 16
	v_add_nc_u32_e64 v44, 0, 48
	s_waitcnt vmcnt(14)
	scratch_store_b128 off, v[1:4], off
	s_waitcnt vmcnt(13)
	scratch_store_b128 off, v[5:8], off offset:16
	s_waitcnt vmcnt(12)
	scratch_store_b128 off, v[9:12], off offset:32
	;; [unrolled: 2-line block ×3, first 2 shown]
	v_add_nc_u32_e64 v50, s2, 0
	s_movk_i32 s2, 0x80
	s_waitcnt vmcnt(10)
	scratch_store_b128 off, v[52:55], off offset:64
	s_waitcnt vmcnt(9)
	scratch_store_b128 off, v[59:62], off offset:80
	v_add_nc_u32_e64 v49, s3, 0
	s_movk_i32 s3, 0x90
	v_add_nc_u32_e64 v52, s2, 0
	s_movk_i32 s2, 0xa0
	;; [unrolled: 2-line block ×4, first 2 shown]
	v_add_nc_u32_e64 v53, s3, 0
	v_add_nc_u32_e64 v56, s2, 0
	s_movk_i32 s2, 0xd0
	s_movk_i32 s3, 0xe0
	v_add_nc_u32_e64 v48, 0, 64
	v_add_nc_u32_e64 v57, s2, 0
	;; [unrolled: 1-line block ×3, first 2 shown]
	s_mov_b32 s3, -1
	s_waitcnt vmcnt(8)
	scratch_store_b128 off, v[63:66], off offset:96
	s_waitcnt vmcnt(7)
	scratch_store_b128 off, v[67:70], off offset:112
	;; [unrolled: 2-line block ×9, first 2 shown]
	s_cbranch_scc1 .LBB14_72
; %bb.4:
	v_cmp_eq_u32_e64 s2, 0, v43
	s_delay_alu instid0(VALU_DEP_1)
	s_and_saveexec_b32 s3, s2
	s_cbranch_execz .LBB14_6
; %bb.5:
	v_mov_b32_e32 v1, 0
	ds_store_b32 v1, v1 offset:480
.LBB14_6:
	s_or_b32 exec_lo, exec_lo, s3
	s_waitcnt lgkmcnt(0)
	s_waitcnt_vscnt null, 0x0
	s_barrier
	buffer_gl0_inv
	scratch_load_b128 v[1:4], v58, off
	s_waitcnt vmcnt(0)
	v_cmp_eq_f64_e32 vcc_lo, 0, v[1:2]
	v_cmp_eq_f64_e64 s3, 0, v[3:4]
	s_delay_alu instid0(VALU_DEP_1) | instskip(NEXT) | instid1(SALU_CYCLE_1)
	s_and_b32 s3, vcc_lo, s3
	s_and_saveexec_b32 s4, s3
	s_cbranch_execz .LBB14_10
; %bb.7:
	v_mov_b32_e32 v1, 0
	s_mov_b32 s5, 0
	ds_load_b32 v2, v1 offset:480
	s_waitcnt lgkmcnt(0)
	v_readfirstlane_b32 s3, v2
	v_add_nc_u32_e32 v2, 1, v43
	s_delay_alu instid0(VALU_DEP_2) | instskip(NEXT) | instid1(VALU_DEP_1)
	s_cmp_eq_u32 s3, 0
	v_cmp_gt_i32_e32 vcc_lo, s3, v2
	s_cselect_b32 s8, -1, 0
	s_delay_alu instid0(SALU_CYCLE_1) | instskip(NEXT) | instid1(SALU_CYCLE_1)
	s_or_b32 s8, s8, vcc_lo
	s_and_b32 exec_lo, exec_lo, s8
	s_cbranch_execz .LBB14_10
; %bb.8:
	v_mov_b32_e32 v3, s3
.LBB14_9:                               ; =>This Inner Loop Header: Depth=1
	ds_cmpstore_rtn_b32 v3, v1, v2, v3 offset:480
	s_waitcnt lgkmcnt(0)
	v_cmp_ne_u32_e32 vcc_lo, 0, v3
	v_cmp_le_i32_e64 s3, v3, v2
	s_delay_alu instid0(VALU_DEP_1) | instskip(NEXT) | instid1(SALU_CYCLE_1)
	s_and_b32 s3, vcc_lo, s3
	s_and_b32 s3, exec_lo, s3
	s_delay_alu instid0(SALU_CYCLE_1) | instskip(NEXT) | instid1(SALU_CYCLE_1)
	s_or_b32 s5, s3, s5
	s_and_not1_b32 exec_lo, exec_lo, s5
	s_cbranch_execnz .LBB14_9
.LBB14_10:
	s_or_b32 exec_lo, exec_lo, s4
	v_mov_b32_e32 v1, 0
	s_barrier
	buffer_gl0_inv
	ds_load_b32 v2, v1 offset:480
	s_and_saveexec_b32 s3, s2
	s_cbranch_execz .LBB14_12
; %bb.11:
	s_lshl_b64 s[4:5], s[18:19], 2
	s_delay_alu instid0(SALU_CYCLE_1)
	s_add_u32 s4, s6, s4
	s_addc_u32 s5, s7, s5
	s_waitcnt lgkmcnt(0)
	global_store_b32 v1, v2, s[4:5]
.LBB14_12:
	s_or_b32 exec_lo, exec_lo, s3
	s_waitcnt lgkmcnt(0)
	v_cmp_ne_u32_e32 vcc_lo, 0, v2
	s_mov_b32 s3, 0
	s_cbranch_vccnz .LBB14_72
; %bb.13:
	v_add_nc_u32_e32 v59, 0, v58
                                        ; implicit-def: $vgpr9_vgpr10
	scratch_load_b128 v[1:4], v59, off
	s_waitcnt vmcnt(0)
	v_cmp_gt_f64_e32 vcc_lo, 0, v[1:2]
	v_xor_b32_e32 v6, 0x80000000, v2
	v_mov_b32_e32 v5, v1
	v_xor_b32_e32 v7, 0x80000000, v4
	s_delay_alu instid0(VALU_DEP_3) | instskip(SKIP_1) | instid1(VALU_DEP_3)
	v_cndmask_b32_e32 v6, v2, v6, vcc_lo
	v_cmp_gt_f64_e32 vcc_lo, 0, v[3:4]
	v_dual_cndmask_b32 v8, v4, v7 :: v_dual_mov_b32 v7, v3
	s_delay_alu instid0(VALU_DEP_1) | instskip(SKIP_1) | instid1(SALU_CYCLE_1)
	v_cmp_ngt_f64_e32 vcc_lo, v[5:6], v[7:8]
                                        ; implicit-def: $vgpr5_vgpr6
	s_and_saveexec_b32 s3, vcc_lo
	s_xor_b32 s3, exec_lo, s3
	s_cbranch_execz .LBB14_15
; %bb.14:
	v_div_scale_f64 v[5:6], null, v[3:4], v[3:4], v[1:2]
	v_div_scale_f64 v[11:12], vcc_lo, v[1:2], v[3:4], v[1:2]
	s_delay_alu instid0(VALU_DEP_2) | instskip(SKIP_2) | instid1(VALU_DEP_1)
	v_rcp_f64_e32 v[7:8], v[5:6]
	s_waitcnt_depctr 0xfff
	v_fma_f64 v[9:10], -v[5:6], v[7:8], 1.0
	v_fma_f64 v[7:8], v[7:8], v[9:10], v[7:8]
	s_delay_alu instid0(VALU_DEP_1) | instskip(NEXT) | instid1(VALU_DEP_1)
	v_fma_f64 v[9:10], -v[5:6], v[7:8], 1.0
	v_fma_f64 v[7:8], v[7:8], v[9:10], v[7:8]
	s_delay_alu instid0(VALU_DEP_1) | instskip(NEXT) | instid1(VALU_DEP_1)
	v_mul_f64 v[9:10], v[11:12], v[7:8]
	v_fma_f64 v[5:6], -v[5:6], v[9:10], v[11:12]
	s_delay_alu instid0(VALU_DEP_1) | instskip(NEXT) | instid1(VALU_DEP_1)
	v_div_fmas_f64 v[5:6], v[5:6], v[7:8], v[9:10]
	v_div_fixup_f64 v[5:6], v[5:6], v[3:4], v[1:2]
	s_delay_alu instid0(VALU_DEP_1) | instskip(NEXT) | instid1(VALU_DEP_1)
	v_fma_f64 v[1:2], v[1:2], v[5:6], v[3:4]
	v_div_scale_f64 v[3:4], null, v[1:2], v[1:2], 1.0
	v_div_scale_f64 v[11:12], vcc_lo, 1.0, v[1:2], 1.0
	s_delay_alu instid0(VALU_DEP_2) | instskip(SKIP_2) | instid1(VALU_DEP_1)
	v_rcp_f64_e32 v[7:8], v[3:4]
	s_waitcnt_depctr 0xfff
	v_fma_f64 v[9:10], -v[3:4], v[7:8], 1.0
	v_fma_f64 v[7:8], v[7:8], v[9:10], v[7:8]
	s_delay_alu instid0(VALU_DEP_1) | instskip(NEXT) | instid1(VALU_DEP_1)
	v_fma_f64 v[9:10], -v[3:4], v[7:8], 1.0
	v_fma_f64 v[7:8], v[7:8], v[9:10], v[7:8]
	s_delay_alu instid0(VALU_DEP_1) | instskip(NEXT) | instid1(VALU_DEP_1)
	v_mul_f64 v[9:10], v[11:12], v[7:8]
	v_fma_f64 v[3:4], -v[3:4], v[9:10], v[11:12]
	s_delay_alu instid0(VALU_DEP_1) | instskip(NEXT) | instid1(VALU_DEP_1)
	v_div_fmas_f64 v[3:4], v[3:4], v[7:8], v[9:10]
	v_div_fixup_f64 v[7:8], v[3:4], v[1:2], 1.0
                                        ; implicit-def: $vgpr1_vgpr2
	s_delay_alu instid0(VALU_DEP_1) | instskip(SKIP_1) | instid1(VALU_DEP_2)
	v_mul_f64 v[5:6], v[5:6], v[7:8]
	v_xor_b32_e32 v8, 0x80000000, v8
	v_xor_b32_e32 v10, 0x80000000, v6
	s_delay_alu instid0(VALU_DEP_3)
	v_mov_b32_e32 v9, v5
.LBB14_15:
	s_and_not1_saveexec_b32 s3, s3
	s_cbranch_execz .LBB14_17
; %bb.16:
	v_div_scale_f64 v[5:6], null, v[1:2], v[1:2], v[3:4]
	v_div_scale_f64 v[11:12], vcc_lo, v[3:4], v[1:2], v[3:4]
	s_delay_alu instid0(VALU_DEP_2) | instskip(SKIP_2) | instid1(VALU_DEP_1)
	v_rcp_f64_e32 v[7:8], v[5:6]
	s_waitcnt_depctr 0xfff
	v_fma_f64 v[9:10], -v[5:6], v[7:8], 1.0
	v_fma_f64 v[7:8], v[7:8], v[9:10], v[7:8]
	s_delay_alu instid0(VALU_DEP_1) | instskip(NEXT) | instid1(VALU_DEP_1)
	v_fma_f64 v[9:10], -v[5:6], v[7:8], 1.0
	v_fma_f64 v[7:8], v[7:8], v[9:10], v[7:8]
	s_delay_alu instid0(VALU_DEP_1) | instskip(NEXT) | instid1(VALU_DEP_1)
	v_mul_f64 v[9:10], v[11:12], v[7:8]
	v_fma_f64 v[5:6], -v[5:6], v[9:10], v[11:12]
	s_delay_alu instid0(VALU_DEP_1) | instskip(NEXT) | instid1(VALU_DEP_1)
	v_div_fmas_f64 v[5:6], v[5:6], v[7:8], v[9:10]
	v_div_fixup_f64 v[7:8], v[5:6], v[1:2], v[3:4]
	s_delay_alu instid0(VALU_DEP_1) | instskip(NEXT) | instid1(VALU_DEP_1)
	v_fma_f64 v[1:2], v[3:4], v[7:8], v[1:2]
	v_div_scale_f64 v[3:4], null, v[1:2], v[1:2], 1.0
	s_delay_alu instid0(VALU_DEP_1) | instskip(SKIP_2) | instid1(VALU_DEP_1)
	v_rcp_f64_e32 v[5:6], v[3:4]
	s_waitcnt_depctr 0xfff
	v_fma_f64 v[9:10], -v[3:4], v[5:6], 1.0
	v_fma_f64 v[5:6], v[5:6], v[9:10], v[5:6]
	s_delay_alu instid0(VALU_DEP_1) | instskip(NEXT) | instid1(VALU_DEP_1)
	v_fma_f64 v[9:10], -v[3:4], v[5:6], 1.0
	v_fma_f64 v[5:6], v[5:6], v[9:10], v[5:6]
	v_div_scale_f64 v[9:10], vcc_lo, 1.0, v[1:2], 1.0
	s_delay_alu instid0(VALU_DEP_1) | instskip(NEXT) | instid1(VALU_DEP_1)
	v_mul_f64 v[11:12], v[9:10], v[5:6]
	v_fma_f64 v[3:4], -v[3:4], v[11:12], v[9:10]
	s_delay_alu instid0(VALU_DEP_1) | instskip(NEXT) | instid1(VALU_DEP_1)
	v_div_fmas_f64 v[3:4], v[3:4], v[5:6], v[11:12]
	v_div_fixup_f64 v[5:6], v[3:4], v[1:2], 1.0
	s_delay_alu instid0(VALU_DEP_1)
	v_mul_f64 v[7:8], v[7:8], -v[5:6]
	v_xor_b32_e32 v10, 0x80000000, v6
	v_mov_b32_e32 v9, v5
.LBB14_17:
	s_or_b32 exec_lo, exec_lo, s3
	scratch_store_b128 v59, v[5:8], off
	scratch_load_b128 v[1:4], v45, off
	v_xor_b32_e32 v12, 0x80000000, v8
	v_mov_b32_e32 v11, v7
	v_add_nc_u32_e32 v5, 0xf0, v58
	ds_store_b128 v58, v[9:12]
	s_waitcnt vmcnt(0)
	ds_store_b128 v58, v[1:4] offset:240
	s_waitcnt lgkmcnt(0)
	s_waitcnt_vscnt null, 0x0
	s_barrier
	buffer_gl0_inv
	s_and_saveexec_b32 s3, s2
	s_cbranch_execz .LBB14_19
; %bb.18:
	scratch_load_b128 v[1:4], v59, off
	ds_load_b128 v[6:9], v5
	v_mov_b32_e32 v10, 0
	ds_load_b128 v[60:63], v10 offset:16
	s_waitcnt vmcnt(0) lgkmcnt(1)
	v_mul_f64 v[10:11], v[6:7], v[3:4]
	v_mul_f64 v[3:4], v[8:9], v[3:4]
	s_delay_alu instid0(VALU_DEP_2) | instskip(NEXT) | instid1(VALU_DEP_2)
	v_fma_f64 v[8:9], v[8:9], v[1:2], v[10:11]
	v_fma_f64 v[1:2], v[6:7], v[1:2], -v[3:4]
	s_delay_alu instid0(VALU_DEP_2) | instskip(NEXT) | instid1(VALU_DEP_2)
	v_add_f64 v[3:4], v[8:9], 0
	v_add_f64 v[1:2], v[1:2], 0
	s_waitcnt lgkmcnt(0)
	s_delay_alu instid0(VALU_DEP_2) | instskip(NEXT) | instid1(VALU_DEP_2)
	v_mul_f64 v[6:7], v[3:4], v[62:63]
	v_mul_f64 v[8:9], v[1:2], v[62:63]
	s_delay_alu instid0(VALU_DEP_2) | instskip(NEXT) | instid1(VALU_DEP_2)
	v_fma_f64 v[1:2], v[1:2], v[60:61], -v[6:7]
	v_fma_f64 v[3:4], v[3:4], v[60:61], v[8:9]
	scratch_store_b128 off, v[1:4], off offset:16
.LBB14_19:
	s_or_b32 exec_lo, exec_lo, s3
	s_waitcnt_vscnt null, 0x0
	s_barrier
	buffer_gl0_inv
	scratch_load_b128 v[1:4], v47, off
	s_mov_b32 s3, exec_lo
	s_waitcnt vmcnt(0)
	ds_store_b128 v5, v[1:4]
	s_waitcnt lgkmcnt(0)
	s_barrier
	buffer_gl0_inv
	v_cmpx_gt_u32_e32 2, v43
	s_cbranch_execz .LBB14_23
; %bb.20:
	scratch_load_b128 v[1:4], v59, off
	ds_load_b128 v[6:9], v5
	s_waitcnt vmcnt(0) lgkmcnt(0)
	v_mul_f64 v[10:11], v[8:9], v[3:4]
	v_mul_f64 v[3:4], v[6:7], v[3:4]
	s_delay_alu instid0(VALU_DEP_2) | instskip(NEXT) | instid1(VALU_DEP_2)
	v_fma_f64 v[6:7], v[6:7], v[1:2], -v[10:11]
	v_fma_f64 v[3:4], v[8:9], v[1:2], v[3:4]
	s_delay_alu instid0(VALU_DEP_2) | instskip(NEXT) | instid1(VALU_DEP_2)
	v_add_f64 v[1:2], v[6:7], 0
	v_add_f64 v[3:4], v[3:4], 0
	s_and_saveexec_b32 s4, s2
	s_cbranch_execz .LBB14_22
; %bb.21:
	scratch_load_b128 v[6:9], off, off offset:16
	v_mov_b32_e32 v10, 0
	ds_load_b128 v[60:63], v10 offset:256
	s_waitcnt vmcnt(0) lgkmcnt(0)
	v_mul_f64 v[10:11], v[60:61], v[8:9]
	v_mul_f64 v[8:9], v[62:63], v[8:9]
	s_delay_alu instid0(VALU_DEP_2) | instskip(NEXT) | instid1(VALU_DEP_2)
	v_fma_f64 v[10:11], v[62:63], v[6:7], v[10:11]
	v_fma_f64 v[6:7], v[60:61], v[6:7], -v[8:9]
	s_delay_alu instid0(VALU_DEP_2) | instskip(NEXT) | instid1(VALU_DEP_2)
	v_add_f64 v[3:4], v[3:4], v[10:11]
	v_add_f64 v[1:2], v[1:2], v[6:7]
.LBB14_22:
	s_or_b32 exec_lo, exec_lo, s4
	v_mov_b32_e32 v6, 0
	ds_load_b128 v[6:9], v6 offset:32
	s_waitcnt lgkmcnt(0)
	v_mul_f64 v[10:11], v[3:4], v[8:9]
	v_mul_f64 v[8:9], v[1:2], v[8:9]
	s_delay_alu instid0(VALU_DEP_2) | instskip(NEXT) | instid1(VALU_DEP_2)
	v_fma_f64 v[1:2], v[1:2], v[6:7], -v[10:11]
	v_fma_f64 v[3:4], v[3:4], v[6:7], v[8:9]
	scratch_store_b128 off, v[1:4], off offset:32
.LBB14_23:
	s_or_b32 exec_lo, exec_lo, s3
	s_waitcnt_vscnt null, 0x0
	s_barrier
	buffer_gl0_inv
	scratch_load_b128 v[1:4], v44, off
	v_add_nc_u32_e32 v6, -1, v43
	s_mov_b32 s2, exec_lo
	s_waitcnt vmcnt(0)
	ds_store_b128 v5, v[1:4]
	s_waitcnt lgkmcnt(0)
	s_barrier
	buffer_gl0_inv
	v_cmpx_gt_u32_e32 3, v43
	s_cbranch_execz .LBB14_27
; %bb.24:
	v_dual_mov_b32 v1, 0 :: v_dual_add_nc_u32 v8, 0xf0, v58
	v_dual_mov_b32 v2, 0 :: v_dual_add_nc_u32 v7, -1, v43
	v_or_b32_e32 v9, 8, v59
	s_mov_b32 s3, 0
	s_delay_alu instid0(VALU_DEP_2)
	v_dual_mov_b32 v4, v2 :: v_dual_mov_b32 v3, v1
	.p2align	6
.LBB14_25:                              ; =>This Inner Loop Header: Depth=1
	scratch_load_b128 v[60:63], v9, off offset:-8
	ds_load_b128 v[64:67], v8
	v_add_nc_u32_e32 v7, 1, v7
	v_add_nc_u32_e32 v8, 16, v8
	;; [unrolled: 1-line block ×3, first 2 shown]
	s_delay_alu instid0(VALU_DEP_3) | instskip(SKIP_4) | instid1(VALU_DEP_2)
	v_cmp_lt_u32_e32 vcc_lo, 1, v7
	s_or_b32 s3, vcc_lo, s3
	s_waitcnt vmcnt(0) lgkmcnt(0)
	v_mul_f64 v[10:11], v[66:67], v[62:63]
	v_mul_f64 v[62:63], v[64:65], v[62:63]
	v_fma_f64 v[10:11], v[64:65], v[60:61], -v[10:11]
	s_delay_alu instid0(VALU_DEP_2) | instskip(NEXT) | instid1(VALU_DEP_2)
	v_fma_f64 v[60:61], v[66:67], v[60:61], v[62:63]
	v_add_f64 v[3:4], v[3:4], v[10:11]
	s_delay_alu instid0(VALU_DEP_2)
	v_add_f64 v[1:2], v[1:2], v[60:61]
	s_and_not1_b32 exec_lo, exec_lo, s3
	s_cbranch_execnz .LBB14_25
; %bb.26:
	s_or_b32 exec_lo, exec_lo, s3
	v_mov_b32_e32 v7, 0
	ds_load_b128 v[7:10], v7 offset:48
	s_waitcnt lgkmcnt(0)
	v_mul_f64 v[11:12], v[1:2], v[9:10]
	v_mul_f64 v[60:61], v[3:4], v[9:10]
	s_delay_alu instid0(VALU_DEP_2) | instskip(NEXT) | instid1(VALU_DEP_2)
	v_fma_f64 v[9:10], v[3:4], v[7:8], -v[11:12]
	v_fma_f64 v[11:12], v[1:2], v[7:8], v[60:61]
	scratch_store_b128 off, v[9:12], off offset:48
.LBB14_27:
	s_or_b32 exec_lo, exec_lo, s2
	s_waitcnt_vscnt null, 0x0
	s_barrier
	buffer_gl0_inv
	scratch_load_b128 v[1:4], v48, off
	s_mov_b32 s2, exec_lo
	s_waitcnt vmcnt(0)
	ds_store_b128 v5, v[1:4]
	s_waitcnt lgkmcnt(0)
	s_barrier
	buffer_gl0_inv
	v_cmpx_gt_u32_e32 4, v43
	s_cbranch_execz .LBB14_31
; %bb.28:
	v_dual_mov_b32 v1, 0 :: v_dual_add_nc_u32 v8, 0xf0, v58
	v_dual_mov_b32 v2, 0 :: v_dual_add_nc_u32 v7, -1, v43
	v_or_b32_e32 v9, 8, v59
	s_mov_b32 s3, 0
	s_delay_alu instid0(VALU_DEP_2)
	v_dual_mov_b32 v4, v2 :: v_dual_mov_b32 v3, v1
	.p2align	6
.LBB14_29:                              ; =>This Inner Loop Header: Depth=1
	scratch_load_b128 v[60:63], v9, off offset:-8
	ds_load_b128 v[64:67], v8
	v_add_nc_u32_e32 v7, 1, v7
	v_add_nc_u32_e32 v8, 16, v8
	;; [unrolled: 1-line block ×3, first 2 shown]
	s_delay_alu instid0(VALU_DEP_3) | instskip(SKIP_4) | instid1(VALU_DEP_2)
	v_cmp_lt_u32_e32 vcc_lo, 2, v7
	s_or_b32 s3, vcc_lo, s3
	s_waitcnt vmcnt(0) lgkmcnt(0)
	v_mul_f64 v[10:11], v[66:67], v[62:63]
	v_mul_f64 v[62:63], v[64:65], v[62:63]
	v_fma_f64 v[10:11], v[64:65], v[60:61], -v[10:11]
	s_delay_alu instid0(VALU_DEP_2) | instskip(NEXT) | instid1(VALU_DEP_2)
	v_fma_f64 v[60:61], v[66:67], v[60:61], v[62:63]
	v_add_f64 v[3:4], v[3:4], v[10:11]
	s_delay_alu instid0(VALU_DEP_2)
	v_add_f64 v[1:2], v[1:2], v[60:61]
	s_and_not1_b32 exec_lo, exec_lo, s3
	s_cbranch_execnz .LBB14_29
; %bb.30:
	s_or_b32 exec_lo, exec_lo, s3
	v_mov_b32_e32 v7, 0
	ds_load_b128 v[7:10], v7 offset:64
	s_waitcnt lgkmcnt(0)
	v_mul_f64 v[11:12], v[1:2], v[9:10]
	v_mul_f64 v[60:61], v[3:4], v[9:10]
	s_delay_alu instid0(VALU_DEP_2) | instskip(NEXT) | instid1(VALU_DEP_2)
	v_fma_f64 v[9:10], v[3:4], v[7:8], -v[11:12]
	v_fma_f64 v[11:12], v[1:2], v[7:8], v[60:61]
	scratch_store_b128 off, v[9:12], off offset:64
.LBB14_31:
	s_or_b32 exec_lo, exec_lo, s2
	s_waitcnt_vscnt null, 0x0
	s_barrier
	buffer_gl0_inv
	scratch_load_b128 v[1:4], v46, off
	s_mov_b32 s2, exec_lo
	s_waitcnt vmcnt(0)
	ds_store_b128 v5, v[1:4]
	s_waitcnt lgkmcnt(0)
	s_barrier
	buffer_gl0_inv
	v_cmpx_gt_u32_e32 5, v43
	s_cbranch_execz .LBB14_35
; %bb.32:
	v_dual_mov_b32 v1, 0 :: v_dual_add_nc_u32 v8, 0xf0, v58
	v_dual_mov_b32 v2, 0 :: v_dual_add_nc_u32 v7, -1, v43
	v_or_b32_e32 v9, 8, v59
	s_mov_b32 s3, 0
	s_delay_alu instid0(VALU_DEP_2)
	v_dual_mov_b32 v4, v2 :: v_dual_mov_b32 v3, v1
	.p2align	6
.LBB14_33:                              ; =>This Inner Loop Header: Depth=1
	scratch_load_b128 v[60:63], v9, off offset:-8
	ds_load_b128 v[64:67], v8
	v_add_nc_u32_e32 v7, 1, v7
	v_add_nc_u32_e32 v8, 16, v8
	;; [unrolled: 1-line block ×3, first 2 shown]
	s_delay_alu instid0(VALU_DEP_3) | instskip(SKIP_4) | instid1(VALU_DEP_2)
	v_cmp_lt_u32_e32 vcc_lo, 3, v7
	s_or_b32 s3, vcc_lo, s3
	s_waitcnt vmcnt(0) lgkmcnt(0)
	v_mul_f64 v[10:11], v[66:67], v[62:63]
	v_mul_f64 v[62:63], v[64:65], v[62:63]
	v_fma_f64 v[10:11], v[64:65], v[60:61], -v[10:11]
	s_delay_alu instid0(VALU_DEP_2) | instskip(NEXT) | instid1(VALU_DEP_2)
	v_fma_f64 v[60:61], v[66:67], v[60:61], v[62:63]
	v_add_f64 v[3:4], v[3:4], v[10:11]
	s_delay_alu instid0(VALU_DEP_2)
	v_add_f64 v[1:2], v[1:2], v[60:61]
	s_and_not1_b32 exec_lo, exec_lo, s3
	s_cbranch_execnz .LBB14_33
; %bb.34:
	s_or_b32 exec_lo, exec_lo, s3
	v_mov_b32_e32 v7, 0
	ds_load_b128 v[7:10], v7 offset:80
	s_waitcnt lgkmcnt(0)
	v_mul_f64 v[11:12], v[1:2], v[9:10]
	v_mul_f64 v[60:61], v[3:4], v[9:10]
	s_delay_alu instid0(VALU_DEP_2) | instskip(NEXT) | instid1(VALU_DEP_2)
	v_fma_f64 v[9:10], v[3:4], v[7:8], -v[11:12]
	v_fma_f64 v[11:12], v[1:2], v[7:8], v[60:61]
	scratch_store_b128 off, v[9:12], off offset:80
.LBB14_35:
	s_or_b32 exec_lo, exec_lo, s2
	s_waitcnt_vscnt null, 0x0
	s_barrier
	buffer_gl0_inv
	scratch_load_b128 v[1:4], v50, off
	s_mov_b32 s2, exec_lo
	s_waitcnt vmcnt(0)
	ds_store_b128 v5, v[1:4]
	s_waitcnt lgkmcnt(0)
	s_barrier
	buffer_gl0_inv
	v_cmpx_gt_u32_e32 6, v43
	s_cbranch_execz .LBB14_39
; %bb.36:
	v_dual_mov_b32 v1, 0 :: v_dual_add_nc_u32 v8, 0xf0, v58
	v_dual_mov_b32 v2, 0 :: v_dual_add_nc_u32 v7, -1, v43
	v_or_b32_e32 v9, 8, v59
	s_mov_b32 s3, 0
	s_delay_alu instid0(VALU_DEP_2)
	v_dual_mov_b32 v4, v2 :: v_dual_mov_b32 v3, v1
	.p2align	6
.LBB14_37:                              ; =>This Inner Loop Header: Depth=1
	scratch_load_b128 v[60:63], v9, off offset:-8
	ds_load_b128 v[64:67], v8
	v_add_nc_u32_e32 v7, 1, v7
	v_add_nc_u32_e32 v8, 16, v8
	;; [unrolled: 1-line block ×3, first 2 shown]
	s_delay_alu instid0(VALU_DEP_3) | instskip(SKIP_4) | instid1(VALU_DEP_2)
	v_cmp_lt_u32_e32 vcc_lo, 4, v7
	s_or_b32 s3, vcc_lo, s3
	s_waitcnt vmcnt(0) lgkmcnt(0)
	v_mul_f64 v[10:11], v[66:67], v[62:63]
	v_mul_f64 v[62:63], v[64:65], v[62:63]
	v_fma_f64 v[10:11], v[64:65], v[60:61], -v[10:11]
	s_delay_alu instid0(VALU_DEP_2) | instskip(NEXT) | instid1(VALU_DEP_2)
	v_fma_f64 v[60:61], v[66:67], v[60:61], v[62:63]
	v_add_f64 v[3:4], v[3:4], v[10:11]
	s_delay_alu instid0(VALU_DEP_2)
	v_add_f64 v[1:2], v[1:2], v[60:61]
	s_and_not1_b32 exec_lo, exec_lo, s3
	s_cbranch_execnz .LBB14_37
; %bb.38:
	s_or_b32 exec_lo, exec_lo, s3
	v_mov_b32_e32 v7, 0
	ds_load_b128 v[7:10], v7 offset:96
	s_waitcnt lgkmcnt(0)
	v_mul_f64 v[11:12], v[1:2], v[9:10]
	v_mul_f64 v[60:61], v[3:4], v[9:10]
	s_delay_alu instid0(VALU_DEP_2) | instskip(NEXT) | instid1(VALU_DEP_2)
	v_fma_f64 v[9:10], v[3:4], v[7:8], -v[11:12]
	v_fma_f64 v[11:12], v[1:2], v[7:8], v[60:61]
	scratch_store_b128 off, v[9:12], off offset:96
.LBB14_39:
	s_or_b32 exec_lo, exec_lo, s2
	s_waitcnt_vscnt null, 0x0
	s_barrier
	buffer_gl0_inv
	scratch_load_b128 v[1:4], v49, off
	s_mov_b32 s2, exec_lo
	s_waitcnt vmcnt(0)
	ds_store_b128 v5, v[1:4]
	s_waitcnt lgkmcnt(0)
	s_barrier
	buffer_gl0_inv
	v_cmpx_gt_u32_e32 7, v43
	s_cbranch_execz .LBB14_43
; %bb.40:
	v_dual_mov_b32 v1, 0 :: v_dual_add_nc_u32 v8, 0xf0, v58
	v_dual_mov_b32 v2, 0 :: v_dual_add_nc_u32 v7, -1, v43
	v_or_b32_e32 v9, 8, v59
	s_mov_b32 s3, 0
	s_delay_alu instid0(VALU_DEP_2)
	v_dual_mov_b32 v4, v2 :: v_dual_mov_b32 v3, v1
	.p2align	6
.LBB14_41:                              ; =>This Inner Loop Header: Depth=1
	scratch_load_b128 v[60:63], v9, off offset:-8
	ds_load_b128 v[64:67], v8
	v_add_nc_u32_e32 v7, 1, v7
	v_add_nc_u32_e32 v8, 16, v8
	;; [unrolled: 1-line block ×3, first 2 shown]
	s_delay_alu instid0(VALU_DEP_3) | instskip(SKIP_4) | instid1(VALU_DEP_2)
	v_cmp_lt_u32_e32 vcc_lo, 5, v7
	s_or_b32 s3, vcc_lo, s3
	s_waitcnt vmcnt(0) lgkmcnt(0)
	v_mul_f64 v[10:11], v[66:67], v[62:63]
	v_mul_f64 v[62:63], v[64:65], v[62:63]
	v_fma_f64 v[10:11], v[64:65], v[60:61], -v[10:11]
	s_delay_alu instid0(VALU_DEP_2) | instskip(NEXT) | instid1(VALU_DEP_2)
	v_fma_f64 v[60:61], v[66:67], v[60:61], v[62:63]
	v_add_f64 v[3:4], v[3:4], v[10:11]
	s_delay_alu instid0(VALU_DEP_2)
	v_add_f64 v[1:2], v[1:2], v[60:61]
	s_and_not1_b32 exec_lo, exec_lo, s3
	s_cbranch_execnz .LBB14_41
; %bb.42:
	s_or_b32 exec_lo, exec_lo, s3
	v_mov_b32_e32 v7, 0
	ds_load_b128 v[7:10], v7 offset:112
	s_waitcnt lgkmcnt(0)
	v_mul_f64 v[11:12], v[1:2], v[9:10]
	v_mul_f64 v[60:61], v[3:4], v[9:10]
	s_delay_alu instid0(VALU_DEP_2) | instskip(NEXT) | instid1(VALU_DEP_2)
	v_fma_f64 v[9:10], v[3:4], v[7:8], -v[11:12]
	v_fma_f64 v[11:12], v[1:2], v[7:8], v[60:61]
	scratch_store_b128 off, v[9:12], off offset:112
.LBB14_43:
	s_or_b32 exec_lo, exec_lo, s2
	s_waitcnt_vscnt null, 0x0
	s_barrier
	buffer_gl0_inv
	scratch_load_b128 v[1:4], v52, off
	s_mov_b32 s2, exec_lo
	s_waitcnt vmcnt(0)
	ds_store_b128 v5, v[1:4]
	s_waitcnt lgkmcnt(0)
	s_barrier
	buffer_gl0_inv
	v_cmpx_gt_u32_e32 8, v43
	s_cbranch_execz .LBB14_47
; %bb.44:
	v_dual_mov_b32 v1, 0 :: v_dual_add_nc_u32 v8, 0xf0, v58
	v_dual_mov_b32 v2, 0 :: v_dual_add_nc_u32 v7, -1, v43
	v_or_b32_e32 v9, 8, v59
	s_mov_b32 s3, 0
	s_delay_alu instid0(VALU_DEP_2)
	v_dual_mov_b32 v4, v2 :: v_dual_mov_b32 v3, v1
	.p2align	6
.LBB14_45:                              ; =>This Inner Loop Header: Depth=1
	scratch_load_b128 v[60:63], v9, off offset:-8
	ds_load_b128 v[64:67], v8
	v_add_nc_u32_e32 v7, 1, v7
	v_add_nc_u32_e32 v8, 16, v8
	;; [unrolled: 1-line block ×3, first 2 shown]
	s_delay_alu instid0(VALU_DEP_3) | instskip(SKIP_4) | instid1(VALU_DEP_2)
	v_cmp_lt_u32_e32 vcc_lo, 6, v7
	s_or_b32 s3, vcc_lo, s3
	s_waitcnt vmcnt(0) lgkmcnt(0)
	v_mul_f64 v[10:11], v[66:67], v[62:63]
	v_mul_f64 v[62:63], v[64:65], v[62:63]
	v_fma_f64 v[10:11], v[64:65], v[60:61], -v[10:11]
	s_delay_alu instid0(VALU_DEP_2) | instskip(NEXT) | instid1(VALU_DEP_2)
	v_fma_f64 v[60:61], v[66:67], v[60:61], v[62:63]
	v_add_f64 v[3:4], v[3:4], v[10:11]
	s_delay_alu instid0(VALU_DEP_2)
	v_add_f64 v[1:2], v[1:2], v[60:61]
	s_and_not1_b32 exec_lo, exec_lo, s3
	s_cbranch_execnz .LBB14_45
; %bb.46:
	s_or_b32 exec_lo, exec_lo, s3
	v_mov_b32_e32 v7, 0
	ds_load_b128 v[7:10], v7 offset:128
	s_waitcnt lgkmcnt(0)
	v_mul_f64 v[11:12], v[1:2], v[9:10]
	v_mul_f64 v[60:61], v[3:4], v[9:10]
	s_delay_alu instid0(VALU_DEP_2) | instskip(NEXT) | instid1(VALU_DEP_2)
	v_fma_f64 v[9:10], v[3:4], v[7:8], -v[11:12]
	v_fma_f64 v[11:12], v[1:2], v[7:8], v[60:61]
	scratch_store_b128 off, v[9:12], off offset:128
.LBB14_47:
	s_or_b32 exec_lo, exec_lo, s2
	s_waitcnt_vscnt null, 0x0
	s_barrier
	buffer_gl0_inv
	scratch_load_b128 v[1:4], v51, off
	s_mov_b32 s2, exec_lo
	s_waitcnt vmcnt(0)
	ds_store_b128 v5, v[1:4]
	s_waitcnt lgkmcnt(0)
	s_barrier
	buffer_gl0_inv
	v_cmpx_gt_u32_e32 9, v43
	s_cbranch_execz .LBB14_51
; %bb.48:
	v_dual_mov_b32 v1, 0 :: v_dual_add_nc_u32 v8, 0xf0, v58
	v_dual_mov_b32 v2, 0 :: v_dual_add_nc_u32 v7, -1, v43
	v_or_b32_e32 v9, 8, v59
	s_mov_b32 s3, 0
	s_delay_alu instid0(VALU_DEP_2)
	v_dual_mov_b32 v4, v2 :: v_dual_mov_b32 v3, v1
	.p2align	6
.LBB14_49:                              ; =>This Inner Loop Header: Depth=1
	scratch_load_b128 v[60:63], v9, off offset:-8
	ds_load_b128 v[64:67], v8
	v_add_nc_u32_e32 v7, 1, v7
	v_add_nc_u32_e32 v8, 16, v8
	;; [unrolled: 1-line block ×3, first 2 shown]
	s_delay_alu instid0(VALU_DEP_3) | instskip(SKIP_4) | instid1(VALU_DEP_2)
	v_cmp_lt_u32_e32 vcc_lo, 7, v7
	s_or_b32 s3, vcc_lo, s3
	s_waitcnt vmcnt(0) lgkmcnt(0)
	v_mul_f64 v[10:11], v[66:67], v[62:63]
	v_mul_f64 v[62:63], v[64:65], v[62:63]
	v_fma_f64 v[10:11], v[64:65], v[60:61], -v[10:11]
	s_delay_alu instid0(VALU_DEP_2) | instskip(NEXT) | instid1(VALU_DEP_2)
	v_fma_f64 v[60:61], v[66:67], v[60:61], v[62:63]
	v_add_f64 v[3:4], v[3:4], v[10:11]
	s_delay_alu instid0(VALU_DEP_2)
	v_add_f64 v[1:2], v[1:2], v[60:61]
	s_and_not1_b32 exec_lo, exec_lo, s3
	s_cbranch_execnz .LBB14_49
; %bb.50:
	s_or_b32 exec_lo, exec_lo, s3
	v_mov_b32_e32 v7, 0
	ds_load_b128 v[7:10], v7 offset:144
	s_waitcnt lgkmcnt(0)
	v_mul_f64 v[11:12], v[1:2], v[9:10]
	v_mul_f64 v[60:61], v[3:4], v[9:10]
	s_delay_alu instid0(VALU_DEP_2) | instskip(NEXT) | instid1(VALU_DEP_2)
	v_fma_f64 v[9:10], v[3:4], v[7:8], -v[11:12]
	v_fma_f64 v[11:12], v[1:2], v[7:8], v[60:61]
	scratch_store_b128 off, v[9:12], off offset:144
.LBB14_51:
	s_or_b32 exec_lo, exec_lo, s2
	s_waitcnt_vscnt null, 0x0
	s_barrier
	buffer_gl0_inv
	scratch_load_b128 v[1:4], v54, off
	s_mov_b32 s2, exec_lo
	s_waitcnt vmcnt(0)
	ds_store_b128 v5, v[1:4]
	s_waitcnt lgkmcnt(0)
	s_barrier
	buffer_gl0_inv
	v_cmpx_gt_u32_e32 10, v43
	s_cbranch_execz .LBB14_55
; %bb.52:
	v_dual_mov_b32 v1, 0 :: v_dual_add_nc_u32 v8, 0xf0, v58
	v_dual_mov_b32 v2, 0 :: v_dual_add_nc_u32 v7, -1, v43
	v_or_b32_e32 v9, 8, v59
	s_mov_b32 s3, 0
	s_delay_alu instid0(VALU_DEP_2)
	v_dual_mov_b32 v4, v2 :: v_dual_mov_b32 v3, v1
	.p2align	6
.LBB14_53:                              ; =>This Inner Loop Header: Depth=1
	scratch_load_b128 v[60:63], v9, off offset:-8
	ds_load_b128 v[64:67], v8
	v_add_nc_u32_e32 v7, 1, v7
	v_add_nc_u32_e32 v8, 16, v8
	;; [unrolled: 1-line block ×3, first 2 shown]
	s_delay_alu instid0(VALU_DEP_3) | instskip(SKIP_4) | instid1(VALU_DEP_2)
	v_cmp_lt_u32_e32 vcc_lo, 8, v7
	s_or_b32 s3, vcc_lo, s3
	s_waitcnt vmcnt(0) lgkmcnt(0)
	v_mul_f64 v[10:11], v[66:67], v[62:63]
	v_mul_f64 v[62:63], v[64:65], v[62:63]
	v_fma_f64 v[10:11], v[64:65], v[60:61], -v[10:11]
	s_delay_alu instid0(VALU_DEP_2) | instskip(NEXT) | instid1(VALU_DEP_2)
	v_fma_f64 v[60:61], v[66:67], v[60:61], v[62:63]
	v_add_f64 v[3:4], v[3:4], v[10:11]
	s_delay_alu instid0(VALU_DEP_2)
	v_add_f64 v[1:2], v[1:2], v[60:61]
	s_and_not1_b32 exec_lo, exec_lo, s3
	s_cbranch_execnz .LBB14_53
; %bb.54:
	s_or_b32 exec_lo, exec_lo, s3
	v_mov_b32_e32 v7, 0
	ds_load_b128 v[7:10], v7 offset:160
	s_waitcnt lgkmcnt(0)
	v_mul_f64 v[11:12], v[1:2], v[9:10]
	v_mul_f64 v[60:61], v[3:4], v[9:10]
	s_delay_alu instid0(VALU_DEP_2) | instskip(NEXT) | instid1(VALU_DEP_2)
	v_fma_f64 v[9:10], v[3:4], v[7:8], -v[11:12]
	v_fma_f64 v[11:12], v[1:2], v[7:8], v[60:61]
	scratch_store_b128 off, v[9:12], off offset:160
.LBB14_55:
	s_or_b32 exec_lo, exec_lo, s2
	s_waitcnt_vscnt null, 0x0
	s_barrier
	buffer_gl0_inv
	scratch_load_b128 v[1:4], v53, off
	s_mov_b32 s2, exec_lo
	s_waitcnt vmcnt(0)
	ds_store_b128 v5, v[1:4]
	s_waitcnt lgkmcnt(0)
	s_barrier
	buffer_gl0_inv
	v_cmpx_gt_u32_e32 11, v43
	s_cbranch_execz .LBB14_59
; %bb.56:
	v_dual_mov_b32 v1, 0 :: v_dual_add_nc_u32 v8, 0xf0, v58
	v_dual_mov_b32 v2, 0 :: v_dual_add_nc_u32 v7, -1, v43
	v_or_b32_e32 v9, 8, v59
	s_mov_b32 s3, 0
	s_delay_alu instid0(VALU_DEP_2)
	v_dual_mov_b32 v4, v2 :: v_dual_mov_b32 v3, v1
	.p2align	6
.LBB14_57:                              ; =>This Inner Loop Header: Depth=1
	scratch_load_b128 v[60:63], v9, off offset:-8
	ds_load_b128 v[64:67], v8
	v_add_nc_u32_e32 v7, 1, v7
	v_add_nc_u32_e32 v8, 16, v8
	;; [unrolled: 1-line block ×3, first 2 shown]
	s_delay_alu instid0(VALU_DEP_3) | instskip(SKIP_4) | instid1(VALU_DEP_2)
	v_cmp_lt_u32_e32 vcc_lo, 9, v7
	s_or_b32 s3, vcc_lo, s3
	s_waitcnt vmcnt(0) lgkmcnt(0)
	v_mul_f64 v[10:11], v[66:67], v[62:63]
	v_mul_f64 v[62:63], v[64:65], v[62:63]
	v_fma_f64 v[10:11], v[64:65], v[60:61], -v[10:11]
	s_delay_alu instid0(VALU_DEP_2) | instskip(NEXT) | instid1(VALU_DEP_2)
	v_fma_f64 v[60:61], v[66:67], v[60:61], v[62:63]
	v_add_f64 v[3:4], v[3:4], v[10:11]
	s_delay_alu instid0(VALU_DEP_2)
	v_add_f64 v[1:2], v[1:2], v[60:61]
	s_and_not1_b32 exec_lo, exec_lo, s3
	s_cbranch_execnz .LBB14_57
; %bb.58:
	s_or_b32 exec_lo, exec_lo, s3
	v_mov_b32_e32 v7, 0
	ds_load_b128 v[7:10], v7 offset:176
	s_waitcnt lgkmcnt(0)
	v_mul_f64 v[11:12], v[1:2], v[9:10]
	v_mul_f64 v[60:61], v[3:4], v[9:10]
	s_delay_alu instid0(VALU_DEP_2) | instskip(NEXT) | instid1(VALU_DEP_2)
	v_fma_f64 v[9:10], v[3:4], v[7:8], -v[11:12]
	v_fma_f64 v[11:12], v[1:2], v[7:8], v[60:61]
	scratch_store_b128 off, v[9:12], off offset:176
.LBB14_59:
	s_or_b32 exec_lo, exec_lo, s2
	s_waitcnt_vscnt null, 0x0
	s_barrier
	buffer_gl0_inv
	scratch_load_b128 v[1:4], v56, off
	s_mov_b32 s2, exec_lo
	s_waitcnt vmcnt(0)
	ds_store_b128 v5, v[1:4]
	s_waitcnt lgkmcnt(0)
	s_barrier
	buffer_gl0_inv
	v_cmpx_gt_u32_e32 12, v43
	s_cbranch_execz .LBB14_63
; %bb.60:
	v_dual_mov_b32 v1, 0 :: v_dual_add_nc_u32 v8, 0xf0, v58
	v_dual_mov_b32 v2, 0 :: v_dual_add_nc_u32 v7, -1, v43
	v_or_b32_e32 v9, 8, v59
	s_mov_b32 s3, 0
	s_delay_alu instid0(VALU_DEP_2)
	v_dual_mov_b32 v4, v2 :: v_dual_mov_b32 v3, v1
	.p2align	6
.LBB14_61:                              ; =>This Inner Loop Header: Depth=1
	scratch_load_b128 v[60:63], v9, off offset:-8
	ds_load_b128 v[64:67], v8
	v_add_nc_u32_e32 v7, 1, v7
	v_add_nc_u32_e32 v8, 16, v8
	;; [unrolled: 1-line block ×3, first 2 shown]
	s_delay_alu instid0(VALU_DEP_3) | instskip(SKIP_4) | instid1(VALU_DEP_2)
	v_cmp_lt_u32_e32 vcc_lo, 10, v7
	s_or_b32 s3, vcc_lo, s3
	s_waitcnt vmcnt(0) lgkmcnt(0)
	v_mul_f64 v[10:11], v[66:67], v[62:63]
	v_mul_f64 v[62:63], v[64:65], v[62:63]
	v_fma_f64 v[10:11], v[64:65], v[60:61], -v[10:11]
	s_delay_alu instid0(VALU_DEP_2) | instskip(NEXT) | instid1(VALU_DEP_2)
	v_fma_f64 v[60:61], v[66:67], v[60:61], v[62:63]
	v_add_f64 v[3:4], v[3:4], v[10:11]
	s_delay_alu instid0(VALU_DEP_2)
	v_add_f64 v[1:2], v[1:2], v[60:61]
	s_and_not1_b32 exec_lo, exec_lo, s3
	s_cbranch_execnz .LBB14_61
; %bb.62:
	s_or_b32 exec_lo, exec_lo, s3
	v_mov_b32_e32 v7, 0
	ds_load_b128 v[7:10], v7 offset:192
	s_waitcnt lgkmcnt(0)
	v_mul_f64 v[11:12], v[1:2], v[9:10]
	v_mul_f64 v[60:61], v[3:4], v[9:10]
	s_delay_alu instid0(VALU_DEP_2) | instskip(NEXT) | instid1(VALU_DEP_2)
	v_fma_f64 v[9:10], v[3:4], v[7:8], -v[11:12]
	v_fma_f64 v[11:12], v[1:2], v[7:8], v[60:61]
	scratch_store_b128 off, v[9:12], off offset:192
.LBB14_63:
	s_or_b32 exec_lo, exec_lo, s2
	s_waitcnt_vscnt null, 0x0
	s_barrier
	buffer_gl0_inv
	scratch_load_b128 v[1:4], v57, off
	s_mov_b32 s2, exec_lo
	s_waitcnt vmcnt(0)
	ds_store_b128 v5, v[1:4]
	s_waitcnt lgkmcnt(0)
	s_barrier
	buffer_gl0_inv
	v_cmpx_gt_u32_e32 13, v43
	s_cbranch_execz .LBB14_67
; %bb.64:
	v_dual_mov_b32 v1, 0 :: v_dual_add_nc_u32 v8, 0xf0, v58
	v_dual_mov_b32 v2, 0 :: v_dual_add_nc_u32 v7, -1, v43
	v_or_b32_e32 v9, 8, v59
	s_mov_b32 s3, 0
	s_delay_alu instid0(VALU_DEP_2)
	v_dual_mov_b32 v4, v2 :: v_dual_mov_b32 v3, v1
	.p2align	6
.LBB14_65:                              ; =>This Inner Loop Header: Depth=1
	scratch_load_b128 v[60:63], v9, off offset:-8
	ds_load_b128 v[64:67], v8
	v_add_nc_u32_e32 v7, 1, v7
	v_add_nc_u32_e32 v8, 16, v8
	;; [unrolled: 1-line block ×3, first 2 shown]
	s_delay_alu instid0(VALU_DEP_3) | instskip(SKIP_4) | instid1(VALU_DEP_2)
	v_cmp_lt_u32_e32 vcc_lo, 11, v7
	s_or_b32 s3, vcc_lo, s3
	s_waitcnt vmcnt(0) lgkmcnt(0)
	v_mul_f64 v[10:11], v[66:67], v[62:63]
	v_mul_f64 v[62:63], v[64:65], v[62:63]
	v_fma_f64 v[10:11], v[64:65], v[60:61], -v[10:11]
	s_delay_alu instid0(VALU_DEP_2) | instskip(NEXT) | instid1(VALU_DEP_2)
	v_fma_f64 v[60:61], v[66:67], v[60:61], v[62:63]
	v_add_f64 v[3:4], v[3:4], v[10:11]
	s_delay_alu instid0(VALU_DEP_2)
	v_add_f64 v[1:2], v[1:2], v[60:61]
	s_and_not1_b32 exec_lo, exec_lo, s3
	s_cbranch_execnz .LBB14_65
; %bb.66:
	s_or_b32 exec_lo, exec_lo, s3
	v_mov_b32_e32 v7, 0
	ds_load_b128 v[7:10], v7 offset:208
	s_waitcnt lgkmcnt(0)
	v_mul_f64 v[11:12], v[1:2], v[9:10]
	v_mul_f64 v[60:61], v[3:4], v[9:10]
	s_delay_alu instid0(VALU_DEP_2) | instskip(NEXT) | instid1(VALU_DEP_2)
	v_fma_f64 v[9:10], v[3:4], v[7:8], -v[11:12]
	v_fma_f64 v[11:12], v[1:2], v[7:8], v[60:61]
	scratch_store_b128 off, v[9:12], off offset:208
.LBB14_67:
	s_or_b32 exec_lo, exec_lo, s2
	s_waitcnt_vscnt null, 0x0
	s_barrier
	buffer_gl0_inv
	scratch_load_b128 v[1:4], v55, off
	s_mov_b32 s2, exec_lo
	s_waitcnt vmcnt(0)
	ds_store_b128 v5, v[1:4]
	s_waitcnt lgkmcnt(0)
	s_barrier
	buffer_gl0_inv
	v_cmpx_ne_u32_e32 14, v43
	s_cbranch_execz .LBB14_71
; %bb.68:
	v_mov_b32_e32 v1, 0
	v_mov_b32_e32 v2, 0
	v_or_b32_e32 v7, 8, v59
	s_mov_b32 s3, 0
	s_delay_alu instid0(VALU_DEP_2)
	v_dual_mov_b32 v4, v2 :: v_dual_mov_b32 v3, v1
	.p2align	6
.LBB14_69:                              ; =>This Inner Loop Header: Depth=1
	scratch_load_b128 v[8:11], v7, off offset:-8
	ds_load_b128 v[58:61], v5
	v_add_nc_u32_e32 v6, 1, v6
	v_add_nc_u32_e32 v5, 16, v5
	;; [unrolled: 1-line block ×3, first 2 shown]
	s_delay_alu instid0(VALU_DEP_3) | instskip(SKIP_4) | instid1(VALU_DEP_2)
	v_cmp_lt_u32_e32 vcc_lo, 12, v6
	s_or_b32 s3, vcc_lo, s3
	s_waitcnt vmcnt(0) lgkmcnt(0)
	v_mul_f64 v[62:63], v[60:61], v[10:11]
	v_mul_f64 v[10:11], v[58:59], v[10:11]
	v_fma_f64 v[58:59], v[58:59], v[8:9], -v[62:63]
	s_delay_alu instid0(VALU_DEP_2) | instskip(NEXT) | instid1(VALU_DEP_2)
	v_fma_f64 v[8:9], v[60:61], v[8:9], v[10:11]
	v_add_f64 v[3:4], v[3:4], v[58:59]
	s_delay_alu instid0(VALU_DEP_2)
	v_add_f64 v[1:2], v[1:2], v[8:9]
	s_and_not1_b32 exec_lo, exec_lo, s3
	s_cbranch_execnz .LBB14_69
; %bb.70:
	s_or_b32 exec_lo, exec_lo, s3
	v_mov_b32_e32 v5, 0
	ds_load_b128 v[5:8], v5 offset:224
	s_waitcnt lgkmcnt(0)
	v_mul_f64 v[9:10], v[1:2], v[7:8]
	v_mul_f64 v[7:8], v[3:4], v[7:8]
	s_delay_alu instid0(VALU_DEP_2) | instskip(NEXT) | instid1(VALU_DEP_2)
	v_fma_f64 v[3:4], v[3:4], v[5:6], -v[9:10]
	v_fma_f64 v[5:6], v[1:2], v[5:6], v[7:8]
	scratch_store_b128 off, v[3:6], off offset:224
.LBB14_71:
	s_or_b32 exec_lo, exec_lo, s2
	s_mov_b32 s3, -1
	s_waitcnt_vscnt null, 0x0
	s_barrier
	buffer_gl0_inv
.LBB14_72:
	s_and_b32 vcc_lo, exec_lo, s3
	s_cbranch_vccz .LBB14_74
; %bb.73:
	s_lshl_b64 s[2:3], s[18:19], 2
	v_mov_b32_e32 v1, 0
	s_add_u32 s2, s6, s2
	s_addc_u32 s3, s7, s3
	global_load_b32 v1, v1, s[2:3]
	s_waitcnt vmcnt(0)
	v_cmp_ne_u32_e32 vcc_lo, 0, v1
	s_cbranch_vccz .LBB14_75
.LBB14_74:
	s_endpgm
.LBB14_75:
	v_lshl_add_u32 v5, v43, 4, 0xf0
	s_mov_b32 s2, exec_lo
	v_cmpx_eq_u32_e32 14, v43
	s_cbranch_execz .LBB14_77
; %bb.76:
	scratch_load_b128 v[1:4], v57, off
	v_mov_b32_e32 v6, 0
	s_delay_alu instid0(VALU_DEP_1)
	v_mov_b32_e32 v7, v6
	v_mov_b32_e32 v8, v6
	;; [unrolled: 1-line block ×3, first 2 shown]
	scratch_store_b128 off, v[6:9], off offset:208
	s_waitcnt vmcnt(0)
	ds_store_b128 v5, v[1:4]
.LBB14_77:
	s_or_b32 exec_lo, exec_lo, s2
	s_waitcnt lgkmcnt(0)
	s_waitcnt_vscnt null, 0x0
	s_barrier
	buffer_gl0_inv
	s_clause 0x1
	scratch_load_b128 v[6:9], off, off offset:224
	scratch_load_b128 v[58:61], off, off offset:208
	v_mov_b32_e32 v1, 0
	s_mov_b32 s2, exec_lo
	ds_load_b128 v[62:65], v1 offset:464
	s_waitcnt vmcnt(1) lgkmcnt(0)
	v_mul_f64 v[2:3], v[64:65], v[8:9]
	v_mul_f64 v[8:9], v[62:63], v[8:9]
	s_delay_alu instid0(VALU_DEP_2) | instskip(NEXT) | instid1(VALU_DEP_2)
	v_fma_f64 v[2:3], v[62:63], v[6:7], -v[2:3]
	v_fma_f64 v[6:7], v[64:65], v[6:7], v[8:9]
	s_delay_alu instid0(VALU_DEP_2) | instskip(NEXT) | instid1(VALU_DEP_2)
	v_add_f64 v[2:3], v[2:3], 0
	v_add_f64 v[8:9], v[6:7], 0
	s_waitcnt vmcnt(0)
	s_delay_alu instid0(VALU_DEP_2) | instskip(NEXT) | instid1(VALU_DEP_2)
	v_add_f64 v[6:7], v[58:59], -v[2:3]
	v_add_f64 v[8:9], v[60:61], -v[8:9]
	scratch_store_b128 off, v[6:9], off offset:208
	v_cmpx_lt_u32_e32 12, v43
	s_cbranch_execz .LBB14_79
; %bb.78:
	scratch_load_b128 v[6:9], v56, off
	v_mov_b32_e32 v2, v1
	v_mov_b32_e32 v3, v1
	;; [unrolled: 1-line block ×3, first 2 shown]
	scratch_store_b128 off, v[1:4], off offset:192
	s_waitcnt vmcnt(0)
	ds_store_b128 v5, v[6:9]
.LBB14_79:
	s_or_b32 exec_lo, exec_lo, s2
	s_waitcnt lgkmcnt(0)
	s_waitcnt_vscnt null, 0x0
	s_barrier
	buffer_gl0_inv
	s_clause 0x2
	scratch_load_b128 v[6:9], off, off offset:208
	scratch_load_b128 v[58:61], off, off offset:224
	;; [unrolled: 1-line block ×3, first 2 shown]
	ds_load_b128 v[66:69], v1 offset:448
	ds_load_b128 v[1:4], v1 offset:464
	s_mov_b32 s2, exec_lo
	s_waitcnt vmcnt(2) lgkmcnt(1)
	v_mul_f64 v[10:11], v[68:69], v[8:9]
	v_mul_f64 v[8:9], v[66:67], v[8:9]
	s_waitcnt vmcnt(1) lgkmcnt(0)
	v_mul_f64 v[70:71], v[1:2], v[60:61]
	v_mul_f64 v[60:61], v[3:4], v[60:61]
	s_delay_alu instid0(VALU_DEP_4) | instskip(NEXT) | instid1(VALU_DEP_4)
	v_fma_f64 v[10:11], v[66:67], v[6:7], -v[10:11]
	v_fma_f64 v[6:7], v[68:69], v[6:7], v[8:9]
	s_delay_alu instid0(VALU_DEP_4) | instskip(NEXT) | instid1(VALU_DEP_4)
	v_fma_f64 v[3:4], v[3:4], v[58:59], v[70:71]
	v_fma_f64 v[1:2], v[1:2], v[58:59], -v[60:61]
	s_delay_alu instid0(VALU_DEP_4) | instskip(NEXT) | instid1(VALU_DEP_4)
	v_add_f64 v[8:9], v[10:11], 0
	v_add_f64 v[6:7], v[6:7], 0
	s_delay_alu instid0(VALU_DEP_2) | instskip(NEXT) | instid1(VALU_DEP_2)
	v_add_f64 v[1:2], v[8:9], v[1:2]
	v_add_f64 v[3:4], v[6:7], v[3:4]
	s_waitcnt vmcnt(0)
	s_delay_alu instid0(VALU_DEP_2) | instskip(NEXT) | instid1(VALU_DEP_2)
	v_add_f64 v[1:2], v[62:63], -v[1:2]
	v_add_f64 v[3:4], v[64:65], -v[3:4]
	scratch_store_b128 off, v[1:4], off offset:192
	v_cmpx_lt_u32_e32 11, v43
	s_cbranch_execz .LBB14_81
; %bb.80:
	scratch_load_b128 v[1:4], v53, off
	v_mov_b32_e32 v6, 0
	s_delay_alu instid0(VALU_DEP_1)
	v_mov_b32_e32 v7, v6
	v_mov_b32_e32 v8, v6
	;; [unrolled: 1-line block ×3, first 2 shown]
	scratch_store_b128 off, v[6:9], off offset:176
	s_waitcnt vmcnt(0)
	ds_store_b128 v5, v[1:4]
.LBB14_81:
	s_or_b32 exec_lo, exec_lo, s2
	s_waitcnt lgkmcnt(0)
	s_waitcnt_vscnt null, 0x0
	s_barrier
	buffer_gl0_inv
	s_clause 0x3
	scratch_load_b128 v[6:9], off, off offset:192
	scratch_load_b128 v[58:61], off, off offset:208
	scratch_load_b128 v[62:65], off, off offset:224
	scratch_load_b128 v[66:69], off, off offset:176
	v_mov_b32_e32 v1, 0
	ds_load_b128 v[70:73], v1 offset:432
	ds_load_b128 v[74:77], v1 offset:448
	s_mov_b32 s2, exec_lo
	s_waitcnt vmcnt(3) lgkmcnt(1)
	v_mul_f64 v[2:3], v[72:73], v[8:9]
	v_mul_f64 v[8:9], v[70:71], v[8:9]
	s_waitcnt vmcnt(2) lgkmcnt(0)
	v_mul_f64 v[10:11], v[74:75], v[60:61]
	v_mul_f64 v[60:61], v[76:77], v[60:61]
	s_delay_alu instid0(VALU_DEP_4) | instskip(NEXT) | instid1(VALU_DEP_4)
	v_fma_f64 v[2:3], v[70:71], v[6:7], -v[2:3]
	v_fma_f64 v[70:71], v[72:73], v[6:7], v[8:9]
	ds_load_b128 v[6:9], v1 offset:464
	v_fma_f64 v[10:11], v[76:77], v[58:59], v[10:11]
	v_fma_f64 v[58:59], v[74:75], v[58:59], -v[60:61]
	s_waitcnt vmcnt(1) lgkmcnt(0)
	v_mul_f64 v[72:73], v[6:7], v[64:65]
	v_mul_f64 v[64:65], v[8:9], v[64:65]
	v_add_f64 v[2:3], v[2:3], 0
	v_add_f64 v[60:61], v[70:71], 0
	s_delay_alu instid0(VALU_DEP_4) | instskip(NEXT) | instid1(VALU_DEP_4)
	v_fma_f64 v[8:9], v[8:9], v[62:63], v[72:73]
	v_fma_f64 v[6:7], v[6:7], v[62:63], -v[64:65]
	s_delay_alu instid0(VALU_DEP_4) | instskip(NEXT) | instid1(VALU_DEP_4)
	v_add_f64 v[2:3], v[2:3], v[58:59]
	v_add_f64 v[10:11], v[60:61], v[10:11]
	s_delay_alu instid0(VALU_DEP_2) | instskip(NEXT) | instid1(VALU_DEP_2)
	v_add_f64 v[2:3], v[2:3], v[6:7]
	v_add_f64 v[8:9], v[10:11], v[8:9]
	s_waitcnt vmcnt(0)
	s_delay_alu instid0(VALU_DEP_2) | instskip(NEXT) | instid1(VALU_DEP_2)
	v_add_f64 v[6:7], v[66:67], -v[2:3]
	v_add_f64 v[8:9], v[68:69], -v[8:9]
	scratch_store_b128 off, v[6:9], off offset:176
	v_cmpx_lt_u32_e32 10, v43
	s_cbranch_execz .LBB14_83
; %bb.82:
	scratch_load_b128 v[6:9], v54, off
	v_mov_b32_e32 v2, v1
	v_mov_b32_e32 v3, v1
	;; [unrolled: 1-line block ×3, first 2 shown]
	scratch_store_b128 off, v[1:4], off offset:160
	s_waitcnt vmcnt(0)
	ds_store_b128 v5, v[6:9]
.LBB14_83:
	s_or_b32 exec_lo, exec_lo, s2
	s_waitcnt lgkmcnt(0)
	s_waitcnt_vscnt null, 0x0
	s_barrier
	buffer_gl0_inv
	s_clause 0x4
	scratch_load_b128 v[6:9], off, off offset:176
	scratch_load_b128 v[58:61], off, off offset:192
	;; [unrolled: 1-line block ×5, first 2 shown]
	ds_load_b128 v[74:77], v1 offset:416
	ds_load_b128 v[78:81], v1 offset:432
	s_mov_b32 s2, exec_lo
	s_waitcnt vmcnt(4) lgkmcnt(1)
	v_mul_f64 v[2:3], v[76:77], v[8:9]
	v_mul_f64 v[8:9], v[74:75], v[8:9]
	s_waitcnt vmcnt(3) lgkmcnt(0)
	v_mul_f64 v[10:11], v[78:79], v[60:61]
	v_mul_f64 v[60:61], v[80:81], v[60:61]
	s_delay_alu instid0(VALU_DEP_4) | instskip(NEXT) | instid1(VALU_DEP_4)
	v_fma_f64 v[74:75], v[74:75], v[6:7], -v[2:3]
	v_fma_f64 v[76:77], v[76:77], v[6:7], v[8:9]
	ds_load_b128 v[6:9], v1 offset:448
	ds_load_b128 v[1:4], v1 offset:464
	v_fma_f64 v[10:11], v[80:81], v[58:59], v[10:11]
	v_fma_f64 v[58:59], v[78:79], v[58:59], -v[60:61]
	s_waitcnt vmcnt(2) lgkmcnt(1)
	v_mul_f64 v[82:83], v[6:7], v[64:65]
	v_mul_f64 v[64:65], v[8:9], v[64:65]
	v_add_f64 v[60:61], v[74:75], 0
	v_add_f64 v[74:75], v[76:77], 0
	s_waitcnt vmcnt(1) lgkmcnt(0)
	v_mul_f64 v[76:77], v[1:2], v[68:69]
	v_mul_f64 v[68:69], v[3:4], v[68:69]
	v_fma_f64 v[8:9], v[8:9], v[62:63], v[82:83]
	v_fma_f64 v[6:7], v[6:7], v[62:63], -v[64:65]
	v_add_f64 v[58:59], v[60:61], v[58:59]
	v_add_f64 v[10:11], v[74:75], v[10:11]
	v_fma_f64 v[3:4], v[3:4], v[66:67], v[76:77]
	v_fma_f64 v[1:2], v[1:2], v[66:67], -v[68:69]
	s_delay_alu instid0(VALU_DEP_4) | instskip(NEXT) | instid1(VALU_DEP_4)
	v_add_f64 v[6:7], v[58:59], v[6:7]
	v_add_f64 v[8:9], v[10:11], v[8:9]
	s_delay_alu instid0(VALU_DEP_2) | instskip(NEXT) | instid1(VALU_DEP_2)
	v_add_f64 v[1:2], v[6:7], v[1:2]
	v_add_f64 v[3:4], v[8:9], v[3:4]
	s_waitcnt vmcnt(0)
	s_delay_alu instid0(VALU_DEP_2) | instskip(NEXT) | instid1(VALU_DEP_2)
	v_add_f64 v[1:2], v[70:71], -v[1:2]
	v_add_f64 v[3:4], v[72:73], -v[3:4]
	scratch_store_b128 off, v[1:4], off offset:160
	v_cmpx_lt_u32_e32 9, v43
	s_cbranch_execz .LBB14_85
; %bb.84:
	scratch_load_b128 v[1:4], v51, off
	v_mov_b32_e32 v6, 0
	s_delay_alu instid0(VALU_DEP_1)
	v_mov_b32_e32 v7, v6
	v_mov_b32_e32 v8, v6
	;; [unrolled: 1-line block ×3, first 2 shown]
	scratch_store_b128 off, v[6:9], off offset:144
	s_waitcnt vmcnt(0)
	ds_store_b128 v5, v[1:4]
.LBB14_85:
	s_or_b32 exec_lo, exec_lo, s2
	s_waitcnt lgkmcnt(0)
	s_waitcnt_vscnt null, 0x0
	s_barrier
	buffer_gl0_inv
	s_clause 0x5
	scratch_load_b128 v[6:9], off, off offset:160
	scratch_load_b128 v[58:61], off, off offset:176
	;; [unrolled: 1-line block ×6, first 2 shown]
	v_mov_b32_e32 v1, 0
	ds_load_b128 v[78:81], v1 offset:400
	ds_load_b128 v[82:85], v1 offset:416
	s_mov_b32 s2, exec_lo
	s_waitcnt vmcnt(5) lgkmcnt(1)
	v_mul_f64 v[2:3], v[80:81], v[8:9]
	v_mul_f64 v[8:9], v[78:79], v[8:9]
	s_waitcnt vmcnt(4) lgkmcnt(0)
	v_mul_f64 v[10:11], v[82:83], v[60:61]
	v_mul_f64 v[60:61], v[84:85], v[60:61]
	s_delay_alu instid0(VALU_DEP_4) | instskip(NEXT) | instid1(VALU_DEP_4)
	v_fma_f64 v[2:3], v[78:79], v[6:7], -v[2:3]
	v_fma_f64 v[86:87], v[80:81], v[6:7], v[8:9]
	ds_load_b128 v[6:9], v1 offset:432
	ds_load_b128 v[78:81], v1 offset:448
	v_fma_f64 v[10:11], v[84:85], v[58:59], v[10:11]
	v_fma_f64 v[58:59], v[82:83], v[58:59], -v[60:61]
	s_waitcnt vmcnt(3) lgkmcnt(1)
	v_mul_f64 v[88:89], v[6:7], v[64:65]
	v_mul_f64 v[64:65], v[8:9], v[64:65]
	s_waitcnt vmcnt(2) lgkmcnt(0)
	v_mul_f64 v[82:83], v[78:79], v[68:69]
	v_mul_f64 v[68:69], v[80:81], v[68:69]
	v_add_f64 v[2:3], v[2:3], 0
	v_add_f64 v[60:61], v[86:87], 0
	v_fma_f64 v[84:85], v[8:9], v[62:63], v[88:89]
	v_fma_f64 v[62:63], v[6:7], v[62:63], -v[64:65]
	ds_load_b128 v[6:9], v1 offset:464
	v_fma_f64 v[64:65], v[80:81], v[66:67], v[82:83]
	v_fma_f64 v[66:67], v[78:79], v[66:67], -v[68:69]
	v_add_f64 v[2:3], v[2:3], v[58:59]
	v_add_f64 v[10:11], v[60:61], v[10:11]
	s_waitcnt vmcnt(1) lgkmcnt(0)
	v_mul_f64 v[58:59], v[6:7], v[72:73]
	v_mul_f64 v[60:61], v[8:9], v[72:73]
	s_delay_alu instid0(VALU_DEP_4) | instskip(NEXT) | instid1(VALU_DEP_4)
	v_add_f64 v[2:3], v[2:3], v[62:63]
	v_add_f64 v[10:11], v[10:11], v[84:85]
	s_delay_alu instid0(VALU_DEP_4) | instskip(NEXT) | instid1(VALU_DEP_4)
	v_fma_f64 v[8:9], v[8:9], v[70:71], v[58:59]
	v_fma_f64 v[6:7], v[6:7], v[70:71], -v[60:61]
	s_delay_alu instid0(VALU_DEP_4) | instskip(NEXT) | instid1(VALU_DEP_4)
	v_add_f64 v[2:3], v[2:3], v[66:67]
	v_add_f64 v[10:11], v[10:11], v[64:65]
	s_delay_alu instid0(VALU_DEP_2) | instskip(NEXT) | instid1(VALU_DEP_2)
	v_add_f64 v[2:3], v[2:3], v[6:7]
	v_add_f64 v[8:9], v[10:11], v[8:9]
	s_waitcnt vmcnt(0)
	s_delay_alu instid0(VALU_DEP_2) | instskip(NEXT) | instid1(VALU_DEP_2)
	v_add_f64 v[6:7], v[74:75], -v[2:3]
	v_add_f64 v[8:9], v[76:77], -v[8:9]
	scratch_store_b128 off, v[6:9], off offset:144
	v_cmpx_lt_u32_e32 8, v43
	s_cbranch_execz .LBB14_87
; %bb.86:
	scratch_load_b128 v[6:9], v52, off
	v_mov_b32_e32 v2, v1
	v_mov_b32_e32 v3, v1
	;; [unrolled: 1-line block ×3, first 2 shown]
	scratch_store_b128 off, v[1:4], off offset:128
	s_waitcnt vmcnt(0)
	ds_store_b128 v5, v[6:9]
.LBB14_87:
	s_or_b32 exec_lo, exec_lo, s2
	s_waitcnt lgkmcnt(0)
	s_waitcnt_vscnt null, 0x0
	s_barrier
	buffer_gl0_inv
	s_clause 0x5
	scratch_load_b128 v[6:9], off, off offset:144
	scratch_load_b128 v[58:61], off, off offset:160
	;; [unrolled: 1-line block ×6, first 2 shown]
	ds_load_b128 v[78:81], v1 offset:384
	ds_load_b128 v[86:89], v1 offset:400
	scratch_load_b128 v[82:85], off, off offset:128
	s_mov_b32 s2, exec_lo
	s_waitcnt vmcnt(6) lgkmcnt(1)
	v_mul_f64 v[2:3], v[80:81], v[8:9]
	v_mul_f64 v[8:9], v[78:79], v[8:9]
	s_waitcnt vmcnt(5) lgkmcnt(0)
	v_mul_f64 v[10:11], v[86:87], v[60:61]
	v_mul_f64 v[60:61], v[88:89], v[60:61]
	s_delay_alu instid0(VALU_DEP_4) | instskip(NEXT) | instid1(VALU_DEP_4)
	v_fma_f64 v[2:3], v[78:79], v[6:7], -v[2:3]
	v_fma_f64 v[90:91], v[80:81], v[6:7], v[8:9]
	ds_load_b128 v[6:9], v1 offset:416
	ds_load_b128 v[78:81], v1 offset:432
	v_fma_f64 v[10:11], v[88:89], v[58:59], v[10:11]
	v_fma_f64 v[58:59], v[86:87], v[58:59], -v[60:61]
	s_waitcnt vmcnt(4) lgkmcnt(1)
	v_mul_f64 v[92:93], v[6:7], v[64:65]
	v_mul_f64 v[64:65], v[8:9], v[64:65]
	s_waitcnt vmcnt(3) lgkmcnt(0)
	v_mul_f64 v[86:87], v[78:79], v[68:69]
	v_mul_f64 v[68:69], v[80:81], v[68:69]
	v_add_f64 v[2:3], v[2:3], 0
	v_add_f64 v[60:61], v[90:91], 0
	v_fma_f64 v[88:89], v[8:9], v[62:63], v[92:93]
	v_fma_f64 v[62:63], v[6:7], v[62:63], -v[64:65]
	s_delay_alu instid0(VALU_DEP_4) | instskip(NEXT) | instid1(VALU_DEP_4)
	v_add_f64 v[58:59], v[2:3], v[58:59]
	v_add_f64 v[10:11], v[60:61], v[10:11]
	ds_load_b128 v[6:9], v1 offset:448
	ds_load_b128 v[1:4], v1 offset:464
	s_waitcnt vmcnt(2) lgkmcnt(1)
	v_mul_f64 v[60:61], v[6:7], v[72:73]
	v_mul_f64 v[64:65], v[8:9], v[72:73]
	v_fma_f64 v[72:73], v[80:81], v[66:67], v[86:87]
	v_fma_f64 v[66:67], v[78:79], v[66:67], -v[68:69]
	s_waitcnt vmcnt(1) lgkmcnt(0)
	v_mul_f64 v[68:69], v[3:4], v[76:77]
	v_add_f64 v[58:59], v[58:59], v[62:63]
	v_add_f64 v[10:11], v[10:11], v[88:89]
	v_mul_f64 v[62:63], v[1:2], v[76:77]
	v_fma_f64 v[8:9], v[8:9], v[70:71], v[60:61]
	v_fma_f64 v[6:7], v[6:7], v[70:71], -v[64:65]
	v_fma_f64 v[1:2], v[1:2], v[74:75], -v[68:69]
	v_add_f64 v[58:59], v[58:59], v[66:67]
	v_add_f64 v[10:11], v[10:11], v[72:73]
	v_fma_f64 v[3:4], v[3:4], v[74:75], v[62:63]
	s_delay_alu instid0(VALU_DEP_3) | instskip(NEXT) | instid1(VALU_DEP_3)
	v_add_f64 v[6:7], v[58:59], v[6:7]
	v_add_f64 v[8:9], v[10:11], v[8:9]
	s_delay_alu instid0(VALU_DEP_2) | instskip(NEXT) | instid1(VALU_DEP_2)
	v_add_f64 v[1:2], v[6:7], v[1:2]
	v_add_f64 v[3:4], v[8:9], v[3:4]
	s_waitcnt vmcnt(0)
	s_delay_alu instid0(VALU_DEP_2) | instskip(NEXT) | instid1(VALU_DEP_2)
	v_add_f64 v[1:2], v[82:83], -v[1:2]
	v_add_f64 v[3:4], v[84:85], -v[3:4]
	scratch_store_b128 off, v[1:4], off offset:128
	v_cmpx_lt_u32_e32 7, v43
	s_cbranch_execz .LBB14_89
; %bb.88:
	scratch_load_b128 v[1:4], v49, off
	v_mov_b32_e32 v6, 0
	s_delay_alu instid0(VALU_DEP_1)
	v_mov_b32_e32 v7, v6
	v_mov_b32_e32 v8, v6
	;; [unrolled: 1-line block ×3, first 2 shown]
	scratch_store_b128 off, v[6:9], off offset:112
	s_waitcnt vmcnt(0)
	ds_store_b128 v5, v[1:4]
.LBB14_89:
	s_or_b32 exec_lo, exec_lo, s2
	s_waitcnt lgkmcnt(0)
	s_waitcnt_vscnt null, 0x0
	s_barrier
	buffer_gl0_inv
	s_clause 0x6
	scratch_load_b128 v[6:9], off, off offset:128
	scratch_load_b128 v[58:61], off, off offset:144
	;; [unrolled: 1-line block ×7, first 2 shown]
	v_mov_b32_e32 v1, 0
	scratch_load_b128 v[86:89], off, off offset:112
	s_mov_b32 s2, exec_lo
	ds_load_b128 v[82:85], v1 offset:368
	s_waitcnt vmcnt(7) lgkmcnt(0)
	v_mul_f64 v[2:3], v[84:85], v[8:9]
	v_mul_f64 v[90:91], v[82:83], v[8:9]
	ds_load_b128 v[8:11], v1 offset:384
	v_fma_f64 v[2:3], v[82:83], v[6:7], -v[2:3]
	v_fma_f64 v[6:7], v[84:85], v[6:7], v[90:91]
	ds_load_b128 v[82:85], v1 offset:400
	s_waitcnt vmcnt(6) lgkmcnt(1)
	v_mul_f64 v[92:93], v[8:9], v[60:61]
	v_mul_f64 v[60:61], v[10:11], v[60:61]
	s_waitcnt vmcnt(5) lgkmcnt(0)
	v_mul_f64 v[90:91], v[82:83], v[64:65]
	v_mul_f64 v[64:65], v[84:85], v[64:65]
	v_add_f64 v[2:3], v[2:3], 0
	v_fma_f64 v[10:11], v[10:11], v[58:59], v[92:93]
	v_fma_f64 v[58:59], v[8:9], v[58:59], -v[60:61]
	v_add_f64 v[60:61], v[6:7], 0
	ds_load_b128 v[6:9], v1 offset:416
	v_fma_f64 v[84:85], v[84:85], v[62:63], v[90:91]
	v_fma_f64 v[62:63], v[82:83], v[62:63], -v[64:65]
	v_add_f64 v[2:3], v[2:3], v[58:59]
	v_add_f64 v[10:11], v[60:61], v[10:11]
	ds_load_b128 v[58:61], v1 offset:432
	s_waitcnt vmcnt(4) lgkmcnt(1)
	v_mul_f64 v[92:93], v[6:7], v[68:69]
	v_mul_f64 v[68:69], v[8:9], v[68:69]
	s_waitcnt vmcnt(3) lgkmcnt(0)
	v_mul_f64 v[64:65], v[58:59], v[72:73]
	v_mul_f64 v[72:73], v[60:61], v[72:73]
	v_add_f64 v[2:3], v[2:3], v[62:63]
	v_add_f64 v[10:11], v[10:11], v[84:85]
	v_fma_f64 v[82:83], v[8:9], v[66:67], v[92:93]
	v_fma_f64 v[66:67], v[6:7], v[66:67], -v[68:69]
	ds_load_b128 v[6:9], v1 offset:448
	v_fma_f64 v[64:65], v[60:61], v[70:71], v[64:65]
	v_fma_f64 v[70:71], v[58:59], v[70:71], -v[72:73]
	ds_load_b128 v[58:61], v1 offset:464
	s_waitcnt vmcnt(2) lgkmcnt(1)
	v_mul_f64 v[62:63], v[6:7], v[76:77]
	v_mul_f64 v[68:69], v[8:9], v[76:77]
	v_add_f64 v[10:11], v[10:11], v[82:83]
	v_add_f64 v[2:3], v[2:3], v[66:67]
	s_waitcnt vmcnt(1) lgkmcnt(0)
	v_mul_f64 v[66:67], v[58:59], v[80:81]
	v_mul_f64 v[72:73], v[60:61], v[80:81]
	v_fma_f64 v[8:9], v[8:9], v[74:75], v[62:63]
	v_fma_f64 v[6:7], v[6:7], v[74:75], -v[68:69]
	v_add_f64 v[10:11], v[10:11], v[64:65]
	v_add_f64 v[2:3], v[2:3], v[70:71]
	v_fma_f64 v[60:61], v[60:61], v[78:79], v[66:67]
	v_fma_f64 v[58:59], v[58:59], v[78:79], -v[72:73]
	s_delay_alu instid0(VALU_DEP_3) | instskip(SKIP_1) | instid1(VALU_DEP_2)
	v_add_f64 v[2:3], v[2:3], v[6:7]
	v_add_f64 v[6:7], v[10:11], v[8:9]
	;; [unrolled: 1-line block ×3, first 2 shown]
	s_delay_alu instid0(VALU_DEP_2) | instskip(SKIP_1) | instid1(VALU_DEP_2)
	v_add_f64 v[8:9], v[6:7], v[60:61]
	s_waitcnt vmcnt(0)
	v_add_f64 v[6:7], v[86:87], -v[2:3]
	s_delay_alu instid0(VALU_DEP_2)
	v_add_f64 v[8:9], v[88:89], -v[8:9]
	scratch_store_b128 off, v[6:9], off offset:112
	v_cmpx_lt_u32_e32 6, v43
	s_cbranch_execz .LBB14_91
; %bb.90:
	scratch_load_b128 v[6:9], v50, off
	v_mov_b32_e32 v2, v1
	v_mov_b32_e32 v3, v1
	;; [unrolled: 1-line block ×3, first 2 shown]
	scratch_store_b128 off, v[1:4], off offset:96
	s_waitcnt vmcnt(0)
	ds_store_b128 v5, v[6:9]
.LBB14_91:
	s_or_b32 exec_lo, exec_lo, s2
	s_waitcnt lgkmcnt(0)
	s_waitcnt_vscnt null, 0x0
	s_barrier
	buffer_gl0_inv
	s_clause 0x7
	scratch_load_b128 v[6:9], off, off offset:112
	scratch_load_b128 v[58:61], off, off offset:128
	;; [unrolled: 1-line block ×8, first 2 shown]
	ds_load_b128 v[86:89], v1 offset:352
	s_mov_b32 s2, exec_lo
	s_waitcnt vmcnt(7) lgkmcnt(0)
	v_mul_f64 v[2:3], v[88:89], v[8:9]
	v_mul_f64 v[90:91], v[86:87], v[8:9]
	ds_load_b128 v[8:11], v1 offset:368
	v_fma_f64 v[2:3], v[86:87], v[6:7], -v[2:3]
	v_fma_f64 v[6:7], v[88:89], v[6:7], v[90:91]
	ds_load_b128 v[86:89], v1 offset:384
	s_waitcnt vmcnt(6) lgkmcnt(1)
	v_mul_f64 v[94:95], v[8:9], v[60:61]
	v_mul_f64 v[60:61], v[10:11], v[60:61]
	scratch_load_b128 v[90:93], off, off offset:96
	s_waitcnt vmcnt(6) lgkmcnt(0)
	v_mul_f64 v[96:97], v[86:87], v[64:65]
	v_mul_f64 v[64:65], v[88:89], v[64:65]
	v_add_f64 v[2:3], v[2:3], 0
	v_fma_f64 v[10:11], v[10:11], v[58:59], v[94:95]
	v_fma_f64 v[58:59], v[8:9], v[58:59], -v[60:61]
	v_add_f64 v[60:61], v[6:7], 0
	ds_load_b128 v[6:9], v1 offset:400
	v_fma_f64 v[88:89], v[88:89], v[62:63], v[96:97]
	v_fma_f64 v[62:63], v[86:87], v[62:63], -v[64:65]
	v_add_f64 v[2:3], v[2:3], v[58:59]
	v_add_f64 v[10:11], v[60:61], v[10:11]
	ds_load_b128 v[58:61], v1 offset:416
	s_waitcnt vmcnt(5) lgkmcnt(1)
	v_mul_f64 v[94:95], v[6:7], v[68:69]
	v_mul_f64 v[68:69], v[8:9], v[68:69]
	s_waitcnt vmcnt(4) lgkmcnt(0)
	v_mul_f64 v[64:65], v[58:59], v[72:73]
	v_mul_f64 v[72:73], v[60:61], v[72:73]
	v_add_f64 v[2:3], v[2:3], v[62:63]
	v_add_f64 v[10:11], v[10:11], v[88:89]
	v_fma_f64 v[86:87], v[8:9], v[66:67], v[94:95]
	v_fma_f64 v[66:67], v[6:7], v[66:67], -v[68:69]
	ds_load_b128 v[6:9], v1 offset:432
	v_fma_f64 v[64:65], v[60:61], v[70:71], v[64:65]
	v_fma_f64 v[70:71], v[58:59], v[70:71], -v[72:73]
	ds_load_b128 v[58:61], v1 offset:448
	s_waitcnt vmcnt(3) lgkmcnt(1)
	v_mul_f64 v[62:63], v[6:7], v[76:77]
	v_mul_f64 v[68:69], v[8:9], v[76:77]
	v_add_f64 v[10:11], v[10:11], v[86:87]
	v_add_f64 v[2:3], v[2:3], v[66:67]
	s_waitcnt vmcnt(2) lgkmcnt(0)
	v_mul_f64 v[66:67], v[58:59], v[80:81]
	v_mul_f64 v[72:73], v[60:61], v[80:81]
	v_fma_f64 v[8:9], v[8:9], v[74:75], v[62:63]
	v_fma_f64 v[6:7], v[6:7], v[74:75], -v[68:69]
	v_add_f64 v[10:11], v[10:11], v[64:65]
	v_add_f64 v[62:63], v[2:3], v[70:71]
	ds_load_b128 v[1:4], v1 offset:464
	v_fma_f64 v[60:61], v[60:61], v[78:79], v[66:67]
	v_fma_f64 v[58:59], v[58:59], v[78:79], -v[72:73]
	s_waitcnt vmcnt(1) lgkmcnt(0)
	v_mul_f64 v[64:65], v[1:2], v[84:85]
	v_mul_f64 v[68:69], v[3:4], v[84:85]
	v_add_f64 v[8:9], v[10:11], v[8:9]
	v_add_f64 v[6:7], v[62:63], v[6:7]
	s_delay_alu instid0(VALU_DEP_4) | instskip(NEXT) | instid1(VALU_DEP_4)
	v_fma_f64 v[3:4], v[3:4], v[82:83], v[64:65]
	v_fma_f64 v[1:2], v[1:2], v[82:83], -v[68:69]
	s_delay_alu instid0(VALU_DEP_4) | instskip(NEXT) | instid1(VALU_DEP_4)
	v_add_f64 v[8:9], v[8:9], v[60:61]
	v_add_f64 v[6:7], v[6:7], v[58:59]
	s_delay_alu instid0(VALU_DEP_2) | instskip(NEXT) | instid1(VALU_DEP_2)
	v_add_f64 v[3:4], v[8:9], v[3:4]
	v_add_f64 v[1:2], v[6:7], v[1:2]
	s_waitcnt vmcnt(0)
	s_delay_alu instid0(VALU_DEP_2) | instskip(NEXT) | instid1(VALU_DEP_2)
	v_add_f64 v[3:4], v[92:93], -v[3:4]
	v_add_f64 v[1:2], v[90:91], -v[1:2]
	scratch_store_b128 off, v[1:4], off offset:96
	v_cmpx_lt_u32_e32 5, v43
	s_cbranch_execz .LBB14_93
; %bb.92:
	scratch_load_b128 v[1:4], v46, off
	v_mov_b32_e32 v6, 0
	s_delay_alu instid0(VALU_DEP_1)
	v_mov_b32_e32 v7, v6
	v_mov_b32_e32 v8, v6
	;; [unrolled: 1-line block ×3, first 2 shown]
	scratch_store_b128 off, v[6:9], off offset:80
	s_waitcnt vmcnt(0)
	ds_store_b128 v5, v[1:4]
.LBB14_93:
	s_or_b32 exec_lo, exec_lo, s2
	s_waitcnt lgkmcnt(0)
	s_waitcnt_vscnt null, 0x0
	s_barrier
	buffer_gl0_inv
	s_clause 0x7
	scratch_load_b128 v[6:9], off, off offset:96
	scratch_load_b128 v[58:61], off, off offset:112
	;; [unrolled: 1-line block ×8, first 2 shown]
	v_mov_b32_e32 v1, 0
	s_mov_b32 s2, exec_lo
	ds_load_b128 v[86:89], v1 offset:336
	s_clause 0x1
	scratch_load_b128 v[90:93], off, off offset:224
	scratch_load_b128 v[94:97], off, off offset:80
	ds_load_b128 v[98:101], v1 offset:352
	s_waitcnt vmcnt(9) lgkmcnt(1)
	v_mul_f64 v[2:3], v[88:89], v[8:9]
	v_mul_f64 v[8:9], v[86:87], v[8:9]
	s_waitcnt vmcnt(8) lgkmcnt(0)
	v_mul_f64 v[10:11], v[98:99], v[60:61]
	v_mul_f64 v[60:61], v[100:101], v[60:61]
	s_delay_alu instid0(VALU_DEP_4) | instskip(NEXT) | instid1(VALU_DEP_4)
	v_fma_f64 v[2:3], v[86:87], v[6:7], -v[2:3]
	v_fma_f64 v[102:103], v[88:89], v[6:7], v[8:9]
	ds_load_b128 v[6:9], v1 offset:368
	ds_load_b128 v[86:89], v1 offset:384
	v_fma_f64 v[10:11], v[100:101], v[58:59], v[10:11]
	v_fma_f64 v[58:59], v[98:99], v[58:59], -v[60:61]
	s_waitcnt vmcnt(7) lgkmcnt(1)
	v_mul_f64 v[104:105], v[6:7], v[64:65]
	v_mul_f64 v[64:65], v[8:9], v[64:65]
	s_waitcnt vmcnt(6) lgkmcnt(0)
	v_mul_f64 v[98:99], v[86:87], v[68:69]
	v_mul_f64 v[68:69], v[88:89], v[68:69]
	v_add_f64 v[2:3], v[2:3], 0
	v_add_f64 v[60:61], v[102:103], 0
	v_fma_f64 v[100:101], v[8:9], v[62:63], v[104:105]
	v_fma_f64 v[62:63], v[6:7], v[62:63], -v[64:65]
	v_fma_f64 v[88:89], v[88:89], v[66:67], v[98:99]
	v_fma_f64 v[66:67], v[86:87], v[66:67], -v[68:69]
	v_add_f64 v[2:3], v[2:3], v[58:59]
	v_add_f64 v[10:11], v[60:61], v[10:11]
	ds_load_b128 v[6:9], v1 offset:400
	ds_load_b128 v[58:61], v1 offset:416
	s_waitcnt vmcnt(5) lgkmcnt(1)
	v_mul_f64 v[64:65], v[6:7], v[72:73]
	v_mul_f64 v[72:73], v[8:9], v[72:73]
	s_waitcnt vmcnt(4) lgkmcnt(0)
	v_mul_f64 v[68:69], v[58:59], v[76:77]
	v_mul_f64 v[76:77], v[60:61], v[76:77]
	v_add_f64 v[2:3], v[2:3], v[62:63]
	v_add_f64 v[10:11], v[10:11], v[100:101]
	v_fma_f64 v[86:87], v[8:9], v[70:71], v[64:65]
	v_fma_f64 v[70:71], v[6:7], v[70:71], -v[72:73]
	ds_load_b128 v[6:9], v1 offset:432
	ds_load_b128 v[62:65], v1 offset:448
	v_fma_f64 v[60:61], v[60:61], v[74:75], v[68:69]
	v_fma_f64 v[58:59], v[58:59], v[74:75], -v[76:77]
	v_add_f64 v[2:3], v[2:3], v[66:67]
	v_add_f64 v[10:11], v[10:11], v[88:89]
	s_waitcnt vmcnt(3) lgkmcnt(1)
	v_mul_f64 v[66:67], v[6:7], v[80:81]
	v_mul_f64 v[72:73], v[8:9], v[80:81]
	s_waitcnt vmcnt(2) lgkmcnt(0)
	v_mul_f64 v[68:69], v[62:63], v[84:85]
	v_add_f64 v[2:3], v[2:3], v[70:71]
	v_add_f64 v[10:11], v[10:11], v[86:87]
	v_mul_f64 v[70:71], v[64:65], v[84:85]
	v_fma_f64 v[66:67], v[8:9], v[78:79], v[66:67]
	v_fma_f64 v[72:73], v[6:7], v[78:79], -v[72:73]
	ds_load_b128 v[6:9], v1 offset:464
	v_fma_f64 v[64:65], v[64:65], v[82:83], v[68:69]
	v_add_f64 v[2:3], v[2:3], v[58:59]
	v_add_f64 v[10:11], v[10:11], v[60:61]
	s_waitcnt vmcnt(1) lgkmcnt(0)
	v_mul_f64 v[58:59], v[6:7], v[92:93]
	v_mul_f64 v[60:61], v[8:9], v[92:93]
	v_fma_f64 v[62:63], v[62:63], v[82:83], -v[70:71]
	v_add_f64 v[2:3], v[2:3], v[72:73]
	v_add_f64 v[10:11], v[10:11], v[66:67]
	v_fma_f64 v[8:9], v[8:9], v[90:91], v[58:59]
	v_fma_f64 v[6:7], v[6:7], v[90:91], -v[60:61]
	s_delay_alu instid0(VALU_DEP_4) | instskip(NEXT) | instid1(VALU_DEP_4)
	v_add_f64 v[2:3], v[2:3], v[62:63]
	v_add_f64 v[10:11], v[10:11], v[64:65]
	s_delay_alu instid0(VALU_DEP_2) | instskip(NEXT) | instid1(VALU_DEP_2)
	v_add_f64 v[2:3], v[2:3], v[6:7]
	v_add_f64 v[8:9], v[10:11], v[8:9]
	s_waitcnt vmcnt(0)
	s_delay_alu instid0(VALU_DEP_2) | instskip(NEXT) | instid1(VALU_DEP_2)
	v_add_f64 v[6:7], v[94:95], -v[2:3]
	v_add_f64 v[8:9], v[96:97], -v[8:9]
	scratch_store_b128 off, v[6:9], off offset:80
	v_cmpx_lt_u32_e32 4, v43
	s_cbranch_execz .LBB14_95
; %bb.94:
	scratch_load_b128 v[6:9], v48, off
	v_mov_b32_e32 v2, v1
	v_mov_b32_e32 v3, v1
	;; [unrolled: 1-line block ×3, first 2 shown]
	scratch_store_b128 off, v[1:4], off offset:64
	s_waitcnt vmcnt(0)
	ds_store_b128 v5, v[6:9]
.LBB14_95:
	s_or_b32 exec_lo, exec_lo, s2
	s_waitcnt lgkmcnt(0)
	s_waitcnt_vscnt null, 0x0
	s_barrier
	buffer_gl0_inv
	s_clause 0x8
	scratch_load_b128 v[6:9], off, off offset:80
	scratch_load_b128 v[58:61], off, off offset:96
	scratch_load_b128 v[62:65], off, off offset:112
	scratch_load_b128 v[66:69], off, off offset:128
	scratch_load_b128 v[70:73], off, off offset:144
	scratch_load_b128 v[74:77], off, off offset:160
	scratch_load_b128 v[78:81], off, off offset:176
	scratch_load_b128 v[82:85], off, off offset:192
	scratch_load_b128 v[86:89], off, off offset:208
	ds_load_b128 v[90:93], v1 offset:320
	ds_load_b128 v[94:97], v1 offset:336
	scratch_load_b128 v[98:101], off, off offset:64
	s_mov_b32 s2, exec_lo
	s_waitcnt vmcnt(9) lgkmcnt(1)
	v_mul_f64 v[2:3], v[92:93], v[8:9]
	v_mul_f64 v[102:103], v[90:91], v[8:9]
	scratch_load_b128 v[8:11], off, off offset:224
	s_waitcnt vmcnt(9) lgkmcnt(0)
	v_mul_f64 v[106:107], v[94:95], v[60:61]
	v_mul_f64 v[60:61], v[96:97], v[60:61]
	v_fma_f64 v[2:3], v[90:91], v[6:7], -v[2:3]
	v_fma_f64 v[6:7], v[92:93], v[6:7], v[102:103]
	ds_load_b128 v[90:93], v1 offset:352
	ds_load_b128 v[102:105], v1 offset:368
	v_fma_f64 v[96:97], v[96:97], v[58:59], v[106:107]
	v_fma_f64 v[58:59], v[94:95], v[58:59], -v[60:61]
	s_waitcnt vmcnt(8) lgkmcnt(1)
	v_mul_f64 v[108:109], v[90:91], v[64:65]
	v_mul_f64 v[64:65], v[92:93], v[64:65]
	s_waitcnt vmcnt(7) lgkmcnt(0)
	v_mul_f64 v[94:95], v[102:103], v[68:69]
	v_mul_f64 v[68:69], v[104:105], v[68:69]
	v_add_f64 v[2:3], v[2:3], 0
	v_add_f64 v[6:7], v[6:7], 0
	v_fma_f64 v[92:93], v[92:93], v[62:63], v[108:109]
	v_fma_f64 v[90:91], v[90:91], v[62:63], -v[64:65]
	v_fma_f64 v[94:95], v[104:105], v[66:67], v[94:95]
	v_fma_f64 v[66:67], v[102:103], v[66:67], -v[68:69]
	v_add_f64 v[2:3], v[2:3], v[58:59]
	v_add_f64 v[6:7], v[6:7], v[96:97]
	ds_load_b128 v[58:61], v1 offset:384
	ds_load_b128 v[62:65], v1 offset:400
	s_waitcnt vmcnt(6) lgkmcnt(1)
	v_mul_f64 v[96:97], v[58:59], v[72:73]
	v_mul_f64 v[72:73], v[60:61], v[72:73]
	v_add_f64 v[2:3], v[2:3], v[90:91]
	v_add_f64 v[6:7], v[6:7], v[92:93]
	s_waitcnt vmcnt(5) lgkmcnt(0)
	v_mul_f64 v[90:91], v[62:63], v[76:77]
	v_mul_f64 v[76:77], v[64:65], v[76:77]
	v_fma_f64 v[92:93], v[60:61], v[70:71], v[96:97]
	v_fma_f64 v[70:71], v[58:59], v[70:71], -v[72:73]
	v_add_f64 v[2:3], v[2:3], v[66:67]
	v_add_f64 v[6:7], v[6:7], v[94:95]
	ds_load_b128 v[58:61], v1 offset:416
	ds_load_b128 v[66:69], v1 offset:432
	v_fma_f64 v[64:65], v[64:65], v[74:75], v[90:91]
	v_fma_f64 v[62:63], v[62:63], v[74:75], -v[76:77]
	s_waitcnt vmcnt(4) lgkmcnt(1)
	v_mul_f64 v[72:73], v[58:59], v[80:81]
	v_mul_f64 v[80:81], v[60:61], v[80:81]
	s_waitcnt vmcnt(3) lgkmcnt(0)
	v_mul_f64 v[74:75], v[68:69], v[84:85]
	v_add_f64 v[2:3], v[2:3], v[70:71]
	v_add_f64 v[6:7], v[6:7], v[92:93]
	v_mul_f64 v[70:71], v[66:67], v[84:85]
	v_fma_f64 v[72:73], v[60:61], v[78:79], v[72:73]
	v_fma_f64 v[76:77], v[58:59], v[78:79], -v[80:81]
	v_fma_f64 v[66:67], v[66:67], v[82:83], -v[74:75]
	v_add_f64 v[62:63], v[2:3], v[62:63]
	v_add_f64 v[6:7], v[6:7], v[64:65]
	ds_load_b128 v[58:61], v1 offset:448
	ds_load_b128 v[1:4], v1 offset:464
	v_fma_f64 v[68:69], v[68:69], v[82:83], v[70:71]
	s_waitcnt vmcnt(2) lgkmcnt(1)
	v_mul_f64 v[64:65], v[58:59], v[88:89]
	v_mul_f64 v[78:79], v[60:61], v[88:89]
	v_add_f64 v[62:63], v[62:63], v[76:77]
	v_add_f64 v[6:7], v[6:7], v[72:73]
	s_waitcnt vmcnt(0) lgkmcnt(0)
	v_mul_f64 v[70:71], v[1:2], v[10:11]
	v_mul_f64 v[10:11], v[3:4], v[10:11]
	v_fma_f64 v[60:61], v[60:61], v[86:87], v[64:65]
	v_fma_f64 v[58:59], v[58:59], v[86:87], -v[78:79]
	v_add_f64 v[62:63], v[62:63], v[66:67]
	v_add_f64 v[6:7], v[6:7], v[68:69]
	v_fma_f64 v[3:4], v[3:4], v[8:9], v[70:71]
	v_fma_f64 v[1:2], v[1:2], v[8:9], -v[10:11]
	s_delay_alu instid0(VALU_DEP_4) | instskip(NEXT) | instid1(VALU_DEP_4)
	v_add_f64 v[8:9], v[62:63], v[58:59]
	v_add_f64 v[6:7], v[6:7], v[60:61]
	s_delay_alu instid0(VALU_DEP_2) | instskip(NEXT) | instid1(VALU_DEP_2)
	v_add_f64 v[1:2], v[8:9], v[1:2]
	v_add_f64 v[3:4], v[6:7], v[3:4]
	s_delay_alu instid0(VALU_DEP_2) | instskip(NEXT) | instid1(VALU_DEP_2)
	v_add_f64 v[1:2], v[98:99], -v[1:2]
	v_add_f64 v[3:4], v[100:101], -v[3:4]
	scratch_store_b128 off, v[1:4], off offset:64
	v_cmpx_lt_u32_e32 3, v43
	s_cbranch_execz .LBB14_97
; %bb.96:
	scratch_load_b128 v[1:4], v44, off
	v_mov_b32_e32 v6, 0
	s_delay_alu instid0(VALU_DEP_1)
	v_mov_b32_e32 v7, v6
	v_mov_b32_e32 v8, v6
	;; [unrolled: 1-line block ×3, first 2 shown]
	scratch_store_b128 off, v[6:9], off offset:48
	s_waitcnt vmcnt(0)
	ds_store_b128 v5, v[1:4]
.LBB14_97:
	s_or_b32 exec_lo, exec_lo, s2
	s_waitcnt lgkmcnt(0)
	s_waitcnt_vscnt null, 0x0
	s_barrier
	buffer_gl0_inv
	s_clause 0x7
	scratch_load_b128 v[6:9], off, off offset:64
	scratch_load_b128 v[58:61], off, off offset:80
	scratch_load_b128 v[62:65], off, off offset:96
	scratch_load_b128 v[66:69], off, off offset:112
	scratch_load_b128 v[70:73], off, off offset:128
	scratch_load_b128 v[74:77], off, off offset:144
	scratch_load_b128 v[78:81], off, off offset:160
	scratch_load_b128 v[82:85], off, off offset:176
	v_mov_b32_e32 v1, 0
	s_mov_b32 s2, exec_lo
	ds_load_b128 v[86:89], v1 offset:304
	s_clause 0x1
	scratch_load_b128 v[90:93], off, off offset:192
	scratch_load_b128 v[94:97], off, off offset:48
	ds_load_b128 v[98:101], v1 offset:320
	ds_load_b128 v[106:109], v1 offset:352
	s_waitcnt vmcnt(9) lgkmcnt(2)
	v_mul_f64 v[2:3], v[88:89], v[8:9]
	v_mul_f64 v[102:103], v[86:87], v[8:9]
	scratch_load_b128 v[8:11], off, off offset:208
	v_fma_f64 v[2:3], v[86:87], v[6:7], -v[2:3]
	v_fma_f64 v[6:7], v[88:89], v[6:7], v[102:103]
	scratch_load_b128 v[102:105], off, off offset:224
	ds_load_b128 v[86:89], v1 offset:336
	s_waitcnt vmcnt(10) lgkmcnt(2)
	v_mul_f64 v[110:111], v[98:99], v[60:61]
	v_mul_f64 v[60:61], v[100:101], v[60:61]
	s_waitcnt vmcnt(9) lgkmcnt(0)
	v_mul_f64 v[112:113], v[86:87], v[64:65]
	v_mul_f64 v[64:65], v[88:89], v[64:65]
	v_add_f64 v[2:3], v[2:3], 0
	v_add_f64 v[6:7], v[6:7], 0
	v_fma_f64 v[100:101], v[100:101], v[58:59], v[110:111]
	v_fma_f64 v[58:59], v[98:99], v[58:59], -v[60:61]
	s_waitcnt vmcnt(8)
	v_mul_f64 v[98:99], v[106:107], v[68:69]
	v_mul_f64 v[68:69], v[108:109], v[68:69]
	v_fma_f64 v[88:89], v[88:89], v[62:63], v[112:113]
	v_fma_f64 v[86:87], v[86:87], v[62:63], -v[64:65]
	v_add_f64 v[6:7], v[6:7], v[100:101]
	v_add_f64 v[2:3], v[2:3], v[58:59]
	ds_load_b128 v[58:61], v1 offset:368
	ds_load_b128 v[62:65], v1 offset:384
	v_fma_f64 v[98:99], v[108:109], v[66:67], v[98:99]
	v_fma_f64 v[66:67], v[106:107], v[66:67], -v[68:69]
	s_waitcnt vmcnt(7) lgkmcnt(1)
	v_mul_f64 v[100:101], v[58:59], v[72:73]
	v_mul_f64 v[72:73], v[60:61], v[72:73]
	v_add_f64 v[6:7], v[6:7], v[88:89]
	v_add_f64 v[2:3], v[2:3], v[86:87]
	s_waitcnt vmcnt(6) lgkmcnt(0)
	v_mul_f64 v[86:87], v[62:63], v[76:77]
	v_mul_f64 v[76:77], v[64:65], v[76:77]
	v_fma_f64 v[88:89], v[60:61], v[70:71], v[100:101]
	v_fma_f64 v[70:71], v[58:59], v[70:71], -v[72:73]
	v_add_f64 v[6:7], v[6:7], v[98:99]
	v_add_f64 v[2:3], v[2:3], v[66:67]
	ds_load_b128 v[58:61], v1 offset:400
	ds_load_b128 v[66:69], v1 offset:416
	v_fma_f64 v[64:65], v[64:65], v[74:75], v[86:87]
	v_fma_f64 v[62:63], v[62:63], v[74:75], -v[76:77]
	s_waitcnt vmcnt(5) lgkmcnt(1)
	v_mul_f64 v[72:73], v[58:59], v[80:81]
	v_mul_f64 v[80:81], v[60:61], v[80:81]
	s_waitcnt vmcnt(4) lgkmcnt(0)
	v_mul_f64 v[74:75], v[68:69], v[84:85]
	v_add_f64 v[6:7], v[6:7], v[88:89]
	v_add_f64 v[2:3], v[2:3], v[70:71]
	v_mul_f64 v[70:71], v[66:67], v[84:85]
	v_fma_f64 v[72:73], v[60:61], v[78:79], v[72:73]
	v_fma_f64 v[76:77], v[58:59], v[78:79], -v[80:81]
	v_fma_f64 v[66:67], v[66:67], v[82:83], -v[74:75]
	v_add_f64 v[6:7], v[6:7], v[64:65]
	v_add_f64 v[2:3], v[2:3], v[62:63]
	ds_load_b128 v[58:61], v1 offset:432
	ds_load_b128 v[62:65], v1 offset:448
	v_fma_f64 v[68:69], v[68:69], v[82:83], v[70:71]
	s_waitcnt vmcnt(3) lgkmcnt(1)
	v_mul_f64 v[78:79], v[58:59], v[92:93]
	v_mul_f64 v[80:81], v[60:61], v[92:93]
	v_add_f64 v[6:7], v[6:7], v[72:73]
	v_add_f64 v[2:3], v[2:3], v[76:77]
	s_waitcnt vmcnt(1) lgkmcnt(0)
	v_mul_f64 v[70:71], v[62:63], v[10:11]
	v_mul_f64 v[10:11], v[64:65], v[10:11]
	v_fma_f64 v[72:73], v[60:61], v[90:91], v[78:79]
	v_fma_f64 v[74:75], v[58:59], v[90:91], -v[80:81]
	ds_load_b128 v[58:61], v1 offset:464
	v_add_f64 v[6:7], v[6:7], v[68:69]
	v_add_f64 v[2:3], v[2:3], v[66:67]
	s_waitcnt vmcnt(0) lgkmcnt(0)
	v_mul_f64 v[66:67], v[58:59], v[104:105]
	v_mul_f64 v[68:69], v[60:61], v[104:105]
	v_fma_f64 v[64:65], v[64:65], v[8:9], v[70:71]
	v_fma_f64 v[8:9], v[62:63], v[8:9], -v[10:11]
	v_add_f64 v[6:7], v[6:7], v[72:73]
	v_add_f64 v[2:3], v[2:3], v[74:75]
	v_fma_f64 v[10:11], v[60:61], v[102:103], v[66:67]
	v_fma_f64 v[58:59], v[58:59], v[102:103], -v[68:69]
	s_delay_alu instid0(VALU_DEP_4) | instskip(NEXT) | instid1(VALU_DEP_4)
	v_add_f64 v[6:7], v[6:7], v[64:65]
	v_add_f64 v[2:3], v[2:3], v[8:9]
	s_delay_alu instid0(VALU_DEP_2) | instskip(NEXT) | instid1(VALU_DEP_2)
	v_add_f64 v[8:9], v[6:7], v[10:11]
	v_add_f64 v[2:3], v[2:3], v[58:59]
	s_delay_alu instid0(VALU_DEP_2) | instskip(NEXT) | instid1(VALU_DEP_2)
	v_add_f64 v[8:9], v[96:97], -v[8:9]
	v_add_f64 v[6:7], v[94:95], -v[2:3]
	scratch_store_b128 off, v[6:9], off offset:48
	v_cmpx_lt_u32_e32 2, v43
	s_cbranch_execz .LBB14_99
; %bb.98:
	scratch_load_b128 v[6:9], v47, off
	v_mov_b32_e32 v2, v1
	v_mov_b32_e32 v3, v1
	;; [unrolled: 1-line block ×3, first 2 shown]
	scratch_store_b128 off, v[1:4], off offset:32
	s_waitcnt vmcnt(0)
	ds_store_b128 v5, v[6:9]
.LBB14_99:
	s_or_b32 exec_lo, exec_lo, s2
	s_waitcnt lgkmcnt(0)
	s_waitcnt_vscnt null, 0x0
	s_barrier
	buffer_gl0_inv
	s_clause 0x8
	scratch_load_b128 v[6:9], off, off offset:48
	scratch_load_b128 v[58:61], off, off offset:64
	;; [unrolled: 1-line block ×9, first 2 shown]
	ds_load_b128 v[90:93], v1 offset:288
	ds_load_b128 v[94:97], v1 offset:304
	scratch_load_b128 v[98:101], off, off offset:32
	s_mov_b32 s2, exec_lo
	ds_load_b128 v[106:109], v1 offset:336
	s_waitcnt vmcnt(9) lgkmcnt(2)
	v_mul_f64 v[2:3], v[92:93], v[8:9]
	v_mul_f64 v[102:103], v[90:91], v[8:9]
	scratch_load_b128 v[8:11], off, off offset:192
	s_waitcnt vmcnt(9) lgkmcnt(1)
	v_mul_f64 v[110:111], v[94:95], v[60:61]
	v_mul_f64 v[60:61], v[96:97], v[60:61]
	v_fma_f64 v[2:3], v[90:91], v[6:7], -v[2:3]
	v_fma_f64 v[6:7], v[92:93], v[6:7], v[102:103]
	ds_load_b128 v[90:93], v1 offset:320
	scratch_load_b128 v[102:105], off, off offset:208
	v_fma_f64 v[96:97], v[96:97], v[58:59], v[110:111]
	v_fma_f64 v[94:95], v[94:95], v[58:59], -v[60:61]
	scratch_load_b128 v[58:61], off, off offset:224
	s_waitcnt vmcnt(9) lgkmcnt(1)
	v_mul_f64 v[110:111], v[106:107], v[68:69]
	v_mul_f64 v[68:69], v[108:109], v[68:69]
	s_waitcnt lgkmcnt(0)
	v_mul_f64 v[112:113], v[90:91], v[64:65]
	v_mul_f64 v[64:65], v[92:93], v[64:65]
	v_add_f64 v[2:3], v[2:3], 0
	v_add_f64 v[6:7], v[6:7], 0
	s_delay_alu instid0(VALU_DEP_4) | instskip(NEXT) | instid1(VALU_DEP_4)
	v_fma_f64 v[112:113], v[92:93], v[62:63], v[112:113]
	v_fma_f64 v[114:115], v[90:91], v[62:63], -v[64:65]
	ds_load_b128 v[62:65], v1 offset:352
	ds_load_b128 v[90:93], v1 offset:368
	v_add_f64 v[2:3], v[2:3], v[94:95]
	v_add_f64 v[6:7], v[6:7], v[96:97]
	v_fma_f64 v[96:97], v[108:109], v[66:67], v[110:111]
	v_fma_f64 v[66:67], v[106:107], v[66:67], -v[68:69]
	s_waitcnt vmcnt(8) lgkmcnt(1)
	v_mul_f64 v[94:95], v[62:63], v[72:73]
	v_mul_f64 v[72:73], v[64:65], v[72:73]
	s_waitcnt vmcnt(7) lgkmcnt(0)
	v_mul_f64 v[106:107], v[90:91], v[76:77]
	v_mul_f64 v[76:77], v[92:93], v[76:77]
	v_add_f64 v[2:3], v[2:3], v[114:115]
	v_add_f64 v[6:7], v[6:7], v[112:113]
	v_fma_f64 v[94:95], v[64:65], v[70:71], v[94:95]
	v_fma_f64 v[70:71], v[62:63], v[70:71], -v[72:73]
	v_fma_f64 v[92:93], v[92:93], v[74:75], v[106:107]
	v_fma_f64 v[74:75], v[90:91], v[74:75], -v[76:77]
	v_add_f64 v[2:3], v[2:3], v[66:67]
	v_add_f64 v[6:7], v[6:7], v[96:97]
	ds_load_b128 v[62:65], v1 offset:384
	ds_load_b128 v[66:69], v1 offset:400
	s_waitcnt vmcnt(6) lgkmcnt(1)
	v_mul_f64 v[72:73], v[62:63], v[80:81]
	v_mul_f64 v[80:81], v[64:65], v[80:81]
	s_waitcnt vmcnt(5) lgkmcnt(0)
	v_mul_f64 v[76:77], v[66:67], v[84:85]
	v_mul_f64 v[84:85], v[68:69], v[84:85]
	v_add_f64 v[2:3], v[2:3], v[70:71]
	v_add_f64 v[6:7], v[6:7], v[94:95]
	v_fma_f64 v[90:91], v[64:65], v[78:79], v[72:73]
	v_fma_f64 v[78:79], v[62:63], v[78:79], -v[80:81]
	ds_load_b128 v[62:65], v1 offset:416
	ds_load_b128 v[70:73], v1 offset:432
	v_fma_f64 v[68:69], v[68:69], v[82:83], v[76:77]
	v_fma_f64 v[66:67], v[66:67], v[82:83], -v[84:85]
	v_add_f64 v[2:3], v[2:3], v[74:75]
	v_add_f64 v[6:7], v[6:7], v[92:93]
	s_waitcnt vmcnt(4) lgkmcnt(1)
	v_mul_f64 v[74:75], v[62:63], v[88:89]
	v_mul_f64 v[80:81], v[64:65], v[88:89]
	s_delay_alu instid0(VALU_DEP_4) | instskip(NEXT) | instid1(VALU_DEP_4)
	v_add_f64 v[2:3], v[2:3], v[78:79]
	v_add_f64 v[6:7], v[6:7], v[90:91]
	s_delay_alu instid0(VALU_DEP_4) | instskip(NEXT) | instid1(VALU_DEP_4)
	v_fma_f64 v[74:75], v[64:65], v[86:87], v[74:75]
	v_fma_f64 v[78:79], v[62:63], v[86:87], -v[80:81]
	s_waitcnt vmcnt(2) lgkmcnt(0)
	v_mul_f64 v[76:77], v[70:71], v[10:11]
	v_mul_f64 v[10:11], v[72:73], v[10:11]
	v_add_f64 v[66:67], v[2:3], v[66:67]
	v_add_f64 v[6:7], v[6:7], v[68:69]
	ds_load_b128 v[62:65], v1 offset:448
	ds_load_b128 v[1:4], v1 offset:464
	v_fma_f64 v[72:73], v[72:73], v[8:9], v[76:77]
	v_fma_f64 v[8:9], v[70:71], v[8:9], -v[10:11]
	s_waitcnt vmcnt(1) lgkmcnt(1)
	v_mul_f64 v[68:69], v[62:63], v[104:105]
	v_mul_f64 v[80:81], v[64:65], v[104:105]
	v_add_f64 v[10:11], v[66:67], v[78:79]
	v_add_f64 v[6:7], v[6:7], v[74:75]
	s_waitcnt vmcnt(0) lgkmcnt(0)
	v_mul_f64 v[66:67], v[1:2], v[60:61]
	v_mul_f64 v[60:61], v[3:4], v[60:61]
	v_fma_f64 v[64:65], v[64:65], v[102:103], v[68:69]
	v_fma_f64 v[62:63], v[62:63], v[102:103], -v[80:81]
	v_add_f64 v[8:9], v[10:11], v[8:9]
	v_add_f64 v[6:7], v[6:7], v[72:73]
	v_fma_f64 v[3:4], v[3:4], v[58:59], v[66:67]
	v_fma_f64 v[1:2], v[1:2], v[58:59], -v[60:61]
	s_delay_alu instid0(VALU_DEP_4) | instskip(NEXT) | instid1(VALU_DEP_4)
	v_add_f64 v[8:9], v[8:9], v[62:63]
	v_add_f64 v[6:7], v[6:7], v[64:65]
	s_delay_alu instid0(VALU_DEP_2) | instskip(NEXT) | instid1(VALU_DEP_2)
	v_add_f64 v[1:2], v[8:9], v[1:2]
	v_add_f64 v[3:4], v[6:7], v[3:4]
	s_delay_alu instid0(VALU_DEP_2) | instskip(NEXT) | instid1(VALU_DEP_2)
	v_add_f64 v[1:2], v[98:99], -v[1:2]
	v_add_f64 v[3:4], v[100:101], -v[3:4]
	scratch_store_b128 off, v[1:4], off offset:32
	v_cmpx_lt_u32_e32 1, v43
	s_cbranch_execz .LBB14_101
; %bb.100:
	scratch_load_b128 v[1:4], v45, off
	v_mov_b32_e32 v6, 0
	s_delay_alu instid0(VALU_DEP_1)
	v_mov_b32_e32 v7, v6
	v_mov_b32_e32 v8, v6
	;; [unrolled: 1-line block ×3, first 2 shown]
	scratch_store_b128 off, v[6:9], off offset:16
	s_waitcnt vmcnt(0)
	ds_store_b128 v5, v[1:4]
.LBB14_101:
	s_or_b32 exec_lo, exec_lo, s2
	s_waitcnt lgkmcnt(0)
	s_waitcnt_vscnt null, 0x0
	s_barrier
	buffer_gl0_inv
	s_clause 0x7
	scratch_load_b128 v[6:9], off, off offset:32
	scratch_load_b128 v[58:61], off, off offset:48
	;; [unrolled: 1-line block ×8, first 2 shown]
	v_mov_b32_e32 v1, 0
	s_mov_b32 s2, exec_lo
	ds_load_b128 v[86:89], v1 offset:272
	s_clause 0x1
	scratch_load_b128 v[90:93], off, off offset:160
	scratch_load_b128 v[94:97], off, off offset:16
	ds_load_b128 v[98:101], v1 offset:288
	ds_load_b128 v[106:109], v1 offset:320
	s_waitcnt vmcnt(9) lgkmcnt(2)
	v_mul_f64 v[2:3], v[88:89], v[8:9]
	v_mul_f64 v[102:103], v[86:87], v[8:9]
	scratch_load_b128 v[8:11], off, off offset:176
	v_fma_f64 v[2:3], v[86:87], v[6:7], -v[2:3]
	v_fma_f64 v[6:7], v[88:89], v[6:7], v[102:103]
	scratch_load_b128 v[102:105], off, off offset:192
	ds_load_b128 v[86:89], v1 offset:304
	s_waitcnt vmcnt(10) lgkmcnt(2)
	v_mul_f64 v[110:111], v[98:99], v[60:61]
	v_mul_f64 v[60:61], v[100:101], v[60:61]
	s_waitcnt vmcnt(9) lgkmcnt(0)
	v_mul_f64 v[112:113], v[86:87], v[64:65]
	v_mul_f64 v[64:65], v[88:89], v[64:65]
	v_add_f64 v[2:3], v[2:3], 0
	v_add_f64 v[6:7], v[6:7], 0
	v_fma_f64 v[100:101], v[100:101], v[58:59], v[110:111]
	v_fma_f64 v[98:99], v[98:99], v[58:59], -v[60:61]
	scratch_load_b128 v[58:61], off, off offset:208
	v_fma_f64 v[112:113], v[88:89], v[62:63], v[112:113]
	v_fma_f64 v[114:115], v[86:87], v[62:63], -v[64:65]
	scratch_load_b128 v[86:89], off, off offset:224
	ds_load_b128 v[62:65], v1 offset:336
	s_waitcnt vmcnt(10)
	v_mul_f64 v[110:111], v[106:107], v[68:69]
	v_mul_f64 v[68:69], v[108:109], v[68:69]
	v_add_f64 v[6:7], v[6:7], v[100:101]
	v_add_f64 v[2:3], v[2:3], v[98:99]
	ds_load_b128 v[98:101], v1 offset:352
	s_waitcnt vmcnt(9) lgkmcnt(1)
	v_mul_f64 v[116:117], v[62:63], v[72:73]
	v_mul_f64 v[72:73], v[64:65], v[72:73]
	v_fma_f64 v[108:109], v[108:109], v[66:67], v[110:111]
	v_fma_f64 v[66:67], v[106:107], v[66:67], -v[68:69]
	s_waitcnt vmcnt(8) lgkmcnt(0)
	v_mul_f64 v[106:107], v[98:99], v[76:77]
	v_mul_f64 v[76:77], v[100:101], v[76:77]
	v_add_f64 v[6:7], v[6:7], v[112:113]
	v_add_f64 v[2:3], v[2:3], v[114:115]
	v_fma_f64 v[110:111], v[64:65], v[70:71], v[116:117]
	v_fma_f64 v[70:71], v[62:63], v[70:71], -v[72:73]
	v_fma_f64 v[100:101], v[100:101], v[74:75], v[106:107]
	v_fma_f64 v[74:75], v[98:99], v[74:75], -v[76:77]
	v_add_f64 v[6:7], v[6:7], v[108:109]
	v_add_f64 v[2:3], v[2:3], v[66:67]
	ds_load_b128 v[62:65], v1 offset:368
	ds_load_b128 v[66:69], v1 offset:384
	s_waitcnt vmcnt(7) lgkmcnt(1)
	v_mul_f64 v[72:73], v[62:63], v[80:81]
	v_mul_f64 v[80:81], v[64:65], v[80:81]
	s_waitcnt vmcnt(6) lgkmcnt(0)
	v_mul_f64 v[76:77], v[66:67], v[84:85]
	v_mul_f64 v[84:85], v[68:69], v[84:85]
	v_add_f64 v[6:7], v[6:7], v[110:111]
	v_add_f64 v[2:3], v[2:3], v[70:71]
	v_fma_f64 v[98:99], v[64:65], v[78:79], v[72:73]
	v_fma_f64 v[78:79], v[62:63], v[78:79], -v[80:81]
	ds_load_b128 v[62:65], v1 offset:400
	ds_load_b128 v[70:73], v1 offset:416
	v_fma_f64 v[68:69], v[68:69], v[82:83], v[76:77]
	v_fma_f64 v[66:67], v[66:67], v[82:83], -v[84:85]
	v_add_f64 v[6:7], v[6:7], v[100:101]
	v_add_f64 v[2:3], v[2:3], v[74:75]
	s_waitcnt vmcnt(5) lgkmcnt(1)
	v_mul_f64 v[74:75], v[62:63], v[92:93]
	v_mul_f64 v[80:81], v[64:65], v[92:93]
	s_delay_alu instid0(VALU_DEP_4) | instskip(NEXT) | instid1(VALU_DEP_4)
	v_add_f64 v[6:7], v[6:7], v[98:99]
	v_add_f64 v[2:3], v[2:3], v[78:79]
	s_delay_alu instid0(VALU_DEP_4) | instskip(NEXT) | instid1(VALU_DEP_4)
	v_fma_f64 v[74:75], v[64:65], v[90:91], v[74:75]
	v_fma_f64 v[78:79], v[62:63], v[90:91], -v[80:81]
	s_waitcnt vmcnt(3) lgkmcnt(0)
	v_mul_f64 v[76:77], v[70:71], v[10:11]
	v_mul_f64 v[10:11], v[72:73], v[10:11]
	v_add_f64 v[6:7], v[6:7], v[68:69]
	v_add_f64 v[2:3], v[2:3], v[66:67]
	ds_load_b128 v[62:65], v1 offset:432
	ds_load_b128 v[66:69], v1 offset:448
	v_fma_f64 v[72:73], v[72:73], v[8:9], v[76:77]
	v_fma_f64 v[8:9], v[70:71], v[8:9], -v[10:11]
	s_waitcnt vmcnt(2) lgkmcnt(1)
	v_mul_f64 v[80:81], v[62:63], v[104:105]
	v_mul_f64 v[82:83], v[64:65], v[104:105]
	v_add_f64 v[6:7], v[6:7], v[74:75]
	v_add_f64 v[2:3], v[2:3], v[78:79]
	s_waitcnt vmcnt(1) lgkmcnt(0)
	v_mul_f64 v[10:11], v[66:67], v[60:61]
	v_mul_f64 v[60:61], v[68:69], v[60:61]
	v_fma_f64 v[64:65], v[64:65], v[102:103], v[80:81]
	v_fma_f64 v[62:63], v[62:63], v[102:103], -v[82:83]
	v_add_f64 v[70:71], v[6:7], v[72:73]
	v_add_f64 v[2:3], v[2:3], v[8:9]
	ds_load_b128 v[6:9], v1 offset:464
	v_fma_f64 v[10:11], v[68:69], v[58:59], v[10:11]
	v_fma_f64 v[58:59], v[66:67], v[58:59], -v[60:61]
	s_waitcnt vmcnt(0) lgkmcnt(0)
	v_mul_f64 v[72:73], v[6:7], v[88:89]
	v_mul_f64 v[74:75], v[8:9], v[88:89]
	v_add_f64 v[60:61], v[70:71], v[64:65]
	v_add_f64 v[2:3], v[2:3], v[62:63]
	s_delay_alu instid0(VALU_DEP_4) | instskip(NEXT) | instid1(VALU_DEP_4)
	v_fma_f64 v[8:9], v[8:9], v[86:87], v[72:73]
	v_fma_f64 v[6:7], v[6:7], v[86:87], -v[74:75]
	s_delay_alu instid0(VALU_DEP_4) | instskip(NEXT) | instid1(VALU_DEP_4)
	v_add_f64 v[10:11], v[60:61], v[10:11]
	v_add_f64 v[2:3], v[2:3], v[58:59]
	s_delay_alu instid0(VALU_DEP_2) | instskip(NEXT) | instid1(VALU_DEP_2)
	v_add_f64 v[8:9], v[10:11], v[8:9]
	v_add_f64 v[2:3], v[2:3], v[6:7]
	s_delay_alu instid0(VALU_DEP_2) | instskip(NEXT) | instid1(VALU_DEP_2)
	v_add_f64 v[8:9], v[96:97], -v[8:9]
	v_add_f64 v[6:7], v[94:95], -v[2:3]
	scratch_store_b128 off, v[6:9], off offset:16
	v_cmpx_ne_u32_e32 0, v43
	s_cbranch_execz .LBB14_103
; %bb.102:
	scratch_load_b128 v[6:9], off, off
	v_mov_b32_e32 v2, v1
	v_mov_b32_e32 v3, v1
	;; [unrolled: 1-line block ×3, first 2 shown]
	scratch_store_b128 off, v[1:4], off
	s_waitcnt vmcnt(0)
	ds_store_b128 v5, v[6:9]
.LBB14_103:
	s_or_b32 exec_lo, exec_lo, s2
	s_waitcnt lgkmcnt(0)
	s_waitcnt_vscnt null, 0x0
	s_barrier
	buffer_gl0_inv
	s_clause 0x8
	scratch_load_b128 v[2:5], off, off offset:16
	scratch_load_b128 v[6:9], off, off offset:32
	;; [unrolled: 1-line block ×9, first 2 shown]
	ds_load_b128 v[86:89], v1 offset:256
	ds_load_b128 v[90:93], v1 offset:272
	s_clause 0x1
	scratch_load_b128 v[94:97], off, off
	scratch_load_b128 v[98:101], off, off offset:160
	s_and_b32 vcc_lo, exec_lo, s20
	s_waitcnt vmcnt(10) lgkmcnt(1)
	v_mul_f64 v[10:11], v[88:89], v[4:5]
	v_mul_f64 v[4:5], v[86:87], v[4:5]
	s_waitcnt vmcnt(9) lgkmcnt(0)
	v_mul_f64 v[102:103], v[90:91], v[8:9]
	v_mul_f64 v[104:105], v[92:93], v[8:9]
	s_delay_alu instid0(VALU_DEP_4) | instskip(NEXT) | instid1(VALU_DEP_4)
	v_fma_f64 v[106:107], v[86:87], v[2:3], -v[10:11]
	v_fma_f64 v[108:109], v[88:89], v[2:3], v[4:5]
	ds_load_b128 v[2:5], v1 offset:288
	ds_load_b128 v[86:89], v1 offset:304
	scratch_load_b128 v[8:11], off, off offset:176
	v_fma_f64 v[102:103], v[92:93], v[6:7], v[102:103]
	v_fma_f64 v[6:7], v[90:91], v[6:7], -v[104:105]
	scratch_load_b128 v[90:93], off, off offset:192
	s_waitcnt vmcnt(10) lgkmcnt(1)
	v_mul_f64 v[110:111], v[2:3], v[60:61]
	v_mul_f64 v[60:61], v[4:5], v[60:61]
	v_add_f64 v[104:105], v[106:107], 0
	v_add_f64 v[106:107], v[108:109], 0
	s_waitcnt vmcnt(9) lgkmcnt(0)
	v_mul_f64 v[108:109], v[86:87], v[64:65]
	v_mul_f64 v[64:65], v[88:89], v[64:65]
	v_fma_f64 v[110:111], v[4:5], v[58:59], v[110:111]
	v_fma_f64 v[112:113], v[2:3], v[58:59], -v[60:61]
	ds_load_b128 v[2:5], v1 offset:320
	scratch_load_b128 v[58:61], off, off offset:208
	v_add_f64 v[6:7], v[104:105], v[6:7]
	v_add_f64 v[106:107], v[106:107], v[102:103]
	ds_load_b128 v[102:105], v1 offset:336
	v_fma_f64 v[88:89], v[88:89], v[62:63], v[108:109]
	v_fma_f64 v[86:87], v[86:87], v[62:63], -v[64:65]
	scratch_load_b128 v[62:65], off, off offset:224
	s_waitcnt vmcnt(10) lgkmcnt(1)
	v_mul_f64 v[114:115], v[2:3], v[68:69]
	v_mul_f64 v[68:69], v[4:5], v[68:69]
	s_waitcnt vmcnt(9) lgkmcnt(0)
	v_mul_f64 v[108:109], v[102:103], v[72:73]
	v_mul_f64 v[72:73], v[104:105], v[72:73]
	v_add_f64 v[6:7], v[6:7], v[112:113]
	v_add_f64 v[106:107], v[106:107], v[110:111]
	v_fma_f64 v[110:111], v[4:5], v[66:67], v[114:115]
	v_fma_f64 v[112:113], v[2:3], v[66:67], -v[68:69]
	ds_load_b128 v[2:5], v1 offset:352
	ds_load_b128 v[66:69], v1 offset:368
	v_fma_f64 v[104:105], v[104:105], v[70:71], v[108:109]
	v_fma_f64 v[70:71], v[102:103], v[70:71], -v[72:73]
	v_add_f64 v[6:7], v[6:7], v[86:87]
	v_add_f64 v[86:87], v[106:107], v[88:89]
	s_waitcnt vmcnt(8) lgkmcnt(1)
	v_mul_f64 v[88:89], v[2:3], v[76:77]
	v_mul_f64 v[76:77], v[4:5], v[76:77]
	s_delay_alu instid0(VALU_DEP_4) | instskip(NEXT) | instid1(VALU_DEP_4)
	v_add_f64 v[6:7], v[6:7], v[112:113]
	v_add_f64 v[72:73], v[86:87], v[110:111]
	s_waitcnt vmcnt(7) lgkmcnt(0)
	v_mul_f64 v[86:87], v[66:67], v[80:81]
	v_mul_f64 v[80:81], v[68:69], v[80:81]
	v_fma_f64 v[88:89], v[4:5], v[74:75], v[88:89]
	v_fma_f64 v[74:75], v[2:3], v[74:75], -v[76:77]
	v_add_f64 v[6:7], v[6:7], v[70:71]
	v_add_f64 v[76:77], v[72:73], v[104:105]
	ds_load_b128 v[2:5], v1 offset:384
	ds_load_b128 v[70:73], v1 offset:400
	v_fma_f64 v[68:69], v[68:69], v[78:79], v[86:87]
	v_fma_f64 v[66:67], v[66:67], v[78:79], -v[80:81]
	s_waitcnt vmcnt(6) lgkmcnt(1)
	v_mul_f64 v[102:103], v[2:3], v[84:85]
	v_mul_f64 v[84:85], v[4:5], v[84:85]
	s_waitcnt vmcnt(4) lgkmcnt(0)
	v_mul_f64 v[78:79], v[72:73], v[100:101]
	v_add_f64 v[6:7], v[6:7], v[74:75]
	v_add_f64 v[74:75], v[76:77], v[88:89]
	v_mul_f64 v[76:77], v[70:71], v[100:101]
	v_fma_f64 v[80:81], v[4:5], v[82:83], v[102:103]
	v_fma_f64 v[82:83], v[2:3], v[82:83], -v[84:85]
	v_fma_f64 v[70:71], v[70:71], v[98:99], -v[78:79]
	v_add_f64 v[6:7], v[6:7], v[66:67]
	v_add_f64 v[74:75], v[74:75], v[68:69]
	ds_load_b128 v[2:5], v1 offset:416
	ds_load_b128 v[66:69], v1 offset:432
	v_fma_f64 v[72:73], v[72:73], v[98:99], v[76:77]
	s_waitcnt vmcnt(3) lgkmcnt(1)
	v_mul_f64 v[84:85], v[2:3], v[10:11]
	v_mul_f64 v[10:11], v[4:5], v[10:11]
	s_waitcnt vmcnt(2) lgkmcnt(0)
	v_mul_f64 v[76:77], v[66:67], v[92:93]
	v_mul_f64 v[78:79], v[68:69], v[92:93]
	v_add_f64 v[6:7], v[6:7], v[82:83]
	v_add_f64 v[74:75], v[74:75], v[80:81]
	v_fma_f64 v[80:81], v[4:5], v[8:9], v[84:85]
	v_fma_f64 v[10:11], v[2:3], v[8:9], -v[10:11]
	v_fma_f64 v[68:69], v[68:69], v[90:91], v[76:77]
	v_fma_f64 v[66:67], v[66:67], v[90:91], -v[78:79]
	v_add_f64 v[70:71], v[6:7], v[70:71]
	v_add_f64 v[72:73], v[74:75], v[72:73]
	ds_load_b128 v[2:5], v1 offset:448
	ds_load_b128 v[6:9], v1 offset:464
	s_waitcnt vmcnt(1) lgkmcnt(1)
	v_mul_f64 v[74:75], v[2:3], v[60:61]
	v_mul_f64 v[60:61], v[4:5], v[60:61]
	v_add_f64 v[10:11], v[70:71], v[10:11]
	v_add_f64 v[70:71], v[72:73], v[80:81]
	s_waitcnt vmcnt(0) lgkmcnt(0)
	v_mul_f64 v[72:73], v[6:7], v[64:65]
	v_mul_f64 v[64:65], v[8:9], v[64:65]
	v_fma_f64 v[4:5], v[4:5], v[58:59], v[74:75]
	v_fma_f64 v[1:2], v[2:3], v[58:59], -v[60:61]
	v_add_f64 v[10:11], v[10:11], v[66:67]
	v_add_f64 v[58:59], v[70:71], v[68:69]
	v_fma_f64 v[8:9], v[8:9], v[62:63], v[72:73]
	v_fma_f64 v[6:7], v[6:7], v[62:63], -v[64:65]
	s_delay_alu instid0(VALU_DEP_4) | instskip(NEXT) | instid1(VALU_DEP_4)
	v_add_f64 v[1:2], v[10:11], v[1:2]
	v_add_f64 v[3:4], v[58:59], v[4:5]
	s_delay_alu instid0(VALU_DEP_2) | instskip(NEXT) | instid1(VALU_DEP_2)
	v_add_f64 v[1:2], v[1:2], v[6:7]
	v_add_f64 v[3:4], v[3:4], v[8:9]
	s_delay_alu instid0(VALU_DEP_2) | instskip(NEXT) | instid1(VALU_DEP_2)
	v_add_f64 v[1:2], v[94:95], -v[1:2]
	v_add_f64 v[3:4], v[96:97], -v[3:4]
	scratch_store_b128 off, v[1:4], off
	s_cbranch_vccz .LBB14_133
; %bb.104:
	v_dual_mov_b32 v1, s16 :: v_dual_mov_b32 v2, s17
	s_load_b64 s[0:1], s[0:1], 0x4
	flat_load_b32 v1, v[1:2] offset:52
	v_bfe_u32 v2, v0, 10, 10
	v_bfe_u32 v0, v0, 20, 10
	s_waitcnt lgkmcnt(0)
	s_lshr_b32 s0, s0, 16
	s_delay_alu instid0(VALU_DEP_2) | instskip(SKIP_1) | instid1(SALU_CYCLE_1)
	v_mul_u32_u24_e32 v2, s1, v2
	s_mul_i32 s0, s0, s1
	v_mul_u32_u24_e32 v3, s0, v43
	s_mov_b32 s0, exec_lo
	s_delay_alu instid0(VALU_DEP_1) | instskip(NEXT) | instid1(VALU_DEP_1)
	v_add3_u32 v0, v3, v2, v0
	v_lshl_add_u32 v0, v0, 4, 0x1e8
	s_waitcnt vmcnt(0)
	v_cmpx_ne_u32_e32 14, v1
	s_cbranch_execz .LBB14_106
; %bb.105:
	v_lshl_add_u32 v9, v1, 4, 0
	s_clause 0x1
	scratch_load_b128 v[1:4], v57, off
	scratch_load_b128 v[5:8], v9, off offset:-16
	s_waitcnt vmcnt(1)
	ds_store_2addr_b64 v0, v[1:2], v[3:4] offset1:1
	s_waitcnt vmcnt(0)
	s_clause 0x1
	scratch_store_b128 v57, v[5:8], off
	scratch_store_b128 v9, v[1:4], off offset:-16
.LBB14_106:
	s_or_b32 exec_lo, exec_lo, s0
	v_dual_mov_b32 v1, s16 :: v_dual_mov_b32 v2, s17
	s_mov_b32 s0, exec_lo
	flat_load_b32 v1, v[1:2] offset:48
	s_waitcnt vmcnt(0) lgkmcnt(0)
	v_cmpx_ne_u32_e32 13, v1
	s_cbranch_execz .LBB14_108
; %bb.107:
	v_lshl_add_u32 v9, v1, 4, 0
	s_clause 0x1
	scratch_load_b128 v[1:4], v56, off
	scratch_load_b128 v[5:8], v9, off offset:-16
	s_waitcnt vmcnt(1)
	ds_store_2addr_b64 v0, v[1:2], v[3:4] offset1:1
	s_waitcnt vmcnt(0)
	s_clause 0x1
	scratch_store_b128 v56, v[5:8], off
	scratch_store_b128 v9, v[1:4], off offset:-16
.LBB14_108:
	s_or_b32 exec_lo, exec_lo, s0
	v_dual_mov_b32 v1, s16 :: v_dual_mov_b32 v2, s17
	s_mov_b32 s0, exec_lo
	flat_load_b32 v1, v[1:2] offset:44
	s_waitcnt vmcnt(0) lgkmcnt(0)
	v_cmpx_ne_u32_e32 12, v1
	s_cbranch_execz .LBB14_110
; %bb.109:
	v_lshl_add_u32 v9, v1, 4, 0
	s_clause 0x1
	scratch_load_b128 v[1:4], v53, off
	scratch_load_b128 v[5:8], v9, off offset:-16
	s_waitcnt vmcnt(1)
	ds_store_2addr_b64 v0, v[1:2], v[3:4] offset1:1
	s_waitcnt vmcnt(0)
	s_clause 0x1
	scratch_store_b128 v53, v[5:8], off
	scratch_store_b128 v9, v[1:4], off offset:-16
.LBB14_110:
	s_or_b32 exec_lo, exec_lo, s0
	v_dual_mov_b32 v1, s16 :: v_dual_mov_b32 v2, s17
	s_mov_b32 s0, exec_lo
	flat_load_b32 v1, v[1:2] offset:40
	s_waitcnt vmcnt(0) lgkmcnt(0)
	v_cmpx_ne_u32_e32 11, v1
	s_cbranch_execz .LBB14_112
; %bb.111:
	v_lshl_add_u32 v9, v1, 4, 0
	s_clause 0x1
	scratch_load_b128 v[1:4], v54, off
	scratch_load_b128 v[5:8], v9, off offset:-16
	s_waitcnt vmcnt(1)
	ds_store_2addr_b64 v0, v[1:2], v[3:4] offset1:1
	s_waitcnt vmcnt(0)
	s_clause 0x1
	scratch_store_b128 v54, v[5:8], off
	scratch_store_b128 v9, v[1:4], off offset:-16
.LBB14_112:
	s_or_b32 exec_lo, exec_lo, s0
	v_dual_mov_b32 v1, s16 :: v_dual_mov_b32 v2, s17
	s_mov_b32 s0, exec_lo
	flat_load_b32 v1, v[1:2] offset:36
	s_waitcnt vmcnt(0) lgkmcnt(0)
	v_cmpx_ne_u32_e32 10, v1
	s_cbranch_execz .LBB14_114
; %bb.113:
	v_lshl_add_u32 v9, v1, 4, 0
	s_clause 0x1
	scratch_load_b128 v[1:4], v51, off
	scratch_load_b128 v[5:8], v9, off offset:-16
	s_waitcnt vmcnt(1)
	ds_store_2addr_b64 v0, v[1:2], v[3:4] offset1:1
	s_waitcnt vmcnt(0)
	s_clause 0x1
	scratch_store_b128 v51, v[5:8], off
	scratch_store_b128 v9, v[1:4], off offset:-16
.LBB14_114:
	s_or_b32 exec_lo, exec_lo, s0
	v_dual_mov_b32 v1, s16 :: v_dual_mov_b32 v2, s17
	s_mov_b32 s0, exec_lo
	flat_load_b32 v1, v[1:2] offset:32
	s_waitcnt vmcnt(0) lgkmcnt(0)
	v_cmpx_ne_u32_e32 9, v1
	s_cbranch_execz .LBB14_116
; %bb.115:
	v_lshl_add_u32 v9, v1, 4, 0
	s_clause 0x1
	scratch_load_b128 v[1:4], v52, off
	scratch_load_b128 v[5:8], v9, off offset:-16
	s_waitcnt vmcnt(1)
	ds_store_2addr_b64 v0, v[1:2], v[3:4] offset1:1
	s_waitcnt vmcnt(0)
	s_clause 0x1
	scratch_store_b128 v52, v[5:8], off
	scratch_store_b128 v9, v[1:4], off offset:-16
.LBB14_116:
	s_or_b32 exec_lo, exec_lo, s0
	v_dual_mov_b32 v1, s16 :: v_dual_mov_b32 v2, s17
	s_mov_b32 s0, exec_lo
	flat_load_b32 v1, v[1:2] offset:28
	s_waitcnt vmcnt(0) lgkmcnt(0)
	v_cmpx_ne_u32_e32 8, v1
	s_cbranch_execz .LBB14_118
; %bb.117:
	v_lshl_add_u32 v9, v1, 4, 0
	s_clause 0x1
	scratch_load_b128 v[1:4], v49, off
	scratch_load_b128 v[5:8], v9, off offset:-16
	s_waitcnt vmcnt(1)
	ds_store_2addr_b64 v0, v[1:2], v[3:4] offset1:1
	s_waitcnt vmcnt(0)
	s_clause 0x1
	scratch_store_b128 v49, v[5:8], off
	scratch_store_b128 v9, v[1:4], off offset:-16
.LBB14_118:
	s_or_b32 exec_lo, exec_lo, s0
	v_dual_mov_b32 v1, s16 :: v_dual_mov_b32 v2, s17
	s_mov_b32 s0, exec_lo
	flat_load_b32 v1, v[1:2] offset:24
	s_waitcnt vmcnt(0) lgkmcnt(0)
	v_cmpx_ne_u32_e32 7, v1
	s_cbranch_execz .LBB14_120
; %bb.119:
	v_lshl_add_u32 v9, v1, 4, 0
	s_clause 0x1
	scratch_load_b128 v[1:4], v50, off
	scratch_load_b128 v[5:8], v9, off offset:-16
	s_waitcnt vmcnt(1)
	ds_store_2addr_b64 v0, v[1:2], v[3:4] offset1:1
	s_waitcnt vmcnt(0)
	s_clause 0x1
	scratch_store_b128 v50, v[5:8], off
	scratch_store_b128 v9, v[1:4], off offset:-16
.LBB14_120:
	s_or_b32 exec_lo, exec_lo, s0
	v_dual_mov_b32 v1, s16 :: v_dual_mov_b32 v2, s17
	s_mov_b32 s0, exec_lo
	flat_load_b32 v1, v[1:2] offset:20
	s_waitcnt vmcnt(0) lgkmcnt(0)
	v_cmpx_ne_u32_e32 6, v1
	s_cbranch_execz .LBB14_122
; %bb.121:
	v_lshl_add_u32 v9, v1, 4, 0
	s_clause 0x1
	scratch_load_b128 v[1:4], v46, off
	scratch_load_b128 v[5:8], v9, off offset:-16
	s_waitcnt vmcnt(1)
	ds_store_2addr_b64 v0, v[1:2], v[3:4] offset1:1
	s_waitcnt vmcnt(0)
	s_clause 0x1
	scratch_store_b128 v46, v[5:8], off
	scratch_store_b128 v9, v[1:4], off offset:-16
.LBB14_122:
	s_or_b32 exec_lo, exec_lo, s0
	v_dual_mov_b32 v1, s16 :: v_dual_mov_b32 v2, s17
	s_mov_b32 s0, exec_lo
	flat_load_b32 v1, v[1:2] offset:16
	s_waitcnt vmcnt(0) lgkmcnt(0)
	v_cmpx_ne_u32_e32 5, v1
	s_cbranch_execz .LBB14_124
; %bb.123:
	v_lshl_add_u32 v9, v1, 4, 0
	s_clause 0x1
	scratch_load_b128 v[1:4], v48, off
	scratch_load_b128 v[5:8], v9, off offset:-16
	s_waitcnt vmcnt(1)
	ds_store_2addr_b64 v0, v[1:2], v[3:4] offset1:1
	s_waitcnt vmcnt(0)
	s_clause 0x1
	scratch_store_b128 v48, v[5:8], off
	scratch_store_b128 v9, v[1:4], off offset:-16
.LBB14_124:
	s_or_b32 exec_lo, exec_lo, s0
	v_dual_mov_b32 v1, s16 :: v_dual_mov_b32 v2, s17
	s_mov_b32 s0, exec_lo
	flat_load_b32 v1, v[1:2] offset:12
	s_waitcnt vmcnt(0) lgkmcnt(0)
	v_cmpx_ne_u32_e32 4, v1
	s_cbranch_execz .LBB14_126
; %bb.125:
	v_lshl_add_u32 v9, v1, 4, 0
	s_clause 0x1
	scratch_load_b128 v[1:4], v44, off
	scratch_load_b128 v[5:8], v9, off offset:-16
	s_waitcnt vmcnt(1)
	ds_store_2addr_b64 v0, v[1:2], v[3:4] offset1:1
	s_waitcnt vmcnt(0)
	s_clause 0x1
	scratch_store_b128 v44, v[5:8], off
	scratch_store_b128 v9, v[1:4], off offset:-16
.LBB14_126:
	s_or_b32 exec_lo, exec_lo, s0
	v_dual_mov_b32 v1, s16 :: v_dual_mov_b32 v2, s17
	s_mov_b32 s0, exec_lo
	flat_load_b32 v1, v[1:2] offset:8
	s_waitcnt vmcnt(0) lgkmcnt(0)
	v_cmpx_ne_u32_e32 3, v1
	s_cbranch_execz .LBB14_128
; %bb.127:
	v_lshl_add_u32 v9, v1, 4, 0
	s_clause 0x1
	scratch_load_b128 v[1:4], v47, off
	scratch_load_b128 v[5:8], v9, off offset:-16
	s_waitcnt vmcnt(1)
	ds_store_2addr_b64 v0, v[1:2], v[3:4] offset1:1
	s_waitcnt vmcnt(0)
	s_clause 0x1
	scratch_store_b128 v47, v[5:8], off
	scratch_store_b128 v9, v[1:4], off offset:-16
.LBB14_128:
	s_or_b32 exec_lo, exec_lo, s0
	v_dual_mov_b32 v1, s16 :: v_dual_mov_b32 v2, s17
	s_mov_b32 s0, exec_lo
	flat_load_b32 v1, v[1:2] offset:4
	s_waitcnt vmcnt(0) lgkmcnt(0)
	v_cmpx_ne_u32_e32 2, v1
	s_cbranch_execz .LBB14_130
; %bb.129:
	v_lshl_add_u32 v9, v1, 4, 0
	s_clause 0x1
	scratch_load_b128 v[1:4], v45, off
	scratch_load_b128 v[5:8], v9, off offset:-16
	s_waitcnt vmcnt(1)
	ds_store_2addr_b64 v0, v[1:2], v[3:4] offset1:1
	s_waitcnt vmcnt(0)
	s_clause 0x1
	scratch_store_b128 v45, v[5:8], off
	scratch_store_b128 v9, v[1:4], off offset:-16
.LBB14_130:
	s_or_b32 exec_lo, exec_lo, s0
	v_dual_mov_b32 v1, s16 :: v_dual_mov_b32 v2, s17
	s_mov_b32 s0, exec_lo
	flat_load_b32 v1, v[1:2]
	s_waitcnt vmcnt(0) lgkmcnt(0)
	v_cmpx_ne_u32_e32 1, v1
	s_cbranch_execz .LBB14_132
; %bb.131:
	v_lshl_add_u32 v9, v1, 4, 0
	scratch_load_b128 v[1:4], off, off
	scratch_load_b128 v[5:8], v9, off offset:-16
	s_waitcnt vmcnt(1)
	ds_store_2addr_b64 v0, v[1:2], v[3:4] offset1:1
	s_waitcnt vmcnt(0)
	scratch_store_b128 off, v[5:8], off
	scratch_store_b128 v9, v[1:4], off offset:-16
.LBB14_132:
	s_or_b32 exec_lo, exec_lo, s0
.LBB14_133:
	scratch_load_b128 v[0:3], off, off
	s_clause 0xd
	scratch_load_b128 v[4:7], v45, off
	scratch_load_b128 v[8:11], v47, off
	;; [unrolled: 1-line block ×14, first 2 shown]
	s_waitcnt vmcnt(14)
	global_store_b128 v[13:14], v[0:3], off
	s_waitcnt vmcnt(13)
	global_store_b128 v[15:16], v[4:7], off
	;; [unrolled: 2-line block ×15, first 2 shown]
	s_endpgm
	.section	.rodata,"a",@progbits
	.p2align	6, 0x0
	.amdhsa_kernel _ZN9rocsolver6v33100L18getri_kernel_smallILi15E19rocblas_complex_numIdEPS3_EEvT1_iilPiilS6_bb
		.amdhsa_group_segment_fixed_size 1512
		.amdhsa_private_segment_fixed_size 256
		.amdhsa_kernarg_size 60
		.amdhsa_user_sgpr_count 15
		.amdhsa_user_sgpr_dispatch_ptr 1
		.amdhsa_user_sgpr_queue_ptr 0
		.amdhsa_user_sgpr_kernarg_segment_ptr 1
		.amdhsa_user_sgpr_dispatch_id 0
		.amdhsa_user_sgpr_private_segment_size 0
		.amdhsa_wavefront_size32 1
		.amdhsa_uses_dynamic_stack 0
		.amdhsa_enable_private_segment 1
		.amdhsa_system_sgpr_workgroup_id_x 1
		.amdhsa_system_sgpr_workgroup_id_y 0
		.amdhsa_system_sgpr_workgroup_id_z 0
		.amdhsa_system_sgpr_workgroup_info 0
		.amdhsa_system_vgpr_workitem_id 2
		.amdhsa_next_free_vgpr 118
		.amdhsa_next_free_sgpr 22
		.amdhsa_reserve_vcc 1
		.amdhsa_float_round_mode_32 0
		.amdhsa_float_round_mode_16_64 0
		.amdhsa_float_denorm_mode_32 3
		.amdhsa_float_denorm_mode_16_64 3
		.amdhsa_dx10_clamp 1
		.amdhsa_ieee_mode 1
		.amdhsa_fp16_overflow 0
		.amdhsa_workgroup_processor_mode 1
		.amdhsa_memory_ordered 1
		.amdhsa_forward_progress 0
		.amdhsa_shared_vgpr_count 0
		.amdhsa_exception_fp_ieee_invalid_op 0
		.amdhsa_exception_fp_denorm_src 0
		.amdhsa_exception_fp_ieee_div_zero 0
		.amdhsa_exception_fp_ieee_overflow 0
		.amdhsa_exception_fp_ieee_underflow 0
		.amdhsa_exception_fp_ieee_inexact 0
		.amdhsa_exception_int_div_zero 0
	.end_amdhsa_kernel
	.section	.text._ZN9rocsolver6v33100L18getri_kernel_smallILi15E19rocblas_complex_numIdEPS3_EEvT1_iilPiilS6_bb,"axG",@progbits,_ZN9rocsolver6v33100L18getri_kernel_smallILi15E19rocblas_complex_numIdEPS3_EEvT1_iilPiilS6_bb,comdat
.Lfunc_end14:
	.size	_ZN9rocsolver6v33100L18getri_kernel_smallILi15E19rocblas_complex_numIdEPS3_EEvT1_iilPiilS6_bb, .Lfunc_end14-_ZN9rocsolver6v33100L18getri_kernel_smallILi15E19rocblas_complex_numIdEPS3_EEvT1_iilPiilS6_bb
                                        ; -- End function
	.section	.AMDGPU.csdata,"",@progbits
; Kernel info:
; codeLenInByte = 16856
; NumSgprs: 24
; NumVgprs: 118
; ScratchSize: 256
; MemoryBound: 0
; FloatMode: 240
; IeeeMode: 1
; LDSByteSize: 1512 bytes/workgroup (compile time only)
; SGPRBlocks: 2
; VGPRBlocks: 14
; NumSGPRsForWavesPerEU: 24
; NumVGPRsForWavesPerEU: 118
; Occupancy: 12
; WaveLimiterHint : 1
; COMPUTE_PGM_RSRC2:SCRATCH_EN: 1
; COMPUTE_PGM_RSRC2:USER_SGPR: 15
; COMPUTE_PGM_RSRC2:TRAP_HANDLER: 0
; COMPUTE_PGM_RSRC2:TGID_X_EN: 1
; COMPUTE_PGM_RSRC2:TGID_Y_EN: 0
; COMPUTE_PGM_RSRC2:TGID_Z_EN: 0
; COMPUTE_PGM_RSRC2:TIDIG_COMP_CNT: 2
	.section	.text._ZN9rocsolver6v33100L18getri_kernel_smallILi16E19rocblas_complex_numIdEPS3_EEvT1_iilPiilS6_bb,"axG",@progbits,_ZN9rocsolver6v33100L18getri_kernel_smallILi16E19rocblas_complex_numIdEPS3_EEvT1_iilPiilS6_bb,comdat
	.globl	_ZN9rocsolver6v33100L18getri_kernel_smallILi16E19rocblas_complex_numIdEPS3_EEvT1_iilPiilS6_bb ; -- Begin function _ZN9rocsolver6v33100L18getri_kernel_smallILi16E19rocblas_complex_numIdEPS3_EEvT1_iilPiilS6_bb
	.p2align	8
	.type	_ZN9rocsolver6v33100L18getri_kernel_smallILi16E19rocblas_complex_numIdEPS3_EEvT1_iilPiilS6_bb,@function
_ZN9rocsolver6v33100L18getri_kernel_smallILi16E19rocblas_complex_numIdEPS3_EEvT1_iilPiilS6_bb: ; @_ZN9rocsolver6v33100L18getri_kernel_smallILi16E19rocblas_complex_numIdEPS3_EEvT1_iilPiilS6_bb
; %bb.0:
	v_and_b32_e32 v45, 0x3ff, v0
	s_mov_b32 s4, exec_lo
	s_delay_alu instid0(VALU_DEP_1)
	v_cmpx_gt_u32_e32 16, v45
	s_cbranch_execz .LBB15_78
; %bb.1:
	s_mov_b32 s18, s15
	s_clause 0x2
	s_load_b32 s21, s[2:3], 0x38
	s_load_b128 s[12:15], s[2:3], 0x10
	s_load_b128 s[4:7], s[2:3], 0x28
                                        ; implicit-def: $sgpr16_sgpr17
	s_waitcnt lgkmcnt(0)
	s_bitcmp1_b32 s21, 8
	s_cselect_b32 s20, -1, 0
	s_bfe_u32 s8, s21, 0x10008
	s_ashr_i32 s19, s18, 31
	s_cmp_eq_u32 s8, 0
	s_cbranch_scc1 .LBB15_3
; %bb.2:
	s_load_b32 s8, s[2:3], 0x20
	s_mul_i32 s5, s18, s5
	s_mul_hi_u32 s9, s18, s4
	s_mul_i32 s10, s19, s4
	s_add_i32 s5, s9, s5
	s_mul_i32 s4, s18, s4
	s_add_i32 s5, s5, s10
	s_delay_alu instid0(SALU_CYCLE_1)
	s_lshl_b64 s[4:5], s[4:5], 2
	s_waitcnt lgkmcnt(0)
	s_ashr_i32 s9, s8, 31
	s_add_u32 s10, s14, s4
	s_addc_u32 s11, s15, s5
	s_lshl_b64 s[4:5], s[8:9], 2
	s_delay_alu instid0(SALU_CYCLE_1)
	s_add_u32 s16, s10, s4
	s_addc_u32 s17, s11, s5
.LBB15_3:
	s_load_b128 s[8:11], s[2:3], 0x0
	s_mul_i32 s2, s18, s13
	s_mul_hi_u32 s3, s18, s12
	s_mul_i32 s4, s19, s12
	s_add_i32 s3, s3, s2
	s_mul_i32 s2, s18, s12
	s_add_i32 s3, s3, s4
	v_lshlrev_b32_e32 v61, 4, v45
	s_lshl_b64 s[2:3], s[2:3], 4
	v_add_nc_u32_e64 v49, 0, 16
	s_waitcnt lgkmcnt(0)
	v_add3_u32 v5, s11, s11, v45
	s_ashr_i32 s5, s10, 31
	s_mov_b32 s4, s10
	s_add_u32 s8, s8, s2
	s_addc_u32 s9, s9, s3
	v_add_nc_u32_e32 v7, s11, v5
	s_lshl_b64 s[2:3], s[4:5], 4
	v_ashrrev_i32_e32 v6, 31, v5
	s_add_u32 s2, s8, s2
	s_addc_u32 s3, s9, s3
	v_add_nc_u32_e32 v9, s11, v7
	v_add_co_u32 v13, s8, s2, v61
	v_ashrrev_i32_e32 v8, 31, v7
	s_mov_b32 s4, s11
	s_delay_alu instid0(VALU_DEP_3)
	v_add_nc_u32_e32 v21, s11, v9
	s_ashr_i32 s5, s11, 31
	v_add_co_ci_u32_e64 v14, null, s3, 0, s8
	v_lshlrev_b64 v[5:6], 4, v[5:6]
	s_lshl_b64 s[4:5], s[4:5], 4
	v_ashrrev_i32_e32 v10, 31, v9
	v_add_nc_u32_e32 v25, s11, v21
	v_add_co_u32 v15, vcc_lo, v13, s4
	v_lshlrev_b64 v[19:20], 4, v[7:8]
	v_ashrrev_i32_e32 v22, 31, v21
	v_add_co_ci_u32_e32 v16, vcc_lo, s5, v14, vcc_lo
	v_add_co_u32 v17, vcc_lo, s2, v5
	v_lshlrev_b64 v[23:24], 4, v[9:10]
	v_add_nc_u32_e32 v29, s11, v25
	v_add_co_ci_u32_e32 v18, vcc_lo, s3, v6, vcc_lo
	v_add_co_u32 v19, vcc_lo, s2, v19
	v_lshlrev_b64 v[27:28], 4, v[21:22]
	v_add_co_ci_u32_e32 v20, vcc_lo, s3, v20, vcc_lo
	v_add_co_u32 v21, vcc_lo, s2, v23
	v_ashrrev_i32_e32 v30, 31, v29
	v_add_nc_u32_e32 v31, s11, v29
	v_add_co_ci_u32_e32 v22, vcc_lo, s3, v24, vcc_lo
	v_add_co_u32 v23, vcc_lo, s2, v27
	v_add_co_ci_u32_e32 v24, vcc_lo, s3, v28, vcc_lo
	v_lshlrev_b64 v[27:28], 4, v[29:30]
	v_add_nc_u32_e32 v29, s11, v31
	v_ashrrev_i32_e32 v26, 31, v25
	v_ashrrev_i32_e32 v32, 31, v31
	s_clause 0x2
	global_load_b128 v[1:4], v61, s[2:3]
	global_load_b128 v[5:8], v[15:16], off
	global_load_b128 v[9:12], v[17:18], off
	v_add_nc_u32_e32 v33, s11, v29
	v_lshlrev_b64 v[25:26], 4, v[25:26]
	v_ashrrev_i32_e32 v30, 31, v29
	v_lshlrev_b64 v[31:32], 4, v[31:32]
	s_clause 0x1
	global_load_b128 v[50:53], v[19:20], off
	global_load_b128 v[54:57], v[21:22], off
	v_add_nc_u32_e32 v37, s11, v33
	v_ashrrev_i32_e32 v34, 31, v33
	v_add_co_u32 v25, vcc_lo, s2, v25
	v_add_co_ci_u32_e32 v26, vcc_lo, s3, v26, vcc_lo
	s_delay_alu instid0(VALU_DEP_4) | instskip(SKIP_3) | instid1(VALU_DEP_4)
	v_add_nc_u32_e32 v39, s11, v37
	v_add_co_u32 v27, vcc_lo, s2, v27
	v_lshlrev_b64 v[35:36], 4, v[29:30]
	v_add_co_ci_u32_e32 v28, vcc_lo, s3, v28, vcc_lo
	v_add_nc_u32_e32 v41, s11, v39
	v_add_co_u32 v29, vcc_lo, s2, v31
	v_ashrrev_i32_e32 v38, 31, v37
	v_add_co_ci_u32_e32 v30, vcc_lo, s3, v32, vcc_lo
	v_lshlrev_b64 v[33:34], 4, v[33:34]
	v_add_nc_u32_e32 v43, s11, v41
	v_add_co_u32 v31, vcc_lo, s2, v35
	v_ashrrev_i32_e32 v40, 31, v39
	v_add_co_ci_u32_e32 v32, vcc_lo, s3, v36, vcc_lo
	v_lshlrev_b64 v[35:36], 4, v[37:38]
	v_ashrrev_i32_e32 v42, 31, v41
	v_add_nc_u32_e32 v46, s11, v43
	v_add_co_u32 v33, vcc_lo, s2, v33
	v_lshlrev_b64 v[37:38], 4, v[39:40]
	v_ashrrev_i32_e32 v44, 31, v43
	v_add_co_ci_u32_e32 v34, vcc_lo, s3, v34, vcc_lo
	v_add_co_u32 v35, vcc_lo, s2, v35
	v_lshlrev_b64 v[39:40], 4, v[41:42]
	v_ashrrev_i32_e32 v47, 31, v46
	v_add_co_ci_u32_e32 v36, vcc_lo, s3, v36, vcc_lo
	v_add_co_u32 v37, vcc_lo, s2, v37
	v_lshlrev_b64 v[41:42], 4, v[43:44]
	v_add_co_ci_u32_e32 v38, vcc_lo, s3, v38, vcc_lo
	v_add_co_u32 v39, vcc_lo, s2, v39
	v_lshlrev_b64 v[43:44], 4, v[46:47]
	s_clause 0x1
	global_load_b128 v[62:65], v[23:24], off
	global_load_b128 v[66:69], v[25:26], off
	v_add_co_ci_u32_e32 v40, vcc_lo, s3, v40, vcc_lo
	v_add_co_u32 v41, vcc_lo, s2, v41
	v_add_co_ci_u32_e32 v42, vcc_lo, s3, v42, vcc_lo
	v_add_co_u32 v43, vcc_lo, s2, v43
	v_add_co_ci_u32_e32 v44, vcc_lo, s3, v44, vcc_lo
	s_clause 0x8
	global_load_b128 v[70:73], v[27:28], off
	global_load_b128 v[74:77], v[29:30], off
	;; [unrolled: 1-line block ×9, first 2 shown]
	s_movk_i32 s2, 0x50
	s_movk_i32 s3, 0x70
	v_add_nc_u32_e64 v48, s2, 0
	s_movk_i32 s2, 0x60
	v_add_nc_u32_e64 v47, 0, 32
	v_add_nc_u32_e64 v46, 0, 48
	s_bitcmp0_b32 s21, 0
	s_waitcnt vmcnt(15)
	scratch_store_b128 off, v[1:4], off
	s_waitcnt vmcnt(14)
	scratch_store_b128 off, v[5:8], off offset:16
	s_waitcnt vmcnt(13)
	scratch_store_b128 off, v[9:12], off offset:32
	;; [unrolled: 2-line block ×3, first 2 shown]
	v_add_nc_u32_e64 v52, s2, 0
	v_add_nc_u32_e64 v51, s3, 0
	s_movk_i32 s2, 0x80
	s_movk_i32 s3, 0x90
	s_waitcnt vmcnt(11)
	scratch_store_b128 off, v[54:57], off offset:64
	s_waitcnt vmcnt(10)
	scratch_store_b128 off, v[62:65], off offset:80
	v_add_nc_u32_e64 v54, s2, 0
	v_add_nc_u32_e64 v53, s3, 0
	s_movk_i32 s2, 0xa0
	s_movk_i32 s3, 0xb0
	v_add_nc_u32_e64 v56, s2, 0
	v_add_nc_u32_e64 v55, s3, 0
	s_movk_i32 s2, 0xc0
	s_movk_i32 s3, 0xd0
	;; [unrolled: 4-line block ×3, first 2 shown]
	v_add_nc_u32_e64 v50, 0, 64
	v_add_nc_u32_e64 v60, s2, 0
	;; [unrolled: 1-line block ×3, first 2 shown]
	s_mov_b32 s3, -1
	s_waitcnt vmcnt(9)
	scratch_store_b128 off, v[66:69], off offset:96
	s_waitcnt vmcnt(8)
	scratch_store_b128 off, v[70:73], off offset:112
	;; [unrolled: 2-line block ×10, first 2 shown]
	s_cbranch_scc1 .LBB15_76
; %bb.4:
	v_cmp_eq_u32_e64 s2, 0, v45
	s_delay_alu instid0(VALU_DEP_1)
	s_and_saveexec_b32 s3, s2
	s_cbranch_execz .LBB15_6
; %bb.5:
	v_mov_b32_e32 v1, 0
	ds_store_b32 v1, v1 offset:512
.LBB15_6:
	s_or_b32 exec_lo, exec_lo, s3
	s_waitcnt lgkmcnt(0)
	s_waitcnt_vscnt null, 0x0
	s_barrier
	buffer_gl0_inv
	scratch_load_b128 v[1:4], v61, off
	s_waitcnt vmcnt(0)
	v_cmp_eq_f64_e32 vcc_lo, 0, v[1:2]
	v_cmp_eq_f64_e64 s3, 0, v[3:4]
	s_delay_alu instid0(VALU_DEP_1) | instskip(NEXT) | instid1(SALU_CYCLE_1)
	s_and_b32 s3, vcc_lo, s3
	s_and_saveexec_b32 s4, s3
	s_cbranch_execz .LBB15_10
; %bb.7:
	v_mov_b32_e32 v1, 0
	s_mov_b32 s5, 0
	ds_load_b32 v2, v1 offset:512
	s_waitcnt lgkmcnt(0)
	v_readfirstlane_b32 s3, v2
	v_add_nc_u32_e32 v2, 1, v45
	s_delay_alu instid0(VALU_DEP_2) | instskip(NEXT) | instid1(VALU_DEP_1)
	s_cmp_eq_u32 s3, 0
	v_cmp_gt_i32_e32 vcc_lo, s3, v2
	s_cselect_b32 s8, -1, 0
	s_delay_alu instid0(SALU_CYCLE_1) | instskip(NEXT) | instid1(SALU_CYCLE_1)
	s_or_b32 s8, s8, vcc_lo
	s_and_b32 exec_lo, exec_lo, s8
	s_cbranch_execz .LBB15_10
; %bb.8:
	v_mov_b32_e32 v3, s3
.LBB15_9:                               ; =>This Inner Loop Header: Depth=1
	ds_cmpstore_rtn_b32 v3, v1, v2, v3 offset:512
	s_waitcnt lgkmcnt(0)
	v_cmp_ne_u32_e32 vcc_lo, 0, v3
	v_cmp_le_i32_e64 s3, v3, v2
	s_delay_alu instid0(VALU_DEP_1) | instskip(NEXT) | instid1(SALU_CYCLE_1)
	s_and_b32 s3, vcc_lo, s3
	s_and_b32 s3, exec_lo, s3
	s_delay_alu instid0(SALU_CYCLE_1) | instskip(NEXT) | instid1(SALU_CYCLE_1)
	s_or_b32 s5, s3, s5
	s_and_not1_b32 exec_lo, exec_lo, s5
	s_cbranch_execnz .LBB15_9
.LBB15_10:
	s_or_b32 exec_lo, exec_lo, s4
	v_mov_b32_e32 v1, 0
	s_barrier
	buffer_gl0_inv
	ds_load_b32 v2, v1 offset:512
	s_and_saveexec_b32 s3, s2
	s_cbranch_execz .LBB15_12
; %bb.11:
	s_lshl_b64 s[4:5], s[18:19], 2
	s_delay_alu instid0(SALU_CYCLE_1)
	s_add_u32 s4, s6, s4
	s_addc_u32 s5, s7, s5
	s_waitcnt lgkmcnt(0)
	global_store_b32 v1, v2, s[4:5]
.LBB15_12:
	s_or_b32 exec_lo, exec_lo, s3
	s_waitcnt lgkmcnt(0)
	v_cmp_ne_u32_e32 vcc_lo, 0, v2
	s_mov_b32 s3, 0
	s_cbranch_vccnz .LBB15_76
; %bb.13:
	v_add_nc_u32_e32 v62, 0, v61
                                        ; implicit-def: $vgpr9_vgpr10
	scratch_load_b128 v[1:4], v62, off
	s_waitcnt vmcnt(0)
	v_mov_b32_e32 v5, v1
	v_cmp_gt_f64_e32 vcc_lo, 0, v[1:2]
	v_xor_b32_e32 v6, 0x80000000, v2
	v_xor_b32_e32 v7, 0x80000000, v4
	s_delay_alu instid0(VALU_DEP_2) | instskip(SKIP_1) | instid1(VALU_DEP_3)
	v_cndmask_b32_e32 v6, v2, v6, vcc_lo
	v_cmp_gt_f64_e32 vcc_lo, 0, v[3:4]
	v_dual_cndmask_b32 v8, v4, v7 :: v_dual_mov_b32 v7, v3
	s_delay_alu instid0(VALU_DEP_1) | instskip(SKIP_1) | instid1(SALU_CYCLE_1)
	v_cmp_ngt_f64_e32 vcc_lo, v[5:6], v[7:8]
                                        ; implicit-def: $vgpr5_vgpr6
	s_and_saveexec_b32 s3, vcc_lo
	s_xor_b32 s3, exec_lo, s3
	s_cbranch_execz .LBB15_15
; %bb.14:
	v_div_scale_f64 v[5:6], null, v[3:4], v[3:4], v[1:2]
	v_div_scale_f64 v[11:12], vcc_lo, v[1:2], v[3:4], v[1:2]
	s_delay_alu instid0(VALU_DEP_2) | instskip(SKIP_2) | instid1(VALU_DEP_1)
	v_rcp_f64_e32 v[7:8], v[5:6]
	s_waitcnt_depctr 0xfff
	v_fma_f64 v[9:10], -v[5:6], v[7:8], 1.0
	v_fma_f64 v[7:8], v[7:8], v[9:10], v[7:8]
	s_delay_alu instid0(VALU_DEP_1) | instskip(NEXT) | instid1(VALU_DEP_1)
	v_fma_f64 v[9:10], -v[5:6], v[7:8], 1.0
	v_fma_f64 v[7:8], v[7:8], v[9:10], v[7:8]
	s_delay_alu instid0(VALU_DEP_1) | instskip(NEXT) | instid1(VALU_DEP_1)
	v_mul_f64 v[9:10], v[11:12], v[7:8]
	v_fma_f64 v[5:6], -v[5:6], v[9:10], v[11:12]
	s_delay_alu instid0(VALU_DEP_1) | instskip(NEXT) | instid1(VALU_DEP_1)
	v_div_fmas_f64 v[5:6], v[5:6], v[7:8], v[9:10]
	v_div_fixup_f64 v[5:6], v[5:6], v[3:4], v[1:2]
	s_delay_alu instid0(VALU_DEP_1) | instskip(NEXT) | instid1(VALU_DEP_1)
	v_fma_f64 v[1:2], v[1:2], v[5:6], v[3:4]
	v_div_scale_f64 v[3:4], null, v[1:2], v[1:2], 1.0
	v_div_scale_f64 v[11:12], vcc_lo, 1.0, v[1:2], 1.0
	s_delay_alu instid0(VALU_DEP_2) | instskip(SKIP_2) | instid1(VALU_DEP_1)
	v_rcp_f64_e32 v[7:8], v[3:4]
	s_waitcnt_depctr 0xfff
	v_fma_f64 v[9:10], -v[3:4], v[7:8], 1.0
	v_fma_f64 v[7:8], v[7:8], v[9:10], v[7:8]
	s_delay_alu instid0(VALU_DEP_1) | instskip(NEXT) | instid1(VALU_DEP_1)
	v_fma_f64 v[9:10], -v[3:4], v[7:8], 1.0
	v_fma_f64 v[7:8], v[7:8], v[9:10], v[7:8]
	s_delay_alu instid0(VALU_DEP_1) | instskip(NEXT) | instid1(VALU_DEP_1)
	v_mul_f64 v[9:10], v[11:12], v[7:8]
	v_fma_f64 v[3:4], -v[3:4], v[9:10], v[11:12]
	s_delay_alu instid0(VALU_DEP_1) | instskip(NEXT) | instid1(VALU_DEP_1)
	v_div_fmas_f64 v[3:4], v[3:4], v[7:8], v[9:10]
	v_div_fixup_f64 v[7:8], v[3:4], v[1:2], 1.0
                                        ; implicit-def: $vgpr1_vgpr2
	s_delay_alu instid0(VALU_DEP_1) | instskip(SKIP_1) | instid1(VALU_DEP_2)
	v_mul_f64 v[5:6], v[5:6], v[7:8]
	v_xor_b32_e32 v8, 0x80000000, v8
	v_xor_b32_e32 v10, 0x80000000, v6
	s_delay_alu instid0(VALU_DEP_3)
	v_mov_b32_e32 v9, v5
.LBB15_15:
	s_and_not1_saveexec_b32 s3, s3
	s_cbranch_execz .LBB15_17
; %bb.16:
	v_div_scale_f64 v[5:6], null, v[1:2], v[1:2], v[3:4]
	v_div_scale_f64 v[11:12], vcc_lo, v[3:4], v[1:2], v[3:4]
	s_delay_alu instid0(VALU_DEP_2) | instskip(SKIP_2) | instid1(VALU_DEP_1)
	v_rcp_f64_e32 v[7:8], v[5:6]
	s_waitcnt_depctr 0xfff
	v_fma_f64 v[9:10], -v[5:6], v[7:8], 1.0
	v_fma_f64 v[7:8], v[7:8], v[9:10], v[7:8]
	s_delay_alu instid0(VALU_DEP_1) | instskip(NEXT) | instid1(VALU_DEP_1)
	v_fma_f64 v[9:10], -v[5:6], v[7:8], 1.0
	v_fma_f64 v[7:8], v[7:8], v[9:10], v[7:8]
	s_delay_alu instid0(VALU_DEP_1) | instskip(NEXT) | instid1(VALU_DEP_1)
	v_mul_f64 v[9:10], v[11:12], v[7:8]
	v_fma_f64 v[5:6], -v[5:6], v[9:10], v[11:12]
	s_delay_alu instid0(VALU_DEP_1) | instskip(NEXT) | instid1(VALU_DEP_1)
	v_div_fmas_f64 v[5:6], v[5:6], v[7:8], v[9:10]
	v_div_fixup_f64 v[7:8], v[5:6], v[1:2], v[3:4]
	s_delay_alu instid0(VALU_DEP_1) | instskip(NEXT) | instid1(VALU_DEP_1)
	v_fma_f64 v[1:2], v[3:4], v[7:8], v[1:2]
	v_div_scale_f64 v[3:4], null, v[1:2], v[1:2], 1.0
	s_delay_alu instid0(VALU_DEP_1) | instskip(SKIP_2) | instid1(VALU_DEP_1)
	v_rcp_f64_e32 v[5:6], v[3:4]
	s_waitcnt_depctr 0xfff
	v_fma_f64 v[9:10], -v[3:4], v[5:6], 1.0
	v_fma_f64 v[5:6], v[5:6], v[9:10], v[5:6]
	s_delay_alu instid0(VALU_DEP_1) | instskip(NEXT) | instid1(VALU_DEP_1)
	v_fma_f64 v[9:10], -v[3:4], v[5:6], 1.0
	v_fma_f64 v[5:6], v[5:6], v[9:10], v[5:6]
	v_div_scale_f64 v[9:10], vcc_lo, 1.0, v[1:2], 1.0
	s_delay_alu instid0(VALU_DEP_1) | instskip(NEXT) | instid1(VALU_DEP_1)
	v_mul_f64 v[11:12], v[9:10], v[5:6]
	v_fma_f64 v[3:4], -v[3:4], v[11:12], v[9:10]
	s_delay_alu instid0(VALU_DEP_1) | instskip(NEXT) | instid1(VALU_DEP_1)
	v_div_fmas_f64 v[3:4], v[3:4], v[5:6], v[11:12]
	v_div_fixup_f64 v[5:6], v[3:4], v[1:2], 1.0
	s_delay_alu instid0(VALU_DEP_1)
	v_mul_f64 v[7:8], v[7:8], -v[5:6]
	v_xor_b32_e32 v10, 0x80000000, v6
	v_mov_b32_e32 v9, v5
.LBB15_17:
	s_or_b32 exec_lo, exec_lo, s3
	scratch_store_b128 v62, v[5:8], off
	scratch_load_b128 v[1:4], v49, off
	v_xor_b32_e32 v12, 0x80000000, v8
	v_mov_b32_e32 v11, v7
	v_add_nc_u32_e32 v5, 0x100, v61
	ds_store_b128 v61, v[9:12]
	s_waitcnt vmcnt(0)
	ds_store_b128 v61, v[1:4] offset:256
	s_waitcnt lgkmcnt(0)
	s_waitcnt_vscnt null, 0x0
	s_barrier
	buffer_gl0_inv
	s_and_saveexec_b32 s3, s2
	s_cbranch_execz .LBB15_19
; %bb.18:
	scratch_load_b128 v[1:4], v62, off
	ds_load_b128 v[6:9], v5
	v_mov_b32_e32 v10, 0
	ds_load_b128 v[63:66], v10 offset:16
	s_waitcnt vmcnt(0) lgkmcnt(1)
	v_mul_f64 v[10:11], v[6:7], v[3:4]
	v_mul_f64 v[3:4], v[8:9], v[3:4]
	s_delay_alu instid0(VALU_DEP_2) | instskip(NEXT) | instid1(VALU_DEP_2)
	v_fma_f64 v[8:9], v[8:9], v[1:2], v[10:11]
	v_fma_f64 v[1:2], v[6:7], v[1:2], -v[3:4]
	s_delay_alu instid0(VALU_DEP_2) | instskip(NEXT) | instid1(VALU_DEP_2)
	v_add_f64 v[3:4], v[8:9], 0
	v_add_f64 v[1:2], v[1:2], 0
	s_waitcnt lgkmcnt(0)
	s_delay_alu instid0(VALU_DEP_2) | instskip(NEXT) | instid1(VALU_DEP_2)
	v_mul_f64 v[6:7], v[3:4], v[65:66]
	v_mul_f64 v[8:9], v[1:2], v[65:66]
	s_delay_alu instid0(VALU_DEP_2) | instskip(NEXT) | instid1(VALU_DEP_2)
	v_fma_f64 v[1:2], v[1:2], v[63:64], -v[6:7]
	v_fma_f64 v[3:4], v[3:4], v[63:64], v[8:9]
	scratch_store_b128 off, v[1:4], off offset:16
.LBB15_19:
	s_or_b32 exec_lo, exec_lo, s3
	s_waitcnt_vscnt null, 0x0
	s_barrier
	buffer_gl0_inv
	scratch_load_b128 v[1:4], v47, off
	s_mov_b32 s3, exec_lo
	s_waitcnt vmcnt(0)
	ds_store_b128 v5, v[1:4]
	s_waitcnt lgkmcnt(0)
	s_barrier
	buffer_gl0_inv
	v_cmpx_gt_u32_e32 2, v45
	s_cbranch_execz .LBB15_23
; %bb.20:
	scratch_load_b128 v[1:4], v62, off
	ds_load_b128 v[6:9], v5
	s_waitcnt vmcnt(0) lgkmcnt(0)
	v_mul_f64 v[10:11], v[8:9], v[3:4]
	v_mul_f64 v[3:4], v[6:7], v[3:4]
	s_delay_alu instid0(VALU_DEP_2) | instskip(NEXT) | instid1(VALU_DEP_2)
	v_fma_f64 v[6:7], v[6:7], v[1:2], -v[10:11]
	v_fma_f64 v[3:4], v[8:9], v[1:2], v[3:4]
	s_delay_alu instid0(VALU_DEP_2) | instskip(NEXT) | instid1(VALU_DEP_2)
	v_add_f64 v[1:2], v[6:7], 0
	v_add_f64 v[3:4], v[3:4], 0
	s_and_saveexec_b32 s4, s2
	s_cbranch_execz .LBB15_22
; %bb.21:
	scratch_load_b128 v[6:9], off, off offset:16
	v_mov_b32_e32 v10, 0
	ds_load_b128 v[63:66], v10 offset:272
	s_waitcnt vmcnt(0) lgkmcnt(0)
	v_mul_f64 v[10:11], v[63:64], v[8:9]
	v_mul_f64 v[8:9], v[65:66], v[8:9]
	s_delay_alu instid0(VALU_DEP_2) | instskip(NEXT) | instid1(VALU_DEP_2)
	v_fma_f64 v[10:11], v[65:66], v[6:7], v[10:11]
	v_fma_f64 v[6:7], v[63:64], v[6:7], -v[8:9]
	s_delay_alu instid0(VALU_DEP_2) | instskip(NEXT) | instid1(VALU_DEP_2)
	v_add_f64 v[3:4], v[3:4], v[10:11]
	v_add_f64 v[1:2], v[1:2], v[6:7]
.LBB15_22:
	s_or_b32 exec_lo, exec_lo, s4
	v_mov_b32_e32 v6, 0
	ds_load_b128 v[6:9], v6 offset:32
	s_waitcnt lgkmcnt(0)
	v_mul_f64 v[10:11], v[3:4], v[8:9]
	v_mul_f64 v[8:9], v[1:2], v[8:9]
	s_delay_alu instid0(VALU_DEP_2) | instskip(NEXT) | instid1(VALU_DEP_2)
	v_fma_f64 v[1:2], v[1:2], v[6:7], -v[10:11]
	v_fma_f64 v[3:4], v[3:4], v[6:7], v[8:9]
	scratch_store_b128 off, v[1:4], off offset:32
.LBB15_23:
	s_or_b32 exec_lo, exec_lo, s3
	s_waitcnt_vscnt null, 0x0
	s_barrier
	buffer_gl0_inv
	scratch_load_b128 v[1:4], v46, off
	v_add_nc_u32_e32 v6, -1, v45
	s_mov_b32 s2, exec_lo
	s_waitcnt vmcnt(0)
	ds_store_b128 v5, v[1:4]
	s_waitcnt lgkmcnt(0)
	s_barrier
	buffer_gl0_inv
	v_cmpx_gt_u32_e32 3, v45
	s_cbranch_execz .LBB15_27
; %bb.24:
	v_dual_mov_b32 v1, 0 :: v_dual_add_nc_u32 v8, 0x100, v61
	v_dual_mov_b32 v2, 0 :: v_dual_add_nc_u32 v7, -1, v45
	v_or_b32_e32 v9, 8, v62
	s_mov_b32 s3, 0
	s_delay_alu instid0(VALU_DEP_2)
	v_dual_mov_b32 v4, v2 :: v_dual_mov_b32 v3, v1
	.p2align	6
.LBB15_25:                              ; =>This Inner Loop Header: Depth=1
	scratch_load_b128 v[63:66], v9, off offset:-8
	ds_load_b128 v[67:70], v8
	v_add_nc_u32_e32 v7, 1, v7
	v_add_nc_u32_e32 v8, 16, v8
	;; [unrolled: 1-line block ×3, first 2 shown]
	s_delay_alu instid0(VALU_DEP_3) | instskip(SKIP_4) | instid1(VALU_DEP_2)
	v_cmp_lt_u32_e32 vcc_lo, 1, v7
	s_or_b32 s3, vcc_lo, s3
	s_waitcnt vmcnt(0) lgkmcnt(0)
	v_mul_f64 v[10:11], v[69:70], v[65:66]
	v_mul_f64 v[65:66], v[67:68], v[65:66]
	v_fma_f64 v[10:11], v[67:68], v[63:64], -v[10:11]
	s_delay_alu instid0(VALU_DEP_2) | instskip(NEXT) | instid1(VALU_DEP_2)
	v_fma_f64 v[63:64], v[69:70], v[63:64], v[65:66]
	v_add_f64 v[3:4], v[3:4], v[10:11]
	s_delay_alu instid0(VALU_DEP_2)
	v_add_f64 v[1:2], v[1:2], v[63:64]
	s_and_not1_b32 exec_lo, exec_lo, s3
	s_cbranch_execnz .LBB15_25
; %bb.26:
	s_or_b32 exec_lo, exec_lo, s3
	v_mov_b32_e32 v7, 0
	ds_load_b128 v[7:10], v7 offset:48
	s_waitcnt lgkmcnt(0)
	v_mul_f64 v[11:12], v[1:2], v[9:10]
	v_mul_f64 v[63:64], v[3:4], v[9:10]
	s_delay_alu instid0(VALU_DEP_2) | instskip(NEXT) | instid1(VALU_DEP_2)
	v_fma_f64 v[9:10], v[3:4], v[7:8], -v[11:12]
	v_fma_f64 v[11:12], v[1:2], v[7:8], v[63:64]
	scratch_store_b128 off, v[9:12], off offset:48
.LBB15_27:
	s_or_b32 exec_lo, exec_lo, s2
	s_waitcnt_vscnt null, 0x0
	s_barrier
	buffer_gl0_inv
	scratch_load_b128 v[1:4], v50, off
	s_mov_b32 s2, exec_lo
	s_waitcnt vmcnt(0)
	ds_store_b128 v5, v[1:4]
	s_waitcnt lgkmcnt(0)
	s_barrier
	buffer_gl0_inv
	v_cmpx_gt_u32_e32 4, v45
	s_cbranch_execz .LBB15_31
; %bb.28:
	v_dual_mov_b32 v1, 0 :: v_dual_add_nc_u32 v8, 0x100, v61
	v_dual_mov_b32 v2, 0 :: v_dual_add_nc_u32 v7, -1, v45
	v_or_b32_e32 v9, 8, v62
	s_mov_b32 s3, 0
	s_delay_alu instid0(VALU_DEP_2)
	v_dual_mov_b32 v4, v2 :: v_dual_mov_b32 v3, v1
	.p2align	6
.LBB15_29:                              ; =>This Inner Loop Header: Depth=1
	scratch_load_b128 v[63:66], v9, off offset:-8
	ds_load_b128 v[67:70], v8
	v_add_nc_u32_e32 v7, 1, v7
	v_add_nc_u32_e32 v8, 16, v8
	;; [unrolled: 1-line block ×3, first 2 shown]
	s_delay_alu instid0(VALU_DEP_3) | instskip(SKIP_4) | instid1(VALU_DEP_2)
	v_cmp_lt_u32_e32 vcc_lo, 2, v7
	s_or_b32 s3, vcc_lo, s3
	s_waitcnt vmcnt(0) lgkmcnt(0)
	v_mul_f64 v[10:11], v[69:70], v[65:66]
	v_mul_f64 v[65:66], v[67:68], v[65:66]
	v_fma_f64 v[10:11], v[67:68], v[63:64], -v[10:11]
	s_delay_alu instid0(VALU_DEP_2) | instskip(NEXT) | instid1(VALU_DEP_2)
	v_fma_f64 v[63:64], v[69:70], v[63:64], v[65:66]
	v_add_f64 v[3:4], v[3:4], v[10:11]
	s_delay_alu instid0(VALU_DEP_2)
	v_add_f64 v[1:2], v[1:2], v[63:64]
	s_and_not1_b32 exec_lo, exec_lo, s3
	s_cbranch_execnz .LBB15_29
; %bb.30:
	s_or_b32 exec_lo, exec_lo, s3
	v_mov_b32_e32 v7, 0
	ds_load_b128 v[7:10], v7 offset:64
	s_waitcnt lgkmcnt(0)
	v_mul_f64 v[11:12], v[1:2], v[9:10]
	v_mul_f64 v[63:64], v[3:4], v[9:10]
	s_delay_alu instid0(VALU_DEP_2) | instskip(NEXT) | instid1(VALU_DEP_2)
	v_fma_f64 v[9:10], v[3:4], v[7:8], -v[11:12]
	v_fma_f64 v[11:12], v[1:2], v[7:8], v[63:64]
	scratch_store_b128 off, v[9:12], off offset:64
.LBB15_31:
	s_or_b32 exec_lo, exec_lo, s2
	s_waitcnt_vscnt null, 0x0
	s_barrier
	buffer_gl0_inv
	scratch_load_b128 v[1:4], v48, off
	s_mov_b32 s2, exec_lo
	s_waitcnt vmcnt(0)
	ds_store_b128 v5, v[1:4]
	s_waitcnt lgkmcnt(0)
	s_barrier
	buffer_gl0_inv
	v_cmpx_gt_u32_e32 5, v45
	s_cbranch_execz .LBB15_35
; %bb.32:
	v_dual_mov_b32 v1, 0 :: v_dual_add_nc_u32 v8, 0x100, v61
	v_dual_mov_b32 v2, 0 :: v_dual_add_nc_u32 v7, -1, v45
	v_or_b32_e32 v9, 8, v62
	s_mov_b32 s3, 0
	s_delay_alu instid0(VALU_DEP_2)
	v_dual_mov_b32 v4, v2 :: v_dual_mov_b32 v3, v1
	.p2align	6
.LBB15_33:                              ; =>This Inner Loop Header: Depth=1
	scratch_load_b128 v[63:66], v9, off offset:-8
	ds_load_b128 v[67:70], v8
	v_add_nc_u32_e32 v7, 1, v7
	v_add_nc_u32_e32 v8, 16, v8
	;; [unrolled: 1-line block ×3, first 2 shown]
	s_delay_alu instid0(VALU_DEP_3) | instskip(SKIP_4) | instid1(VALU_DEP_2)
	v_cmp_lt_u32_e32 vcc_lo, 3, v7
	s_or_b32 s3, vcc_lo, s3
	s_waitcnt vmcnt(0) lgkmcnt(0)
	v_mul_f64 v[10:11], v[69:70], v[65:66]
	v_mul_f64 v[65:66], v[67:68], v[65:66]
	v_fma_f64 v[10:11], v[67:68], v[63:64], -v[10:11]
	s_delay_alu instid0(VALU_DEP_2) | instskip(NEXT) | instid1(VALU_DEP_2)
	v_fma_f64 v[63:64], v[69:70], v[63:64], v[65:66]
	v_add_f64 v[3:4], v[3:4], v[10:11]
	s_delay_alu instid0(VALU_DEP_2)
	v_add_f64 v[1:2], v[1:2], v[63:64]
	s_and_not1_b32 exec_lo, exec_lo, s3
	s_cbranch_execnz .LBB15_33
; %bb.34:
	s_or_b32 exec_lo, exec_lo, s3
	v_mov_b32_e32 v7, 0
	ds_load_b128 v[7:10], v7 offset:80
	s_waitcnt lgkmcnt(0)
	v_mul_f64 v[11:12], v[1:2], v[9:10]
	v_mul_f64 v[63:64], v[3:4], v[9:10]
	s_delay_alu instid0(VALU_DEP_2) | instskip(NEXT) | instid1(VALU_DEP_2)
	v_fma_f64 v[9:10], v[3:4], v[7:8], -v[11:12]
	v_fma_f64 v[11:12], v[1:2], v[7:8], v[63:64]
	scratch_store_b128 off, v[9:12], off offset:80
.LBB15_35:
	s_or_b32 exec_lo, exec_lo, s2
	s_waitcnt_vscnt null, 0x0
	s_barrier
	buffer_gl0_inv
	scratch_load_b128 v[1:4], v52, off
	s_mov_b32 s2, exec_lo
	s_waitcnt vmcnt(0)
	ds_store_b128 v5, v[1:4]
	s_waitcnt lgkmcnt(0)
	s_barrier
	buffer_gl0_inv
	v_cmpx_gt_u32_e32 6, v45
	s_cbranch_execz .LBB15_39
; %bb.36:
	v_dual_mov_b32 v1, 0 :: v_dual_add_nc_u32 v8, 0x100, v61
	v_dual_mov_b32 v2, 0 :: v_dual_add_nc_u32 v7, -1, v45
	v_or_b32_e32 v9, 8, v62
	s_mov_b32 s3, 0
	s_delay_alu instid0(VALU_DEP_2)
	v_dual_mov_b32 v4, v2 :: v_dual_mov_b32 v3, v1
	.p2align	6
.LBB15_37:                              ; =>This Inner Loop Header: Depth=1
	scratch_load_b128 v[63:66], v9, off offset:-8
	ds_load_b128 v[67:70], v8
	v_add_nc_u32_e32 v7, 1, v7
	v_add_nc_u32_e32 v8, 16, v8
	;; [unrolled: 1-line block ×3, first 2 shown]
	s_delay_alu instid0(VALU_DEP_3) | instskip(SKIP_4) | instid1(VALU_DEP_2)
	v_cmp_lt_u32_e32 vcc_lo, 4, v7
	s_or_b32 s3, vcc_lo, s3
	s_waitcnt vmcnt(0) lgkmcnt(0)
	v_mul_f64 v[10:11], v[69:70], v[65:66]
	v_mul_f64 v[65:66], v[67:68], v[65:66]
	v_fma_f64 v[10:11], v[67:68], v[63:64], -v[10:11]
	s_delay_alu instid0(VALU_DEP_2) | instskip(NEXT) | instid1(VALU_DEP_2)
	v_fma_f64 v[63:64], v[69:70], v[63:64], v[65:66]
	v_add_f64 v[3:4], v[3:4], v[10:11]
	s_delay_alu instid0(VALU_DEP_2)
	v_add_f64 v[1:2], v[1:2], v[63:64]
	s_and_not1_b32 exec_lo, exec_lo, s3
	s_cbranch_execnz .LBB15_37
; %bb.38:
	s_or_b32 exec_lo, exec_lo, s3
	v_mov_b32_e32 v7, 0
	ds_load_b128 v[7:10], v7 offset:96
	s_waitcnt lgkmcnt(0)
	v_mul_f64 v[11:12], v[1:2], v[9:10]
	v_mul_f64 v[63:64], v[3:4], v[9:10]
	s_delay_alu instid0(VALU_DEP_2) | instskip(NEXT) | instid1(VALU_DEP_2)
	v_fma_f64 v[9:10], v[3:4], v[7:8], -v[11:12]
	v_fma_f64 v[11:12], v[1:2], v[7:8], v[63:64]
	scratch_store_b128 off, v[9:12], off offset:96
.LBB15_39:
	s_or_b32 exec_lo, exec_lo, s2
	s_waitcnt_vscnt null, 0x0
	s_barrier
	buffer_gl0_inv
	scratch_load_b128 v[1:4], v51, off
	s_mov_b32 s2, exec_lo
	s_waitcnt vmcnt(0)
	ds_store_b128 v5, v[1:4]
	s_waitcnt lgkmcnt(0)
	s_barrier
	buffer_gl0_inv
	v_cmpx_gt_u32_e32 7, v45
	s_cbranch_execz .LBB15_43
; %bb.40:
	v_dual_mov_b32 v1, 0 :: v_dual_add_nc_u32 v8, 0x100, v61
	v_dual_mov_b32 v2, 0 :: v_dual_add_nc_u32 v7, -1, v45
	v_or_b32_e32 v9, 8, v62
	s_mov_b32 s3, 0
	s_delay_alu instid0(VALU_DEP_2)
	v_dual_mov_b32 v4, v2 :: v_dual_mov_b32 v3, v1
	.p2align	6
.LBB15_41:                              ; =>This Inner Loop Header: Depth=1
	scratch_load_b128 v[63:66], v9, off offset:-8
	ds_load_b128 v[67:70], v8
	v_add_nc_u32_e32 v7, 1, v7
	v_add_nc_u32_e32 v8, 16, v8
	;; [unrolled: 1-line block ×3, first 2 shown]
	s_delay_alu instid0(VALU_DEP_3) | instskip(SKIP_4) | instid1(VALU_DEP_2)
	v_cmp_lt_u32_e32 vcc_lo, 5, v7
	s_or_b32 s3, vcc_lo, s3
	s_waitcnt vmcnt(0) lgkmcnt(0)
	v_mul_f64 v[10:11], v[69:70], v[65:66]
	v_mul_f64 v[65:66], v[67:68], v[65:66]
	v_fma_f64 v[10:11], v[67:68], v[63:64], -v[10:11]
	s_delay_alu instid0(VALU_DEP_2) | instskip(NEXT) | instid1(VALU_DEP_2)
	v_fma_f64 v[63:64], v[69:70], v[63:64], v[65:66]
	v_add_f64 v[3:4], v[3:4], v[10:11]
	s_delay_alu instid0(VALU_DEP_2)
	v_add_f64 v[1:2], v[1:2], v[63:64]
	s_and_not1_b32 exec_lo, exec_lo, s3
	s_cbranch_execnz .LBB15_41
; %bb.42:
	s_or_b32 exec_lo, exec_lo, s3
	v_mov_b32_e32 v7, 0
	ds_load_b128 v[7:10], v7 offset:112
	s_waitcnt lgkmcnt(0)
	v_mul_f64 v[11:12], v[1:2], v[9:10]
	v_mul_f64 v[63:64], v[3:4], v[9:10]
	s_delay_alu instid0(VALU_DEP_2) | instskip(NEXT) | instid1(VALU_DEP_2)
	v_fma_f64 v[9:10], v[3:4], v[7:8], -v[11:12]
	v_fma_f64 v[11:12], v[1:2], v[7:8], v[63:64]
	scratch_store_b128 off, v[9:12], off offset:112
.LBB15_43:
	s_or_b32 exec_lo, exec_lo, s2
	s_waitcnt_vscnt null, 0x0
	s_barrier
	buffer_gl0_inv
	scratch_load_b128 v[1:4], v54, off
	s_mov_b32 s2, exec_lo
	s_waitcnt vmcnt(0)
	ds_store_b128 v5, v[1:4]
	s_waitcnt lgkmcnt(0)
	s_barrier
	buffer_gl0_inv
	v_cmpx_gt_u32_e32 8, v45
	s_cbranch_execz .LBB15_47
; %bb.44:
	v_dual_mov_b32 v1, 0 :: v_dual_add_nc_u32 v8, 0x100, v61
	v_dual_mov_b32 v2, 0 :: v_dual_add_nc_u32 v7, -1, v45
	v_or_b32_e32 v9, 8, v62
	s_mov_b32 s3, 0
	s_delay_alu instid0(VALU_DEP_2)
	v_dual_mov_b32 v4, v2 :: v_dual_mov_b32 v3, v1
	.p2align	6
.LBB15_45:                              ; =>This Inner Loop Header: Depth=1
	scratch_load_b128 v[63:66], v9, off offset:-8
	ds_load_b128 v[67:70], v8
	v_add_nc_u32_e32 v7, 1, v7
	v_add_nc_u32_e32 v8, 16, v8
	;; [unrolled: 1-line block ×3, first 2 shown]
	s_delay_alu instid0(VALU_DEP_3) | instskip(SKIP_4) | instid1(VALU_DEP_2)
	v_cmp_lt_u32_e32 vcc_lo, 6, v7
	s_or_b32 s3, vcc_lo, s3
	s_waitcnt vmcnt(0) lgkmcnt(0)
	v_mul_f64 v[10:11], v[69:70], v[65:66]
	v_mul_f64 v[65:66], v[67:68], v[65:66]
	v_fma_f64 v[10:11], v[67:68], v[63:64], -v[10:11]
	s_delay_alu instid0(VALU_DEP_2) | instskip(NEXT) | instid1(VALU_DEP_2)
	v_fma_f64 v[63:64], v[69:70], v[63:64], v[65:66]
	v_add_f64 v[3:4], v[3:4], v[10:11]
	s_delay_alu instid0(VALU_DEP_2)
	v_add_f64 v[1:2], v[1:2], v[63:64]
	s_and_not1_b32 exec_lo, exec_lo, s3
	s_cbranch_execnz .LBB15_45
; %bb.46:
	s_or_b32 exec_lo, exec_lo, s3
	v_mov_b32_e32 v7, 0
	ds_load_b128 v[7:10], v7 offset:128
	s_waitcnt lgkmcnt(0)
	v_mul_f64 v[11:12], v[1:2], v[9:10]
	v_mul_f64 v[63:64], v[3:4], v[9:10]
	s_delay_alu instid0(VALU_DEP_2) | instskip(NEXT) | instid1(VALU_DEP_2)
	v_fma_f64 v[9:10], v[3:4], v[7:8], -v[11:12]
	v_fma_f64 v[11:12], v[1:2], v[7:8], v[63:64]
	scratch_store_b128 off, v[9:12], off offset:128
.LBB15_47:
	s_or_b32 exec_lo, exec_lo, s2
	s_waitcnt_vscnt null, 0x0
	s_barrier
	buffer_gl0_inv
	scratch_load_b128 v[1:4], v53, off
	s_mov_b32 s2, exec_lo
	s_waitcnt vmcnt(0)
	ds_store_b128 v5, v[1:4]
	s_waitcnt lgkmcnt(0)
	s_barrier
	buffer_gl0_inv
	v_cmpx_gt_u32_e32 9, v45
	s_cbranch_execz .LBB15_51
; %bb.48:
	v_dual_mov_b32 v1, 0 :: v_dual_add_nc_u32 v8, 0x100, v61
	v_dual_mov_b32 v2, 0 :: v_dual_add_nc_u32 v7, -1, v45
	v_or_b32_e32 v9, 8, v62
	s_mov_b32 s3, 0
	s_delay_alu instid0(VALU_DEP_2)
	v_dual_mov_b32 v4, v2 :: v_dual_mov_b32 v3, v1
	.p2align	6
.LBB15_49:                              ; =>This Inner Loop Header: Depth=1
	scratch_load_b128 v[63:66], v9, off offset:-8
	ds_load_b128 v[67:70], v8
	v_add_nc_u32_e32 v7, 1, v7
	v_add_nc_u32_e32 v8, 16, v8
	v_add_nc_u32_e32 v9, 16, v9
	s_delay_alu instid0(VALU_DEP_3) | instskip(SKIP_4) | instid1(VALU_DEP_2)
	v_cmp_lt_u32_e32 vcc_lo, 7, v7
	s_or_b32 s3, vcc_lo, s3
	s_waitcnt vmcnt(0) lgkmcnt(0)
	v_mul_f64 v[10:11], v[69:70], v[65:66]
	v_mul_f64 v[65:66], v[67:68], v[65:66]
	v_fma_f64 v[10:11], v[67:68], v[63:64], -v[10:11]
	s_delay_alu instid0(VALU_DEP_2) | instskip(NEXT) | instid1(VALU_DEP_2)
	v_fma_f64 v[63:64], v[69:70], v[63:64], v[65:66]
	v_add_f64 v[3:4], v[3:4], v[10:11]
	s_delay_alu instid0(VALU_DEP_2)
	v_add_f64 v[1:2], v[1:2], v[63:64]
	s_and_not1_b32 exec_lo, exec_lo, s3
	s_cbranch_execnz .LBB15_49
; %bb.50:
	s_or_b32 exec_lo, exec_lo, s3
	v_mov_b32_e32 v7, 0
	ds_load_b128 v[7:10], v7 offset:144
	s_waitcnt lgkmcnt(0)
	v_mul_f64 v[11:12], v[1:2], v[9:10]
	v_mul_f64 v[63:64], v[3:4], v[9:10]
	s_delay_alu instid0(VALU_DEP_2) | instskip(NEXT) | instid1(VALU_DEP_2)
	v_fma_f64 v[9:10], v[3:4], v[7:8], -v[11:12]
	v_fma_f64 v[11:12], v[1:2], v[7:8], v[63:64]
	scratch_store_b128 off, v[9:12], off offset:144
.LBB15_51:
	s_or_b32 exec_lo, exec_lo, s2
	s_waitcnt_vscnt null, 0x0
	s_barrier
	buffer_gl0_inv
	scratch_load_b128 v[1:4], v56, off
	s_mov_b32 s2, exec_lo
	s_waitcnt vmcnt(0)
	ds_store_b128 v5, v[1:4]
	s_waitcnt lgkmcnt(0)
	s_barrier
	buffer_gl0_inv
	v_cmpx_gt_u32_e32 10, v45
	s_cbranch_execz .LBB15_55
; %bb.52:
	v_dual_mov_b32 v1, 0 :: v_dual_add_nc_u32 v8, 0x100, v61
	v_dual_mov_b32 v2, 0 :: v_dual_add_nc_u32 v7, -1, v45
	v_or_b32_e32 v9, 8, v62
	s_mov_b32 s3, 0
	s_delay_alu instid0(VALU_DEP_2)
	v_dual_mov_b32 v4, v2 :: v_dual_mov_b32 v3, v1
	.p2align	6
.LBB15_53:                              ; =>This Inner Loop Header: Depth=1
	scratch_load_b128 v[63:66], v9, off offset:-8
	ds_load_b128 v[67:70], v8
	v_add_nc_u32_e32 v7, 1, v7
	v_add_nc_u32_e32 v8, 16, v8
	;; [unrolled: 1-line block ×3, first 2 shown]
	s_delay_alu instid0(VALU_DEP_3) | instskip(SKIP_4) | instid1(VALU_DEP_2)
	v_cmp_lt_u32_e32 vcc_lo, 8, v7
	s_or_b32 s3, vcc_lo, s3
	s_waitcnt vmcnt(0) lgkmcnt(0)
	v_mul_f64 v[10:11], v[69:70], v[65:66]
	v_mul_f64 v[65:66], v[67:68], v[65:66]
	v_fma_f64 v[10:11], v[67:68], v[63:64], -v[10:11]
	s_delay_alu instid0(VALU_DEP_2) | instskip(NEXT) | instid1(VALU_DEP_2)
	v_fma_f64 v[63:64], v[69:70], v[63:64], v[65:66]
	v_add_f64 v[3:4], v[3:4], v[10:11]
	s_delay_alu instid0(VALU_DEP_2)
	v_add_f64 v[1:2], v[1:2], v[63:64]
	s_and_not1_b32 exec_lo, exec_lo, s3
	s_cbranch_execnz .LBB15_53
; %bb.54:
	s_or_b32 exec_lo, exec_lo, s3
	v_mov_b32_e32 v7, 0
	ds_load_b128 v[7:10], v7 offset:160
	s_waitcnt lgkmcnt(0)
	v_mul_f64 v[11:12], v[1:2], v[9:10]
	v_mul_f64 v[63:64], v[3:4], v[9:10]
	s_delay_alu instid0(VALU_DEP_2) | instskip(NEXT) | instid1(VALU_DEP_2)
	v_fma_f64 v[9:10], v[3:4], v[7:8], -v[11:12]
	v_fma_f64 v[11:12], v[1:2], v[7:8], v[63:64]
	scratch_store_b128 off, v[9:12], off offset:160
.LBB15_55:
	s_or_b32 exec_lo, exec_lo, s2
	s_waitcnt_vscnt null, 0x0
	s_barrier
	buffer_gl0_inv
	scratch_load_b128 v[1:4], v55, off
	s_mov_b32 s2, exec_lo
	s_waitcnt vmcnt(0)
	ds_store_b128 v5, v[1:4]
	s_waitcnt lgkmcnt(0)
	s_barrier
	buffer_gl0_inv
	v_cmpx_gt_u32_e32 11, v45
	s_cbranch_execz .LBB15_59
; %bb.56:
	v_dual_mov_b32 v1, 0 :: v_dual_add_nc_u32 v8, 0x100, v61
	v_dual_mov_b32 v2, 0 :: v_dual_add_nc_u32 v7, -1, v45
	v_or_b32_e32 v9, 8, v62
	s_mov_b32 s3, 0
	s_delay_alu instid0(VALU_DEP_2)
	v_dual_mov_b32 v4, v2 :: v_dual_mov_b32 v3, v1
	.p2align	6
.LBB15_57:                              ; =>This Inner Loop Header: Depth=1
	scratch_load_b128 v[63:66], v9, off offset:-8
	ds_load_b128 v[67:70], v8
	v_add_nc_u32_e32 v7, 1, v7
	v_add_nc_u32_e32 v8, 16, v8
	v_add_nc_u32_e32 v9, 16, v9
	s_delay_alu instid0(VALU_DEP_3) | instskip(SKIP_4) | instid1(VALU_DEP_2)
	v_cmp_lt_u32_e32 vcc_lo, 9, v7
	s_or_b32 s3, vcc_lo, s3
	s_waitcnt vmcnt(0) lgkmcnt(0)
	v_mul_f64 v[10:11], v[69:70], v[65:66]
	v_mul_f64 v[65:66], v[67:68], v[65:66]
	v_fma_f64 v[10:11], v[67:68], v[63:64], -v[10:11]
	s_delay_alu instid0(VALU_DEP_2) | instskip(NEXT) | instid1(VALU_DEP_2)
	v_fma_f64 v[63:64], v[69:70], v[63:64], v[65:66]
	v_add_f64 v[3:4], v[3:4], v[10:11]
	s_delay_alu instid0(VALU_DEP_2)
	v_add_f64 v[1:2], v[1:2], v[63:64]
	s_and_not1_b32 exec_lo, exec_lo, s3
	s_cbranch_execnz .LBB15_57
; %bb.58:
	s_or_b32 exec_lo, exec_lo, s3
	v_mov_b32_e32 v7, 0
	ds_load_b128 v[7:10], v7 offset:176
	s_waitcnt lgkmcnt(0)
	v_mul_f64 v[11:12], v[1:2], v[9:10]
	v_mul_f64 v[63:64], v[3:4], v[9:10]
	s_delay_alu instid0(VALU_DEP_2) | instskip(NEXT) | instid1(VALU_DEP_2)
	v_fma_f64 v[9:10], v[3:4], v[7:8], -v[11:12]
	v_fma_f64 v[11:12], v[1:2], v[7:8], v[63:64]
	scratch_store_b128 off, v[9:12], off offset:176
.LBB15_59:
	s_or_b32 exec_lo, exec_lo, s2
	s_waitcnt_vscnt null, 0x0
	s_barrier
	buffer_gl0_inv
	scratch_load_b128 v[1:4], v58, off
	s_mov_b32 s2, exec_lo
	s_waitcnt vmcnt(0)
	ds_store_b128 v5, v[1:4]
	s_waitcnt lgkmcnt(0)
	s_barrier
	buffer_gl0_inv
	v_cmpx_gt_u32_e32 12, v45
	s_cbranch_execz .LBB15_63
; %bb.60:
	v_dual_mov_b32 v1, 0 :: v_dual_add_nc_u32 v8, 0x100, v61
	v_dual_mov_b32 v2, 0 :: v_dual_add_nc_u32 v7, -1, v45
	v_or_b32_e32 v9, 8, v62
	s_mov_b32 s3, 0
	s_delay_alu instid0(VALU_DEP_2)
	v_dual_mov_b32 v4, v2 :: v_dual_mov_b32 v3, v1
	.p2align	6
.LBB15_61:                              ; =>This Inner Loop Header: Depth=1
	scratch_load_b128 v[63:66], v9, off offset:-8
	ds_load_b128 v[67:70], v8
	v_add_nc_u32_e32 v7, 1, v7
	v_add_nc_u32_e32 v8, 16, v8
	;; [unrolled: 1-line block ×3, first 2 shown]
	s_delay_alu instid0(VALU_DEP_3) | instskip(SKIP_4) | instid1(VALU_DEP_2)
	v_cmp_lt_u32_e32 vcc_lo, 10, v7
	s_or_b32 s3, vcc_lo, s3
	s_waitcnt vmcnt(0) lgkmcnt(0)
	v_mul_f64 v[10:11], v[69:70], v[65:66]
	v_mul_f64 v[65:66], v[67:68], v[65:66]
	v_fma_f64 v[10:11], v[67:68], v[63:64], -v[10:11]
	s_delay_alu instid0(VALU_DEP_2) | instskip(NEXT) | instid1(VALU_DEP_2)
	v_fma_f64 v[63:64], v[69:70], v[63:64], v[65:66]
	v_add_f64 v[3:4], v[3:4], v[10:11]
	s_delay_alu instid0(VALU_DEP_2)
	v_add_f64 v[1:2], v[1:2], v[63:64]
	s_and_not1_b32 exec_lo, exec_lo, s3
	s_cbranch_execnz .LBB15_61
; %bb.62:
	s_or_b32 exec_lo, exec_lo, s3
	v_mov_b32_e32 v7, 0
	ds_load_b128 v[7:10], v7 offset:192
	s_waitcnt lgkmcnt(0)
	v_mul_f64 v[11:12], v[1:2], v[9:10]
	v_mul_f64 v[63:64], v[3:4], v[9:10]
	s_delay_alu instid0(VALU_DEP_2) | instskip(NEXT) | instid1(VALU_DEP_2)
	v_fma_f64 v[9:10], v[3:4], v[7:8], -v[11:12]
	v_fma_f64 v[11:12], v[1:2], v[7:8], v[63:64]
	scratch_store_b128 off, v[9:12], off offset:192
.LBB15_63:
	s_or_b32 exec_lo, exec_lo, s2
	s_waitcnt_vscnt null, 0x0
	s_barrier
	buffer_gl0_inv
	scratch_load_b128 v[1:4], v57, off
	s_mov_b32 s2, exec_lo
	s_waitcnt vmcnt(0)
	ds_store_b128 v5, v[1:4]
	s_waitcnt lgkmcnt(0)
	s_barrier
	buffer_gl0_inv
	v_cmpx_gt_u32_e32 13, v45
	s_cbranch_execz .LBB15_67
; %bb.64:
	v_dual_mov_b32 v1, 0 :: v_dual_add_nc_u32 v8, 0x100, v61
	v_dual_mov_b32 v2, 0 :: v_dual_add_nc_u32 v7, -1, v45
	v_or_b32_e32 v9, 8, v62
	s_mov_b32 s3, 0
	s_delay_alu instid0(VALU_DEP_2)
	v_dual_mov_b32 v4, v2 :: v_dual_mov_b32 v3, v1
	.p2align	6
.LBB15_65:                              ; =>This Inner Loop Header: Depth=1
	scratch_load_b128 v[63:66], v9, off offset:-8
	ds_load_b128 v[67:70], v8
	v_add_nc_u32_e32 v7, 1, v7
	v_add_nc_u32_e32 v8, 16, v8
	;; [unrolled: 1-line block ×3, first 2 shown]
	s_delay_alu instid0(VALU_DEP_3) | instskip(SKIP_4) | instid1(VALU_DEP_2)
	v_cmp_lt_u32_e32 vcc_lo, 11, v7
	s_or_b32 s3, vcc_lo, s3
	s_waitcnt vmcnt(0) lgkmcnt(0)
	v_mul_f64 v[10:11], v[69:70], v[65:66]
	v_mul_f64 v[65:66], v[67:68], v[65:66]
	v_fma_f64 v[10:11], v[67:68], v[63:64], -v[10:11]
	s_delay_alu instid0(VALU_DEP_2) | instskip(NEXT) | instid1(VALU_DEP_2)
	v_fma_f64 v[63:64], v[69:70], v[63:64], v[65:66]
	v_add_f64 v[3:4], v[3:4], v[10:11]
	s_delay_alu instid0(VALU_DEP_2)
	v_add_f64 v[1:2], v[1:2], v[63:64]
	s_and_not1_b32 exec_lo, exec_lo, s3
	s_cbranch_execnz .LBB15_65
; %bb.66:
	s_or_b32 exec_lo, exec_lo, s3
	v_mov_b32_e32 v7, 0
	ds_load_b128 v[7:10], v7 offset:208
	s_waitcnt lgkmcnt(0)
	v_mul_f64 v[11:12], v[1:2], v[9:10]
	v_mul_f64 v[63:64], v[3:4], v[9:10]
	s_delay_alu instid0(VALU_DEP_2) | instskip(NEXT) | instid1(VALU_DEP_2)
	v_fma_f64 v[9:10], v[3:4], v[7:8], -v[11:12]
	v_fma_f64 v[11:12], v[1:2], v[7:8], v[63:64]
	scratch_store_b128 off, v[9:12], off offset:208
.LBB15_67:
	s_or_b32 exec_lo, exec_lo, s2
	s_waitcnt_vscnt null, 0x0
	s_barrier
	buffer_gl0_inv
	scratch_load_b128 v[1:4], v60, off
	s_mov_b32 s2, exec_lo
	s_waitcnt vmcnt(0)
	ds_store_b128 v5, v[1:4]
	s_waitcnt lgkmcnt(0)
	s_barrier
	buffer_gl0_inv
	v_cmpx_gt_u32_e32 14, v45
	s_cbranch_execz .LBB15_71
; %bb.68:
	v_dual_mov_b32 v1, 0 :: v_dual_add_nc_u32 v8, 0x100, v61
	v_dual_mov_b32 v2, 0 :: v_dual_add_nc_u32 v7, -1, v45
	v_or_b32_e32 v9, 8, v62
	s_mov_b32 s3, 0
	s_delay_alu instid0(VALU_DEP_2)
	v_dual_mov_b32 v4, v2 :: v_dual_mov_b32 v3, v1
	.p2align	6
.LBB15_69:                              ; =>This Inner Loop Header: Depth=1
	scratch_load_b128 v[63:66], v9, off offset:-8
	ds_load_b128 v[67:70], v8
	v_add_nc_u32_e32 v7, 1, v7
	v_add_nc_u32_e32 v8, 16, v8
	;; [unrolled: 1-line block ×3, first 2 shown]
	s_delay_alu instid0(VALU_DEP_3) | instskip(SKIP_4) | instid1(VALU_DEP_2)
	v_cmp_lt_u32_e32 vcc_lo, 12, v7
	s_or_b32 s3, vcc_lo, s3
	s_waitcnt vmcnt(0) lgkmcnt(0)
	v_mul_f64 v[10:11], v[69:70], v[65:66]
	v_mul_f64 v[65:66], v[67:68], v[65:66]
	v_fma_f64 v[10:11], v[67:68], v[63:64], -v[10:11]
	s_delay_alu instid0(VALU_DEP_2) | instskip(NEXT) | instid1(VALU_DEP_2)
	v_fma_f64 v[63:64], v[69:70], v[63:64], v[65:66]
	v_add_f64 v[3:4], v[3:4], v[10:11]
	s_delay_alu instid0(VALU_DEP_2)
	v_add_f64 v[1:2], v[1:2], v[63:64]
	s_and_not1_b32 exec_lo, exec_lo, s3
	s_cbranch_execnz .LBB15_69
; %bb.70:
	s_or_b32 exec_lo, exec_lo, s3
	v_mov_b32_e32 v7, 0
	ds_load_b128 v[7:10], v7 offset:224
	s_waitcnt lgkmcnt(0)
	v_mul_f64 v[11:12], v[1:2], v[9:10]
	v_mul_f64 v[63:64], v[3:4], v[9:10]
	s_delay_alu instid0(VALU_DEP_2) | instskip(NEXT) | instid1(VALU_DEP_2)
	v_fma_f64 v[9:10], v[3:4], v[7:8], -v[11:12]
	v_fma_f64 v[11:12], v[1:2], v[7:8], v[63:64]
	scratch_store_b128 off, v[9:12], off offset:224
.LBB15_71:
	s_or_b32 exec_lo, exec_lo, s2
	s_waitcnt_vscnt null, 0x0
	s_barrier
	buffer_gl0_inv
	scratch_load_b128 v[1:4], v59, off
	s_mov_b32 s2, exec_lo
	s_waitcnt vmcnt(0)
	ds_store_b128 v5, v[1:4]
	s_waitcnt lgkmcnt(0)
	s_barrier
	buffer_gl0_inv
	v_cmpx_ne_u32_e32 15, v45
	s_cbranch_execz .LBB15_75
; %bb.72:
	v_mov_b32_e32 v1, 0
	v_mov_b32_e32 v2, 0
	v_or_b32_e32 v7, 8, v62
	s_mov_b32 s3, 0
	s_delay_alu instid0(VALU_DEP_2)
	v_dual_mov_b32 v4, v2 :: v_dual_mov_b32 v3, v1
	.p2align	6
.LBB15_73:                              ; =>This Inner Loop Header: Depth=1
	scratch_load_b128 v[8:11], v7, off offset:-8
	ds_load_b128 v[61:64], v5
	v_add_nc_u32_e32 v6, 1, v6
	v_add_nc_u32_e32 v5, 16, v5
	;; [unrolled: 1-line block ×3, first 2 shown]
	s_delay_alu instid0(VALU_DEP_3) | instskip(SKIP_4) | instid1(VALU_DEP_2)
	v_cmp_lt_u32_e32 vcc_lo, 13, v6
	s_or_b32 s3, vcc_lo, s3
	s_waitcnt vmcnt(0) lgkmcnt(0)
	v_mul_f64 v[65:66], v[63:64], v[10:11]
	v_mul_f64 v[10:11], v[61:62], v[10:11]
	v_fma_f64 v[61:62], v[61:62], v[8:9], -v[65:66]
	s_delay_alu instid0(VALU_DEP_2) | instskip(NEXT) | instid1(VALU_DEP_2)
	v_fma_f64 v[8:9], v[63:64], v[8:9], v[10:11]
	v_add_f64 v[3:4], v[3:4], v[61:62]
	s_delay_alu instid0(VALU_DEP_2)
	v_add_f64 v[1:2], v[1:2], v[8:9]
	s_and_not1_b32 exec_lo, exec_lo, s3
	s_cbranch_execnz .LBB15_73
; %bb.74:
	s_or_b32 exec_lo, exec_lo, s3
	v_mov_b32_e32 v5, 0
	ds_load_b128 v[5:8], v5 offset:240
	s_waitcnt lgkmcnt(0)
	v_mul_f64 v[9:10], v[1:2], v[7:8]
	v_mul_f64 v[7:8], v[3:4], v[7:8]
	s_delay_alu instid0(VALU_DEP_2) | instskip(NEXT) | instid1(VALU_DEP_2)
	v_fma_f64 v[3:4], v[3:4], v[5:6], -v[9:10]
	v_fma_f64 v[5:6], v[1:2], v[5:6], v[7:8]
	scratch_store_b128 off, v[3:6], off offset:240
.LBB15_75:
	s_or_b32 exec_lo, exec_lo, s2
	s_mov_b32 s3, -1
	s_waitcnt_vscnt null, 0x0
	s_barrier
	buffer_gl0_inv
.LBB15_76:
	s_and_b32 vcc_lo, exec_lo, s3
	s_cbranch_vccz .LBB15_78
; %bb.77:
	s_lshl_b64 s[2:3], s[18:19], 2
	v_mov_b32_e32 v1, 0
	s_add_u32 s2, s6, s2
	s_addc_u32 s3, s7, s3
	global_load_b32 v1, v1, s[2:3]
	s_waitcnt vmcnt(0)
	v_cmp_ne_u32_e32 vcc_lo, 0, v1
	s_cbranch_vccz .LBB15_79
.LBB15_78:
	s_endpgm
.LBB15_79:
	v_lshl_add_u32 v5, v45, 4, 0x100
	s_mov_b32 s2, exec_lo
	v_cmpx_eq_u32_e32 15, v45
	s_cbranch_execz .LBB15_81
; %bb.80:
	scratch_load_b128 v[1:4], v60, off
	v_mov_b32_e32 v6, 0
	s_delay_alu instid0(VALU_DEP_1)
	v_mov_b32_e32 v7, v6
	v_mov_b32_e32 v8, v6
	;; [unrolled: 1-line block ×3, first 2 shown]
	scratch_store_b128 off, v[6:9], off offset:224
	s_waitcnt vmcnt(0)
	ds_store_b128 v5, v[1:4]
.LBB15_81:
	s_or_b32 exec_lo, exec_lo, s2
	s_waitcnt lgkmcnt(0)
	s_waitcnt_vscnt null, 0x0
	s_barrier
	buffer_gl0_inv
	s_clause 0x1
	scratch_load_b128 v[6:9], off, off offset:240
	scratch_load_b128 v[61:64], off, off offset:224
	v_mov_b32_e32 v1, 0
	s_mov_b32 s2, exec_lo
	ds_load_b128 v[65:68], v1 offset:496
	s_waitcnt vmcnt(1) lgkmcnt(0)
	v_mul_f64 v[2:3], v[67:68], v[8:9]
	v_mul_f64 v[8:9], v[65:66], v[8:9]
	s_delay_alu instid0(VALU_DEP_2) | instskip(NEXT) | instid1(VALU_DEP_2)
	v_fma_f64 v[2:3], v[65:66], v[6:7], -v[2:3]
	v_fma_f64 v[6:7], v[67:68], v[6:7], v[8:9]
	s_delay_alu instid0(VALU_DEP_2) | instskip(NEXT) | instid1(VALU_DEP_2)
	v_add_f64 v[2:3], v[2:3], 0
	v_add_f64 v[8:9], v[6:7], 0
	s_waitcnt vmcnt(0)
	s_delay_alu instid0(VALU_DEP_2) | instskip(NEXT) | instid1(VALU_DEP_2)
	v_add_f64 v[6:7], v[61:62], -v[2:3]
	v_add_f64 v[8:9], v[63:64], -v[8:9]
	scratch_store_b128 off, v[6:9], off offset:224
	v_cmpx_lt_u32_e32 13, v45
	s_cbranch_execz .LBB15_83
; %bb.82:
	scratch_load_b128 v[6:9], v57, off
	v_mov_b32_e32 v2, v1
	v_mov_b32_e32 v3, v1
	;; [unrolled: 1-line block ×3, first 2 shown]
	scratch_store_b128 off, v[1:4], off offset:208
	s_waitcnt vmcnt(0)
	ds_store_b128 v5, v[6:9]
.LBB15_83:
	s_or_b32 exec_lo, exec_lo, s2
	s_waitcnt lgkmcnt(0)
	s_waitcnt_vscnt null, 0x0
	s_barrier
	buffer_gl0_inv
	s_clause 0x2
	scratch_load_b128 v[6:9], off, off offset:224
	scratch_load_b128 v[61:64], off, off offset:240
	;; [unrolled: 1-line block ×3, first 2 shown]
	ds_load_b128 v[69:72], v1 offset:480
	ds_load_b128 v[1:4], v1 offset:496
	s_mov_b32 s2, exec_lo
	s_waitcnt vmcnt(2) lgkmcnt(1)
	v_mul_f64 v[10:11], v[71:72], v[8:9]
	v_mul_f64 v[8:9], v[69:70], v[8:9]
	s_waitcnt vmcnt(1) lgkmcnt(0)
	v_mul_f64 v[73:74], v[1:2], v[63:64]
	v_mul_f64 v[63:64], v[3:4], v[63:64]
	s_delay_alu instid0(VALU_DEP_4) | instskip(NEXT) | instid1(VALU_DEP_4)
	v_fma_f64 v[10:11], v[69:70], v[6:7], -v[10:11]
	v_fma_f64 v[6:7], v[71:72], v[6:7], v[8:9]
	s_delay_alu instid0(VALU_DEP_4) | instskip(NEXT) | instid1(VALU_DEP_4)
	v_fma_f64 v[3:4], v[3:4], v[61:62], v[73:74]
	v_fma_f64 v[1:2], v[1:2], v[61:62], -v[63:64]
	s_delay_alu instid0(VALU_DEP_4) | instskip(NEXT) | instid1(VALU_DEP_4)
	v_add_f64 v[8:9], v[10:11], 0
	v_add_f64 v[6:7], v[6:7], 0
	s_delay_alu instid0(VALU_DEP_2) | instskip(NEXT) | instid1(VALU_DEP_2)
	v_add_f64 v[1:2], v[8:9], v[1:2]
	v_add_f64 v[3:4], v[6:7], v[3:4]
	s_waitcnt vmcnt(0)
	s_delay_alu instid0(VALU_DEP_2) | instskip(NEXT) | instid1(VALU_DEP_2)
	v_add_f64 v[1:2], v[65:66], -v[1:2]
	v_add_f64 v[3:4], v[67:68], -v[3:4]
	scratch_store_b128 off, v[1:4], off offset:208
	v_cmpx_lt_u32_e32 12, v45
	s_cbranch_execz .LBB15_85
; %bb.84:
	scratch_load_b128 v[1:4], v58, off
	v_mov_b32_e32 v6, 0
	s_delay_alu instid0(VALU_DEP_1)
	v_mov_b32_e32 v7, v6
	v_mov_b32_e32 v8, v6
	;; [unrolled: 1-line block ×3, first 2 shown]
	scratch_store_b128 off, v[6:9], off offset:192
	s_waitcnt vmcnt(0)
	ds_store_b128 v5, v[1:4]
.LBB15_85:
	s_or_b32 exec_lo, exec_lo, s2
	s_waitcnt lgkmcnt(0)
	s_waitcnt_vscnt null, 0x0
	s_barrier
	buffer_gl0_inv
	s_clause 0x3
	scratch_load_b128 v[6:9], off, off offset:208
	scratch_load_b128 v[61:64], off, off offset:224
	;; [unrolled: 1-line block ×4, first 2 shown]
	v_mov_b32_e32 v1, 0
	ds_load_b128 v[73:76], v1 offset:464
	ds_load_b128 v[77:80], v1 offset:480
	s_mov_b32 s2, exec_lo
	s_waitcnt vmcnt(3) lgkmcnt(1)
	v_mul_f64 v[2:3], v[75:76], v[8:9]
	v_mul_f64 v[8:9], v[73:74], v[8:9]
	s_waitcnt vmcnt(2) lgkmcnt(0)
	v_mul_f64 v[10:11], v[77:78], v[63:64]
	v_mul_f64 v[63:64], v[79:80], v[63:64]
	s_delay_alu instid0(VALU_DEP_4) | instskip(NEXT) | instid1(VALU_DEP_4)
	v_fma_f64 v[2:3], v[73:74], v[6:7], -v[2:3]
	v_fma_f64 v[73:74], v[75:76], v[6:7], v[8:9]
	ds_load_b128 v[6:9], v1 offset:496
	v_fma_f64 v[10:11], v[79:80], v[61:62], v[10:11]
	v_fma_f64 v[61:62], v[77:78], v[61:62], -v[63:64]
	s_waitcnt vmcnt(1) lgkmcnt(0)
	v_mul_f64 v[75:76], v[6:7], v[67:68]
	v_mul_f64 v[67:68], v[8:9], v[67:68]
	v_add_f64 v[2:3], v[2:3], 0
	v_add_f64 v[63:64], v[73:74], 0
	s_delay_alu instid0(VALU_DEP_4) | instskip(NEXT) | instid1(VALU_DEP_4)
	v_fma_f64 v[8:9], v[8:9], v[65:66], v[75:76]
	v_fma_f64 v[6:7], v[6:7], v[65:66], -v[67:68]
	s_delay_alu instid0(VALU_DEP_4) | instskip(NEXT) | instid1(VALU_DEP_4)
	v_add_f64 v[2:3], v[2:3], v[61:62]
	v_add_f64 v[10:11], v[63:64], v[10:11]
	s_delay_alu instid0(VALU_DEP_2) | instskip(NEXT) | instid1(VALU_DEP_2)
	v_add_f64 v[2:3], v[2:3], v[6:7]
	v_add_f64 v[8:9], v[10:11], v[8:9]
	s_waitcnt vmcnt(0)
	s_delay_alu instid0(VALU_DEP_2) | instskip(NEXT) | instid1(VALU_DEP_2)
	v_add_f64 v[6:7], v[69:70], -v[2:3]
	v_add_f64 v[8:9], v[71:72], -v[8:9]
	scratch_store_b128 off, v[6:9], off offset:192
	v_cmpx_lt_u32_e32 11, v45
	s_cbranch_execz .LBB15_87
; %bb.86:
	scratch_load_b128 v[6:9], v55, off
	v_mov_b32_e32 v2, v1
	v_mov_b32_e32 v3, v1
	v_mov_b32_e32 v4, v1
	scratch_store_b128 off, v[1:4], off offset:176
	s_waitcnt vmcnt(0)
	ds_store_b128 v5, v[6:9]
.LBB15_87:
	s_or_b32 exec_lo, exec_lo, s2
	s_waitcnt lgkmcnt(0)
	s_waitcnt_vscnt null, 0x0
	s_barrier
	buffer_gl0_inv
	s_clause 0x4
	scratch_load_b128 v[6:9], off, off offset:192
	scratch_load_b128 v[61:64], off, off offset:208
	;; [unrolled: 1-line block ×5, first 2 shown]
	ds_load_b128 v[77:80], v1 offset:448
	ds_load_b128 v[81:84], v1 offset:464
	s_mov_b32 s2, exec_lo
	s_waitcnt vmcnt(4) lgkmcnt(1)
	v_mul_f64 v[2:3], v[79:80], v[8:9]
	v_mul_f64 v[8:9], v[77:78], v[8:9]
	s_waitcnt vmcnt(3) lgkmcnt(0)
	v_mul_f64 v[10:11], v[81:82], v[63:64]
	v_mul_f64 v[63:64], v[83:84], v[63:64]
	s_delay_alu instid0(VALU_DEP_4) | instskip(NEXT) | instid1(VALU_DEP_4)
	v_fma_f64 v[77:78], v[77:78], v[6:7], -v[2:3]
	v_fma_f64 v[79:80], v[79:80], v[6:7], v[8:9]
	ds_load_b128 v[6:9], v1 offset:480
	ds_load_b128 v[1:4], v1 offset:496
	v_fma_f64 v[10:11], v[83:84], v[61:62], v[10:11]
	v_fma_f64 v[61:62], v[81:82], v[61:62], -v[63:64]
	s_waitcnt vmcnt(2) lgkmcnt(1)
	v_mul_f64 v[85:86], v[6:7], v[67:68]
	v_mul_f64 v[67:68], v[8:9], v[67:68]
	v_add_f64 v[63:64], v[77:78], 0
	v_add_f64 v[77:78], v[79:80], 0
	s_waitcnt vmcnt(1) lgkmcnt(0)
	v_mul_f64 v[79:80], v[1:2], v[71:72]
	v_mul_f64 v[71:72], v[3:4], v[71:72]
	v_fma_f64 v[8:9], v[8:9], v[65:66], v[85:86]
	v_fma_f64 v[6:7], v[6:7], v[65:66], -v[67:68]
	v_add_f64 v[61:62], v[63:64], v[61:62]
	v_add_f64 v[10:11], v[77:78], v[10:11]
	v_fma_f64 v[3:4], v[3:4], v[69:70], v[79:80]
	v_fma_f64 v[1:2], v[1:2], v[69:70], -v[71:72]
	s_delay_alu instid0(VALU_DEP_4) | instskip(NEXT) | instid1(VALU_DEP_4)
	v_add_f64 v[6:7], v[61:62], v[6:7]
	v_add_f64 v[8:9], v[10:11], v[8:9]
	s_delay_alu instid0(VALU_DEP_2) | instskip(NEXT) | instid1(VALU_DEP_2)
	v_add_f64 v[1:2], v[6:7], v[1:2]
	v_add_f64 v[3:4], v[8:9], v[3:4]
	s_waitcnt vmcnt(0)
	s_delay_alu instid0(VALU_DEP_2) | instskip(NEXT) | instid1(VALU_DEP_2)
	v_add_f64 v[1:2], v[73:74], -v[1:2]
	v_add_f64 v[3:4], v[75:76], -v[3:4]
	scratch_store_b128 off, v[1:4], off offset:176
	v_cmpx_lt_u32_e32 10, v45
	s_cbranch_execz .LBB15_89
; %bb.88:
	scratch_load_b128 v[1:4], v56, off
	v_mov_b32_e32 v6, 0
	s_delay_alu instid0(VALU_DEP_1)
	v_mov_b32_e32 v7, v6
	v_mov_b32_e32 v8, v6
	;; [unrolled: 1-line block ×3, first 2 shown]
	scratch_store_b128 off, v[6:9], off offset:160
	s_waitcnt vmcnt(0)
	ds_store_b128 v5, v[1:4]
.LBB15_89:
	s_or_b32 exec_lo, exec_lo, s2
	s_waitcnt lgkmcnt(0)
	s_waitcnt_vscnt null, 0x0
	s_barrier
	buffer_gl0_inv
	s_clause 0x5
	scratch_load_b128 v[6:9], off, off offset:176
	scratch_load_b128 v[61:64], off, off offset:192
	;; [unrolled: 1-line block ×6, first 2 shown]
	v_mov_b32_e32 v1, 0
	ds_load_b128 v[81:84], v1 offset:432
	ds_load_b128 v[85:88], v1 offset:448
	s_mov_b32 s2, exec_lo
	s_waitcnt vmcnt(5) lgkmcnt(1)
	v_mul_f64 v[2:3], v[83:84], v[8:9]
	v_mul_f64 v[8:9], v[81:82], v[8:9]
	s_waitcnt vmcnt(4) lgkmcnt(0)
	v_mul_f64 v[10:11], v[85:86], v[63:64]
	v_mul_f64 v[63:64], v[87:88], v[63:64]
	s_delay_alu instid0(VALU_DEP_4) | instskip(NEXT) | instid1(VALU_DEP_4)
	v_fma_f64 v[2:3], v[81:82], v[6:7], -v[2:3]
	v_fma_f64 v[89:90], v[83:84], v[6:7], v[8:9]
	ds_load_b128 v[6:9], v1 offset:464
	ds_load_b128 v[81:84], v1 offset:480
	v_fma_f64 v[10:11], v[87:88], v[61:62], v[10:11]
	v_fma_f64 v[61:62], v[85:86], v[61:62], -v[63:64]
	s_waitcnt vmcnt(3) lgkmcnt(1)
	v_mul_f64 v[91:92], v[6:7], v[67:68]
	v_mul_f64 v[67:68], v[8:9], v[67:68]
	s_waitcnt vmcnt(2) lgkmcnt(0)
	v_mul_f64 v[85:86], v[81:82], v[71:72]
	v_mul_f64 v[71:72], v[83:84], v[71:72]
	v_add_f64 v[2:3], v[2:3], 0
	v_add_f64 v[63:64], v[89:90], 0
	v_fma_f64 v[87:88], v[8:9], v[65:66], v[91:92]
	v_fma_f64 v[65:66], v[6:7], v[65:66], -v[67:68]
	ds_load_b128 v[6:9], v1 offset:496
	v_fma_f64 v[67:68], v[83:84], v[69:70], v[85:86]
	v_fma_f64 v[69:70], v[81:82], v[69:70], -v[71:72]
	v_add_f64 v[2:3], v[2:3], v[61:62]
	v_add_f64 v[10:11], v[63:64], v[10:11]
	s_waitcnt vmcnt(1) lgkmcnt(0)
	v_mul_f64 v[61:62], v[6:7], v[75:76]
	v_mul_f64 v[63:64], v[8:9], v[75:76]
	s_delay_alu instid0(VALU_DEP_4) | instskip(NEXT) | instid1(VALU_DEP_4)
	v_add_f64 v[2:3], v[2:3], v[65:66]
	v_add_f64 v[10:11], v[10:11], v[87:88]
	s_delay_alu instid0(VALU_DEP_4) | instskip(NEXT) | instid1(VALU_DEP_4)
	v_fma_f64 v[8:9], v[8:9], v[73:74], v[61:62]
	v_fma_f64 v[6:7], v[6:7], v[73:74], -v[63:64]
	s_delay_alu instid0(VALU_DEP_4) | instskip(NEXT) | instid1(VALU_DEP_4)
	v_add_f64 v[2:3], v[2:3], v[69:70]
	v_add_f64 v[10:11], v[10:11], v[67:68]
	s_delay_alu instid0(VALU_DEP_2) | instskip(NEXT) | instid1(VALU_DEP_2)
	v_add_f64 v[2:3], v[2:3], v[6:7]
	v_add_f64 v[8:9], v[10:11], v[8:9]
	s_waitcnt vmcnt(0)
	s_delay_alu instid0(VALU_DEP_2) | instskip(NEXT) | instid1(VALU_DEP_2)
	v_add_f64 v[6:7], v[77:78], -v[2:3]
	v_add_f64 v[8:9], v[79:80], -v[8:9]
	scratch_store_b128 off, v[6:9], off offset:160
	v_cmpx_lt_u32_e32 9, v45
	s_cbranch_execz .LBB15_91
; %bb.90:
	scratch_load_b128 v[6:9], v53, off
	v_mov_b32_e32 v2, v1
	v_mov_b32_e32 v3, v1
	;; [unrolled: 1-line block ×3, first 2 shown]
	scratch_store_b128 off, v[1:4], off offset:144
	s_waitcnt vmcnt(0)
	ds_store_b128 v5, v[6:9]
.LBB15_91:
	s_or_b32 exec_lo, exec_lo, s2
	s_waitcnt lgkmcnt(0)
	s_waitcnt_vscnt null, 0x0
	s_barrier
	buffer_gl0_inv
	s_clause 0x5
	scratch_load_b128 v[6:9], off, off offset:160
	scratch_load_b128 v[61:64], off, off offset:176
	;; [unrolled: 1-line block ×6, first 2 shown]
	ds_load_b128 v[81:84], v1 offset:416
	ds_load_b128 v[89:92], v1 offset:432
	scratch_load_b128 v[85:88], off, off offset:144
	s_mov_b32 s2, exec_lo
	s_waitcnt vmcnt(6) lgkmcnt(1)
	v_mul_f64 v[2:3], v[83:84], v[8:9]
	v_mul_f64 v[8:9], v[81:82], v[8:9]
	s_waitcnt vmcnt(5) lgkmcnt(0)
	v_mul_f64 v[10:11], v[89:90], v[63:64]
	v_mul_f64 v[63:64], v[91:92], v[63:64]
	s_delay_alu instid0(VALU_DEP_4) | instskip(NEXT) | instid1(VALU_DEP_4)
	v_fma_f64 v[2:3], v[81:82], v[6:7], -v[2:3]
	v_fma_f64 v[93:94], v[83:84], v[6:7], v[8:9]
	ds_load_b128 v[6:9], v1 offset:448
	ds_load_b128 v[81:84], v1 offset:464
	v_fma_f64 v[10:11], v[91:92], v[61:62], v[10:11]
	v_fma_f64 v[61:62], v[89:90], v[61:62], -v[63:64]
	s_waitcnt vmcnt(4) lgkmcnt(1)
	v_mul_f64 v[95:96], v[6:7], v[67:68]
	v_mul_f64 v[67:68], v[8:9], v[67:68]
	s_waitcnt vmcnt(3) lgkmcnt(0)
	v_mul_f64 v[89:90], v[81:82], v[71:72]
	v_mul_f64 v[71:72], v[83:84], v[71:72]
	v_add_f64 v[2:3], v[2:3], 0
	v_add_f64 v[63:64], v[93:94], 0
	v_fma_f64 v[91:92], v[8:9], v[65:66], v[95:96]
	v_fma_f64 v[65:66], v[6:7], v[65:66], -v[67:68]
	s_delay_alu instid0(VALU_DEP_4) | instskip(NEXT) | instid1(VALU_DEP_4)
	v_add_f64 v[61:62], v[2:3], v[61:62]
	v_add_f64 v[10:11], v[63:64], v[10:11]
	ds_load_b128 v[6:9], v1 offset:480
	ds_load_b128 v[1:4], v1 offset:496
	s_waitcnt vmcnt(2) lgkmcnt(1)
	v_mul_f64 v[63:64], v[6:7], v[75:76]
	v_mul_f64 v[67:68], v[8:9], v[75:76]
	v_fma_f64 v[75:76], v[83:84], v[69:70], v[89:90]
	v_fma_f64 v[69:70], v[81:82], v[69:70], -v[71:72]
	s_waitcnt vmcnt(1) lgkmcnt(0)
	v_mul_f64 v[71:72], v[3:4], v[79:80]
	v_add_f64 v[61:62], v[61:62], v[65:66]
	v_add_f64 v[10:11], v[10:11], v[91:92]
	v_mul_f64 v[65:66], v[1:2], v[79:80]
	v_fma_f64 v[8:9], v[8:9], v[73:74], v[63:64]
	v_fma_f64 v[6:7], v[6:7], v[73:74], -v[67:68]
	v_fma_f64 v[1:2], v[1:2], v[77:78], -v[71:72]
	v_add_f64 v[61:62], v[61:62], v[69:70]
	v_add_f64 v[10:11], v[10:11], v[75:76]
	v_fma_f64 v[3:4], v[3:4], v[77:78], v[65:66]
	s_delay_alu instid0(VALU_DEP_3) | instskip(NEXT) | instid1(VALU_DEP_3)
	v_add_f64 v[6:7], v[61:62], v[6:7]
	v_add_f64 v[8:9], v[10:11], v[8:9]
	s_delay_alu instid0(VALU_DEP_2) | instskip(NEXT) | instid1(VALU_DEP_2)
	v_add_f64 v[1:2], v[6:7], v[1:2]
	v_add_f64 v[3:4], v[8:9], v[3:4]
	s_waitcnt vmcnt(0)
	s_delay_alu instid0(VALU_DEP_2) | instskip(NEXT) | instid1(VALU_DEP_2)
	v_add_f64 v[1:2], v[85:86], -v[1:2]
	v_add_f64 v[3:4], v[87:88], -v[3:4]
	scratch_store_b128 off, v[1:4], off offset:144
	v_cmpx_lt_u32_e32 8, v45
	s_cbranch_execz .LBB15_93
; %bb.92:
	scratch_load_b128 v[1:4], v54, off
	v_mov_b32_e32 v6, 0
	s_delay_alu instid0(VALU_DEP_1)
	v_mov_b32_e32 v7, v6
	v_mov_b32_e32 v8, v6
	;; [unrolled: 1-line block ×3, first 2 shown]
	scratch_store_b128 off, v[6:9], off offset:128
	s_waitcnt vmcnt(0)
	ds_store_b128 v5, v[1:4]
.LBB15_93:
	s_or_b32 exec_lo, exec_lo, s2
	s_waitcnt lgkmcnt(0)
	s_waitcnt_vscnt null, 0x0
	s_barrier
	buffer_gl0_inv
	s_clause 0x6
	scratch_load_b128 v[6:9], off, off offset:144
	scratch_load_b128 v[61:64], off, off offset:160
	;; [unrolled: 1-line block ×7, first 2 shown]
	v_mov_b32_e32 v1, 0
	scratch_load_b128 v[89:92], off, off offset:128
	s_mov_b32 s2, exec_lo
	ds_load_b128 v[85:88], v1 offset:400
	ds_load_b128 v[93:96], v1 offset:416
	s_waitcnt vmcnt(7) lgkmcnt(1)
	v_mul_f64 v[2:3], v[87:88], v[8:9]
	v_mul_f64 v[8:9], v[85:86], v[8:9]
	s_waitcnt vmcnt(6) lgkmcnt(0)
	v_mul_f64 v[10:11], v[93:94], v[63:64]
	v_mul_f64 v[63:64], v[95:96], v[63:64]
	s_delay_alu instid0(VALU_DEP_4) | instskip(NEXT) | instid1(VALU_DEP_4)
	v_fma_f64 v[2:3], v[85:86], v[6:7], -v[2:3]
	v_fma_f64 v[97:98], v[87:88], v[6:7], v[8:9]
	ds_load_b128 v[6:9], v1 offset:432
	ds_load_b128 v[85:88], v1 offset:448
	v_fma_f64 v[10:11], v[95:96], v[61:62], v[10:11]
	v_fma_f64 v[61:62], v[93:94], v[61:62], -v[63:64]
	s_waitcnt vmcnt(5) lgkmcnt(1)
	v_mul_f64 v[99:100], v[6:7], v[67:68]
	v_mul_f64 v[67:68], v[8:9], v[67:68]
	s_waitcnt vmcnt(4) lgkmcnt(0)
	v_mul_f64 v[93:94], v[85:86], v[71:72]
	v_mul_f64 v[71:72], v[87:88], v[71:72]
	v_add_f64 v[2:3], v[2:3], 0
	v_add_f64 v[63:64], v[97:98], 0
	v_fma_f64 v[95:96], v[8:9], v[65:66], v[99:100]
	v_fma_f64 v[65:66], v[6:7], v[65:66], -v[67:68]
	v_fma_f64 v[87:88], v[87:88], v[69:70], v[93:94]
	v_fma_f64 v[69:70], v[85:86], v[69:70], -v[71:72]
	v_add_f64 v[2:3], v[2:3], v[61:62]
	v_add_f64 v[10:11], v[63:64], v[10:11]
	ds_load_b128 v[6:9], v1 offset:464
	ds_load_b128 v[61:64], v1 offset:480
	s_waitcnt vmcnt(3) lgkmcnt(1)
	v_mul_f64 v[67:68], v[6:7], v[75:76]
	v_mul_f64 v[75:76], v[8:9], v[75:76]
	s_waitcnt vmcnt(2) lgkmcnt(0)
	v_mul_f64 v[71:72], v[63:64], v[79:80]
	v_add_f64 v[2:3], v[2:3], v[65:66]
	v_add_f64 v[10:11], v[10:11], v[95:96]
	v_mul_f64 v[65:66], v[61:62], v[79:80]
	v_fma_f64 v[67:68], v[8:9], v[73:74], v[67:68]
	v_fma_f64 v[73:74], v[6:7], v[73:74], -v[75:76]
	ds_load_b128 v[6:9], v1 offset:496
	v_fma_f64 v[61:62], v[61:62], v[77:78], -v[71:72]
	v_add_f64 v[2:3], v[2:3], v[69:70]
	v_add_f64 v[10:11], v[10:11], v[87:88]
	v_fma_f64 v[63:64], v[63:64], v[77:78], v[65:66]
	s_waitcnt vmcnt(1) lgkmcnt(0)
	v_mul_f64 v[69:70], v[6:7], v[83:84]
	v_mul_f64 v[75:76], v[8:9], v[83:84]
	v_add_f64 v[2:3], v[2:3], v[73:74]
	v_add_f64 v[10:11], v[10:11], v[67:68]
	s_delay_alu instid0(VALU_DEP_4) | instskip(NEXT) | instid1(VALU_DEP_4)
	v_fma_f64 v[8:9], v[8:9], v[81:82], v[69:70]
	v_fma_f64 v[6:7], v[6:7], v[81:82], -v[75:76]
	s_delay_alu instid0(VALU_DEP_4) | instskip(NEXT) | instid1(VALU_DEP_4)
	v_add_f64 v[2:3], v[2:3], v[61:62]
	v_add_f64 v[10:11], v[10:11], v[63:64]
	s_delay_alu instid0(VALU_DEP_2) | instskip(NEXT) | instid1(VALU_DEP_2)
	v_add_f64 v[2:3], v[2:3], v[6:7]
	v_add_f64 v[8:9], v[10:11], v[8:9]
	s_waitcnt vmcnt(0)
	s_delay_alu instid0(VALU_DEP_2) | instskip(NEXT) | instid1(VALU_DEP_2)
	v_add_f64 v[6:7], v[89:90], -v[2:3]
	v_add_f64 v[8:9], v[91:92], -v[8:9]
	scratch_store_b128 off, v[6:9], off offset:128
	v_cmpx_lt_u32_e32 7, v45
	s_cbranch_execz .LBB15_95
; %bb.94:
	scratch_load_b128 v[6:9], v51, off
	v_mov_b32_e32 v2, v1
	v_mov_b32_e32 v3, v1
	;; [unrolled: 1-line block ×3, first 2 shown]
	scratch_store_b128 off, v[1:4], off offset:112
	s_waitcnt vmcnt(0)
	ds_store_b128 v5, v[6:9]
.LBB15_95:
	s_or_b32 exec_lo, exec_lo, s2
	s_waitcnt lgkmcnt(0)
	s_waitcnt_vscnt null, 0x0
	s_barrier
	buffer_gl0_inv
	s_clause 0x7
	scratch_load_b128 v[6:9], off, off offset:128
	scratch_load_b128 v[61:64], off, off offset:144
	;; [unrolled: 1-line block ×8, first 2 shown]
	ds_load_b128 v[89:92], v1 offset:384
	ds_load_b128 v[93:96], v1 offset:400
	scratch_load_b128 v[97:100], off, off offset:112
	s_mov_b32 s2, exec_lo
	s_waitcnt vmcnt(8) lgkmcnt(1)
	v_mul_f64 v[2:3], v[91:92], v[8:9]
	v_mul_f64 v[8:9], v[89:90], v[8:9]
	s_waitcnt vmcnt(7) lgkmcnt(0)
	v_mul_f64 v[10:11], v[93:94], v[63:64]
	v_mul_f64 v[63:64], v[95:96], v[63:64]
	s_delay_alu instid0(VALU_DEP_4) | instskip(NEXT) | instid1(VALU_DEP_4)
	v_fma_f64 v[2:3], v[89:90], v[6:7], -v[2:3]
	v_fma_f64 v[101:102], v[91:92], v[6:7], v[8:9]
	ds_load_b128 v[6:9], v1 offset:416
	ds_load_b128 v[89:92], v1 offset:432
	v_fma_f64 v[10:11], v[95:96], v[61:62], v[10:11]
	v_fma_f64 v[61:62], v[93:94], v[61:62], -v[63:64]
	s_waitcnt vmcnt(6) lgkmcnt(1)
	v_mul_f64 v[103:104], v[6:7], v[67:68]
	v_mul_f64 v[67:68], v[8:9], v[67:68]
	s_waitcnt vmcnt(5) lgkmcnt(0)
	v_mul_f64 v[93:94], v[89:90], v[71:72]
	v_mul_f64 v[71:72], v[91:92], v[71:72]
	v_add_f64 v[2:3], v[2:3], 0
	v_add_f64 v[63:64], v[101:102], 0
	v_fma_f64 v[95:96], v[8:9], v[65:66], v[103:104]
	v_fma_f64 v[65:66], v[6:7], v[65:66], -v[67:68]
	v_fma_f64 v[91:92], v[91:92], v[69:70], v[93:94]
	v_fma_f64 v[69:70], v[89:90], v[69:70], -v[71:72]
	v_add_f64 v[2:3], v[2:3], v[61:62]
	v_add_f64 v[10:11], v[63:64], v[10:11]
	ds_load_b128 v[6:9], v1 offset:448
	ds_load_b128 v[61:64], v1 offset:464
	s_waitcnt vmcnt(4) lgkmcnt(1)
	v_mul_f64 v[67:68], v[6:7], v[75:76]
	v_mul_f64 v[75:76], v[8:9], v[75:76]
	s_waitcnt vmcnt(3) lgkmcnt(0)
	v_mul_f64 v[71:72], v[63:64], v[79:80]
	v_add_f64 v[2:3], v[2:3], v[65:66]
	v_add_f64 v[10:11], v[10:11], v[95:96]
	v_mul_f64 v[65:66], v[61:62], v[79:80]
	v_fma_f64 v[67:68], v[8:9], v[73:74], v[67:68]
	v_fma_f64 v[73:74], v[6:7], v[73:74], -v[75:76]
	v_fma_f64 v[61:62], v[61:62], v[77:78], -v[71:72]
	v_add_f64 v[69:70], v[2:3], v[69:70]
	v_add_f64 v[10:11], v[10:11], v[91:92]
	ds_load_b128 v[6:9], v1 offset:480
	ds_load_b128 v[1:4], v1 offset:496
	v_fma_f64 v[63:64], v[63:64], v[77:78], v[65:66]
	s_waitcnt vmcnt(2) lgkmcnt(1)
	v_mul_f64 v[75:76], v[6:7], v[83:84]
	v_mul_f64 v[79:80], v[8:9], v[83:84]
	v_add_f64 v[65:66], v[69:70], v[73:74]
	v_add_f64 v[10:11], v[10:11], v[67:68]
	s_waitcnt vmcnt(1) lgkmcnt(0)
	v_mul_f64 v[67:68], v[1:2], v[87:88]
	v_mul_f64 v[69:70], v[3:4], v[87:88]
	v_fma_f64 v[8:9], v[8:9], v[81:82], v[75:76]
	v_fma_f64 v[6:7], v[6:7], v[81:82], -v[79:80]
	v_add_f64 v[61:62], v[65:66], v[61:62]
	v_add_f64 v[10:11], v[10:11], v[63:64]
	v_fma_f64 v[3:4], v[3:4], v[85:86], v[67:68]
	v_fma_f64 v[1:2], v[1:2], v[85:86], -v[69:70]
	s_delay_alu instid0(VALU_DEP_4) | instskip(NEXT) | instid1(VALU_DEP_4)
	v_add_f64 v[6:7], v[61:62], v[6:7]
	v_add_f64 v[8:9], v[10:11], v[8:9]
	s_delay_alu instid0(VALU_DEP_2) | instskip(NEXT) | instid1(VALU_DEP_2)
	v_add_f64 v[1:2], v[6:7], v[1:2]
	v_add_f64 v[3:4], v[8:9], v[3:4]
	s_waitcnt vmcnt(0)
	s_delay_alu instid0(VALU_DEP_2) | instskip(NEXT) | instid1(VALU_DEP_2)
	v_add_f64 v[1:2], v[97:98], -v[1:2]
	v_add_f64 v[3:4], v[99:100], -v[3:4]
	scratch_store_b128 off, v[1:4], off offset:112
	v_cmpx_lt_u32_e32 6, v45
	s_cbranch_execz .LBB15_97
; %bb.96:
	scratch_load_b128 v[1:4], v52, off
	v_mov_b32_e32 v6, 0
	s_delay_alu instid0(VALU_DEP_1)
	v_mov_b32_e32 v7, v6
	v_mov_b32_e32 v8, v6
	v_mov_b32_e32 v9, v6
	scratch_store_b128 off, v[6:9], off offset:96
	s_waitcnt vmcnt(0)
	ds_store_b128 v5, v[1:4]
.LBB15_97:
	s_or_b32 exec_lo, exec_lo, s2
	s_waitcnt lgkmcnt(0)
	s_waitcnt_vscnt null, 0x0
	s_barrier
	buffer_gl0_inv
	s_clause 0x7
	scratch_load_b128 v[6:9], off, off offset:112
	scratch_load_b128 v[61:64], off, off offset:128
	;; [unrolled: 1-line block ×8, first 2 shown]
	v_mov_b32_e32 v1, 0
	s_mov_b32 s2, exec_lo
	ds_load_b128 v[89:92], v1 offset:368
	s_clause 0x1
	scratch_load_b128 v[93:96], off, off offset:240
	scratch_load_b128 v[97:100], off, off offset:96
	ds_load_b128 v[101:104], v1 offset:384
	s_waitcnt vmcnt(9) lgkmcnt(1)
	v_mul_f64 v[2:3], v[91:92], v[8:9]
	v_mul_f64 v[8:9], v[89:90], v[8:9]
	s_waitcnt vmcnt(8) lgkmcnt(0)
	v_mul_f64 v[10:11], v[101:102], v[63:64]
	v_mul_f64 v[63:64], v[103:104], v[63:64]
	s_delay_alu instid0(VALU_DEP_4) | instskip(NEXT) | instid1(VALU_DEP_4)
	v_fma_f64 v[2:3], v[89:90], v[6:7], -v[2:3]
	v_fma_f64 v[105:106], v[91:92], v[6:7], v[8:9]
	ds_load_b128 v[6:9], v1 offset:400
	ds_load_b128 v[89:92], v1 offset:416
	v_fma_f64 v[10:11], v[103:104], v[61:62], v[10:11]
	v_fma_f64 v[61:62], v[101:102], v[61:62], -v[63:64]
	s_waitcnt vmcnt(7) lgkmcnt(1)
	v_mul_f64 v[107:108], v[6:7], v[67:68]
	v_mul_f64 v[67:68], v[8:9], v[67:68]
	s_waitcnt vmcnt(6) lgkmcnt(0)
	v_mul_f64 v[101:102], v[89:90], v[71:72]
	v_mul_f64 v[71:72], v[91:92], v[71:72]
	v_add_f64 v[2:3], v[2:3], 0
	v_add_f64 v[63:64], v[105:106], 0
	v_fma_f64 v[103:104], v[8:9], v[65:66], v[107:108]
	v_fma_f64 v[65:66], v[6:7], v[65:66], -v[67:68]
	v_fma_f64 v[91:92], v[91:92], v[69:70], v[101:102]
	v_fma_f64 v[69:70], v[89:90], v[69:70], -v[71:72]
	v_add_f64 v[2:3], v[2:3], v[61:62]
	v_add_f64 v[10:11], v[63:64], v[10:11]
	ds_load_b128 v[6:9], v1 offset:432
	ds_load_b128 v[61:64], v1 offset:448
	s_waitcnt vmcnt(5) lgkmcnt(1)
	v_mul_f64 v[67:68], v[6:7], v[75:76]
	v_mul_f64 v[75:76], v[8:9], v[75:76]
	s_waitcnt vmcnt(4) lgkmcnt(0)
	v_mul_f64 v[71:72], v[61:62], v[79:80]
	v_mul_f64 v[79:80], v[63:64], v[79:80]
	v_add_f64 v[2:3], v[2:3], v[65:66]
	v_add_f64 v[10:11], v[10:11], v[103:104]
	v_fma_f64 v[89:90], v[8:9], v[73:74], v[67:68]
	v_fma_f64 v[73:74], v[6:7], v[73:74], -v[75:76]
	ds_load_b128 v[6:9], v1 offset:464
	ds_load_b128 v[65:68], v1 offset:480
	v_fma_f64 v[63:64], v[63:64], v[77:78], v[71:72]
	v_fma_f64 v[61:62], v[61:62], v[77:78], -v[79:80]
	v_add_f64 v[2:3], v[2:3], v[69:70]
	v_add_f64 v[10:11], v[10:11], v[91:92]
	s_waitcnt vmcnt(3) lgkmcnt(1)
	v_mul_f64 v[69:70], v[6:7], v[83:84]
	v_mul_f64 v[75:76], v[8:9], v[83:84]
	s_waitcnt vmcnt(2) lgkmcnt(0)
	v_mul_f64 v[71:72], v[65:66], v[87:88]
	v_add_f64 v[2:3], v[2:3], v[73:74]
	v_add_f64 v[10:11], v[10:11], v[89:90]
	v_mul_f64 v[73:74], v[67:68], v[87:88]
	v_fma_f64 v[69:70], v[8:9], v[81:82], v[69:70]
	v_fma_f64 v[75:76], v[6:7], v[81:82], -v[75:76]
	ds_load_b128 v[6:9], v1 offset:496
	v_fma_f64 v[67:68], v[67:68], v[85:86], v[71:72]
	v_add_f64 v[2:3], v[2:3], v[61:62]
	v_add_f64 v[10:11], v[10:11], v[63:64]
	s_waitcnt vmcnt(1) lgkmcnt(0)
	v_mul_f64 v[61:62], v[6:7], v[95:96]
	v_mul_f64 v[63:64], v[8:9], v[95:96]
	v_fma_f64 v[65:66], v[65:66], v[85:86], -v[73:74]
	v_add_f64 v[2:3], v[2:3], v[75:76]
	v_add_f64 v[10:11], v[10:11], v[69:70]
	v_fma_f64 v[8:9], v[8:9], v[93:94], v[61:62]
	v_fma_f64 v[6:7], v[6:7], v[93:94], -v[63:64]
	s_delay_alu instid0(VALU_DEP_4) | instskip(NEXT) | instid1(VALU_DEP_4)
	v_add_f64 v[2:3], v[2:3], v[65:66]
	v_add_f64 v[10:11], v[10:11], v[67:68]
	s_delay_alu instid0(VALU_DEP_2) | instskip(NEXT) | instid1(VALU_DEP_2)
	v_add_f64 v[2:3], v[2:3], v[6:7]
	v_add_f64 v[8:9], v[10:11], v[8:9]
	s_waitcnt vmcnt(0)
	s_delay_alu instid0(VALU_DEP_2) | instskip(NEXT) | instid1(VALU_DEP_2)
	v_add_f64 v[6:7], v[97:98], -v[2:3]
	v_add_f64 v[8:9], v[99:100], -v[8:9]
	scratch_store_b128 off, v[6:9], off offset:96
	v_cmpx_lt_u32_e32 5, v45
	s_cbranch_execz .LBB15_99
; %bb.98:
	scratch_load_b128 v[6:9], v48, off
	v_mov_b32_e32 v2, v1
	v_mov_b32_e32 v3, v1
	;; [unrolled: 1-line block ×3, first 2 shown]
	scratch_store_b128 off, v[1:4], off offset:80
	s_waitcnt vmcnt(0)
	ds_store_b128 v5, v[6:9]
.LBB15_99:
	s_or_b32 exec_lo, exec_lo, s2
	s_waitcnt lgkmcnt(0)
	s_waitcnt_vscnt null, 0x0
	s_barrier
	buffer_gl0_inv
	s_clause 0x8
	scratch_load_b128 v[6:9], off, off offset:96
	scratch_load_b128 v[61:64], off, off offset:112
	scratch_load_b128 v[65:68], off, off offset:128
	scratch_load_b128 v[69:72], off, off offset:144
	scratch_load_b128 v[73:76], off, off offset:160
	scratch_load_b128 v[77:80], off, off offset:176
	scratch_load_b128 v[81:84], off, off offset:192
	scratch_load_b128 v[85:88], off, off offset:208
	scratch_load_b128 v[89:92], off, off offset:224
	ds_load_b128 v[93:96], v1 offset:352
	ds_load_b128 v[97:100], v1 offset:368
	scratch_load_b128 v[101:104], off, off offset:80
	s_mov_b32 s2, exec_lo
	s_waitcnt vmcnt(9) lgkmcnt(1)
	v_mul_f64 v[2:3], v[95:96], v[8:9]
	v_mul_f64 v[105:106], v[93:94], v[8:9]
	scratch_load_b128 v[8:11], off, off offset:240
	s_waitcnt vmcnt(9) lgkmcnt(0)
	v_mul_f64 v[109:110], v[97:98], v[63:64]
	v_mul_f64 v[63:64], v[99:100], v[63:64]
	v_fma_f64 v[2:3], v[93:94], v[6:7], -v[2:3]
	v_fma_f64 v[6:7], v[95:96], v[6:7], v[105:106]
	ds_load_b128 v[93:96], v1 offset:384
	ds_load_b128 v[105:108], v1 offset:400
	v_fma_f64 v[99:100], v[99:100], v[61:62], v[109:110]
	v_fma_f64 v[61:62], v[97:98], v[61:62], -v[63:64]
	s_waitcnt vmcnt(8) lgkmcnt(1)
	v_mul_f64 v[111:112], v[93:94], v[67:68]
	v_mul_f64 v[67:68], v[95:96], v[67:68]
	s_waitcnt vmcnt(7) lgkmcnt(0)
	v_mul_f64 v[97:98], v[105:106], v[71:72]
	v_mul_f64 v[71:72], v[107:108], v[71:72]
	v_add_f64 v[2:3], v[2:3], 0
	v_add_f64 v[6:7], v[6:7], 0
	v_fma_f64 v[95:96], v[95:96], v[65:66], v[111:112]
	v_fma_f64 v[93:94], v[93:94], v[65:66], -v[67:68]
	v_fma_f64 v[97:98], v[107:108], v[69:70], v[97:98]
	v_fma_f64 v[69:70], v[105:106], v[69:70], -v[71:72]
	v_add_f64 v[2:3], v[2:3], v[61:62]
	v_add_f64 v[6:7], v[6:7], v[99:100]
	ds_load_b128 v[61:64], v1 offset:416
	ds_load_b128 v[65:68], v1 offset:432
	s_waitcnt vmcnt(6) lgkmcnt(1)
	v_mul_f64 v[99:100], v[61:62], v[75:76]
	v_mul_f64 v[75:76], v[63:64], v[75:76]
	v_add_f64 v[2:3], v[2:3], v[93:94]
	v_add_f64 v[6:7], v[6:7], v[95:96]
	s_waitcnt vmcnt(5) lgkmcnt(0)
	v_mul_f64 v[93:94], v[65:66], v[79:80]
	v_mul_f64 v[79:80], v[67:68], v[79:80]
	v_fma_f64 v[95:96], v[63:64], v[73:74], v[99:100]
	v_fma_f64 v[73:74], v[61:62], v[73:74], -v[75:76]
	v_add_f64 v[2:3], v[2:3], v[69:70]
	v_add_f64 v[6:7], v[6:7], v[97:98]
	ds_load_b128 v[61:64], v1 offset:448
	ds_load_b128 v[69:72], v1 offset:464
	v_fma_f64 v[67:68], v[67:68], v[77:78], v[93:94]
	v_fma_f64 v[65:66], v[65:66], v[77:78], -v[79:80]
	s_waitcnt vmcnt(4) lgkmcnt(1)
	v_mul_f64 v[75:76], v[61:62], v[83:84]
	v_mul_f64 v[83:84], v[63:64], v[83:84]
	s_waitcnt vmcnt(3) lgkmcnt(0)
	v_mul_f64 v[77:78], v[71:72], v[87:88]
	v_add_f64 v[2:3], v[2:3], v[73:74]
	v_add_f64 v[6:7], v[6:7], v[95:96]
	v_mul_f64 v[73:74], v[69:70], v[87:88]
	v_fma_f64 v[75:76], v[63:64], v[81:82], v[75:76]
	v_fma_f64 v[79:80], v[61:62], v[81:82], -v[83:84]
	v_fma_f64 v[69:70], v[69:70], v[85:86], -v[77:78]
	v_add_f64 v[65:66], v[2:3], v[65:66]
	v_add_f64 v[6:7], v[6:7], v[67:68]
	ds_load_b128 v[61:64], v1 offset:480
	ds_load_b128 v[1:4], v1 offset:496
	v_fma_f64 v[71:72], v[71:72], v[85:86], v[73:74]
	s_waitcnt vmcnt(2) lgkmcnt(1)
	v_mul_f64 v[67:68], v[61:62], v[91:92]
	v_mul_f64 v[81:82], v[63:64], v[91:92]
	v_add_f64 v[65:66], v[65:66], v[79:80]
	v_add_f64 v[6:7], v[6:7], v[75:76]
	s_waitcnt vmcnt(0) lgkmcnt(0)
	v_mul_f64 v[73:74], v[1:2], v[10:11]
	v_mul_f64 v[10:11], v[3:4], v[10:11]
	v_fma_f64 v[63:64], v[63:64], v[89:90], v[67:68]
	v_fma_f64 v[61:62], v[61:62], v[89:90], -v[81:82]
	v_add_f64 v[65:66], v[65:66], v[69:70]
	v_add_f64 v[6:7], v[6:7], v[71:72]
	v_fma_f64 v[3:4], v[3:4], v[8:9], v[73:74]
	v_fma_f64 v[1:2], v[1:2], v[8:9], -v[10:11]
	s_delay_alu instid0(VALU_DEP_4) | instskip(NEXT) | instid1(VALU_DEP_4)
	v_add_f64 v[8:9], v[65:66], v[61:62]
	v_add_f64 v[6:7], v[6:7], v[63:64]
	s_delay_alu instid0(VALU_DEP_2) | instskip(NEXT) | instid1(VALU_DEP_2)
	v_add_f64 v[1:2], v[8:9], v[1:2]
	v_add_f64 v[3:4], v[6:7], v[3:4]
	s_delay_alu instid0(VALU_DEP_2) | instskip(NEXT) | instid1(VALU_DEP_2)
	v_add_f64 v[1:2], v[101:102], -v[1:2]
	v_add_f64 v[3:4], v[103:104], -v[3:4]
	scratch_store_b128 off, v[1:4], off offset:80
	v_cmpx_lt_u32_e32 4, v45
	s_cbranch_execz .LBB15_101
; %bb.100:
	scratch_load_b128 v[1:4], v50, off
	v_mov_b32_e32 v6, 0
	s_delay_alu instid0(VALU_DEP_1)
	v_mov_b32_e32 v7, v6
	v_mov_b32_e32 v8, v6
	v_mov_b32_e32 v9, v6
	scratch_store_b128 off, v[6:9], off offset:64
	s_waitcnt vmcnt(0)
	ds_store_b128 v5, v[1:4]
.LBB15_101:
	s_or_b32 exec_lo, exec_lo, s2
	s_waitcnt lgkmcnt(0)
	s_waitcnt_vscnt null, 0x0
	s_barrier
	buffer_gl0_inv
	s_clause 0x7
	scratch_load_b128 v[6:9], off, off offset:80
	scratch_load_b128 v[61:64], off, off offset:96
	;; [unrolled: 1-line block ×8, first 2 shown]
	v_mov_b32_e32 v1, 0
	s_mov_b32 s2, exec_lo
	ds_load_b128 v[89:92], v1 offset:336
	s_clause 0x1
	scratch_load_b128 v[93:96], off, off offset:208
	scratch_load_b128 v[97:100], off, off offset:64
	ds_load_b128 v[101:104], v1 offset:352
	ds_load_b128 v[109:112], v1 offset:384
	s_waitcnt vmcnt(9) lgkmcnt(2)
	v_mul_f64 v[2:3], v[91:92], v[8:9]
	v_mul_f64 v[105:106], v[89:90], v[8:9]
	scratch_load_b128 v[8:11], off, off offset:224
	v_fma_f64 v[2:3], v[89:90], v[6:7], -v[2:3]
	v_fma_f64 v[6:7], v[91:92], v[6:7], v[105:106]
	scratch_load_b128 v[105:108], off, off offset:240
	ds_load_b128 v[89:92], v1 offset:368
	s_waitcnt vmcnt(10) lgkmcnt(2)
	v_mul_f64 v[113:114], v[101:102], v[63:64]
	v_mul_f64 v[63:64], v[103:104], v[63:64]
	s_waitcnt vmcnt(9) lgkmcnt(0)
	v_mul_f64 v[115:116], v[89:90], v[67:68]
	v_mul_f64 v[67:68], v[91:92], v[67:68]
	v_add_f64 v[2:3], v[2:3], 0
	v_add_f64 v[6:7], v[6:7], 0
	v_fma_f64 v[103:104], v[103:104], v[61:62], v[113:114]
	v_fma_f64 v[61:62], v[101:102], v[61:62], -v[63:64]
	s_waitcnt vmcnt(8)
	v_mul_f64 v[101:102], v[109:110], v[71:72]
	v_mul_f64 v[71:72], v[111:112], v[71:72]
	v_fma_f64 v[91:92], v[91:92], v[65:66], v[115:116]
	v_fma_f64 v[89:90], v[89:90], v[65:66], -v[67:68]
	v_add_f64 v[6:7], v[6:7], v[103:104]
	v_add_f64 v[2:3], v[2:3], v[61:62]
	ds_load_b128 v[61:64], v1 offset:400
	ds_load_b128 v[65:68], v1 offset:416
	v_fma_f64 v[101:102], v[111:112], v[69:70], v[101:102]
	v_fma_f64 v[69:70], v[109:110], v[69:70], -v[71:72]
	s_waitcnt vmcnt(7) lgkmcnt(1)
	v_mul_f64 v[103:104], v[61:62], v[75:76]
	v_mul_f64 v[75:76], v[63:64], v[75:76]
	v_add_f64 v[6:7], v[6:7], v[91:92]
	v_add_f64 v[2:3], v[2:3], v[89:90]
	s_waitcnt vmcnt(6) lgkmcnt(0)
	v_mul_f64 v[89:90], v[65:66], v[79:80]
	v_mul_f64 v[79:80], v[67:68], v[79:80]
	v_fma_f64 v[91:92], v[63:64], v[73:74], v[103:104]
	v_fma_f64 v[73:74], v[61:62], v[73:74], -v[75:76]
	v_add_f64 v[6:7], v[6:7], v[101:102]
	v_add_f64 v[2:3], v[2:3], v[69:70]
	ds_load_b128 v[61:64], v1 offset:432
	ds_load_b128 v[69:72], v1 offset:448
	v_fma_f64 v[67:68], v[67:68], v[77:78], v[89:90]
	v_fma_f64 v[65:66], v[65:66], v[77:78], -v[79:80]
	s_waitcnt vmcnt(5) lgkmcnt(1)
	v_mul_f64 v[75:76], v[61:62], v[83:84]
	v_mul_f64 v[83:84], v[63:64], v[83:84]
	s_waitcnt vmcnt(4) lgkmcnt(0)
	v_mul_f64 v[77:78], v[71:72], v[87:88]
	v_add_f64 v[6:7], v[6:7], v[91:92]
	v_add_f64 v[2:3], v[2:3], v[73:74]
	v_mul_f64 v[73:74], v[69:70], v[87:88]
	v_fma_f64 v[75:76], v[63:64], v[81:82], v[75:76]
	v_fma_f64 v[79:80], v[61:62], v[81:82], -v[83:84]
	v_fma_f64 v[69:70], v[69:70], v[85:86], -v[77:78]
	v_add_f64 v[6:7], v[6:7], v[67:68]
	v_add_f64 v[2:3], v[2:3], v[65:66]
	ds_load_b128 v[61:64], v1 offset:464
	ds_load_b128 v[65:68], v1 offset:480
	v_fma_f64 v[71:72], v[71:72], v[85:86], v[73:74]
	s_waitcnt vmcnt(3) lgkmcnt(1)
	v_mul_f64 v[81:82], v[61:62], v[95:96]
	v_mul_f64 v[83:84], v[63:64], v[95:96]
	v_add_f64 v[6:7], v[6:7], v[75:76]
	v_add_f64 v[2:3], v[2:3], v[79:80]
	s_waitcnt vmcnt(1) lgkmcnt(0)
	v_mul_f64 v[73:74], v[65:66], v[10:11]
	v_mul_f64 v[10:11], v[67:68], v[10:11]
	v_fma_f64 v[75:76], v[63:64], v[93:94], v[81:82]
	v_fma_f64 v[77:78], v[61:62], v[93:94], -v[83:84]
	ds_load_b128 v[61:64], v1 offset:496
	v_add_f64 v[6:7], v[6:7], v[71:72]
	v_add_f64 v[2:3], v[2:3], v[69:70]
	s_waitcnt vmcnt(0) lgkmcnt(0)
	v_mul_f64 v[69:70], v[61:62], v[107:108]
	v_mul_f64 v[71:72], v[63:64], v[107:108]
	v_fma_f64 v[67:68], v[67:68], v[8:9], v[73:74]
	v_fma_f64 v[8:9], v[65:66], v[8:9], -v[10:11]
	v_add_f64 v[6:7], v[6:7], v[75:76]
	v_add_f64 v[2:3], v[2:3], v[77:78]
	v_fma_f64 v[10:11], v[63:64], v[105:106], v[69:70]
	v_fma_f64 v[61:62], v[61:62], v[105:106], -v[71:72]
	s_delay_alu instid0(VALU_DEP_4) | instskip(NEXT) | instid1(VALU_DEP_4)
	v_add_f64 v[6:7], v[6:7], v[67:68]
	v_add_f64 v[2:3], v[2:3], v[8:9]
	s_delay_alu instid0(VALU_DEP_2) | instskip(NEXT) | instid1(VALU_DEP_2)
	v_add_f64 v[8:9], v[6:7], v[10:11]
	v_add_f64 v[2:3], v[2:3], v[61:62]
	s_delay_alu instid0(VALU_DEP_2) | instskip(NEXT) | instid1(VALU_DEP_2)
	v_add_f64 v[8:9], v[99:100], -v[8:9]
	v_add_f64 v[6:7], v[97:98], -v[2:3]
	scratch_store_b128 off, v[6:9], off offset:64
	v_cmpx_lt_u32_e32 3, v45
	s_cbranch_execz .LBB15_103
; %bb.102:
	scratch_load_b128 v[6:9], v46, off
	v_mov_b32_e32 v2, v1
	v_mov_b32_e32 v3, v1
	;; [unrolled: 1-line block ×3, first 2 shown]
	scratch_store_b128 off, v[1:4], off offset:48
	s_waitcnt vmcnt(0)
	ds_store_b128 v5, v[6:9]
.LBB15_103:
	s_or_b32 exec_lo, exec_lo, s2
	s_waitcnt lgkmcnt(0)
	s_waitcnt_vscnt null, 0x0
	s_barrier
	buffer_gl0_inv
	s_clause 0x8
	scratch_load_b128 v[6:9], off, off offset:64
	scratch_load_b128 v[61:64], off, off offset:80
	;; [unrolled: 1-line block ×9, first 2 shown]
	ds_load_b128 v[93:96], v1 offset:320
	ds_load_b128 v[97:100], v1 offset:336
	scratch_load_b128 v[101:104], off, off offset:48
	s_mov_b32 s2, exec_lo
	ds_load_b128 v[109:112], v1 offset:368
	s_waitcnt vmcnt(9) lgkmcnt(2)
	v_mul_f64 v[2:3], v[95:96], v[8:9]
	v_mul_f64 v[105:106], v[93:94], v[8:9]
	scratch_load_b128 v[8:11], off, off offset:208
	s_waitcnt vmcnt(9) lgkmcnt(1)
	v_mul_f64 v[113:114], v[97:98], v[63:64]
	v_mul_f64 v[63:64], v[99:100], v[63:64]
	v_fma_f64 v[2:3], v[93:94], v[6:7], -v[2:3]
	v_fma_f64 v[6:7], v[95:96], v[6:7], v[105:106]
	ds_load_b128 v[93:96], v1 offset:352
	scratch_load_b128 v[105:108], off, off offset:224
	v_fma_f64 v[99:100], v[99:100], v[61:62], v[113:114]
	v_fma_f64 v[97:98], v[97:98], v[61:62], -v[63:64]
	scratch_load_b128 v[61:64], off, off offset:240
	s_waitcnt vmcnt(9) lgkmcnt(1)
	v_mul_f64 v[113:114], v[109:110], v[71:72]
	v_mul_f64 v[71:72], v[111:112], v[71:72]
	s_waitcnt lgkmcnt(0)
	v_mul_f64 v[115:116], v[93:94], v[67:68]
	v_mul_f64 v[67:68], v[95:96], v[67:68]
	v_add_f64 v[2:3], v[2:3], 0
	v_add_f64 v[6:7], v[6:7], 0
	s_delay_alu instid0(VALU_DEP_4) | instskip(NEXT) | instid1(VALU_DEP_4)
	v_fma_f64 v[115:116], v[95:96], v[65:66], v[115:116]
	v_fma_f64 v[117:118], v[93:94], v[65:66], -v[67:68]
	ds_load_b128 v[65:68], v1 offset:384
	ds_load_b128 v[93:96], v1 offset:400
	v_add_f64 v[2:3], v[2:3], v[97:98]
	v_add_f64 v[6:7], v[6:7], v[99:100]
	v_fma_f64 v[99:100], v[111:112], v[69:70], v[113:114]
	v_fma_f64 v[69:70], v[109:110], v[69:70], -v[71:72]
	s_waitcnt vmcnt(8) lgkmcnt(1)
	v_mul_f64 v[97:98], v[65:66], v[75:76]
	v_mul_f64 v[75:76], v[67:68], v[75:76]
	s_waitcnt vmcnt(7) lgkmcnt(0)
	v_mul_f64 v[109:110], v[93:94], v[79:80]
	v_mul_f64 v[79:80], v[95:96], v[79:80]
	v_add_f64 v[2:3], v[2:3], v[117:118]
	v_add_f64 v[6:7], v[6:7], v[115:116]
	v_fma_f64 v[97:98], v[67:68], v[73:74], v[97:98]
	v_fma_f64 v[73:74], v[65:66], v[73:74], -v[75:76]
	v_fma_f64 v[95:96], v[95:96], v[77:78], v[109:110]
	v_fma_f64 v[77:78], v[93:94], v[77:78], -v[79:80]
	v_add_f64 v[2:3], v[2:3], v[69:70]
	v_add_f64 v[6:7], v[6:7], v[99:100]
	ds_load_b128 v[65:68], v1 offset:416
	ds_load_b128 v[69:72], v1 offset:432
	s_waitcnt vmcnt(6) lgkmcnt(1)
	v_mul_f64 v[75:76], v[65:66], v[83:84]
	v_mul_f64 v[83:84], v[67:68], v[83:84]
	s_waitcnt vmcnt(5) lgkmcnt(0)
	v_mul_f64 v[79:80], v[69:70], v[87:88]
	v_mul_f64 v[87:88], v[71:72], v[87:88]
	v_add_f64 v[2:3], v[2:3], v[73:74]
	v_add_f64 v[6:7], v[6:7], v[97:98]
	v_fma_f64 v[93:94], v[67:68], v[81:82], v[75:76]
	v_fma_f64 v[81:82], v[65:66], v[81:82], -v[83:84]
	ds_load_b128 v[65:68], v1 offset:448
	ds_load_b128 v[73:76], v1 offset:464
	v_fma_f64 v[71:72], v[71:72], v[85:86], v[79:80]
	v_fma_f64 v[69:70], v[69:70], v[85:86], -v[87:88]
	v_add_f64 v[2:3], v[2:3], v[77:78]
	v_add_f64 v[6:7], v[6:7], v[95:96]
	s_waitcnt vmcnt(4) lgkmcnt(1)
	v_mul_f64 v[77:78], v[65:66], v[91:92]
	v_mul_f64 v[83:84], v[67:68], v[91:92]
	s_delay_alu instid0(VALU_DEP_4) | instskip(NEXT) | instid1(VALU_DEP_4)
	v_add_f64 v[2:3], v[2:3], v[81:82]
	v_add_f64 v[6:7], v[6:7], v[93:94]
	s_delay_alu instid0(VALU_DEP_4) | instskip(NEXT) | instid1(VALU_DEP_4)
	v_fma_f64 v[77:78], v[67:68], v[89:90], v[77:78]
	v_fma_f64 v[81:82], v[65:66], v[89:90], -v[83:84]
	s_waitcnt vmcnt(2) lgkmcnt(0)
	v_mul_f64 v[79:80], v[73:74], v[10:11]
	v_mul_f64 v[10:11], v[75:76], v[10:11]
	v_add_f64 v[69:70], v[2:3], v[69:70]
	v_add_f64 v[6:7], v[6:7], v[71:72]
	ds_load_b128 v[65:68], v1 offset:480
	ds_load_b128 v[1:4], v1 offset:496
	v_fma_f64 v[75:76], v[75:76], v[8:9], v[79:80]
	v_fma_f64 v[8:9], v[73:74], v[8:9], -v[10:11]
	s_waitcnt vmcnt(1) lgkmcnt(1)
	v_mul_f64 v[71:72], v[65:66], v[107:108]
	v_mul_f64 v[83:84], v[67:68], v[107:108]
	v_add_f64 v[10:11], v[69:70], v[81:82]
	v_add_f64 v[6:7], v[6:7], v[77:78]
	s_waitcnt vmcnt(0) lgkmcnt(0)
	v_mul_f64 v[69:70], v[1:2], v[63:64]
	v_mul_f64 v[63:64], v[3:4], v[63:64]
	v_fma_f64 v[67:68], v[67:68], v[105:106], v[71:72]
	v_fma_f64 v[65:66], v[65:66], v[105:106], -v[83:84]
	v_add_f64 v[8:9], v[10:11], v[8:9]
	v_add_f64 v[6:7], v[6:7], v[75:76]
	v_fma_f64 v[3:4], v[3:4], v[61:62], v[69:70]
	v_fma_f64 v[1:2], v[1:2], v[61:62], -v[63:64]
	s_delay_alu instid0(VALU_DEP_4) | instskip(NEXT) | instid1(VALU_DEP_4)
	v_add_f64 v[8:9], v[8:9], v[65:66]
	v_add_f64 v[6:7], v[6:7], v[67:68]
	s_delay_alu instid0(VALU_DEP_2) | instskip(NEXT) | instid1(VALU_DEP_2)
	v_add_f64 v[1:2], v[8:9], v[1:2]
	v_add_f64 v[3:4], v[6:7], v[3:4]
	s_delay_alu instid0(VALU_DEP_2) | instskip(NEXT) | instid1(VALU_DEP_2)
	v_add_f64 v[1:2], v[101:102], -v[1:2]
	v_add_f64 v[3:4], v[103:104], -v[3:4]
	scratch_store_b128 off, v[1:4], off offset:48
	v_cmpx_lt_u32_e32 2, v45
	s_cbranch_execz .LBB15_105
; %bb.104:
	scratch_load_b128 v[1:4], v47, off
	v_mov_b32_e32 v6, 0
	s_delay_alu instid0(VALU_DEP_1)
	v_mov_b32_e32 v7, v6
	v_mov_b32_e32 v8, v6
	;; [unrolled: 1-line block ×3, first 2 shown]
	scratch_store_b128 off, v[6:9], off offset:32
	s_waitcnt vmcnt(0)
	ds_store_b128 v5, v[1:4]
.LBB15_105:
	s_or_b32 exec_lo, exec_lo, s2
	s_waitcnt lgkmcnt(0)
	s_waitcnt_vscnt null, 0x0
	s_barrier
	buffer_gl0_inv
	s_clause 0x7
	scratch_load_b128 v[6:9], off, off offset:48
	scratch_load_b128 v[61:64], off, off offset:64
	;; [unrolled: 1-line block ×8, first 2 shown]
	v_mov_b32_e32 v1, 0
	s_clause 0x1
	scratch_load_b128 v[93:96], off, off offset:176
	scratch_load_b128 v[97:100], off, off offset:192
	s_mov_b32 s2, exec_lo
	ds_load_b128 v[89:92], v1 offset:304
	s_waitcnt vmcnt(9) lgkmcnt(0)
	v_mul_f64 v[2:3], v[91:92], v[8:9]
	v_mul_f64 v[101:102], v[89:90], v[8:9]
	ds_load_b128 v[8:11], v1 offset:320
	v_fma_f64 v[2:3], v[89:90], v[6:7], -v[2:3]
	v_fma_f64 v[6:7], v[91:92], v[6:7], v[101:102]
	ds_load_b128 v[89:92], v1 offset:336
	s_waitcnt vmcnt(8) lgkmcnt(1)
	v_mul_f64 v[105:106], v[8:9], v[63:64]
	v_mul_f64 v[63:64], v[10:11], v[63:64]
	scratch_load_b128 v[101:104], off, off offset:208
	s_waitcnt vmcnt(8) lgkmcnt(0)
	v_mul_f64 v[107:108], v[89:90], v[67:68]
	v_mul_f64 v[67:68], v[91:92], v[67:68]
	v_add_f64 v[2:3], v[2:3], 0
	v_add_f64 v[109:110], v[6:7], 0
	v_fma_f64 v[10:11], v[10:11], v[61:62], v[105:106]
	v_fma_f64 v[105:106], v[8:9], v[61:62], -v[63:64]
	ds_load_b128 v[6:9], v1 offset:352
	scratch_load_b128 v[61:64], off, off offset:224
	v_fma_f64 v[107:108], v[91:92], v[65:66], v[107:108]
	v_fma_f64 v[113:114], v[89:90], v[65:66], -v[67:68]
	scratch_load_b128 v[89:92], off, off offset:240
	ds_load_b128 v[65:68], v1 offset:368
	s_waitcnt vmcnt(9) lgkmcnt(1)
	v_mul_f64 v[111:112], v[6:7], v[71:72]
	v_mul_f64 v[71:72], v[8:9], v[71:72]
	v_add_f64 v[10:11], v[109:110], v[10:11]
	v_add_f64 v[2:3], v[2:3], v[105:106]
	s_waitcnt vmcnt(8) lgkmcnt(0)
	v_mul_f64 v[105:106], v[65:66], v[75:76]
	v_mul_f64 v[75:76], v[67:68], v[75:76]
	v_fma_f64 v[109:110], v[8:9], v[69:70], v[111:112]
	v_fma_f64 v[69:70], v[6:7], v[69:70], -v[71:72]
	ds_load_b128 v[6:9], v1 offset:384
	v_add_f64 v[10:11], v[10:11], v[107:108]
	v_add_f64 v[2:3], v[2:3], v[113:114]
	v_fma_f64 v[105:106], v[67:68], v[73:74], v[105:106]
	v_fma_f64 v[73:74], v[65:66], v[73:74], -v[75:76]
	ds_load_b128 v[65:68], v1 offset:400
	s_waitcnt vmcnt(7) lgkmcnt(1)
	v_mul_f64 v[71:72], v[6:7], v[79:80]
	v_mul_f64 v[79:80], v[8:9], v[79:80]
	s_waitcnt vmcnt(6) lgkmcnt(0)
	v_mul_f64 v[75:76], v[65:66], v[83:84]
	v_mul_f64 v[83:84], v[67:68], v[83:84]
	v_add_f64 v[10:11], v[10:11], v[109:110]
	v_add_f64 v[2:3], v[2:3], v[69:70]
	v_fma_f64 v[107:108], v[8:9], v[77:78], v[71:72]
	v_fma_f64 v[77:78], v[6:7], v[77:78], -v[79:80]
	ds_load_b128 v[6:9], v1 offset:416
	scratch_load_b128 v[69:72], off, off offset:32
	v_fma_f64 v[75:76], v[67:68], v[81:82], v[75:76]
	v_fma_f64 v[81:82], v[65:66], v[81:82], -v[83:84]
	ds_load_b128 v[65:68], v1 offset:432
	s_waitcnt vmcnt(6) lgkmcnt(1)
	v_mul_f64 v[79:80], v[8:9], v[87:88]
	v_add_f64 v[10:11], v[10:11], v[105:106]
	v_add_f64 v[2:3], v[2:3], v[73:74]
	v_mul_f64 v[73:74], v[6:7], v[87:88]
	s_waitcnt vmcnt(5) lgkmcnt(0)
	v_mul_f64 v[83:84], v[67:68], v[95:96]
	v_fma_f64 v[79:80], v[6:7], v[85:86], -v[79:80]
	v_add_f64 v[10:11], v[10:11], v[107:108]
	v_add_f64 v[2:3], v[2:3], v[77:78]
	v_mul_f64 v[77:78], v[65:66], v[95:96]
	v_fma_f64 v[73:74], v[8:9], v[85:86], v[73:74]
	ds_load_b128 v[6:9], v1 offset:448
	v_fma_f64 v[83:84], v[65:66], v[93:94], -v[83:84]
	v_add_f64 v[10:11], v[10:11], v[75:76]
	v_add_f64 v[2:3], v[2:3], v[81:82]
	v_fma_f64 v[77:78], v[67:68], v[93:94], v[77:78]
	ds_load_b128 v[65:68], v1 offset:464
	s_waitcnt vmcnt(4) lgkmcnt(1)
	v_mul_f64 v[75:76], v[6:7], v[99:100]
	v_mul_f64 v[81:82], v[8:9], v[99:100]
	v_add_f64 v[10:11], v[10:11], v[73:74]
	v_add_f64 v[2:3], v[2:3], v[79:80]
	s_delay_alu instid0(VALU_DEP_4) | instskip(NEXT) | instid1(VALU_DEP_4)
	v_fma_f64 v[75:76], v[8:9], v[97:98], v[75:76]
	v_fma_f64 v[81:82], v[6:7], v[97:98], -v[81:82]
	ds_load_b128 v[6:9], v1 offset:480
	s_waitcnt vmcnt(3) lgkmcnt(1)
	v_mul_f64 v[73:74], v[65:66], v[103:104]
	v_mul_f64 v[79:80], v[67:68], v[103:104]
	v_add_f64 v[10:11], v[10:11], v[77:78]
	v_add_f64 v[2:3], v[2:3], v[83:84]
	s_delay_alu instid0(VALU_DEP_4)
	v_fma_f64 v[67:68], v[67:68], v[101:102], v[73:74]
	s_waitcnt vmcnt(2) lgkmcnt(0)
	v_mul_f64 v[77:78], v[6:7], v[63:64]
	v_mul_f64 v[83:84], v[8:9], v[63:64]
	v_fma_f64 v[73:74], v[65:66], v[101:102], -v[79:80]
	ds_load_b128 v[63:66], v1 offset:496
	v_add_f64 v[10:11], v[10:11], v[75:76]
	v_add_f64 v[2:3], v[2:3], v[81:82]
	s_waitcnt vmcnt(1) lgkmcnt(0)
	v_mul_f64 v[75:76], v[63:64], v[91:92]
	v_mul_f64 v[79:80], v[65:66], v[91:92]
	v_fma_f64 v[8:9], v[8:9], v[61:62], v[77:78]
	v_fma_f64 v[6:7], v[6:7], v[61:62], -v[83:84]
	v_add_f64 v[10:11], v[10:11], v[67:68]
	v_add_f64 v[2:3], v[2:3], v[73:74]
	v_fma_f64 v[61:62], v[65:66], v[89:90], v[75:76]
	v_fma_f64 v[63:64], v[63:64], v[89:90], -v[79:80]
	s_delay_alu instid0(VALU_DEP_3) | instskip(SKIP_1) | instid1(VALU_DEP_2)
	v_add_f64 v[2:3], v[2:3], v[6:7]
	v_add_f64 v[6:7], v[10:11], v[8:9]
	v_add_f64 v[2:3], v[2:3], v[63:64]
	s_delay_alu instid0(VALU_DEP_2) | instskip(SKIP_1) | instid1(VALU_DEP_2)
	v_add_f64 v[8:9], v[6:7], v[61:62]
	s_waitcnt vmcnt(0)
	v_add_f64 v[6:7], v[69:70], -v[2:3]
	s_delay_alu instid0(VALU_DEP_2)
	v_add_f64 v[8:9], v[71:72], -v[8:9]
	scratch_store_b128 off, v[6:9], off offset:32
	v_cmpx_lt_u32_e32 1, v45
	s_cbranch_execz .LBB15_107
; %bb.106:
	scratch_load_b128 v[6:9], v49, off
	v_mov_b32_e32 v2, v1
	v_mov_b32_e32 v3, v1
	;; [unrolled: 1-line block ×3, first 2 shown]
	scratch_store_b128 off, v[1:4], off offset:16
	s_waitcnt vmcnt(0)
	ds_store_b128 v5, v[6:9]
.LBB15_107:
	s_or_b32 exec_lo, exec_lo, s2
	s_waitcnt lgkmcnt(0)
	s_waitcnt_vscnt null, 0x0
	s_barrier
	buffer_gl0_inv
	s_clause 0x7
	scratch_load_b128 v[6:9], off, off offset:32
	scratch_load_b128 v[61:64], off, off offset:48
	;; [unrolled: 1-line block ×8, first 2 shown]
	ds_load_b128 v[89:92], v1 offset:288
	s_clause 0x1
	scratch_load_b128 v[93:96], off, off offset:160
	scratch_load_b128 v[97:100], off, off offset:176
	s_mov_b32 s2, exec_lo
	s_waitcnt vmcnt(9) lgkmcnt(0)
	v_mul_f64 v[2:3], v[91:92], v[8:9]
	v_mul_f64 v[101:102], v[89:90], v[8:9]
	ds_load_b128 v[8:11], v1 offset:304
	v_fma_f64 v[2:3], v[89:90], v[6:7], -v[2:3]
	v_fma_f64 v[6:7], v[91:92], v[6:7], v[101:102]
	ds_load_b128 v[89:92], v1 offset:320
	s_waitcnt vmcnt(8) lgkmcnt(1)
	v_mul_f64 v[105:106], v[8:9], v[63:64]
	v_mul_f64 v[63:64], v[10:11], v[63:64]
	scratch_load_b128 v[101:104], off, off offset:192
	s_waitcnt vmcnt(8) lgkmcnt(0)
	v_mul_f64 v[107:108], v[89:90], v[67:68]
	v_mul_f64 v[67:68], v[91:92], v[67:68]
	v_add_f64 v[2:3], v[2:3], 0
	v_add_f64 v[109:110], v[6:7], 0
	v_fma_f64 v[10:11], v[10:11], v[61:62], v[105:106]
	v_fma_f64 v[105:106], v[8:9], v[61:62], -v[63:64]
	ds_load_b128 v[6:9], v1 offset:336
	scratch_load_b128 v[61:64], off, off offset:208
	v_fma_f64 v[107:108], v[91:92], v[65:66], v[107:108]
	v_fma_f64 v[113:114], v[89:90], v[65:66], -v[67:68]
	scratch_load_b128 v[89:92], off, off offset:224
	ds_load_b128 v[65:68], v1 offset:352
	s_waitcnt vmcnt(9) lgkmcnt(1)
	v_mul_f64 v[111:112], v[6:7], v[71:72]
	v_mul_f64 v[71:72], v[8:9], v[71:72]
	v_add_f64 v[10:11], v[109:110], v[10:11]
	v_add_f64 v[2:3], v[2:3], v[105:106]
	s_waitcnt vmcnt(8) lgkmcnt(0)
	v_mul_f64 v[105:106], v[65:66], v[75:76]
	v_mul_f64 v[75:76], v[67:68], v[75:76]
	v_fma_f64 v[109:110], v[8:9], v[69:70], v[111:112]
	v_fma_f64 v[111:112], v[6:7], v[69:70], -v[71:72]
	ds_load_b128 v[6:9], v1 offset:368
	scratch_load_b128 v[69:72], off, off offset:240
	v_add_f64 v[10:11], v[10:11], v[107:108]
	v_add_f64 v[2:3], v[2:3], v[113:114]
	v_fma_f64 v[105:106], v[67:68], v[73:74], v[105:106]
	v_fma_f64 v[73:74], v[65:66], v[73:74], -v[75:76]
	ds_load_b128 v[65:68], v1 offset:384
	s_waitcnt vmcnt(8) lgkmcnt(1)
	v_mul_f64 v[107:108], v[6:7], v[79:80]
	v_mul_f64 v[79:80], v[8:9], v[79:80]
	s_waitcnt vmcnt(7) lgkmcnt(0)
	v_mul_f64 v[75:76], v[65:66], v[83:84]
	v_mul_f64 v[83:84], v[67:68], v[83:84]
	v_add_f64 v[10:11], v[10:11], v[109:110]
	v_add_f64 v[2:3], v[2:3], v[111:112]
	v_fma_f64 v[107:108], v[8:9], v[77:78], v[107:108]
	v_fma_f64 v[77:78], v[6:7], v[77:78], -v[79:80]
	ds_load_b128 v[6:9], v1 offset:400
	v_add_f64 v[10:11], v[10:11], v[105:106]
	v_add_f64 v[2:3], v[2:3], v[73:74]
	v_fma_f64 v[105:106], v[67:68], v[81:82], v[75:76]
	v_fma_f64 v[81:82], v[65:66], v[81:82], -v[83:84]
	ds_load_b128 v[65:68], v1 offset:416
	s_waitcnt vmcnt(6) lgkmcnt(1)
	v_mul_f64 v[79:80], v[6:7], v[87:88]
	v_mul_f64 v[87:88], v[8:9], v[87:88]
	scratch_load_b128 v[73:76], off, off offset:16
	s_waitcnt vmcnt(6) lgkmcnt(0)
	v_mul_f64 v[83:84], v[67:68], v[95:96]
	v_add_f64 v[10:11], v[10:11], v[107:108]
	v_add_f64 v[2:3], v[2:3], v[77:78]
	v_mul_f64 v[77:78], v[65:66], v[95:96]
	v_fma_f64 v[79:80], v[8:9], v[85:86], v[79:80]
	v_fma_f64 v[85:86], v[6:7], v[85:86], -v[87:88]
	ds_load_b128 v[6:9], v1 offset:432
	v_fma_f64 v[83:84], v[65:66], v[93:94], -v[83:84]
	v_add_f64 v[10:11], v[10:11], v[105:106]
	v_add_f64 v[2:3], v[2:3], v[81:82]
	v_fma_f64 v[77:78], v[67:68], v[93:94], v[77:78]
	ds_load_b128 v[65:68], v1 offset:448
	s_waitcnt vmcnt(5) lgkmcnt(1)
	v_mul_f64 v[81:82], v[6:7], v[99:100]
	v_mul_f64 v[87:88], v[8:9], v[99:100]
	v_add_f64 v[10:11], v[10:11], v[79:80]
	v_add_f64 v[2:3], v[2:3], v[85:86]
	s_delay_alu instid0(VALU_DEP_4) | instskip(NEXT) | instid1(VALU_DEP_4)
	v_fma_f64 v[81:82], v[8:9], v[97:98], v[81:82]
	v_fma_f64 v[87:88], v[6:7], v[97:98], -v[87:88]
	ds_load_b128 v[6:9], v1 offset:464
	s_waitcnt vmcnt(4) lgkmcnt(1)
	v_mul_f64 v[79:80], v[65:66], v[103:104]
	v_mul_f64 v[85:86], v[67:68], v[103:104]
	v_add_f64 v[10:11], v[10:11], v[77:78]
	v_add_f64 v[2:3], v[2:3], v[83:84]
	s_delay_alu instid0(VALU_DEP_4)
	v_fma_f64 v[67:68], v[67:68], v[101:102], v[79:80]
	s_waitcnt vmcnt(3) lgkmcnt(0)
	v_mul_f64 v[77:78], v[6:7], v[63:64]
	v_mul_f64 v[83:84], v[8:9], v[63:64]
	v_fma_f64 v[79:80], v[65:66], v[101:102], -v[85:86]
	ds_load_b128 v[63:66], v1 offset:480
	v_add_f64 v[10:11], v[10:11], v[81:82]
	v_add_f64 v[2:3], v[2:3], v[87:88]
	s_waitcnt vmcnt(2) lgkmcnt(0)
	v_mul_f64 v[81:82], v[63:64], v[91:92]
	v_mul_f64 v[85:86], v[65:66], v[91:92]
	v_fma_f64 v[8:9], v[8:9], v[61:62], v[77:78]
	v_fma_f64 v[6:7], v[6:7], v[61:62], -v[83:84]
	v_add_f64 v[10:11], v[10:11], v[67:68]
	v_add_f64 v[61:62], v[2:3], v[79:80]
	ds_load_b128 v[1:4], v1 offset:496
	v_fma_f64 v[65:66], v[65:66], v[89:90], v[81:82]
	v_fma_f64 v[63:64], v[63:64], v[89:90], -v[85:86]
	s_waitcnt vmcnt(1) lgkmcnt(0)
	v_mul_f64 v[67:68], v[1:2], v[71:72]
	v_mul_f64 v[71:72], v[3:4], v[71:72]
	v_add_f64 v[8:9], v[10:11], v[8:9]
	v_add_f64 v[6:7], v[61:62], v[6:7]
	s_delay_alu instid0(VALU_DEP_4) | instskip(NEXT) | instid1(VALU_DEP_4)
	v_fma_f64 v[3:4], v[3:4], v[69:70], v[67:68]
	v_fma_f64 v[1:2], v[1:2], v[69:70], -v[71:72]
	s_delay_alu instid0(VALU_DEP_4) | instskip(NEXT) | instid1(VALU_DEP_4)
	v_add_f64 v[8:9], v[8:9], v[65:66]
	v_add_f64 v[6:7], v[6:7], v[63:64]
	s_delay_alu instid0(VALU_DEP_2) | instskip(NEXT) | instid1(VALU_DEP_2)
	v_add_f64 v[3:4], v[8:9], v[3:4]
	v_add_f64 v[1:2], v[6:7], v[1:2]
	s_waitcnt vmcnt(0)
	s_delay_alu instid0(VALU_DEP_2) | instskip(NEXT) | instid1(VALU_DEP_2)
	v_add_f64 v[3:4], v[75:76], -v[3:4]
	v_add_f64 v[1:2], v[73:74], -v[1:2]
	scratch_store_b128 off, v[1:4], off offset:16
	v_cmpx_ne_u32_e32 0, v45
	s_cbranch_execz .LBB15_109
; %bb.108:
	scratch_load_b128 v[1:4], off, off
	v_mov_b32_e32 v6, 0
	s_delay_alu instid0(VALU_DEP_1)
	v_mov_b32_e32 v7, v6
	v_mov_b32_e32 v8, v6
	;; [unrolled: 1-line block ×3, first 2 shown]
	scratch_store_b128 off, v[6:9], off
	s_waitcnt vmcnt(0)
	ds_store_b128 v5, v[1:4]
.LBB15_109:
	s_or_b32 exec_lo, exec_lo, s2
	s_waitcnt lgkmcnt(0)
	s_waitcnt_vscnt null, 0x0
	s_barrier
	buffer_gl0_inv
	s_clause 0x7
	scratch_load_b128 v[1:4], off, off offset:16
	scratch_load_b128 v[5:8], off, off offset:32
	;; [unrolled: 1-line block ×8, first 2 shown]
	v_mov_b32_e32 v117, 0
	s_and_b32 vcc_lo, exec_lo, s20
	ds_load_b128 v[81:84], v117 offset:272
	s_clause 0x1
	scratch_load_b128 v[85:88], off, off offset:144
	scratch_load_b128 v[89:92], off, off
	ds_load_b128 v[93:96], v117 offset:288
	scratch_load_b128 v[97:100], off, off offset:160
	s_waitcnt vmcnt(10) lgkmcnt(1)
	v_mul_f64 v[101:102], v[83:84], v[3:4]
	v_mul_f64 v[3:4], v[81:82], v[3:4]
	s_delay_alu instid0(VALU_DEP_2) | instskip(NEXT) | instid1(VALU_DEP_2)
	v_fma_f64 v[107:108], v[81:82], v[1:2], -v[101:102]
	v_fma_f64 v[109:110], v[83:84], v[1:2], v[3:4]
	scratch_load_b128 v[81:84], off, off offset:176
	ds_load_b128 v[1:4], v117 offset:304
	s_waitcnt vmcnt(10) lgkmcnt(1)
	v_mul_f64 v[105:106], v[93:94], v[7:8]
	v_mul_f64 v[7:8], v[95:96], v[7:8]
	ds_load_b128 v[101:104], v117 offset:320
	s_waitcnt vmcnt(9) lgkmcnt(1)
	v_mul_f64 v[111:112], v[1:2], v[11:12]
	v_mul_f64 v[11:12], v[3:4], v[11:12]
	v_fma_f64 v[95:96], v[95:96], v[5:6], v[105:106]
	v_fma_f64 v[93:94], v[93:94], v[5:6], -v[7:8]
	v_add_f64 v[105:106], v[107:108], 0
	v_add_f64 v[107:108], v[109:110], 0
	scratch_load_b128 v[5:8], off, off offset:192
	v_fma_f64 v[111:112], v[3:4], v[9:10], v[111:112]
	v_fma_f64 v[113:114], v[1:2], v[9:10], -v[11:12]
	scratch_load_b128 v[9:12], off, off offset:208
	ds_load_b128 v[1:4], v117 offset:336
	s_waitcnt vmcnt(10) lgkmcnt(1)
	v_mul_f64 v[109:110], v[101:102], v[63:64]
	v_mul_f64 v[63:64], v[103:104], v[63:64]
	v_add_f64 v[105:106], v[105:106], v[93:94]
	v_add_f64 v[107:108], v[107:108], v[95:96]
	s_waitcnt vmcnt(9) lgkmcnt(0)
	v_mul_f64 v[115:116], v[1:2], v[67:68]
	v_mul_f64 v[67:68], v[3:4], v[67:68]
	ds_load_b128 v[93:96], v117 offset:352
	v_fma_f64 v[103:104], v[103:104], v[61:62], v[109:110]
	v_fma_f64 v[101:102], v[101:102], v[61:62], -v[63:64]
	scratch_load_b128 v[61:64], off, off offset:224
	v_add_f64 v[105:106], v[105:106], v[113:114]
	v_add_f64 v[107:108], v[107:108], v[111:112]
	v_fma_f64 v[111:112], v[3:4], v[65:66], v[115:116]
	v_fma_f64 v[113:114], v[1:2], v[65:66], -v[67:68]
	scratch_load_b128 v[65:68], off, off offset:240
	ds_load_b128 v[1:4], v117 offset:368
	s_waitcnt vmcnt(10) lgkmcnt(1)
	v_mul_f64 v[109:110], v[93:94], v[71:72]
	v_mul_f64 v[71:72], v[95:96], v[71:72]
	s_waitcnt vmcnt(9) lgkmcnt(0)
	v_mul_f64 v[115:116], v[1:2], v[75:76]
	v_mul_f64 v[75:76], v[3:4], v[75:76]
	v_add_f64 v[105:106], v[105:106], v[101:102]
	v_add_f64 v[107:108], v[107:108], v[103:104]
	ds_load_b128 v[101:104], v117 offset:384
	v_fma_f64 v[95:96], v[95:96], v[69:70], v[109:110]
	v_fma_f64 v[69:70], v[93:94], v[69:70], -v[71:72]
	v_add_f64 v[71:72], v[105:106], v[113:114]
	v_add_f64 v[93:94], v[107:108], v[111:112]
	s_waitcnt vmcnt(8) lgkmcnt(0)
	v_mul_f64 v[105:106], v[101:102], v[79:80]
	v_mul_f64 v[79:80], v[103:104], v[79:80]
	v_fma_f64 v[107:108], v[3:4], v[73:74], v[115:116]
	v_fma_f64 v[73:74], v[1:2], v[73:74], -v[75:76]
	v_add_f64 v[75:76], v[71:72], v[69:70]
	v_add_f64 v[93:94], v[93:94], v[95:96]
	ds_load_b128 v[1:4], v117 offset:400
	ds_load_b128 v[69:72], v117 offset:416
	v_fma_f64 v[103:104], v[103:104], v[77:78], v[105:106]
	v_fma_f64 v[77:78], v[101:102], v[77:78], -v[79:80]
	s_waitcnt vmcnt(7) lgkmcnt(1)
	v_mul_f64 v[95:96], v[1:2], v[87:88]
	v_mul_f64 v[87:88], v[3:4], v[87:88]
	s_waitcnt vmcnt(5) lgkmcnt(0)
	v_mul_f64 v[79:80], v[69:70], v[99:100]
	v_add_f64 v[73:74], v[75:76], v[73:74]
	v_add_f64 v[75:76], v[93:94], v[107:108]
	v_mul_f64 v[93:94], v[71:72], v[99:100]
	v_fma_f64 v[95:96], v[3:4], v[85:86], v[95:96]
	v_fma_f64 v[85:86], v[1:2], v[85:86], -v[87:88]
	v_fma_f64 v[71:72], v[71:72], v[97:98], v[79:80]
	v_add_f64 v[77:78], v[73:74], v[77:78]
	v_add_f64 v[87:88], v[75:76], v[103:104]
	ds_load_b128 v[1:4], v117 offset:432
	ds_load_b128 v[73:76], v117 offset:448
	v_fma_f64 v[69:70], v[69:70], v[97:98], -v[93:94]
	s_waitcnt vmcnt(4) lgkmcnt(1)
	v_mul_f64 v[99:100], v[1:2], v[83:84]
	v_mul_f64 v[83:84], v[3:4], v[83:84]
	v_add_f64 v[77:78], v[77:78], v[85:86]
	v_add_f64 v[79:80], v[87:88], v[95:96]
	s_waitcnt vmcnt(3) lgkmcnt(0)
	v_mul_f64 v[85:86], v[73:74], v[7:8]
	v_mul_f64 v[7:8], v[75:76], v[7:8]
	v_fma_f64 v[87:88], v[3:4], v[81:82], v[99:100]
	v_fma_f64 v[81:82], v[1:2], v[81:82], -v[83:84]
	v_add_f64 v[77:78], v[77:78], v[69:70]
	v_add_f64 v[79:80], v[79:80], v[71:72]
	ds_load_b128 v[1:4], v117 offset:464
	ds_load_b128 v[69:72], v117 offset:480
	v_fma_f64 v[75:76], v[75:76], v[5:6], v[85:86]
	v_fma_f64 v[5:6], v[73:74], v[5:6], -v[7:8]
	s_waitcnt vmcnt(2) lgkmcnt(1)
	v_mul_f64 v[83:84], v[1:2], v[11:12]
	v_mul_f64 v[11:12], v[3:4], v[11:12]
	v_add_f64 v[7:8], v[77:78], v[81:82]
	v_add_f64 v[73:74], v[79:80], v[87:88]
	s_waitcnt vmcnt(1) lgkmcnt(0)
	v_mul_f64 v[77:78], v[69:70], v[63:64]
	v_mul_f64 v[63:64], v[71:72], v[63:64]
	v_fma_f64 v[79:80], v[3:4], v[9:10], v[83:84]
	v_fma_f64 v[9:10], v[1:2], v[9:10], -v[11:12]
	ds_load_b128 v[1:4], v117 offset:496
	v_add_f64 v[5:6], v[7:8], v[5:6]
	v_add_f64 v[7:8], v[73:74], v[75:76]
	v_fma_f64 v[71:72], v[71:72], v[61:62], v[77:78]
	v_fma_f64 v[61:62], v[69:70], v[61:62], -v[63:64]
	s_waitcnt vmcnt(0) lgkmcnt(0)
	v_mul_f64 v[11:12], v[1:2], v[67:68]
	v_mul_f64 v[67:68], v[3:4], v[67:68]
	v_add_f64 v[5:6], v[5:6], v[9:10]
	v_add_f64 v[7:8], v[7:8], v[79:80]
	s_delay_alu instid0(VALU_DEP_4) | instskip(NEXT) | instid1(VALU_DEP_4)
	v_fma_f64 v[3:4], v[3:4], v[65:66], v[11:12]
	v_fma_f64 v[1:2], v[1:2], v[65:66], -v[67:68]
	s_delay_alu instid0(VALU_DEP_4) | instskip(NEXT) | instid1(VALU_DEP_4)
	v_add_f64 v[5:6], v[5:6], v[61:62]
	v_add_f64 v[7:8], v[7:8], v[71:72]
	s_delay_alu instid0(VALU_DEP_2) | instskip(NEXT) | instid1(VALU_DEP_2)
	v_add_f64 v[1:2], v[5:6], v[1:2]
	v_add_f64 v[3:4], v[7:8], v[3:4]
	s_delay_alu instid0(VALU_DEP_2) | instskip(NEXT) | instid1(VALU_DEP_2)
	v_add_f64 v[1:2], v[89:90], -v[1:2]
	v_add_f64 v[3:4], v[91:92], -v[3:4]
	scratch_store_b128 off, v[1:4], off
	s_cbranch_vccz .LBB15_141
; %bb.110:
	v_dual_mov_b32 v1, s16 :: v_dual_mov_b32 v2, s17
	s_load_b64 s[0:1], s[0:1], 0x4
	flat_load_b32 v1, v[1:2] offset:56
	v_bfe_u32 v2, v0, 10, 10
	v_bfe_u32 v0, v0, 20, 10
	s_waitcnt lgkmcnt(0)
	s_lshr_b32 s0, s0, 16
	s_delay_alu instid0(VALU_DEP_2) | instskip(SKIP_1) | instid1(SALU_CYCLE_1)
	v_mul_u32_u24_e32 v2, s1, v2
	s_mul_i32 s0, s0, s1
	v_mul_u32_u24_e32 v3, s0, v45
	s_mov_b32 s0, exec_lo
	s_delay_alu instid0(VALU_DEP_1) | instskip(NEXT) | instid1(VALU_DEP_1)
	v_add3_u32 v0, v3, v2, v0
	v_lshl_add_u32 v0, v0, 4, 0x208
	s_waitcnt vmcnt(0)
	v_cmpx_ne_u32_e32 15, v1
	s_cbranch_execz .LBB15_112
; %bb.111:
	v_lshl_add_u32 v9, v1, 4, 0
	s_clause 0x1
	scratch_load_b128 v[1:4], v60, off
	scratch_load_b128 v[5:8], v9, off offset:-16
	s_waitcnt vmcnt(1)
	ds_store_2addr_b64 v0, v[1:2], v[3:4] offset1:1
	s_waitcnt vmcnt(0)
	s_clause 0x1
	scratch_store_b128 v60, v[5:8], off
	scratch_store_b128 v9, v[1:4], off offset:-16
.LBB15_112:
	s_or_b32 exec_lo, exec_lo, s0
	v_dual_mov_b32 v1, s16 :: v_dual_mov_b32 v2, s17
	s_mov_b32 s0, exec_lo
	flat_load_b32 v1, v[1:2] offset:52
	s_waitcnt vmcnt(0) lgkmcnt(0)
	v_cmpx_ne_u32_e32 14, v1
	s_cbranch_execz .LBB15_114
; %bb.113:
	v_lshl_add_u32 v9, v1, 4, 0
	s_clause 0x1
	scratch_load_b128 v[1:4], v57, off
	scratch_load_b128 v[5:8], v9, off offset:-16
	s_waitcnt vmcnt(1)
	ds_store_2addr_b64 v0, v[1:2], v[3:4] offset1:1
	s_waitcnt vmcnt(0)
	s_clause 0x1
	scratch_store_b128 v57, v[5:8], off
	scratch_store_b128 v9, v[1:4], off offset:-16
.LBB15_114:
	s_or_b32 exec_lo, exec_lo, s0
	v_dual_mov_b32 v1, s16 :: v_dual_mov_b32 v2, s17
	s_mov_b32 s0, exec_lo
	flat_load_b32 v1, v[1:2] offset:48
	s_waitcnt vmcnt(0) lgkmcnt(0)
	;; [unrolled: 19-line block ×13, first 2 shown]
	v_cmpx_ne_u32_e32 2, v1
	s_cbranch_execz .LBB15_138
; %bb.137:
	v_lshl_add_u32 v9, v1, 4, 0
	s_clause 0x1
	scratch_load_b128 v[1:4], v49, off
	scratch_load_b128 v[5:8], v9, off offset:-16
	s_waitcnt vmcnt(1)
	ds_store_2addr_b64 v0, v[1:2], v[3:4] offset1:1
	s_waitcnt vmcnt(0)
	s_clause 0x1
	scratch_store_b128 v49, v[5:8], off
	scratch_store_b128 v9, v[1:4], off offset:-16
.LBB15_138:
	s_or_b32 exec_lo, exec_lo, s0
	v_dual_mov_b32 v1, s16 :: v_dual_mov_b32 v2, s17
	s_mov_b32 s0, exec_lo
	flat_load_b32 v1, v[1:2]
	s_waitcnt vmcnt(0) lgkmcnt(0)
	v_cmpx_ne_u32_e32 1, v1
	s_cbranch_execz .LBB15_140
; %bb.139:
	v_lshl_add_u32 v9, v1, 4, 0
	scratch_load_b128 v[1:4], off, off
	scratch_load_b128 v[5:8], v9, off offset:-16
	s_waitcnt vmcnt(1)
	ds_store_2addr_b64 v0, v[1:2], v[3:4] offset1:1
	s_waitcnt vmcnt(0)
	scratch_store_b128 off, v[5:8], off
	scratch_store_b128 v9, v[1:4], off offset:-16
.LBB15_140:
	s_or_b32 exec_lo, exec_lo, s0
.LBB15_141:
	scratch_load_b128 v[0:3], off, off
	s_clause 0xe
	scratch_load_b128 v[4:7], v49, off
	scratch_load_b128 v[8:11], v47, off
	;; [unrolled: 1-line block ×15, first 2 shown]
	s_waitcnt vmcnt(15)
	global_store_b128 v[13:14], v[0:3], off
	s_waitcnt vmcnt(14)
	global_store_b128 v[15:16], v[4:7], off
	;; [unrolled: 2-line block ×16, first 2 shown]
	s_endpgm
	.section	.rodata,"a",@progbits
	.p2align	6, 0x0
	.amdhsa_kernel _ZN9rocsolver6v33100L18getri_kernel_smallILi16E19rocblas_complex_numIdEPS3_EEvT1_iilPiilS6_bb
		.amdhsa_group_segment_fixed_size 1544
		.amdhsa_private_segment_fixed_size 272
		.amdhsa_kernarg_size 60
		.amdhsa_user_sgpr_count 15
		.amdhsa_user_sgpr_dispatch_ptr 1
		.amdhsa_user_sgpr_queue_ptr 0
		.amdhsa_user_sgpr_kernarg_segment_ptr 1
		.amdhsa_user_sgpr_dispatch_id 0
		.amdhsa_user_sgpr_private_segment_size 0
		.amdhsa_wavefront_size32 1
		.amdhsa_uses_dynamic_stack 0
		.amdhsa_enable_private_segment 1
		.amdhsa_system_sgpr_workgroup_id_x 1
		.amdhsa_system_sgpr_workgroup_id_y 0
		.amdhsa_system_sgpr_workgroup_id_z 0
		.amdhsa_system_sgpr_workgroup_info 0
		.amdhsa_system_vgpr_workitem_id 2
		.amdhsa_next_free_vgpr 119
		.amdhsa_next_free_sgpr 22
		.amdhsa_reserve_vcc 1
		.amdhsa_float_round_mode_32 0
		.amdhsa_float_round_mode_16_64 0
		.amdhsa_float_denorm_mode_32 3
		.amdhsa_float_denorm_mode_16_64 3
		.amdhsa_dx10_clamp 1
		.amdhsa_ieee_mode 1
		.amdhsa_fp16_overflow 0
		.amdhsa_workgroup_processor_mode 1
		.amdhsa_memory_ordered 1
		.amdhsa_forward_progress 0
		.amdhsa_shared_vgpr_count 0
		.amdhsa_exception_fp_ieee_invalid_op 0
		.amdhsa_exception_fp_denorm_src 0
		.amdhsa_exception_fp_ieee_div_zero 0
		.amdhsa_exception_fp_ieee_overflow 0
		.amdhsa_exception_fp_ieee_underflow 0
		.amdhsa_exception_fp_ieee_inexact 0
		.amdhsa_exception_int_div_zero 0
	.end_amdhsa_kernel
	.section	.text._ZN9rocsolver6v33100L18getri_kernel_smallILi16E19rocblas_complex_numIdEPS3_EEvT1_iilPiilS6_bb,"axG",@progbits,_ZN9rocsolver6v33100L18getri_kernel_smallILi16E19rocblas_complex_numIdEPS3_EEvT1_iilPiilS6_bb,comdat
.Lfunc_end15:
	.size	_ZN9rocsolver6v33100L18getri_kernel_smallILi16E19rocblas_complex_numIdEPS3_EEvT1_iilPiilS6_bb, .Lfunc_end15-_ZN9rocsolver6v33100L18getri_kernel_smallILi16E19rocblas_complex_numIdEPS3_EEvT1_iilPiilS6_bb
                                        ; -- End function
	.section	.AMDGPU.csdata,"",@progbits
; Kernel info:
; codeLenInByte = 18488
; NumSgprs: 24
; NumVgprs: 119
; ScratchSize: 272
; MemoryBound: 0
; FloatMode: 240
; IeeeMode: 1
; LDSByteSize: 1544 bytes/workgroup (compile time only)
; SGPRBlocks: 2
; VGPRBlocks: 14
; NumSGPRsForWavesPerEU: 24
; NumVGPRsForWavesPerEU: 119
; Occupancy: 12
; WaveLimiterHint : 1
; COMPUTE_PGM_RSRC2:SCRATCH_EN: 1
; COMPUTE_PGM_RSRC2:USER_SGPR: 15
; COMPUTE_PGM_RSRC2:TRAP_HANDLER: 0
; COMPUTE_PGM_RSRC2:TGID_X_EN: 1
; COMPUTE_PGM_RSRC2:TGID_Y_EN: 0
; COMPUTE_PGM_RSRC2:TGID_Z_EN: 0
; COMPUTE_PGM_RSRC2:TIDIG_COMP_CNT: 2
	.section	.text._ZN9rocsolver6v33100L18getri_kernel_smallILi17E19rocblas_complex_numIdEPS3_EEvT1_iilPiilS6_bb,"axG",@progbits,_ZN9rocsolver6v33100L18getri_kernel_smallILi17E19rocblas_complex_numIdEPS3_EEvT1_iilPiilS6_bb,comdat
	.globl	_ZN9rocsolver6v33100L18getri_kernel_smallILi17E19rocblas_complex_numIdEPS3_EEvT1_iilPiilS6_bb ; -- Begin function _ZN9rocsolver6v33100L18getri_kernel_smallILi17E19rocblas_complex_numIdEPS3_EEvT1_iilPiilS6_bb
	.p2align	8
	.type	_ZN9rocsolver6v33100L18getri_kernel_smallILi17E19rocblas_complex_numIdEPS3_EEvT1_iilPiilS6_bb,@function
_ZN9rocsolver6v33100L18getri_kernel_smallILi17E19rocblas_complex_numIdEPS3_EEvT1_iilPiilS6_bb: ; @_ZN9rocsolver6v33100L18getri_kernel_smallILi17E19rocblas_complex_numIdEPS3_EEvT1_iilPiilS6_bb
; %bb.0:
	v_and_b32_e32 v47, 0x3ff, v0
	s_mov_b32 s4, exec_lo
	s_delay_alu instid0(VALU_DEP_1)
	v_cmpx_gt_u32_e32 17, v47
	s_cbranch_execz .LBB16_82
; %bb.1:
	s_mov_b32 s18, s15
	s_clause 0x2
	s_load_b32 s21, s[2:3], 0x38
	s_load_b128 s[12:15], s[2:3], 0x10
	s_load_b128 s[4:7], s[2:3], 0x28
                                        ; implicit-def: $sgpr16_sgpr17
	s_waitcnt lgkmcnt(0)
	s_bitcmp1_b32 s21, 8
	s_cselect_b32 s20, -1, 0
	s_bfe_u32 s8, s21, 0x10008
	s_ashr_i32 s19, s18, 31
	s_cmp_eq_u32 s8, 0
	s_cbranch_scc1 .LBB16_3
; %bb.2:
	s_load_b32 s8, s[2:3], 0x20
	s_mul_i32 s5, s18, s5
	s_mul_hi_u32 s9, s18, s4
	s_mul_i32 s10, s19, s4
	s_add_i32 s5, s9, s5
	s_mul_i32 s4, s18, s4
	s_add_i32 s5, s5, s10
	s_delay_alu instid0(SALU_CYCLE_1)
	s_lshl_b64 s[4:5], s[4:5], 2
	s_waitcnt lgkmcnt(0)
	s_ashr_i32 s9, s8, 31
	s_add_u32 s10, s14, s4
	s_addc_u32 s11, s15, s5
	s_lshl_b64 s[4:5], s[8:9], 2
	s_delay_alu instid0(SALU_CYCLE_1)
	s_add_u32 s16, s10, s4
	s_addc_u32 s17, s11, s5
.LBB16_3:
	s_load_b128 s[8:11], s[2:3], 0x0
	s_mul_i32 s2, s18, s13
	s_mul_hi_u32 s3, s18, s12
	s_mul_i32 s4, s19, s12
	s_add_i32 s3, s3, s2
	s_mul_i32 s2, s18, s12
	s_add_i32 s3, s3, s4
	v_lshlrev_b32_e32 v64, 4, v47
	s_lshl_b64 s[2:3], s[2:3], 4
	v_add_nc_u32_e64 v52, 0, 16
	s_waitcnt lgkmcnt(0)
	v_add3_u32 v5, s11, s11, v47
	s_ashr_i32 s5, s10, 31
	s_mov_b32 s4, s10
	s_add_u32 s8, s8, s2
	s_addc_u32 s9, s9, s3
	v_add_nc_u32_e32 v7, s11, v5
	s_lshl_b64 s[2:3], s[4:5], 4
	v_ashrrev_i32_e32 v6, 31, v5
	s_add_u32 s2, s8, s2
	s_addc_u32 s3, s9, s3
	v_add_nc_u32_e32 v19, s11, v7
	v_add_co_u32 v13, s8, s2, v64
	v_ashrrev_i32_e32 v8, 31, v7
	s_mov_b32 s4, s11
	s_ashr_i32 s5, s11, 31
	v_add_nc_u32_e32 v21, s11, v19
	v_add_co_ci_u32_e64 v14, null, s3, 0, s8
	v_lshlrev_b64 v[5:6], 4, v[5:6]
	s_lshl_b64 s[4:5], s[4:5], 4
	v_ashrrev_i32_e32 v20, 31, v19
	v_add_co_u32 v15, vcc_lo, v13, s4
	v_lshlrev_b64 v[23:24], 4, v[7:8]
	v_add_nc_u32_e32 v27, s11, v21
	v_add_co_ci_u32_e32 v16, vcc_lo, s5, v14, vcc_lo
	v_add_co_u32 v17, vcc_lo, s2, v5
	v_lshlrev_b64 v[25:26], 4, v[19:20]
	v_ashrrev_i32_e32 v22, 31, v21
	v_add_co_ci_u32_e32 v18, vcc_lo, s3, v6, vcc_lo
	v_add_co_u32 v19, vcc_lo, s2, v23
	v_ashrrev_i32_e32 v28, 31, v27
	v_add_nc_u32_e32 v29, s11, v27
	v_add_co_ci_u32_e32 v20, vcc_lo, s3, v24, vcc_lo
	v_lshlrev_b64 v[23:24], 4, v[21:22]
	v_add_co_u32 v21, vcc_lo, s2, v25
	v_add_co_ci_u32_e32 v22, vcc_lo, s3, v26, vcc_lo
	v_lshlrev_b64 v[25:26], 4, v[27:28]
	v_add_nc_u32_e32 v27, s11, v29
	v_ashrrev_i32_e32 v30, 31, v29
	v_add_co_u32 v23, vcc_lo, s2, v23
	v_add_co_ci_u32_e32 v24, vcc_lo, s3, v24, vcc_lo
	s_delay_alu instid0(VALU_DEP_4) | instskip(SKIP_3) | instid1(VALU_DEP_4)
	v_add_nc_u32_e32 v31, s11, v27
	v_ashrrev_i32_e32 v28, 31, v27
	v_lshlrev_b64 v[29:30], 4, v[29:30]
	v_add_co_u32 v25, vcc_lo, s2, v25
	v_add_nc_u32_e32 v35, s11, v31
	s_delay_alu instid0(VALU_DEP_4) | instskip(SKIP_2) | instid1(VALU_DEP_4)
	v_lshlrev_b64 v[33:34], 4, v[27:28]
	v_add_co_ci_u32_e32 v26, vcc_lo, s3, v26, vcc_lo
	v_add_co_u32 v27, vcc_lo, s2, v29
	v_ashrrev_i32_e32 v36, 31, v35
	v_add_nc_u32_e32 v37, s11, v35
	v_add_co_ci_u32_e32 v28, vcc_lo, s3, v30, vcc_lo
	v_ashrrev_i32_e32 v32, 31, v31
	v_add_co_u32 v29, vcc_lo, s2, v33
	v_add_co_ci_u32_e32 v30, vcc_lo, s3, v34, vcc_lo
	v_lshlrev_b64 v[33:34], 4, v[35:36]
	v_add_nc_u32_e32 v35, s11, v37
	v_lshlrev_b64 v[31:32], 4, v[31:32]
	v_ashrrev_i32_e32 v38, 31, v37
	s_clause 0x2
	global_load_b128 v[1:4], v64, s[2:3]
	global_load_b128 v[5:8], v[15:16], off
	global_load_b128 v[9:12], v[17:18], off
	v_add_nc_u32_e32 v39, s11, v35
	v_ashrrev_i32_e32 v36, 31, v35
	v_add_co_u32 v31, vcc_lo, s2, v31
	v_lshlrev_b64 v[37:38], 4, v[37:38]
	s_delay_alu instid0(VALU_DEP_4)
	v_add_nc_u32_e32 v43, s11, v39
	v_add_co_ci_u32_e32 v32, vcc_lo, s3, v32, vcc_lo
	v_add_co_u32 v33, vcc_lo, s2, v33
	v_lshlrev_b64 v[41:42], 4, v[35:36]
	v_add_co_ci_u32_e32 v34, vcc_lo, s3, v34, vcc_lo
	v_add_co_u32 v35, vcc_lo, s2, v37
	v_ashrrev_i32_e32 v44, 31, v43
	v_add_nc_u32_e32 v45, s11, v43
	v_ashrrev_i32_e32 v40, 31, v39
	v_add_co_ci_u32_e32 v36, vcc_lo, s3, v38, vcc_lo
	v_add_co_u32 v37, vcc_lo, s2, v41
	v_add_co_ci_u32_e32 v38, vcc_lo, s3, v42, vcc_lo
	v_lshlrev_b64 v[41:42], 4, v[43:44]
	v_add_nc_u32_e32 v43, s11, v45
	v_lshlrev_b64 v[39:40], 4, v[39:40]
	v_ashrrev_i32_e32 v46, 31, v45
	s_clause 0x3
	global_load_b128 v[48:51], v[19:20], off
	global_load_b128 v[53:56], v[21:22], off
	;; [unrolled: 1-line block ×4, first 2 shown]
	v_ashrrev_i32_e32 v44, 31, v43
	s_clause 0x1
	global_load_b128 v[69:72], v[27:28], off
	global_load_b128 v[73:76], v[29:30], off
	v_add_co_u32 v39, vcc_lo, s2, v39
	v_lshlrev_b64 v[45:46], 4, v[45:46]
	v_add_co_ci_u32_e32 v40, vcc_lo, s3, v40, vcc_lo
	v_add_co_u32 v41, vcc_lo, s2, v41
	v_lshlrev_b64 v[61:62], 4, v[43:44]
	v_add_co_ci_u32_e32 v42, vcc_lo, s3, v42, vcc_lo
	v_add_co_u32 v43, vcc_lo, s2, v45
	v_add_co_ci_u32_e32 v44, vcc_lo, s3, v46, vcc_lo
	s_delay_alu instid0(VALU_DEP_4)
	v_add_co_u32 v45, vcc_lo, s2, v61
	v_add_co_ci_u32_e32 v46, vcc_lo, s3, v62, vcc_lo
	s_clause 0x7
	global_load_b128 v[77:80], v[31:32], off
	global_load_b128 v[81:84], v[33:34], off
	;; [unrolled: 1-line block ×8, first 2 shown]
	s_movk_i32 s2, 0x50
	s_movk_i32 s3, 0x70
	s_bitcmp0_b32 s21, 0
	s_waitcnt vmcnt(16)
	scratch_store_b128 off, v[1:4], off
	s_waitcnt vmcnt(15)
	scratch_store_b128 off, v[5:8], off offset:16
	s_waitcnt vmcnt(14)
	scratch_store_b128 off, v[9:12], off offset:32
	;; [unrolled: 2-line block ×3, first 2 shown]
	v_add_nc_u32_e64 v49, s2, 0
	s_movk_i32 s2, 0x60
	s_waitcnt vmcnt(12)
	scratch_store_b128 off, v[53:56], off offset:64
	s_waitcnt vmcnt(11)
	scratch_store_b128 off, v[57:60], off offset:80
	v_add_nc_u32_e64 v54, s2, 0
	s_movk_i32 s2, 0x80
	v_add_nc_u32_e64 v53, s3, 0
	s_movk_i32 s3, 0x90
	;; [unrolled: 2-line block ×7, first 2 shown]
	v_add_nc_u32_e64 v59, s3, 0
	v_add_nc_u32_e64 v62, s2, 0
	s_movk_i32 s2, 0xf0
	s_movk_i32 s3, 0x100
	v_add_nc_u32_e64 v51, 0, 32
	v_add_nc_u32_e64 v48, 0, 48
	;; [unrolled: 1-line block ×5, first 2 shown]
	s_mov_b32 s3, -1
	s_waitcnt vmcnt(10)
	scratch_store_b128 off, v[65:68], off offset:96
	s_waitcnt vmcnt(9)
	scratch_store_b128 off, v[69:72], off offset:112
	;; [unrolled: 2-line block ×11, first 2 shown]
	s_cbranch_scc1 .LBB16_80
; %bb.4:
	v_cmp_eq_u32_e64 s2, 0, v47
	s_delay_alu instid0(VALU_DEP_1)
	s_and_saveexec_b32 s3, s2
	s_cbranch_execz .LBB16_6
; %bb.5:
	v_mov_b32_e32 v1, 0
	ds_store_b32 v1, v1 offset:544
.LBB16_6:
	s_or_b32 exec_lo, exec_lo, s3
	s_waitcnt lgkmcnt(0)
	s_waitcnt_vscnt null, 0x0
	s_barrier
	buffer_gl0_inv
	scratch_load_b128 v[1:4], v64, off
	s_waitcnt vmcnt(0)
	v_cmp_eq_f64_e32 vcc_lo, 0, v[1:2]
	v_cmp_eq_f64_e64 s3, 0, v[3:4]
	s_delay_alu instid0(VALU_DEP_1) | instskip(NEXT) | instid1(SALU_CYCLE_1)
	s_and_b32 s3, vcc_lo, s3
	s_and_saveexec_b32 s4, s3
	s_cbranch_execz .LBB16_10
; %bb.7:
	v_mov_b32_e32 v1, 0
	s_mov_b32 s5, 0
	ds_load_b32 v2, v1 offset:544
	s_waitcnt lgkmcnt(0)
	v_readfirstlane_b32 s3, v2
	v_add_nc_u32_e32 v2, 1, v47
	s_delay_alu instid0(VALU_DEP_2) | instskip(NEXT) | instid1(VALU_DEP_1)
	s_cmp_eq_u32 s3, 0
	v_cmp_gt_i32_e32 vcc_lo, s3, v2
	s_cselect_b32 s8, -1, 0
	s_delay_alu instid0(SALU_CYCLE_1) | instskip(NEXT) | instid1(SALU_CYCLE_1)
	s_or_b32 s8, s8, vcc_lo
	s_and_b32 exec_lo, exec_lo, s8
	s_cbranch_execz .LBB16_10
; %bb.8:
	v_mov_b32_e32 v3, s3
.LBB16_9:                               ; =>This Inner Loop Header: Depth=1
	ds_cmpstore_rtn_b32 v3, v1, v2, v3 offset:544
	s_waitcnt lgkmcnt(0)
	v_cmp_ne_u32_e32 vcc_lo, 0, v3
	v_cmp_le_i32_e64 s3, v3, v2
	s_delay_alu instid0(VALU_DEP_1) | instskip(NEXT) | instid1(SALU_CYCLE_1)
	s_and_b32 s3, vcc_lo, s3
	s_and_b32 s3, exec_lo, s3
	s_delay_alu instid0(SALU_CYCLE_1) | instskip(NEXT) | instid1(SALU_CYCLE_1)
	s_or_b32 s5, s3, s5
	s_and_not1_b32 exec_lo, exec_lo, s5
	s_cbranch_execnz .LBB16_9
.LBB16_10:
	s_or_b32 exec_lo, exec_lo, s4
	v_mov_b32_e32 v1, 0
	s_barrier
	buffer_gl0_inv
	ds_load_b32 v2, v1 offset:544
	s_and_saveexec_b32 s3, s2
	s_cbranch_execz .LBB16_12
; %bb.11:
	s_lshl_b64 s[4:5], s[18:19], 2
	s_delay_alu instid0(SALU_CYCLE_1)
	s_add_u32 s4, s6, s4
	s_addc_u32 s5, s7, s5
	s_waitcnt lgkmcnt(0)
	global_store_b32 v1, v2, s[4:5]
.LBB16_12:
	s_or_b32 exec_lo, exec_lo, s3
	s_waitcnt lgkmcnt(0)
	v_cmp_ne_u32_e32 vcc_lo, 0, v2
	s_mov_b32 s3, 0
	s_cbranch_vccnz .LBB16_80
; %bb.13:
	v_add_nc_u32_e32 v65, 0, v64
                                        ; implicit-def: $vgpr9_vgpr10
	scratch_load_b128 v[1:4], v65, off
	s_waitcnt vmcnt(0)
	v_cmp_gt_f64_e32 vcc_lo, 0, v[1:2]
	v_xor_b32_e32 v6, 0x80000000, v2
	v_xor_b32_e32 v7, 0x80000000, v4
	s_delay_alu instid0(VALU_DEP_2) | instskip(SKIP_1) | instid1(VALU_DEP_3)
	v_cndmask_b32_e32 v6, v2, v6, vcc_lo
	v_cmp_gt_f64_e32 vcc_lo, 0, v[3:4]
	v_dual_mov_b32 v5, v1 :: v_dual_cndmask_b32 v8, v4, v7
	v_mov_b32_e32 v7, v3
	s_delay_alu instid0(VALU_DEP_1) | instskip(SKIP_1) | instid1(SALU_CYCLE_1)
	v_cmp_ngt_f64_e32 vcc_lo, v[5:6], v[7:8]
                                        ; implicit-def: $vgpr5_vgpr6
	s_and_saveexec_b32 s3, vcc_lo
	s_xor_b32 s3, exec_lo, s3
	s_cbranch_execz .LBB16_15
; %bb.14:
	v_div_scale_f64 v[5:6], null, v[3:4], v[3:4], v[1:2]
	v_div_scale_f64 v[11:12], vcc_lo, v[1:2], v[3:4], v[1:2]
	s_delay_alu instid0(VALU_DEP_2) | instskip(SKIP_2) | instid1(VALU_DEP_1)
	v_rcp_f64_e32 v[7:8], v[5:6]
	s_waitcnt_depctr 0xfff
	v_fma_f64 v[9:10], -v[5:6], v[7:8], 1.0
	v_fma_f64 v[7:8], v[7:8], v[9:10], v[7:8]
	s_delay_alu instid0(VALU_DEP_1) | instskip(NEXT) | instid1(VALU_DEP_1)
	v_fma_f64 v[9:10], -v[5:6], v[7:8], 1.0
	v_fma_f64 v[7:8], v[7:8], v[9:10], v[7:8]
	s_delay_alu instid0(VALU_DEP_1) | instskip(NEXT) | instid1(VALU_DEP_1)
	v_mul_f64 v[9:10], v[11:12], v[7:8]
	v_fma_f64 v[5:6], -v[5:6], v[9:10], v[11:12]
	s_delay_alu instid0(VALU_DEP_1) | instskip(NEXT) | instid1(VALU_DEP_1)
	v_div_fmas_f64 v[5:6], v[5:6], v[7:8], v[9:10]
	v_div_fixup_f64 v[5:6], v[5:6], v[3:4], v[1:2]
	s_delay_alu instid0(VALU_DEP_1) | instskip(NEXT) | instid1(VALU_DEP_1)
	v_fma_f64 v[1:2], v[1:2], v[5:6], v[3:4]
	v_div_scale_f64 v[3:4], null, v[1:2], v[1:2], 1.0
	v_div_scale_f64 v[11:12], vcc_lo, 1.0, v[1:2], 1.0
	s_delay_alu instid0(VALU_DEP_2) | instskip(SKIP_2) | instid1(VALU_DEP_1)
	v_rcp_f64_e32 v[7:8], v[3:4]
	s_waitcnt_depctr 0xfff
	v_fma_f64 v[9:10], -v[3:4], v[7:8], 1.0
	v_fma_f64 v[7:8], v[7:8], v[9:10], v[7:8]
	s_delay_alu instid0(VALU_DEP_1) | instskip(NEXT) | instid1(VALU_DEP_1)
	v_fma_f64 v[9:10], -v[3:4], v[7:8], 1.0
	v_fma_f64 v[7:8], v[7:8], v[9:10], v[7:8]
	s_delay_alu instid0(VALU_DEP_1) | instskip(NEXT) | instid1(VALU_DEP_1)
	v_mul_f64 v[9:10], v[11:12], v[7:8]
	v_fma_f64 v[3:4], -v[3:4], v[9:10], v[11:12]
	s_delay_alu instid0(VALU_DEP_1) | instskip(NEXT) | instid1(VALU_DEP_1)
	v_div_fmas_f64 v[3:4], v[3:4], v[7:8], v[9:10]
	v_div_fixup_f64 v[7:8], v[3:4], v[1:2], 1.0
                                        ; implicit-def: $vgpr1_vgpr2
	s_delay_alu instid0(VALU_DEP_1) | instskip(SKIP_1) | instid1(VALU_DEP_2)
	v_mul_f64 v[5:6], v[5:6], v[7:8]
	v_xor_b32_e32 v8, 0x80000000, v8
	v_xor_b32_e32 v10, 0x80000000, v6
	s_delay_alu instid0(VALU_DEP_3)
	v_mov_b32_e32 v9, v5
.LBB16_15:
	s_and_not1_saveexec_b32 s3, s3
	s_cbranch_execz .LBB16_17
; %bb.16:
	v_div_scale_f64 v[5:6], null, v[1:2], v[1:2], v[3:4]
	v_div_scale_f64 v[11:12], vcc_lo, v[3:4], v[1:2], v[3:4]
	s_delay_alu instid0(VALU_DEP_2) | instskip(SKIP_2) | instid1(VALU_DEP_1)
	v_rcp_f64_e32 v[7:8], v[5:6]
	s_waitcnt_depctr 0xfff
	v_fma_f64 v[9:10], -v[5:6], v[7:8], 1.0
	v_fma_f64 v[7:8], v[7:8], v[9:10], v[7:8]
	s_delay_alu instid0(VALU_DEP_1) | instskip(NEXT) | instid1(VALU_DEP_1)
	v_fma_f64 v[9:10], -v[5:6], v[7:8], 1.0
	v_fma_f64 v[7:8], v[7:8], v[9:10], v[7:8]
	s_delay_alu instid0(VALU_DEP_1) | instskip(NEXT) | instid1(VALU_DEP_1)
	v_mul_f64 v[9:10], v[11:12], v[7:8]
	v_fma_f64 v[5:6], -v[5:6], v[9:10], v[11:12]
	s_delay_alu instid0(VALU_DEP_1) | instskip(NEXT) | instid1(VALU_DEP_1)
	v_div_fmas_f64 v[5:6], v[5:6], v[7:8], v[9:10]
	v_div_fixup_f64 v[7:8], v[5:6], v[1:2], v[3:4]
	s_delay_alu instid0(VALU_DEP_1) | instskip(NEXT) | instid1(VALU_DEP_1)
	v_fma_f64 v[1:2], v[3:4], v[7:8], v[1:2]
	v_div_scale_f64 v[3:4], null, v[1:2], v[1:2], 1.0
	s_delay_alu instid0(VALU_DEP_1) | instskip(SKIP_2) | instid1(VALU_DEP_1)
	v_rcp_f64_e32 v[5:6], v[3:4]
	s_waitcnt_depctr 0xfff
	v_fma_f64 v[9:10], -v[3:4], v[5:6], 1.0
	v_fma_f64 v[5:6], v[5:6], v[9:10], v[5:6]
	s_delay_alu instid0(VALU_DEP_1) | instskip(NEXT) | instid1(VALU_DEP_1)
	v_fma_f64 v[9:10], -v[3:4], v[5:6], 1.0
	v_fma_f64 v[5:6], v[5:6], v[9:10], v[5:6]
	v_div_scale_f64 v[9:10], vcc_lo, 1.0, v[1:2], 1.0
	s_delay_alu instid0(VALU_DEP_1) | instskip(NEXT) | instid1(VALU_DEP_1)
	v_mul_f64 v[11:12], v[9:10], v[5:6]
	v_fma_f64 v[3:4], -v[3:4], v[11:12], v[9:10]
	s_delay_alu instid0(VALU_DEP_1) | instskip(NEXT) | instid1(VALU_DEP_1)
	v_div_fmas_f64 v[3:4], v[3:4], v[5:6], v[11:12]
	v_div_fixup_f64 v[5:6], v[3:4], v[1:2], 1.0
	s_delay_alu instid0(VALU_DEP_1)
	v_mul_f64 v[7:8], v[7:8], -v[5:6]
	v_xor_b32_e32 v10, 0x80000000, v6
	v_mov_b32_e32 v9, v5
.LBB16_17:
	s_or_b32 exec_lo, exec_lo, s3
	scratch_store_b128 v65, v[5:8], off
	scratch_load_b128 v[1:4], v52, off
	v_xor_b32_e32 v12, 0x80000000, v8
	v_mov_b32_e32 v11, v7
	v_add_nc_u32_e32 v5, 0x110, v64
	ds_store_b128 v64, v[9:12]
	s_waitcnt vmcnt(0)
	ds_store_b128 v64, v[1:4] offset:272
	s_waitcnt lgkmcnt(0)
	s_waitcnt_vscnt null, 0x0
	s_barrier
	buffer_gl0_inv
	s_and_saveexec_b32 s3, s2
	s_cbranch_execz .LBB16_19
; %bb.18:
	scratch_load_b128 v[1:4], v65, off
	ds_load_b128 v[6:9], v5
	v_mov_b32_e32 v10, 0
	ds_load_b128 v[66:69], v10 offset:16
	s_waitcnt vmcnt(0) lgkmcnt(1)
	v_mul_f64 v[10:11], v[6:7], v[3:4]
	v_mul_f64 v[3:4], v[8:9], v[3:4]
	s_delay_alu instid0(VALU_DEP_2) | instskip(NEXT) | instid1(VALU_DEP_2)
	v_fma_f64 v[8:9], v[8:9], v[1:2], v[10:11]
	v_fma_f64 v[1:2], v[6:7], v[1:2], -v[3:4]
	s_delay_alu instid0(VALU_DEP_2) | instskip(NEXT) | instid1(VALU_DEP_2)
	v_add_f64 v[3:4], v[8:9], 0
	v_add_f64 v[1:2], v[1:2], 0
	s_waitcnt lgkmcnt(0)
	s_delay_alu instid0(VALU_DEP_2) | instskip(NEXT) | instid1(VALU_DEP_2)
	v_mul_f64 v[6:7], v[3:4], v[68:69]
	v_mul_f64 v[8:9], v[1:2], v[68:69]
	s_delay_alu instid0(VALU_DEP_2) | instskip(NEXT) | instid1(VALU_DEP_2)
	v_fma_f64 v[1:2], v[1:2], v[66:67], -v[6:7]
	v_fma_f64 v[3:4], v[3:4], v[66:67], v[8:9]
	scratch_store_b128 off, v[1:4], off offset:16
.LBB16_19:
	s_or_b32 exec_lo, exec_lo, s3
	s_waitcnt_vscnt null, 0x0
	s_barrier
	buffer_gl0_inv
	scratch_load_b128 v[1:4], v51, off
	s_mov_b32 s3, exec_lo
	s_waitcnt vmcnt(0)
	ds_store_b128 v5, v[1:4]
	s_waitcnt lgkmcnt(0)
	s_barrier
	buffer_gl0_inv
	v_cmpx_gt_u32_e32 2, v47
	s_cbranch_execz .LBB16_23
; %bb.20:
	scratch_load_b128 v[1:4], v65, off
	ds_load_b128 v[6:9], v5
	s_waitcnt vmcnt(0) lgkmcnt(0)
	v_mul_f64 v[10:11], v[8:9], v[3:4]
	v_mul_f64 v[3:4], v[6:7], v[3:4]
	s_delay_alu instid0(VALU_DEP_2) | instskip(NEXT) | instid1(VALU_DEP_2)
	v_fma_f64 v[6:7], v[6:7], v[1:2], -v[10:11]
	v_fma_f64 v[3:4], v[8:9], v[1:2], v[3:4]
	s_delay_alu instid0(VALU_DEP_2) | instskip(NEXT) | instid1(VALU_DEP_2)
	v_add_f64 v[1:2], v[6:7], 0
	v_add_f64 v[3:4], v[3:4], 0
	s_and_saveexec_b32 s4, s2
	s_cbranch_execz .LBB16_22
; %bb.21:
	scratch_load_b128 v[6:9], off, off offset:16
	v_mov_b32_e32 v10, 0
	ds_load_b128 v[66:69], v10 offset:288
	s_waitcnt vmcnt(0) lgkmcnt(0)
	v_mul_f64 v[10:11], v[66:67], v[8:9]
	v_mul_f64 v[8:9], v[68:69], v[8:9]
	s_delay_alu instid0(VALU_DEP_2) | instskip(NEXT) | instid1(VALU_DEP_2)
	v_fma_f64 v[10:11], v[68:69], v[6:7], v[10:11]
	v_fma_f64 v[6:7], v[66:67], v[6:7], -v[8:9]
	s_delay_alu instid0(VALU_DEP_2) | instskip(NEXT) | instid1(VALU_DEP_2)
	v_add_f64 v[3:4], v[3:4], v[10:11]
	v_add_f64 v[1:2], v[1:2], v[6:7]
.LBB16_22:
	s_or_b32 exec_lo, exec_lo, s4
	v_mov_b32_e32 v6, 0
	ds_load_b128 v[6:9], v6 offset:32
	s_waitcnt lgkmcnt(0)
	v_mul_f64 v[10:11], v[3:4], v[8:9]
	v_mul_f64 v[8:9], v[1:2], v[8:9]
	s_delay_alu instid0(VALU_DEP_2) | instskip(NEXT) | instid1(VALU_DEP_2)
	v_fma_f64 v[1:2], v[1:2], v[6:7], -v[10:11]
	v_fma_f64 v[3:4], v[3:4], v[6:7], v[8:9]
	scratch_store_b128 off, v[1:4], off offset:32
.LBB16_23:
	s_or_b32 exec_lo, exec_lo, s3
	s_waitcnt_vscnt null, 0x0
	s_barrier
	buffer_gl0_inv
	scratch_load_b128 v[1:4], v48, off
	v_add_nc_u32_e32 v6, -1, v47
	s_mov_b32 s2, exec_lo
	s_waitcnt vmcnt(0)
	ds_store_b128 v5, v[1:4]
	s_waitcnt lgkmcnt(0)
	s_barrier
	buffer_gl0_inv
	v_cmpx_gt_u32_e32 3, v47
	s_cbranch_execz .LBB16_27
; %bb.24:
	v_dual_mov_b32 v1, 0 :: v_dual_add_nc_u32 v8, 0x110, v64
	v_dual_mov_b32 v2, 0 :: v_dual_add_nc_u32 v7, -1, v47
	v_or_b32_e32 v9, 8, v65
	s_mov_b32 s3, 0
	s_delay_alu instid0(VALU_DEP_2)
	v_dual_mov_b32 v4, v2 :: v_dual_mov_b32 v3, v1
	.p2align	6
.LBB16_25:                              ; =>This Inner Loop Header: Depth=1
	scratch_load_b128 v[66:69], v9, off offset:-8
	ds_load_b128 v[70:73], v8
	v_add_nc_u32_e32 v7, 1, v7
	v_add_nc_u32_e32 v8, 16, v8
	;; [unrolled: 1-line block ×3, first 2 shown]
	s_delay_alu instid0(VALU_DEP_3) | instskip(SKIP_4) | instid1(VALU_DEP_2)
	v_cmp_lt_u32_e32 vcc_lo, 1, v7
	s_or_b32 s3, vcc_lo, s3
	s_waitcnt vmcnt(0) lgkmcnt(0)
	v_mul_f64 v[10:11], v[72:73], v[68:69]
	v_mul_f64 v[68:69], v[70:71], v[68:69]
	v_fma_f64 v[10:11], v[70:71], v[66:67], -v[10:11]
	s_delay_alu instid0(VALU_DEP_2) | instskip(NEXT) | instid1(VALU_DEP_2)
	v_fma_f64 v[66:67], v[72:73], v[66:67], v[68:69]
	v_add_f64 v[3:4], v[3:4], v[10:11]
	s_delay_alu instid0(VALU_DEP_2)
	v_add_f64 v[1:2], v[1:2], v[66:67]
	s_and_not1_b32 exec_lo, exec_lo, s3
	s_cbranch_execnz .LBB16_25
; %bb.26:
	s_or_b32 exec_lo, exec_lo, s3
	v_mov_b32_e32 v7, 0
	ds_load_b128 v[7:10], v7 offset:48
	s_waitcnt lgkmcnt(0)
	v_mul_f64 v[11:12], v[1:2], v[9:10]
	v_mul_f64 v[66:67], v[3:4], v[9:10]
	s_delay_alu instid0(VALU_DEP_2) | instskip(NEXT) | instid1(VALU_DEP_2)
	v_fma_f64 v[9:10], v[3:4], v[7:8], -v[11:12]
	v_fma_f64 v[11:12], v[1:2], v[7:8], v[66:67]
	scratch_store_b128 off, v[9:12], off offset:48
.LBB16_27:
	s_or_b32 exec_lo, exec_lo, s2
	s_waitcnt_vscnt null, 0x0
	s_barrier
	buffer_gl0_inv
	scratch_load_b128 v[1:4], v50, off
	s_mov_b32 s2, exec_lo
	s_waitcnt vmcnt(0)
	ds_store_b128 v5, v[1:4]
	s_waitcnt lgkmcnt(0)
	s_barrier
	buffer_gl0_inv
	v_cmpx_gt_u32_e32 4, v47
	s_cbranch_execz .LBB16_31
; %bb.28:
	v_dual_mov_b32 v1, 0 :: v_dual_add_nc_u32 v8, 0x110, v64
	v_dual_mov_b32 v2, 0 :: v_dual_add_nc_u32 v7, -1, v47
	v_or_b32_e32 v9, 8, v65
	s_mov_b32 s3, 0
	s_delay_alu instid0(VALU_DEP_2)
	v_dual_mov_b32 v4, v2 :: v_dual_mov_b32 v3, v1
	.p2align	6
.LBB16_29:                              ; =>This Inner Loop Header: Depth=1
	scratch_load_b128 v[66:69], v9, off offset:-8
	ds_load_b128 v[70:73], v8
	v_add_nc_u32_e32 v7, 1, v7
	v_add_nc_u32_e32 v8, 16, v8
	;; [unrolled: 1-line block ×3, first 2 shown]
	s_delay_alu instid0(VALU_DEP_3) | instskip(SKIP_4) | instid1(VALU_DEP_2)
	v_cmp_lt_u32_e32 vcc_lo, 2, v7
	s_or_b32 s3, vcc_lo, s3
	s_waitcnt vmcnt(0) lgkmcnt(0)
	v_mul_f64 v[10:11], v[72:73], v[68:69]
	v_mul_f64 v[68:69], v[70:71], v[68:69]
	v_fma_f64 v[10:11], v[70:71], v[66:67], -v[10:11]
	s_delay_alu instid0(VALU_DEP_2) | instskip(NEXT) | instid1(VALU_DEP_2)
	v_fma_f64 v[66:67], v[72:73], v[66:67], v[68:69]
	v_add_f64 v[3:4], v[3:4], v[10:11]
	s_delay_alu instid0(VALU_DEP_2)
	v_add_f64 v[1:2], v[1:2], v[66:67]
	s_and_not1_b32 exec_lo, exec_lo, s3
	s_cbranch_execnz .LBB16_29
; %bb.30:
	s_or_b32 exec_lo, exec_lo, s3
	v_mov_b32_e32 v7, 0
	ds_load_b128 v[7:10], v7 offset:64
	s_waitcnt lgkmcnt(0)
	v_mul_f64 v[11:12], v[1:2], v[9:10]
	v_mul_f64 v[66:67], v[3:4], v[9:10]
	s_delay_alu instid0(VALU_DEP_2) | instskip(NEXT) | instid1(VALU_DEP_2)
	v_fma_f64 v[9:10], v[3:4], v[7:8], -v[11:12]
	v_fma_f64 v[11:12], v[1:2], v[7:8], v[66:67]
	scratch_store_b128 off, v[9:12], off offset:64
.LBB16_31:
	s_or_b32 exec_lo, exec_lo, s2
	s_waitcnt_vscnt null, 0x0
	s_barrier
	buffer_gl0_inv
	scratch_load_b128 v[1:4], v49, off
	s_mov_b32 s2, exec_lo
	s_waitcnt vmcnt(0)
	ds_store_b128 v5, v[1:4]
	s_waitcnt lgkmcnt(0)
	s_barrier
	buffer_gl0_inv
	v_cmpx_gt_u32_e32 5, v47
	s_cbranch_execz .LBB16_35
; %bb.32:
	v_dual_mov_b32 v1, 0 :: v_dual_add_nc_u32 v8, 0x110, v64
	v_dual_mov_b32 v2, 0 :: v_dual_add_nc_u32 v7, -1, v47
	v_or_b32_e32 v9, 8, v65
	s_mov_b32 s3, 0
	s_delay_alu instid0(VALU_DEP_2)
	v_dual_mov_b32 v4, v2 :: v_dual_mov_b32 v3, v1
	.p2align	6
.LBB16_33:                              ; =>This Inner Loop Header: Depth=1
	scratch_load_b128 v[66:69], v9, off offset:-8
	ds_load_b128 v[70:73], v8
	v_add_nc_u32_e32 v7, 1, v7
	v_add_nc_u32_e32 v8, 16, v8
	;; [unrolled: 1-line block ×3, first 2 shown]
	s_delay_alu instid0(VALU_DEP_3) | instskip(SKIP_4) | instid1(VALU_DEP_2)
	v_cmp_lt_u32_e32 vcc_lo, 3, v7
	s_or_b32 s3, vcc_lo, s3
	s_waitcnt vmcnt(0) lgkmcnt(0)
	v_mul_f64 v[10:11], v[72:73], v[68:69]
	v_mul_f64 v[68:69], v[70:71], v[68:69]
	v_fma_f64 v[10:11], v[70:71], v[66:67], -v[10:11]
	s_delay_alu instid0(VALU_DEP_2) | instskip(NEXT) | instid1(VALU_DEP_2)
	v_fma_f64 v[66:67], v[72:73], v[66:67], v[68:69]
	v_add_f64 v[3:4], v[3:4], v[10:11]
	s_delay_alu instid0(VALU_DEP_2)
	v_add_f64 v[1:2], v[1:2], v[66:67]
	s_and_not1_b32 exec_lo, exec_lo, s3
	s_cbranch_execnz .LBB16_33
; %bb.34:
	s_or_b32 exec_lo, exec_lo, s3
	v_mov_b32_e32 v7, 0
	ds_load_b128 v[7:10], v7 offset:80
	s_waitcnt lgkmcnt(0)
	v_mul_f64 v[11:12], v[1:2], v[9:10]
	v_mul_f64 v[66:67], v[3:4], v[9:10]
	s_delay_alu instid0(VALU_DEP_2) | instskip(NEXT) | instid1(VALU_DEP_2)
	v_fma_f64 v[9:10], v[3:4], v[7:8], -v[11:12]
	v_fma_f64 v[11:12], v[1:2], v[7:8], v[66:67]
	scratch_store_b128 off, v[9:12], off offset:80
.LBB16_35:
	s_or_b32 exec_lo, exec_lo, s2
	s_waitcnt_vscnt null, 0x0
	s_barrier
	buffer_gl0_inv
	scratch_load_b128 v[1:4], v54, off
	s_mov_b32 s2, exec_lo
	s_waitcnt vmcnt(0)
	ds_store_b128 v5, v[1:4]
	s_waitcnt lgkmcnt(0)
	s_barrier
	buffer_gl0_inv
	v_cmpx_gt_u32_e32 6, v47
	s_cbranch_execz .LBB16_39
; %bb.36:
	v_dual_mov_b32 v1, 0 :: v_dual_add_nc_u32 v8, 0x110, v64
	v_dual_mov_b32 v2, 0 :: v_dual_add_nc_u32 v7, -1, v47
	v_or_b32_e32 v9, 8, v65
	s_mov_b32 s3, 0
	s_delay_alu instid0(VALU_DEP_2)
	v_dual_mov_b32 v4, v2 :: v_dual_mov_b32 v3, v1
	.p2align	6
.LBB16_37:                              ; =>This Inner Loop Header: Depth=1
	scratch_load_b128 v[66:69], v9, off offset:-8
	ds_load_b128 v[70:73], v8
	v_add_nc_u32_e32 v7, 1, v7
	v_add_nc_u32_e32 v8, 16, v8
	;; [unrolled: 1-line block ×3, first 2 shown]
	s_delay_alu instid0(VALU_DEP_3) | instskip(SKIP_4) | instid1(VALU_DEP_2)
	v_cmp_lt_u32_e32 vcc_lo, 4, v7
	s_or_b32 s3, vcc_lo, s3
	s_waitcnt vmcnt(0) lgkmcnt(0)
	v_mul_f64 v[10:11], v[72:73], v[68:69]
	v_mul_f64 v[68:69], v[70:71], v[68:69]
	v_fma_f64 v[10:11], v[70:71], v[66:67], -v[10:11]
	s_delay_alu instid0(VALU_DEP_2) | instskip(NEXT) | instid1(VALU_DEP_2)
	v_fma_f64 v[66:67], v[72:73], v[66:67], v[68:69]
	v_add_f64 v[3:4], v[3:4], v[10:11]
	s_delay_alu instid0(VALU_DEP_2)
	v_add_f64 v[1:2], v[1:2], v[66:67]
	s_and_not1_b32 exec_lo, exec_lo, s3
	s_cbranch_execnz .LBB16_37
; %bb.38:
	s_or_b32 exec_lo, exec_lo, s3
	v_mov_b32_e32 v7, 0
	ds_load_b128 v[7:10], v7 offset:96
	s_waitcnt lgkmcnt(0)
	v_mul_f64 v[11:12], v[1:2], v[9:10]
	v_mul_f64 v[66:67], v[3:4], v[9:10]
	s_delay_alu instid0(VALU_DEP_2) | instskip(NEXT) | instid1(VALU_DEP_2)
	v_fma_f64 v[9:10], v[3:4], v[7:8], -v[11:12]
	v_fma_f64 v[11:12], v[1:2], v[7:8], v[66:67]
	scratch_store_b128 off, v[9:12], off offset:96
.LBB16_39:
	s_or_b32 exec_lo, exec_lo, s2
	s_waitcnt_vscnt null, 0x0
	s_barrier
	buffer_gl0_inv
	scratch_load_b128 v[1:4], v53, off
	s_mov_b32 s2, exec_lo
	s_waitcnt vmcnt(0)
	ds_store_b128 v5, v[1:4]
	s_waitcnt lgkmcnt(0)
	s_barrier
	buffer_gl0_inv
	v_cmpx_gt_u32_e32 7, v47
	s_cbranch_execz .LBB16_43
; %bb.40:
	v_dual_mov_b32 v1, 0 :: v_dual_add_nc_u32 v8, 0x110, v64
	v_dual_mov_b32 v2, 0 :: v_dual_add_nc_u32 v7, -1, v47
	v_or_b32_e32 v9, 8, v65
	s_mov_b32 s3, 0
	s_delay_alu instid0(VALU_DEP_2)
	v_dual_mov_b32 v4, v2 :: v_dual_mov_b32 v3, v1
	.p2align	6
.LBB16_41:                              ; =>This Inner Loop Header: Depth=1
	scratch_load_b128 v[66:69], v9, off offset:-8
	ds_load_b128 v[70:73], v8
	v_add_nc_u32_e32 v7, 1, v7
	v_add_nc_u32_e32 v8, 16, v8
	;; [unrolled: 1-line block ×3, first 2 shown]
	s_delay_alu instid0(VALU_DEP_3) | instskip(SKIP_4) | instid1(VALU_DEP_2)
	v_cmp_lt_u32_e32 vcc_lo, 5, v7
	s_or_b32 s3, vcc_lo, s3
	s_waitcnt vmcnt(0) lgkmcnt(0)
	v_mul_f64 v[10:11], v[72:73], v[68:69]
	v_mul_f64 v[68:69], v[70:71], v[68:69]
	v_fma_f64 v[10:11], v[70:71], v[66:67], -v[10:11]
	s_delay_alu instid0(VALU_DEP_2) | instskip(NEXT) | instid1(VALU_DEP_2)
	v_fma_f64 v[66:67], v[72:73], v[66:67], v[68:69]
	v_add_f64 v[3:4], v[3:4], v[10:11]
	s_delay_alu instid0(VALU_DEP_2)
	v_add_f64 v[1:2], v[1:2], v[66:67]
	s_and_not1_b32 exec_lo, exec_lo, s3
	s_cbranch_execnz .LBB16_41
; %bb.42:
	s_or_b32 exec_lo, exec_lo, s3
	v_mov_b32_e32 v7, 0
	ds_load_b128 v[7:10], v7 offset:112
	s_waitcnt lgkmcnt(0)
	v_mul_f64 v[11:12], v[1:2], v[9:10]
	v_mul_f64 v[66:67], v[3:4], v[9:10]
	s_delay_alu instid0(VALU_DEP_2) | instskip(NEXT) | instid1(VALU_DEP_2)
	v_fma_f64 v[9:10], v[3:4], v[7:8], -v[11:12]
	v_fma_f64 v[11:12], v[1:2], v[7:8], v[66:67]
	scratch_store_b128 off, v[9:12], off offset:112
.LBB16_43:
	s_or_b32 exec_lo, exec_lo, s2
	s_waitcnt_vscnt null, 0x0
	s_barrier
	buffer_gl0_inv
	scratch_load_b128 v[1:4], v56, off
	s_mov_b32 s2, exec_lo
	s_waitcnt vmcnt(0)
	ds_store_b128 v5, v[1:4]
	s_waitcnt lgkmcnt(0)
	s_barrier
	buffer_gl0_inv
	v_cmpx_gt_u32_e32 8, v47
	s_cbranch_execz .LBB16_47
; %bb.44:
	v_dual_mov_b32 v1, 0 :: v_dual_add_nc_u32 v8, 0x110, v64
	v_dual_mov_b32 v2, 0 :: v_dual_add_nc_u32 v7, -1, v47
	v_or_b32_e32 v9, 8, v65
	s_mov_b32 s3, 0
	s_delay_alu instid0(VALU_DEP_2)
	v_dual_mov_b32 v4, v2 :: v_dual_mov_b32 v3, v1
	.p2align	6
.LBB16_45:                              ; =>This Inner Loop Header: Depth=1
	scratch_load_b128 v[66:69], v9, off offset:-8
	ds_load_b128 v[70:73], v8
	v_add_nc_u32_e32 v7, 1, v7
	v_add_nc_u32_e32 v8, 16, v8
	v_add_nc_u32_e32 v9, 16, v9
	s_delay_alu instid0(VALU_DEP_3) | instskip(SKIP_4) | instid1(VALU_DEP_2)
	v_cmp_lt_u32_e32 vcc_lo, 6, v7
	s_or_b32 s3, vcc_lo, s3
	s_waitcnt vmcnt(0) lgkmcnt(0)
	v_mul_f64 v[10:11], v[72:73], v[68:69]
	v_mul_f64 v[68:69], v[70:71], v[68:69]
	v_fma_f64 v[10:11], v[70:71], v[66:67], -v[10:11]
	s_delay_alu instid0(VALU_DEP_2) | instskip(NEXT) | instid1(VALU_DEP_2)
	v_fma_f64 v[66:67], v[72:73], v[66:67], v[68:69]
	v_add_f64 v[3:4], v[3:4], v[10:11]
	s_delay_alu instid0(VALU_DEP_2)
	v_add_f64 v[1:2], v[1:2], v[66:67]
	s_and_not1_b32 exec_lo, exec_lo, s3
	s_cbranch_execnz .LBB16_45
; %bb.46:
	s_or_b32 exec_lo, exec_lo, s3
	v_mov_b32_e32 v7, 0
	ds_load_b128 v[7:10], v7 offset:128
	s_waitcnt lgkmcnt(0)
	v_mul_f64 v[11:12], v[1:2], v[9:10]
	v_mul_f64 v[66:67], v[3:4], v[9:10]
	s_delay_alu instid0(VALU_DEP_2) | instskip(NEXT) | instid1(VALU_DEP_2)
	v_fma_f64 v[9:10], v[3:4], v[7:8], -v[11:12]
	v_fma_f64 v[11:12], v[1:2], v[7:8], v[66:67]
	scratch_store_b128 off, v[9:12], off offset:128
.LBB16_47:
	s_or_b32 exec_lo, exec_lo, s2
	s_waitcnt_vscnt null, 0x0
	s_barrier
	buffer_gl0_inv
	scratch_load_b128 v[1:4], v55, off
	s_mov_b32 s2, exec_lo
	s_waitcnt vmcnt(0)
	ds_store_b128 v5, v[1:4]
	s_waitcnt lgkmcnt(0)
	s_barrier
	buffer_gl0_inv
	v_cmpx_gt_u32_e32 9, v47
	s_cbranch_execz .LBB16_51
; %bb.48:
	v_dual_mov_b32 v1, 0 :: v_dual_add_nc_u32 v8, 0x110, v64
	v_dual_mov_b32 v2, 0 :: v_dual_add_nc_u32 v7, -1, v47
	v_or_b32_e32 v9, 8, v65
	s_mov_b32 s3, 0
	s_delay_alu instid0(VALU_DEP_2)
	v_dual_mov_b32 v4, v2 :: v_dual_mov_b32 v3, v1
	.p2align	6
.LBB16_49:                              ; =>This Inner Loop Header: Depth=1
	scratch_load_b128 v[66:69], v9, off offset:-8
	ds_load_b128 v[70:73], v8
	v_add_nc_u32_e32 v7, 1, v7
	v_add_nc_u32_e32 v8, 16, v8
	v_add_nc_u32_e32 v9, 16, v9
	s_delay_alu instid0(VALU_DEP_3) | instskip(SKIP_4) | instid1(VALU_DEP_2)
	v_cmp_lt_u32_e32 vcc_lo, 7, v7
	s_or_b32 s3, vcc_lo, s3
	s_waitcnt vmcnt(0) lgkmcnt(0)
	v_mul_f64 v[10:11], v[72:73], v[68:69]
	v_mul_f64 v[68:69], v[70:71], v[68:69]
	v_fma_f64 v[10:11], v[70:71], v[66:67], -v[10:11]
	s_delay_alu instid0(VALU_DEP_2) | instskip(NEXT) | instid1(VALU_DEP_2)
	v_fma_f64 v[66:67], v[72:73], v[66:67], v[68:69]
	v_add_f64 v[3:4], v[3:4], v[10:11]
	s_delay_alu instid0(VALU_DEP_2)
	v_add_f64 v[1:2], v[1:2], v[66:67]
	s_and_not1_b32 exec_lo, exec_lo, s3
	s_cbranch_execnz .LBB16_49
; %bb.50:
	s_or_b32 exec_lo, exec_lo, s3
	v_mov_b32_e32 v7, 0
	ds_load_b128 v[7:10], v7 offset:144
	s_waitcnt lgkmcnt(0)
	v_mul_f64 v[11:12], v[1:2], v[9:10]
	v_mul_f64 v[66:67], v[3:4], v[9:10]
	s_delay_alu instid0(VALU_DEP_2) | instskip(NEXT) | instid1(VALU_DEP_2)
	v_fma_f64 v[9:10], v[3:4], v[7:8], -v[11:12]
	v_fma_f64 v[11:12], v[1:2], v[7:8], v[66:67]
	scratch_store_b128 off, v[9:12], off offset:144
.LBB16_51:
	s_or_b32 exec_lo, exec_lo, s2
	s_waitcnt_vscnt null, 0x0
	s_barrier
	buffer_gl0_inv
	scratch_load_b128 v[1:4], v58, off
	s_mov_b32 s2, exec_lo
	s_waitcnt vmcnt(0)
	ds_store_b128 v5, v[1:4]
	s_waitcnt lgkmcnt(0)
	s_barrier
	buffer_gl0_inv
	v_cmpx_gt_u32_e32 10, v47
	s_cbranch_execz .LBB16_55
; %bb.52:
	v_dual_mov_b32 v1, 0 :: v_dual_add_nc_u32 v8, 0x110, v64
	v_dual_mov_b32 v2, 0 :: v_dual_add_nc_u32 v7, -1, v47
	v_or_b32_e32 v9, 8, v65
	s_mov_b32 s3, 0
	s_delay_alu instid0(VALU_DEP_2)
	v_dual_mov_b32 v4, v2 :: v_dual_mov_b32 v3, v1
	.p2align	6
.LBB16_53:                              ; =>This Inner Loop Header: Depth=1
	scratch_load_b128 v[66:69], v9, off offset:-8
	ds_load_b128 v[70:73], v8
	v_add_nc_u32_e32 v7, 1, v7
	v_add_nc_u32_e32 v8, 16, v8
	;; [unrolled: 1-line block ×3, first 2 shown]
	s_delay_alu instid0(VALU_DEP_3) | instskip(SKIP_4) | instid1(VALU_DEP_2)
	v_cmp_lt_u32_e32 vcc_lo, 8, v7
	s_or_b32 s3, vcc_lo, s3
	s_waitcnt vmcnt(0) lgkmcnt(0)
	v_mul_f64 v[10:11], v[72:73], v[68:69]
	v_mul_f64 v[68:69], v[70:71], v[68:69]
	v_fma_f64 v[10:11], v[70:71], v[66:67], -v[10:11]
	s_delay_alu instid0(VALU_DEP_2) | instskip(NEXT) | instid1(VALU_DEP_2)
	v_fma_f64 v[66:67], v[72:73], v[66:67], v[68:69]
	v_add_f64 v[3:4], v[3:4], v[10:11]
	s_delay_alu instid0(VALU_DEP_2)
	v_add_f64 v[1:2], v[1:2], v[66:67]
	s_and_not1_b32 exec_lo, exec_lo, s3
	s_cbranch_execnz .LBB16_53
; %bb.54:
	s_or_b32 exec_lo, exec_lo, s3
	v_mov_b32_e32 v7, 0
	ds_load_b128 v[7:10], v7 offset:160
	s_waitcnt lgkmcnt(0)
	v_mul_f64 v[11:12], v[1:2], v[9:10]
	v_mul_f64 v[66:67], v[3:4], v[9:10]
	s_delay_alu instid0(VALU_DEP_2) | instskip(NEXT) | instid1(VALU_DEP_2)
	v_fma_f64 v[9:10], v[3:4], v[7:8], -v[11:12]
	v_fma_f64 v[11:12], v[1:2], v[7:8], v[66:67]
	scratch_store_b128 off, v[9:12], off offset:160
.LBB16_55:
	s_or_b32 exec_lo, exec_lo, s2
	s_waitcnt_vscnt null, 0x0
	s_barrier
	buffer_gl0_inv
	scratch_load_b128 v[1:4], v57, off
	s_mov_b32 s2, exec_lo
	s_waitcnt vmcnt(0)
	ds_store_b128 v5, v[1:4]
	s_waitcnt lgkmcnt(0)
	s_barrier
	buffer_gl0_inv
	v_cmpx_gt_u32_e32 11, v47
	s_cbranch_execz .LBB16_59
; %bb.56:
	v_dual_mov_b32 v1, 0 :: v_dual_add_nc_u32 v8, 0x110, v64
	v_dual_mov_b32 v2, 0 :: v_dual_add_nc_u32 v7, -1, v47
	v_or_b32_e32 v9, 8, v65
	s_mov_b32 s3, 0
	s_delay_alu instid0(VALU_DEP_2)
	v_dual_mov_b32 v4, v2 :: v_dual_mov_b32 v3, v1
	.p2align	6
.LBB16_57:                              ; =>This Inner Loop Header: Depth=1
	scratch_load_b128 v[66:69], v9, off offset:-8
	ds_load_b128 v[70:73], v8
	v_add_nc_u32_e32 v7, 1, v7
	v_add_nc_u32_e32 v8, 16, v8
	;; [unrolled: 1-line block ×3, first 2 shown]
	s_delay_alu instid0(VALU_DEP_3) | instskip(SKIP_4) | instid1(VALU_DEP_2)
	v_cmp_lt_u32_e32 vcc_lo, 9, v7
	s_or_b32 s3, vcc_lo, s3
	s_waitcnt vmcnt(0) lgkmcnt(0)
	v_mul_f64 v[10:11], v[72:73], v[68:69]
	v_mul_f64 v[68:69], v[70:71], v[68:69]
	v_fma_f64 v[10:11], v[70:71], v[66:67], -v[10:11]
	s_delay_alu instid0(VALU_DEP_2) | instskip(NEXT) | instid1(VALU_DEP_2)
	v_fma_f64 v[66:67], v[72:73], v[66:67], v[68:69]
	v_add_f64 v[3:4], v[3:4], v[10:11]
	s_delay_alu instid0(VALU_DEP_2)
	v_add_f64 v[1:2], v[1:2], v[66:67]
	s_and_not1_b32 exec_lo, exec_lo, s3
	s_cbranch_execnz .LBB16_57
; %bb.58:
	s_or_b32 exec_lo, exec_lo, s3
	v_mov_b32_e32 v7, 0
	ds_load_b128 v[7:10], v7 offset:176
	s_waitcnt lgkmcnt(0)
	v_mul_f64 v[11:12], v[1:2], v[9:10]
	v_mul_f64 v[66:67], v[3:4], v[9:10]
	s_delay_alu instid0(VALU_DEP_2) | instskip(NEXT) | instid1(VALU_DEP_2)
	v_fma_f64 v[9:10], v[3:4], v[7:8], -v[11:12]
	v_fma_f64 v[11:12], v[1:2], v[7:8], v[66:67]
	scratch_store_b128 off, v[9:12], off offset:176
.LBB16_59:
	s_or_b32 exec_lo, exec_lo, s2
	s_waitcnt_vscnt null, 0x0
	s_barrier
	buffer_gl0_inv
	scratch_load_b128 v[1:4], v60, off
	s_mov_b32 s2, exec_lo
	s_waitcnt vmcnt(0)
	ds_store_b128 v5, v[1:4]
	s_waitcnt lgkmcnt(0)
	s_barrier
	buffer_gl0_inv
	v_cmpx_gt_u32_e32 12, v47
	s_cbranch_execz .LBB16_63
; %bb.60:
	v_dual_mov_b32 v1, 0 :: v_dual_add_nc_u32 v8, 0x110, v64
	v_dual_mov_b32 v2, 0 :: v_dual_add_nc_u32 v7, -1, v47
	v_or_b32_e32 v9, 8, v65
	s_mov_b32 s3, 0
	s_delay_alu instid0(VALU_DEP_2)
	v_dual_mov_b32 v4, v2 :: v_dual_mov_b32 v3, v1
	.p2align	6
.LBB16_61:                              ; =>This Inner Loop Header: Depth=1
	scratch_load_b128 v[66:69], v9, off offset:-8
	ds_load_b128 v[70:73], v8
	v_add_nc_u32_e32 v7, 1, v7
	v_add_nc_u32_e32 v8, 16, v8
	;; [unrolled: 1-line block ×3, first 2 shown]
	s_delay_alu instid0(VALU_DEP_3) | instskip(SKIP_4) | instid1(VALU_DEP_2)
	v_cmp_lt_u32_e32 vcc_lo, 10, v7
	s_or_b32 s3, vcc_lo, s3
	s_waitcnt vmcnt(0) lgkmcnt(0)
	v_mul_f64 v[10:11], v[72:73], v[68:69]
	v_mul_f64 v[68:69], v[70:71], v[68:69]
	v_fma_f64 v[10:11], v[70:71], v[66:67], -v[10:11]
	s_delay_alu instid0(VALU_DEP_2) | instskip(NEXT) | instid1(VALU_DEP_2)
	v_fma_f64 v[66:67], v[72:73], v[66:67], v[68:69]
	v_add_f64 v[3:4], v[3:4], v[10:11]
	s_delay_alu instid0(VALU_DEP_2)
	v_add_f64 v[1:2], v[1:2], v[66:67]
	s_and_not1_b32 exec_lo, exec_lo, s3
	s_cbranch_execnz .LBB16_61
; %bb.62:
	s_or_b32 exec_lo, exec_lo, s3
	v_mov_b32_e32 v7, 0
	ds_load_b128 v[7:10], v7 offset:192
	s_waitcnt lgkmcnt(0)
	v_mul_f64 v[11:12], v[1:2], v[9:10]
	v_mul_f64 v[66:67], v[3:4], v[9:10]
	s_delay_alu instid0(VALU_DEP_2) | instskip(NEXT) | instid1(VALU_DEP_2)
	v_fma_f64 v[9:10], v[3:4], v[7:8], -v[11:12]
	v_fma_f64 v[11:12], v[1:2], v[7:8], v[66:67]
	scratch_store_b128 off, v[9:12], off offset:192
.LBB16_63:
	s_or_b32 exec_lo, exec_lo, s2
	s_waitcnt_vscnt null, 0x0
	s_barrier
	buffer_gl0_inv
	scratch_load_b128 v[1:4], v59, off
	s_mov_b32 s2, exec_lo
	s_waitcnt vmcnt(0)
	ds_store_b128 v5, v[1:4]
	s_waitcnt lgkmcnt(0)
	s_barrier
	buffer_gl0_inv
	v_cmpx_gt_u32_e32 13, v47
	s_cbranch_execz .LBB16_67
; %bb.64:
	v_dual_mov_b32 v1, 0 :: v_dual_add_nc_u32 v8, 0x110, v64
	v_dual_mov_b32 v2, 0 :: v_dual_add_nc_u32 v7, -1, v47
	v_or_b32_e32 v9, 8, v65
	s_mov_b32 s3, 0
	s_delay_alu instid0(VALU_DEP_2)
	v_dual_mov_b32 v4, v2 :: v_dual_mov_b32 v3, v1
	.p2align	6
.LBB16_65:                              ; =>This Inner Loop Header: Depth=1
	scratch_load_b128 v[66:69], v9, off offset:-8
	ds_load_b128 v[70:73], v8
	v_add_nc_u32_e32 v7, 1, v7
	v_add_nc_u32_e32 v8, 16, v8
	;; [unrolled: 1-line block ×3, first 2 shown]
	s_delay_alu instid0(VALU_DEP_3) | instskip(SKIP_4) | instid1(VALU_DEP_2)
	v_cmp_lt_u32_e32 vcc_lo, 11, v7
	s_or_b32 s3, vcc_lo, s3
	s_waitcnt vmcnt(0) lgkmcnt(0)
	v_mul_f64 v[10:11], v[72:73], v[68:69]
	v_mul_f64 v[68:69], v[70:71], v[68:69]
	v_fma_f64 v[10:11], v[70:71], v[66:67], -v[10:11]
	s_delay_alu instid0(VALU_DEP_2) | instskip(NEXT) | instid1(VALU_DEP_2)
	v_fma_f64 v[66:67], v[72:73], v[66:67], v[68:69]
	v_add_f64 v[3:4], v[3:4], v[10:11]
	s_delay_alu instid0(VALU_DEP_2)
	v_add_f64 v[1:2], v[1:2], v[66:67]
	s_and_not1_b32 exec_lo, exec_lo, s3
	s_cbranch_execnz .LBB16_65
; %bb.66:
	s_or_b32 exec_lo, exec_lo, s3
	v_mov_b32_e32 v7, 0
	ds_load_b128 v[7:10], v7 offset:208
	s_waitcnt lgkmcnt(0)
	v_mul_f64 v[11:12], v[1:2], v[9:10]
	v_mul_f64 v[66:67], v[3:4], v[9:10]
	s_delay_alu instid0(VALU_DEP_2) | instskip(NEXT) | instid1(VALU_DEP_2)
	v_fma_f64 v[9:10], v[3:4], v[7:8], -v[11:12]
	v_fma_f64 v[11:12], v[1:2], v[7:8], v[66:67]
	scratch_store_b128 off, v[9:12], off offset:208
.LBB16_67:
	s_or_b32 exec_lo, exec_lo, s2
	s_waitcnt_vscnt null, 0x0
	s_barrier
	buffer_gl0_inv
	scratch_load_b128 v[1:4], v62, off
	s_mov_b32 s2, exec_lo
	s_waitcnt vmcnt(0)
	ds_store_b128 v5, v[1:4]
	s_waitcnt lgkmcnt(0)
	s_barrier
	buffer_gl0_inv
	v_cmpx_gt_u32_e32 14, v47
	s_cbranch_execz .LBB16_71
; %bb.68:
	v_dual_mov_b32 v1, 0 :: v_dual_add_nc_u32 v8, 0x110, v64
	v_dual_mov_b32 v2, 0 :: v_dual_add_nc_u32 v7, -1, v47
	v_or_b32_e32 v9, 8, v65
	s_mov_b32 s3, 0
	s_delay_alu instid0(VALU_DEP_2)
	v_dual_mov_b32 v4, v2 :: v_dual_mov_b32 v3, v1
	.p2align	6
.LBB16_69:                              ; =>This Inner Loop Header: Depth=1
	scratch_load_b128 v[66:69], v9, off offset:-8
	ds_load_b128 v[70:73], v8
	v_add_nc_u32_e32 v7, 1, v7
	v_add_nc_u32_e32 v8, 16, v8
	;; [unrolled: 1-line block ×3, first 2 shown]
	s_delay_alu instid0(VALU_DEP_3) | instskip(SKIP_4) | instid1(VALU_DEP_2)
	v_cmp_lt_u32_e32 vcc_lo, 12, v7
	s_or_b32 s3, vcc_lo, s3
	s_waitcnt vmcnt(0) lgkmcnt(0)
	v_mul_f64 v[10:11], v[72:73], v[68:69]
	v_mul_f64 v[68:69], v[70:71], v[68:69]
	v_fma_f64 v[10:11], v[70:71], v[66:67], -v[10:11]
	s_delay_alu instid0(VALU_DEP_2) | instskip(NEXT) | instid1(VALU_DEP_2)
	v_fma_f64 v[66:67], v[72:73], v[66:67], v[68:69]
	v_add_f64 v[3:4], v[3:4], v[10:11]
	s_delay_alu instid0(VALU_DEP_2)
	v_add_f64 v[1:2], v[1:2], v[66:67]
	s_and_not1_b32 exec_lo, exec_lo, s3
	s_cbranch_execnz .LBB16_69
; %bb.70:
	s_or_b32 exec_lo, exec_lo, s3
	v_mov_b32_e32 v7, 0
	ds_load_b128 v[7:10], v7 offset:224
	s_waitcnt lgkmcnt(0)
	v_mul_f64 v[11:12], v[1:2], v[9:10]
	v_mul_f64 v[66:67], v[3:4], v[9:10]
	s_delay_alu instid0(VALU_DEP_2) | instskip(NEXT) | instid1(VALU_DEP_2)
	v_fma_f64 v[9:10], v[3:4], v[7:8], -v[11:12]
	v_fma_f64 v[11:12], v[1:2], v[7:8], v[66:67]
	scratch_store_b128 off, v[9:12], off offset:224
.LBB16_71:
	s_or_b32 exec_lo, exec_lo, s2
	s_waitcnt_vscnt null, 0x0
	s_barrier
	buffer_gl0_inv
	scratch_load_b128 v[1:4], v63, off
	s_mov_b32 s2, exec_lo
	s_waitcnt vmcnt(0)
	ds_store_b128 v5, v[1:4]
	s_waitcnt lgkmcnt(0)
	s_barrier
	buffer_gl0_inv
	v_cmpx_gt_u32_e32 15, v47
	s_cbranch_execz .LBB16_75
; %bb.72:
	v_dual_mov_b32 v1, 0 :: v_dual_add_nc_u32 v8, 0x110, v64
	v_dual_mov_b32 v2, 0 :: v_dual_add_nc_u32 v7, -1, v47
	v_or_b32_e32 v9, 8, v65
	s_mov_b32 s3, 0
	s_delay_alu instid0(VALU_DEP_2)
	v_dual_mov_b32 v4, v2 :: v_dual_mov_b32 v3, v1
	.p2align	6
.LBB16_73:                              ; =>This Inner Loop Header: Depth=1
	scratch_load_b128 v[66:69], v9, off offset:-8
	ds_load_b128 v[70:73], v8
	v_add_nc_u32_e32 v7, 1, v7
	v_add_nc_u32_e32 v8, 16, v8
	;; [unrolled: 1-line block ×3, first 2 shown]
	s_delay_alu instid0(VALU_DEP_3) | instskip(SKIP_4) | instid1(VALU_DEP_2)
	v_cmp_lt_u32_e32 vcc_lo, 13, v7
	s_or_b32 s3, vcc_lo, s3
	s_waitcnt vmcnt(0) lgkmcnt(0)
	v_mul_f64 v[10:11], v[72:73], v[68:69]
	v_mul_f64 v[68:69], v[70:71], v[68:69]
	v_fma_f64 v[10:11], v[70:71], v[66:67], -v[10:11]
	s_delay_alu instid0(VALU_DEP_2) | instskip(NEXT) | instid1(VALU_DEP_2)
	v_fma_f64 v[66:67], v[72:73], v[66:67], v[68:69]
	v_add_f64 v[3:4], v[3:4], v[10:11]
	s_delay_alu instid0(VALU_DEP_2)
	v_add_f64 v[1:2], v[1:2], v[66:67]
	s_and_not1_b32 exec_lo, exec_lo, s3
	s_cbranch_execnz .LBB16_73
; %bb.74:
	s_or_b32 exec_lo, exec_lo, s3
	v_mov_b32_e32 v7, 0
	ds_load_b128 v[7:10], v7 offset:240
	s_waitcnt lgkmcnt(0)
	v_mul_f64 v[11:12], v[1:2], v[9:10]
	v_mul_f64 v[66:67], v[3:4], v[9:10]
	s_delay_alu instid0(VALU_DEP_2) | instskip(NEXT) | instid1(VALU_DEP_2)
	v_fma_f64 v[9:10], v[3:4], v[7:8], -v[11:12]
	v_fma_f64 v[11:12], v[1:2], v[7:8], v[66:67]
	scratch_store_b128 off, v[9:12], off offset:240
.LBB16_75:
	s_or_b32 exec_lo, exec_lo, s2
	s_waitcnt_vscnt null, 0x0
	s_barrier
	buffer_gl0_inv
	scratch_load_b128 v[1:4], v61, off
	s_mov_b32 s2, exec_lo
	s_waitcnt vmcnt(0)
	ds_store_b128 v5, v[1:4]
	s_waitcnt lgkmcnt(0)
	s_barrier
	buffer_gl0_inv
	v_cmpx_ne_u32_e32 16, v47
	s_cbranch_execz .LBB16_79
; %bb.76:
	v_mov_b32_e32 v1, 0
	v_mov_b32_e32 v2, 0
	v_or_b32_e32 v7, 8, v65
	s_mov_b32 s3, 0
	s_delay_alu instid0(VALU_DEP_2)
	v_dual_mov_b32 v4, v2 :: v_dual_mov_b32 v3, v1
	.p2align	6
.LBB16_77:                              ; =>This Inner Loop Header: Depth=1
	scratch_load_b128 v[8:11], v7, off offset:-8
	ds_load_b128 v[64:67], v5
	v_add_nc_u32_e32 v6, 1, v6
	v_add_nc_u32_e32 v5, 16, v5
	;; [unrolled: 1-line block ×3, first 2 shown]
	s_delay_alu instid0(VALU_DEP_3) | instskip(SKIP_4) | instid1(VALU_DEP_2)
	v_cmp_lt_u32_e32 vcc_lo, 14, v6
	s_or_b32 s3, vcc_lo, s3
	s_waitcnt vmcnt(0) lgkmcnt(0)
	v_mul_f64 v[68:69], v[66:67], v[10:11]
	v_mul_f64 v[10:11], v[64:65], v[10:11]
	v_fma_f64 v[64:65], v[64:65], v[8:9], -v[68:69]
	s_delay_alu instid0(VALU_DEP_2) | instskip(NEXT) | instid1(VALU_DEP_2)
	v_fma_f64 v[8:9], v[66:67], v[8:9], v[10:11]
	v_add_f64 v[3:4], v[3:4], v[64:65]
	s_delay_alu instid0(VALU_DEP_2)
	v_add_f64 v[1:2], v[1:2], v[8:9]
	s_and_not1_b32 exec_lo, exec_lo, s3
	s_cbranch_execnz .LBB16_77
; %bb.78:
	s_or_b32 exec_lo, exec_lo, s3
	v_mov_b32_e32 v5, 0
	ds_load_b128 v[5:8], v5 offset:256
	s_waitcnt lgkmcnt(0)
	v_mul_f64 v[9:10], v[1:2], v[7:8]
	v_mul_f64 v[7:8], v[3:4], v[7:8]
	s_delay_alu instid0(VALU_DEP_2) | instskip(NEXT) | instid1(VALU_DEP_2)
	v_fma_f64 v[3:4], v[3:4], v[5:6], -v[9:10]
	v_fma_f64 v[5:6], v[1:2], v[5:6], v[7:8]
	scratch_store_b128 off, v[3:6], off offset:256
.LBB16_79:
	s_or_b32 exec_lo, exec_lo, s2
	s_mov_b32 s3, -1
	s_waitcnt_vscnt null, 0x0
	s_barrier
	buffer_gl0_inv
.LBB16_80:
	s_and_b32 vcc_lo, exec_lo, s3
	s_cbranch_vccz .LBB16_82
; %bb.81:
	s_lshl_b64 s[2:3], s[18:19], 2
	v_mov_b32_e32 v1, 0
	s_add_u32 s2, s6, s2
	s_addc_u32 s3, s7, s3
	global_load_b32 v1, v1, s[2:3]
	s_waitcnt vmcnt(0)
	v_cmp_ne_u32_e32 vcc_lo, 0, v1
	s_cbranch_vccz .LBB16_83
.LBB16_82:
	s_endpgm
.LBB16_83:
	v_lshl_add_u32 v5, v47, 4, 0x110
	s_mov_b32 s2, exec_lo
	v_cmpx_eq_u32_e32 16, v47
	s_cbranch_execz .LBB16_85
; %bb.84:
	scratch_load_b128 v[1:4], v63, off
	v_mov_b32_e32 v6, 0
	s_delay_alu instid0(VALU_DEP_1)
	v_mov_b32_e32 v7, v6
	v_mov_b32_e32 v8, v6
	v_mov_b32_e32 v9, v6
	scratch_store_b128 off, v[6:9], off offset:240
	s_waitcnt vmcnt(0)
	ds_store_b128 v5, v[1:4]
.LBB16_85:
	s_or_b32 exec_lo, exec_lo, s2
	s_waitcnt lgkmcnt(0)
	s_waitcnt_vscnt null, 0x0
	s_barrier
	buffer_gl0_inv
	s_clause 0x1
	scratch_load_b128 v[6:9], off, off offset:256
	scratch_load_b128 v[64:67], off, off offset:240
	v_mov_b32_e32 v1, 0
	s_mov_b32 s2, exec_lo
	ds_load_b128 v[68:71], v1 offset:528
	s_waitcnt vmcnt(1) lgkmcnt(0)
	v_mul_f64 v[2:3], v[70:71], v[8:9]
	v_mul_f64 v[8:9], v[68:69], v[8:9]
	s_delay_alu instid0(VALU_DEP_2) | instskip(NEXT) | instid1(VALU_DEP_2)
	v_fma_f64 v[2:3], v[68:69], v[6:7], -v[2:3]
	v_fma_f64 v[6:7], v[70:71], v[6:7], v[8:9]
	s_delay_alu instid0(VALU_DEP_2) | instskip(NEXT) | instid1(VALU_DEP_2)
	v_add_f64 v[2:3], v[2:3], 0
	v_add_f64 v[8:9], v[6:7], 0
	s_waitcnt vmcnt(0)
	s_delay_alu instid0(VALU_DEP_2) | instskip(NEXT) | instid1(VALU_DEP_2)
	v_add_f64 v[6:7], v[64:65], -v[2:3]
	v_add_f64 v[8:9], v[66:67], -v[8:9]
	scratch_store_b128 off, v[6:9], off offset:240
	v_cmpx_lt_u32_e32 14, v47
	s_cbranch_execz .LBB16_87
; %bb.86:
	scratch_load_b128 v[6:9], v62, off
	v_mov_b32_e32 v2, v1
	v_mov_b32_e32 v3, v1
	;; [unrolled: 1-line block ×3, first 2 shown]
	scratch_store_b128 off, v[1:4], off offset:224
	s_waitcnt vmcnt(0)
	ds_store_b128 v5, v[6:9]
.LBB16_87:
	s_or_b32 exec_lo, exec_lo, s2
	s_waitcnt lgkmcnt(0)
	s_waitcnt_vscnt null, 0x0
	s_barrier
	buffer_gl0_inv
	s_clause 0x2
	scratch_load_b128 v[6:9], off, off offset:240
	scratch_load_b128 v[64:67], off, off offset:256
	;; [unrolled: 1-line block ×3, first 2 shown]
	ds_load_b128 v[72:75], v1 offset:512
	ds_load_b128 v[1:4], v1 offset:528
	s_mov_b32 s2, exec_lo
	s_waitcnt vmcnt(2) lgkmcnt(1)
	v_mul_f64 v[10:11], v[74:75], v[8:9]
	v_mul_f64 v[8:9], v[72:73], v[8:9]
	s_waitcnt vmcnt(1) lgkmcnt(0)
	v_mul_f64 v[76:77], v[1:2], v[66:67]
	v_mul_f64 v[66:67], v[3:4], v[66:67]
	s_delay_alu instid0(VALU_DEP_4) | instskip(NEXT) | instid1(VALU_DEP_4)
	v_fma_f64 v[10:11], v[72:73], v[6:7], -v[10:11]
	v_fma_f64 v[6:7], v[74:75], v[6:7], v[8:9]
	s_delay_alu instid0(VALU_DEP_4) | instskip(NEXT) | instid1(VALU_DEP_4)
	v_fma_f64 v[3:4], v[3:4], v[64:65], v[76:77]
	v_fma_f64 v[1:2], v[1:2], v[64:65], -v[66:67]
	s_delay_alu instid0(VALU_DEP_4) | instskip(NEXT) | instid1(VALU_DEP_4)
	v_add_f64 v[8:9], v[10:11], 0
	v_add_f64 v[6:7], v[6:7], 0
	s_delay_alu instid0(VALU_DEP_2) | instskip(NEXT) | instid1(VALU_DEP_2)
	v_add_f64 v[1:2], v[8:9], v[1:2]
	v_add_f64 v[3:4], v[6:7], v[3:4]
	s_waitcnt vmcnt(0)
	s_delay_alu instid0(VALU_DEP_2) | instskip(NEXT) | instid1(VALU_DEP_2)
	v_add_f64 v[1:2], v[68:69], -v[1:2]
	v_add_f64 v[3:4], v[70:71], -v[3:4]
	scratch_store_b128 off, v[1:4], off offset:224
	v_cmpx_lt_u32_e32 13, v47
	s_cbranch_execz .LBB16_89
; %bb.88:
	scratch_load_b128 v[1:4], v59, off
	v_mov_b32_e32 v6, 0
	s_delay_alu instid0(VALU_DEP_1)
	v_mov_b32_e32 v7, v6
	v_mov_b32_e32 v8, v6
	;; [unrolled: 1-line block ×3, first 2 shown]
	scratch_store_b128 off, v[6:9], off offset:208
	s_waitcnt vmcnt(0)
	ds_store_b128 v5, v[1:4]
.LBB16_89:
	s_or_b32 exec_lo, exec_lo, s2
	s_waitcnt lgkmcnt(0)
	s_waitcnt_vscnt null, 0x0
	s_barrier
	buffer_gl0_inv
	s_clause 0x3
	scratch_load_b128 v[6:9], off, off offset:224
	scratch_load_b128 v[64:67], off, off offset:240
	;; [unrolled: 1-line block ×4, first 2 shown]
	v_mov_b32_e32 v1, 0
	ds_load_b128 v[76:79], v1 offset:496
	ds_load_b128 v[80:83], v1 offset:512
	s_mov_b32 s2, exec_lo
	s_waitcnt vmcnt(3) lgkmcnt(1)
	v_mul_f64 v[2:3], v[78:79], v[8:9]
	v_mul_f64 v[8:9], v[76:77], v[8:9]
	s_waitcnt vmcnt(2) lgkmcnt(0)
	v_mul_f64 v[10:11], v[80:81], v[66:67]
	v_mul_f64 v[66:67], v[82:83], v[66:67]
	s_delay_alu instid0(VALU_DEP_4) | instskip(NEXT) | instid1(VALU_DEP_4)
	v_fma_f64 v[2:3], v[76:77], v[6:7], -v[2:3]
	v_fma_f64 v[76:77], v[78:79], v[6:7], v[8:9]
	ds_load_b128 v[6:9], v1 offset:528
	v_fma_f64 v[10:11], v[82:83], v[64:65], v[10:11]
	v_fma_f64 v[64:65], v[80:81], v[64:65], -v[66:67]
	s_waitcnt vmcnt(1) lgkmcnt(0)
	v_mul_f64 v[78:79], v[6:7], v[70:71]
	v_mul_f64 v[70:71], v[8:9], v[70:71]
	v_add_f64 v[2:3], v[2:3], 0
	v_add_f64 v[66:67], v[76:77], 0
	s_delay_alu instid0(VALU_DEP_4) | instskip(NEXT) | instid1(VALU_DEP_4)
	v_fma_f64 v[8:9], v[8:9], v[68:69], v[78:79]
	v_fma_f64 v[6:7], v[6:7], v[68:69], -v[70:71]
	s_delay_alu instid0(VALU_DEP_4) | instskip(NEXT) | instid1(VALU_DEP_4)
	v_add_f64 v[2:3], v[2:3], v[64:65]
	v_add_f64 v[10:11], v[66:67], v[10:11]
	s_delay_alu instid0(VALU_DEP_2) | instskip(NEXT) | instid1(VALU_DEP_2)
	v_add_f64 v[2:3], v[2:3], v[6:7]
	v_add_f64 v[8:9], v[10:11], v[8:9]
	s_waitcnt vmcnt(0)
	s_delay_alu instid0(VALU_DEP_2) | instskip(NEXT) | instid1(VALU_DEP_2)
	v_add_f64 v[6:7], v[72:73], -v[2:3]
	v_add_f64 v[8:9], v[74:75], -v[8:9]
	scratch_store_b128 off, v[6:9], off offset:208
	v_cmpx_lt_u32_e32 12, v47
	s_cbranch_execz .LBB16_91
; %bb.90:
	scratch_load_b128 v[6:9], v60, off
	v_mov_b32_e32 v2, v1
	v_mov_b32_e32 v3, v1
	;; [unrolled: 1-line block ×3, first 2 shown]
	scratch_store_b128 off, v[1:4], off offset:192
	s_waitcnt vmcnt(0)
	ds_store_b128 v5, v[6:9]
.LBB16_91:
	s_or_b32 exec_lo, exec_lo, s2
	s_waitcnt lgkmcnt(0)
	s_waitcnt_vscnt null, 0x0
	s_barrier
	buffer_gl0_inv
	s_clause 0x4
	scratch_load_b128 v[6:9], off, off offset:208
	scratch_load_b128 v[64:67], off, off offset:224
	;; [unrolled: 1-line block ×5, first 2 shown]
	ds_load_b128 v[80:83], v1 offset:480
	ds_load_b128 v[84:87], v1 offset:496
	s_mov_b32 s2, exec_lo
	s_waitcnt vmcnt(4) lgkmcnt(1)
	v_mul_f64 v[2:3], v[82:83], v[8:9]
	v_mul_f64 v[8:9], v[80:81], v[8:9]
	s_waitcnt vmcnt(3) lgkmcnt(0)
	v_mul_f64 v[10:11], v[84:85], v[66:67]
	v_mul_f64 v[66:67], v[86:87], v[66:67]
	s_delay_alu instid0(VALU_DEP_4) | instskip(NEXT) | instid1(VALU_DEP_4)
	v_fma_f64 v[80:81], v[80:81], v[6:7], -v[2:3]
	v_fma_f64 v[82:83], v[82:83], v[6:7], v[8:9]
	ds_load_b128 v[6:9], v1 offset:512
	ds_load_b128 v[1:4], v1 offset:528
	v_fma_f64 v[10:11], v[86:87], v[64:65], v[10:11]
	v_fma_f64 v[64:65], v[84:85], v[64:65], -v[66:67]
	s_waitcnt vmcnt(2) lgkmcnt(1)
	v_mul_f64 v[88:89], v[6:7], v[70:71]
	v_mul_f64 v[70:71], v[8:9], v[70:71]
	v_add_f64 v[66:67], v[80:81], 0
	v_add_f64 v[80:81], v[82:83], 0
	s_waitcnt vmcnt(1) lgkmcnt(0)
	v_mul_f64 v[82:83], v[1:2], v[74:75]
	v_mul_f64 v[74:75], v[3:4], v[74:75]
	v_fma_f64 v[8:9], v[8:9], v[68:69], v[88:89]
	v_fma_f64 v[6:7], v[6:7], v[68:69], -v[70:71]
	v_add_f64 v[64:65], v[66:67], v[64:65]
	v_add_f64 v[10:11], v[80:81], v[10:11]
	v_fma_f64 v[3:4], v[3:4], v[72:73], v[82:83]
	v_fma_f64 v[1:2], v[1:2], v[72:73], -v[74:75]
	s_delay_alu instid0(VALU_DEP_4) | instskip(NEXT) | instid1(VALU_DEP_4)
	v_add_f64 v[6:7], v[64:65], v[6:7]
	v_add_f64 v[8:9], v[10:11], v[8:9]
	s_delay_alu instid0(VALU_DEP_2) | instskip(NEXT) | instid1(VALU_DEP_2)
	v_add_f64 v[1:2], v[6:7], v[1:2]
	v_add_f64 v[3:4], v[8:9], v[3:4]
	s_waitcnt vmcnt(0)
	s_delay_alu instid0(VALU_DEP_2) | instskip(NEXT) | instid1(VALU_DEP_2)
	v_add_f64 v[1:2], v[76:77], -v[1:2]
	v_add_f64 v[3:4], v[78:79], -v[3:4]
	scratch_store_b128 off, v[1:4], off offset:192
	v_cmpx_lt_u32_e32 11, v47
	s_cbranch_execz .LBB16_93
; %bb.92:
	scratch_load_b128 v[1:4], v57, off
	v_mov_b32_e32 v6, 0
	s_delay_alu instid0(VALU_DEP_1)
	v_mov_b32_e32 v7, v6
	v_mov_b32_e32 v8, v6
	;; [unrolled: 1-line block ×3, first 2 shown]
	scratch_store_b128 off, v[6:9], off offset:176
	s_waitcnt vmcnt(0)
	ds_store_b128 v5, v[1:4]
.LBB16_93:
	s_or_b32 exec_lo, exec_lo, s2
	s_waitcnt lgkmcnt(0)
	s_waitcnt_vscnt null, 0x0
	s_barrier
	buffer_gl0_inv
	s_clause 0x5
	scratch_load_b128 v[6:9], off, off offset:192
	scratch_load_b128 v[64:67], off, off offset:208
	;; [unrolled: 1-line block ×6, first 2 shown]
	v_mov_b32_e32 v1, 0
	ds_load_b128 v[84:87], v1 offset:464
	ds_load_b128 v[88:91], v1 offset:480
	s_mov_b32 s2, exec_lo
	s_waitcnt vmcnt(5) lgkmcnt(1)
	v_mul_f64 v[2:3], v[86:87], v[8:9]
	v_mul_f64 v[8:9], v[84:85], v[8:9]
	s_waitcnt vmcnt(4) lgkmcnt(0)
	v_mul_f64 v[10:11], v[88:89], v[66:67]
	v_mul_f64 v[66:67], v[90:91], v[66:67]
	s_delay_alu instid0(VALU_DEP_4) | instskip(NEXT) | instid1(VALU_DEP_4)
	v_fma_f64 v[2:3], v[84:85], v[6:7], -v[2:3]
	v_fma_f64 v[92:93], v[86:87], v[6:7], v[8:9]
	ds_load_b128 v[6:9], v1 offset:496
	ds_load_b128 v[84:87], v1 offset:512
	v_fma_f64 v[10:11], v[90:91], v[64:65], v[10:11]
	v_fma_f64 v[64:65], v[88:89], v[64:65], -v[66:67]
	s_waitcnt vmcnt(3) lgkmcnt(1)
	v_mul_f64 v[94:95], v[6:7], v[70:71]
	v_mul_f64 v[70:71], v[8:9], v[70:71]
	s_waitcnt vmcnt(2) lgkmcnt(0)
	v_mul_f64 v[88:89], v[84:85], v[74:75]
	v_mul_f64 v[74:75], v[86:87], v[74:75]
	v_add_f64 v[2:3], v[2:3], 0
	v_add_f64 v[66:67], v[92:93], 0
	v_fma_f64 v[90:91], v[8:9], v[68:69], v[94:95]
	v_fma_f64 v[68:69], v[6:7], v[68:69], -v[70:71]
	ds_load_b128 v[6:9], v1 offset:528
	v_fma_f64 v[70:71], v[86:87], v[72:73], v[88:89]
	v_fma_f64 v[72:73], v[84:85], v[72:73], -v[74:75]
	v_add_f64 v[2:3], v[2:3], v[64:65]
	v_add_f64 v[10:11], v[66:67], v[10:11]
	s_waitcnt vmcnt(1) lgkmcnt(0)
	v_mul_f64 v[64:65], v[6:7], v[78:79]
	v_mul_f64 v[66:67], v[8:9], v[78:79]
	s_delay_alu instid0(VALU_DEP_4) | instskip(NEXT) | instid1(VALU_DEP_4)
	v_add_f64 v[2:3], v[2:3], v[68:69]
	v_add_f64 v[10:11], v[10:11], v[90:91]
	s_delay_alu instid0(VALU_DEP_4) | instskip(NEXT) | instid1(VALU_DEP_4)
	v_fma_f64 v[8:9], v[8:9], v[76:77], v[64:65]
	v_fma_f64 v[6:7], v[6:7], v[76:77], -v[66:67]
	s_delay_alu instid0(VALU_DEP_4) | instskip(NEXT) | instid1(VALU_DEP_4)
	v_add_f64 v[2:3], v[2:3], v[72:73]
	v_add_f64 v[10:11], v[10:11], v[70:71]
	s_delay_alu instid0(VALU_DEP_2) | instskip(NEXT) | instid1(VALU_DEP_2)
	v_add_f64 v[2:3], v[2:3], v[6:7]
	v_add_f64 v[8:9], v[10:11], v[8:9]
	s_waitcnt vmcnt(0)
	s_delay_alu instid0(VALU_DEP_2) | instskip(NEXT) | instid1(VALU_DEP_2)
	v_add_f64 v[6:7], v[80:81], -v[2:3]
	v_add_f64 v[8:9], v[82:83], -v[8:9]
	scratch_store_b128 off, v[6:9], off offset:176
	v_cmpx_lt_u32_e32 10, v47
	s_cbranch_execz .LBB16_95
; %bb.94:
	scratch_load_b128 v[6:9], v58, off
	v_mov_b32_e32 v2, v1
	v_mov_b32_e32 v3, v1
	;; [unrolled: 1-line block ×3, first 2 shown]
	scratch_store_b128 off, v[1:4], off offset:160
	s_waitcnt vmcnt(0)
	ds_store_b128 v5, v[6:9]
.LBB16_95:
	s_or_b32 exec_lo, exec_lo, s2
	s_waitcnt lgkmcnt(0)
	s_waitcnt_vscnt null, 0x0
	s_barrier
	buffer_gl0_inv
	s_clause 0x5
	scratch_load_b128 v[6:9], off, off offset:176
	scratch_load_b128 v[64:67], off, off offset:192
	;; [unrolled: 1-line block ×6, first 2 shown]
	ds_load_b128 v[84:87], v1 offset:448
	ds_load_b128 v[92:95], v1 offset:464
	scratch_load_b128 v[88:91], off, off offset:160
	s_mov_b32 s2, exec_lo
	s_waitcnt vmcnt(6) lgkmcnt(1)
	v_mul_f64 v[2:3], v[86:87], v[8:9]
	v_mul_f64 v[8:9], v[84:85], v[8:9]
	s_waitcnt vmcnt(5) lgkmcnt(0)
	v_mul_f64 v[10:11], v[92:93], v[66:67]
	v_mul_f64 v[66:67], v[94:95], v[66:67]
	s_delay_alu instid0(VALU_DEP_4) | instskip(NEXT) | instid1(VALU_DEP_4)
	v_fma_f64 v[2:3], v[84:85], v[6:7], -v[2:3]
	v_fma_f64 v[96:97], v[86:87], v[6:7], v[8:9]
	ds_load_b128 v[6:9], v1 offset:480
	ds_load_b128 v[84:87], v1 offset:496
	v_fma_f64 v[10:11], v[94:95], v[64:65], v[10:11]
	v_fma_f64 v[64:65], v[92:93], v[64:65], -v[66:67]
	s_waitcnt vmcnt(4) lgkmcnt(1)
	v_mul_f64 v[98:99], v[6:7], v[70:71]
	v_mul_f64 v[70:71], v[8:9], v[70:71]
	s_waitcnt vmcnt(3) lgkmcnt(0)
	v_mul_f64 v[92:93], v[84:85], v[74:75]
	v_mul_f64 v[74:75], v[86:87], v[74:75]
	v_add_f64 v[2:3], v[2:3], 0
	v_add_f64 v[66:67], v[96:97], 0
	v_fma_f64 v[94:95], v[8:9], v[68:69], v[98:99]
	v_fma_f64 v[68:69], v[6:7], v[68:69], -v[70:71]
	s_delay_alu instid0(VALU_DEP_4) | instskip(NEXT) | instid1(VALU_DEP_4)
	v_add_f64 v[64:65], v[2:3], v[64:65]
	v_add_f64 v[10:11], v[66:67], v[10:11]
	ds_load_b128 v[6:9], v1 offset:512
	ds_load_b128 v[1:4], v1 offset:528
	s_waitcnt vmcnt(2) lgkmcnt(1)
	v_mul_f64 v[66:67], v[6:7], v[78:79]
	v_mul_f64 v[70:71], v[8:9], v[78:79]
	v_fma_f64 v[78:79], v[86:87], v[72:73], v[92:93]
	v_fma_f64 v[72:73], v[84:85], v[72:73], -v[74:75]
	s_waitcnt vmcnt(1) lgkmcnt(0)
	v_mul_f64 v[74:75], v[3:4], v[82:83]
	v_add_f64 v[64:65], v[64:65], v[68:69]
	v_add_f64 v[10:11], v[10:11], v[94:95]
	v_mul_f64 v[68:69], v[1:2], v[82:83]
	v_fma_f64 v[8:9], v[8:9], v[76:77], v[66:67]
	v_fma_f64 v[6:7], v[6:7], v[76:77], -v[70:71]
	v_fma_f64 v[1:2], v[1:2], v[80:81], -v[74:75]
	v_add_f64 v[64:65], v[64:65], v[72:73]
	v_add_f64 v[10:11], v[10:11], v[78:79]
	v_fma_f64 v[3:4], v[3:4], v[80:81], v[68:69]
	s_delay_alu instid0(VALU_DEP_3) | instskip(NEXT) | instid1(VALU_DEP_3)
	v_add_f64 v[6:7], v[64:65], v[6:7]
	v_add_f64 v[8:9], v[10:11], v[8:9]
	s_delay_alu instid0(VALU_DEP_2) | instskip(NEXT) | instid1(VALU_DEP_2)
	v_add_f64 v[1:2], v[6:7], v[1:2]
	v_add_f64 v[3:4], v[8:9], v[3:4]
	s_waitcnt vmcnt(0)
	s_delay_alu instid0(VALU_DEP_2) | instskip(NEXT) | instid1(VALU_DEP_2)
	v_add_f64 v[1:2], v[88:89], -v[1:2]
	v_add_f64 v[3:4], v[90:91], -v[3:4]
	scratch_store_b128 off, v[1:4], off offset:160
	v_cmpx_lt_u32_e32 9, v47
	s_cbranch_execz .LBB16_97
; %bb.96:
	scratch_load_b128 v[1:4], v55, off
	v_mov_b32_e32 v6, 0
	s_delay_alu instid0(VALU_DEP_1)
	v_mov_b32_e32 v7, v6
	v_mov_b32_e32 v8, v6
	;; [unrolled: 1-line block ×3, first 2 shown]
	scratch_store_b128 off, v[6:9], off offset:144
	s_waitcnt vmcnt(0)
	ds_store_b128 v5, v[1:4]
.LBB16_97:
	s_or_b32 exec_lo, exec_lo, s2
	s_waitcnt lgkmcnt(0)
	s_waitcnt_vscnt null, 0x0
	s_barrier
	buffer_gl0_inv
	s_clause 0x6
	scratch_load_b128 v[6:9], off, off offset:160
	scratch_load_b128 v[64:67], off, off offset:176
	;; [unrolled: 1-line block ×7, first 2 shown]
	v_mov_b32_e32 v1, 0
	scratch_load_b128 v[92:95], off, off offset:144
	s_mov_b32 s2, exec_lo
	ds_load_b128 v[88:91], v1 offset:432
	ds_load_b128 v[96:99], v1 offset:448
	s_waitcnt vmcnt(7) lgkmcnt(1)
	v_mul_f64 v[2:3], v[90:91], v[8:9]
	v_mul_f64 v[8:9], v[88:89], v[8:9]
	s_waitcnt vmcnt(6) lgkmcnt(0)
	v_mul_f64 v[10:11], v[96:97], v[66:67]
	v_mul_f64 v[66:67], v[98:99], v[66:67]
	s_delay_alu instid0(VALU_DEP_4) | instskip(NEXT) | instid1(VALU_DEP_4)
	v_fma_f64 v[2:3], v[88:89], v[6:7], -v[2:3]
	v_fma_f64 v[100:101], v[90:91], v[6:7], v[8:9]
	ds_load_b128 v[6:9], v1 offset:464
	ds_load_b128 v[88:91], v1 offset:480
	v_fma_f64 v[10:11], v[98:99], v[64:65], v[10:11]
	v_fma_f64 v[64:65], v[96:97], v[64:65], -v[66:67]
	s_waitcnt vmcnt(5) lgkmcnt(1)
	v_mul_f64 v[102:103], v[6:7], v[70:71]
	v_mul_f64 v[70:71], v[8:9], v[70:71]
	s_waitcnt vmcnt(4) lgkmcnt(0)
	v_mul_f64 v[96:97], v[88:89], v[74:75]
	v_mul_f64 v[74:75], v[90:91], v[74:75]
	v_add_f64 v[2:3], v[2:3], 0
	v_add_f64 v[66:67], v[100:101], 0
	v_fma_f64 v[98:99], v[8:9], v[68:69], v[102:103]
	v_fma_f64 v[68:69], v[6:7], v[68:69], -v[70:71]
	v_fma_f64 v[90:91], v[90:91], v[72:73], v[96:97]
	v_fma_f64 v[72:73], v[88:89], v[72:73], -v[74:75]
	v_add_f64 v[2:3], v[2:3], v[64:65]
	v_add_f64 v[10:11], v[66:67], v[10:11]
	ds_load_b128 v[6:9], v1 offset:496
	ds_load_b128 v[64:67], v1 offset:512
	s_waitcnt vmcnt(3) lgkmcnt(1)
	v_mul_f64 v[70:71], v[6:7], v[78:79]
	v_mul_f64 v[78:79], v[8:9], v[78:79]
	s_waitcnt vmcnt(2) lgkmcnt(0)
	v_mul_f64 v[74:75], v[66:67], v[82:83]
	v_add_f64 v[2:3], v[2:3], v[68:69]
	v_add_f64 v[10:11], v[10:11], v[98:99]
	v_mul_f64 v[68:69], v[64:65], v[82:83]
	v_fma_f64 v[70:71], v[8:9], v[76:77], v[70:71]
	v_fma_f64 v[76:77], v[6:7], v[76:77], -v[78:79]
	ds_load_b128 v[6:9], v1 offset:528
	v_fma_f64 v[64:65], v[64:65], v[80:81], -v[74:75]
	v_add_f64 v[2:3], v[2:3], v[72:73]
	v_add_f64 v[10:11], v[10:11], v[90:91]
	v_fma_f64 v[66:67], v[66:67], v[80:81], v[68:69]
	s_waitcnt vmcnt(1) lgkmcnt(0)
	v_mul_f64 v[72:73], v[6:7], v[86:87]
	v_mul_f64 v[78:79], v[8:9], v[86:87]
	v_add_f64 v[2:3], v[2:3], v[76:77]
	v_add_f64 v[10:11], v[10:11], v[70:71]
	s_delay_alu instid0(VALU_DEP_4) | instskip(NEXT) | instid1(VALU_DEP_4)
	v_fma_f64 v[8:9], v[8:9], v[84:85], v[72:73]
	v_fma_f64 v[6:7], v[6:7], v[84:85], -v[78:79]
	s_delay_alu instid0(VALU_DEP_4) | instskip(NEXT) | instid1(VALU_DEP_4)
	v_add_f64 v[2:3], v[2:3], v[64:65]
	v_add_f64 v[10:11], v[10:11], v[66:67]
	s_delay_alu instid0(VALU_DEP_2) | instskip(NEXT) | instid1(VALU_DEP_2)
	v_add_f64 v[2:3], v[2:3], v[6:7]
	v_add_f64 v[8:9], v[10:11], v[8:9]
	s_waitcnt vmcnt(0)
	s_delay_alu instid0(VALU_DEP_2) | instskip(NEXT) | instid1(VALU_DEP_2)
	v_add_f64 v[6:7], v[92:93], -v[2:3]
	v_add_f64 v[8:9], v[94:95], -v[8:9]
	scratch_store_b128 off, v[6:9], off offset:144
	v_cmpx_lt_u32_e32 8, v47
	s_cbranch_execz .LBB16_99
; %bb.98:
	scratch_load_b128 v[6:9], v56, off
	v_mov_b32_e32 v2, v1
	v_mov_b32_e32 v3, v1
	;; [unrolled: 1-line block ×3, first 2 shown]
	scratch_store_b128 off, v[1:4], off offset:128
	s_waitcnt vmcnt(0)
	ds_store_b128 v5, v[6:9]
.LBB16_99:
	s_or_b32 exec_lo, exec_lo, s2
	s_waitcnt lgkmcnt(0)
	s_waitcnt_vscnt null, 0x0
	s_barrier
	buffer_gl0_inv
	s_clause 0x7
	scratch_load_b128 v[6:9], off, off offset:144
	scratch_load_b128 v[64:67], off, off offset:160
	;; [unrolled: 1-line block ×8, first 2 shown]
	ds_load_b128 v[92:95], v1 offset:416
	ds_load_b128 v[96:99], v1 offset:432
	scratch_load_b128 v[100:103], off, off offset:128
	s_mov_b32 s2, exec_lo
	s_waitcnt vmcnt(8) lgkmcnt(1)
	v_mul_f64 v[2:3], v[94:95], v[8:9]
	v_mul_f64 v[8:9], v[92:93], v[8:9]
	s_waitcnt vmcnt(7) lgkmcnt(0)
	v_mul_f64 v[10:11], v[96:97], v[66:67]
	v_mul_f64 v[66:67], v[98:99], v[66:67]
	s_delay_alu instid0(VALU_DEP_4) | instskip(NEXT) | instid1(VALU_DEP_4)
	v_fma_f64 v[2:3], v[92:93], v[6:7], -v[2:3]
	v_fma_f64 v[104:105], v[94:95], v[6:7], v[8:9]
	ds_load_b128 v[6:9], v1 offset:448
	ds_load_b128 v[92:95], v1 offset:464
	v_fma_f64 v[10:11], v[98:99], v[64:65], v[10:11]
	v_fma_f64 v[64:65], v[96:97], v[64:65], -v[66:67]
	s_waitcnt vmcnt(6) lgkmcnt(1)
	v_mul_f64 v[106:107], v[6:7], v[70:71]
	v_mul_f64 v[70:71], v[8:9], v[70:71]
	s_waitcnt vmcnt(5) lgkmcnt(0)
	v_mul_f64 v[96:97], v[92:93], v[74:75]
	v_mul_f64 v[74:75], v[94:95], v[74:75]
	v_add_f64 v[2:3], v[2:3], 0
	v_add_f64 v[66:67], v[104:105], 0
	v_fma_f64 v[98:99], v[8:9], v[68:69], v[106:107]
	v_fma_f64 v[68:69], v[6:7], v[68:69], -v[70:71]
	v_fma_f64 v[94:95], v[94:95], v[72:73], v[96:97]
	v_fma_f64 v[72:73], v[92:93], v[72:73], -v[74:75]
	v_add_f64 v[2:3], v[2:3], v[64:65]
	v_add_f64 v[10:11], v[66:67], v[10:11]
	ds_load_b128 v[6:9], v1 offset:480
	ds_load_b128 v[64:67], v1 offset:496
	s_waitcnt vmcnt(4) lgkmcnt(1)
	v_mul_f64 v[70:71], v[6:7], v[78:79]
	v_mul_f64 v[78:79], v[8:9], v[78:79]
	s_waitcnt vmcnt(3) lgkmcnt(0)
	v_mul_f64 v[74:75], v[66:67], v[82:83]
	v_add_f64 v[2:3], v[2:3], v[68:69]
	v_add_f64 v[10:11], v[10:11], v[98:99]
	v_mul_f64 v[68:69], v[64:65], v[82:83]
	v_fma_f64 v[70:71], v[8:9], v[76:77], v[70:71]
	v_fma_f64 v[76:77], v[6:7], v[76:77], -v[78:79]
	v_fma_f64 v[64:65], v[64:65], v[80:81], -v[74:75]
	v_add_f64 v[72:73], v[2:3], v[72:73]
	v_add_f64 v[10:11], v[10:11], v[94:95]
	ds_load_b128 v[6:9], v1 offset:512
	ds_load_b128 v[1:4], v1 offset:528
	v_fma_f64 v[66:67], v[66:67], v[80:81], v[68:69]
	s_waitcnt vmcnt(2) lgkmcnt(1)
	v_mul_f64 v[78:79], v[6:7], v[86:87]
	v_mul_f64 v[82:83], v[8:9], v[86:87]
	v_add_f64 v[68:69], v[72:73], v[76:77]
	v_add_f64 v[10:11], v[10:11], v[70:71]
	s_waitcnt vmcnt(1) lgkmcnt(0)
	v_mul_f64 v[70:71], v[1:2], v[90:91]
	v_mul_f64 v[72:73], v[3:4], v[90:91]
	v_fma_f64 v[8:9], v[8:9], v[84:85], v[78:79]
	v_fma_f64 v[6:7], v[6:7], v[84:85], -v[82:83]
	v_add_f64 v[64:65], v[68:69], v[64:65]
	v_add_f64 v[10:11], v[10:11], v[66:67]
	v_fma_f64 v[3:4], v[3:4], v[88:89], v[70:71]
	v_fma_f64 v[1:2], v[1:2], v[88:89], -v[72:73]
	s_delay_alu instid0(VALU_DEP_4) | instskip(NEXT) | instid1(VALU_DEP_4)
	v_add_f64 v[6:7], v[64:65], v[6:7]
	v_add_f64 v[8:9], v[10:11], v[8:9]
	s_delay_alu instid0(VALU_DEP_2) | instskip(NEXT) | instid1(VALU_DEP_2)
	v_add_f64 v[1:2], v[6:7], v[1:2]
	v_add_f64 v[3:4], v[8:9], v[3:4]
	s_waitcnt vmcnt(0)
	s_delay_alu instid0(VALU_DEP_2) | instskip(NEXT) | instid1(VALU_DEP_2)
	v_add_f64 v[1:2], v[100:101], -v[1:2]
	v_add_f64 v[3:4], v[102:103], -v[3:4]
	scratch_store_b128 off, v[1:4], off offset:128
	v_cmpx_lt_u32_e32 7, v47
	s_cbranch_execz .LBB16_101
; %bb.100:
	scratch_load_b128 v[1:4], v53, off
	v_mov_b32_e32 v6, 0
	s_delay_alu instid0(VALU_DEP_1)
	v_mov_b32_e32 v7, v6
	v_mov_b32_e32 v8, v6
	;; [unrolled: 1-line block ×3, first 2 shown]
	scratch_store_b128 off, v[6:9], off offset:112
	s_waitcnt vmcnt(0)
	ds_store_b128 v5, v[1:4]
.LBB16_101:
	s_or_b32 exec_lo, exec_lo, s2
	s_waitcnt lgkmcnt(0)
	s_waitcnt_vscnt null, 0x0
	s_barrier
	buffer_gl0_inv
	s_clause 0x7
	scratch_load_b128 v[6:9], off, off offset:128
	scratch_load_b128 v[64:67], off, off offset:144
	;; [unrolled: 1-line block ×8, first 2 shown]
	v_mov_b32_e32 v1, 0
	s_mov_b32 s2, exec_lo
	ds_load_b128 v[92:95], v1 offset:400
	s_clause 0x1
	scratch_load_b128 v[96:99], off, off offset:256
	scratch_load_b128 v[100:103], off, off offset:112
	ds_load_b128 v[104:107], v1 offset:416
	s_waitcnt vmcnt(9) lgkmcnt(1)
	v_mul_f64 v[2:3], v[94:95], v[8:9]
	v_mul_f64 v[8:9], v[92:93], v[8:9]
	s_waitcnt vmcnt(8) lgkmcnt(0)
	v_mul_f64 v[10:11], v[104:105], v[66:67]
	v_mul_f64 v[66:67], v[106:107], v[66:67]
	s_delay_alu instid0(VALU_DEP_4) | instskip(NEXT) | instid1(VALU_DEP_4)
	v_fma_f64 v[2:3], v[92:93], v[6:7], -v[2:3]
	v_fma_f64 v[108:109], v[94:95], v[6:7], v[8:9]
	ds_load_b128 v[6:9], v1 offset:432
	ds_load_b128 v[92:95], v1 offset:448
	v_fma_f64 v[10:11], v[106:107], v[64:65], v[10:11]
	v_fma_f64 v[64:65], v[104:105], v[64:65], -v[66:67]
	s_waitcnt vmcnt(7) lgkmcnt(1)
	v_mul_f64 v[110:111], v[6:7], v[70:71]
	v_mul_f64 v[70:71], v[8:9], v[70:71]
	s_waitcnt vmcnt(6) lgkmcnt(0)
	v_mul_f64 v[104:105], v[92:93], v[74:75]
	v_mul_f64 v[74:75], v[94:95], v[74:75]
	v_add_f64 v[2:3], v[2:3], 0
	v_add_f64 v[66:67], v[108:109], 0
	v_fma_f64 v[106:107], v[8:9], v[68:69], v[110:111]
	v_fma_f64 v[68:69], v[6:7], v[68:69], -v[70:71]
	v_fma_f64 v[94:95], v[94:95], v[72:73], v[104:105]
	v_fma_f64 v[72:73], v[92:93], v[72:73], -v[74:75]
	v_add_f64 v[2:3], v[2:3], v[64:65]
	v_add_f64 v[10:11], v[66:67], v[10:11]
	ds_load_b128 v[6:9], v1 offset:464
	ds_load_b128 v[64:67], v1 offset:480
	s_waitcnt vmcnt(5) lgkmcnt(1)
	v_mul_f64 v[70:71], v[6:7], v[78:79]
	v_mul_f64 v[78:79], v[8:9], v[78:79]
	s_waitcnt vmcnt(4) lgkmcnt(0)
	v_mul_f64 v[74:75], v[64:65], v[82:83]
	v_mul_f64 v[82:83], v[66:67], v[82:83]
	v_add_f64 v[2:3], v[2:3], v[68:69]
	v_add_f64 v[10:11], v[10:11], v[106:107]
	v_fma_f64 v[92:93], v[8:9], v[76:77], v[70:71]
	v_fma_f64 v[76:77], v[6:7], v[76:77], -v[78:79]
	ds_load_b128 v[6:9], v1 offset:496
	ds_load_b128 v[68:71], v1 offset:512
	v_fma_f64 v[66:67], v[66:67], v[80:81], v[74:75]
	v_fma_f64 v[64:65], v[64:65], v[80:81], -v[82:83]
	v_add_f64 v[2:3], v[2:3], v[72:73]
	v_add_f64 v[10:11], v[10:11], v[94:95]
	s_waitcnt vmcnt(3) lgkmcnt(1)
	v_mul_f64 v[72:73], v[6:7], v[86:87]
	v_mul_f64 v[78:79], v[8:9], v[86:87]
	s_waitcnt vmcnt(2) lgkmcnt(0)
	v_mul_f64 v[74:75], v[68:69], v[90:91]
	v_add_f64 v[2:3], v[2:3], v[76:77]
	v_add_f64 v[10:11], v[10:11], v[92:93]
	v_mul_f64 v[76:77], v[70:71], v[90:91]
	v_fma_f64 v[72:73], v[8:9], v[84:85], v[72:73]
	v_fma_f64 v[78:79], v[6:7], v[84:85], -v[78:79]
	ds_load_b128 v[6:9], v1 offset:528
	v_fma_f64 v[70:71], v[70:71], v[88:89], v[74:75]
	v_add_f64 v[2:3], v[2:3], v[64:65]
	v_add_f64 v[10:11], v[10:11], v[66:67]
	s_waitcnt vmcnt(1) lgkmcnt(0)
	v_mul_f64 v[64:65], v[6:7], v[98:99]
	v_mul_f64 v[66:67], v[8:9], v[98:99]
	v_fma_f64 v[68:69], v[68:69], v[88:89], -v[76:77]
	v_add_f64 v[2:3], v[2:3], v[78:79]
	v_add_f64 v[10:11], v[10:11], v[72:73]
	v_fma_f64 v[8:9], v[8:9], v[96:97], v[64:65]
	v_fma_f64 v[6:7], v[6:7], v[96:97], -v[66:67]
	s_delay_alu instid0(VALU_DEP_4) | instskip(NEXT) | instid1(VALU_DEP_4)
	v_add_f64 v[2:3], v[2:3], v[68:69]
	v_add_f64 v[10:11], v[10:11], v[70:71]
	s_delay_alu instid0(VALU_DEP_2) | instskip(NEXT) | instid1(VALU_DEP_2)
	v_add_f64 v[2:3], v[2:3], v[6:7]
	v_add_f64 v[8:9], v[10:11], v[8:9]
	s_waitcnt vmcnt(0)
	s_delay_alu instid0(VALU_DEP_2) | instskip(NEXT) | instid1(VALU_DEP_2)
	v_add_f64 v[6:7], v[100:101], -v[2:3]
	v_add_f64 v[8:9], v[102:103], -v[8:9]
	scratch_store_b128 off, v[6:9], off offset:112
	v_cmpx_lt_u32_e32 6, v47
	s_cbranch_execz .LBB16_103
; %bb.102:
	scratch_load_b128 v[6:9], v54, off
	v_mov_b32_e32 v2, v1
	v_mov_b32_e32 v3, v1
	;; [unrolled: 1-line block ×3, first 2 shown]
	scratch_store_b128 off, v[1:4], off offset:96
	s_waitcnt vmcnt(0)
	ds_store_b128 v5, v[6:9]
.LBB16_103:
	s_or_b32 exec_lo, exec_lo, s2
	s_waitcnt lgkmcnt(0)
	s_waitcnt_vscnt null, 0x0
	s_barrier
	buffer_gl0_inv
	s_clause 0x8
	scratch_load_b128 v[6:9], off, off offset:112
	scratch_load_b128 v[64:67], off, off offset:128
	;; [unrolled: 1-line block ×9, first 2 shown]
	ds_load_b128 v[96:99], v1 offset:384
	ds_load_b128 v[100:103], v1 offset:400
	scratch_load_b128 v[104:107], off, off offset:96
	s_mov_b32 s2, exec_lo
	s_waitcnt vmcnt(9) lgkmcnt(1)
	v_mul_f64 v[2:3], v[98:99], v[8:9]
	v_mul_f64 v[108:109], v[96:97], v[8:9]
	scratch_load_b128 v[8:11], off, off offset:256
	s_waitcnt vmcnt(9) lgkmcnt(0)
	v_mul_f64 v[112:113], v[100:101], v[66:67]
	v_mul_f64 v[66:67], v[102:103], v[66:67]
	v_fma_f64 v[2:3], v[96:97], v[6:7], -v[2:3]
	v_fma_f64 v[6:7], v[98:99], v[6:7], v[108:109]
	ds_load_b128 v[96:99], v1 offset:416
	ds_load_b128 v[108:111], v1 offset:432
	v_fma_f64 v[102:103], v[102:103], v[64:65], v[112:113]
	v_fma_f64 v[64:65], v[100:101], v[64:65], -v[66:67]
	s_waitcnt vmcnt(8) lgkmcnt(1)
	v_mul_f64 v[114:115], v[96:97], v[70:71]
	v_mul_f64 v[70:71], v[98:99], v[70:71]
	s_waitcnt vmcnt(7) lgkmcnt(0)
	v_mul_f64 v[100:101], v[108:109], v[74:75]
	v_mul_f64 v[74:75], v[110:111], v[74:75]
	v_add_f64 v[2:3], v[2:3], 0
	v_add_f64 v[6:7], v[6:7], 0
	v_fma_f64 v[98:99], v[98:99], v[68:69], v[114:115]
	v_fma_f64 v[96:97], v[96:97], v[68:69], -v[70:71]
	v_fma_f64 v[100:101], v[110:111], v[72:73], v[100:101]
	v_fma_f64 v[72:73], v[108:109], v[72:73], -v[74:75]
	v_add_f64 v[2:3], v[2:3], v[64:65]
	v_add_f64 v[6:7], v[6:7], v[102:103]
	ds_load_b128 v[64:67], v1 offset:448
	ds_load_b128 v[68:71], v1 offset:464
	s_waitcnt vmcnt(6) lgkmcnt(1)
	v_mul_f64 v[102:103], v[64:65], v[78:79]
	v_mul_f64 v[78:79], v[66:67], v[78:79]
	v_add_f64 v[2:3], v[2:3], v[96:97]
	v_add_f64 v[6:7], v[6:7], v[98:99]
	s_waitcnt vmcnt(5) lgkmcnt(0)
	v_mul_f64 v[96:97], v[68:69], v[82:83]
	v_mul_f64 v[82:83], v[70:71], v[82:83]
	v_fma_f64 v[98:99], v[66:67], v[76:77], v[102:103]
	v_fma_f64 v[76:77], v[64:65], v[76:77], -v[78:79]
	v_add_f64 v[2:3], v[2:3], v[72:73]
	v_add_f64 v[6:7], v[6:7], v[100:101]
	ds_load_b128 v[64:67], v1 offset:480
	ds_load_b128 v[72:75], v1 offset:496
	v_fma_f64 v[70:71], v[70:71], v[80:81], v[96:97]
	v_fma_f64 v[68:69], v[68:69], v[80:81], -v[82:83]
	s_waitcnt vmcnt(4) lgkmcnt(1)
	v_mul_f64 v[78:79], v[64:65], v[86:87]
	v_mul_f64 v[86:87], v[66:67], v[86:87]
	s_waitcnt vmcnt(3) lgkmcnt(0)
	v_mul_f64 v[80:81], v[74:75], v[90:91]
	v_add_f64 v[2:3], v[2:3], v[76:77]
	v_add_f64 v[6:7], v[6:7], v[98:99]
	v_mul_f64 v[76:77], v[72:73], v[90:91]
	v_fma_f64 v[78:79], v[66:67], v[84:85], v[78:79]
	v_fma_f64 v[82:83], v[64:65], v[84:85], -v[86:87]
	v_fma_f64 v[72:73], v[72:73], v[88:89], -v[80:81]
	v_add_f64 v[68:69], v[2:3], v[68:69]
	v_add_f64 v[6:7], v[6:7], v[70:71]
	ds_load_b128 v[64:67], v1 offset:512
	ds_load_b128 v[1:4], v1 offset:528
	v_fma_f64 v[74:75], v[74:75], v[88:89], v[76:77]
	s_waitcnt vmcnt(2) lgkmcnt(1)
	v_mul_f64 v[70:71], v[64:65], v[94:95]
	v_mul_f64 v[84:85], v[66:67], v[94:95]
	v_add_f64 v[68:69], v[68:69], v[82:83]
	v_add_f64 v[6:7], v[6:7], v[78:79]
	s_waitcnt vmcnt(0) lgkmcnt(0)
	v_mul_f64 v[76:77], v[1:2], v[10:11]
	v_mul_f64 v[10:11], v[3:4], v[10:11]
	v_fma_f64 v[66:67], v[66:67], v[92:93], v[70:71]
	v_fma_f64 v[64:65], v[64:65], v[92:93], -v[84:85]
	v_add_f64 v[68:69], v[68:69], v[72:73]
	v_add_f64 v[6:7], v[6:7], v[74:75]
	v_fma_f64 v[3:4], v[3:4], v[8:9], v[76:77]
	v_fma_f64 v[1:2], v[1:2], v[8:9], -v[10:11]
	s_delay_alu instid0(VALU_DEP_4) | instskip(NEXT) | instid1(VALU_DEP_4)
	v_add_f64 v[8:9], v[68:69], v[64:65]
	v_add_f64 v[6:7], v[6:7], v[66:67]
	s_delay_alu instid0(VALU_DEP_2) | instskip(NEXT) | instid1(VALU_DEP_2)
	v_add_f64 v[1:2], v[8:9], v[1:2]
	v_add_f64 v[3:4], v[6:7], v[3:4]
	s_delay_alu instid0(VALU_DEP_2) | instskip(NEXT) | instid1(VALU_DEP_2)
	v_add_f64 v[1:2], v[104:105], -v[1:2]
	v_add_f64 v[3:4], v[106:107], -v[3:4]
	scratch_store_b128 off, v[1:4], off offset:96
	v_cmpx_lt_u32_e32 5, v47
	s_cbranch_execz .LBB16_105
; %bb.104:
	scratch_load_b128 v[1:4], v49, off
	v_mov_b32_e32 v6, 0
	s_delay_alu instid0(VALU_DEP_1)
	v_mov_b32_e32 v7, v6
	v_mov_b32_e32 v8, v6
	;; [unrolled: 1-line block ×3, first 2 shown]
	scratch_store_b128 off, v[6:9], off offset:80
	s_waitcnt vmcnt(0)
	ds_store_b128 v5, v[1:4]
.LBB16_105:
	s_or_b32 exec_lo, exec_lo, s2
	s_waitcnt lgkmcnt(0)
	s_waitcnt_vscnt null, 0x0
	s_barrier
	buffer_gl0_inv
	s_clause 0x7
	scratch_load_b128 v[6:9], off, off offset:96
	scratch_load_b128 v[64:67], off, off offset:112
	;; [unrolled: 1-line block ×8, first 2 shown]
	v_mov_b32_e32 v1, 0
	s_mov_b32 s2, exec_lo
	ds_load_b128 v[92:95], v1 offset:368
	s_clause 0x1
	scratch_load_b128 v[96:99], off, off offset:224
	scratch_load_b128 v[100:103], off, off offset:80
	ds_load_b128 v[104:107], v1 offset:384
	ds_load_b128 v[112:115], v1 offset:416
	s_waitcnt vmcnt(9) lgkmcnt(2)
	v_mul_f64 v[2:3], v[94:95], v[8:9]
	v_mul_f64 v[108:109], v[92:93], v[8:9]
	scratch_load_b128 v[8:11], off, off offset:240
	v_fma_f64 v[2:3], v[92:93], v[6:7], -v[2:3]
	v_fma_f64 v[6:7], v[94:95], v[6:7], v[108:109]
	scratch_load_b128 v[108:111], off, off offset:256
	ds_load_b128 v[92:95], v1 offset:400
	s_waitcnt vmcnt(10) lgkmcnt(2)
	v_mul_f64 v[116:117], v[104:105], v[66:67]
	v_mul_f64 v[66:67], v[106:107], v[66:67]
	s_waitcnt vmcnt(9) lgkmcnt(0)
	v_mul_f64 v[118:119], v[92:93], v[70:71]
	v_mul_f64 v[70:71], v[94:95], v[70:71]
	v_add_f64 v[2:3], v[2:3], 0
	v_add_f64 v[6:7], v[6:7], 0
	v_fma_f64 v[106:107], v[106:107], v[64:65], v[116:117]
	v_fma_f64 v[64:65], v[104:105], v[64:65], -v[66:67]
	s_waitcnt vmcnt(8)
	v_mul_f64 v[104:105], v[112:113], v[74:75]
	v_mul_f64 v[74:75], v[114:115], v[74:75]
	v_fma_f64 v[94:95], v[94:95], v[68:69], v[118:119]
	v_fma_f64 v[92:93], v[92:93], v[68:69], -v[70:71]
	v_add_f64 v[6:7], v[6:7], v[106:107]
	v_add_f64 v[2:3], v[2:3], v[64:65]
	ds_load_b128 v[64:67], v1 offset:432
	ds_load_b128 v[68:71], v1 offset:448
	v_fma_f64 v[104:105], v[114:115], v[72:73], v[104:105]
	v_fma_f64 v[72:73], v[112:113], v[72:73], -v[74:75]
	s_waitcnt vmcnt(7) lgkmcnt(1)
	v_mul_f64 v[106:107], v[64:65], v[78:79]
	v_mul_f64 v[78:79], v[66:67], v[78:79]
	v_add_f64 v[6:7], v[6:7], v[94:95]
	v_add_f64 v[2:3], v[2:3], v[92:93]
	s_waitcnt vmcnt(6) lgkmcnt(0)
	v_mul_f64 v[92:93], v[68:69], v[82:83]
	v_mul_f64 v[82:83], v[70:71], v[82:83]
	v_fma_f64 v[94:95], v[66:67], v[76:77], v[106:107]
	v_fma_f64 v[76:77], v[64:65], v[76:77], -v[78:79]
	v_add_f64 v[6:7], v[6:7], v[104:105]
	v_add_f64 v[2:3], v[2:3], v[72:73]
	ds_load_b128 v[64:67], v1 offset:464
	ds_load_b128 v[72:75], v1 offset:480
	v_fma_f64 v[70:71], v[70:71], v[80:81], v[92:93]
	v_fma_f64 v[68:69], v[68:69], v[80:81], -v[82:83]
	s_waitcnt vmcnt(5) lgkmcnt(1)
	v_mul_f64 v[78:79], v[64:65], v[86:87]
	v_mul_f64 v[86:87], v[66:67], v[86:87]
	s_waitcnt vmcnt(4) lgkmcnt(0)
	v_mul_f64 v[80:81], v[74:75], v[90:91]
	v_add_f64 v[6:7], v[6:7], v[94:95]
	v_add_f64 v[2:3], v[2:3], v[76:77]
	v_mul_f64 v[76:77], v[72:73], v[90:91]
	v_fma_f64 v[78:79], v[66:67], v[84:85], v[78:79]
	v_fma_f64 v[82:83], v[64:65], v[84:85], -v[86:87]
	v_fma_f64 v[72:73], v[72:73], v[88:89], -v[80:81]
	v_add_f64 v[6:7], v[6:7], v[70:71]
	v_add_f64 v[2:3], v[2:3], v[68:69]
	ds_load_b128 v[64:67], v1 offset:496
	ds_load_b128 v[68:71], v1 offset:512
	v_fma_f64 v[74:75], v[74:75], v[88:89], v[76:77]
	s_waitcnt vmcnt(3) lgkmcnt(1)
	v_mul_f64 v[84:85], v[64:65], v[98:99]
	v_mul_f64 v[86:87], v[66:67], v[98:99]
	v_add_f64 v[6:7], v[6:7], v[78:79]
	v_add_f64 v[2:3], v[2:3], v[82:83]
	s_waitcnt vmcnt(1) lgkmcnt(0)
	v_mul_f64 v[76:77], v[68:69], v[10:11]
	v_mul_f64 v[10:11], v[70:71], v[10:11]
	v_fma_f64 v[78:79], v[66:67], v[96:97], v[84:85]
	v_fma_f64 v[80:81], v[64:65], v[96:97], -v[86:87]
	ds_load_b128 v[64:67], v1 offset:528
	v_add_f64 v[6:7], v[6:7], v[74:75]
	v_add_f64 v[2:3], v[2:3], v[72:73]
	s_waitcnt vmcnt(0) lgkmcnt(0)
	v_mul_f64 v[72:73], v[64:65], v[110:111]
	v_mul_f64 v[74:75], v[66:67], v[110:111]
	v_fma_f64 v[70:71], v[70:71], v[8:9], v[76:77]
	v_fma_f64 v[8:9], v[68:69], v[8:9], -v[10:11]
	v_add_f64 v[6:7], v[6:7], v[78:79]
	v_add_f64 v[2:3], v[2:3], v[80:81]
	v_fma_f64 v[10:11], v[66:67], v[108:109], v[72:73]
	v_fma_f64 v[64:65], v[64:65], v[108:109], -v[74:75]
	s_delay_alu instid0(VALU_DEP_4) | instskip(NEXT) | instid1(VALU_DEP_4)
	v_add_f64 v[6:7], v[6:7], v[70:71]
	v_add_f64 v[2:3], v[2:3], v[8:9]
	s_delay_alu instid0(VALU_DEP_2) | instskip(NEXT) | instid1(VALU_DEP_2)
	v_add_f64 v[8:9], v[6:7], v[10:11]
	v_add_f64 v[2:3], v[2:3], v[64:65]
	s_delay_alu instid0(VALU_DEP_2) | instskip(NEXT) | instid1(VALU_DEP_2)
	v_add_f64 v[8:9], v[102:103], -v[8:9]
	v_add_f64 v[6:7], v[100:101], -v[2:3]
	scratch_store_b128 off, v[6:9], off offset:80
	v_cmpx_lt_u32_e32 4, v47
	s_cbranch_execz .LBB16_107
; %bb.106:
	scratch_load_b128 v[6:9], v50, off
	v_mov_b32_e32 v2, v1
	v_mov_b32_e32 v3, v1
	;; [unrolled: 1-line block ×3, first 2 shown]
	scratch_store_b128 off, v[1:4], off offset:64
	s_waitcnt vmcnt(0)
	ds_store_b128 v5, v[6:9]
.LBB16_107:
	s_or_b32 exec_lo, exec_lo, s2
	s_waitcnt lgkmcnt(0)
	s_waitcnt_vscnt null, 0x0
	s_barrier
	buffer_gl0_inv
	s_clause 0x8
	scratch_load_b128 v[6:9], off, off offset:80
	scratch_load_b128 v[64:67], off, off offset:96
	;; [unrolled: 1-line block ×9, first 2 shown]
	ds_load_b128 v[96:99], v1 offset:352
	ds_load_b128 v[100:103], v1 offset:368
	scratch_load_b128 v[104:107], off, off offset:64
	s_mov_b32 s2, exec_lo
	ds_load_b128 v[112:115], v1 offset:400
	s_waitcnt vmcnt(9) lgkmcnt(2)
	v_mul_f64 v[2:3], v[98:99], v[8:9]
	v_mul_f64 v[108:109], v[96:97], v[8:9]
	scratch_load_b128 v[8:11], off, off offset:224
	s_waitcnt vmcnt(9) lgkmcnt(1)
	v_mul_f64 v[116:117], v[100:101], v[66:67]
	v_mul_f64 v[66:67], v[102:103], v[66:67]
	v_fma_f64 v[2:3], v[96:97], v[6:7], -v[2:3]
	v_fma_f64 v[6:7], v[98:99], v[6:7], v[108:109]
	ds_load_b128 v[96:99], v1 offset:384
	scratch_load_b128 v[108:111], off, off offset:240
	v_fma_f64 v[102:103], v[102:103], v[64:65], v[116:117]
	v_fma_f64 v[100:101], v[100:101], v[64:65], -v[66:67]
	scratch_load_b128 v[64:67], off, off offset:256
	s_waitcnt vmcnt(9) lgkmcnt(1)
	v_mul_f64 v[116:117], v[112:113], v[74:75]
	v_mul_f64 v[74:75], v[114:115], v[74:75]
	s_waitcnt lgkmcnt(0)
	v_mul_f64 v[118:119], v[96:97], v[70:71]
	v_mul_f64 v[70:71], v[98:99], v[70:71]
	v_add_f64 v[2:3], v[2:3], 0
	v_add_f64 v[6:7], v[6:7], 0
	s_delay_alu instid0(VALU_DEP_4) | instskip(NEXT) | instid1(VALU_DEP_4)
	v_fma_f64 v[118:119], v[98:99], v[68:69], v[118:119]
	v_fma_f64 v[120:121], v[96:97], v[68:69], -v[70:71]
	ds_load_b128 v[68:71], v1 offset:416
	ds_load_b128 v[96:99], v1 offset:432
	v_add_f64 v[2:3], v[2:3], v[100:101]
	v_add_f64 v[6:7], v[6:7], v[102:103]
	v_fma_f64 v[102:103], v[114:115], v[72:73], v[116:117]
	v_fma_f64 v[72:73], v[112:113], v[72:73], -v[74:75]
	s_waitcnt vmcnt(8) lgkmcnt(1)
	v_mul_f64 v[100:101], v[68:69], v[78:79]
	v_mul_f64 v[78:79], v[70:71], v[78:79]
	s_waitcnt vmcnt(7) lgkmcnt(0)
	v_mul_f64 v[112:113], v[96:97], v[82:83]
	v_mul_f64 v[82:83], v[98:99], v[82:83]
	v_add_f64 v[2:3], v[2:3], v[120:121]
	v_add_f64 v[6:7], v[6:7], v[118:119]
	v_fma_f64 v[100:101], v[70:71], v[76:77], v[100:101]
	v_fma_f64 v[76:77], v[68:69], v[76:77], -v[78:79]
	v_fma_f64 v[98:99], v[98:99], v[80:81], v[112:113]
	v_fma_f64 v[80:81], v[96:97], v[80:81], -v[82:83]
	v_add_f64 v[2:3], v[2:3], v[72:73]
	v_add_f64 v[6:7], v[6:7], v[102:103]
	ds_load_b128 v[68:71], v1 offset:448
	ds_load_b128 v[72:75], v1 offset:464
	s_waitcnt vmcnt(6) lgkmcnt(1)
	v_mul_f64 v[78:79], v[68:69], v[86:87]
	v_mul_f64 v[86:87], v[70:71], v[86:87]
	s_waitcnt vmcnt(5) lgkmcnt(0)
	v_mul_f64 v[82:83], v[72:73], v[90:91]
	v_mul_f64 v[90:91], v[74:75], v[90:91]
	v_add_f64 v[2:3], v[2:3], v[76:77]
	v_add_f64 v[6:7], v[6:7], v[100:101]
	v_fma_f64 v[96:97], v[70:71], v[84:85], v[78:79]
	v_fma_f64 v[84:85], v[68:69], v[84:85], -v[86:87]
	ds_load_b128 v[68:71], v1 offset:480
	ds_load_b128 v[76:79], v1 offset:496
	v_fma_f64 v[74:75], v[74:75], v[88:89], v[82:83]
	v_fma_f64 v[72:73], v[72:73], v[88:89], -v[90:91]
	v_add_f64 v[2:3], v[2:3], v[80:81]
	v_add_f64 v[6:7], v[6:7], v[98:99]
	s_waitcnt vmcnt(4) lgkmcnt(1)
	v_mul_f64 v[80:81], v[68:69], v[94:95]
	v_mul_f64 v[86:87], v[70:71], v[94:95]
	s_delay_alu instid0(VALU_DEP_4) | instskip(NEXT) | instid1(VALU_DEP_4)
	v_add_f64 v[2:3], v[2:3], v[84:85]
	v_add_f64 v[6:7], v[6:7], v[96:97]
	s_delay_alu instid0(VALU_DEP_4) | instskip(NEXT) | instid1(VALU_DEP_4)
	v_fma_f64 v[80:81], v[70:71], v[92:93], v[80:81]
	v_fma_f64 v[84:85], v[68:69], v[92:93], -v[86:87]
	s_waitcnt vmcnt(2) lgkmcnt(0)
	v_mul_f64 v[82:83], v[76:77], v[10:11]
	v_mul_f64 v[10:11], v[78:79], v[10:11]
	v_add_f64 v[72:73], v[2:3], v[72:73]
	v_add_f64 v[6:7], v[6:7], v[74:75]
	ds_load_b128 v[68:71], v1 offset:512
	ds_load_b128 v[1:4], v1 offset:528
	v_fma_f64 v[78:79], v[78:79], v[8:9], v[82:83]
	v_fma_f64 v[8:9], v[76:77], v[8:9], -v[10:11]
	s_waitcnt vmcnt(1) lgkmcnt(1)
	v_mul_f64 v[74:75], v[68:69], v[110:111]
	v_mul_f64 v[86:87], v[70:71], v[110:111]
	v_add_f64 v[10:11], v[72:73], v[84:85]
	v_add_f64 v[6:7], v[6:7], v[80:81]
	s_waitcnt vmcnt(0) lgkmcnt(0)
	v_mul_f64 v[72:73], v[1:2], v[66:67]
	v_mul_f64 v[66:67], v[3:4], v[66:67]
	v_fma_f64 v[70:71], v[70:71], v[108:109], v[74:75]
	v_fma_f64 v[68:69], v[68:69], v[108:109], -v[86:87]
	v_add_f64 v[8:9], v[10:11], v[8:9]
	v_add_f64 v[6:7], v[6:7], v[78:79]
	v_fma_f64 v[3:4], v[3:4], v[64:65], v[72:73]
	v_fma_f64 v[1:2], v[1:2], v[64:65], -v[66:67]
	s_delay_alu instid0(VALU_DEP_4) | instskip(NEXT) | instid1(VALU_DEP_4)
	v_add_f64 v[8:9], v[8:9], v[68:69]
	v_add_f64 v[6:7], v[6:7], v[70:71]
	s_delay_alu instid0(VALU_DEP_2) | instskip(NEXT) | instid1(VALU_DEP_2)
	v_add_f64 v[1:2], v[8:9], v[1:2]
	v_add_f64 v[3:4], v[6:7], v[3:4]
	s_delay_alu instid0(VALU_DEP_2) | instskip(NEXT) | instid1(VALU_DEP_2)
	v_add_f64 v[1:2], v[104:105], -v[1:2]
	v_add_f64 v[3:4], v[106:107], -v[3:4]
	scratch_store_b128 off, v[1:4], off offset:64
	v_cmpx_lt_u32_e32 3, v47
	s_cbranch_execz .LBB16_109
; %bb.108:
	scratch_load_b128 v[1:4], v48, off
	v_mov_b32_e32 v6, 0
	s_delay_alu instid0(VALU_DEP_1)
	v_mov_b32_e32 v7, v6
	v_mov_b32_e32 v8, v6
	;; [unrolled: 1-line block ×3, first 2 shown]
	scratch_store_b128 off, v[6:9], off offset:48
	s_waitcnt vmcnt(0)
	ds_store_b128 v5, v[1:4]
.LBB16_109:
	s_or_b32 exec_lo, exec_lo, s2
	s_waitcnt lgkmcnt(0)
	s_waitcnt_vscnt null, 0x0
	s_barrier
	buffer_gl0_inv
	s_clause 0x7
	scratch_load_b128 v[6:9], off, off offset:64
	scratch_load_b128 v[64:67], off, off offset:80
	;; [unrolled: 1-line block ×8, first 2 shown]
	v_mov_b32_e32 v1, 0
	s_clause 0x1
	scratch_load_b128 v[96:99], off, off offset:192
	scratch_load_b128 v[100:103], off, off offset:208
	s_mov_b32 s2, exec_lo
	ds_load_b128 v[92:95], v1 offset:336
	s_waitcnt vmcnt(9) lgkmcnt(0)
	v_mul_f64 v[2:3], v[94:95], v[8:9]
	v_mul_f64 v[104:105], v[92:93], v[8:9]
	ds_load_b128 v[8:11], v1 offset:352
	v_fma_f64 v[2:3], v[92:93], v[6:7], -v[2:3]
	v_fma_f64 v[6:7], v[94:95], v[6:7], v[104:105]
	ds_load_b128 v[92:95], v1 offset:368
	s_waitcnt vmcnt(8) lgkmcnt(1)
	v_mul_f64 v[108:109], v[8:9], v[66:67]
	v_mul_f64 v[66:67], v[10:11], v[66:67]
	scratch_load_b128 v[104:107], off, off offset:224
	s_waitcnt vmcnt(8) lgkmcnt(0)
	v_mul_f64 v[110:111], v[92:93], v[70:71]
	v_mul_f64 v[70:71], v[94:95], v[70:71]
	v_add_f64 v[2:3], v[2:3], 0
	v_add_f64 v[112:113], v[6:7], 0
	v_fma_f64 v[10:11], v[10:11], v[64:65], v[108:109]
	v_fma_f64 v[108:109], v[8:9], v[64:65], -v[66:67]
	ds_load_b128 v[6:9], v1 offset:384
	scratch_load_b128 v[64:67], off, off offset:240
	v_fma_f64 v[110:111], v[94:95], v[68:69], v[110:111]
	v_fma_f64 v[116:117], v[92:93], v[68:69], -v[70:71]
	scratch_load_b128 v[92:95], off, off offset:256
	ds_load_b128 v[68:71], v1 offset:400
	s_waitcnt vmcnt(9) lgkmcnt(1)
	v_mul_f64 v[114:115], v[6:7], v[74:75]
	v_mul_f64 v[74:75], v[8:9], v[74:75]
	v_add_f64 v[10:11], v[112:113], v[10:11]
	v_add_f64 v[2:3], v[2:3], v[108:109]
	s_waitcnt vmcnt(8) lgkmcnt(0)
	v_mul_f64 v[108:109], v[68:69], v[78:79]
	v_mul_f64 v[78:79], v[70:71], v[78:79]
	v_fma_f64 v[112:113], v[8:9], v[72:73], v[114:115]
	v_fma_f64 v[72:73], v[6:7], v[72:73], -v[74:75]
	ds_load_b128 v[6:9], v1 offset:416
	v_add_f64 v[10:11], v[10:11], v[110:111]
	v_add_f64 v[2:3], v[2:3], v[116:117]
	v_fma_f64 v[108:109], v[70:71], v[76:77], v[108:109]
	v_fma_f64 v[76:77], v[68:69], v[76:77], -v[78:79]
	ds_load_b128 v[68:71], v1 offset:432
	s_waitcnt vmcnt(7) lgkmcnt(1)
	v_mul_f64 v[74:75], v[6:7], v[82:83]
	v_mul_f64 v[82:83], v[8:9], v[82:83]
	s_waitcnt vmcnt(6) lgkmcnt(0)
	v_mul_f64 v[78:79], v[68:69], v[86:87]
	v_mul_f64 v[86:87], v[70:71], v[86:87]
	v_add_f64 v[10:11], v[10:11], v[112:113]
	v_add_f64 v[2:3], v[2:3], v[72:73]
	v_fma_f64 v[110:111], v[8:9], v[80:81], v[74:75]
	v_fma_f64 v[80:81], v[6:7], v[80:81], -v[82:83]
	ds_load_b128 v[6:9], v1 offset:448
	scratch_load_b128 v[72:75], off, off offset:48
	v_fma_f64 v[78:79], v[70:71], v[84:85], v[78:79]
	v_fma_f64 v[84:85], v[68:69], v[84:85], -v[86:87]
	ds_load_b128 v[68:71], v1 offset:464
	s_waitcnt vmcnt(6) lgkmcnt(1)
	v_mul_f64 v[82:83], v[8:9], v[90:91]
	v_add_f64 v[10:11], v[10:11], v[108:109]
	v_add_f64 v[2:3], v[2:3], v[76:77]
	v_mul_f64 v[76:77], v[6:7], v[90:91]
	s_waitcnt vmcnt(5) lgkmcnt(0)
	v_mul_f64 v[86:87], v[70:71], v[98:99]
	v_fma_f64 v[82:83], v[6:7], v[88:89], -v[82:83]
	v_add_f64 v[10:11], v[10:11], v[110:111]
	v_add_f64 v[2:3], v[2:3], v[80:81]
	v_mul_f64 v[80:81], v[68:69], v[98:99]
	v_fma_f64 v[76:77], v[8:9], v[88:89], v[76:77]
	ds_load_b128 v[6:9], v1 offset:480
	v_fma_f64 v[86:87], v[68:69], v[96:97], -v[86:87]
	v_add_f64 v[10:11], v[10:11], v[78:79]
	v_add_f64 v[2:3], v[2:3], v[84:85]
	v_fma_f64 v[80:81], v[70:71], v[96:97], v[80:81]
	ds_load_b128 v[68:71], v1 offset:496
	s_waitcnt vmcnt(4) lgkmcnt(1)
	v_mul_f64 v[78:79], v[6:7], v[102:103]
	v_mul_f64 v[84:85], v[8:9], v[102:103]
	v_add_f64 v[10:11], v[10:11], v[76:77]
	v_add_f64 v[2:3], v[2:3], v[82:83]
	s_delay_alu instid0(VALU_DEP_4) | instskip(NEXT) | instid1(VALU_DEP_4)
	v_fma_f64 v[78:79], v[8:9], v[100:101], v[78:79]
	v_fma_f64 v[84:85], v[6:7], v[100:101], -v[84:85]
	ds_load_b128 v[6:9], v1 offset:512
	s_waitcnt vmcnt(3) lgkmcnt(1)
	v_mul_f64 v[76:77], v[68:69], v[106:107]
	v_mul_f64 v[82:83], v[70:71], v[106:107]
	v_add_f64 v[10:11], v[10:11], v[80:81]
	v_add_f64 v[2:3], v[2:3], v[86:87]
	s_delay_alu instid0(VALU_DEP_4)
	v_fma_f64 v[70:71], v[70:71], v[104:105], v[76:77]
	s_waitcnt vmcnt(2) lgkmcnt(0)
	v_mul_f64 v[80:81], v[6:7], v[66:67]
	v_mul_f64 v[86:87], v[8:9], v[66:67]
	v_fma_f64 v[76:77], v[68:69], v[104:105], -v[82:83]
	ds_load_b128 v[66:69], v1 offset:528
	v_add_f64 v[10:11], v[10:11], v[78:79]
	v_add_f64 v[2:3], v[2:3], v[84:85]
	s_waitcnt vmcnt(1) lgkmcnt(0)
	v_mul_f64 v[78:79], v[66:67], v[94:95]
	v_mul_f64 v[82:83], v[68:69], v[94:95]
	v_fma_f64 v[8:9], v[8:9], v[64:65], v[80:81]
	v_fma_f64 v[6:7], v[6:7], v[64:65], -v[86:87]
	v_add_f64 v[10:11], v[10:11], v[70:71]
	v_add_f64 v[2:3], v[2:3], v[76:77]
	v_fma_f64 v[64:65], v[68:69], v[92:93], v[78:79]
	v_fma_f64 v[66:67], v[66:67], v[92:93], -v[82:83]
	s_delay_alu instid0(VALU_DEP_3) | instskip(SKIP_1) | instid1(VALU_DEP_2)
	v_add_f64 v[2:3], v[2:3], v[6:7]
	v_add_f64 v[6:7], v[10:11], v[8:9]
	;; [unrolled: 1-line block ×3, first 2 shown]
	s_delay_alu instid0(VALU_DEP_2) | instskip(SKIP_1) | instid1(VALU_DEP_2)
	v_add_f64 v[8:9], v[6:7], v[64:65]
	s_waitcnt vmcnt(0)
	v_add_f64 v[6:7], v[72:73], -v[2:3]
	s_delay_alu instid0(VALU_DEP_2)
	v_add_f64 v[8:9], v[74:75], -v[8:9]
	scratch_store_b128 off, v[6:9], off offset:48
	v_cmpx_lt_u32_e32 2, v47
	s_cbranch_execz .LBB16_111
; %bb.110:
	scratch_load_b128 v[6:9], v51, off
	v_mov_b32_e32 v2, v1
	v_mov_b32_e32 v3, v1
	;; [unrolled: 1-line block ×3, first 2 shown]
	scratch_store_b128 off, v[1:4], off offset:32
	s_waitcnt vmcnt(0)
	ds_store_b128 v5, v[6:9]
.LBB16_111:
	s_or_b32 exec_lo, exec_lo, s2
	s_waitcnt lgkmcnt(0)
	s_waitcnt_vscnt null, 0x0
	s_barrier
	buffer_gl0_inv
	s_clause 0x7
	scratch_load_b128 v[6:9], off, off offset:48
	scratch_load_b128 v[64:67], off, off offset:64
	;; [unrolled: 1-line block ×8, first 2 shown]
	ds_load_b128 v[92:95], v1 offset:320
	s_clause 0x1
	scratch_load_b128 v[96:99], off, off offset:176
	scratch_load_b128 v[100:103], off, off offset:192
	s_mov_b32 s2, exec_lo
	s_waitcnt vmcnt(9) lgkmcnt(0)
	v_mul_f64 v[2:3], v[94:95], v[8:9]
	v_mul_f64 v[104:105], v[92:93], v[8:9]
	ds_load_b128 v[8:11], v1 offset:336
	v_fma_f64 v[2:3], v[92:93], v[6:7], -v[2:3]
	v_fma_f64 v[6:7], v[94:95], v[6:7], v[104:105]
	ds_load_b128 v[92:95], v1 offset:352
	s_waitcnt vmcnt(8) lgkmcnt(1)
	v_mul_f64 v[108:109], v[8:9], v[66:67]
	v_mul_f64 v[66:67], v[10:11], v[66:67]
	scratch_load_b128 v[104:107], off, off offset:208
	s_waitcnt vmcnt(8) lgkmcnt(0)
	v_mul_f64 v[110:111], v[92:93], v[70:71]
	v_mul_f64 v[70:71], v[94:95], v[70:71]
	v_add_f64 v[2:3], v[2:3], 0
	v_add_f64 v[112:113], v[6:7], 0
	v_fma_f64 v[10:11], v[10:11], v[64:65], v[108:109]
	v_fma_f64 v[108:109], v[8:9], v[64:65], -v[66:67]
	ds_load_b128 v[6:9], v1 offset:368
	scratch_load_b128 v[64:67], off, off offset:224
	v_fma_f64 v[110:111], v[94:95], v[68:69], v[110:111]
	v_fma_f64 v[116:117], v[92:93], v[68:69], -v[70:71]
	scratch_load_b128 v[92:95], off, off offset:240
	ds_load_b128 v[68:71], v1 offset:384
	s_waitcnt vmcnt(9) lgkmcnt(1)
	v_mul_f64 v[114:115], v[6:7], v[74:75]
	v_mul_f64 v[74:75], v[8:9], v[74:75]
	v_add_f64 v[10:11], v[112:113], v[10:11]
	v_add_f64 v[2:3], v[2:3], v[108:109]
	s_waitcnt vmcnt(8) lgkmcnt(0)
	v_mul_f64 v[108:109], v[68:69], v[78:79]
	v_mul_f64 v[78:79], v[70:71], v[78:79]
	v_fma_f64 v[112:113], v[8:9], v[72:73], v[114:115]
	v_fma_f64 v[114:115], v[6:7], v[72:73], -v[74:75]
	ds_load_b128 v[6:9], v1 offset:400
	scratch_load_b128 v[72:75], off, off offset:256
	v_add_f64 v[10:11], v[10:11], v[110:111]
	v_add_f64 v[2:3], v[2:3], v[116:117]
	v_fma_f64 v[108:109], v[70:71], v[76:77], v[108:109]
	v_fma_f64 v[76:77], v[68:69], v[76:77], -v[78:79]
	ds_load_b128 v[68:71], v1 offset:416
	s_waitcnt vmcnt(8) lgkmcnt(1)
	v_mul_f64 v[110:111], v[6:7], v[82:83]
	v_mul_f64 v[82:83], v[8:9], v[82:83]
	s_waitcnt vmcnt(7) lgkmcnt(0)
	v_mul_f64 v[78:79], v[68:69], v[86:87]
	v_mul_f64 v[86:87], v[70:71], v[86:87]
	v_add_f64 v[10:11], v[10:11], v[112:113]
	v_add_f64 v[2:3], v[2:3], v[114:115]
	v_fma_f64 v[110:111], v[8:9], v[80:81], v[110:111]
	v_fma_f64 v[80:81], v[6:7], v[80:81], -v[82:83]
	ds_load_b128 v[6:9], v1 offset:432
	v_add_f64 v[10:11], v[10:11], v[108:109]
	v_add_f64 v[2:3], v[2:3], v[76:77]
	v_fma_f64 v[108:109], v[70:71], v[84:85], v[78:79]
	v_fma_f64 v[84:85], v[68:69], v[84:85], -v[86:87]
	ds_load_b128 v[68:71], v1 offset:448
	s_waitcnt vmcnt(6) lgkmcnt(1)
	v_mul_f64 v[82:83], v[6:7], v[90:91]
	v_mul_f64 v[90:91], v[8:9], v[90:91]
	scratch_load_b128 v[76:79], off, off offset:32
	s_waitcnt vmcnt(6) lgkmcnt(0)
	v_mul_f64 v[86:87], v[70:71], v[98:99]
	v_add_f64 v[10:11], v[10:11], v[110:111]
	v_add_f64 v[2:3], v[2:3], v[80:81]
	v_mul_f64 v[80:81], v[68:69], v[98:99]
	v_fma_f64 v[82:83], v[8:9], v[88:89], v[82:83]
	v_fma_f64 v[88:89], v[6:7], v[88:89], -v[90:91]
	ds_load_b128 v[6:9], v1 offset:464
	v_fma_f64 v[86:87], v[68:69], v[96:97], -v[86:87]
	v_add_f64 v[10:11], v[10:11], v[108:109]
	v_add_f64 v[2:3], v[2:3], v[84:85]
	v_fma_f64 v[80:81], v[70:71], v[96:97], v[80:81]
	ds_load_b128 v[68:71], v1 offset:480
	s_waitcnt vmcnt(5) lgkmcnt(1)
	v_mul_f64 v[84:85], v[6:7], v[102:103]
	v_mul_f64 v[90:91], v[8:9], v[102:103]
	v_add_f64 v[10:11], v[10:11], v[82:83]
	v_add_f64 v[2:3], v[2:3], v[88:89]
	s_delay_alu instid0(VALU_DEP_4) | instskip(NEXT) | instid1(VALU_DEP_4)
	v_fma_f64 v[84:85], v[8:9], v[100:101], v[84:85]
	v_fma_f64 v[90:91], v[6:7], v[100:101], -v[90:91]
	ds_load_b128 v[6:9], v1 offset:496
	s_waitcnt vmcnt(4) lgkmcnt(1)
	v_mul_f64 v[82:83], v[68:69], v[106:107]
	v_mul_f64 v[88:89], v[70:71], v[106:107]
	v_add_f64 v[10:11], v[10:11], v[80:81]
	v_add_f64 v[2:3], v[2:3], v[86:87]
	s_delay_alu instid0(VALU_DEP_4)
	v_fma_f64 v[70:71], v[70:71], v[104:105], v[82:83]
	s_waitcnt vmcnt(3) lgkmcnt(0)
	v_mul_f64 v[80:81], v[6:7], v[66:67]
	v_mul_f64 v[86:87], v[8:9], v[66:67]
	v_fma_f64 v[82:83], v[68:69], v[104:105], -v[88:89]
	ds_load_b128 v[66:69], v1 offset:512
	v_add_f64 v[10:11], v[10:11], v[84:85]
	v_add_f64 v[2:3], v[2:3], v[90:91]
	s_waitcnt vmcnt(2) lgkmcnt(0)
	v_mul_f64 v[84:85], v[66:67], v[94:95]
	v_mul_f64 v[88:89], v[68:69], v[94:95]
	v_fma_f64 v[8:9], v[8:9], v[64:65], v[80:81]
	v_fma_f64 v[6:7], v[6:7], v[64:65], -v[86:87]
	v_add_f64 v[10:11], v[10:11], v[70:71]
	v_add_f64 v[64:65], v[2:3], v[82:83]
	ds_load_b128 v[1:4], v1 offset:528
	v_fma_f64 v[68:69], v[68:69], v[92:93], v[84:85]
	v_fma_f64 v[66:67], v[66:67], v[92:93], -v[88:89]
	s_waitcnt vmcnt(1) lgkmcnt(0)
	v_mul_f64 v[70:71], v[1:2], v[74:75]
	v_mul_f64 v[74:75], v[3:4], v[74:75]
	v_add_f64 v[8:9], v[10:11], v[8:9]
	v_add_f64 v[6:7], v[64:65], v[6:7]
	s_delay_alu instid0(VALU_DEP_4) | instskip(NEXT) | instid1(VALU_DEP_4)
	v_fma_f64 v[3:4], v[3:4], v[72:73], v[70:71]
	v_fma_f64 v[1:2], v[1:2], v[72:73], -v[74:75]
	s_delay_alu instid0(VALU_DEP_4) | instskip(NEXT) | instid1(VALU_DEP_4)
	v_add_f64 v[8:9], v[8:9], v[68:69]
	v_add_f64 v[6:7], v[6:7], v[66:67]
	s_delay_alu instid0(VALU_DEP_2) | instskip(NEXT) | instid1(VALU_DEP_2)
	v_add_f64 v[3:4], v[8:9], v[3:4]
	v_add_f64 v[1:2], v[6:7], v[1:2]
	s_waitcnt vmcnt(0)
	s_delay_alu instid0(VALU_DEP_2) | instskip(NEXT) | instid1(VALU_DEP_2)
	v_add_f64 v[3:4], v[78:79], -v[3:4]
	v_add_f64 v[1:2], v[76:77], -v[1:2]
	scratch_store_b128 off, v[1:4], off offset:32
	v_cmpx_lt_u32_e32 1, v47
	s_cbranch_execz .LBB16_113
; %bb.112:
	scratch_load_b128 v[1:4], v52, off
	v_mov_b32_e32 v6, 0
	s_delay_alu instid0(VALU_DEP_1)
	v_mov_b32_e32 v7, v6
	v_mov_b32_e32 v8, v6
	;; [unrolled: 1-line block ×3, first 2 shown]
	scratch_store_b128 off, v[6:9], off offset:16
	s_waitcnt vmcnt(0)
	ds_store_b128 v5, v[1:4]
.LBB16_113:
	s_or_b32 exec_lo, exec_lo, s2
	s_waitcnt lgkmcnt(0)
	s_waitcnt_vscnt null, 0x0
	s_barrier
	buffer_gl0_inv
	s_clause 0x7
	scratch_load_b128 v[6:9], off, off offset:32
	scratch_load_b128 v[64:67], off, off offset:48
	;; [unrolled: 1-line block ×8, first 2 shown]
	v_mov_b32_e32 v1, 0
	s_clause 0x1
	scratch_load_b128 v[96:99], off, off offset:160
	scratch_load_b128 v[100:103], off, off offset:176
	s_mov_b32 s2, exec_lo
	ds_load_b128 v[92:95], v1 offset:304
	s_waitcnt vmcnt(9) lgkmcnt(0)
	v_mul_f64 v[2:3], v[94:95], v[8:9]
	v_mul_f64 v[104:105], v[92:93], v[8:9]
	ds_load_b128 v[8:11], v1 offset:320
	v_fma_f64 v[2:3], v[92:93], v[6:7], -v[2:3]
	v_fma_f64 v[6:7], v[94:95], v[6:7], v[104:105]
	ds_load_b128 v[92:95], v1 offset:336
	s_waitcnt vmcnt(8) lgkmcnt(1)
	v_mul_f64 v[108:109], v[8:9], v[66:67]
	v_mul_f64 v[66:67], v[10:11], v[66:67]
	scratch_load_b128 v[104:107], off, off offset:192
	s_waitcnt vmcnt(8) lgkmcnt(0)
	v_mul_f64 v[110:111], v[92:93], v[70:71]
	v_mul_f64 v[70:71], v[94:95], v[70:71]
	v_add_f64 v[2:3], v[2:3], 0
	v_add_f64 v[112:113], v[6:7], 0
	v_fma_f64 v[10:11], v[10:11], v[64:65], v[108:109]
	v_fma_f64 v[108:109], v[8:9], v[64:65], -v[66:67]
	ds_load_b128 v[6:9], v1 offset:352
	scratch_load_b128 v[64:67], off, off offset:208
	v_fma_f64 v[110:111], v[94:95], v[68:69], v[110:111]
	v_fma_f64 v[116:117], v[92:93], v[68:69], -v[70:71]
	scratch_load_b128 v[92:95], off, off offset:224
	ds_load_b128 v[68:71], v1 offset:368
	s_waitcnt vmcnt(9) lgkmcnt(1)
	v_mul_f64 v[114:115], v[6:7], v[74:75]
	v_mul_f64 v[74:75], v[8:9], v[74:75]
	v_add_f64 v[10:11], v[112:113], v[10:11]
	v_add_f64 v[2:3], v[2:3], v[108:109]
	s_waitcnt vmcnt(8) lgkmcnt(0)
	v_mul_f64 v[108:109], v[68:69], v[78:79]
	v_mul_f64 v[78:79], v[70:71], v[78:79]
	v_fma_f64 v[112:113], v[8:9], v[72:73], v[114:115]
	v_fma_f64 v[114:115], v[6:7], v[72:73], -v[74:75]
	ds_load_b128 v[6:9], v1 offset:384
	scratch_load_b128 v[72:75], off, off offset:240
	v_add_f64 v[10:11], v[10:11], v[110:111]
	v_add_f64 v[2:3], v[2:3], v[116:117]
	v_fma_f64 v[108:109], v[70:71], v[76:77], v[108:109]
	v_fma_f64 v[116:117], v[68:69], v[76:77], -v[78:79]
	scratch_load_b128 v[76:79], off, off offset:256
	ds_load_b128 v[68:71], v1 offset:400
	s_waitcnt vmcnt(9) lgkmcnt(1)
	v_mul_f64 v[110:111], v[6:7], v[82:83]
	v_mul_f64 v[82:83], v[8:9], v[82:83]
	v_add_f64 v[10:11], v[10:11], v[112:113]
	v_add_f64 v[2:3], v[2:3], v[114:115]
	s_waitcnt vmcnt(8) lgkmcnt(0)
	v_mul_f64 v[112:113], v[68:69], v[86:87]
	v_mul_f64 v[86:87], v[70:71], v[86:87]
	v_fma_f64 v[110:111], v[8:9], v[80:81], v[110:111]
	v_fma_f64 v[80:81], v[6:7], v[80:81], -v[82:83]
	ds_load_b128 v[6:9], v1 offset:416
	v_add_f64 v[10:11], v[10:11], v[108:109]
	v_add_f64 v[2:3], v[2:3], v[116:117]
	v_fma_f64 v[108:109], v[70:71], v[84:85], v[112:113]
	v_fma_f64 v[84:85], v[68:69], v[84:85], -v[86:87]
	ds_load_b128 v[68:71], v1 offset:432
	s_waitcnt vmcnt(7) lgkmcnt(1)
	v_mul_f64 v[82:83], v[6:7], v[90:91]
	v_mul_f64 v[90:91], v[8:9], v[90:91]
	v_add_f64 v[10:11], v[10:11], v[110:111]
	v_add_f64 v[2:3], v[2:3], v[80:81]
	s_delay_alu instid0(VALU_DEP_4) | instskip(NEXT) | instid1(VALU_DEP_4)
	v_fma_f64 v[110:111], v[8:9], v[88:89], v[82:83]
	v_fma_f64 v[88:89], v[6:7], v[88:89], -v[90:91]
	scratch_load_b128 v[80:83], off, off offset:16
	s_waitcnt vmcnt(7) lgkmcnt(0)
	v_mul_f64 v[86:87], v[68:69], v[98:99]
	v_mul_f64 v[98:99], v[70:71], v[98:99]
	ds_load_b128 v[6:9], v1 offset:448
	v_add_f64 v[10:11], v[10:11], v[108:109]
	v_add_f64 v[2:3], v[2:3], v[84:85]
	v_fma_f64 v[86:87], v[70:71], v[96:97], v[86:87]
	v_fma_f64 v[96:97], v[68:69], v[96:97], -v[98:99]
	ds_load_b128 v[68:71], v1 offset:464
	s_waitcnt vmcnt(6) lgkmcnt(1)
	v_mul_f64 v[84:85], v[6:7], v[102:103]
	v_mul_f64 v[90:91], v[8:9], v[102:103]
	v_add_f64 v[10:11], v[10:11], v[110:111]
	v_add_f64 v[2:3], v[2:3], v[88:89]
	s_delay_alu instid0(VALU_DEP_4) | instskip(NEXT) | instid1(VALU_DEP_4)
	v_fma_f64 v[84:85], v[8:9], v[100:101], v[84:85]
	v_fma_f64 v[90:91], v[6:7], v[100:101], -v[90:91]
	ds_load_b128 v[6:9], v1 offset:480
	s_waitcnt vmcnt(5) lgkmcnt(1)
	v_mul_f64 v[88:89], v[68:69], v[106:107]
	v_mul_f64 v[98:99], v[70:71], v[106:107]
	v_add_f64 v[10:11], v[10:11], v[86:87]
	v_add_f64 v[2:3], v[2:3], v[96:97]
	s_delay_alu instid0(VALU_DEP_4)
	v_fma_f64 v[70:71], v[70:71], v[104:105], v[88:89]
	s_waitcnt vmcnt(4) lgkmcnt(0)
	v_mul_f64 v[86:87], v[6:7], v[66:67]
	v_mul_f64 v[96:97], v[8:9], v[66:67]
	v_fma_f64 v[88:89], v[68:69], v[104:105], -v[98:99]
	ds_load_b128 v[66:69], v1 offset:496
	v_add_f64 v[10:11], v[10:11], v[84:85]
	v_add_f64 v[2:3], v[2:3], v[90:91]
	v_fma_f64 v[86:87], v[8:9], v[64:65], v[86:87]
	v_fma_f64 v[64:65], v[6:7], v[64:65], -v[96:97]
	ds_load_b128 v[6:9], v1 offset:512
	s_waitcnt vmcnt(3) lgkmcnt(1)
	v_mul_f64 v[84:85], v[66:67], v[94:95]
	v_mul_f64 v[90:91], v[68:69], v[94:95]
	v_add_f64 v[10:11], v[10:11], v[70:71]
	v_add_f64 v[2:3], v[2:3], v[88:89]
	s_waitcnt vmcnt(2) lgkmcnt(0)
	v_mul_f64 v[70:71], v[6:7], v[74:75]
	v_mul_f64 v[74:75], v[8:9], v[74:75]
	v_fma_f64 v[68:69], v[68:69], v[92:93], v[84:85]
	v_fma_f64 v[84:85], v[66:67], v[92:93], -v[90:91]
	v_add_f64 v[10:11], v[10:11], v[86:87]
	v_add_f64 v[2:3], v[2:3], v[64:65]
	ds_load_b128 v[64:67], v1 offset:528
	v_fma_f64 v[8:9], v[8:9], v[72:73], v[70:71]
	v_fma_f64 v[6:7], v[6:7], v[72:73], -v[74:75]
	s_waitcnt vmcnt(1) lgkmcnt(0)
	v_mul_f64 v[86:87], v[64:65], v[78:79]
	v_mul_f64 v[78:79], v[66:67], v[78:79]
	v_add_f64 v[10:11], v[10:11], v[68:69]
	v_add_f64 v[2:3], v[2:3], v[84:85]
	s_delay_alu instid0(VALU_DEP_4) | instskip(NEXT) | instid1(VALU_DEP_4)
	v_fma_f64 v[66:67], v[66:67], v[76:77], v[86:87]
	v_fma_f64 v[64:65], v[64:65], v[76:77], -v[78:79]
	s_delay_alu instid0(VALU_DEP_3) | instskip(SKIP_1) | instid1(VALU_DEP_2)
	v_add_f64 v[2:3], v[2:3], v[6:7]
	v_add_f64 v[6:7], v[10:11], v[8:9]
	;; [unrolled: 1-line block ×3, first 2 shown]
	s_delay_alu instid0(VALU_DEP_2) | instskip(SKIP_1) | instid1(VALU_DEP_2)
	v_add_f64 v[8:9], v[6:7], v[66:67]
	s_waitcnt vmcnt(0)
	v_add_f64 v[6:7], v[80:81], -v[2:3]
	s_delay_alu instid0(VALU_DEP_2)
	v_add_f64 v[8:9], v[82:83], -v[8:9]
	scratch_store_b128 off, v[6:9], off offset:16
	v_cmpx_ne_u32_e32 0, v47
	s_cbranch_execz .LBB16_115
; %bb.114:
	scratch_load_b128 v[6:9], off, off
	v_mov_b32_e32 v2, v1
	v_mov_b32_e32 v3, v1
	;; [unrolled: 1-line block ×3, first 2 shown]
	scratch_store_b128 off, v[1:4], off
	s_waitcnt vmcnt(0)
	ds_store_b128 v5, v[6:9]
.LBB16_115:
	s_or_b32 exec_lo, exec_lo, s2
	s_waitcnt lgkmcnt(0)
	s_waitcnt_vscnt null, 0x0
	s_barrier
	buffer_gl0_inv
	s_clause 0x7
	scratch_load_b128 v[2:5], off, off offset:16
	scratch_load_b128 v[6:9], off, off offset:32
	;; [unrolled: 1-line block ×8, first 2 shown]
	ds_load_b128 v[88:91], v1 offset:288
	ds_load_b128 v[96:99], v1 offset:304
	s_clause 0x1
	scratch_load_b128 v[92:95], off, off offset:144
	scratch_load_b128 v[100:103], off, off offset:160
	s_and_b32 vcc_lo, exec_lo, s20
	s_waitcnt vmcnt(9) lgkmcnt(1)
	v_mul_f64 v[10:11], v[90:91], v[4:5]
	v_mul_f64 v[4:5], v[88:89], v[4:5]
	s_waitcnt vmcnt(8) lgkmcnt(0)
	v_mul_f64 v[104:105], v[96:97], v[8:9]
	v_mul_f64 v[106:107], v[98:99], v[8:9]
	s_delay_alu instid0(VALU_DEP_4)
	v_fma_f64 v[88:89], v[88:89], v[2:3], -v[10:11]
	scratch_load_b128 v[8:11], off, off offset:176
	v_fma_f64 v[90:91], v[90:91], v[2:3], v[4:5]
	ds_load_b128 v[2:5], v1 offset:320
	v_fma_f64 v[104:105], v[98:99], v[6:7], v[104:105]
	v_fma_f64 v[6:7], v[96:97], v[6:7], -v[106:107]
	scratch_load_b128 v[96:99], off, off offset:192
	v_add_f64 v[106:107], v[88:89], 0
	v_add_f64 v[110:111], v[90:91], 0
	ds_load_b128 v[88:91], v1 offset:336
	s_waitcnt vmcnt(9) lgkmcnt(1)
	v_mul_f64 v[108:109], v[2:3], v[66:67]
	v_mul_f64 v[66:67], v[4:5], v[66:67]
	s_waitcnt vmcnt(8) lgkmcnt(0)
	v_mul_f64 v[112:113], v[88:89], v[70:71]
	v_mul_f64 v[70:71], v[90:91], v[70:71]
	v_add_f64 v[6:7], v[106:107], v[6:7]
	v_add_f64 v[104:105], v[110:111], v[104:105]
	v_fma_f64 v[108:109], v[4:5], v[64:65], v[108:109]
	v_fma_f64 v[114:115], v[2:3], v[64:65], -v[66:67]
	scratch_load_b128 v[64:67], off, off offset:208
	ds_load_b128 v[2:5], v1 offset:352
	v_fma_f64 v[110:111], v[90:91], v[68:69], v[112:113]
	v_fma_f64 v[112:113], v[88:89], v[68:69], -v[70:71]
	ds_load_b128 v[68:71], v1 offset:368
	scratch_load_b128 v[88:91], off, off offset:224
	s_waitcnt vmcnt(9) lgkmcnt(1)
	v_mul_f64 v[106:107], v[2:3], v[74:75]
	v_mul_f64 v[74:75], v[4:5], v[74:75]
	v_add_f64 v[104:105], v[104:105], v[108:109]
	v_add_f64 v[6:7], v[6:7], v[114:115]
	s_waitcnt vmcnt(8) lgkmcnt(0)
	v_mul_f64 v[108:109], v[68:69], v[78:79]
	v_mul_f64 v[78:79], v[70:71], v[78:79]
	v_fma_f64 v[106:107], v[4:5], v[72:73], v[106:107]
	v_fma_f64 v[114:115], v[2:3], v[72:73], -v[74:75]
	scratch_load_b128 v[72:75], off, off offset:240
	ds_load_b128 v[2:5], v1 offset:384
	v_add_f64 v[104:105], v[104:105], v[110:111]
	v_add_f64 v[6:7], v[6:7], v[112:113]
	v_fma_f64 v[108:109], v[70:71], v[76:77], v[108:109]
	v_fma_f64 v[112:113], v[68:69], v[76:77], -v[78:79]
	ds_load_b128 v[68:71], v1 offset:400
	scratch_load_b128 v[76:79], off, off offset:256
	s_waitcnt vmcnt(9) lgkmcnt(1)
	v_mul_f64 v[110:111], v[2:3], v[82:83]
	v_mul_f64 v[82:83], v[4:5], v[82:83]
	v_add_f64 v[104:105], v[104:105], v[106:107]
	v_add_f64 v[6:7], v[6:7], v[114:115]
	s_waitcnt vmcnt(8) lgkmcnt(0)
	v_mul_f64 v[106:107], v[68:69], v[86:87]
	v_mul_f64 v[86:87], v[70:71], v[86:87]
	v_fma_f64 v[110:111], v[4:5], v[80:81], v[110:111]
	v_fma_f64 v[80:81], v[2:3], v[80:81], -v[82:83]
	ds_load_b128 v[2:5], v1 offset:416
	v_add_f64 v[82:83], v[104:105], v[108:109]
	v_add_f64 v[6:7], v[6:7], v[112:113]
	v_fma_f64 v[106:107], v[70:71], v[84:85], v[106:107]
	v_fma_f64 v[84:85], v[68:69], v[84:85], -v[86:87]
	ds_load_b128 v[68:71], v1 offset:432
	s_waitcnt vmcnt(6) lgkmcnt(0)
	v_mul_f64 v[86:87], v[68:69], v[102:103]
	v_mul_f64 v[102:103], v[70:71], v[102:103]
	v_add_f64 v[6:7], v[6:7], v[80:81]
	v_add_f64 v[80:81], v[82:83], v[110:111]
	s_delay_alu instid0(VALU_DEP_4) | instskip(NEXT) | instid1(VALU_DEP_4)
	v_fma_f64 v[86:87], v[70:71], v[100:101], v[86:87]
	v_fma_f64 v[100:101], v[68:69], v[100:101], -v[102:103]
	ds_load_b128 v[68:71], v1 offset:464
	v_add_f64 v[6:7], v[6:7], v[84:85]
	v_add_f64 v[84:85], v[80:81], v[106:107]
	scratch_load_b128 v[80:83], off, off
	v_mul_f64 v[104:105], v[2:3], v[94:95]
	v_mul_f64 v[94:95], v[4:5], v[94:95]
	s_delay_alu instid0(VALU_DEP_2) | instskip(NEXT) | instid1(VALU_DEP_2)
	v_fma_f64 v[104:105], v[4:5], v[92:93], v[104:105]
	v_fma_f64 v[92:93], v[2:3], v[92:93], -v[94:95]
	ds_load_b128 v[2:5], v1 offset:448
	s_waitcnt vmcnt(6) lgkmcnt(0)
	v_mul_f64 v[94:95], v[2:3], v[10:11]
	v_mul_f64 v[10:11], v[4:5], v[10:11]
	v_add_f64 v[84:85], v[84:85], v[104:105]
	v_add_f64 v[6:7], v[6:7], v[92:93]
	s_waitcnt vmcnt(5)
	v_mul_f64 v[92:93], v[68:69], v[98:99]
	v_mul_f64 v[98:99], v[70:71], v[98:99]
	v_fma_f64 v[94:95], v[4:5], v[8:9], v[94:95]
	v_fma_f64 v[8:9], v[2:3], v[8:9], -v[10:11]
	ds_load_b128 v[2:5], v1 offset:480
	v_add_f64 v[10:11], v[84:85], v[86:87]
	v_add_f64 v[6:7], v[6:7], v[100:101]
	v_fma_f64 v[70:71], v[70:71], v[96:97], v[92:93]
	v_fma_f64 v[68:69], v[68:69], v[96:97], -v[98:99]
	s_delay_alu instid0(VALU_DEP_4) | instskip(NEXT) | instid1(VALU_DEP_4)
	v_add_f64 v[10:11], v[10:11], v[94:95]
	v_add_f64 v[86:87], v[6:7], v[8:9]
	ds_load_b128 v[6:9], v1 offset:496
	s_waitcnt vmcnt(4) lgkmcnt(1)
	v_mul_f64 v[84:85], v[2:3], v[66:67]
	v_mul_f64 v[66:67], v[4:5], v[66:67]
	s_waitcnt vmcnt(3) lgkmcnt(0)
	v_mul_f64 v[92:93], v[6:7], v[90:91]
	v_mul_f64 v[90:91], v[8:9], v[90:91]
	v_add_f64 v[10:11], v[10:11], v[70:71]
	v_fma_f64 v[84:85], v[4:5], v[64:65], v[84:85]
	v_fma_f64 v[64:65], v[2:3], v[64:65], -v[66:67]
	v_add_f64 v[66:67], v[86:87], v[68:69]
	ds_load_b128 v[2:5], v1 offset:512
	v_fma_f64 v[86:87], v[6:7], v[88:89], -v[90:91]
	s_waitcnt vmcnt(2) lgkmcnt(0)
	v_mul_f64 v[68:69], v[2:3], v[74:75]
	v_mul_f64 v[70:71], v[4:5], v[74:75]
	v_fma_f64 v[74:75], v[8:9], v[88:89], v[92:93]
	ds_load_b128 v[6:9], v1 offset:528
	v_add_f64 v[10:11], v[10:11], v[84:85]
	v_add_f64 v[64:65], v[66:67], v[64:65]
	s_waitcnt vmcnt(1) lgkmcnt(0)
	v_mul_f64 v[66:67], v[6:7], v[78:79]
	v_mul_f64 v[78:79], v[8:9], v[78:79]
	v_fma_f64 v[4:5], v[4:5], v[72:73], v[68:69]
	v_fma_f64 v[1:2], v[2:3], v[72:73], -v[70:71]
	v_add_f64 v[10:11], v[10:11], v[74:75]
	v_add_f64 v[64:65], v[64:65], v[86:87]
	v_fma_f64 v[8:9], v[8:9], v[76:77], v[66:67]
	v_fma_f64 v[6:7], v[6:7], v[76:77], -v[78:79]
	s_delay_alu instid0(VALU_DEP_4) | instskip(NEXT) | instid1(VALU_DEP_4)
	v_add_f64 v[3:4], v[10:11], v[4:5]
	v_add_f64 v[1:2], v[64:65], v[1:2]
	s_delay_alu instid0(VALU_DEP_2) | instskip(NEXT) | instid1(VALU_DEP_2)
	v_add_f64 v[3:4], v[3:4], v[8:9]
	v_add_f64 v[1:2], v[1:2], v[6:7]
	s_waitcnt vmcnt(0)
	s_delay_alu instid0(VALU_DEP_2) | instskip(NEXT) | instid1(VALU_DEP_2)
	v_add_f64 v[3:4], v[82:83], -v[3:4]
	v_add_f64 v[1:2], v[80:81], -v[1:2]
	scratch_store_b128 off, v[1:4], off
	s_cbranch_vccz .LBB16_149
; %bb.116:
	v_dual_mov_b32 v1, s16 :: v_dual_mov_b32 v2, s17
	s_load_b64 s[0:1], s[0:1], 0x4
	flat_load_b32 v1, v[1:2] offset:60
	v_bfe_u32 v2, v0, 10, 10
	v_bfe_u32 v0, v0, 20, 10
	s_waitcnt lgkmcnt(0)
	s_lshr_b32 s0, s0, 16
	s_delay_alu instid0(VALU_DEP_2) | instskip(SKIP_1) | instid1(SALU_CYCLE_1)
	v_mul_u32_u24_e32 v2, s1, v2
	s_mul_i32 s0, s0, s1
	v_mul_u32_u24_e32 v3, s0, v47
	s_mov_b32 s0, exec_lo
	s_delay_alu instid0(VALU_DEP_1) | instskip(NEXT) | instid1(VALU_DEP_1)
	v_add3_u32 v0, v3, v2, v0
	v_lshl_add_u32 v0, v0, 4, 0x228
	s_waitcnt vmcnt(0)
	v_cmpx_ne_u32_e32 16, v1
	s_cbranch_execz .LBB16_118
; %bb.117:
	v_lshl_add_u32 v9, v1, 4, 0
	s_clause 0x1
	scratch_load_b128 v[1:4], v63, off
	scratch_load_b128 v[5:8], v9, off offset:-16
	s_waitcnt vmcnt(1)
	ds_store_2addr_b64 v0, v[1:2], v[3:4] offset1:1
	s_waitcnt vmcnt(0)
	s_clause 0x1
	scratch_store_b128 v63, v[5:8], off
	scratch_store_b128 v9, v[1:4], off offset:-16
.LBB16_118:
	s_or_b32 exec_lo, exec_lo, s0
	v_dual_mov_b32 v1, s16 :: v_dual_mov_b32 v2, s17
	s_mov_b32 s0, exec_lo
	flat_load_b32 v1, v[1:2] offset:56
	s_waitcnt vmcnt(0) lgkmcnt(0)
	v_cmpx_ne_u32_e32 15, v1
	s_cbranch_execz .LBB16_120
; %bb.119:
	v_lshl_add_u32 v9, v1, 4, 0
	s_clause 0x1
	scratch_load_b128 v[1:4], v62, off
	scratch_load_b128 v[5:8], v9, off offset:-16
	s_waitcnt vmcnt(1)
	ds_store_2addr_b64 v0, v[1:2], v[3:4] offset1:1
	s_waitcnt vmcnt(0)
	s_clause 0x1
	scratch_store_b128 v62, v[5:8], off
	scratch_store_b128 v9, v[1:4], off offset:-16
.LBB16_120:
	s_or_b32 exec_lo, exec_lo, s0
	v_dual_mov_b32 v1, s16 :: v_dual_mov_b32 v2, s17
	s_mov_b32 s0, exec_lo
	flat_load_b32 v1, v[1:2] offset:52
	s_waitcnt vmcnt(0) lgkmcnt(0)
	;; [unrolled: 19-line block ×14, first 2 shown]
	v_cmpx_ne_u32_e32 2, v1
	s_cbranch_execz .LBB16_146
; %bb.145:
	v_lshl_add_u32 v9, v1, 4, 0
	s_clause 0x1
	scratch_load_b128 v[1:4], v52, off
	scratch_load_b128 v[5:8], v9, off offset:-16
	s_waitcnt vmcnt(1)
	ds_store_2addr_b64 v0, v[1:2], v[3:4] offset1:1
	s_waitcnt vmcnt(0)
	s_clause 0x1
	scratch_store_b128 v52, v[5:8], off
	scratch_store_b128 v9, v[1:4], off offset:-16
.LBB16_146:
	s_or_b32 exec_lo, exec_lo, s0
	v_dual_mov_b32 v1, s16 :: v_dual_mov_b32 v2, s17
	s_mov_b32 s0, exec_lo
	flat_load_b32 v1, v[1:2]
	s_waitcnt vmcnt(0) lgkmcnt(0)
	v_cmpx_ne_u32_e32 1, v1
	s_cbranch_execz .LBB16_148
; %bb.147:
	v_lshl_add_u32 v9, v1, 4, 0
	scratch_load_b128 v[1:4], off, off
	scratch_load_b128 v[5:8], v9, off offset:-16
	s_waitcnt vmcnt(1)
	ds_store_2addr_b64 v0, v[1:2], v[3:4] offset1:1
	s_waitcnt vmcnt(0)
	scratch_store_b128 off, v[5:8], off
	scratch_store_b128 v9, v[1:4], off offset:-16
.LBB16_148:
	s_or_b32 exec_lo, exec_lo, s0
.LBB16_149:
	scratch_load_b128 v[0:3], off, off
	s_clause 0xf
	scratch_load_b128 v[4:7], v52, off
	scratch_load_b128 v[8:11], v51, off
	;; [unrolled: 1-line block ×16, first 2 shown]
	s_waitcnt vmcnt(16)
	global_store_b128 v[13:14], v[0:3], off
	s_waitcnt vmcnt(15)
	global_store_b128 v[15:16], v[4:7], off
	;; [unrolled: 2-line block ×17, first 2 shown]
	s_endpgm
	.section	.rodata,"a",@progbits
	.p2align	6, 0x0
	.amdhsa_kernel _ZN9rocsolver6v33100L18getri_kernel_smallILi17E19rocblas_complex_numIdEPS3_EEvT1_iilPiilS6_bb
		.amdhsa_group_segment_fixed_size 1576
		.amdhsa_private_segment_fixed_size 288
		.amdhsa_kernarg_size 60
		.amdhsa_user_sgpr_count 15
		.amdhsa_user_sgpr_dispatch_ptr 1
		.amdhsa_user_sgpr_queue_ptr 0
		.amdhsa_user_sgpr_kernarg_segment_ptr 1
		.amdhsa_user_sgpr_dispatch_id 0
		.amdhsa_user_sgpr_private_segment_size 0
		.amdhsa_wavefront_size32 1
		.amdhsa_uses_dynamic_stack 0
		.amdhsa_enable_private_segment 1
		.amdhsa_system_sgpr_workgroup_id_x 1
		.amdhsa_system_sgpr_workgroup_id_y 0
		.amdhsa_system_sgpr_workgroup_id_z 0
		.amdhsa_system_sgpr_workgroup_info 0
		.amdhsa_system_vgpr_workitem_id 2
		.amdhsa_next_free_vgpr 122
		.amdhsa_next_free_sgpr 22
		.amdhsa_reserve_vcc 1
		.amdhsa_float_round_mode_32 0
		.amdhsa_float_round_mode_16_64 0
		.amdhsa_float_denorm_mode_32 3
		.amdhsa_float_denorm_mode_16_64 3
		.amdhsa_dx10_clamp 1
		.amdhsa_ieee_mode 1
		.amdhsa_fp16_overflow 0
		.amdhsa_workgroup_processor_mode 1
		.amdhsa_memory_ordered 1
		.amdhsa_forward_progress 0
		.amdhsa_shared_vgpr_count 0
		.amdhsa_exception_fp_ieee_invalid_op 0
		.amdhsa_exception_fp_denorm_src 0
		.amdhsa_exception_fp_ieee_div_zero 0
		.amdhsa_exception_fp_ieee_overflow 0
		.amdhsa_exception_fp_ieee_underflow 0
		.amdhsa_exception_fp_ieee_inexact 0
		.amdhsa_exception_int_div_zero 0
	.end_amdhsa_kernel
	.section	.text._ZN9rocsolver6v33100L18getri_kernel_smallILi17E19rocblas_complex_numIdEPS3_EEvT1_iilPiilS6_bb,"axG",@progbits,_ZN9rocsolver6v33100L18getri_kernel_smallILi17E19rocblas_complex_numIdEPS3_EEvT1_iilPiilS6_bb,comdat
.Lfunc_end16:
	.size	_ZN9rocsolver6v33100L18getri_kernel_smallILi17E19rocblas_complex_numIdEPS3_EEvT1_iilPiilS6_bb, .Lfunc_end16-_ZN9rocsolver6v33100L18getri_kernel_smallILi17E19rocblas_complex_numIdEPS3_EEvT1_iilPiilS6_bb
                                        ; -- End function
	.section	.AMDGPU.csdata,"",@progbits
; Kernel info:
; codeLenInByte = 20200
; NumSgprs: 24
; NumVgprs: 122
; ScratchSize: 288
; MemoryBound: 0
; FloatMode: 240
; IeeeMode: 1
; LDSByteSize: 1576 bytes/workgroup (compile time only)
; SGPRBlocks: 2
; VGPRBlocks: 15
; NumSGPRsForWavesPerEU: 24
; NumVGPRsForWavesPerEU: 122
; Occupancy: 10
; WaveLimiterHint : 1
; COMPUTE_PGM_RSRC2:SCRATCH_EN: 1
; COMPUTE_PGM_RSRC2:USER_SGPR: 15
; COMPUTE_PGM_RSRC2:TRAP_HANDLER: 0
; COMPUTE_PGM_RSRC2:TGID_X_EN: 1
; COMPUTE_PGM_RSRC2:TGID_Y_EN: 0
; COMPUTE_PGM_RSRC2:TGID_Z_EN: 0
; COMPUTE_PGM_RSRC2:TIDIG_COMP_CNT: 2
	.section	.text._ZN9rocsolver6v33100L18getri_kernel_smallILi18E19rocblas_complex_numIdEPS3_EEvT1_iilPiilS6_bb,"axG",@progbits,_ZN9rocsolver6v33100L18getri_kernel_smallILi18E19rocblas_complex_numIdEPS3_EEvT1_iilPiilS6_bb,comdat
	.globl	_ZN9rocsolver6v33100L18getri_kernel_smallILi18E19rocblas_complex_numIdEPS3_EEvT1_iilPiilS6_bb ; -- Begin function _ZN9rocsolver6v33100L18getri_kernel_smallILi18E19rocblas_complex_numIdEPS3_EEvT1_iilPiilS6_bb
	.p2align	8
	.type	_ZN9rocsolver6v33100L18getri_kernel_smallILi18E19rocblas_complex_numIdEPS3_EEvT1_iilPiilS6_bb,@function
_ZN9rocsolver6v33100L18getri_kernel_smallILi18E19rocblas_complex_numIdEPS3_EEvT1_iilPiilS6_bb: ; @_ZN9rocsolver6v33100L18getri_kernel_smallILi18E19rocblas_complex_numIdEPS3_EEvT1_iilPiilS6_bb
; %bb.0:
	v_and_b32_e32 v49, 0x3ff, v0
	s_mov_b32 s4, exec_lo
	s_delay_alu instid0(VALU_DEP_1)
	v_cmpx_gt_u32_e32 18, v49
	s_cbranch_execz .LBB17_86
; %bb.1:
	s_mov_b32 s18, s15
	s_clause 0x2
	s_load_b32 s21, s[2:3], 0x38
	s_load_b128 s[12:15], s[2:3], 0x10
	s_load_b128 s[4:7], s[2:3], 0x28
                                        ; implicit-def: $sgpr16_sgpr17
	s_waitcnt lgkmcnt(0)
	s_bitcmp1_b32 s21, 8
	s_cselect_b32 s20, -1, 0
	s_bfe_u32 s8, s21, 0x10008
	s_ashr_i32 s19, s18, 31
	s_cmp_eq_u32 s8, 0
	s_cbranch_scc1 .LBB17_3
; %bb.2:
	s_load_b32 s8, s[2:3], 0x20
	s_mul_i32 s5, s18, s5
	s_mul_hi_u32 s9, s18, s4
	s_mul_i32 s10, s19, s4
	s_add_i32 s5, s9, s5
	s_mul_i32 s4, s18, s4
	s_add_i32 s5, s5, s10
	s_delay_alu instid0(SALU_CYCLE_1)
	s_lshl_b64 s[4:5], s[4:5], 2
	s_waitcnt lgkmcnt(0)
	s_ashr_i32 s9, s8, 31
	s_add_u32 s10, s14, s4
	s_addc_u32 s11, s15, s5
	s_lshl_b64 s[4:5], s[8:9], 2
	s_delay_alu instid0(SALU_CYCLE_1)
	s_add_u32 s16, s10, s4
	s_addc_u32 s17, s11, s5
.LBB17_3:
	s_load_b128 s[8:11], s[2:3], 0x0
	s_mul_i32 s2, s18, s13
	s_mul_hi_u32 s3, s18, s12
	s_mul_i32 s4, s19, s12
	s_add_i32 s3, s3, s2
	s_mul_i32 s2, s18, s12
	s_add_i32 s3, s3, s4
	v_lshlrev_b32_e32 v67, 4, v49
	s_lshl_b64 s[2:3], s[2:3], 4
	v_add_nc_u32_e64 v54, 0, 16
	s_waitcnt lgkmcnt(0)
	v_add3_u32 v5, s11, s11, v49
	s_ashr_i32 s5, s10, 31
	s_mov_b32 s4, s10
	s_add_u32 s8, s8, s2
	s_addc_u32 s9, s9, s3
	v_add_nc_u32_e32 v7, s11, v5
	s_lshl_b64 s[2:3], s[4:5], 4
	v_ashrrev_i32_e32 v6, 31, v5
	s_add_u32 s2, s8, s2
	s_addc_u32 s3, s9, s3
	v_add_nc_u32_e32 v9, s11, v7
	v_add_co_u32 v13, s8, s2, v67
	v_ashrrev_i32_e32 v8, 31, v7
	s_mov_b32 s4, s11
	s_delay_alu instid0(VALU_DEP_3) | instskip(SKIP_3) | instid1(VALU_DEP_3)
	v_add_nc_u32_e32 v23, s11, v9
	s_ashr_i32 s5, s11, 31
	v_add_co_ci_u32_e64 v14, null, s3, 0, s8
	v_lshlrev_b64 v[5:6], 4, v[5:6]
	v_add_nc_u32_e32 v25, s11, v23
	s_lshl_b64 s[4:5], s[4:5], 4
	v_ashrrev_i32_e32 v10, 31, v9
	v_add_co_u32 v15, vcc_lo, v13, s4
	s_delay_alu instid0(VALU_DEP_3) | instskip(SKIP_3) | instid1(VALU_DEP_4)
	v_add_nc_u32_e32 v27, s11, v25
	v_lshlrev_b64 v[7:8], 4, v[7:8]
	v_ashrrev_i32_e32 v24, 31, v23
	v_add_co_ci_u32_e32 v16, vcc_lo, s5, v14, vcc_lo
	v_add_nc_u32_e32 v29, s11, v27
	v_add_co_u32 v17, vcc_lo, s2, v5
	v_lshlrev_b64 v[21:22], 4, v[9:10]
	v_ashrrev_i32_e32 v26, 31, v25
	s_delay_alu instid0(VALU_DEP_4) | instskip(SKIP_2) | instid1(VALU_DEP_3)
	v_add_nc_u32_e32 v31, s11, v29
	v_add_co_ci_u32_e32 v18, vcc_lo, s3, v6, vcc_lo
	v_add_co_u32 v19, vcc_lo, s2, v7
	v_add_nc_u32_e32 v33, s11, v31
	v_lshlrev_b64 v[23:24], 4, v[23:24]
	v_ashrrev_i32_e32 v28, 31, v27
	v_add_co_ci_u32_e32 v20, vcc_lo, s3, v8, vcc_lo
	s_delay_alu instid0(VALU_DEP_4) | instskip(SKIP_3) | instid1(VALU_DEP_4)
	v_add_nc_u32_e32 v35, s11, v33
	v_add_co_u32 v21, vcc_lo, s2, v21
	v_lshlrev_b64 v[25:26], 4, v[25:26]
	v_ashrrev_i32_e32 v30, 31, v29
	v_add_nc_u32_e32 v37, s11, v35
	v_add_co_ci_u32_e32 v22, vcc_lo, s3, v22, vcc_lo
	v_add_co_u32 v23, vcc_lo, s2, v23
	s_delay_alu instid0(VALU_DEP_3) | instskip(SKIP_3) | instid1(VALU_DEP_4)
	v_add_nc_u32_e32 v39, s11, v37
	v_lshlrev_b64 v[27:28], 4, v[27:28]
	v_ashrrev_i32_e32 v32, 31, v31
	v_add_co_ci_u32_e32 v24, vcc_lo, s3, v24, vcc_lo
	v_add_nc_u32_e32 v41, s11, v39
	v_add_co_u32 v25, vcc_lo, s2, v25
	v_lshlrev_b64 v[29:30], 4, v[29:30]
	v_ashrrev_i32_e32 v34, 31, v33
	s_delay_alu instid0(VALU_DEP_4)
	v_add_nc_u32_e32 v43, s11, v41
	v_add_co_ci_u32_e32 v26, vcc_lo, s3, v26, vcc_lo
	v_add_co_u32 v27, vcc_lo, s2, v27
	v_lshlrev_b64 v[31:32], 4, v[31:32]
	v_ashrrev_i32_e32 v36, 31, v35
	v_add_nc_u32_e32 v45, s11, v43
	v_add_co_ci_u32_e32 v28, vcc_lo, s3, v28, vcc_lo
	v_add_co_u32 v29, vcc_lo, s2, v29
	v_lshlrev_b64 v[33:34], 4, v[33:34]
	v_ashrrev_i32_e32 v38, 31, v37
	v_add_co_ci_u32_e32 v30, vcc_lo, s3, v30, vcc_lo
	v_add_co_u32 v31, vcc_lo, s2, v31
	v_lshlrev_b64 v[35:36], 4, v[35:36]
	v_add_nc_u32_e32 v46, s11, v45
	v_ashrrev_i32_e32 v40, 31, v39
	v_add_co_ci_u32_e32 v32, vcc_lo, s3, v32, vcc_lo
	v_add_co_u32 v33, vcc_lo, s2, v33
	v_lshlrev_b64 v[37:38], 4, v[37:38]
	v_ashrrev_i32_e32 v42, 31, v41
	v_add_co_ci_u32_e32 v34, vcc_lo, s3, v34, vcc_lo
	v_ashrrev_i32_e32 v47, 31, v46
	v_add_co_u32 v35, vcc_lo, s2, v35
	v_lshlrev_b64 v[39:40], 4, v[39:40]
	v_ashrrev_i32_e32 v44, 31, v43
	v_add_co_ci_u32_e32 v36, vcc_lo, s3, v36, vcc_lo
	v_add_co_u32 v37, vcc_lo, s2, v37
	v_lshlrev_b64 v[41:42], 4, v[41:42]
	v_lshlrev_b64 v[47:48], 4, v[46:47]
	v_ashrrev_i32_e32 v46, 31, v45
	v_add_co_ci_u32_e32 v38, vcc_lo, s3, v38, vcc_lo
	v_add_co_u32 v39, vcc_lo, s2, v39
	v_lshlrev_b64 v[43:44], 4, v[43:44]
	s_clause 0x4
	global_load_b128 v[1:4], v67, s[2:3]
	global_load_b128 v[5:8], v[15:16], off
	global_load_b128 v[9:12], v[17:18], off
	;; [unrolled: 1-line block ×4, first 2 shown]
	v_add_co_ci_u32_e32 v40, vcc_lo, s3, v40, vcc_lo
	v_add_co_u32 v41, vcc_lo, s2, v41
	v_lshlrev_b64 v[45:46], 4, v[45:46]
	s_clause 0x1
	global_load_b128 v[59:62], v[23:24], off
	global_load_b128 v[63:66], v[25:26], off
	v_add_co_ci_u32_e32 v42, vcc_lo, s3, v42, vcc_lo
	v_add_co_u32 v43, vcc_lo, s2, v43
	v_add_co_ci_u32_e32 v44, vcc_lo, s3, v44, vcc_lo
	v_add_co_u32 v45, vcc_lo, s2, v45
	v_add_co_ci_u32_e32 v46, vcc_lo, s3, v46, vcc_lo
	s_clause 0x1
	global_load_b128 v[68:71], v[27:28], off
	global_load_b128 v[72:75], v[29:30], off
	v_add_co_u32 v47, vcc_lo, s2, v47
	v_add_co_ci_u32_e32 v48, vcc_lo, s3, v48, vcc_lo
	s_clause 0x8
	global_load_b128 v[76:79], v[31:32], off
	global_load_b128 v[80:83], v[33:34], off
	;; [unrolled: 1-line block ×9, first 2 shown]
	s_movk_i32 s2, 0x50
	s_movk_i32 s3, 0x60
	s_bitcmp0_b32 s21, 0
	s_waitcnt vmcnt(17)
	scratch_store_b128 off, v[1:4], off
	s_waitcnt vmcnt(16)
	scratch_store_b128 off, v[5:8], off offset:16
	s_waitcnt vmcnt(15)
	scratch_store_b128 off, v[9:12], off offset:32
	;; [unrolled: 2-line block ×3, first 2 shown]
	v_add_nc_u32_e64 v52, s2, 0
	s_movk_i32 s2, 0x70
	s_waitcnt vmcnt(13)
	scratch_store_b128 off, v[55:58], off offset:64
	s_waitcnt vmcnt(12)
	scratch_store_b128 off, v[59:62], off offset:80
	v_add_nc_u32_e64 v56, s3, 0
	v_add_nc_u32_e64 v55, s2, 0
	s_movk_i32 s2, 0x80
	s_movk_i32 s3, 0x90
	v_add_nc_u32_e64 v58, s2, 0
	v_add_nc_u32_e64 v57, s3, 0
	s_movk_i32 s2, 0xa0
	s_movk_i32 s3, 0xb0
	;; [unrolled: 4-line block ×4, first 2 shown]
	s_waitcnt vmcnt(11)
	scratch_store_b128 off, v[63:66], off offset:96
	s_waitcnt vmcnt(10)
	scratch_store_b128 off, v[68:71], off offset:112
	v_add_nc_u32_e64 v64, s2, 0
	v_add_nc_u32_e64 v63, s3, 0
	s_movk_i32 s2, 0x100
	s_movk_i32 s3, 0x110
	v_add_nc_u32_e64 v51, 0, 32
	v_add_nc_u32_e64 v53, 0, 48
	;; [unrolled: 1-line block ×5, first 2 shown]
	s_mov_b32 s3, -1
	s_waitcnt vmcnt(9)
	scratch_store_b128 off, v[72:75], off offset:128
	s_waitcnt vmcnt(8)
	scratch_store_b128 off, v[76:79], off offset:144
	s_waitcnt vmcnt(7)
	scratch_store_b128 off, v[80:83], off offset:160
	s_waitcnt vmcnt(6)
	scratch_store_b128 off, v[84:87], off offset:176
	s_waitcnt vmcnt(5)
	scratch_store_b128 off, v[88:91], off offset:192
	s_waitcnt vmcnt(4)
	scratch_store_b128 off, v[92:95], off offset:208
	s_waitcnt vmcnt(3)
	scratch_store_b128 off, v[96:99], off offset:224
	s_waitcnt vmcnt(2)
	scratch_store_b128 off, v[100:103], off offset:240
	s_waitcnt vmcnt(1)
	scratch_store_b128 off, v[104:107], off offset:256
	s_waitcnt vmcnt(0)
	scratch_store_b128 off, v[108:111], off offset:272
	s_cbranch_scc1 .LBB17_84
; %bb.4:
	v_cmp_eq_u32_e64 s2, 0, v49
	s_delay_alu instid0(VALU_DEP_1)
	s_and_saveexec_b32 s3, s2
	s_cbranch_execz .LBB17_6
; %bb.5:
	v_mov_b32_e32 v1, 0
	ds_store_b32 v1, v1 offset:576
.LBB17_6:
	s_or_b32 exec_lo, exec_lo, s3
	s_waitcnt lgkmcnt(0)
	s_waitcnt_vscnt null, 0x0
	s_barrier
	buffer_gl0_inv
	scratch_load_b128 v[1:4], v67, off
	s_waitcnt vmcnt(0)
	v_cmp_eq_f64_e32 vcc_lo, 0, v[1:2]
	v_cmp_eq_f64_e64 s3, 0, v[3:4]
	s_delay_alu instid0(VALU_DEP_1) | instskip(NEXT) | instid1(SALU_CYCLE_1)
	s_and_b32 s3, vcc_lo, s3
	s_and_saveexec_b32 s4, s3
	s_cbranch_execz .LBB17_10
; %bb.7:
	v_mov_b32_e32 v1, 0
	s_mov_b32 s5, 0
	ds_load_b32 v2, v1 offset:576
	s_waitcnt lgkmcnt(0)
	v_readfirstlane_b32 s3, v2
	v_add_nc_u32_e32 v2, 1, v49
	s_delay_alu instid0(VALU_DEP_2) | instskip(NEXT) | instid1(VALU_DEP_1)
	s_cmp_eq_u32 s3, 0
	v_cmp_gt_i32_e32 vcc_lo, s3, v2
	s_cselect_b32 s8, -1, 0
	s_delay_alu instid0(SALU_CYCLE_1) | instskip(NEXT) | instid1(SALU_CYCLE_1)
	s_or_b32 s8, s8, vcc_lo
	s_and_b32 exec_lo, exec_lo, s8
	s_cbranch_execz .LBB17_10
; %bb.8:
	v_mov_b32_e32 v3, s3
.LBB17_9:                               ; =>This Inner Loop Header: Depth=1
	ds_cmpstore_rtn_b32 v3, v1, v2, v3 offset:576
	s_waitcnt lgkmcnt(0)
	v_cmp_ne_u32_e32 vcc_lo, 0, v3
	v_cmp_le_i32_e64 s3, v3, v2
	s_delay_alu instid0(VALU_DEP_1) | instskip(NEXT) | instid1(SALU_CYCLE_1)
	s_and_b32 s3, vcc_lo, s3
	s_and_b32 s3, exec_lo, s3
	s_delay_alu instid0(SALU_CYCLE_1) | instskip(NEXT) | instid1(SALU_CYCLE_1)
	s_or_b32 s5, s3, s5
	s_and_not1_b32 exec_lo, exec_lo, s5
	s_cbranch_execnz .LBB17_9
.LBB17_10:
	s_or_b32 exec_lo, exec_lo, s4
	v_mov_b32_e32 v1, 0
	s_barrier
	buffer_gl0_inv
	ds_load_b32 v2, v1 offset:576
	s_and_saveexec_b32 s3, s2
	s_cbranch_execz .LBB17_12
; %bb.11:
	s_lshl_b64 s[4:5], s[18:19], 2
	s_delay_alu instid0(SALU_CYCLE_1)
	s_add_u32 s4, s6, s4
	s_addc_u32 s5, s7, s5
	s_waitcnt lgkmcnt(0)
	global_store_b32 v1, v2, s[4:5]
.LBB17_12:
	s_or_b32 exec_lo, exec_lo, s3
	s_waitcnt lgkmcnt(0)
	v_cmp_ne_u32_e32 vcc_lo, 0, v2
	s_mov_b32 s3, 0
	s_cbranch_vccnz .LBB17_84
; %bb.13:
	v_add_nc_u32_e32 v68, 0, v67
                                        ; implicit-def: $vgpr9_vgpr10
	scratch_load_b128 v[1:4], v68, off
	s_waitcnt vmcnt(0)
	v_mov_b32_e32 v5, v1
	v_cmp_gt_f64_e32 vcc_lo, 0, v[1:2]
	v_xor_b32_e32 v6, 0x80000000, v2
	v_xor_b32_e32 v7, 0x80000000, v4
	s_delay_alu instid0(VALU_DEP_2) | instskip(SKIP_1) | instid1(VALU_DEP_3)
	v_cndmask_b32_e32 v6, v2, v6, vcc_lo
	v_cmp_gt_f64_e32 vcc_lo, 0, v[3:4]
	v_dual_cndmask_b32 v8, v4, v7 :: v_dual_mov_b32 v7, v3
	s_delay_alu instid0(VALU_DEP_1) | instskip(SKIP_1) | instid1(SALU_CYCLE_1)
	v_cmp_ngt_f64_e32 vcc_lo, v[5:6], v[7:8]
                                        ; implicit-def: $vgpr5_vgpr6
	s_and_saveexec_b32 s3, vcc_lo
	s_xor_b32 s3, exec_lo, s3
	s_cbranch_execz .LBB17_15
; %bb.14:
	v_div_scale_f64 v[5:6], null, v[3:4], v[3:4], v[1:2]
	v_div_scale_f64 v[11:12], vcc_lo, v[1:2], v[3:4], v[1:2]
	s_delay_alu instid0(VALU_DEP_2) | instskip(SKIP_2) | instid1(VALU_DEP_1)
	v_rcp_f64_e32 v[7:8], v[5:6]
	s_waitcnt_depctr 0xfff
	v_fma_f64 v[9:10], -v[5:6], v[7:8], 1.0
	v_fma_f64 v[7:8], v[7:8], v[9:10], v[7:8]
	s_delay_alu instid0(VALU_DEP_1) | instskip(NEXT) | instid1(VALU_DEP_1)
	v_fma_f64 v[9:10], -v[5:6], v[7:8], 1.0
	v_fma_f64 v[7:8], v[7:8], v[9:10], v[7:8]
	s_delay_alu instid0(VALU_DEP_1) | instskip(NEXT) | instid1(VALU_DEP_1)
	v_mul_f64 v[9:10], v[11:12], v[7:8]
	v_fma_f64 v[5:6], -v[5:6], v[9:10], v[11:12]
	s_delay_alu instid0(VALU_DEP_1) | instskip(NEXT) | instid1(VALU_DEP_1)
	v_div_fmas_f64 v[5:6], v[5:6], v[7:8], v[9:10]
	v_div_fixup_f64 v[5:6], v[5:6], v[3:4], v[1:2]
	s_delay_alu instid0(VALU_DEP_1) | instskip(NEXT) | instid1(VALU_DEP_1)
	v_fma_f64 v[1:2], v[1:2], v[5:6], v[3:4]
	v_div_scale_f64 v[3:4], null, v[1:2], v[1:2], 1.0
	v_div_scale_f64 v[11:12], vcc_lo, 1.0, v[1:2], 1.0
	s_delay_alu instid0(VALU_DEP_2) | instskip(SKIP_2) | instid1(VALU_DEP_1)
	v_rcp_f64_e32 v[7:8], v[3:4]
	s_waitcnt_depctr 0xfff
	v_fma_f64 v[9:10], -v[3:4], v[7:8], 1.0
	v_fma_f64 v[7:8], v[7:8], v[9:10], v[7:8]
	s_delay_alu instid0(VALU_DEP_1) | instskip(NEXT) | instid1(VALU_DEP_1)
	v_fma_f64 v[9:10], -v[3:4], v[7:8], 1.0
	v_fma_f64 v[7:8], v[7:8], v[9:10], v[7:8]
	s_delay_alu instid0(VALU_DEP_1) | instskip(NEXT) | instid1(VALU_DEP_1)
	v_mul_f64 v[9:10], v[11:12], v[7:8]
	v_fma_f64 v[3:4], -v[3:4], v[9:10], v[11:12]
	s_delay_alu instid0(VALU_DEP_1) | instskip(NEXT) | instid1(VALU_DEP_1)
	v_div_fmas_f64 v[3:4], v[3:4], v[7:8], v[9:10]
	v_div_fixup_f64 v[7:8], v[3:4], v[1:2], 1.0
                                        ; implicit-def: $vgpr1_vgpr2
	s_delay_alu instid0(VALU_DEP_1) | instskip(SKIP_1) | instid1(VALU_DEP_2)
	v_mul_f64 v[5:6], v[5:6], v[7:8]
	v_xor_b32_e32 v8, 0x80000000, v8
	v_xor_b32_e32 v10, 0x80000000, v6
	s_delay_alu instid0(VALU_DEP_3)
	v_mov_b32_e32 v9, v5
.LBB17_15:
	s_and_not1_saveexec_b32 s3, s3
	s_cbranch_execz .LBB17_17
; %bb.16:
	v_div_scale_f64 v[5:6], null, v[1:2], v[1:2], v[3:4]
	v_div_scale_f64 v[11:12], vcc_lo, v[3:4], v[1:2], v[3:4]
	s_delay_alu instid0(VALU_DEP_2) | instskip(SKIP_2) | instid1(VALU_DEP_1)
	v_rcp_f64_e32 v[7:8], v[5:6]
	s_waitcnt_depctr 0xfff
	v_fma_f64 v[9:10], -v[5:6], v[7:8], 1.0
	v_fma_f64 v[7:8], v[7:8], v[9:10], v[7:8]
	s_delay_alu instid0(VALU_DEP_1) | instskip(NEXT) | instid1(VALU_DEP_1)
	v_fma_f64 v[9:10], -v[5:6], v[7:8], 1.0
	v_fma_f64 v[7:8], v[7:8], v[9:10], v[7:8]
	s_delay_alu instid0(VALU_DEP_1) | instskip(NEXT) | instid1(VALU_DEP_1)
	v_mul_f64 v[9:10], v[11:12], v[7:8]
	v_fma_f64 v[5:6], -v[5:6], v[9:10], v[11:12]
	s_delay_alu instid0(VALU_DEP_1) | instskip(NEXT) | instid1(VALU_DEP_1)
	v_div_fmas_f64 v[5:6], v[5:6], v[7:8], v[9:10]
	v_div_fixup_f64 v[7:8], v[5:6], v[1:2], v[3:4]
	s_delay_alu instid0(VALU_DEP_1) | instskip(NEXT) | instid1(VALU_DEP_1)
	v_fma_f64 v[1:2], v[3:4], v[7:8], v[1:2]
	v_div_scale_f64 v[3:4], null, v[1:2], v[1:2], 1.0
	s_delay_alu instid0(VALU_DEP_1) | instskip(SKIP_2) | instid1(VALU_DEP_1)
	v_rcp_f64_e32 v[5:6], v[3:4]
	s_waitcnt_depctr 0xfff
	v_fma_f64 v[9:10], -v[3:4], v[5:6], 1.0
	v_fma_f64 v[5:6], v[5:6], v[9:10], v[5:6]
	s_delay_alu instid0(VALU_DEP_1) | instskip(NEXT) | instid1(VALU_DEP_1)
	v_fma_f64 v[9:10], -v[3:4], v[5:6], 1.0
	v_fma_f64 v[5:6], v[5:6], v[9:10], v[5:6]
	v_div_scale_f64 v[9:10], vcc_lo, 1.0, v[1:2], 1.0
	s_delay_alu instid0(VALU_DEP_1) | instskip(NEXT) | instid1(VALU_DEP_1)
	v_mul_f64 v[11:12], v[9:10], v[5:6]
	v_fma_f64 v[3:4], -v[3:4], v[11:12], v[9:10]
	s_delay_alu instid0(VALU_DEP_1) | instskip(NEXT) | instid1(VALU_DEP_1)
	v_div_fmas_f64 v[3:4], v[3:4], v[5:6], v[11:12]
	v_div_fixup_f64 v[5:6], v[3:4], v[1:2], 1.0
	s_delay_alu instid0(VALU_DEP_1)
	v_mul_f64 v[7:8], v[7:8], -v[5:6]
	v_xor_b32_e32 v10, 0x80000000, v6
	v_mov_b32_e32 v9, v5
.LBB17_17:
	s_or_b32 exec_lo, exec_lo, s3
	scratch_store_b128 v68, v[5:8], off
	scratch_load_b128 v[1:4], v54, off
	v_xor_b32_e32 v12, 0x80000000, v8
	v_mov_b32_e32 v11, v7
	v_add_nc_u32_e32 v5, 0x120, v67
	ds_store_b128 v67, v[9:12]
	s_waitcnt vmcnt(0)
	ds_store_b128 v67, v[1:4] offset:288
	s_waitcnt lgkmcnt(0)
	s_waitcnt_vscnt null, 0x0
	s_barrier
	buffer_gl0_inv
	s_and_saveexec_b32 s3, s2
	s_cbranch_execz .LBB17_19
; %bb.18:
	scratch_load_b128 v[1:4], v68, off
	ds_load_b128 v[6:9], v5
	v_mov_b32_e32 v10, 0
	ds_load_b128 v[69:72], v10 offset:16
	s_waitcnt vmcnt(0) lgkmcnt(1)
	v_mul_f64 v[10:11], v[6:7], v[3:4]
	v_mul_f64 v[3:4], v[8:9], v[3:4]
	s_delay_alu instid0(VALU_DEP_2) | instskip(NEXT) | instid1(VALU_DEP_2)
	v_fma_f64 v[8:9], v[8:9], v[1:2], v[10:11]
	v_fma_f64 v[1:2], v[6:7], v[1:2], -v[3:4]
	s_delay_alu instid0(VALU_DEP_2) | instskip(NEXT) | instid1(VALU_DEP_2)
	v_add_f64 v[3:4], v[8:9], 0
	v_add_f64 v[1:2], v[1:2], 0
	s_waitcnt lgkmcnt(0)
	s_delay_alu instid0(VALU_DEP_2) | instskip(NEXT) | instid1(VALU_DEP_2)
	v_mul_f64 v[6:7], v[3:4], v[71:72]
	v_mul_f64 v[8:9], v[1:2], v[71:72]
	s_delay_alu instid0(VALU_DEP_2) | instskip(NEXT) | instid1(VALU_DEP_2)
	v_fma_f64 v[1:2], v[1:2], v[69:70], -v[6:7]
	v_fma_f64 v[3:4], v[3:4], v[69:70], v[8:9]
	scratch_store_b128 off, v[1:4], off offset:16
.LBB17_19:
	s_or_b32 exec_lo, exec_lo, s3
	s_waitcnt_vscnt null, 0x0
	s_barrier
	buffer_gl0_inv
	scratch_load_b128 v[1:4], v51, off
	s_mov_b32 s3, exec_lo
	s_waitcnt vmcnt(0)
	ds_store_b128 v5, v[1:4]
	s_waitcnt lgkmcnt(0)
	s_barrier
	buffer_gl0_inv
	v_cmpx_gt_u32_e32 2, v49
	s_cbranch_execz .LBB17_23
; %bb.20:
	scratch_load_b128 v[1:4], v68, off
	ds_load_b128 v[6:9], v5
	s_waitcnt vmcnt(0) lgkmcnt(0)
	v_mul_f64 v[10:11], v[8:9], v[3:4]
	v_mul_f64 v[3:4], v[6:7], v[3:4]
	s_delay_alu instid0(VALU_DEP_2) | instskip(NEXT) | instid1(VALU_DEP_2)
	v_fma_f64 v[6:7], v[6:7], v[1:2], -v[10:11]
	v_fma_f64 v[3:4], v[8:9], v[1:2], v[3:4]
	s_delay_alu instid0(VALU_DEP_2) | instskip(NEXT) | instid1(VALU_DEP_2)
	v_add_f64 v[1:2], v[6:7], 0
	v_add_f64 v[3:4], v[3:4], 0
	s_and_saveexec_b32 s4, s2
	s_cbranch_execz .LBB17_22
; %bb.21:
	scratch_load_b128 v[6:9], off, off offset:16
	v_mov_b32_e32 v10, 0
	ds_load_b128 v[69:72], v10 offset:304
	s_waitcnt vmcnt(0) lgkmcnt(0)
	v_mul_f64 v[10:11], v[69:70], v[8:9]
	v_mul_f64 v[8:9], v[71:72], v[8:9]
	s_delay_alu instid0(VALU_DEP_2) | instskip(NEXT) | instid1(VALU_DEP_2)
	v_fma_f64 v[10:11], v[71:72], v[6:7], v[10:11]
	v_fma_f64 v[6:7], v[69:70], v[6:7], -v[8:9]
	s_delay_alu instid0(VALU_DEP_2) | instskip(NEXT) | instid1(VALU_DEP_2)
	v_add_f64 v[3:4], v[3:4], v[10:11]
	v_add_f64 v[1:2], v[1:2], v[6:7]
.LBB17_22:
	s_or_b32 exec_lo, exec_lo, s4
	v_mov_b32_e32 v6, 0
	ds_load_b128 v[6:9], v6 offset:32
	s_waitcnt lgkmcnt(0)
	v_mul_f64 v[10:11], v[3:4], v[8:9]
	v_mul_f64 v[8:9], v[1:2], v[8:9]
	s_delay_alu instid0(VALU_DEP_2) | instskip(NEXT) | instid1(VALU_DEP_2)
	v_fma_f64 v[1:2], v[1:2], v[6:7], -v[10:11]
	v_fma_f64 v[3:4], v[3:4], v[6:7], v[8:9]
	scratch_store_b128 off, v[1:4], off offset:32
.LBB17_23:
	s_or_b32 exec_lo, exec_lo, s3
	s_waitcnt_vscnt null, 0x0
	s_barrier
	buffer_gl0_inv
	scratch_load_b128 v[1:4], v53, off
	v_add_nc_u32_e32 v6, -1, v49
	s_mov_b32 s2, exec_lo
	s_waitcnt vmcnt(0)
	ds_store_b128 v5, v[1:4]
	s_waitcnt lgkmcnt(0)
	s_barrier
	buffer_gl0_inv
	v_cmpx_gt_u32_e32 3, v49
	s_cbranch_execz .LBB17_27
; %bb.24:
	v_dual_mov_b32 v1, 0 :: v_dual_add_nc_u32 v8, 0x120, v67
	v_dual_mov_b32 v2, 0 :: v_dual_add_nc_u32 v7, -1, v49
	v_or_b32_e32 v9, 8, v68
	s_mov_b32 s3, 0
	s_delay_alu instid0(VALU_DEP_2)
	v_dual_mov_b32 v4, v2 :: v_dual_mov_b32 v3, v1
	.p2align	6
.LBB17_25:                              ; =>This Inner Loop Header: Depth=1
	scratch_load_b128 v[69:72], v9, off offset:-8
	ds_load_b128 v[73:76], v8
	v_add_nc_u32_e32 v7, 1, v7
	v_add_nc_u32_e32 v8, 16, v8
	v_add_nc_u32_e32 v9, 16, v9
	s_delay_alu instid0(VALU_DEP_3) | instskip(SKIP_4) | instid1(VALU_DEP_2)
	v_cmp_lt_u32_e32 vcc_lo, 1, v7
	s_or_b32 s3, vcc_lo, s3
	s_waitcnt vmcnt(0) lgkmcnt(0)
	v_mul_f64 v[10:11], v[75:76], v[71:72]
	v_mul_f64 v[71:72], v[73:74], v[71:72]
	v_fma_f64 v[10:11], v[73:74], v[69:70], -v[10:11]
	s_delay_alu instid0(VALU_DEP_2) | instskip(NEXT) | instid1(VALU_DEP_2)
	v_fma_f64 v[69:70], v[75:76], v[69:70], v[71:72]
	v_add_f64 v[3:4], v[3:4], v[10:11]
	s_delay_alu instid0(VALU_DEP_2)
	v_add_f64 v[1:2], v[1:2], v[69:70]
	s_and_not1_b32 exec_lo, exec_lo, s3
	s_cbranch_execnz .LBB17_25
; %bb.26:
	s_or_b32 exec_lo, exec_lo, s3
	v_mov_b32_e32 v7, 0
	ds_load_b128 v[7:10], v7 offset:48
	s_waitcnt lgkmcnt(0)
	v_mul_f64 v[11:12], v[1:2], v[9:10]
	v_mul_f64 v[69:70], v[3:4], v[9:10]
	s_delay_alu instid0(VALU_DEP_2) | instskip(NEXT) | instid1(VALU_DEP_2)
	v_fma_f64 v[9:10], v[3:4], v[7:8], -v[11:12]
	v_fma_f64 v[11:12], v[1:2], v[7:8], v[69:70]
	scratch_store_b128 off, v[9:12], off offset:48
.LBB17_27:
	s_or_b32 exec_lo, exec_lo, s2
	s_waitcnt_vscnt null, 0x0
	s_barrier
	buffer_gl0_inv
	scratch_load_b128 v[1:4], v50, off
	s_mov_b32 s2, exec_lo
	s_waitcnt vmcnt(0)
	ds_store_b128 v5, v[1:4]
	s_waitcnt lgkmcnt(0)
	s_barrier
	buffer_gl0_inv
	v_cmpx_gt_u32_e32 4, v49
	s_cbranch_execz .LBB17_31
; %bb.28:
	v_dual_mov_b32 v1, 0 :: v_dual_add_nc_u32 v8, 0x120, v67
	v_dual_mov_b32 v2, 0 :: v_dual_add_nc_u32 v7, -1, v49
	v_or_b32_e32 v9, 8, v68
	s_mov_b32 s3, 0
	s_delay_alu instid0(VALU_DEP_2)
	v_dual_mov_b32 v4, v2 :: v_dual_mov_b32 v3, v1
	.p2align	6
.LBB17_29:                              ; =>This Inner Loop Header: Depth=1
	scratch_load_b128 v[69:72], v9, off offset:-8
	ds_load_b128 v[73:76], v8
	v_add_nc_u32_e32 v7, 1, v7
	v_add_nc_u32_e32 v8, 16, v8
	;; [unrolled: 1-line block ×3, first 2 shown]
	s_delay_alu instid0(VALU_DEP_3) | instskip(SKIP_4) | instid1(VALU_DEP_2)
	v_cmp_lt_u32_e32 vcc_lo, 2, v7
	s_or_b32 s3, vcc_lo, s3
	s_waitcnt vmcnt(0) lgkmcnt(0)
	v_mul_f64 v[10:11], v[75:76], v[71:72]
	v_mul_f64 v[71:72], v[73:74], v[71:72]
	v_fma_f64 v[10:11], v[73:74], v[69:70], -v[10:11]
	s_delay_alu instid0(VALU_DEP_2) | instskip(NEXT) | instid1(VALU_DEP_2)
	v_fma_f64 v[69:70], v[75:76], v[69:70], v[71:72]
	v_add_f64 v[3:4], v[3:4], v[10:11]
	s_delay_alu instid0(VALU_DEP_2)
	v_add_f64 v[1:2], v[1:2], v[69:70]
	s_and_not1_b32 exec_lo, exec_lo, s3
	s_cbranch_execnz .LBB17_29
; %bb.30:
	s_or_b32 exec_lo, exec_lo, s3
	v_mov_b32_e32 v7, 0
	ds_load_b128 v[7:10], v7 offset:64
	s_waitcnt lgkmcnt(0)
	v_mul_f64 v[11:12], v[1:2], v[9:10]
	v_mul_f64 v[69:70], v[3:4], v[9:10]
	s_delay_alu instid0(VALU_DEP_2) | instskip(NEXT) | instid1(VALU_DEP_2)
	v_fma_f64 v[9:10], v[3:4], v[7:8], -v[11:12]
	v_fma_f64 v[11:12], v[1:2], v[7:8], v[69:70]
	scratch_store_b128 off, v[9:12], off offset:64
.LBB17_31:
	s_or_b32 exec_lo, exec_lo, s2
	s_waitcnt_vscnt null, 0x0
	s_barrier
	buffer_gl0_inv
	scratch_load_b128 v[1:4], v52, off
	s_mov_b32 s2, exec_lo
	s_waitcnt vmcnt(0)
	ds_store_b128 v5, v[1:4]
	s_waitcnt lgkmcnt(0)
	s_barrier
	buffer_gl0_inv
	v_cmpx_gt_u32_e32 5, v49
	s_cbranch_execz .LBB17_35
; %bb.32:
	v_dual_mov_b32 v1, 0 :: v_dual_add_nc_u32 v8, 0x120, v67
	v_dual_mov_b32 v2, 0 :: v_dual_add_nc_u32 v7, -1, v49
	v_or_b32_e32 v9, 8, v68
	s_mov_b32 s3, 0
	s_delay_alu instid0(VALU_DEP_2)
	v_dual_mov_b32 v4, v2 :: v_dual_mov_b32 v3, v1
	.p2align	6
.LBB17_33:                              ; =>This Inner Loop Header: Depth=1
	scratch_load_b128 v[69:72], v9, off offset:-8
	ds_load_b128 v[73:76], v8
	v_add_nc_u32_e32 v7, 1, v7
	v_add_nc_u32_e32 v8, 16, v8
	;; [unrolled: 1-line block ×3, first 2 shown]
	s_delay_alu instid0(VALU_DEP_3) | instskip(SKIP_4) | instid1(VALU_DEP_2)
	v_cmp_lt_u32_e32 vcc_lo, 3, v7
	s_or_b32 s3, vcc_lo, s3
	s_waitcnt vmcnt(0) lgkmcnt(0)
	v_mul_f64 v[10:11], v[75:76], v[71:72]
	v_mul_f64 v[71:72], v[73:74], v[71:72]
	v_fma_f64 v[10:11], v[73:74], v[69:70], -v[10:11]
	s_delay_alu instid0(VALU_DEP_2) | instskip(NEXT) | instid1(VALU_DEP_2)
	v_fma_f64 v[69:70], v[75:76], v[69:70], v[71:72]
	v_add_f64 v[3:4], v[3:4], v[10:11]
	s_delay_alu instid0(VALU_DEP_2)
	v_add_f64 v[1:2], v[1:2], v[69:70]
	s_and_not1_b32 exec_lo, exec_lo, s3
	s_cbranch_execnz .LBB17_33
; %bb.34:
	s_or_b32 exec_lo, exec_lo, s3
	v_mov_b32_e32 v7, 0
	ds_load_b128 v[7:10], v7 offset:80
	s_waitcnt lgkmcnt(0)
	v_mul_f64 v[11:12], v[1:2], v[9:10]
	v_mul_f64 v[69:70], v[3:4], v[9:10]
	s_delay_alu instid0(VALU_DEP_2) | instskip(NEXT) | instid1(VALU_DEP_2)
	v_fma_f64 v[9:10], v[3:4], v[7:8], -v[11:12]
	v_fma_f64 v[11:12], v[1:2], v[7:8], v[69:70]
	scratch_store_b128 off, v[9:12], off offset:80
.LBB17_35:
	s_or_b32 exec_lo, exec_lo, s2
	s_waitcnt_vscnt null, 0x0
	s_barrier
	buffer_gl0_inv
	scratch_load_b128 v[1:4], v56, off
	s_mov_b32 s2, exec_lo
	s_waitcnt vmcnt(0)
	ds_store_b128 v5, v[1:4]
	s_waitcnt lgkmcnt(0)
	s_barrier
	buffer_gl0_inv
	v_cmpx_gt_u32_e32 6, v49
	s_cbranch_execz .LBB17_39
; %bb.36:
	v_dual_mov_b32 v1, 0 :: v_dual_add_nc_u32 v8, 0x120, v67
	v_dual_mov_b32 v2, 0 :: v_dual_add_nc_u32 v7, -1, v49
	v_or_b32_e32 v9, 8, v68
	s_mov_b32 s3, 0
	s_delay_alu instid0(VALU_DEP_2)
	v_dual_mov_b32 v4, v2 :: v_dual_mov_b32 v3, v1
	.p2align	6
.LBB17_37:                              ; =>This Inner Loop Header: Depth=1
	scratch_load_b128 v[69:72], v9, off offset:-8
	ds_load_b128 v[73:76], v8
	v_add_nc_u32_e32 v7, 1, v7
	v_add_nc_u32_e32 v8, 16, v8
	;; [unrolled: 1-line block ×3, first 2 shown]
	s_delay_alu instid0(VALU_DEP_3) | instskip(SKIP_4) | instid1(VALU_DEP_2)
	v_cmp_lt_u32_e32 vcc_lo, 4, v7
	s_or_b32 s3, vcc_lo, s3
	s_waitcnt vmcnt(0) lgkmcnt(0)
	v_mul_f64 v[10:11], v[75:76], v[71:72]
	v_mul_f64 v[71:72], v[73:74], v[71:72]
	v_fma_f64 v[10:11], v[73:74], v[69:70], -v[10:11]
	s_delay_alu instid0(VALU_DEP_2) | instskip(NEXT) | instid1(VALU_DEP_2)
	v_fma_f64 v[69:70], v[75:76], v[69:70], v[71:72]
	v_add_f64 v[3:4], v[3:4], v[10:11]
	s_delay_alu instid0(VALU_DEP_2)
	v_add_f64 v[1:2], v[1:2], v[69:70]
	s_and_not1_b32 exec_lo, exec_lo, s3
	s_cbranch_execnz .LBB17_37
; %bb.38:
	s_or_b32 exec_lo, exec_lo, s3
	v_mov_b32_e32 v7, 0
	ds_load_b128 v[7:10], v7 offset:96
	s_waitcnt lgkmcnt(0)
	v_mul_f64 v[11:12], v[1:2], v[9:10]
	v_mul_f64 v[69:70], v[3:4], v[9:10]
	s_delay_alu instid0(VALU_DEP_2) | instskip(NEXT) | instid1(VALU_DEP_2)
	v_fma_f64 v[9:10], v[3:4], v[7:8], -v[11:12]
	v_fma_f64 v[11:12], v[1:2], v[7:8], v[69:70]
	scratch_store_b128 off, v[9:12], off offset:96
.LBB17_39:
	s_or_b32 exec_lo, exec_lo, s2
	s_waitcnt_vscnt null, 0x0
	s_barrier
	buffer_gl0_inv
	scratch_load_b128 v[1:4], v55, off
	s_mov_b32 s2, exec_lo
	s_waitcnt vmcnt(0)
	ds_store_b128 v5, v[1:4]
	s_waitcnt lgkmcnt(0)
	s_barrier
	buffer_gl0_inv
	v_cmpx_gt_u32_e32 7, v49
	s_cbranch_execz .LBB17_43
; %bb.40:
	v_dual_mov_b32 v1, 0 :: v_dual_add_nc_u32 v8, 0x120, v67
	v_dual_mov_b32 v2, 0 :: v_dual_add_nc_u32 v7, -1, v49
	v_or_b32_e32 v9, 8, v68
	s_mov_b32 s3, 0
	s_delay_alu instid0(VALU_DEP_2)
	v_dual_mov_b32 v4, v2 :: v_dual_mov_b32 v3, v1
	.p2align	6
.LBB17_41:                              ; =>This Inner Loop Header: Depth=1
	scratch_load_b128 v[69:72], v9, off offset:-8
	ds_load_b128 v[73:76], v8
	v_add_nc_u32_e32 v7, 1, v7
	v_add_nc_u32_e32 v8, 16, v8
	v_add_nc_u32_e32 v9, 16, v9
	s_delay_alu instid0(VALU_DEP_3) | instskip(SKIP_4) | instid1(VALU_DEP_2)
	v_cmp_lt_u32_e32 vcc_lo, 5, v7
	s_or_b32 s3, vcc_lo, s3
	s_waitcnt vmcnt(0) lgkmcnt(0)
	v_mul_f64 v[10:11], v[75:76], v[71:72]
	v_mul_f64 v[71:72], v[73:74], v[71:72]
	v_fma_f64 v[10:11], v[73:74], v[69:70], -v[10:11]
	s_delay_alu instid0(VALU_DEP_2) | instskip(NEXT) | instid1(VALU_DEP_2)
	v_fma_f64 v[69:70], v[75:76], v[69:70], v[71:72]
	v_add_f64 v[3:4], v[3:4], v[10:11]
	s_delay_alu instid0(VALU_DEP_2)
	v_add_f64 v[1:2], v[1:2], v[69:70]
	s_and_not1_b32 exec_lo, exec_lo, s3
	s_cbranch_execnz .LBB17_41
; %bb.42:
	s_or_b32 exec_lo, exec_lo, s3
	v_mov_b32_e32 v7, 0
	ds_load_b128 v[7:10], v7 offset:112
	s_waitcnt lgkmcnt(0)
	v_mul_f64 v[11:12], v[1:2], v[9:10]
	v_mul_f64 v[69:70], v[3:4], v[9:10]
	s_delay_alu instid0(VALU_DEP_2) | instskip(NEXT) | instid1(VALU_DEP_2)
	v_fma_f64 v[9:10], v[3:4], v[7:8], -v[11:12]
	v_fma_f64 v[11:12], v[1:2], v[7:8], v[69:70]
	scratch_store_b128 off, v[9:12], off offset:112
.LBB17_43:
	s_or_b32 exec_lo, exec_lo, s2
	s_waitcnt_vscnt null, 0x0
	s_barrier
	buffer_gl0_inv
	scratch_load_b128 v[1:4], v58, off
	s_mov_b32 s2, exec_lo
	s_waitcnt vmcnt(0)
	ds_store_b128 v5, v[1:4]
	s_waitcnt lgkmcnt(0)
	s_barrier
	buffer_gl0_inv
	v_cmpx_gt_u32_e32 8, v49
	s_cbranch_execz .LBB17_47
; %bb.44:
	v_dual_mov_b32 v1, 0 :: v_dual_add_nc_u32 v8, 0x120, v67
	v_dual_mov_b32 v2, 0 :: v_dual_add_nc_u32 v7, -1, v49
	v_or_b32_e32 v9, 8, v68
	s_mov_b32 s3, 0
	s_delay_alu instid0(VALU_DEP_2)
	v_dual_mov_b32 v4, v2 :: v_dual_mov_b32 v3, v1
	.p2align	6
.LBB17_45:                              ; =>This Inner Loop Header: Depth=1
	scratch_load_b128 v[69:72], v9, off offset:-8
	ds_load_b128 v[73:76], v8
	v_add_nc_u32_e32 v7, 1, v7
	v_add_nc_u32_e32 v8, 16, v8
	;; [unrolled: 1-line block ×3, first 2 shown]
	s_delay_alu instid0(VALU_DEP_3) | instskip(SKIP_4) | instid1(VALU_DEP_2)
	v_cmp_lt_u32_e32 vcc_lo, 6, v7
	s_or_b32 s3, vcc_lo, s3
	s_waitcnt vmcnt(0) lgkmcnt(0)
	v_mul_f64 v[10:11], v[75:76], v[71:72]
	v_mul_f64 v[71:72], v[73:74], v[71:72]
	v_fma_f64 v[10:11], v[73:74], v[69:70], -v[10:11]
	s_delay_alu instid0(VALU_DEP_2) | instskip(NEXT) | instid1(VALU_DEP_2)
	v_fma_f64 v[69:70], v[75:76], v[69:70], v[71:72]
	v_add_f64 v[3:4], v[3:4], v[10:11]
	s_delay_alu instid0(VALU_DEP_2)
	v_add_f64 v[1:2], v[1:2], v[69:70]
	s_and_not1_b32 exec_lo, exec_lo, s3
	s_cbranch_execnz .LBB17_45
; %bb.46:
	s_or_b32 exec_lo, exec_lo, s3
	v_mov_b32_e32 v7, 0
	ds_load_b128 v[7:10], v7 offset:128
	s_waitcnt lgkmcnt(0)
	v_mul_f64 v[11:12], v[1:2], v[9:10]
	v_mul_f64 v[69:70], v[3:4], v[9:10]
	s_delay_alu instid0(VALU_DEP_2) | instskip(NEXT) | instid1(VALU_DEP_2)
	v_fma_f64 v[9:10], v[3:4], v[7:8], -v[11:12]
	v_fma_f64 v[11:12], v[1:2], v[7:8], v[69:70]
	scratch_store_b128 off, v[9:12], off offset:128
.LBB17_47:
	s_or_b32 exec_lo, exec_lo, s2
	s_waitcnt_vscnt null, 0x0
	s_barrier
	buffer_gl0_inv
	scratch_load_b128 v[1:4], v57, off
	s_mov_b32 s2, exec_lo
	s_waitcnt vmcnt(0)
	ds_store_b128 v5, v[1:4]
	s_waitcnt lgkmcnt(0)
	s_barrier
	buffer_gl0_inv
	v_cmpx_gt_u32_e32 9, v49
	s_cbranch_execz .LBB17_51
; %bb.48:
	v_dual_mov_b32 v1, 0 :: v_dual_add_nc_u32 v8, 0x120, v67
	v_dual_mov_b32 v2, 0 :: v_dual_add_nc_u32 v7, -1, v49
	v_or_b32_e32 v9, 8, v68
	s_mov_b32 s3, 0
	s_delay_alu instid0(VALU_DEP_2)
	v_dual_mov_b32 v4, v2 :: v_dual_mov_b32 v3, v1
	.p2align	6
.LBB17_49:                              ; =>This Inner Loop Header: Depth=1
	scratch_load_b128 v[69:72], v9, off offset:-8
	ds_load_b128 v[73:76], v8
	v_add_nc_u32_e32 v7, 1, v7
	v_add_nc_u32_e32 v8, 16, v8
	;; [unrolled: 1-line block ×3, first 2 shown]
	s_delay_alu instid0(VALU_DEP_3) | instskip(SKIP_4) | instid1(VALU_DEP_2)
	v_cmp_lt_u32_e32 vcc_lo, 7, v7
	s_or_b32 s3, vcc_lo, s3
	s_waitcnt vmcnt(0) lgkmcnt(0)
	v_mul_f64 v[10:11], v[75:76], v[71:72]
	v_mul_f64 v[71:72], v[73:74], v[71:72]
	v_fma_f64 v[10:11], v[73:74], v[69:70], -v[10:11]
	s_delay_alu instid0(VALU_DEP_2) | instskip(NEXT) | instid1(VALU_DEP_2)
	v_fma_f64 v[69:70], v[75:76], v[69:70], v[71:72]
	v_add_f64 v[3:4], v[3:4], v[10:11]
	s_delay_alu instid0(VALU_DEP_2)
	v_add_f64 v[1:2], v[1:2], v[69:70]
	s_and_not1_b32 exec_lo, exec_lo, s3
	s_cbranch_execnz .LBB17_49
; %bb.50:
	s_or_b32 exec_lo, exec_lo, s3
	v_mov_b32_e32 v7, 0
	ds_load_b128 v[7:10], v7 offset:144
	s_waitcnt lgkmcnt(0)
	v_mul_f64 v[11:12], v[1:2], v[9:10]
	v_mul_f64 v[69:70], v[3:4], v[9:10]
	s_delay_alu instid0(VALU_DEP_2) | instskip(NEXT) | instid1(VALU_DEP_2)
	v_fma_f64 v[9:10], v[3:4], v[7:8], -v[11:12]
	v_fma_f64 v[11:12], v[1:2], v[7:8], v[69:70]
	scratch_store_b128 off, v[9:12], off offset:144
.LBB17_51:
	s_or_b32 exec_lo, exec_lo, s2
	s_waitcnt_vscnt null, 0x0
	s_barrier
	buffer_gl0_inv
	scratch_load_b128 v[1:4], v60, off
	s_mov_b32 s2, exec_lo
	s_waitcnt vmcnt(0)
	ds_store_b128 v5, v[1:4]
	s_waitcnt lgkmcnt(0)
	s_barrier
	buffer_gl0_inv
	v_cmpx_gt_u32_e32 10, v49
	s_cbranch_execz .LBB17_55
; %bb.52:
	v_dual_mov_b32 v1, 0 :: v_dual_add_nc_u32 v8, 0x120, v67
	v_dual_mov_b32 v2, 0 :: v_dual_add_nc_u32 v7, -1, v49
	v_or_b32_e32 v9, 8, v68
	s_mov_b32 s3, 0
	s_delay_alu instid0(VALU_DEP_2)
	v_dual_mov_b32 v4, v2 :: v_dual_mov_b32 v3, v1
	.p2align	6
.LBB17_53:                              ; =>This Inner Loop Header: Depth=1
	scratch_load_b128 v[69:72], v9, off offset:-8
	ds_load_b128 v[73:76], v8
	v_add_nc_u32_e32 v7, 1, v7
	v_add_nc_u32_e32 v8, 16, v8
	;; [unrolled: 1-line block ×3, first 2 shown]
	s_delay_alu instid0(VALU_DEP_3) | instskip(SKIP_4) | instid1(VALU_DEP_2)
	v_cmp_lt_u32_e32 vcc_lo, 8, v7
	s_or_b32 s3, vcc_lo, s3
	s_waitcnt vmcnt(0) lgkmcnt(0)
	v_mul_f64 v[10:11], v[75:76], v[71:72]
	v_mul_f64 v[71:72], v[73:74], v[71:72]
	v_fma_f64 v[10:11], v[73:74], v[69:70], -v[10:11]
	s_delay_alu instid0(VALU_DEP_2) | instskip(NEXT) | instid1(VALU_DEP_2)
	v_fma_f64 v[69:70], v[75:76], v[69:70], v[71:72]
	v_add_f64 v[3:4], v[3:4], v[10:11]
	s_delay_alu instid0(VALU_DEP_2)
	v_add_f64 v[1:2], v[1:2], v[69:70]
	s_and_not1_b32 exec_lo, exec_lo, s3
	s_cbranch_execnz .LBB17_53
; %bb.54:
	s_or_b32 exec_lo, exec_lo, s3
	v_mov_b32_e32 v7, 0
	ds_load_b128 v[7:10], v7 offset:160
	s_waitcnt lgkmcnt(0)
	v_mul_f64 v[11:12], v[1:2], v[9:10]
	v_mul_f64 v[69:70], v[3:4], v[9:10]
	s_delay_alu instid0(VALU_DEP_2) | instskip(NEXT) | instid1(VALU_DEP_2)
	v_fma_f64 v[9:10], v[3:4], v[7:8], -v[11:12]
	v_fma_f64 v[11:12], v[1:2], v[7:8], v[69:70]
	scratch_store_b128 off, v[9:12], off offset:160
.LBB17_55:
	s_or_b32 exec_lo, exec_lo, s2
	s_waitcnt_vscnt null, 0x0
	s_barrier
	buffer_gl0_inv
	scratch_load_b128 v[1:4], v59, off
	s_mov_b32 s2, exec_lo
	s_waitcnt vmcnt(0)
	ds_store_b128 v5, v[1:4]
	s_waitcnt lgkmcnt(0)
	s_barrier
	buffer_gl0_inv
	v_cmpx_gt_u32_e32 11, v49
	s_cbranch_execz .LBB17_59
; %bb.56:
	v_dual_mov_b32 v1, 0 :: v_dual_add_nc_u32 v8, 0x120, v67
	v_dual_mov_b32 v2, 0 :: v_dual_add_nc_u32 v7, -1, v49
	v_or_b32_e32 v9, 8, v68
	s_mov_b32 s3, 0
	s_delay_alu instid0(VALU_DEP_2)
	v_dual_mov_b32 v4, v2 :: v_dual_mov_b32 v3, v1
	.p2align	6
.LBB17_57:                              ; =>This Inner Loop Header: Depth=1
	scratch_load_b128 v[69:72], v9, off offset:-8
	ds_load_b128 v[73:76], v8
	v_add_nc_u32_e32 v7, 1, v7
	v_add_nc_u32_e32 v8, 16, v8
	v_add_nc_u32_e32 v9, 16, v9
	s_delay_alu instid0(VALU_DEP_3) | instskip(SKIP_4) | instid1(VALU_DEP_2)
	v_cmp_lt_u32_e32 vcc_lo, 9, v7
	s_or_b32 s3, vcc_lo, s3
	s_waitcnt vmcnt(0) lgkmcnt(0)
	v_mul_f64 v[10:11], v[75:76], v[71:72]
	v_mul_f64 v[71:72], v[73:74], v[71:72]
	v_fma_f64 v[10:11], v[73:74], v[69:70], -v[10:11]
	s_delay_alu instid0(VALU_DEP_2) | instskip(NEXT) | instid1(VALU_DEP_2)
	v_fma_f64 v[69:70], v[75:76], v[69:70], v[71:72]
	v_add_f64 v[3:4], v[3:4], v[10:11]
	s_delay_alu instid0(VALU_DEP_2)
	v_add_f64 v[1:2], v[1:2], v[69:70]
	s_and_not1_b32 exec_lo, exec_lo, s3
	s_cbranch_execnz .LBB17_57
; %bb.58:
	s_or_b32 exec_lo, exec_lo, s3
	v_mov_b32_e32 v7, 0
	ds_load_b128 v[7:10], v7 offset:176
	s_waitcnt lgkmcnt(0)
	v_mul_f64 v[11:12], v[1:2], v[9:10]
	v_mul_f64 v[69:70], v[3:4], v[9:10]
	s_delay_alu instid0(VALU_DEP_2) | instskip(NEXT) | instid1(VALU_DEP_2)
	v_fma_f64 v[9:10], v[3:4], v[7:8], -v[11:12]
	v_fma_f64 v[11:12], v[1:2], v[7:8], v[69:70]
	scratch_store_b128 off, v[9:12], off offset:176
.LBB17_59:
	s_or_b32 exec_lo, exec_lo, s2
	s_waitcnt_vscnt null, 0x0
	s_barrier
	buffer_gl0_inv
	scratch_load_b128 v[1:4], v62, off
	s_mov_b32 s2, exec_lo
	s_waitcnt vmcnt(0)
	ds_store_b128 v5, v[1:4]
	s_waitcnt lgkmcnt(0)
	s_barrier
	buffer_gl0_inv
	v_cmpx_gt_u32_e32 12, v49
	s_cbranch_execz .LBB17_63
; %bb.60:
	v_dual_mov_b32 v1, 0 :: v_dual_add_nc_u32 v8, 0x120, v67
	v_dual_mov_b32 v2, 0 :: v_dual_add_nc_u32 v7, -1, v49
	v_or_b32_e32 v9, 8, v68
	s_mov_b32 s3, 0
	s_delay_alu instid0(VALU_DEP_2)
	v_dual_mov_b32 v4, v2 :: v_dual_mov_b32 v3, v1
	.p2align	6
.LBB17_61:                              ; =>This Inner Loop Header: Depth=1
	scratch_load_b128 v[69:72], v9, off offset:-8
	ds_load_b128 v[73:76], v8
	v_add_nc_u32_e32 v7, 1, v7
	v_add_nc_u32_e32 v8, 16, v8
	;; [unrolled: 1-line block ×3, first 2 shown]
	s_delay_alu instid0(VALU_DEP_3) | instskip(SKIP_4) | instid1(VALU_DEP_2)
	v_cmp_lt_u32_e32 vcc_lo, 10, v7
	s_or_b32 s3, vcc_lo, s3
	s_waitcnt vmcnt(0) lgkmcnt(0)
	v_mul_f64 v[10:11], v[75:76], v[71:72]
	v_mul_f64 v[71:72], v[73:74], v[71:72]
	v_fma_f64 v[10:11], v[73:74], v[69:70], -v[10:11]
	s_delay_alu instid0(VALU_DEP_2) | instskip(NEXT) | instid1(VALU_DEP_2)
	v_fma_f64 v[69:70], v[75:76], v[69:70], v[71:72]
	v_add_f64 v[3:4], v[3:4], v[10:11]
	s_delay_alu instid0(VALU_DEP_2)
	v_add_f64 v[1:2], v[1:2], v[69:70]
	s_and_not1_b32 exec_lo, exec_lo, s3
	s_cbranch_execnz .LBB17_61
; %bb.62:
	s_or_b32 exec_lo, exec_lo, s3
	v_mov_b32_e32 v7, 0
	ds_load_b128 v[7:10], v7 offset:192
	s_waitcnt lgkmcnt(0)
	v_mul_f64 v[11:12], v[1:2], v[9:10]
	v_mul_f64 v[69:70], v[3:4], v[9:10]
	s_delay_alu instid0(VALU_DEP_2) | instskip(NEXT) | instid1(VALU_DEP_2)
	v_fma_f64 v[9:10], v[3:4], v[7:8], -v[11:12]
	v_fma_f64 v[11:12], v[1:2], v[7:8], v[69:70]
	scratch_store_b128 off, v[9:12], off offset:192
.LBB17_63:
	s_or_b32 exec_lo, exec_lo, s2
	s_waitcnt_vscnt null, 0x0
	s_barrier
	buffer_gl0_inv
	scratch_load_b128 v[1:4], v61, off
	s_mov_b32 s2, exec_lo
	s_waitcnt vmcnt(0)
	ds_store_b128 v5, v[1:4]
	s_waitcnt lgkmcnt(0)
	s_barrier
	buffer_gl0_inv
	v_cmpx_gt_u32_e32 13, v49
	s_cbranch_execz .LBB17_67
; %bb.64:
	v_dual_mov_b32 v1, 0 :: v_dual_add_nc_u32 v8, 0x120, v67
	v_dual_mov_b32 v2, 0 :: v_dual_add_nc_u32 v7, -1, v49
	v_or_b32_e32 v9, 8, v68
	s_mov_b32 s3, 0
	s_delay_alu instid0(VALU_DEP_2)
	v_dual_mov_b32 v4, v2 :: v_dual_mov_b32 v3, v1
	.p2align	6
.LBB17_65:                              ; =>This Inner Loop Header: Depth=1
	scratch_load_b128 v[69:72], v9, off offset:-8
	ds_load_b128 v[73:76], v8
	v_add_nc_u32_e32 v7, 1, v7
	v_add_nc_u32_e32 v8, 16, v8
	;; [unrolled: 1-line block ×3, first 2 shown]
	s_delay_alu instid0(VALU_DEP_3) | instskip(SKIP_4) | instid1(VALU_DEP_2)
	v_cmp_lt_u32_e32 vcc_lo, 11, v7
	s_or_b32 s3, vcc_lo, s3
	s_waitcnt vmcnt(0) lgkmcnt(0)
	v_mul_f64 v[10:11], v[75:76], v[71:72]
	v_mul_f64 v[71:72], v[73:74], v[71:72]
	v_fma_f64 v[10:11], v[73:74], v[69:70], -v[10:11]
	s_delay_alu instid0(VALU_DEP_2) | instskip(NEXT) | instid1(VALU_DEP_2)
	v_fma_f64 v[69:70], v[75:76], v[69:70], v[71:72]
	v_add_f64 v[3:4], v[3:4], v[10:11]
	s_delay_alu instid0(VALU_DEP_2)
	v_add_f64 v[1:2], v[1:2], v[69:70]
	s_and_not1_b32 exec_lo, exec_lo, s3
	s_cbranch_execnz .LBB17_65
; %bb.66:
	s_or_b32 exec_lo, exec_lo, s3
	v_mov_b32_e32 v7, 0
	ds_load_b128 v[7:10], v7 offset:208
	s_waitcnt lgkmcnt(0)
	v_mul_f64 v[11:12], v[1:2], v[9:10]
	v_mul_f64 v[69:70], v[3:4], v[9:10]
	s_delay_alu instid0(VALU_DEP_2) | instskip(NEXT) | instid1(VALU_DEP_2)
	v_fma_f64 v[9:10], v[3:4], v[7:8], -v[11:12]
	v_fma_f64 v[11:12], v[1:2], v[7:8], v[69:70]
	scratch_store_b128 off, v[9:12], off offset:208
.LBB17_67:
	s_or_b32 exec_lo, exec_lo, s2
	s_waitcnt_vscnt null, 0x0
	s_barrier
	buffer_gl0_inv
	scratch_load_b128 v[1:4], v64, off
	s_mov_b32 s2, exec_lo
	s_waitcnt vmcnt(0)
	ds_store_b128 v5, v[1:4]
	s_waitcnt lgkmcnt(0)
	s_barrier
	buffer_gl0_inv
	v_cmpx_gt_u32_e32 14, v49
	s_cbranch_execz .LBB17_71
; %bb.68:
	v_dual_mov_b32 v1, 0 :: v_dual_add_nc_u32 v8, 0x120, v67
	v_dual_mov_b32 v2, 0 :: v_dual_add_nc_u32 v7, -1, v49
	v_or_b32_e32 v9, 8, v68
	s_mov_b32 s3, 0
	s_delay_alu instid0(VALU_DEP_2)
	v_dual_mov_b32 v4, v2 :: v_dual_mov_b32 v3, v1
	.p2align	6
.LBB17_69:                              ; =>This Inner Loop Header: Depth=1
	scratch_load_b128 v[69:72], v9, off offset:-8
	ds_load_b128 v[73:76], v8
	v_add_nc_u32_e32 v7, 1, v7
	v_add_nc_u32_e32 v8, 16, v8
	;; [unrolled: 1-line block ×3, first 2 shown]
	s_delay_alu instid0(VALU_DEP_3) | instskip(SKIP_4) | instid1(VALU_DEP_2)
	v_cmp_lt_u32_e32 vcc_lo, 12, v7
	s_or_b32 s3, vcc_lo, s3
	s_waitcnt vmcnt(0) lgkmcnt(0)
	v_mul_f64 v[10:11], v[75:76], v[71:72]
	v_mul_f64 v[71:72], v[73:74], v[71:72]
	v_fma_f64 v[10:11], v[73:74], v[69:70], -v[10:11]
	s_delay_alu instid0(VALU_DEP_2) | instskip(NEXT) | instid1(VALU_DEP_2)
	v_fma_f64 v[69:70], v[75:76], v[69:70], v[71:72]
	v_add_f64 v[3:4], v[3:4], v[10:11]
	s_delay_alu instid0(VALU_DEP_2)
	v_add_f64 v[1:2], v[1:2], v[69:70]
	s_and_not1_b32 exec_lo, exec_lo, s3
	s_cbranch_execnz .LBB17_69
; %bb.70:
	s_or_b32 exec_lo, exec_lo, s3
	v_mov_b32_e32 v7, 0
	ds_load_b128 v[7:10], v7 offset:224
	s_waitcnt lgkmcnt(0)
	v_mul_f64 v[11:12], v[1:2], v[9:10]
	v_mul_f64 v[69:70], v[3:4], v[9:10]
	s_delay_alu instid0(VALU_DEP_2) | instskip(NEXT) | instid1(VALU_DEP_2)
	v_fma_f64 v[9:10], v[3:4], v[7:8], -v[11:12]
	v_fma_f64 v[11:12], v[1:2], v[7:8], v[69:70]
	scratch_store_b128 off, v[9:12], off offset:224
.LBB17_71:
	s_or_b32 exec_lo, exec_lo, s2
	s_waitcnt_vscnt null, 0x0
	s_barrier
	buffer_gl0_inv
	scratch_load_b128 v[1:4], v63, off
	s_mov_b32 s2, exec_lo
	s_waitcnt vmcnt(0)
	ds_store_b128 v5, v[1:4]
	s_waitcnt lgkmcnt(0)
	s_barrier
	buffer_gl0_inv
	v_cmpx_gt_u32_e32 15, v49
	s_cbranch_execz .LBB17_75
; %bb.72:
	v_dual_mov_b32 v1, 0 :: v_dual_add_nc_u32 v8, 0x120, v67
	v_dual_mov_b32 v2, 0 :: v_dual_add_nc_u32 v7, -1, v49
	v_or_b32_e32 v9, 8, v68
	s_mov_b32 s3, 0
	s_delay_alu instid0(VALU_DEP_2)
	v_dual_mov_b32 v4, v2 :: v_dual_mov_b32 v3, v1
	.p2align	6
.LBB17_73:                              ; =>This Inner Loop Header: Depth=1
	scratch_load_b128 v[69:72], v9, off offset:-8
	ds_load_b128 v[73:76], v8
	v_add_nc_u32_e32 v7, 1, v7
	v_add_nc_u32_e32 v8, 16, v8
	;; [unrolled: 1-line block ×3, first 2 shown]
	s_delay_alu instid0(VALU_DEP_3) | instskip(SKIP_4) | instid1(VALU_DEP_2)
	v_cmp_lt_u32_e32 vcc_lo, 13, v7
	s_or_b32 s3, vcc_lo, s3
	s_waitcnt vmcnt(0) lgkmcnt(0)
	v_mul_f64 v[10:11], v[75:76], v[71:72]
	v_mul_f64 v[71:72], v[73:74], v[71:72]
	v_fma_f64 v[10:11], v[73:74], v[69:70], -v[10:11]
	s_delay_alu instid0(VALU_DEP_2) | instskip(NEXT) | instid1(VALU_DEP_2)
	v_fma_f64 v[69:70], v[75:76], v[69:70], v[71:72]
	v_add_f64 v[3:4], v[3:4], v[10:11]
	s_delay_alu instid0(VALU_DEP_2)
	v_add_f64 v[1:2], v[1:2], v[69:70]
	s_and_not1_b32 exec_lo, exec_lo, s3
	s_cbranch_execnz .LBB17_73
; %bb.74:
	s_or_b32 exec_lo, exec_lo, s3
	v_mov_b32_e32 v7, 0
	ds_load_b128 v[7:10], v7 offset:240
	s_waitcnt lgkmcnt(0)
	v_mul_f64 v[11:12], v[1:2], v[9:10]
	v_mul_f64 v[69:70], v[3:4], v[9:10]
	s_delay_alu instid0(VALU_DEP_2) | instskip(NEXT) | instid1(VALU_DEP_2)
	v_fma_f64 v[9:10], v[3:4], v[7:8], -v[11:12]
	v_fma_f64 v[11:12], v[1:2], v[7:8], v[69:70]
	scratch_store_b128 off, v[9:12], off offset:240
.LBB17_75:
	s_or_b32 exec_lo, exec_lo, s2
	s_waitcnt_vscnt null, 0x0
	s_barrier
	buffer_gl0_inv
	scratch_load_b128 v[1:4], v66, off
	s_mov_b32 s2, exec_lo
	s_waitcnt vmcnt(0)
	ds_store_b128 v5, v[1:4]
	s_waitcnt lgkmcnt(0)
	s_barrier
	buffer_gl0_inv
	v_cmpx_gt_u32_e32 16, v49
	s_cbranch_execz .LBB17_79
; %bb.76:
	v_dual_mov_b32 v1, 0 :: v_dual_add_nc_u32 v8, 0x120, v67
	v_dual_mov_b32 v2, 0 :: v_dual_add_nc_u32 v7, -1, v49
	v_or_b32_e32 v9, 8, v68
	s_mov_b32 s3, 0
	s_delay_alu instid0(VALU_DEP_2)
	v_dual_mov_b32 v4, v2 :: v_dual_mov_b32 v3, v1
	.p2align	6
.LBB17_77:                              ; =>This Inner Loop Header: Depth=1
	scratch_load_b128 v[69:72], v9, off offset:-8
	ds_load_b128 v[73:76], v8
	v_add_nc_u32_e32 v7, 1, v7
	v_add_nc_u32_e32 v8, 16, v8
	;; [unrolled: 1-line block ×3, first 2 shown]
	s_delay_alu instid0(VALU_DEP_3) | instskip(SKIP_4) | instid1(VALU_DEP_2)
	v_cmp_lt_u32_e32 vcc_lo, 14, v7
	s_or_b32 s3, vcc_lo, s3
	s_waitcnt vmcnt(0) lgkmcnt(0)
	v_mul_f64 v[10:11], v[75:76], v[71:72]
	v_mul_f64 v[71:72], v[73:74], v[71:72]
	v_fma_f64 v[10:11], v[73:74], v[69:70], -v[10:11]
	s_delay_alu instid0(VALU_DEP_2) | instskip(NEXT) | instid1(VALU_DEP_2)
	v_fma_f64 v[69:70], v[75:76], v[69:70], v[71:72]
	v_add_f64 v[3:4], v[3:4], v[10:11]
	s_delay_alu instid0(VALU_DEP_2)
	v_add_f64 v[1:2], v[1:2], v[69:70]
	s_and_not1_b32 exec_lo, exec_lo, s3
	s_cbranch_execnz .LBB17_77
; %bb.78:
	s_or_b32 exec_lo, exec_lo, s3
	v_mov_b32_e32 v7, 0
	ds_load_b128 v[7:10], v7 offset:256
	s_waitcnt lgkmcnt(0)
	v_mul_f64 v[11:12], v[1:2], v[9:10]
	v_mul_f64 v[69:70], v[3:4], v[9:10]
	s_delay_alu instid0(VALU_DEP_2) | instskip(NEXT) | instid1(VALU_DEP_2)
	v_fma_f64 v[9:10], v[3:4], v[7:8], -v[11:12]
	v_fma_f64 v[11:12], v[1:2], v[7:8], v[69:70]
	scratch_store_b128 off, v[9:12], off offset:256
.LBB17_79:
	s_or_b32 exec_lo, exec_lo, s2
	s_waitcnt_vscnt null, 0x0
	s_barrier
	buffer_gl0_inv
	scratch_load_b128 v[1:4], v65, off
	s_mov_b32 s2, exec_lo
	s_waitcnt vmcnt(0)
	ds_store_b128 v5, v[1:4]
	s_waitcnt lgkmcnt(0)
	s_barrier
	buffer_gl0_inv
	v_cmpx_ne_u32_e32 17, v49
	s_cbranch_execz .LBB17_83
; %bb.80:
	v_mov_b32_e32 v1, 0
	v_mov_b32_e32 v2, 0
	v_or_b32_e32 v7, 8, v68
	s_mov_b32 s3, 0
	s_delay_alu instid0(VALU_DEP_2)
	v_dual_mov_b32 v4, v2 :: v_dual_mov_b32 v3, v1
	.p2align	6
.LBB17_81:                              ; =>This Inner Loop Header: Depth=1
	scratch_load_b128 v[8:11], v7, off offset:-8
	ds_load_b128 v[67:70], v5
	v_add_nc_u32_e32 v6, 1, v6
	v_add_nc_u32_e32 v5, 16, v5
	;; [unrolled: 1-line block ×3, first 2 shown]
	s_delay_alu instid0(VALU_DEP_3) | instskip(SKIP_4) | instid1(VALU_DEP_2)
	v_cmp_lt_u32_e32 vcc_lo, 15, v6
	s_or_b32 s3, vcc_lo, s3
	s_waitcnt vmcnt(0) lgkmcnt(0)
	v_mul_f64 v[71:72], v[69:70], v[10:11]
	v_mul_f64 v[10:11], v[67:68], v[10:11]
	v_fma_f64 v[67:68], v[67:68], v[8:9], -v[71:72]
	s_delay_alu instid0(VALU_DEP_2) | instskip(NEXT) | instid1(VALU_DEP_2)
	v_fma_f64 v[8:9], v[69:70], v[8:9], v[10:11]
	v_add_f64 v[3:4], v[3:4], v[67:68]
	s_delay_alu instid0(VALU_DEP_2)
	v_add_f64 v[1:2], v[1:2], v[8:9]
	s_and_not1_b32 exec_lo, exec_lo, s3
	s_cbranch_execnz .LBB17_81
; %bb.82:
	s_or_b32 exec_lo, exec_lo, s3
	v_mov_b32_e32 v5, 0
	ds_load_b128 v[5:8], v5 offset:272
	s_waitcnt lgkmcnt(0)
	v_mul_f64 v[9:10], v[1:2], v[7:8]
	v_mul_f64 v[7:8], v[3:4], v[7:8]
	s_delay_alu instid0(VALU_DEP_2) | instskip(NEXT) | instid1(VALU_DEP_2)
	v_fma_f64 v[3:4], v[3:4], v[5:6], -v[9:10]
	v_fma_f64 v[5:6], v[1:2], v[5:6], v[7:8]
	scratch_store_b128 off, v[3:6], off offset:272
.LBB17_83:
	s_or_b32 exec_lo, exec_lo, s2
	s_mov_b32 s3, -1
	s_waitcnt_vscnt null, 0x0
	s_barrier
	buffer_gl0_inv
.LBB17_84:
	s_and_b32 vcc_lo, exec_lo, s3
	s_cbranch_vccz .LBB17_86
; %bb.85:
	s_lshl_b64 s[2:3], s[18:19], 2
	v_mov_b32_e32 v1, 0
	s_add_u32 s2, s6, s2
	s_addc_u32 s3, s7, s3
	global_load_b32 v1, v1, s[2:3]
	s_waitcnt vmcnt(0)
	v_cmp_ne_u32_e32 vcc_lo, 0, v1
	s_cbranch_vccz .LBB17_87
.LBB17_86:
	s_endpgm
.LBB17_87:
	v_lshl_add_u32 v5, v49, 4, 0x120
	s_mov_b32 s2, exec_lo
	v_cmpx_eq_u32_e32 17, v49
	s_cbranch_execz .LBB17_89
; %bb.88:
	scratch_load_b128 v[1:4], v66, off
	v_mov_b32_e32 v6, 0
	s_delay_alu instid0(VALU_DEP_1)
	v_mov_b32_e32 v7, v6
	v_mov_b32_e32 v8, v6
	v_mov_b32_e32 v9, v6
	scratch_store_b128 off, v[6:9], off offset:256
	s_waitcnt vmcnt(0)
	ds_store_b128 v5, v[1:4]
.LBB17_89:
	s_or_b32 exec_lo, exec_lo, s2
	s_waitcnt lgkmcnt(0)
	s_waitcnt_vscnt null, 0x0
	s_barrier
	buffer_gl0_inv
	s_clause 0x1
	scratch_load_b128 v[6:9], off, off offset:272
	scratch_load_b128 v[67:70], off, off offset:256
	v_mov_b32_e32 v1, 0
	s_mov_b32 s2, exec_lo
	ds_load_b128 v[71:74], v1 offset:560
	s_waitcnt vmcnt(1) lgkmcnt(0)
	v_mul_f64 v[2:3], v[73:74], v[8:9]
	v_mul_f64 v[8:9], v[71:72], v[8:9]
	s_delay_alu instid0(VALU_DEP_2) | instskip(NEXT) | instid1(VALU_DEP_2)
	v_fma_f64 v[2:3], v[71:72], v[6:7], -v[2:3]
	v_fma_f64 v[6:7], v[73:74], v[6:7], v[8:9]
	s_delay_alu instid0(VALU_DEP_2) | instskip(NEXT) | instid1(VALU_DEP_2)
	v_add_f64 v[2:3], v[2:3], 0
	v_add_f64 v[8:9], v[6:7], 0
	s_waitcnt vmcnt(0)
	s_delay_alu instid0(VALU_DEP_2) | instskip(NEXT) | instid1(VALU_DEP_2)
	v_add_f64 v[6:7], v[67:68], -v[2:3]
	v_add_f64 v[8:9], v[69:70], -v[8:9]
	scratch_store_b128 off, v[6:9], off offset:256
	v_cmpx_lt_u32_e32 15, v49
	s_cbranch_execz .LBB17_91
; %bb.90:
	scratch_load_b128 v[6:9], v63, off
	v_mov_b32_e32 v2, v1
	v_mov_b32_e32 v3, v1
	;; [unrolled: 1-line block ×3, first 2 shown]
	scratch_store_b128 off, v[1:4], off offset:240
	s_waitcnt vmcnt(0)
	ds_store_b128 v5, v[6:9]
.LBB17_91:
	s_or_b32 exec_lo, exec_lo, s2
	s_waitcnt lgkmcnt(0)
	s_waitcnt_vscnt null, 0x0
	s_barrier
	buffer_gl0_inv
	s_clause 0x2
	scratch_load_b128 v[6:9], off, off offset:256
	scratch_load_b128 v[67:70], off, off offset:272
	;; [unrolled: 1-line block ×3, first 2 shown]
	ds_load_b128 v[75:78], v1 offset:544
	ds_load_b128 v[1:4], v1 offset:560
	s_mov_b32 s2, exec_lo
	s_waitcnt vmcnt(2) lgkmcnt(1)
	v_mul_f64 v[10:11], v[77:78], v[8:9]
	v_mul_f64 v[8:9], v[75:76], v[8:9]
	s_waitcnt vmcnt(1) lgkmcnt(0)
	v_mul_f64 v[79:80], v[1:2], v[69:70]
	v_mul_f64 v[69:70], v[3:4], v[69:70]
	s_delay_alu instid0(VALU_DEP_4) | instskip(NEXT) | instid1(VALU_DEP_4)
	v_fma_f64 v[10:11], v[75:76], v[6:7], -v[10:11]
	v_fma_f64 v[6:7], v[77:78], v[6:7], v[8:9]
	s_delay_alu instid0(VALU_DEP_4) | instskip(NEXT) | instid1(VALU_DEP_4)
	v_fma_f64 v[3:4], v[3:4], v[67:68], v[79:80]
	v_fma_f64 v[1:2], v[1:2], v[67:68], -v[69:70]
	s_delay_alu instid0(VALU_DEP_4) | instskip(NEXT) | instid1(VALU_DEP_4)
	v_add_f64 v[8:9], v[10:11], 0
	v_add_f64 v[6:7], v[6:7], 0
	s_delay_alu instid0(VALU_DEP_2) | instskip(NEXT) | instid1(VALU_DEP_2)
	v_add_f64 v[1:2], v[8:9], v[1:2]
	v_add_f64 v[3:4], v[6:7], v[3:4]
	s_waitcnt vmcnt(0)
	s_delay_alu instid0(VALU_DEP_2) | instskip(NEXT) | instid1(VALU_DEP_2)
	v_add_f64 v[1:2], v[71:72], -v[1:2]
	v_add_f64 v[3:4], v[73:74], -v[3:4]
	scratch_store_b128 off, v[1:4], off offset:240
	v_cmpx_lt_u32_e32 14, v49
	s_cbranch_execz .LBB17_93
; %bb.92:
	scratch_load_b128 v[1:4], v64, off
	v_mov_b32_e32 v6, 0
	s_delay_alu instid0(VALU_DEP_1)
	v_mov_b32_e32 v7, v6
	v_mov_b32_e32 v8, v6
	;; [unrolled: 1-line block ×3, first 2 shown]
	scratch_store_b128 off, v[6:9], off offset:224
	s_waitcnt vmcnt(0)
	ds_store_b128 v5, v[1:4]
.LBB17_93:
	s_or_b32 exec_lo, exec_lo, s2
	s_waitcnt lgkmcnt(0)
	s_waitcnt_vscnt null, 0x0
	s_barrier
	buffer_gl0_inv
	s_clause 0x3
	scratch_load_b128 v[6:9], off, off offset:240
	scratch_load_b128 v[67:70], off, off offset:256
	;; [unrolled: 1-line block ×4, first 2 shown]
	v_mov_b32_e32 v1, 0
	ds_load_b128 v[79:82], v1 offset:528
	ds_load_b128 v[83:86], v1 offset:544
	s_mov_b32 s2, exec_lo
	s_waitcnt vmcnt(3) lgkmcnt(1)
	v_mul_f64 v[2:3], v[81:82], v[8:9]
	v_mul_f64 v[8:9], v[79:80], v[8:9]
	s_waitcnt vmcnt(2) lgkmcnt(0)
	v_mul_f64 v[10:11], v[83:84], v[69:70]
	v_mul_f64 v[69:70], v[85:86], v[69:70]
	s_delay_alu instid0(VALU_DEP_4) | instskip(NEXT) | instid1(VALU_DEP_4)
	v_fma_f64 v[2:3], v[79:80], v[6:7], -v[2:3]
	v_fma_f64 v[79:80], v[81:82], v[6:7], v[8:9]
	ds_load_b128 v[6:9], v1 offset:560
	v_fma_f64 v[10:11], v[85:86], v[67:68], v[10:11]
	v_fma_f64 v[67:68], v[83:84], v[67:68], -v[69:70]
	s_waitcnt vmcnt(1) lgkmcnt(0)
	v_mul_f64 v[81:82], v[6:7], v[73:74]
	v_mul_f64 v[73:74], v[8:9], v[73:74]
	v_add_f64 v[2:3], v[2:3], 0
	v_add_f64 v[69:70], v[79:80], 0
	s_delay_alu instid0(VALU_DEP_4) | instskip(NEXT) | instid1(VALU_DEP_4)
	v_fma_f64 v[8:9], v[8:9], v[71:72], v[81:82]
	v_fma_f64 v[6:7], v[6:7], v[71:72], -v[73:74]
	s_delay_alu instid0(VALU_DEP_4) | instskip(NEXT) | instid1(VALU_DEP_4)
	v_add_f64 v[2:3], v[2:3], v[67:68]
	v_add_f64 v[10:11], v[69:70], v[10:11]
	s_delay_alu instid0(VALU_DEP_2) | instskip(NEXT) | instid1(VALU_DEP_2)
	v_add_f64 v[2:3], v[2:3], v[6:7]
	v_add_f64 v[8:9], v[10:11], v[8:9]
	s_waitcnt vmcnt(0)
	s_delay_alu instid0(VALU_DEP_2) | instskip(NEXT) | instid1(VALU_DEP_2)
	v_add_f64 v[6:7], v[75:76], -v[2:3]
	v_add_f64 v[8:9], v[77:78], -v[8:9]
	scratch_store_b128 off, v[6:9], off offset:224
	v_cmpx_lt_u32_e32 13, v49
	s_cbranch_execz .LBB17_95
; %bb.94:
	scratch_load_b128 v[6:9], v61, off
	v_mov_b32_e32 v2, v1
	v_mov_b32_e32 v3, v1
	v_mov_b32_e32 v4, v1
	scratch_store_b128 off, v[1:4], off offset:208
	s_waitcnt vmcnt(0)
	ds_store_b128 v5, v[6:9]
.LBB17_95:
	s_or_b32 exec_lo, exec_lo, s2
	s_waitcnt lgkmcnt(0)
	s_waitcnt_vscnt null, 0x0
	s_barrier
	buffer_gl0_inv
	s_clause 0x4
	scratch_load_b128 v[6:9], off, off offset:224
	scratch_load_b128 v[67:70], off, off offset:240
	;; [unrolled: 1-line block ×5, first 2 shown]
	ds_load_b128 v[83:86], v1 offset:512
	ds_load_b128 v[87:90], v1 offset:528
	s_mov_b32 s2, exec_lo
	s_waitcnt vmcnt(4) lgkmcnt(1)
	v_mul_f64 v[2:3], v[85:86], v[8:9]
	v_mul_f64 v[8:9], v[83:84], v[8:9]
	s_waitcnt vmcnt(3) lgkmcnt(0)
	v_mul_f64 v[10:11], v[87:88], v[69:70]
	v_mul_f64 v[69:70], v[89:90], v[69:70]
	s_delay_alu instid0(VALU_DEP_4) | instskip(NEXT) | instid1(VALU_DEP_4)
	v_fma_f64 v[83:84], v[83:84], v[6:7], -v[2:3]
	v_fma_f64 v[85:86], v[85:86], v[6:7], v[8:9]
	ds_load_b128 v[6:9], v1 offset:544
	ds_load_b128 v[1:4], v1 offset:560
	v_fma_f64 v[10:11], v[89:90], v[67:68], v[10:11]
	v_fma_f64 v[67:68], v[87:88], v[67:68], -v[69:70]
	s_waitcnt vmcnt(2) lgkmcnt(1)
	v_mul_f64 v[91:92], v[6:7], v[73:74]
	v_mul_f64 v[73:74], v[8:9], v[73:74]
	v_add_f64 v[69:70], v[83:84], 0
	v_add_f64 v[83:84], v[85:86], 0
	s_waitcnt vmcnt(1) lgkmcnt(0)
	v_mul_f64 v[85:86], v[1:2], v[77:78]
	v_mul_f64 v[77:78], v[3:4], v[77:78]
	v_fma_f64 v[8:9], v[8:9], v[71:72], v[91:92]
	v_fma_f64 v[6:7], v[6:7], v[71:72], -v[73:74]
	v_add_f64 v[67:68], v[69:70], v[67:68]
	v_add_f64 v[10:11], v[83:84], v[10:11]
	v_fma_f64 v[3:4], v[3:4], v[75:76], v[85:86]
	v_fma_f64 v[1:2], v[1:2], v[75:76], -v[77:78]
	s_delay_alu instid0(VALU_DEP_4) | instskip(NEXT) | instid1(VALU_DEP_4)
	v_add_f64 v[6:7], v[67:68], v[6:7]
	v_add_f64 v[8:9], v[10:11], v[8:9]
	s_delay_alu instid0(VALU_DEP_2) | instskip(NEXT) | instid1(VALU_DEP_2)
	v_add_f64 v[1:2], v[6:7], v[1:2]
	v_add_f64 v[3:4], v[8:9], v[3:4]
	s_waitcnt vmcnt(0)
	s_delay_alu instid0(VALU_DEP_2) | instskip(NEXT) | instid1(VALU_DEP_2)
	v_add_f64 v[1:2], v[79:80], -v[1:2]
	v_add_f64 v[3:4], v[81:82], -v[3:4]
	scratch_store_b128 off, v[1:4], off offset:208
	v_cmpx_lt_u32_e32 12, v49
	s_cbranch_execz .LBB17_97
; %bb.96:
	scratch_load_b128 v[1:4], v62, off
	v_mov_b32_e32 v6, 0
	s_delay_alu instid0(VALU_DEP_1)
	v_mov_b32_e32 v7, v6
	v_mov_b32_e32 v8, v6
	;; [unrolled: 1-line block ×3, first 2 shown]
	scratch_store_b128 off, v[6:9], off offset:192
	s_waitcnt vmcnt(0)
	ds_store_b128 v5, v[1:4]
.LBB17_97:
	s_or_b32 exec_lo, exec_lo, s2
	s_waitcnt lgkmcnt(0)
	s_waitcnt_vscnt null, 0x0
	s_barrier
	buffer_gl0_inv
	s_clause 0x5
	scratch_load_b128 v[6:9], off, off offset:208
	scratch_load_b128 v[67:70], off, off offset:224
	;; [unrolled: 1-line block ×6, first 2 shown]
	v_mov_b32_e32 v1, 0
	ds_load_b128 v[87:90], v1 offset:496
	ds_load_b128 v[91:94], v1 offset:512
	s_mov_b32 s2, exec_lo
	s_waitcnt vmcnt(5) lgkmcnt(1)
	v_mul_f64 v[2:3], v[89:90], v[8:9]
	v_mul_f64 v[8:9], v[87:88], v[8:9]
	s_waitcnt vmcnt(4) lgkmcnt(0)
	v_mul_f64 v[10:11], v[91:92], v[69:70]
	v_mul_f64 v[69:70], v[93:94], v[69:70]
	s_delay_alu instid0(VALU_DEP_4) | instskip(NEXT) | instid1(VALU_DEP_4)
	v_fma_f64 v[2:3], v[87:88], v[6:7], -v[2:3]
	v_fma_f64 v[95:96], v[89:90], v[6:7], v[8:9]
	ds_load_b128 v[6:9], v1 offset:528
	ds_load_b128 v[87:90], v1 offset:544
	v_fma_f64 v[10:11], v[93:94], v[67:68], v[10:11]
	v_fma_f64 v[67:68], v[91:92], v[67:68], -v[69:70]
	s_waitcnt vmcnt(3) lgkmcnt(1)
	v_mul_f64 v[97:98], v[6:7], v[73:74]
	v_mul_f64 v[73:74], v[8:9], v[73:74]
	s_waitcnt vmcnt(2) lgkmcnt(0)
	v_mul_f64 v[91:92], v[87:88], v[77:78]
	v_mul_f64 v[77:78], v[89:90], v[77:78]
	v_add_f64 v[2:3], v[2:3], 0
	v_add_f64 v[69:70], v[95:96], 0
	v_fma_f64 v[93:94], v[8:9], v[71:72], v[97:98]
	v_fma_f64 v[71:72], v[6:7], v[71:72], -v[73:74]
	ds_load_b128 v[6:9], v1 offset:560
	v_fma_f64 v[73:74], v[89:90], v[75:76], v[91:92]
	v_fma_f64 v[75:76], v[87:88], v[75:76], -v[77:78]
	v_add_f64 v[2:3], v[2:3], v[67:68]
	v_add_f64 v[10:11], v[69:70], v[10:11]
	s_waitcnt vmcnt(1) lgkmcnt(0)
	v_mul_f64 v[67:68], v[6:7], v[81:82]
	v_mul_f64 v[69:70], v[8:9], v[81:82]
	s_delay_alu instid0(VALU_DEP_4) | instskip(NEXT) | instid1(VALU_DEP_4)
	v_add_f64 v[2:3], v[2:3], v[71:72]
	v_add_f64 v[10:11], v[10:11], v[93:94]
	s_delay_alu instid0(VALU_DEP_4) | instskip(NEXT) | instid1(VALU_DEP_4)
	v_fma_f64 v[8:9], v[8:9], v[79:80], v[67:68]
	v_fma_f64 v[6:7], v[6:7], v[79:80], -v[69:70]
	s_delay_alu instid0(VALU_DEP_4) | instskip(NEXT) | instid1(VALU_DEP_4)
	v_add_f64 v[2:3], v[2:3], v[75:76]
	v_add_f64 v[10:11], v[10:11], v[73:74]
	s_delay_alu instid0(VALU_DEP_2) | instskip(NEXT) | instid1(VALU_DEP_2)
	v_add_f64 v[2:3], v[2:3], v[6:7]
	v_add_f64 v[8:9], v[10:11], v[8:9]
	s_waitcnt vmcnt(0)
	s_delay_alu instid0(VALU_DEP_2) | instskip(NEXT) | instid1(VALU_DEP_2)
	v_add_f64 v[6:7], v[83:84], -v[2:3]
	v_add_f64 v[8:9], v[85:86], -v[8:9]
	scratch_store_b128 off, v[6:9], off offset:192
	v_cmpx_lt_u32_e32 11, v49
	s_cbranch_execz .LBB17_99
; %bb.98:
	scratch_load_b128 v[6:9], v59, off
	v_mov_b32_e32 v2, v1
	v_mov_b32_e32 v3, v1
	;; [unrolled: 1-line block ×3, first 2 shown]
	scratch_store_b128 off, v[1:4], off offset:176
	s_waitcnt vmcnt(0)
	ds_store_b128 v5, v[6:9]
.LBB17_99:
	s_or_b32 exec_lo, exec_lo, s2
	s_waitcnt lgkmcnt(0)
	s_waitcnt_vscnt null, 0x0
	s_barrier
	buffer_gl0_inv
	s_clause 0x5
	scratch_load_b128 v[6:9], off, off offset:192
	scratch_load_b128 v[67:70], off, off offset:208
	;; [unrolled: 1-line block ×6, first 2 shown]
	ds_load_b128 v[87:90], v1 offset:480
	ds_load_b128 v[95:98], v1 offset:496
	scratch_load_b128 v[91:94], off, off offset:176
	s_mov_b32 s2, exec_lo
	s_waitcnt vmcnt(6) lgkmcnt(1)
	v_mul_f64 v[2:3], v[89:90], v[8:9]
	v_mul_f64 v[8:9], v[87:88], v[8:9]
	s_waitcnt vmcnt(5) lgkmcnt(0)
	v_mul_f64 v[10:11], v[95:96], v[69:70]
	v_mul_f64 v[69:70], v[97:98], v[69:70]
	s_delay_alu instid0(VALU_DEP_4) | instskip(NEXT) | instid1(VALU_DEP_4)
	v_fma_f64 v[2:3], v[87:88], v[6:7], -v[2:3]
	v_fma_f64 v[99:100], v[89:90], v[6:7], v[8:9]
	ds_load_b128 v[6:9], v1 offset:512
	ds_load_b128 v[87:90], v1 offset:528
	v_fma_f64 v[10:11], v[97:98], v[67:68], v[10:11]
	v_fma_f64 v[67:68], v[95:96], v[67:68], -v[69:70]
	s_waitcnt vmcnt(4) lgkmcnt(1)
	v_mul_f64 v[101:102], v[6:7], v[73:74]
	v_mul_f64 v[73:74], v[8:9], v[73:74]
	s_waitcnt vmcnt(3) lgkmcnt(0)
	v_mul_f64 v[95:96], v[87:88], v[77:78]
	v_mul_f64 v[77:78], v[89:90], v[77:78]
	v_add_f64 v[2:3], v[2:3], 0
	v_add_f64 v[69:70], v[99:100], 0
	v_fma_f64 v[97:98], v[8:9], v[71:72], v[101:102]
	v_fma_f64 v[71:72], v[6:7], v[71:72], -v[73:74]
	s_delay_alu instid0(VALU_DEP_4) | instskip(NEXT) | instid1(VALU_DEP_4)
	v_add_f64 v[67:68], v[2:3], v[67:68]
	v_add_f64 v[10:11], v[69:70], v[10:11]
	ds_load_b128 v[6:9], v1 offset:544
	ds_load_b128 v[1:4], v1 offset:560
	s_waitcnt vmcnt(2) lgkmcnt(1)
	v_mul_f64 v[69:70], v[6:7], v[81:82]
	v_mul_f64 v[73:74], v[8:9], v[81:82]
	v_fma_f64 v[81:82], v[89:90], v[75:76], v[95:96]
	v_fma_f64 v[75:76], v[87:88], v[75:76], -v[77:78]
	s_waitcnt vmcnt(1) lgkmcnt(0)
	v_mul_f64 v[77:78], v[3:4], v[85:86]
	v_add_f64 v[67:68], v[67:68], v[71:72]
	v_add_f64 v[10:11], v[10:11], v[97:98]
	v_mul_f64 v[71:72], v[1:2], v[85:86]
	v_fma_f64 v[8:9], v[8:9], v[79:80], v[69:70]
	v_fma_f64 v[6:7], v[6:7], v[79:80], -v[73:74]
	v_fma_f64 v[1:2], v[1:2], v[83:84], -v[77:78]
	v_add_f64 v[67:68], v[67:68], v[75:76]
	v_add_f64 v[10:11], v[10:11], v[81:82]
	v_fma_f64 v[3:4], v[3:4], v[83:84], v[71:72]
	s_delay_alu instid0(VALU_DEP_3) | instskip(NEXT) | instid1(VALU_DEP_3)
	v_add_f64 v[6:7], v[67:68], v[6:7]
	v_add_f64 v[8:9], v[10:11], v[8:9]
	s_delay_alu instid0(VALU_DEP_2) | instskip(NEXT) | instid1(VALU_DEP_2)
	v_add_f64 v[1:2], v[6:7], v[1:2]
	v_add_f64 v[3:4], v[8:9], v[3:4]
	s_waitcnt vmcnt(0)
	s_delay_alu instid0(VALU_DEP_2) | instskip(NEXT) | instid1(VALU_DEP_2)
	v_add_f64 v[1:2], v[91:92], -v[1:2]
	v_add_f64 v[3:4], v[93:94], -v[3:4]
	scratch_store_b128 off, v[1:4], off offset:176
	v_cmpx_lt_u32_e32 10, v49
	s_cbranch_execz .LBB17_101
; %bb.100:
	scratch_load_b128 v[1:4], v60, off
	v_mov_b32_e32 v6, 0
	s_delay_alu instid0(VALU_DEP_1)
	v_mov_b32_e32 v7, v6
	v_mov_b32_e32 v8, v6
	;; [unrolled: 1-line block ×3, first 2 shown]
	scratch_store_b128 off, v[6:9], off offset:160
	s_waitcnt vmcnt(0)
	ds_store_b128 v5, v[1:4]
.LBB17_101:
	s_or_b32 exec_lo, exec_lo, s2
	s_waitcnt lgkmcnt(0)
	s_waitcnt_vscnt null, 0x0
	s_barrier
	buffer_gl0_inv
	s_clause 0x6
	scratch_load_b128 v[6:9], off, off offset:176
	scratch_load_b128 v[67:70], off, off offset:192
	;; [unrolled: 1-line block ×7, first 2 shown]
	v_mov_b32_e32 v1, 0
	scratch_load_b128 v[95:98], off, off offset:160
	s_mov_b32 s2, exec_lo
	ds_load_b128 v[91:94], v1 offset:464
	ds_load_b128 v[99:102], v1 offset:480
	s_waitcnt vmcnt(7) lgkmcnt(1)
	v_mul_f64 v[2:3], v[93:94], v[8:9]
	v_mul_f64 v[8:9], v[91:92], v[8:9]
	s_waitcnt vmcnt(6) lgkmcnt(0)
	v_mul_f64 v[10:11], v[99:100], v[69:70]
	v_mul_f64 v[69:70], v[101:102], v[69:70]
	s_delay_alu instid0(VALU_DEP_4) | instskip(NEXT) | instid1(VALU_DEP_4)
	v_fma_f64 v[2:3], v[91:92], v[6:7], -v[2:3]
	v_fma_f64 v[103:104], v[93:94], v[6:7], v[8:9]
	ds_load_b128 v[6:9], v1 offset:496
	ds_load_b128 v[91:94], v1 offset:512
	v_fma_f64 v[10:11], v[101:102], v[67:68], v[10:11]
	v_fma_f64 v[67:68], v[99:100], v[67:68], -v[69:70]
	s_waitcnt vmcnt(5) lgkmcnt(1)
	v_mul_f64 v[105:106], v[6:7], v[73:74]
	v_mul_f64 v[73:74], v[8:9], v[73:74]
	s_waitcnt vmcnt(4) lgkmcnt(0)
	v_mul_f64 v[99:100], v[91:92], v[77:78]
	v_mul_f64 v[77:78], v[93:94], v[77:78]
	v_add_f64 v[2:3], v[2:3], 0
	v_add_f64 v[69:70], v[103:104], 0
	v_fma_f64 v[101:102], v[8:9], v[71:72], v[105:106]
	v_fma_f64 v[71:72], v[6:7], v[71:72], -v[73:74]
	v_fma_f64 v[93:94], v[93:94], v[75:76], v[99:100]
	v_fma_f64 v[75:76], v[91:92], v[75:76], -v[77:78]
	v_add_f64 v[2:3], v[2:3], v[67:68]
	v_add_f64 v[10:11], v[69:70], v[10:11]
	ds_load_b128 v[6:9], v1 offset:528
	ds_load_b128 v[67:70], v1 offset:544
	s_waitcnt vmcnt(3) lgkmcnt(1)
	v_mul_f64 v[73:74], v[6:7], v[81:82]
	v_mul_f64 v[81:82], v[8:9], v[81:82]
	s_waitcnt vmcnt(2) lgkmcnt(0)
	v_mul_f64 v[77:78], v[69:70], v[85:86]
	v_add_f64 v[2:3], v[2:3], v[71:72]
	v_add_f64 v[10:11], v[10:11], v[101:102]
	v_mul_f64 v[71:72], v[67:68], v[85:86]
	v_fma_f64 v[73:74], v[8:9], v[79:80], v[73:74]
	v_fma_f64 v[79:80], v[6:7], v[79:80], -v[81:82]
	ds_load_b128 v[6:9], v1 offset:560
	v_fma_f64 v[67:68], v[67:68], v[83:84], -v[77:78]
	v_add_f64 v[2:3], v[2:3], v[75:76]
	v_add_f64 v[10:11], v[10:11], v[93:94]
	v_fma_f64 v[69:70], v[69:70], v[83:84], v[71:72]
	s_waitcnt vmcnt(1) lgkmcnt(0)
	v_mul_f64 v[75:76], v[6:7], v[89:90]
	v_mul_f64 v[81:82], v[8:9], v[89:90]
	v_add_f64 v[2:3], v[2:3], v[79:80]
	v_add_f64 v[10:11], v[10:11], v[73:74]
	s_delay_alu instid0(VALU_DEP_4) | instskip(NEXT) | instid1(VALU_DEP_4)
	v_fma_f64 v[8:9], v[8:9], v[87:88], v[75:76]
	v_fma_f64 v[6:7], v[6:7], v[87:88], -v[81:82]
	s_delay_alu instid0(VALU_DEP_4) | instskip(NEXT) | instid1(VALU_DEP_4)
	v_add_f64 v[2:3], v[2:3], v[67:68]
	v_add_f64 v[10:11], v[10:11], v[69:70]
	s_delay_alu instid0(VALU_DEP_2) | instskip(NEXT) | instid1(VALU_DEP_2)
	v_add_f64 v[2:3], v[2:3], v[6:7]
	v_add_f64 v[8:9], v[10:11], v[8:9]
	s_waitcnt vmcnt(0)
	s_delay_alu instid0(VALU_DEP_2) | instskip(NEXT) | instid1(VALU_DEP_2)
	v_add_f64 v[6:7], v[95:96], -v[2:3]
	v_add_f64 v[8:9], v[97:98], -v[8:9]
	scratch_store_b128 off, v[6:9], off offset:160
	v_cmpx_lt_u32_e32 9, v49
	s_cbranch_execz .LBB17_103
; %bb.102:
	scratch_load_b128 v[6:9], v57, off
	v_mov_b32_e32 v2, v1
	v_mov_b32_e32 v3, v1
	;; [unrolled: 1-line block ×3, first 2 shown]
	scratch_store_b128 off, v[1:4], off offset:144
	s_waitcnt vmcnt(0)
	ds_store_b128 v5, v[6:9]
.LBB17_103:
	s_or_b32 exec_lo, exec_lo, s2
	s_waitcnt lgkmcnt(0)
	s_waitcnt_vscnt null, 0x0
	s_barrier
	buffer_gl0_inv
	s_clause 0x7
	scratch_load_b128 v[6:9], off, off offset:160
	scratch_load_b128 v[67:70], off, off offset:176
	;; [unrolled: 1-line block ×8, first 2 shown]
	ds_load_b128 v[95:98], v1 offset:448
	ds_load_b128 v[99:102], v1 offset:464
	scratch_load_b128 v[103:106], off, off offset:144
	s_mov_b32 s2, exec_lo
	s_waitcnt vmcnt(8) lgkmcnt(1)
	v_mul_f64 v[2:3], v[97:98], v[8:9]
	v_mul_f64 v[8:9], v[95:96], v[8:9]
	s_waitcnt vmcnt(7) lgkmcnt(0)
	v_mul_f64 v[10:11], v[99:100], v[69:70]
	v_mul_f64 v[69:70], v[101:102], v[69:70]
	s_delay_alu instid0(VALU_DEP_4) | instskip(NEXT) | instid1(VALU_DEP_4)
	v_fma_f64 v[2:3], v[95:96], v[6:7], -v[2:3]
	v_fma_f64 v[107:108], v[97:98], v[6:7], v[8:9]
	ds_load_b128 v[6:9], v1 offset:480
	ds_load_b128 v[95:98], v1 offset:496
	v_fma_f64 v[10:11], v[101:102], v[67:68], v[10:11]
	v_fma_f64 v[67:68], v[99:100], v[67:68], -v[69:70]
	s_waitcnt vmcnt(6) lgkmcnt(1)
	v_mul_f64 v[109:110], v[6:7], v[73:74]
	v_mul_f64 v[73:74], v[8:9], v[73:74]
	s_waitcnt vmcnt(5) lgkmcnt(0)
	v_mul_f64 v[99:100], v[95:96], v[77:78]
	v_mul_f64 v[77:78], v[97:98], v[77:78]
	v_add_f64 v[2:3], v[2:3], 0
	v_add_f64 v[69:70], v[107:108], 0
	v_fma_f64 v[101:102], v[8:9], v[71:72], v[109:110]
	v_fma_f64 v[71:72], v[6:7], v[71:72], -v[73:74]
	v_fma_f64 v[97:98], v[97:98], v[75:76], v[99:100]
	v_fma_f64 v[75:76], v[95:96], v[75:76], -v[77:78]
	v_add_f64 v[2:3], v[2:3], v[67:68]
	v_add_f64 v[10:11], v[69:70], v[10:11]
	ds_load_b128 v[6:9], v1 offset:512
	ds_load_b128 v[67:70], v1 offset:528
	s_waitcnt vmcnt(4) lgkmcnt(1)
	v_mul_f64 v[73:74], v[6:7], v[81:82]
	v_mul_f64 v[81:82], v[8:9], v[81:82]
	s_waitcnt vmcnt(3) lgkmcnt(0)
	v_mul_f64 v[77:78], v[69:70], v[85:86]
	v_add_f64 v[2:3], v[2:3], v[71:72]
	v_add_f64 v[10:11], v[10:11], v[101:102]
	v_mul_f64 v[71:72], v[67:68], v[85:86]
	v_fma_f64 v[73:74], v[8:9], v[79:80], v[73:74]
	v_fma_f64 v[79:80], v[6:7], v[79:80], -v[81:82]
	v_fma_f64 v[67:68], v[67:68], v[83:84], -v[77:78]
	v_add_f64 v[75:76], v[2:3], v[75:76]
	v_add_f64 v[10:11], v[10:11], v[97:98]
	ds_load_b128 v[6:9], v1 offset:544
	ds_load_b128 v[1:4], v1 offset:560
	v_fma_f64 v[69:70], v[69:70], v[83:84], v[71:72]
	s_waitcnt vmcnt(2) lgkmcnt(1)
	v_mul_f64 v[81:82], v[6:7], v[89:90]
	v_mul_f64 v[85:86], v[8:9], v[89:90]
	v_add_f64 v[71:72], v[75:76], v[79:80]
	v_add_f64 v[10:11], v[10:11], v[73:74]
	s_waitcnt vmcnt(1) lgkmcnt(0)
	v_mul_f64 v[73:74], v[1:2], v[93:94]
	v_mul_f64 v[75:76], v[3:4], v[93:94]
	v_fma_f64 v[8:9], v[8:9], v[87:88], v[81:82]
	v_fma_f64 v[6:7], v[6:7], v[87:88], -v[85:86]
	v_add_f64 v[67:68], v[71:72], v[67:68]
	v_add_f64 v[10:11], v[10:11], v[69:70]
	v_fma_f64 v[3:4], v[3:4], v[91:92], v[73:74]
	v_fma_f64 v[1:2], v[1:2], v[91:92], -v[75:76]
	s_delay_alu instid0(VALU_DEP_4) | instskip(NEXT) | instid1(VALU_DEP_4)
	v_add_f64 v[6:7], v[67:68], v[6:7]
	v_add_f64 v[8:9], v[10:11], v[8:9]
	s_delay_alu instid0(VALU_DEP_2) | instskip(NEXT) | instid1(VALU_DEP_2)
	v_add_f64 v[1:2], v[6:7], v[1:2]
	v_add_f64 v[3:4], v[8:9], v[3:4]
	s_waitcnt vmcnt(0)
	s_delay_alu instid0(VALU_DEP_2) | instskip(NEXT) | instid1(VALU_DEP_2)
	v_add_f64 v[1:2], v[103:104], -v[1:2]
	v_add_f64 v[3:4], v[105:106], -v[3:4]
	scratch_store_b128 off, v[1:4], off offset:144
	v_cmpx_lt_u32_e32 8, v49
	s_cbranch_execz .LBB17_105
; %bb.104:
	scratch_load_b128 v[1:4], v58, off
	v_mov_b32_e32 v6, 0
	s_delay_alu instid0(VALU_DEP_1)
	v_mov_b32_e32 v7, v6
	v_mov_b32_e32 v8, v6
	;; [unrolled: 1-line block ×3, first 2 shown]
	scratch_store_b128 off, v[6:9], off offset:128
	s_waitcnt vmcnt(0)
	ds_store_b128 v5, v[1:4]
.LBB17_105:
	s_or_b32 exec_lo, exec_lo, s2
	s_waitcnt lgkmcnt(0)
	s_waitcnt_vscnt null, 0x0
	s_barrier
	buffer_gl0_inv
	s_clause 0x7
	scratch_load_b128 v[6:9], off, off offset:144
	scratch_load_b128 v[67:70], off, off offset:160
	;; [unrolled: 1-line block ×8, first 2 shown]
	v_mov_b32_e32 v1, 0
	s_mov_b32 s2, exec_lo
	ds_load_b128 v[95:98], v1 offset:432
	s_clause 0x1
	scratch_load_b128 v[99:102], off, off offset:272
	scratch_load_b128 v[103:106], off, off offset:128
	ds_load_b128 v[107:110], v1 offset:448
	s_waitcnt vmcnt(9) lgkmcnt(1)
	v_mul_f64 v[2:3], v[97:98], v[8:9]
	v_mul_f64 v[8:9], v[95:96], v[8:9]
	s_waitcnt vmcnt(8) lgkmcnt(0)
	v_mul_f64 v[10:11], v[107:108], v[69:70]
	v_mul_f64 v[69:70], v[109:110], v[69:70]
	s_delay_alu instid0(VALU_DEP_4) | instskip(NEXT) | instid1(VALU_DEP_4)
	v_fma_f64 v[2:3], v[95:96], v[6:7], -v[2:3]
	v_fma_f64 v[111:112], v[97:98], v[6:7], v[8:9]
	ds_load_b128 v[6:9], v1 offset:464
	ds_load_b128 v[95:98], v1 offset:480
	v_fma_f64 v[10:11], v[109:110], v[67:68], v[10:11]
	v_fma_f64 v[67:68], v[107:108], v[67:68], -v[69:70]
	s_waitcnt vmcnt(7) lgkmcnt(1)
	v_mul_f64 v[113:114], v[6:7], v[73:74]
	v_mul_f64 v[73:74], v[8:9], v[73:74]
	s_waitcnt vmcnt(6) lgkmcnt(0)
	v_mul_f64 v[107:108], v[95:96], v[77:78]
	v_mul_f64 v[77:78], v[97:98], v[77:78]
	v_add_f64 v[2:3], v[2:3], 0
	v_add_f64 v[69:70], v[111:112], 0
	v_fma_f64 v[109:110], v[8:9], v[71:72], v[113:114]
	v_fma_f64 v[71:72], v[6:7], v[71:72], -v[73:74]
	v_fma_f64 v[97:98], v[97:98], v[75:76], v[107:108]
	v_fma_f64 v[75:76], v[95:96], v[75:76], -v[77:78]
	v_add_f64 v[2:3], v[2:3], v[67:68]
	v_add_f64 v[10:11], v[69:70], v[10:11]
	ds_load_b128 v[6:9], v1 offset:496
	ds_load_b128 v[67:70], v1 offset:512
	s_waitcnt vmcnt(5) lgkmcnt(1)
	v_mul_f64 v[73:74], v[6:7], v[81:82]
	v_mul_f64 v[81:82], v[8:9], v[81:82]
	s_waitcnt vmcnt(4) lgkmcnt(0)
	v_mul_f64 v[77:78], v[67:68], v[85:86]
	v_mul_f64 v[85:86], v[69:70], v[85:86]
	v_add_f64 v[2:3], v[2:3], v[71:72]
	v_add_f64 v[10:11], v[10:11], v[109:110]
	v_fma_f64 v[95:96], v[8:9], v[79:80], v[73:74]
	v_fma_f64 v[79:80], v[6:7], v[79:80], -v[81:82]
	ds_load_b128 v[6:9], v1 offset:528
	ds_load_b128 v[71:74], v1 offset:544
	v_fma_f64 v[69:70], v[69:70], v[83:84], v[77:78]
	v_fma_f64 v[67:68], v[67:68], v[83:84], -v[85:86]
	v_add_f64 v[2:3], v[2:3], v[75:76]
	v_add_f64 v[10:11], v[10:11], v[97:98]
	s_waitcnt vmcnt(3) lgkmcnt(1)
	v_mul_f64 v[75:76], v[6:7], v[89:90]
	v_mul_f64 v[81:82], v[8:9], v[89:90]
	s_waitcnt vmcnt(2) lgkmcnt(0)
	v_mul_f64 v[77:78], v[71:72], v[93:94]
	v_add_f64 v[2:3], v[2:3], v[79:80]
	v_add_f64 v[10:11], v[10:11], v[95:96]
	v_mul_f64 v[79:80], v[73:74], v[93:94]
	v_fma_f64 v[75:76], v[8:9], v[87:88], v[75:76]
	v_fma_f64 v[81:82], v[6:7], v[87:88], -v[81:82]
	ds_load_b128 v[6:9], v1 offset:560
	v_fma_f64 v[73:74], v[73:74], v[91:92], v[77:78]
	v_add_f64 v[2:3], v[2:3], v[67:68]
	v_add_f64 v[10:11], v[10:11], v[69:70]
	s_waitcnt vmcnt(1) lgkmcnt(0)
	v_mul_f64 v[67:68], v[6:7], v[101:102]
	v_mul_f64 v[69:70], v[8:9], v[101:102]
	v_fma_f64 v[71:72], v[71:72], v[91:92], -v[79:80]
	v_add_f64 v[2:3], v[2:3], v[81:82]
	v_add_f64 v[10:11], v[10:11], v[75:76]
	v_fma_f64 v[8:9], v[8:9], v[99:100], v[67:68]
	v_fma_f64 v[6:7], v[6:7], v[99:100], -v[69:70]
	s_delay_alu instid0(VALU_DEP_4) | instskip(NEXT) | instid1(VALU_DEP_4)
	v_add_f64 v[2:3], v[2:3], v[71:72]
	v_add_f64 v[10:11], v[10:11], v[73:74]
	s_delay_alu instid0(VALU_DEP_2) | instskip(NEXT) | instid1(VALU_DEP_2)
	v_add_f64 v[2:3], v[2:3], v[6:7]
	v_add_f64 v[8:9], v[10:11], v[8:9]
	s_waitcnt vmcnt(0)
	s_delay_alu instid0(VALU_DEP_2) | instskip(NEXT) | instid1(VALU_DEP_2)
	v_add_f64 v[6:7], v[103:104], -v[2:3]
	v_add_f64 v[8:9], v[105:106], -v[8:9]
	scratch_store_b128 off, v[6:9], off offset:128
	v_cmpx_lt_u32_e32 7, v49
	s_cbranch_execz .LBB17_107
; %bb.106:
	scratch_load_b128 v[6:9], v55, off
	v_mov_b32_e32 v2, v1
	v_mov_b32_e32 v3, v1
	;; [unrolled: 1-line block ×3, first 2 shown]
	scratch_store_b128 off, v[1:4], off offset:112
	s_waitcnt vmcnt(0)
	ds_store_b128 v5, v[6:9]
.LBB17_107:
	s_or_b32 exec_lo, exec_lo, s2
	s_waitcnt lgkmcnt(0)
	s_waitcnt_vscnt null, 0x0
	s_barrier
	buffer_gl0_inv
	s_clause 0x8
	scratch_load_b128 v[6:9], off, off offset:128
	scratch_load_b128 v[67:70], off, off offset:144
	scratch_load_b128 v[71:74], off, off offset:160
	scratch_load_b128 v[75:78], off, off offset:176
	scratch_load_b128 v[79:82], off, off offset:192
	scratch_load_b128 v[83:86], off, off offset:208
	scratch_load_b128 v[87:90], off, off offset:224
	scratch_load_b128 v[91:94], off, off offset:240
	scratch_load_b128 v[95:98], off, off offset:256
	ds_load_b128 v[99:102], v1 offset:416
	ds_load_b128 v[103:106], v1 offset:432
	scratch_load_b128 v[107:110], off, off offset:112
	s_mov_b32 s2, exec_lo
	s_waitcnt vmcnt(9) lgkmcnt(1)
	v_mul_f64 v[2:3], v[101:102], v[8:9]
	v_mul_f64 v[111:112], v[99:100], v[8:9]
	scratch_load_b128 v[8:11], off, off offset:272
	s_waitcnt vmcnt(9) lgkmcnt(0)
	v_mul_f64 v[115:116], v[103:104], v[69:70]
	v_mul_f64 v[69:70], v[105:106], v[69:70]
	v_fma_f64 v[2:3], v[99:100], v[6:7], -v[2:3]
	v_fma_f64 v[6:7], v[101:102], v[6:7], v[111:112]
	ds_load_b128 v[99:102], v1 offset:448
	ds_load_b128 v[111:114], v1 offset:464
	v_fma_f64 v[105:106], v[105:106], v[67:68], v[115:116]
	v_fma_f64 v[67:68], v[103:104], v[67:68], -v[69:70]
	s_waitcnt vmcnt(8) lgkmcnt(1)
	v_mul_f64 v[117:118], v[99:100], v[73:74]
	v_mul_f64 v[73:74], v[101:102], v[73:74]
	s_waitcnt vmcnt(7) lgkmcnt(0)
	v_mul_f64 v[103:104], v[111:112], v[77:78]
	v_mul_f64 v[77:78], v[113:114], v[77:78]
	v_add_f64 v[2:3], v[2:3], 0
	v_add_f64 v[6:7], v[6:7], 0
	v_fma_f64 v[101:102], v[101:102], v[71:72], v[117:118]
	v_fma_f64 v[99:100], v[99:100], v[71:72], -v[73:74]
	v_fma_f64 v[103:104], v[113:114], v[75:76], v[103:104]
	v_fma_f64 v[75:76], v[111:112], v[75:76], -v[77:78]
	v_add_f64 v[2:3], v[2:3], v[67:68]
	v_add_f64 v[6:7], v[6:7], v[105:106]
	ds_load_b128 v[67:70], v1 offset:480
	ds_load_b128 v[71:74], v1 offset:496
	s_waitcnt vmcnt(6) lgkmcnt(1)
	v_mul_f64 v[105:106], v[67:68], v[81:82]
	v_mul_f64 v[81:82], v[69:70], v[81:82]
	v_add_f64 v[2:3], v[2:3], v[99:100]
	v_add_f64 v[6:7], v[6:7], v[101:102]
	s_waitcnt vmcnt(5) lgkmcnt(0)
	v_mul_f64 v[99:100], v[71:72], v[85:86]
	v_mul_f64 v[85:86], v[73:74], v[85:86]
	v_fma_f64 v[101:102], v[69:70], v[79:80], v[105:106]
	v_fma_f64 v[79:80], v[67:68], v[79:80], -v[81:82]
	v_add_f64 v[2:3], v[2:3], v[75:76]
	v_add_f64 v[6:7], v[6:7], v[103:104]
	ds_load_b128 v[67:70], v1 offset:512
	ds_load_b128 v[75:78], v1 offset:528
	v_fma_f64 v[73:74], v[73:74], v[83:84], v[99:100]
	v_fma_f64 v[71:72], v[71:72], v[83:84], -v[85:86]
	s_waitcnt vmcnt(4) lgkmcnt(1)
	v_mul_f64 v[81:82], v[67:68], v[89:90]
	v_mul_f64 v[89:90], v[69:70], v[89:90]
	s_waitcnt vmcnt(3) lgkmcnt(0)
	v_mul_f64 v[83:84], v[77:78], v[93:94]
	v_add_f64 v[2:3], v[2:3], v[79:80]
	v_add_f64 v[6:7], v[6:7], v[101:102]
	v_mul_f64 v[79:80], v[75:76], v[93:94]
	v_fma_f64 v[81:82], v[69:70], v[87:88], v[81:82]
	v_fma_f64 v[85:86], v[67:68], v[87:88], -v[89:90]
	v_fma_f64 v[75:76], v[75:76], v[91:92], -v[83:84]
	v_add_f64 v[71:72], v[2:3], v[71:72]
	v_add_f64 v[6:7], v[6:7], v[73:74]
	ds_load_b128 v[67:70], v1 offset:544
	ds_load_b128 v[1:4], v1 offset:560
	v_fma_f64 v[77:78], v[77:78], v[91:92], v[79:80]
	s_waitcnt vmcnt(2) lgkmcnt(1)
	v_mul_f64 v[73:74], v[67:68], v[97:98]
	v_mul_f64 v[87:88], v[69:70], v[97:98]
	v_add_f64 v[71:72], v[71:72], v[85:86]
	v_add_f64 v[6:7], v[6:7], v[81:82]
	s_waitcnt vmcnt(0) lgkmcnt(0)
	v_mul_f64 v[79:80], v[1:2], v[10:11]
	v_mul_f64 v[10:11], v[3:4], v[10:11]
	v_fma_f64 v[69:70], v[69:70], v[95:96], v[73:74]
	v_fma_f64 v[67:68], v[67:68], v[95:96], -v[87:88]
	v_add_f64 v[71:72], v[71:72], v[75:76]
	v_add_f64 v[6:7], v[6:7], v[77:78]
	v_fma_f64 v[3:4], v[3:4], v[8:9], v[79:80]
	v_fma_f64 v[1:2], v[1:2], v[8:9], -v[10:11]
	s_delay_alu instid0(VALU_DEP_4) | instskip(NEXT) | instid1(VALU_DEP_4)
	v_add_f64 v[8:9], v[71:72], v[67:68]
	v_add_f64 v[6:7], v[6:7], v[69:70]
	s_delay_alu instid0(VALU_DEP_2) | instskip(NEXT) | instid1(VALU_DEP_2)
	v_add_f64 v[1:2], v[8:9], v[1:2]
	v_add_f64 v[3:4], v[6:7], v[3:4]
	s_delay_alu instid0(VALU_DEP_2) | instskip(NEXT) | instid1(VALU_DEP_2)
	v_add_f64 v[1:2], v[107:108], -v[1:2]
	v_add_f64 v[3:4], v[109:110], -v[3:4]
	scratch_store_b128 off, v[1:4], off offset:112
	v_cmpx_lt_u32_e32 6, v49
	s_cbranch_execz .LBB17_109
; %bb.108:
	scratch_load_b128 v[1:4], v56, off
	v_mov_b32_e32 v6, 0
	s_delay_alu instid0(VALU_DEP_1)
	v_mov_b32_e32 v7, v6
	v_mov_b32_e32 v8, v6
	;; [unrolled: 1-line block ×3, first 2 shown]
	scratch_store_b128 off, v[6:9], off offset:96
	s_waitcnt vmcnt(0)
	ds_store_b128 v5, v[1:4]
.LBB17_109:
	s_or_b32 exec_lo, exec_lo, s2
	s_waitcnt lgkmcnt(0)
	s_waitcnt_vscnt null, 0x0
	s_barrier
	buffer_gl0_inv
	s_clause 0x7
	scratch_load_b128 v[6:9], off, off offset:112
	scratch_load_b128 v[67:70], off, off offset:128
	;; [unrolled: 1-line block ×8, first 2 shown]
	v_mov_b32_e32 v1, 0
	s_clause 0x1
	scratch_load_b128 v[99:102], off, off offset:240
	scratch_load_b128 v[103:106], off, off offset:256
	s_mov_b32 s2, exec_lo
	ds_load_b128 v[95:98], v1 offset:400
	s_waitcnt vmcnt(9) lgkmcnt(0)
	v_mul_f64 v[2:3], v[97:98], v[8:9]
	v_mul_f64 v[107:108], v[95:96], v[8:9]
	ds_load_b128 v[8:11], v1 offset:416
	v_fma_f64 v[2:3], v[95:96], v[6:7], -v[2:3]
	v_fma_f64 v[6:7], v[97:98], v[6:7], v[107:108]
	ds_load_b128 v[95:98], v1 offset:432
	s_waitcnt vmcnt(8) lgkmcnt(1)
	v_mul_f64 v[111:112], v[8:9], v[69:70]
	v_mul_f64 v[69:70], v[10:11], v[69:70]
	scratch_load_b128 v[107:110], off, off offset:272
	s_waitcnt vmcnt(8) lgkmcnt(0)
	v_mul_f64 v[113:114], v[95:96], v[73:74]
	v_mul_f64 v[73:74], v[97:98], v[73:74]
	v_add_f64 v[2:3], v[2:3], 0
	v_fma_f64 v[10:11], v[10:11], v[67:68], v[111:112]
	v_fma_f64 v[67:68], v[8:9], v[67:68], -v[69:70]
	v_add_f64 v[69:70], v[6:7], 0
	ds_load_b128 v[6:9], v1 offset:448
	v_fma_f64 v[97:98], v[97:98], v[71:72], v[113:114]
	v_fma_f64 v[71:72], v[95:96], v[71:72], -v[73:74]
	v_add_f64 v[2:3], v[2:3], v[67:68]
	v_add_f64 v[10:11], v[69:70], v[10:11]
	ds_load_b128 v[67:70], v1 offset:464
	s_waitcnt vmcnt(7) lgkmcnt(1)
	v_mul_f64 v[111:112], v[6:7], v[77:78]
	v_mul_f64 v[77:78], v[8:9], v[77:78]
	s_waitcnt vmcnt(6) lgkmcnt(0)
	v_mul_f64 v[95:96], v[67:68], v[81:82]
	v_mul_f64 v[81:82], v[69:70], v[81:82]
	v_add_f64 v[2:3], v[2:3], v[71:72]
	v_add_f64 v[10:11], v[10:11], v[97:98]
	scratch_load_b128 v[71:74], off, off offset:96
	v_fma_f64 v[111:112], v[8:9], v[75:76], v[111:112]
	v_fma_f64 v[75:76], v[6:7], v[75:76], -v[77:78]
	ds_load_b128 v[6:9], v1 offset:480
	v_fma_f64 v[95:96], v[69:70], v[79:80], v[95:96]
	v_fma_f64 v[79:80], v[67:68], v[79:80], -v[81:82]
	ds_load_b128 v[67:70], v1 offset:496
	s_waitcnt vmcnt(6) lgkmcnt(1)
	v_mul_f64 v[77:78], v[6:7], v[85:86]
	v_mul_f64 v[85:86], v[8:9], v[85:86]
	v_add_f64 v[10:11], v[10:11], v[111:112]
	v_add_f64 v[2:3], v[2:3], v[75:76]
	s_waitcnt vmcnt(5) lgkmcnt(0)
	v_mul_f64 v[75:76], v[67:68], v[89:90]
	v_mul_f64 v[81:82], v[69:70], v[89:90]
	v_fma_f64 v[77:78], v[8:9], v[83:84], v[77:78]
	v_fma_f64 v[83:84], v[6:7], v[83:84], -v[85:86]
	ds_load_b128 v[6:9], v1 offset:512
	v_add_f64 v[10:11], v[10:11], v[95:96]
	v_add_f64 v[2:3], v[2:3], v[79:80]
	v_fma_f64 v[75:76], v[69:70], v[87:88], v[75:76]
	v_fma_f64 v[81:82], v[67:68], v[87:88], -v[81:82]
	ds_load_b128 v[67:70], v1 offset:528
	s_waitcnt vmcnt(4) lgkmcnt(1)
	v_mul_f64 v[79:80], v[6:7], v[93:94]
	v_mul_f64 v[85:86], v[8:9], v[93:94]
	v_add_f64 v[10:11], v[10:11], v[77:78]
	v_add_f64 v[2:3], v[2:3], v[83:84]
	s_waitcnt vmcnt(3) lgkmcnt(0)
	v_mul_f64 v[77:78], v[67:68], v[101:102]
	v_mul_f64 v[83:84], v[69:70], v[101:102]
	v_fma_f64 v[79:80], v[8:9], v[91:92], v[79:80]
	v_fma_f64 v[85:86], v[6:7], v[91:92], -v[85:86]
	ds_load_b128 v[6:9], v1 offset:544
	v_add_f64 v[10:11], v[10:11], v[75:76]
	v_add_f64 v[2:3], v[2:3], v[81:82]
	v_fma_f64 v[77:78], v[69:70], v[99:100], v[77:78]
	v_fma_f64 v[83:84], v[67:68], v[99:100], -v[83:84]
	ds_load_b128 v[67:70], v1 offset:560
	s_waitcnt vmcnt(2) lgkmcnt(1)
	v_mul_f64 v[75:76], v[6:7], v[105:106]
	v_mul_f64 v[81:82], v[8:9], v[105:106]
	v_add_f64 v[10:11], v[10:11], v[79:80]
	v_add_f64 v[2:3], v[2:3], v[85:86]
	s_delay_alu instid0(VALU_DEP_4) | instskip(NEXT) | instid1(VALU_DEP_4)
	v_fma_f64 v[8:9], v[8:9], v[103:104], v[75:76]
	v_fma_f64 v[6:7], v[6:7], v[103:104], -v[81:82]
	s_waitcnt vmcnt(1) lgkmcnt(0)
	v_mul_f64 v[79:80], v[67:68], v[109:110]
	v_mul_f64 v[85:86], v[69:70], v[109:110]
	v_add_f64 v[10:11], v[10:11], v[77:78]
	v_add_f64 v[2:3], v[2:3], v[83:84]
	s_delay_alu instid0(VALU_DEP_4) | instskip(NEXT) | instid1(VALU_DEP_4)
	v_fma_f64 v[69:70], v[69:70], v[107:108], v[79:80]
	v_fma_f64 v[67:68], v[67:68], v[107:108], -v[85:86]
	s_delay_alu instid0(VALU_DEP_3) | instskip(SKIP_1) | instid1(VALU_DEP_2)
	v_add_f64 v[2:3], v[2:3], v[6:7]
	v_add_f64 v[6:7], v[10:11], v[8:9]
	;; [unrolled: 1-line block ×3, first 2 shown]
	s_delay_alu instid0(VALU_DEP_2) | instskip(SKIP_1) | instid1(VALU_DEP_2)
	v_add_f64 v[8:9], v[6:7], v[69:70]
	s_waitcnt vmcnt(0)
	v_add_f64 v[6:7], v[71:72], -v[2:3]
	s_delay_alu instid0(VALU_DEP_2)
	v_add_f64 v[8:9], v[73:74], -v[8:9]
	scratch_store_b128 off, v[6:9], off offset:96
	v_cmpx_lt_u32_e32 5, v49
	s_cbranch_execz .LBB17_111
; %bb.110:
	scratch_load_b128 v[6:9], v52, off
	v_mov_b32_e32 v2, v1
	v_mov_b32_e32 v3, v1
	;; [unrolled: 1-line block ×3, first 2 shown]
	scratch_store_b128 off, v[1:4], off offset:80
	s_waitcnt vmcnt(0)
	ds_store_b128 v5, v[6:9]
.LBB17_111:
	s_or_b32 exec_lo, exec_lo, s2
	s_waitcnt lgkmcnt(0)
	s_waitcnt_vscnt null, 0x0
	s_barrier
	buffer_gl0_inv
	s_clause 0x7
	scratch_load_b128 v[6:9], off, off offset:96
	scratch_load_b128 v[67:70], off, off offset:112
	;; [unrolled: 1-line block ×8, first 2 shown]
	ds_load_b128 v[95:98], v1 offset:384
	s_clause 0x1
	scratch_load_b128 v[99:102], off, off offset:224
	scratch_load_b128 v[103:106], off, off offset:240
	s_mov_b32 s2, exec_lo
	s_waitcnt vmcnt(9) lgkmcnt(0)
	v_mul_f64 v[2:3], v[97:98], v[8:9]
	v_mul_f64 v[107:108], v[95:96], v[8:9]
	ds_load_b128 v[8:11], v1 offset:400
	v_fma_f64 v[2:3], v[95:96], v[6:7], -v[2:3]
	v_fma_f64 v[6:7], v[97:98], v[6:7], v[107:108]
	ds_load_b128 v[95:98], v1 offset:416
	s_waitcnt vmcnt(8) lgkmcnt(1)
	v_mul_f64 v[111:112], v[8:9], v[69:70]
	v_mul_f64 v[69:70], v[10:11], v[69:70]
	scratch_load_b128 v[107:110], off, off offset:256
	s_waitcnt vmcnt(8) lgkmcnt(0)
	v_mul_f64 v[113:114], v[95:96], v[73:74]
	v_mul_f64 v[73:74], v[97:98], v[73:74]
	v_add_f64 v[2:3], v[2:3], 0
	v_add_f64 v[115:116], v[6:7], 0
	v_fma_f64 v[10:11], v[10:11], v[67:68], v[111:112]
	v_fma_f64 v[111:112], v[8:9], v[67:68], -v[69:70]
	ds_load_b128 v[6:9], v1 offset:432
	scratch_load_b128 v[67:70], off, off offset:272
	v_fma_f64 v[97:98], v[97:98], v[71:72], v[113:114]
	v_fma_f64 v[95:96], v[95:96], v[71:72], -v[73:74]
	ds_load_b128 v[71:74], v1 offset:448
	s_waitcnt vmcnt(8) lgkmcnt(1)
	v_mul_f64 v[117:118], v[6:7], v[77:78]
	v_mul_f64 v[77:78], v[8:9], v[77:78]
	v_add_f64 v[10:11], v[115:116], v[10:11]
	v_add_f64 v[2:3], v[2:3], v[111:112]
	s_waitcnt vmcnt(7) lgkmcnt(0)
	v_mul_f64 v[111:112], v[71:72], v[81:82]
	v_mul_f64 v[81:82], v[73:74], v[81:82]
	v_fma_f64 v[113:114], v[8:9], v[75:76], v[117:118]
	v_fma_f64 v[75:76], v[6:7], v[75:76], -v[77:78]
	ds_load_b128 v[6:9], v1 offset:464
	v_add_f64 v[10:11], v[10:11], v[97:98]
	v_add_f64 v[2:3], v[2:3], v[95:96]
	v_fma_f64 v[97:98], v[73:74], v[79:80], v[111:112]
	v_fma_f64 v[79:80], v[71:72], v[79:80], -v[81:82]
	ds_load_b128 v[71:74], v1 offset:480
	s_waitcnt vmcnt(6) lgkmcnt(1)
	v_mul_f64 v[95:96], v[6:7], v[85:86]
	v_mul_f64 v[85:86], v[8:9], v[85:86]
	s_waitcnt vmcnt(5) lgkmcnt(0)
	v_mul_f64 v[81:82], v[71:72], v[89:90]
	v_mul_f64 v[89:90], v[73:74], v[89:90]
	v_add_f64 v[10:11], v[10:11], v[113:114]
	v_add_f64 v[2:3], v[2:3], v[75:76]
	scratch_load_b128 v[75:78], off, off offset:80
	v_fma_f64 v[95:96], v[8:9], v[83:84], v[95:96]
	v_fma_f64 v[83:84], v[6:7], v[83:84], -v[85:86]
	ds_load_b128 v[6:9], v1 offset:496
	v_fma_f64 v[81:82], v[73:74], v[87:88], v[81:82]
	v_fma_f64 v[87:88], v[71:72], v[87:88], -v[89:90]
	ds_load_b128 v[71:74], v1 offset:512
	s_waitcnt vmcnt(5) lgkmcnt(1)
	v_mul_f64 v[85:86], v[8:9], v[93:94]
	v_add_f64 v[10:11], v[10:11], v[97:98]
	v_add_f64 v[2:3], v[2:3], v[79:80]
	v_mul_f64 v[79:80], v[6:7], v[93:94]
	s_waitcnt vmcnt(4) lgkmcnt(0)
	v_mul_f64 v[89:90], v[73:74], v[101:102]
	v_fma_f64 v[85:86], v[6:7], v[91:92], -v[85:86]
	v_add_f64 v[10:11], v[10:11], v[95:96]
	v_add_f64 v[2:3], v[2:3], v[83:84]
	v_mul_f64 v[83:84], v[71:72], v[101:102]
	v_fma_f64 v[79:80], v[8:9], v[91:92], v[79:80]
	ds_load_b128 v[6:9], v1 offset:528
	v_fma_f64 v[89:90], v[71:72], v[99:100], -v[89:90]
	v_add_f64 v[10:11], v[10:11], v[81:82]
	v_add_f64 v[2:3], v[2:3], v[87:88]
	v_fma_f64 v[83:84], v[73:74], v[99:100], v[83:84]
	ds_load_b128 v[71:74], v1 offset:544
	s_waitcnt vmcnt(3) lgkmcnt(1)
	v_mul_f64 v[81:82], v[6:7], v[105:106]
	v_mul_f64 v[87:88], v[8:9], v[105:106]
	v_add_f64 v[10:11], v[10:11], v[79:80]
	v_add_f64 v[2:3], v[2:3], v[85:86]
	s_delay_alu instid0(VALU_DEP_4) | instskip(NEXT) | instid1(VALU_DEP_4)
	v_fma_f64 v[8:9], v[8:9], v[103:104], v[81:82]
	v_fma_f64 v[6:7], v[6:7], v[103:104], -v[87:88]
	s_waitcnt vmcnt(2) lgkmcnt(0)
	v_mul_f64 v[79:80], v[71:72], v[109:110]
	v_mul_f64 v[85:86], v[73:74], v[109:110]
	v_add_f64 v[10:11], v[10:11], v[83:84]
	v_add_f64 v[81:82], v[2:3], v[89:90]
	ds_load_b128 v[1:4], v1 offset:560
	v_fma_f64 v[73:74], v[73:74], v[107:108], v[79:80]
	v_fma_f64 v[71:72], v[71:72], v[107:108], -v[85:86]
	s_waitcnt vmcnt(1) lgkmcnt(0)
	v_mul_f64 v[83:84], v[1:2], v[69:70]
	v_mul_f64 v[69:70], v[3:4], v[69:70]
	v_add_f64 v[8:9], v[10:11], v[8:9]
	v_add_f64 v[6:7], v[81:82], v[6:7]
	s_delay_alu instid0(VALU_DEP_4) | instskip(NEXT) | instid1(VALU_DEP_4)
	v_fma_f64 v[3:4], v[3:4], v[67:68], v[83:84]
	v_fma_f64 v[1:2], v[1:2], v[67:68], -v[69:70]
	s_delay_alu instid0(VALU_DEP_4) | instskip(NEXT) | instid1(VALU_DEP_4)
	v_add_f64 v[8:9], v[8:9], v[73:74]
	v_add_f64 v[6:7], v[6:7], v[71:72]
	s_delay_alu instid0(VALU_DEP_2) | instskip(NEXT) | instid1(VALU_DEP_2)
	v_add_f64 v[3:4], v[8:9], v[3:4]
	v_add_f64 v[1:2], v[6:7], v[1:2]
	s_waitcnt vmcnt(0)
	s_delay_alu instid0(VALU_DEP_2) | instskip(NEXT) | instid1(VALU_DEP_2)
	v_add_f64 v[3:4], v[77:78], -v[3:4]
	v_add_f64 v[1:2], v[75:76], -v[1:2]
	scratch_store_b128 off, v[1:4], off offset:80
	v_cmpx_lt_u32_e32 4, v49
	s_cbranch_execz .LBB17_113
; %bb.112:
	scratch_load_b128 v[1:4], v50, off
	v_mov_b32_e32 v6, 0
	s_delay_alu instid0(VALU_DEP_1)
	v_mov_b32_e32 v7, v6
	v_mov_b32_e32 v8, v6
	;; [unrolled: 1-line block ×3, first 2 shown]
	scratch_store_b128 off, v[6:9], off offset:64
	s_waitcnt vmcnt(0)
	ds_store_b128 v5, v[1:4]
.LBB17_113:
	s_or_b32 exec_lo, exec_lo, s2
	s_waitcnt lgkmcnt(0)
	s_waitcnt_vscnt null, 0x0
	s_barrier
	buffer_gl0_inv
	s_clause 0x7
	scratch_load_b128 v[6:9], off, off offset:80
	scratch_load_b128 v[67:70], off, off offset:96
	;; [unrolled: 1-line block ×8, first 2 shown]
	v_mov_b32_e32 v1, 0
	s_clause 0x1
	scratch_load_b128 v[99:102], off, off offset:208
	scratch_load_b128 v[103:106], off, off offset:224
	s_mov_b32 s2, exec_lo
	ds_load_b128 v[95:98], v1 offset:368
	s_waitcnt vmcnt(9) lgkmcnt(0)
	v_mul_f64 v[2:3], v[97:98], v[8:9]
	v_mul_f64 v[107:108], v[95:96], v[8:9]
	ds_load_b128 v[8:11], v1 offset:384
	v_fma_f64 v[2:3], v[95:96], v[6:7], -v[2:3]
	v_fma_f64 v[6:7], v[97:98], v[6:7], v[107:108]
	ds_load_b128 v[95:98], v1 offset:400
	s_waitcnt vmcnt(8) lgkmcnt(1)
	v_mul_f64 v[111:112], v[8:9], v[69:70]
	v_mul_f64 v[69:70], v[10:11], v[69:70]
	scratch_load_b128 v[107:110], off, off offset:240
	s_waitcnt vmcnt(8) lgkmcnt(0)
	v_mul_f64 v[113:114], v[95:96], v[73:74]
	v_mul_f64 v[73:74], v[97:98], v[73:74]
	v_add_f64 v[2:3], v[2:3], 0
	v_add_f64 v[115:116], v[6:7], 0
	v_fma_f64 v[10:11], v[10:11], v[67:68], v[111:112]
	v_fma_f64 v[111:112], v[8:9], v[67:68], -v[69:70]
	ds_load_b128 v[6:9], v1 offset:416
	scratch_load_b128 v[67:70], off, off offset:256
	v_fma_f64 v[113:114], v[97:98], v[71:72], v[113:114]
	v_fma_f64 v[119:120], v[95:96], v[71:72], -v[73:74]
	scratch_load_b128 v[95:98], off, off offset:272
	ds_load_b128 v[71:74], v1 offset:432
	s_waitcnt vmcnt(9) lgkmcnt(1)
	v_mul_f64 v[117:118], v[6:7], v[77:78]
	v_mul_f64 v[77:78], v[8:9], v[77:78]
	v_add_f64 v[10:11], v[115:116], v[10:11]
	v_add_f64 v[2:3], v[2:3], v[111:112]
	s_waitcnt vmcnt(8) lgkmcnt(0)
	v_mul_f64 v[111:112], v[71:72], v[81:82]
	v_mul_f64 v[81:82], v[73:74], v[81:82]
	v_fma_f64 v[115:116], v[8:9], v[75:76], v[117:118]
	v_fma_f64 v[75:76], v[6:7], v[75:76], -v[77:78]
	ds_load_b128 v[6:9], v1 offset:448
	v_add_f64 v[10:11], v[10:11], v[113:114]
	v_add_f64 v[2:3], v[2:3], v[119:120]
	v_fma_f64 v[111:112], v[73:74], v[79:80], v[111:112]
	v_fma_f64 v[79:80], v[71:72], v[79:80], -v[81:82]
	ds_load_b128 v[71:74], v1 offset:464
	s_waitcnt vmcnt(7) lgkmcnt(1)
	v_mul_f64 v[77:78], v[6:7], v[85:86]
	v_mul_f64 v[85:86], v[8:9], v[85:86]
	s_waitcnt vmcnt(6) lgkmcnt(0)
	v_mul_f64 v[81:82], v[71:72], v[89:90]
	v_mul_f64 v[89:90], v[73:74], v[89:90]
	v_add_f64 v[10:11], v[10:11], v[115:116]
	v_add_f64 v[2:3], v[2:3], v[75:76]
	v_fma_f64 v[113:114], v[8:9], v[83:84], v[77:78]
	v_fma_f64 v[83:84], v[6:7], v[83:84], -v[85:86]
	ds_load_b128 v[6:9], v1 offset:480
	scratch_load_b128 v[75:78], off, off offset:64
	v_fma_f64 v[81:82], v[73:74], v[87:88], v[81:82]
	v_fma_f64 v[87:88], v[71:72], v[87:88], -v[89:90]
	ds_load_b128 v[71:74], v1 offset:496
	s_waitcnt vmcnt(6) lgkmcnt(1)
	v_mul_f64 v[85:86], v[8:9], v[93:94]
	v_add_f64 v[10:11], v[10:11], v[111:112]
	v_add_f64 v[2:3], v[2:3], v[79:80]
	v_mul_f64 v[79:80], v[6:7], v[93:94]
	s_waitcnt vmcnt(5) lgkmcnt(0)
	v_mul_f64 v[89:90], v[73:74], v[101:102]
	v_fma_f64 v[85:86], v[6:7], v[91:92], -v[85:86]
	v_add_f64 v[10:11], v[10:11], v[113:114]
	v_add_f64 v[2:3], v[2:3], v[83:84]
	v_mul_f64 v[83:84], v[71:72], v[101:102]
	v_fma_f64 v[79:80], v[8:9], v[91:92], v[79:80]
	ds_load_b128 v[6:9], v1 offset:512
	v_fma_f64 v[89:90], v[71:72], v[99:100], -v[89:90]
	v_add_f64 v[10:11], v[10:11], v[81:82]
	v_add_f64 v[2:3], v[2:3], v[87:88]
	v_fma_f64 v[83:84], v[73:74], v[99:100], v[83:84]
	ds_load_b128 v[71:74], v1 offset:528
	s_waitcnt vmcnt(4) lgkmcnt(1)
	v_mul_f64 v[81:82], v[6:7], v[105:106]
	v_mul_f64 v[87:88], v[8:9], v[105:106]
	v_add_f64 v[10:11], v[10:11], v[79:80]
	v_add_f64 v[2:3], v[2:3], v[85:86]
	s_delay_alu instid0(VALU_DEP_4) | instskip(NEXT) | instid1(VALU_DEP_4)
	v_fma_f64 v[81:82], v[8:9], v[103:104], v[81:82]
	v_fma_f64 v[87:88], v[6:7], v[103:104], -v[87:88]
	ds_load_b128 v[6:9], v1 offset:544
	s_waitcnt vmcnt(3) lgkmcnt(1)
	v_mul_f64 v[79:80], v[71:72], v[109:110]
	v_mul_f64 v[85:86], v[73:74], v[109:110]
	v_add_f64 v[10:11], v[10:11], v[83:84]
	v_add_f64 v[2:3], v[2:3], v[89:90]
	s_delay_alu instid0(VALU_DEP_4)
	v_fma_f64 v[73:74], v[73:74], v[107:108], v[79:80]
	s_waitcnt vmcnt(2) lgkmcnt(0)
	v_mul_f64 v[83:84], v[6:7], v[69:70]
	v_mul_f64 v[89:90], v[8:9], v[69:70]
	v_fma_f64 v[79:80], v[71:72], v[107:108], -v[85:86]
	ds_load_b128 v[69:72], v1 offset:560
	v_add_f64 v[10:11], v[10:11], v[81:82]
	v_add_f64 v[2:3], v[2:3], v[87:88]
	s_waitcnt vmcnt(1) lgkmcnt(0)
	v_mul_f64 v[81:82], v[69:70], v[97:98]
	v_mul_f64 v[85:86], v[71:72], v[97:98]
	v_fma_f64 v[8:9], v[8:9], v[67:68], v[83:84]
	v_fma_f64 v[6:7], v[6:7], v[67:68], -v[89:90]
	v_add_f64 v[10:11], v[10:11], v[73:74]
	v_add_f64 v[2:3], v[2:3], v[79:80]
	v_fma_f64 v[67:68], v[71:72], v[95:96], v[81:82]
	v_fma_f64 v[69:70], v[69:70], v[95:96], -v[85:86]
	s_delay_alu instid0(VALU_DEP_3) | instskip(SKIP_1) | instid1(VALU_DEP_2)
	v_add_f64 v[2:3], v[2:3], v[6:7]
	v_add_f64 v[6:7], v[10:11], v[8:9]
	;; [unrolled: 1-line block ×3, first 2 shown]
	s_delay_alu instid0(VALU_DEP_2) | instskip(SKIP_1) | instid1(VALU_DEP_2)
	v_add_f64 v[8:9], v[6:7], v[67:68]
	s_waitcnt vmcnt(0)
	v_add_f64 v[6:7], v[75:76], -v[2:3]
	s_delay_alu instid0(VALU_DEP_2)
	v_add_f64 v[8:9], v[77:78], -v[8:9]
	scratch_store_b128 off, v[6:9], off offset:64
	v_cmpx_lt_u32_e32 3, v49
	s_cbranch_execz .LBB17_115
; %bb.114:
	scratch_load_b128 v[6:9], v53, off
	v_mov_b32_e32 v2, v1
	v_mov_b32_e32 v3, v1
	;; [unrolled: 1-line block ×3, first 2 shown]
	scratch_store_b128 off, v[1:4], off offset:48
	s_waitcnt vmcnt(0)
	ds_store_b128 v5, v[6:9]
.LBB17_115:
	s_or_b32 exec_lo, exec_lo, s2
	s_waitcnt lgkmcnt(0)
	s_waitcnt_vscnt null, 0x0
	s_barrier
	buffer_gl0_inv
	s_clause 0x7
	scratch_load_b128 v[6:9], off, off offset:64
	scratch_load_b128 v[67:70], off, off offset:80
	;; [unrolled: 1-line block ×8, first 2 shown]
	ds_load_b128 v[95:98], v1 offset:352
	s_clause 0x1
	scratch_load_b128 v[99:102], off, off offset:192
	scratch_load_b128 v[103:106], off, off offset:208
	s_mov_b32 s2, exec_lo
	s_waitcnt vmcnt(9) lgkmcnt(0)
	v_mul_f64 v[2:3], v[97:98], v[8:9]
	v_mul_f64 v[107:108], v[95:96], v[8:9]
	ds_load_b128 v[8:11], v1 offset:368
	v_fma_f64 v[2:3], v[95:96], v[6:7], -v[2:3]
	v_fma_f64 v[6:7], v[97:98], v[6:7], v[107:108]
	ds_load_b128 v[95:98], v1 offset:384
	s_waitcnt vmcnt(8) lgkmcnt(1)
	v_mul_f64 v[111:112], v[8:9], v[69:70]
	v_mul_f64 v[69:70], v[10:11], v[69:70]
	scratch_load_b128 v[107:110], off, off offset:224
	s_waitcnt vmcnt(8) lgkmcnt(0)
	v_mul_f64 v[113:114], v[95:96], v[73:74]
	v_mul_f64 v[73:74], v[97:98], v[73:74]
	v_add_f64 v[2:3], v[2:3], 0
	v_add_f64 v[115:116], v[6:7], 0
	v_fma_f64 v[10:11], v[10:11], v[67:68], v[111:112]
	v_fma_f64 v[111:112], v[8:9], v[67:68], -v[69:70]
	ds_load_b128 v[6:9], v1 offset:400
	scratch_load_b128 v[67:70], off, off offset:240
	v_fma_f64 v[113:114], v[97:98], v[71:72], v[113:114]
	v_fma_f64 v[119:120], v[95:96], v[71:72], -v[73:74]
	scratch_load_b128 v[95:98], off, off offset:256
	ds_load_b128 v[71:74], v1 offset:416
	s_waitcnt vmcnt(9) lgkmcnt(1)
	v_mul_f64 v[117:118], v[6:7], v[77:78]
	v_mul_f64 v[77:78], v[8:9], v[77:78]
	v_add_f64 v[10:11], v[115:116], v[10:11]
	v_add_f64 v[2:3], v[2:3], v[111:112]
	s_waitcnt vmcnt(8) lgkmcnt(0)
	v_mul_f64 v[111:112], v[71:72], v[81:82]
	v_mul_f64 v[81:82], v[73:74], v[81:82]
	v_fma_f64 v[115:116], v[8:9], v[75:76], v[117:118]
	v_fma_f64 v[117:118], v[6:7], v[75:76], -v[77:78]
	ds_load_b128 v[6:9], v1 offset:432
	scratch_load_b128 v[75:78], off, off offset:272
	v_add_f64 v[10:11], v[10:11], v[113:114]
	v_add_f64 v[2:3], v[2:3], v[119:120]
	v_fma_f64 v[111:112], v[73:74], v[79:80], v[111:112]
	v_fma_f64 v[79:80], v[71:72], v[79:80], -v[81:82]
	ds_load_b128 v[71:74], v1 offset:448
	s_waitcnt vmcnt(8) lgkmcnt(1)
	v_mul_f64 v[113:114], v[6:7], v[85:86]
	v_mul_f64 v[85:86], v[8:9], v[85:86]
	s_waitcnt vmcnt(7) lgkmcnt(0)
	v_mul_f64 v[81:82], v[71:72], v[89:90]
	v_mul_f64 v[89:90], v[73:74], v[89:90]
	v_add_f64 v[10:11], v[10:11], v[115:116]
	v_add_f64 v[2:3], v[2:3], v[117:118]
	v_fma_f64 v[113:114], v[8:9], v[83:84], v[113:114]
	v_fma_f64 v[83:84], v[6:7], v[83:84], -v[85:86]
	ds_load_b128 v[6:9], v1 offset:464
	v_add_f64 v[10:11], v[10:11], v[111:112]
	v_add_f64 v[2:3], v[2:3], v[79:80]
	v_fma_f64 v[111:112], v[73:74], v[87:88], v[81:82]
	v_fma_f64 v[87:88], v[71:72], v[87:88], -v[89:90]
	ds_load_b128 v[71:74], v1 offset:480
	s_waitcnt vmcnt(6) lgkmcnt(1)
	v_mul_f64 v[85:86], v[6:7], v[93:94]
	v_mul_f64 v[93:94], v[8:9], v[93:94]
	scratch_load_b128 v[79:82], off, off offset:48
	s_waitcnt vmcnt(6) lgkmcnt(0)
	v_mul_f64 v[89:90], v[73:74], v[101:102]
	v_add_f64 v[10:11], v[10:11], v[113:114]
	v_add_f64 v[2:3], v[2:3], v[83:84]
	v_mul_f64 v[83:84], v[71:72], v[101:102]
	v_fma_f64 v[85:86], v[8:9], v[91:92], v[85:86]
	v_fma_f64 v[91:92], v[6:7], v[91:92], -v[93:94]
	ds_load_b128 v[6:9], v1 offset:496
	v_fma_f64 v[89:90], v[71:72], v[99:100], -v[89:90]
	v_add_f64 v[10:11], v[10:11], v[111:112]
	v_add_f64 v[2:3], v[2:3], v[87:88]
	v_fma_f64 v[83:84], v[73:74], v[99:100], v[83:84]
	ds_load_b128 v[71:74], v1 offset:512
	s_waitcnt vmcnt(5) lgkmcnt(1)
	v_mul_f64 v[87:88], v[6:7], v[105:106]
	v_mul_f64 v[93:94], v[8:9], v[105:106]
	v_add_f64 v[10:11], v[10:11], v[85:86]
	v_add_f64 v[2:3], v[2:3], v[91:92]
	s_delay_alu instid0(VALU_DEP_4) | instskip(NEXT) | instid1(VALU_DEP_4)
	v_fma_f64 v[87:88], v[8:9], v[103:104], v[87:88]
	v_fma_f64 v[93:94], v[6:7], v[103:104], -v[93:94]
	ds_load_b128 v[6:9], v1 offset:528
	s_waitcnt vmcnt(4) lgkmcnt(1)
	v_mul_f64 v[85:86], v[71:72], v[109:110]
	v_mul_f64 v[91:92], v[73:74], v[109:110]
	v_add_f64 v[10:11], v[10:11], v[83:84]
	v_add_f64 v[2:3], v[2:3], v[89:90]
	s_delay_alu instid0(VALU_DEP_4)
	v_fma_f64 v[73:74], v[73:74], v[107:108], v[85:86]
	s_waitcnt vmcnt(3) lgkmcnt(0)
	v_mul_f64 v[83:84], v[6:7], v[69:70]
	v_mul_f64 v[89:90], v[8:9], v[69:70]
	v_fma_f64 v[85:86], v[71:72], v[107:108], -v[91:92]
	ds_load_b128 v[69:72], v1 offset:544
	v_add_f64 v[10:11], v[10:11], v[87:88]
	v_add_f64 v[2:3], v[2:3], v[93:94]
	s_waitcnt vmcnt(2) lgkmcnt(0)
	v_mul_f64 v[87:88], v[69:70], v[97:98]
	v_mul_f64 v[91:92], v[71:72], v[97:98]
	v_fma_f64 v[8:9], v[8:9], v[67:68], v[83:84]
	v_fma_f64 v[6:7], v[6:7], v[67:68], -v[89:90]
	v_add_f64 v[10:11], v[10:11], v[73:74]
	v_add_f64 v[67:68], v[2:3], v[85:86]
	ds_load_b128 v[1:4], v1 offset:560
	v_fma_f64 v[71:72], v[71:72], v[95:96], v[87:88]
	v_fma_f64 v[69:70], v[69:70], v[95:96], -v[91:92]
	s_waitcnt vmcnt(1) lgkmcnt(0)
	v_mul_f64 v[73:74], v[1:2], v[77:78]
	v_mul_f64 v[77:78], v[3:4], v[77:78]
	v_add_f64 v[8:9], v[10:11], v[8:9]
	v_add_f64 v[6:7], v[67:68], v[6:7]
	s_delay_alu instid0(VALU_DEP_4) | instskip(NEXT) | instid1(VALU_DEP_4)
	v_fma_f64 v[3:4], v[3:4], v[75:76], v[73:74]
	v_fma_f64 v[1:2], v[1:2], v[75:76], -v[77:78]
	s_delay_alu instid0(VALU_DEP_4) | instskip(NEXT) | instid1(VALU_DEP_4)
	v_add_f64 v[8:9], v[8:9], v[71:72]
	v_add_f64 v[6:7], v[6:7], v[69:70]
	s_delay_alu instid0(VALU_DEP_2) | instskip(NEXT) | instid1(VALU_DEP_2)
	v_add_f64 v[3:4], v[8:9], v[3:4]
	v_add_f64 v[1:2], v[6:7], v[1:2]
	s_waitcnt vmcnt(0)
	s_delay_alu instid0(VALU_DEP_2) | instskip(NEXT) | instid1(VALU_DEP_2)
	v_add_f64 v[3:4], v[81:82], -v[3:4]
	v_add_f64 v[1:2], v[79:80], -v[1:2]
	scratch_store_b128 off, v[1:4], off offset:48
	v_cmpx_lt_u32_e32 2, v49
	s_cbranch_execz .LBB17_117
; %bb.116:
	scratch_load_b128 v[1:4], v51, off
	v_mov_b32_e32 v6, 0
	s_delay_alu instid0(VALU_DEP_1)
	v_mov_b32_e32 v7, v6
	v_mov_b32_e32 v8, v6
	;; [unrolled: 1-line block ×3, first 2 shown]
	scratch_store_b128 off, v[6:9], off offset:32
	s_waitcnt vmcnt(0)
	ds_store_b128 v5, v[1:4]
.LBB17_117:
	s_or_b32 exec_lo, exec_lo, s2
	s_waitcnt lgkmcnt(0)
	s_waitcnt_vscnt null, 0x0
	s_barrier
	buffer_gl0_inv
	s_clause 0x7
	scratch_load_b128 v[6:9], off, off offset:48
	scratch_load_b128 v[67:70], off, off offset:64
	;; [unrolled: 1-line block ×8, first 2 shown]
	v_mov_b32_e32 v1, 0
	s_clause 0x1
	scratch_load_b128 v[99:102], off, off offset:176
	scratch_load_b128 v[103:106], off, off offset:192
	s_mov_b32 s2, exec_lo
	ds_load_b128 v[95:98], v1 offset:336
	s_waitcnt vmcnt(9) lgkmcnt(0)
	v_mul_f64 v[2:3], v[97:98], v[8:9]
	v_mul_f64 v[107:108], v[95:96], v[8:9]
	ds_load_b128 v[8:11], v1 offset:352
	v_fma_f64 v[2:3], v[95:96], v[6:7], -v[2:3]
	v_fma_f64 v[6:7], v[97:98], v[6:7], v[107:108]
	ds_load_b128 v[95:98], v1 offset:368
	s_waitcnt vmcnt(8) lgkmcnt(1)
	v_mul_f64 v[111:112], v[8:9], v[69:70]
	v_mul_f64 v[69:70], v[10:11], v[69:70]
	scratch_load_b128 v[107:110], off, off offset:208
	s_waitcnt vmcnt(8) lgkmcnt(0)
	v_mul_f64 v[113:114], v[95:96], v[73:74]
	v_mul_f64 v[73:74], v[97:98], v[73:74]
	v_add_f64 v[2:3], v[2:3], 0
	v_add_f64 v[115:116], v[6:7], 0
	v_fma_f64 v[10:11], v[10:11], v[67:68], v[111:112]
	v_fma_f64 v[111:112], v[8:9], v[67:68], -v[69:70]
	ds_load_b128 v[6:9], v1 offset:384
	scratch_load_b128 v[67:70], off, off offset:224
	v_fma_f64 v[113:114], v[97:98], v[71:72], v[113:114]
	v_fma_f64 v[119:120], v[95:96], v[71:72], -v[73:74]
	scratch_load_b128 v[95:98], off, off offset:240
	ds_load_b128 v[71:74], v1 offset:400
	s_waitcnt vmcnt(9) lgkmcnt(1)
	v_mul_f64 v[117:118], v[6:7], v[77:78]
	v_mul_f64 v[77:78], v[8:9], v[77:78]
	v_add_f64 v[10:11], v[115:116], v[10:11]
	v_add_f64 v[2:3], v[2:3], v[111:112]
	s_waitcnt vmcnt(8) lgkmcnt(0)
	v_mul_f64 v[111:112], v[71:72], v[81:82]
	v_mul_f64 v[81:82], v[73:74], v[81:82]
	v_fma_f64 v[115:116], v[8:9], v[75:76], v[117:118]
	v_fma_f64 v[117:118], v[6:7], v[75:76], -v[77:78]
	ds_load_b128 v[6:9], v1 offset:416
	scratch_load_b128 v[75:78], off, off offset:256
	v_add_f64 v[10:11], v[10:11], v[113:114]
	v_add_f64 v[2:3], v[2:3], v[119:120]
	v_fma_f64 v[111:112], v[73:74], v[79:80], v[111:112]
	v_fma_f64 v[119:120], v[71:72], v[79:80], -v[81:82]
	scratch_load_b128 v[79:82], off, off offset:272
	ds_load_b128 v[71:74], v1 offset:432
	s_waitcnt vmcnt(9) lgkmcnt(1)
	v_mul_f64 v[113:114], v[6:7], v[85:86]
	v_mul_f64 v[85:86], v[8:9], v[85:86]
	v_add_f64 v[10:11], v[10:11], v[115:116]
	v_add_f64 v[2:3], v[2:3], v[117:118]
	s_waitcnt vmcnt(8) lgkmcnt(0)
	v_mul_f64 v[115:116], v[71:72], v[89:90]
	v_mul_f64 v[89:90], v[73:74], v[89:90]
	v_fma_f64 v[113:114], v[8:9], v[83:84], v[113:114]
	v_fma_f64 v[83:84], v[6:7], v[83:84], -v[85:86]
	ds_load_b128 v[6:9], v1 offset:448
	v_add_f64 v[10:11], v[10:11], v[111:112]
	v_add_f64 v[2:3], v[2:3], v[119:120]
	v_fma_f64 v[111:112], v[73:74], v[87:88], v[115:116]
	v_fma_f64 v[87:88], v[71:72], v[87:88], -v[89:90]
	ds_load_b128 v[71:74], v1 offset:464
	s_waitcnt vmcnt(7) lgkmcnt(1)
	v_mul_f64 v[85:86], v[6:7], v[93:94]
	v_mul_f64 v[93:94], v[8:9], v[93:94]
	v_add_f64 v[10:11], v[10:11], v[113:114]
	v_add_f64 v[2:3], v[2:3], v[83:84]
	s_delay_alu instid0(VALU_DEP_4) | instskip(NEXT) | instid1(VALU_DEP_4)
	v_fma_f64 v[113:114], v[8:9], v[91:92], v[85:86]
	v_fma_f64 v[91:92], v[6:7], v[91:92], -v[93:94]
	scratch_load_b128 v[83:86], off, off offset:32
	s_waitcnt vmcnt(7) lgkmcnt(0)
	v_mul_f64 v[89:90], v[71:72], v[101:102]
	v_mul_f64 v[101:102], v[73:74], v[101:102]
	ds_load_b128 v[6:9], v1 offset:480
	v_add_f64 v[10:11], v[10:11], v[111:112]
	v_add_f64 v[2:3], v[2:3], v[87:88]
	v_fma_f64 v[89:90], v[73:74], v[99:100], v[89:90]
	v_fma_f64 v[99:100], v[71:72], v[99:100], -v[101:102]
	ds_load_b128 v[71:74], v1 offset:496
	s_waitcnt vmcnt(6) lgkmcnt(1)
	v_mul_f64 v[87:88], v[6:7], v[105:106]
	v_mul_f64 v[93:94], v[8:9], v[105:106]
	v_add_f64 v[10:11], v[10:11], v[113:114]
	v_add_f64 v[2:3], v[2:3], v[91:92]
	s_delay_alu instid0(VALU_DEP_4) | instskip(NEXT) | instid1(VALU_DEP_4)
	v_fma_f64 v[87:88], v[8:9], v[103:104], v[87:88]
	v_fma_f64 v[93:94], v[6:7], v[103:104], -v[93:94]
	ds_load_b128 v[6:9], v1 offset:512
	s_waitcnt vmcnt(5) lgkmcnt(1)
	v_mul_f64 v[91:92], v[71:72], v[109:110]
	v_mul_f64 v[101:102], v[73:74], v[109:110]
	v_add_f64 v[10:11], v[10:11], v[89:90]
	v_add_f64 v[2:3], v[2:3], v[99:100]
	s_delay_alu instid0(VALU_DEP_4)
	v_fma_f64 v[73:74], v[73:74], v[107:108], v[91:92]
	s_waitcnt vmcnt(4) lgkmcnt(0)
	v_mul_f64 v[89:90], v[6:7], v[69:70]
	v_mul_f64 v[99:100], v[8:9], v[69:70]
	v_fma_f64 v[91:92], v[71:72], v[107:108], -v[101:102]
	ds_load_b128 v[69:72], v1 offset:528
	v_add_f64 v[10:11], v[10:11], v[87:88]
	v_add_f64 v[2:3], v[2:3], v[93:94]
	v_fma_f64 v[89:90], v[8:9], v[67:68], v[89:90]
	v_fma_f64 v[67:68], v[6:7], v[67:68], -v[99:100]
	ds_load_b128 v[6:9], v1 offset:544
	s_waitcnt vmcnt(3) lgkmcnt(1)
	v_mul_f64 v[87:88], v[69:70], v[97:98]
	v_mul_f64 v[93:94], v[71:72], v[97:98]
	v_add_f64 v[10:11], v[10:11], v[73:74]
	v_add_f64 v[2:3], v[2:3], v[91:92]
	s_waitcnt vmcnt(2) lgkmcnt(0)
	v_mul_f64 v[73:74], v[6:7], v[77:78]
	v_mul_f64 v[77:78], v[8:9], v[77:78]
	v_fma_f64 v[71:72], v[71:72], v[95:96], v[87:88]
	v_fma_f64 v[87:88], v[69:70], v[95:96], -v[93:94]
	v_add_f64 v[10:11], v[10:11], v[89:90]
	v_add_f64 v[2:3], v[2:3], v[67:68]
	ds_load_b128 v[67:70], v1 offset:560
	v_fma_f64 v[8:9], v[8:9], v[75:76], v[73:74]
	v_fma_f64 v[6:7], v[6:7], v[75:76], -v[77:78]
	s_waitcnt vmcnt(1) lgkmcnt(0)
	v_mul_f64 v[89:90], v[67:68], v[81:82]
	v_mul_f64 v[81:82], v[69:70], v[81:82]
	v_add_f64 v[10:11], v[10:11], v[71:72]
	v_add_f64 v[2:3], v[2:3], v[87:88]
	s_delay_alu instid0(VALU_DEP_4) | instskip(NEXT) | instid1(VALU_DEP_4)
	v_fma_f64 v[69:70], v[69:70], v[79:80], v[89:90]
	v_fma_f64 v[67:68], v[67:68], v[79:80], -v[81:82]
	s_delay_alu instid0(VALU_DEP_3) | instskip(SKIP_1) | instid1(VALU_DEP_2)
	v_add_f64 v[2:3], v[2:3], v[6:7]
	v_add_f64 v[6:7], v[10:11], v[8:9]
	;; [unrolled: 1-line block ×3, first 2 shown]
	s_delay_alu instid0(VALU_DEP_2) | instskip(SKIP_1) | instid1(VALU_DEP_2)
	v_add_f64 v[8:9], v[6:7], v[69:70]
	s_waitcnt vmcnt(0)
	v_add_f64 v[6:7], v[83:84], -v[2:3]
	s_delay_alu instid0(VALU_DEP_2)
	v_add_f64 v[8:9], v[85:86], -v[8:9]
	scratch_store_b128 off, v[6:9], off offset:32
	v_cmpx_lt_u32_e32 1, v49
	s_cbranch_execz .LBB17_119
; %bb.118:
	scratch_load_b128 v[6:9], v54, off
	v_mov_b32_e32 v2, v1
	v_mov_b32_e32 v3, v1
	;; [unrolled: 1-line block ×3, first 2 shown]
	scratch_store_b128 off, v[1:4], off offset:16
	s_waitcnt vmcnt(0)
	ds_store_b128 v5, v[6:9]
.LBB17_119:
	s_or_b32 exec_lo, exec_lo, s2
	s_waitcnt lgkmcnt(0)
	s_waitcnt_vscnt null, 0x0
	s_barrier
	buffer_gl0_inv
	s_clause 0x7
	scratch_load_b128 v[6:9], off, off offset:32
	scratch_load_b128 v[67:70], off, off offset:48
	scratch_load_b128 v[71:74], off, off offset:64
	scratch_load_b128 v[75:78], off, off offset:80
	scratch_load_b128 v[79:82], off, off offset:96
	scratch_load_b128 v[83:86], off, off offset:112
	scratch_load_b128 v[87:90], off, off offset:128
	scratch_load_b128 v[91:94], off, off offset:144
	ds_load_b128 v[95:98], v1 offset:320
	s_clause 0x1
	scratch_load_b128 v[99:102], off, off offset:160
	scratch_load_b128 v[103:106], off, off offset:176
	s_mov_b32 s2, exec_lo
	s_waitcnt vmcnt(9) lgkmcnt(0)
	v_mul_f64 v[2:3], v[97:98], v[8:9]
	v_mul_f64 v[107:108], v[95:96], v[8:9]
	ds_load_b128 v[8:11], v1 offset:336
	v_fma_f64 v[2:3], v[95:96], v[6:7], -v[2:3]
	v_fma_f64 v[6:7], v[97:98], v[6:7], v[107:108]
	ds_load_b128 v[95:98], v1 offset:352
	s_waitcnt vmcnt(8) lgkmcnt(1)
	v_mul_f64 v[111:112], v[8:9], v[69:70]
	v_mul_f64 v[69:70], v[10:11], v[69:70]
	scratch_load_b128 v[107:110], off, off offset:192
	s_waitcnt vmcnt(8) lgkmcnt(0)
	v_mul_f64 v[113:114], v[95:96], v[73:74]
	v_mul_f64 v[73:74], v[97:98], v[73:74]
	v_add_f64 v[2:3], v[2:3], 0
	v_add_f64 v[115:116], v[6:7], 0
	v_fma_f64 v[10:11], v[10:11], v[67:68], v[111:112]
	v_fma_f64 v[111:112], v[8:9], v[67:68], -v[69:70]
	ds_load_b128 v[6:9], v1 offset:368
	scratch_load_b128 v[67:70], off, off offset:208
	v_fma_f64 v[113:114], v[97:98], v[71:72], v[113:114]
	v_fma_f64 v[119:120], v[95:96], v[71:72], -v[73:74]
	scratch_load_b128 v[95:98], off, off offset:224
	ds_load_b128 v[71:74], v1 offset:384
	s_waitcnt vmcnt(9) lgkmcnt(1)
	v_mul_f64 v[117:118], v[6:7], v[77:78]
	v_mul_f64 v[77:78], v[8:9], v[77:78]
	v_add_f64 v[10:11], v[115:116], v[10:11]
	v_add_f64 v[2:3], v[2:3], v[111:112]
	s_waitcnt vmcnt(8) lgkmcnt(0)
	v_mul_f64 v[111:112], v[71:72], v[81:82]
	v_mul_f64 v[81:82], v[73:74], v[81:82]
	v_fma_f64 v[115:116], v[8:9], v[75:76], v[117:118]
	v_fma_f64 v[117:118], v[6:7], v[75:76], -v[77:78]
	ds_load_b128 v[6:9], v1 offset:400
	scratch_load_b128 v[75:78], off, off offset:240
	v_add_f64 v[10:11], v[10:11], v[113:114]
	v_add_f64 v[2:3], v[2:3], v[119:120]
	v_fma_f64 v[111:112], v[73:74], v[79:80], v[111:112]
	v_fma_f64 v[119:120], v[71:72], v[79:80], -v[81:82]
	scratch_load_b128 v[79:82], off, off offset:256
	ds_load_b128 v[71:74], v1 offset:416
	s_waitcnt vmcnt(9) lgkmcnt(1)
	v_mul_f64 v[113:114], v[6:7], v[85:86]
	v_mul_f64 v[85:86], v[8:9], v[85:86]
	v_add_f64 v[10:11], v[10:11], v[115:116]
	v_add_f64 v[2:3], v[2:3], v[117:118]
	s_waitcnt vmcnt(8) lgkmcnt(0)
	v_mul_f64 v[115:116], v[71:72], v[89:90]
	v_mul_f64 v[89:90], v[73:74], v[89:90]
	v_fma_f64 v[113:114], v[8:9], v[83:84], v[113:114]
	v_fma_f64 v[117:118], v[6:7], v[83:84], -v[85:86]
	ds_load_b128 v[6:9], v1 offset:432
	scratch_load_b128 v[83:86], off, off offset:272
	v_add_f64 v[10:11], v[10:11], v[111:112]
	v_add_f64 v[2:3], v[2:3], v[119:120]
	v_fma_f64 v[115:116], v[73:74], v[87:88], v[115:116]
	v_fma_f64 v[87:88], v[71:72], v[87:88], -v[89:90]
	ds_load_b128 v[71:74], v1 offset:448
	s_waitcnt vmcnt(8) lgkmcnt(1)
	v_mul_f64 v[111:112], v[6:7], v[93:94]
	v_mul_f64 v[93:94], v[8:9], v[93:94]
	s_waitcnt vmcnt(7) lgkmcnt(0)
	v_mul_f64 v[89:90], v[71:72], v[101:102]
	v_mul_f64 v[101:102], v[73:74], v[101:102]
	v_add_f64 v[10:11], v[10:11], v[113:114]
	v_add_f64 v[2:3], v[2:3], v[117:118]
	v_fma_f64 v[111:112], v[8:9], v[91:92], v[111:112]
	v_fma_f64 v[91:92], v[6:7], v[91:92], -v[93:94]
	ds_load_b128 v[6:9], v1 offset:464
	v_fma_f64 v[113:114], v[73:74], v[99:100], v[89:90]
	v_fma_f64 v[99:100], v[71:72], v[99:100], -v[101:102]
	ds_load_b128 v[71:74], v1 offset:480
	v_add_f64 v[10:11], v[10:11], v[115:116]
	v_add_f64 v[2:3], v[2:3], v[87:88]
	scratch_load_b128 v[87:90], off, off offset:16
	s_waitcnt vmcnt(7) lgkmcnt(1)
	v_mul_f64 v[93:94], v[6:7], v[105:106]
	v_mul_f64 v[105:106], v[8:9], v[105:106]
	v_add_f64 v[10:11], v[10:11], v[111:112]
	v_add_f64 v[2:3], v[2:3], v[91:92]
	s_delay_alu instid0(VALU_DEP_4) | instskip(NEXT) | instid1(VALU_DEP_4)
	v_fma_f64 v[93:94], v[8:9], v[103:104], v[93:94]
	v_fma_f64 v[103:104], v[6:7], v[103:104], -v[105:106]
	ds_load_b128 v[6:9], v1 offset:496
	s_waitcnt vmcnt(6) lgkmcnt(1)
	v_mul_f64 v[91:92], v[71:72], v[109:110]
	v_mul_f64 v[101:102], v[73:74], v[109:110]
	v_add_f64 v[10:11], v[10:11], v[113:114]
	v_add_f64 v[2:3], v[2:3], v[99:100]
	s_delay_alu instid0(VALU_DEP_4)
	v_fma_f64 v[73:74], v[73:74], v[107:108], v[91:92]
	s_waitcnt vmcnt(5) lgkmcnt(0)
	v_mul_f64 v[99:100], v[6:7], v[69:70]
	v_mul_f64 v[105:106], v[8:9], v[69:70]
	v_fma_f64 v[91:92], v[71:72], v[107:108], -v[101:102]
	ds_load_b128 v[69:72], v1 offset:512
	v_add_f64 v[10:11], v[10:11], v[93:94]
	v_add_f64 v[2:3], v[2:3], v[103:104]
	v_fma_f64 v[99:100], v[8:9], v[67:68], v[99:100]
	v_fma_f64 v[67:68], v[6:7], v[67:68], -v[105:106]
	ds_load_b128 v[6:9], v1 offset:528
	s_waitcnt vmcnt(4) lgkmcnt(1)
	v_mul_f64 v[93:94], v[69:70], v[97:98]
	v_mul_f64 v[97:98], v[71:72], v[97:98]
	v_add_f64 v[10:11], v[10:11], v[73:74]
	v_add_f64 v[2:3], v[2:3], v[91:92]
	s_waitcnt vmcnt(3) lgkmcnt(0)
	v_mul_f64 v[73:74], v[6:7], v[77:78]
	v_mul_f64 v[77:78], v[8:9], v[77:78]
	v_fma_f64 v[71:72], v[71:72], v[95:96], v[93:94]
	v_fma_f64 v[91:92], v[69:70], v[95:96], -v[97:98]
	v_add_f64 v[10:11], v[10:11], v[99:100]
	v_add_f64 v[2:3], v[2:3], v[67:68]
	ds_load_b128 v[67:70], v1 offset:544
	v_fma_f64 v[8:9], v[8:9], v[75:76], v[73:74]
	v_fma_f64 v[6:7], v[6:7], v[75:76], -v[77:78]
	s_waitcnt vmcnt(2) lgkmcnt(0)
	v_mul_f64 v[93:94], v[67:68], v[81:82]
	v_mul_f64 v[81:82], v[69:70], v[81:82]
	v_add_f64 v[10:11], v[10:11], v[71:72]
	v_add_f64 v[73:74], v[2:3], v[91:92]
	ds_load_b128 v[1:4], v1 offset:560
	s_waitcnt vmcnt(1) lgkmcnt(0)
	v_mul_f64 v[71:72], v[1:2], v[85:86]
	v_mul_f64 v[75:76], v[3:4], v[85:86]
	v_fma_f64 v[69:70], v[69:70], v[79:80], v[93:94]
	v_fma_f64 v[67:68], v[67:68], v[79:80], -v[81:82]
	v_add_f64 v[8:9], v[10:11], v[8:9]
	v_add_f64 v[6:7], v[73:74], v[6:7]
	v_fma_f64 v[3:4], v[3:4], v[83:84], v[71:72]
	v_fma_f64 v[1:2], v[1:2], v[83:84], -v[75:76]
	s_delay_alu instid0(VALU_DEP_4) | instskip(NEXT) | instid1(VALU_DEP_4)
	v_add_f64 v[8:9], v[8:9], v[69:70]
	v_add_f64 v[6:7], v[6:7], v[67:68]
	s_delay_alu instid0(VALU_DEP_2) | instskip(NEXT) | instid1(VALU_DEP_2)
	v_add_f64 v[3:4], v[8:9], v[3:4]
	v_add_f64 v[1:2], v[6:7], v[1:2]
	s_waitcnt vmcnt(0)
	s_delay_alu instid0(VALU_DEP_2) | instskip(NEXT) | instid1(VALU_DEP_2)
	v_add_f64 v[3:4], v[89:90], -v[3:4]
	v_add_f64 v[1:2], v[87:88], -v[1:2]
	scratch_store_b128 off, v[1:4], off offset:16
	v_cmpx_ne_u32_e32 0, v49
	s_cbranch_execz .LBB17_121
; %bb.120:
	scratch_load_b128 v[1:4], off, off
	v_mov_b32_e32 v6, 0
	s_delay_alu instid0(VALU_DEP_1)
	v_mov_b32_e32 v7, v6
	v_mov_b32_e32 v8, v6
	;; [unrolled: 1-line block ×3, first 2 shown]
	scratch_store_b128 off, v[6:9], off
	s_waitcnt vmcnt(0)
	ds_store_b128 v5, v[1:4]
.LBB17_121:
	s_or_b32 exec_lo, exec_lo, s2
	s_waitcnt lgkmcnt(0)
	s_waitcnt_vscnt null, 0x0
	s_barrier
	buffer_gl0_inv
	s_clause 0x7
	scratch_load_b128 v[1:4], off, off offset:16
	scratch_load_b128 v[5:8], off, off offset:32
	;; [unrolled: 1-line block ×8, first 2 shown]
	v_mov_b32_e32 v117, 0
	s_clause 0x1
	scratch_load_b128 v[91:94], off, off offset:144
	scratch_load_b128 v[99:102], off, off offset:160
	s_and_b32 vcc_lo, exec_lo, s20
	ds_load_b128 v[87:90], v117 offset:304
	ds_load_b128 v[95:98], v117 offset:320
	s_waitcnt vmcnt(9) lgkmcnt(1)
	v_mul_f64 v[103:104], v[89:90], v[3:4]
	v_mul_f64 v[3:4], v[87:88], v[3:4]
	s_waitcnt vmcnt(8) lgkmcnt(0)
	v_mul_f64 v[105:106], v[95:96], v[7:8]
	v_mul_f64 v[7:8], v[97:98], v[7:8]
	s_delay_alu instid0(VALU_DEP_4) | instskip(NEXT) | instid1(VALU_DEP_4)
	v_fma_f64 v[103:104], v[87:88], v[1:2], -v[103:104]
	v_fma_f64 v[107:108], v[89:90], v[1:2], v[3:4]
	ds_load_b128 v[1:4], v117 offset:336
	scratch_load_b128 v[87:90], off, off offset:176
	v_fma_f64 v[105:106], v[97:98], v[5:6], v[105:106]
	v_fma_f64 v[111:112], v[95:96], v[5:6], -v[7:8]
	ds_load_b128 v[5:8], v117 offset:352
	scratch_load_b128 v[95:98], off, off offset:192
	s_waitcnt vmcnt(9) lgkmcnt(1)
	v_mul_f64 v[109:110], v[1:2], v[11:12]
	v_mul_f64 v[11:12], v[3:4], v[11:12]
	s_waitcnt vmcnt(8) lgkmcnt(0)
	v_mul_f64 v[113:114], v[5:6], v[69:70]
	v_mul_f64 v[69:70], v[7:8], v[69:70]
	v_add_f64 v[103:104], v[103:104], 0
	v_add_f64 v[107:108], v[107:108], 0
	v_fma_f64 v[109:110], v[3:4], v[9:10], v[109:110]
	v_fma_f64 v[115:116], v[1:2], v[9:10], -v[11:12]
	scratch_load_b128 v[9:12], off, off offset:208
	ds_load_b128 v[1:4], v117 offset:368
	v_add_f64 v[103:104], v[103:104], v[111:112]
	v_add_f64 v[105:106], v[107:108], v[105:106]
	v_fma_f64 v[111:112], v[7:8], v[67:68], v[113:114]
	v_fma_f64 v[113:114], v[5:6], v[67:68], -v[69:70]
	ds_load_b128 v[5:8], v117 offset:384
	scratch_load_b128 v[67:70], off, off offset:224
	s_waitcnt vmcnt(9) lgkmcnt(1)
	v_mul_f64 v[107:108], v[1:2], v[73:74]
	v_mul_f64 v[73:74], v[3:4], v[73:74]
	v_add_f64 v[103:104], v[103:104], v[115:116]
	v_add_f64 v[105:106], v[105:106], v[109:110]
	s_waitcnt vmcnt(8) lgkmcnt(0)
	v_mul_f64 v[109:110], v[5:6], v[77:78]
	v_mul_f64 v[77:78], v[7:8], v[77:78]
	v_fma_f64 v[107:108], v[3:4], v[71:72], v[107:108]
	v_fma_f64 v[115:116], v[1:2], v[71:72], -v[73:74]
	scratch_load_b128 v[71:74], off, off offset:240
	ds_load_b128 v[1:4], v117 offset:400
	v_add_f64 v[103:104], v[103:104], v[113:114]
	v_add_f64 v[105:106], v[105:106], v[111:112]
	v_fma_f64 v[109:110], v[7:8], v[75:76], v[109:110]
	v_fma_f64 v[113:114], v[5:6], v[75:76], -v[77:78]
	ds_load_b128 v[5:8], v117 offset:416
	s_waitcnt vmcnt(8) lgkmcnt(1)
	v_mul_f64 v[111:112], v[1:2], v[81:82]
	v_mul_f64 v[81:82], v[3:4], v[81:82]
	scratch_load_b128 v[75:78], off, off offset:256
	v_add_f64 v[103:104], v[103:104], v[115:116]
	v_add_f64 v[105:106], v[105:106], v[107:108]
	s_waitcnt vmcnt(8) lgkmcnt(0)
	v_mul_f64 v[107:108], v[5:6], v[85:86]
	v_mul_f64 v[85:86], v[7:8], v[85:86]
	v_fma_f64 v[111:112], v[3:4], v[79:80], v[111:112]
	v_fma_f64 v[115:116], v[1:2], v[79:80], -v[81:82]
	scratch_load_b128 v[79:82], off, off offset:272
	ds_load_b128 v[1:4], v117 offset:432
	v_add_f64 v[103:104], v[103:104], v[113:114]
	v_add_f64 v[105:106], v[105:106], v[109:110]
	v_fma_f64 v[107:108], v[7:8], v[83:84], v[107:108]
	v_fma_f64 v[83:84], v[5:6], v[83:84], -v[85:86]
	ds_load_b128 v[5:8], v117 offset:448
	s_waitcnt vmcnt(8) lgkmcnt(1)
	v_mul_f64 v[109:110], v[1:2], v[93:94]
	v_mul_f64 v[93:94], v[3:4], v[93:94]
	v_add_f64 v[85:86], v[103:104], v[115:116]
	v_add_f64 v[103:104], v[105:106], v[111:112]
	s_waitcnt vmcnt(7) lgkmcnt(0)
	v_mul_f64 v[105:106], v[5:6], v[101:102]
	v_mul_f64 v[101:102], v[7:8], v[101:102]
	v_fma_f64 v[109:110], v[3:4], v[91:92], v[109:110]
	v_fma_f64 v[91:92], v[1:2], v[91:92], -v[93:94]
	ds_load_b128 v[1:4], v117 offset:464
	v_add_f64 v[83:84], v[85:86], v[83:84]
	v_add_f64 v[85:86], v[103:104], v[107:108]
	v_fma_f64 v[103:104], v[7:8], v[99:100], v[105:106]
	v_fma_f64 v[99:100], v[5:6], v[99:100], -v[101:102]
	ds_load_b128 v[5:8], v117 offset:480
	s_waitcnt vmcnt(5) lgkmcnt(0)
	v_mul_f64 v[105:106], v[5:6], v[97:98]
	v_mul_f64 v[97:98], v[7:8], v[97:98]
	v_add_f64 v[91:92], v[83:84], v[91:92]
	v_add_f64 v[101:102], v[85:86], v[109:110]
	scratch_load_b128 v[83:86], off, off
	v_mul_f64 v[93:94], v[1:2], v[89:90]
	v_mul_f64 v[89:90], v[3:4], v[89:90]
	s_delay_alu instid0(VALU_DEP_2) | instskip(NEXT) | instid1(VALU_DEP_2)
	v_fma_f64 v[93:94], v[3:4], v[87:88], v[93:94]
	v_fma_f64 v[87:88], v[1:2], v[87:88], -v[89:90]
	v_add_f64 v[89:90], v[91:92], v[99:100]
	v_add_f64 v[91:92], v[101:102], v[103:104]
	ds_load_b128 v[1:4], v117 offset:496
	v_fma_f64 v[101:102], v[7:8], v[95:96], v[105:106]
	v_fma_f64 v[95:96], v[5:6], v[95:96], -v[97:98]
	ds_load_b128 v[5:8], v117 offset:512
	s_waitcnt vmcnt(5) lgkmcnt(1)
	v_mul_f64 v[99:100], v[1:2], v[11:12]
	v_mul_f64 v[11:12], v[3:4], v[11:12]
	v_add_f64 v[87:88], v[89:90], v[87:88]
	v_add_f64 v[89:90], v[91:92], v[93:94]
	s_waitcnt vmcnt(4) lgkmcnt(0)
	v_mul_f64 v[91:92], v[5:6], v[69:70]
	v_mul_f64 v[69:70], v[7:8], v[69:70]
	v_fma_f64 v[93:94], v[3:4], v[9:10], v[99:100]
	v_fma_f64 v[9:10], v[1:2], v[9:10], -v[11:12]
	ds_load_b128 v[1:4], v117 offset:528
	v_add_f64 v[11:12], v[87:88], v[95:96]
	v_add_f64 v[87:88], v[89:90], v[101:102]
	v_fma_f64 v[91:92], v[7:8], v[67:68], v[91:92]
	v_fma_f64 v[67:68], v[5:6], v[67:68], -v[69:70]
	ds_load_b128 v[5:8], v117 offset:544
	s_waitcnt vmcnt(3) lgkmcnt(1)
	v_mul_f64 v[89:90], v[1:2], v[73:74]
	v_mul_f64 v[73:74], v[3:4], v[73:74]
	s_waitcnt vmcnt(2) lgkmcnt(0)
	v_mul_f64 v[69:70], v[5:6], v[77:78]
	v_mul_f64 v[77:78], v[7:8], v[77:78]
	v_add_f64 v[9:10], v[11:12], v[9:10]
	v_add_f64 v[11:12], v[87:88], v[93:94]
	v_fma_f64 v[87:88], v[3:4], v[71:72], v[89:90]
	v_fma_f64 v[71:72], v[1:2], v[71:72], -v[73:74]
	ds_load_b128 v[1:4], v117 offset:560
	v_fma_f64 v[7:8], v[7:8], v[75:76], v[69:70]
	v_fma_f64 v[5:6], v[5:6], v[75:76], -v[77:78]
	s_waitcnt vmcnt(1) lgkmcnt(0)
	v_mul_f64 v[73:74], v[3:4], v[81:82]
	v_add_f64 v[9:10], v[9:10], v[67:68]
	v_add_f64 v[11:12], v[11:12], v[91:92]
	v_mul_f64 v[67:68], v[1:2], v[81:82]
	s_delay_alu instid0(VALU_DEP_4) | instskip(NEXT) | instid1(VALU_DEP_4)
	v_fma_f64 v[1:2], v[1:2], v[79:80], -v[73:74]
	v_add_f64 v[9:10], v[9:10], v[71:72]
	s_delay_alu instid0(VALU_DEP_4) | instskip(NEXT) | instid1(VALU_DEP_4)
	v_add_f64 v[11:12], v[11:12], v[87:88]
	v_fma_f64 v[3:4], v[3:4], v[79:80], v[67:68]
	s_delay_alu instid0(VALU_DEP_3) | instskip(NEXT) | instid1(VALU_DEP_3)
	v_add_f64 v[5:6], v[9:10], v[5:6]
	v_add_f64 v[7:8], v[11:12], v[7:8]
	s_delay_alu instid0(VALU_DEP_2) | instskip(NEXT) | instid1(VALU_DEP_2)
	v_add_f64 v[1:2], v[5:6], v[1:2]
	v_add_f64 v[3:4], v[7:8], v[3:4]
	s_waitcnt vmcnt(0)
	s_delay_alu instid0(VALU_DEP_2) | instskip(NEXT) | instid1(VALU_DEP_2)
	v_add_f64 v[1:2], v[83:84], -v[1:2]
	v_add_f64 v[3:4], v[85:86], -v[3:4]
	scratch_store_b128 off, v[1:4], off
	s_cbranch_vccz .LBB17_157
; %bb.122:
	v_dual_mov_b32 v1, s16 :: v_dual_mov_b32 v2, s17
	s_load_b64 s[0:1], s[0:1], 0x4
	flat_load_b32 v1, v[1:2] offset:64
	v_bfe_u32 v2, v0, 10, 10
	v_bfe_u32 v0, v0, 20, 10
	s_waitcnt lgkmcnt(0)
	s_lshr_b32 s0, s0, 16
	s_delay_alu instid0(VALU_DEP_2) | instskip(SKIP_1) | instid1(SALU_CYCLE_1)
	v_mul_u32_u24_e32 v2, s1, v2
	s_mul_i32 s0, s0, s1
	v_mul_u32_u24_e32 v3, s0, v49
	s_mov_b32 s0, exec_lo
	s_delay_alu instid0(VALU_DEP_1) | instskip(NEXT) | instid1(VALU_DEP_1)
	v_add3_u32 v0, v3, v2, v0
	v_lshl_add_u32 v0, v0, 4, 0x248
	s_waitcnt vmcnt(0)
	v_cmpx_ne_u32_e32 17, v1
	s_cbranch_execz .LBB17_124
; %bb.123:
	v_lshl_add_u32 v9, v1, 4, 0
	s_clause 0x1
	scratch_load_b128 v[1:4], v66, off
	scratch_load_b128 v[5:8], v9, off offset:-16
	s_waitcnt vmcnt(1)
	ds_store_2addr_b64 v0, v[1:2], v[3:4] offset1:1
	s_waitcnt vmcnt(0)
	s_clause 0x1
	scratch_store_b128 v66, v[5:8], off
	scratch_store_b128 v9, v[1:4], off offset:-16
.LBB17_124:
	s_or_b32 exec_lo, exec_lo, s0
	v_dual_mov_b32 v1, s16 :: v_dual_mov_b32 v2, s17
	s_mov_b32 s0, exec_lo
	flat_load_b32 v1, v[1:2] offset:60
	s_waitcnt vmcnt(0) lgkmcnt(0)
	v_cmpx_ne_u32_e32 16, v1
	s_cbranch_execz .LBB17_126
; %bb.125:
	v_lshl_add_u32 v9, v1, 4, 0
	s_clause 0x1
	scratch_load_b128 v[1:4], v63, off
	scratch_load_b128 v[5:8], v9, off offset:-16
	s_waitcnt vmcnt(1)
	ds_store_2addr_b64 v0, v[1:2], v[3:4] offset1:1
	s_waitcnt vmcnt(0)
	s_clause 0x1
	scratch_store_b128 v63, v[5:8], off
	scratch_store_b128 v9, v[1:4], off offset:-16
.LBB17_126:
	s_or_b32 exec_lo, exec_lo, s0
	v_dual_mov_b32 v1, s16 :: v_dual_mov_b32 v2, s17
	s_mov_b32 s0, exec_lo
	flat_load_b32 v1, v[1:2] offset:56
	s_waitcnt vmcnt(0) lgkmcnt(0)
	;; [unrolled: 19-line block ×15, first 2 shown]
	v_cmpx_ne_u32_e32 2, v1
	s_cbranch_execz .LBB17_154
; %bb.153:
	v_lshl_add_u32 v9, v1, 4, 0
	s_clause 0x1
	scratch_load_b128 v[1:4], v54, off
	scratch_load_b128 v[5:8], v9, off offset:-16
	s_waitcnt vmcnt(1)
	ds_store_2addr_b64 v0, v[1:2], v[3:4] offset1:1
	s_waitcnt vmcnt(0)
	s_clause 0x1
	scratch_store_b128 v54, v[5:8], off
	scratch_store_b128 v9, v[1:4], off offset:-16
.LBB17_154:
	s_or_b32 exec_lo, exec_lo, s0
	v_dual_mov_b32 v1, s16 :: v_dual_mov_b32 v2, s17
	s_mov_b32 s0, exec_lo
	flat_load_b32 v1, v[1:2]
	s_waitcnt vmcnt(0) lgkmcnt(0)
	v_cmpx_ne_u32_e32 1, v1
	s_cbranch_execz .LBB17_156
; %bb.155:
	v_lshl_add_u32 v9, v1, 4, 0
	scratch_load_b128 v[1:4], off, off
	scratch_load_b128 v[5:8], v9, off offset:-16
	s_waitcnt vmcnt(1)
	ds_store_2addr_b64 v0, v[1:2], v[3:4] offset1:1
	s_waitcnt vmcnt(0)
	scratch_store_b128 off, v[5:8], off
	scratch_store_b128 v9, v[1:4], off offset:-16
.LBB17_156:
	s_or_b32 exec_lo, exec_lo, s0
.LBB17_157:
	scratch_load_b128 v[0:3], off, off
	s_clause 0x10
	scratch_load_b128 v[4:7], v54, off
	scratch_load_b128 v[8:11], v51, off
	scratch_load_b128 v[67:70], v53, off
	scratch_load_b128 v[71:74], v50, off
	scratch_load_b128 v[49:52], v52, off
	scratch_load_b128 v[75:78], v56, off
	scratch_load_b128 v[53:56], v55, off
	scratch_load_b128 v[79:82], v58, off
	scratch_load_b128 v[83:86], v57, off
	scratch_load_b128 v[87:90], v60, off
	scratch_load_b128 v[57:60], v59, off
	scratch_load_b128 v[91:94], v62, off
	scratch_load_b128 v[95:98], v61, off
	scratch_load_b128 v[99:102], v64, off
	scratch_load_b128 v[61:64], v63, off
	scratch_load_b128 v[103:106], v66, off
	scratch_load_b128 v[107:110], v65, off
	s_waitcnt vmcnt(17)
	global_store_b128 v[13:14], v[0:3], off
	s_waitcnt vmcnt(16)
	global_store_b128 v[15:16], v[4:7], off
	s_waitcnt vmcnt(15)
	global_store_b128 v[17:18], v[8:11], off
	s_waitcnt vmcnt(14)
	global_store_b128 v[19:20], v[67:70], off
	s_waitcnt vmcnt(13)
	global_store_b128 v[21:22], v[71:74], off
	s_waitcnt vmcnt(12)
	global_store_b128 v[23:24], v[49:52], off
	s_waitcnt vmcnt(11)
	global_store_b128 v[25:26], v[75:78], off
	s_waitcnt vmcnt(10)
	global_store_b128 v[27:28], v[53:56], off
	s_waitcnt vmcnt(9)
	global_store_b128 v[29:30], v[79:82], off
	s_waitcnt vmcnt(8)
	global_store_b128 v[31:32], v[83:86], off
	s_waitcnt vmcnt(7)
	global_store_b128 v[33:34], v[87:90], off
	s_waitcnt vmcnt(6)
	global_store_b128 v[35:36], v[57:60], off
	s_waitcnt vmcnt(5)
	global_store_b128 v[37:38], v[91:94], off
	s_waitcnt vmcnt(4)
	global_store_b128 v[39:40], v[95:98], off
	s_waitcnt vmcnt(3)
	global_store_b128 v[41:42], v[99:102], off
	s_waitcnt vmcnt(2)
	global_store_b128 v[43:44], v[61:64], off
	s_waitcnt vmcnt(1)
	global_store_b128 v[45:46], v[103:106], off
	s_waitcnt vmcnt(0)
	global_store_b128 v[47:48], v[107:110], off
	s_endpgm
	.section	.rodata,"a",@progbits
	.p2align	6, 0x0
	.amdhsa_kernel _ZN9rocsolver6v33100L18getri_kernel_smallILi18E19rocblas_complex_numIdEPS3_EEvT1_iilPiilS6_bb
		.amdhsa_group_segment_fixed_size 1608
		.amdhsa_private_segment_fixed_size 304
		.amdhsa_kernarg_size 60
		.amdhsa_user_sgpr_count 15
		.amdhsa_user_sgpr_dispatch_ptr 1
		.amdhsa_user_sgpr_queue_ptr 0
		.amdhsa_user_sgpr_kernarg_segment_ptr 1
		.amdhsa_user_sgpr_dispatch_id 0
		.amdhsa_user_sgpr_private_segment_size 0
		.amdhsa_wavefront_size32 1
		.amdhsa_uses_dynamic_stack 0
		.amdhsa_enable_private_segment 1
		.amdhsa_system_sgpr_workgroup_id_x 1
		.amdhsa_system_sgpr_workgroup_id_y 0
		.amdhsa_system_sgpr_workgroup_id_z 0
		.amdhsa_system_sgpr_workgroup_info 0
		.amdhsa_system_vgpr_workitem_id 2
		.amdhsa_next_free_vgpr 121
		.amdhsa_next_free_sgpr 22
		.amdhsa_reserve_vcc 1
		.amdhsa_float_round_mode_32 0
		.amdhsa_float_round_mode_16_64 0
		.amdhsa_float_denorm_mode_32 3
		.amdhsa_float_denorm_mode_16_64 3
		.amdhsa_dx10_clamp 1
		.amdhsa_ieee_mode 1
		.amdhsa_fp16_overflow 0
		.amdhsa_workgroup_processor_mode 1
		.amdhsa_memory_ordered 1
		.amdhsa_forward_progress 0
		.amdhsa_shared_vgpr_count 0
		.amdhsa_exception_fp_ieee_invalid_op 0
		.amdhsa_exception_fp_denorm_src 0
		.amdhsa_exception_fp_ieee_div_zero 0
		.amdhsa_exception_fp_ieee_overflow 0
		.amdhsa_exception_fp_ieee_underflow 0
		.amdhsa_exception_fp_ieee_inexact 0
		.amdhsa_exception_int_div_zero 0
	.end_amdhsa_kernel
	.section	.text._ZN9rocsolver6v33100L18getri_kernel_smallILi18E19rocblas_complex_numIdEPS3_EEvT1_iilPiilS6_bb,"axG",@progbits,_ZN9rocsolver6v33100L18getri_kernel_smallILi18E19rocblas_complex_numIdEPS3_EEvT1_iilPiilS6_bb,comdat
.Lfunc_end17:
	.size	_ZN9rocsolver6v33100L18getri_kernel_smallILi18E19rocblas_complex_numIdEPS3_EEvT1_iilPiilS6_bb, .Lfunc_end17-_ZN9rocsolver6v33100L18getri_kernel_smallILi18E19rocblas_complex_numIdEPS3_EEvT1_iilPiilS6_bb
                                        ; -- End function
	.section	.AMDGPU.csdata,"",@progbits
; Kernel info:
; codeLenInByte = 21992
; NumSgprs: 24
; NumVgprs: 121
; ScratchSize: 304
; MemoryBound: 0
; FloatMode: 240
; IeeeMode: 1
; LDSByteSize: 1608 bytes/workgroup (compile time only)
; SGPRBlocks: 2
; VGPRBlocks: 15
; NumSGPRsForWavesPerEU: 24
; NumVGPRsForWavesPerEU: 121
; Occupancy: 10
; WaveLimiterHint : 1
; COMPUTE_PGM_RSRC2:SCRATCH_EN: 1
; COMPUTE_PGM_RSRC2:USER_SGPR: 15
; COMPUTE_PGM_RSRC2:TRAP_HANDLER: 0
; COMPUTE_PGM_RSRC2:TGID_X_EN: 1
; COMPUTE_PGM_RSRC2:TGID_Y_EN: 0
; COMPUTE_PGM_RSRC2:TGID_Z_EN: 0
; COMPUTE_PGM_RSRC2:TIDIG_COMP_CNT: 2
	.section	.text._ZN9rocsolver6v33100L18getri_kernel_smallILi19E19rocblas_complex_numIdEPS3_EEvT1_iilPiilS6_bb,"axG",@progbits,_ZN9rocsolver6v33100L18getri_kernel_smallILi19E19rocblas_complex_numIdEPS3_EEvT1_iilPiilS6_bb,comdat
	.globl	_ZN9rocsolver6v33100L18getri_kernel_smallILi19E19rocblas_complex_numIdEPS3_EEvT1_iilPiilS6_bb ; -- Begin function _ZN9rocsolver6v33100L18getri_kernel_smallILi19E19rocblas_complex_numIdEPS3_EEvT1_iilPiilS6_bb
	.p2align	8
	.type	_ZN9rocsolver6v33100L18getri_kernel_smallILi19E19rocblas_complex_numIdEPS3_EEvT1_iilPiilS6_bb,@function
_ZN9rocsolver6v33100L18getri_kernel_smallILi19E19rocblas_complex_numIdEPS3_EEvT1_iilPiilS6_bb: ; @_ZN9rocsolver6v33100L18getri_kernel_smallILi19E19rocblas_complex_numIdEPS3_EEvT1_iilPiilS6_bb
; %bb.0:
	v_and_b32_e32 v51, 0x3ff, v0
	s_mov_b32 s4, exec_lo
	s_delay_alu instid0(VALU_DEP_1)
	v_cmpx_gt_u32_e32 19, v51
	s_cbranch_execz .LBB18_90
; %bb.1:
	s_mov_b32 s18, s15
	s_clause 0x2
	s_load_b32 s21, s[2:3], 0x38
	s_load_b128 s[12:15], s[2:3], 0x10
	s_load_b128 s[4:7], s[2:3], 0x28
                                        ; implicit-def: $sgpr16_sgpr17
	s_waitcnt lgkmcnt(0)
	s_bitcmp1_b32 s21, 8
	s_cselect_b32 s20, -1, 0
	s_bfe_u32 s8, s21, 0x10008
	s_ashr_i32 s19, s18, 31
	s_cmp_eq_u32 s8, 0
	s_cbranch_scc1 .LBB18_3
; %bb.2:
	s_load_b32 s8, s[2:3], 0x20
	s_mul_i32 s5, s18, s5
	s_mul_hi_u32 s9, s18, s4
	s_mul_i32 s10, s19, s4
	s_add_i32 s5, s9, s5
	s_mul_i32 s4, s18, s4
	s_add_i32 s5, s5, s10
	s_delay_alu instid0(SALU_CYCLE_1)
	s_lshl_b64 s[4:5], s[4:5], 2
	s_waitcnt lgkmcnt(0)
	s_ashr_i32 s9, s8, 31
	s_add_u32 s10, s14, s4
	s_addc_u32 s11, s15, s5
	s_lshl_b64 s[4:5], s[8:9], 2
	s_delay_alu instid0(SALU_CYCLE_1)
	s_add_u32 s16, s10, s4
	s_addc_u32 s17, s11, s5
.LBB18_3:
	s_load_b128 s[8:11], s[2:3], 0x0
	s_mul_i32 s2, s18, s13
	s_mul_hi_u32 s3, s18, s12
	s_mul_i32 s4, s19, s12
	s_add_i32 s3, s3, s2
	s_mul_i32 s2, s18, s12
	s_add_i32 s3, s3, s4
	v_lshlrev_b32_e32 v70, 4, v51
	s_lshl_b64 s[2:3], s[2:3], 4
	s_waitcnt lgkmcnt(0)
	v_add3_u32 v5, s11, s11, v51
	s_ashr_i32 s5, s10, 31
	s_mov_b32 s4, s10
	s_add_u32 s8, s8, s2
	s_addc_u32 s9, s9, s3
	v_add_nc_u32_e32 v7, s11, v5
	s_lshl_b64 s[2:3], s[4:5], 4
	v_ashrrev_i32_e32 v6, 31, v5
	s_add_u32 s2, s8, s2
	s_addc_u32 s3, s9, s3
	v_add_nc_u32_e32 v19, s11, v7
	v_add_co_u32 v13, s8, s2, v70
	v_ashrrev_i32_e32 v8, 31, v7
	s_mov_b32 s4, s11
	s_delay_alu instid0(VALU_DEP_3) | instskip(SKIP_3) | instid1(VALU_DEP_3)
	v_add_nc_u32_e32 v21, s11, v19
	s_ashr_i32 s5, s11, 31
	v_add_co_ci_u32_e64 v14, null, s3, 0, s8
	v_lshlrev_b64 v[5:6], 4, v[5:6]
	v_add_nc_u32_e32 v27, s11, v21
	s_lshl_b64 s[4:5], s[4:5], 4
	v_ashrrev_i32_e32 v20, 31, v19
	v_add_co_u32 v15, vcc_lo, v13, s4
	s_delay_alu instid0(VALU_DEP_3) | instskip(SKIP_3) | instid1(VALU_DEP_4)
	v_add_nc_u32_e32 v29, s11, v27
	v_lshlrev_b64 v[23:24], 4, v[7:8]
	v_add_co_ci_u32_e32 v16, vcc_lo, s5, v14, vcc_lo
	v_add_co_u32 v17, vcc_lo, s2, v5
	v_add_nc_u32_e32 v31, s11, v29
	v_lshlrev_b64 v[25:26], 4, v[19:20]
	v_ashrrev_i32_e32 v22, 31, v21
	v_add_co_ci_u32_e32 v18, vcc_lo, s3, v6, vcc_lo
	v_add_co_u32 v19, vcc_lo, s2, v23
	v_ashrrev_i32_e32 v28, 31, v27
	v_ashrrev_i32_e32 v30, 31, v29
	;; [unrolled: 1-line block ×3, first 2 shown]
	v_add_nc_u32_e32 v33, s11, v31
	v_add_co_ci_u32_e32 v20, vcc_lo, s3, v24, vcc_lo
	v_lshlrev_b64 v[23:24], 4, v[21:22]
	v_add_co_u32 v21, vcc_lo, s2, v25
	v_add_co_ci_u32_e32 v22, vcc_lo, s3, v26, vcc_lo
	v_lshlrev_b64 v[25:26], 4, v[27:28]
	v_lshlrev_b64 v[27:28], 4, v[29:30]
	;; [unrolled: 1-line block ×3, first 2 shown]
	v_add_nc_u32_e32 v31, s11, v33
	v_add_co_u32 v23, vcc_lo, s2, v23
	v_ashrrev_i32_e32 v34, 31, v33
	v_add_co_ci_u32_e32 v24, vcc_lo, s3, v24, vcc_lo
	s_delay_alu instid0(VALU_DEP_4)
	v_add_nc_u32_e32 v35, s11, v31
	v_add_co_u32 v25, vcc_lo, s2, v25
	v_ashrrev_i32_e32 v32, 31, v31
	v_add_co_ci_u32_e32 v26, vcc_lo, s3, v26, vcc_lo
	v_add_co_u32 v27, vcc_lo, s2, v27
	v_lshlrev_b64 v[33:34], 4, v[33:34]
	v_add_nc_u32_e32 v39, s11, v35
	v_add_co_ci_u32_e32 v28, vcc_lo, s3, v28, vcc_lo
	v_add_co_u32 v29, vcc_lo, s2, v29
	v_lshlrev_b64 v[37:38], 4, v[31:32]
	v_add_co_ci_u32_e32 v30, vcc_lo, s3, v30, vcc_lo
	v_add_co_u32 v31, vcc_lo, s2, v33
	v_ashrrev_i32_e32 v40, 31, v39
	v_add_nc_u32_e32 v41, s11, v39
	v_add_co_ci_u32_e32 v32, vcc_lo, s3, v34, vcc_lo
	v_ashrrev_i32_e32 v36, 31, v35
	v_add_co_u32 v33, vcc_lo, s2, v37
	v_add_co_ci_u32_e32 v34, vcc_lo, s3, v38, vcc_lo
	v_lshlrev_b64 v[37:38], 4, v[39:40]
	v_add_nc_u32_e32 v39, s11, v41
	v_lshlrev_b64 v[35:36], 4, v[35:36]
	v_ashrrev_i32_e32 v42, 31, v41
	s_clause 0x2
	global_load_b128 v[1:4], v70, s[2:3]
	global_load_b128 v[5:8], v[15:16], off
	global_load_b128 v[9:12], v[17:18], off
	v_add_nc_u32_e32 v43, s11, v39
	v_ashrrev_i32_e32 v40, 31, v39
	v_add_co_u32 v35, vcc_lo, s2, v35
	v_lshlrev_b64 v[41:42], 4, v[41:42]
	s_delay_alu instid0(VALU_DEP_4)
	v_add_nc_u32_e32 v47, s11, v43
	v_add_co_ci_u32_e32 v36, vcc_lo, s3, v36, vcc_lo
	v_add_co_u32 v37, vcc_lo, s2, v37
	v_lshlrev_b64 v[45:46], 4, v[39:40]
	v_add_co_ci_u32_e32 v38, vcc_lo, s3, v38, vcc_lo
	v_add_co_u32 v39, vcc_lo, s2, v41
	v_ashrrev_i32_e32 v48, 31, v47
	v_add_nc_u32_e32 v49, s11, v47
	v_ashrrev_i32_e32 v44, 31, v43
	v_add_co_ci_u32_e32 v40, vcc_lo, s3, v42, vcc_lo
	v_add_co_u32 v41, vcc_lo, s2, v45
	v_add_co_ci_u32_e32 v42, vcc_lo, s3, v46, vcc_lo
	v_lshlrev_b64 v[45:46], 4, v[47:48]
	v_add_nc_u32_e32 v47, s11, v49
	v_lshlrev_b64 v[43:44], 4, v[43:44]
	s_clause 0x1
	global_load_b128 v[52:55], v[19:20], off
	global_load_b128 v[56:59], v[21:22], off
	v_ashrrev_i32_e32 v50, 31, v49
	s_clause 0x1
	global_load_b128 v[60:63], v[23:24], off
	global_load_b128 v[64:67], v[25:26], off
	v_ashrrev_i32_e32 v48, 31, v47
	s_clause 0x1
	global_load_b128 v[71:74], v[27:28], off
	global_load_b128 v[75:78], v[29:30], off
	v_add_co_u32 v43, vcc_lo, s2, v43
	v_lshlrev_b64 v[49:50], 4, v[49:50]
	v_add_co_ci_u32_e32 v44, vcc_lo, s3, v44, vcc_lo
	v_add_co_u32 v45, vcc_lo, s2, v45
	v_lshlrev_b64 v[68:69], 4, v[47:48]
	v_add_co_ci_u32_e32 v46, vcc_lo, s3, v46, vcc_lo
	v_add_co_u32 v47, vcc_lo, s2, v49
	v_add_co_ci_u32_e32 v48, vcc_lo, s3, v50, vcc_lo
	s_delay_alu instid0(VALU_DEP_4)
	v_add_co_u32 v49, vcc_lo, s2, v68
	v_add_co_ci_u32_e32 v50, vcc_lo, s3, v69, vcc_lo
	s_clause 0x9
	global_load_b128 v[79:82], v[31:32], off
	global_load_b128 v[83:86], v[33:34], off
	;; [unrolled: 1-line block ×10, first 2 shown]
	s_movk_i32 s2, 0x50
	s_movk_i32 s3, 0x60
	s_bitcmp0_b32 s21, 0
	s_waitcnt vmcnt(18)
	scratch_store_b128 off, v[1:4], off
	s_waitcnt vmcnt(17)
	scratch_store_b128 off, v[5:8], off offset:16
	s_waitcnt vmcnt(16)
	scratch_store_b128 off, v[9:12], off offset:32
	;; [unrolled: 2-line block ×5, first 2 shown]
	v_add_nc_u32_e64 v57, s2, 0
	s_movk_i32 s2, 0x70
	v_add_nc_u32_e64 v54, s3, 0
	v_add_nc_u32_e64 v56, s2, 0
	s_movk_i32 s2, 0x90
	s_movk_i32 s3, 0x80
	v_add_nc_u32_e64 v59, s2, 0
	s_movk_i32 s2, 0xa0
	v_add_nc_u32_e64 v60, s3, 0
	s_movk_i32 s3, 0xb0
	v_add_nc_u32_e64 v62, s2, 0
	s_movk_i32 s2, 0xc0
	s_waitcnt vmcnt(12)
	scratch_store_b128 off, v[64:67], off offset:96
	s_waitcnt vmcnt(11)
	scratch_store_b128 off, v[71:74], off offset:112
	v_add_nc_u32_e64 v61, s3, 0
	s_movk_i32 s3, 0xd0
	v_add_nc_u32_e64 v64, s2, 0
	s_movk_i32 s2, 0xe0
	;; [unrolled: 2-line block ×4, first 2 shown]
	v_add_nc_u32_e64 v65, s3, 0
	v_add_nc_u32_e64 v68, s2, 0
	s_movk_i32 s2, 0x110
	s_movk_i32 s3, 0x120
	v_add_nc_u32_e64 v58, 0, 16
	v_add_nc_u32_e64 v55, 0, 32
	v_add_nc_u32_e64 v53, 0, 48
	v_add_nc_u32_e64 v52, 0, 64
	v_add_nc_u32_e64 v69, s2, 0
	v_add_nc_u32_e64 v67, s3, 0
	s_mov_b32 s3, -1
	s_waitcnt vmcnt(10)
	scratch_store_b128 off, v[75:78], off offset:128
	s_waitcnt vmcnt(9)
	scratch_store_b128 off, v[79:82], off offset:144
	;; [unrolled: 2-line block ×11, first 2 shown]
	s_cbranch_scc1 .LBB18_88
; %bb.4:
	v_cmp_eq_u32_e64 s2, 0, v51
	s_delay_alu instid0(VALU_DEP_1)
	s_and_saveexec_b32 s3, s2
	s_cbranch_execz .LBB18_6
; %bb.5:
	v_mov_b32_e32 v1, 0
	ds_store_b32 v1, v1 offset:608
.LBB18_6:
	s_or_b32 exec_lo, exec_lo, s3
	s_waitcnt lgkmcnt(0)
	s_waitcnt_vscnt null, 0x0
	s_barrier
	buffer_gl0_inv
	scratch_load_b128 v[1:4], v70, off
	s_waitcnt vmcnt(0)
	v_cmp_eq_f64_e32 vcc_lo, 0, v[1:2]
	v_cmp_eq_f64_e64 s3, 0, v[3:4]
	s_delay_alu instid0(VALU_DEP_1) | instskip(NEXT) | instid1(SALU_CYCLE_1)
	s_and_b32 s3, vcc_lo, s3
	s_and_saveexec_b32 s4, s3
	s_cbranch_execz .LBB18_10
; %bb.7:
	v_mov_b32_e32 v1, 0
	s_mov_b32 s5, 0
	ds_load_b32 v2, v1 offset:608
	s_waitcnt lgkmcnt(0)
	v_readfirstlane_b32 s3, v2
	v_add_nc_u32_e32 v2, 1, v51
	s_delay_alu instid0(VALU_DEP_2) | instskip(NEXT) | instid1(VALU_DEP_1)
	s_cmp_eq_u32 s3, 0
	v_cmp_gt_i32_e32 vcc_lo, s3, v2
	s_cselect_b32 s8, -1, 0
	s_delay_alu instid0(SALU_CYCLE_1) | instskip(NEXT) | instid1(SALU_CYCLE_1)
	s_or_b32 s8, s8, vcc_lo
	s_and_b32 exec_lo, exec_lo, s8
	s_cbranch_execz .LBB18_10
; %bb.8:
	v_mov_b32_e32 v3, s3
.LBB18_9:                               ; =>This Inner Loop Header: Depth=1
	ds_cmpstore_rtn_b32 v3, v1, v2, v3 offset:608
	s_waitcnt lgkmcnt(0)
	v_cmp_ne_u32_e32 vcc_lo, 0, v3
	v_cmp_le_i32_e64 s3, v3, v2
	s_delay_alu instid0(VALU_DEP_1) | instskip(NEXT) | instid1(SALU_CYCLE_1)
	s_and_b32 s3, vcc_lo, s3
	s_and_b32 s3, exec_lo, s3
	s_delay_alu instid0(SALU_CYCLE_1) | instskip(NEXT) | instid1(SALU_CYCLE_1)
	s_or_b32 s5, s3, s5
	s_and_not1_b32 exec_lo, exec_lo, s5
	s_cbranch_execnz .LBB18_9
.LBB18_10:
	s_or_b32 exec_lo, exec_lo, s4
	v_mov_b32_e32 v1, 0
	s_barrier
	buffer_gl0_inv
	ds_load_b32 v2, v1 offset:608
	s_and_saveexec_b32 s3, s2
	s_cbranch_execz .LBB18_12
; %bb.11:
	s_lshl_b64 s[4:5], s[18:19], 2
	s_delay_alu instid0(SALU_CYCLE_1)
	s_add_u32 s4, s6, s4
	s_addc_u32 s5, s7, s5
	s_waitcnt lgkmcnt(0)
	global_store_b32 v1, v2, s[4:5]
.LBB18_12:
	s_or_b32 exec_lo, exec_lo, s3
	s_waitcnt lgkmcnt(0)
	v_cmp_ne_u32_e32 vcc_lo, 0, v2
	s_mov_b32 s3, 0
	s_cbranch_vccnz .LBB18_88
; %bb.13:
	v_add_nc_u32_e32 v71, 0, v70
                                        ; implicit-def: $vgpr9_vgpr10
	scratch_load_b128 v[1:4], v71, off
	s_waitcnt vmcnt(0)
	v_cmp_gt_f64_e32 vcc_lo, 0, v[1:2]
	v_xor_b32_e32 v6, 0x80000000, v2
	v_mov_b32_e32 v5, v1
	v_xor_b32_e32 v7, 0x80000000, v4
	s_delay_alu instid0(VALU_DEP_3) | instskip(SKIP_1) | instid1(VALU_DEP_3)
	v_cndmask_b32_e32 v6, v2, v6, vcc_lo
	v_cmp_gt_f64_e32 vcc_lo, 0, v[3:4]
	v_dual_cndmask_b32 v8, v4, v7 :: v_dual_mov_b32 v7, v3
	s_delay_alu instid0(VALU_DEP_1) | instskip(SKIP_1) | instid1(SALU_CYCLE_1)
	v_cmp_ngt_f64_e32 vcc_lo, v[5:6], v[7:8]
                                        ; implicit-def: $vgpr5_vgpr6
	s_and_saveexec_b32 s3, vcc_lo
	s_xor_b32 s3, exec_lo, s3
	s_cbranch_execz .LBB18_15
; %bb.14:
	v_div_scale_f64 v[5:6], null, v[3:4], v[3:4], v[1:2]
	v_div_scale_f64 v[11:12], vcc_lo, v[1:2], v[3:4], v[1:2]
	s_delay_alu instid0(VALU_DEP_2) | instskip(SKIP_2) | instid1(VALU_DEP_1)
	v_rcp_f64_e32 v[7:8], v[5:6]
	s_waitcnt_depctr 0xfff
	v_fma_f64 v[9:10], -v[5:6], v[7:8], 1.0
	v_fma_f64 v[7:8], v[7:8], v[9:10], v[7:8]
	s_delay_alu instid0(VALU_DEP_1) | instskip(NEXT) | instid1(VALU_DEP_1)
	v_fma_f64 v[9:10], -v[5:6], v[7:8], 1.0
	v_fma_f64 v[7:8], v[7:8], v[9:10], v[7:8]
	s_delay_alu instid0(VALU_DEP_1) | instskip(NEXT) | instid1(VALU_DEP_1)
	v_mul_f64 v[9:10], v[11:12], v[7:8]
	v_fma_f64 v[5:6], -v[5:6], v[9:10], v[11:12]
	s_delay_alu instid0(VALU_DEP_1) | instskip(NEXT) | instid1(VALU_DEP_1)
	v_div_fmas_f64 v[5:6], v[5:6], v[7:8], v[9:10]
	v_div_fixup_f64 v[5:6], v[5:6], v[3:4], v[1:2]
	s_delay_alu instid0(VALU_DEP_1) | instskip(NEXT) | instid1(VALU_DEP_1)
	v_fma_f64 v[1:2], v[1:2], v[5:6], v[3:4]
	v_div_scale_f64 v[3:4], null, v[1:2], v[1:2], 1.0
	v_div_scale_f64 v[11:12], vcc_lo, 1.0, v[1:2], 1.0
	s_delay_alu instid0(VALU_DEP_2) | instskip(SKIP_2) | instid1(VALU_DEP_1)
	v_rcp_f64_e32 v[7:8], v[3:4]
	s_waitcnt_depctr 0xfff
	v_fma_f64 v[9:10], -v[3:4], v[7:8], 1.0
	v_fma_f64 v[7:8], v[7:8], v[9:10], v[7:8]
	s_delay_alu instid0(VALU_DEP_1) | instskip(NEXT) | instid1(VALU_DEP_1)
	v_fma_f64 v[9:10], -v[3:4], v[7:8], 1.0
	v_fma_f64 v[7:8], v[7:8], v[9:10], v[7:8]
	s_delay_alu instid0(VALU_DEP_1) | instskip(NEXT) | instid1(VALU_DEP_1)
	v_mul_f64 v[9:10], v[11:12], v[7:8]
	v_fma_f64 v[3:4], -v[3:4], v[9:10], v[11:12]
	s_delay_alu instid0(VALU_DEP_1) | instskip(NEXT) | instid1(VALU_DEP_1)
	v_div_fmas_f64 v[3:4], v[3:4], v[7:8], v[9:10]
	v_div_fixup_f64 v[7:8], v[3:4], v[1:2], 1.0
                                        ; implicit-def: $vgpr1_vgpr2
	s_delay_alu instid0(VALU_DEP_1) | instskip(SKIP_1) | instid1(VALU_DEP_2)
	v_mul_f64 v[5:6], v[5:6], v[7:8]
	v_xor_b32_e32 v8, 0x80000000, v8
	v_xor_b32_e32 v10, 0x80000000, v6
	s_delay_alu instid0(VALU_DEP_3)
	v_mov_b32_e32 v9, v5
.LBB18_15:
	s_and_not1_saveexec_b32 s3, s3
	s_cbranch_execz .LBB18_17
; %bb.16:
	v_div_scale_f64 v[5:6], null, v[1:2], v[1:2], v[3:4]
	v_div_scale_f64 v[11:12], vcc_lo, v[3:4], v[1:2], v[3:4]
	s_delay_alu instid0(VALU_DEP_2) | instskip(SKIP_2) | instid1(VALU_DEP_1)
	v_rcp_f64_e32 v[7:8], v[5:6]
	s_waitcnt_depctr 0xfff
	v_fma_f64 v[9:10], -v[5:6], v[7:8], 1.0
	v_fma_f64 v[7:8], v[7:8], v[9:10], v[7:8]
	s_delay_alu instid0(VALU_DEP_1) | instskip(NEXT) | instid1(VALU_DEP_1)
	v_fma_f64 v[9:10], -v[5:6], v[7:8], 1.0
	v_fma_f64 v[7:8], v[7:8], v[9:10], v[7:8]
	s_delay_alu instid0(VALU_DEP_1) | instskip(NEXT) | instid1(VALU_DEP_1)
	v_mul_f64 v[9:10], v[11:12], v[7:8]
	v_fma_f64 v[5:6], -v[5:6], v[9:10], v[11:12]
	s_delay_alu instid0(VALU_DEP_1) | instskip(NEXT) | instid1(VALU_DEP_1)
	v_div_fmas_f64 v[5:6], v[5:6], v[7:8], v[9:10]
	v_div_fixup_f64 v[7:8], v[5:6], v[1:2], v[3:4]
	s_delay_alu instid0(VALU_DEP_1) | instskip(NEXT) | instid1(VALU_DEP_1)
	v_fma_f64 v[1:2], v[3:4], v[7:8], v[1:2]
	v_div_scale_f64 v[3:4], null, v[1:2], v[1:2], 1.0
	s_delay_alu instid0(VALU_DEP_1) | instskip(SKIP_2) | instid1(VALU_DEP_1)
	v_rcp_f64_e32 v[5:6], v[3:4]
	s_waitcnt_depctr 0xfff
	v_fma_f64 v[9:10], -v[3:4], v[5:6], 1.0
	v_fma_f64 v[5:6], v[5:6], v[9:10], v[5:6]
	s_delay_alu instid0(VALU_DEP_1) | instskip(NEXT) | instid1(VALU_DEP_1)
	v_fma_f64 v[9:10], -v[3:4], v[5:6], 1.0
	v_fma_f64 v[5:6], v[5:6], v[9:10], v[5:6]
	v_div_scale_f64 v[9:10], vcc_lo, 1.0, v[1:2], 1.0
	s_delay_alu instid0(VALU_DEP_1) | instskip(NEXT) | instid1(VALU_DEP_1)
	v_mul_f64 v[11:12], v[9:10], v[5:6]
	v_fma_f64 v[3:4], -v[3:4], v[11:12], v[9:10]
	s_delay_alu instid0(VALU_DEP_1) | instskip(NEXT) | instid1(VALU_DEP_1)
	v_div_fmas_f64 v[3:4], v[3:4], v[5:6], v[11:12]
	v_div_fixup_f64 v[5:6], v[3:4], v[1:2], 1.0
	s_delay_alu instid0(VALU_DEP_1)
	v_mul_f64 v[7:8], v[7:8], -v[5:6]
	v_xor_b32_e32 v10, 0x80000000, v6
	v_mov_b32_e32 v9, v5
.LBB18_17:
	s_or_b32 exec_lo, exec_lo, s3
	scratch_store_b128 v71, v[5:8], off
	scratch_load_b128 v[1:4], v58, off
	v_xor_b32_e32 v12, 0x80000000, v8
	v_mov_b32_e32 v11, v7
	v_add_nc_u32_e32 v5, 0x130, v70
	ds_store_b128 v70, v[9:12]
	s_waitcnt vmcnt(0)
	ds_store_b128 v70, v[1:4] offset:304
	s_waitcnt lgkmcnt(0)
	s_waitcnt_vscnt null, 0x0
	s_barrier
	buffer_gl0_inv
	s_and_saveexec_b32 s3, s2
	s_cbranch_execz .LBB18_19
; %bb.18:
	scratch_load_b128 v[1:4], v71, off
	ds_load_b128 v[6:9], v5
	v_mov_b32_e32 v10, 0
	ds_load_b128 v[72:75], v10 offset:16
	s_waitcnt vmcnt(0) lgkmcnt(1)
	v_mul_f64 v[10:11], v[6:7], v[3:4]
	v_mul_f64 v[3:4], v[8:9], v[3:4]
	s_delay_alu instid0(VALU_DEP_2) | instskip(NEXT) | instid1(VALU_DEP_2)
	v_fma_f64 v[8:9], v[8:9], v[1:2], v[10:11]
	v_fma_f64 v[1:2], v[6:7], v[1:2], -v[3:4]
	s_delay_alu instid0(VALU_DEP_2) | instskip(NEXT) | instid1(VALU_DEP_2)
	v_add_f64 v[3:4], v[8:9], 0
	v_add_f64 v[1:2], v[1:2], 0
	s_waitcnt lgkmcnt(0)
	s_delay_alu instid0(VALU_DEP_2) | instskip(NEXT) | instid1(VALU_DEP_2)
	v_mul_f64 v[6:7], v[3:4], v[74:75]
	v_mul_f64 v[8:9], v[1:2], v[74:75]
	s_delay_alu instid0(VALU_DEP_2) | instskip(NEXT) | instid1(VALU_DEP_2)
	v_fma_f64 v[1:2], v[1:2], v[72:73], -v[6:7]
	v_fma_f64 v[3:4], v[3:4], v[72:73], v[8:9]
	scratch_store_b128 off, v[1:4], off offset:16
.LBB18_19:
	s_or_b32 exec_lo, exec_lo, s3
	s_waitcnt_vscnt null, 0x0
	s_barrier
	buffer_gl0_inv
	scratch_load_b128 v[1:4], v55, off
	s_mov_b32 s3, exec_lo
	s_waitcnt vmcnt(0)
	ds_store_b128 v5, v[1:4]
	s_waitcnt lgkmcnt(0)
	s_barrier
	buffer_gl0_inv
	v_cmpx_gt_u32_e32 2, v51
	s_cbranch_execz .LBB18_23
; %bb.20:
	scratch_load_b128 v[1:4], v71, off
	ds_load_b128 v[6:9], v5
	s_waitcnt vmcnt(0) lgkmcnt(0)
	v_mul_f64 v[10:11], v[8:9], v[3:4]
	v_mul_f64 v[3:4], v[6:7], v[3:4]
	s_delay_alu instid0(VALU_DEP_2) | instskip(NEXT) | instid1(VALU_DEP_2)
	v_fma_f64 v[6:7], v[6:7], v[1:2], -v[10:11]
	v_fma_f64 v[3:4], v[8:9], v[1:2], v[3:4]
	s_delay_alu instid0(VALU_DEP_2) | instskip(NEXT) | instid1(VALU_DEP_2)
	v_add_f64 v[1:2], v[6:7], 0
	v_add_f64 v[3:4], v[3:4], 0
	s_and_saveexec_b32 s4, s2
	s_cbranch_execz .LBB18_22
; %bb.21:
	scratch_load_b128 v[6:9], off, off offset:16
	v_mov_b32_e32 v10, 0
	ds_load_b128 v[72:75], v10 offset:320
	s_waitcnt vmcnt(0) lgkmcnt(0)
	v_mul_f64 v[10:11], v[72:73], v[8:9]
	v_mul_f64 v[8:9], v[74:75], v[8:9]
	s_delay_alu instid0(VALU_DEP_2) | instskip(NEXT) | instid1(VALU_DEP_2)
	v_fma_f64 v[10:11], v[74:75], v[6:7], v[10:11]
	v_fma_f64 v[6:7], v[72:73], v[6:7], -v[8:9]
	s_delay_alu instid0(VALU_DEP_2) | instskip(NEXT) | instid1(VALU_DEP_2)
	v_add_f64 v[3:4], v[3:4], v[10:11]
	v_add_f64 v[1:2], v[1:2], v[6:7]
.LBB18_22:
	s_or_b32 exec_lo, exec_lo, s4
	v_mov_b32_e32 v6, 0
	ds_load_b128 v[6:9], v6 offset:32
	s_waitcnt lgkmcnt(0)
	v_mul_f64 v[10:11], v[3:4], v[8:9]
	v_mul_f64 v[8:9], v[1:2], v[8:9]
	s_delay_alu instid0(VALU_DEP_2) | instskip(NEXT) | instid1(VALU_DEP_2)
	v_fma_f64 v[1:2], v[1:2], v[6:7], -v[10:11]
	v_fma_f64 v[3:4], v[3:4], v[6:7], v[8:9]
	scratch_store_b128 off, v[1:4], off offset:32
.LBB18_23:
	s_or_b32 exec_lo, exec_lo, s3
	s_waitcnt_vscnt null, 0x0
	s_barrier
	buffer_gl0_inv
	scratch_load_b128 v[1:4], v53, off
	v_add_nc_u32_e32 v6, -1, v51
	s_mov_b32 s2, exec_lo
	s_waitcnt vmcnt(0)
	ds_store_b128 v5, v[1:4]
	s_waitcnt lgkmcnt(0)
	s_barrier
	buffer_gl0_inv
	v_cmpx_gt_u32_e32 3, v51
	s_cbranch_execz .LBB18_27
; %bb.24:
	v_dual_mov_b32 v1, 0 :: v_dual_add_nc_u32 v8, 0x130, v70
	v_dual_mov_b32 v2, 0 :: v_dual_add_nc_u32 v7, -1, v51
	v_or_b32_e32 v9, 8, v71
	s_mov_b32 s3, 0
	s_delay_alu instid0(VALU_DEP_2)
	v_dual_mov_b32 v4, v2 :: v_dual_mov_b32 v3, v1
	.p2align	6
.LBB18_25:                              ; =>This Inner Loop Header: Depth=1
	scratch_load_b128 v[72:75], v9, off offset:-8
	ds_load_b128 v[76:79], v8
	v_add_nc_u32_e32 v7, 1, v7
	v_add_nc_u32_e32 v8, 16, v8
	;; [unrolled: 1-line block ×3, first 2 shown]
	s_delay_alu instid0(VALU_DEP_3) | instskip(SKIP_4) | instid1(VALU_DEP_2)
	v_cmp_lt_u32_e32 vcc_lo, 1, v7
	s_or_b32 s3, vcc_lo, s3
	s_waitcnt vmcnt(0) lgkmcnt(0)
	v_mul_f64 v[10:11], v[78:79], v[74:75]
	v_mul_f64 v[74:75], v[76:77], v[74:75]
	v_fma_f64 v[10:11], v[76:77], v[72:73], -v[10:11]
	s_delay_alu instid0(VALU_DEP_2) | instskip(NEXT) | instid1(VALU_DEP_2)
	v_fma_f64 v[72:73], v[78:79], v[72:73], v[74:75]
	v_add_f64 v[3:4], v[3:4], v[10:11]
	s_delay_alu instid0(VALU_DEP_2)
	v_add_f64 v[1:2], v[1:2], v[72:73]
	s_and_not1_b32 exec_lo, exec_lo, s3
	s_cbranch_execnz .LBB18_25
; %bb.26:
	s_or_b32 exec_lo, exec_lo, s3
	v_mov_b32_e32 v7, 0
	ds_load_b128 v[7:10], v7 offset:48
	s_waitcnt lgkmcnt(0)
	v_mul_f64 v[11:12], v[1:2], v[9:10]
	v_mul_f64 v[72:73], v[3:4], v[9:10]
	s_delay_alu instid0(VALU_DEP_2) | instskip(NEXT) | instid1(VALU_DEP_2)
	v_fma_f64 v[9:10], v[3:4], v[7:8], -v[11:12]
	v_fma_f64 v[11:12], v[1:2], v[7:8], v[72:73]
	scratch_store_b128 off, v[9:12], off offset:48
.LBB18_27:
	s_or_b32 exec_lo, exec_lo, s2
	s_waitcnt_vscnt null, 0x0
	s_barrier
	buffer_gl0_inv
	scratch_load_b128 v[1:4], v52, off
	s_mov_b32 s2, exec_lo
	s_waitcnt vmcnt(0)
	ds_store_b128 v5, v[1:4]
	s_waitcnt lgkmcnt(0)
	s_barrier
	buffer_gl0_inv
	v_cmpx_gt_u32_e32 4, v51
	s_cbranch_execz .LBB18_31
; %bb.28:
	v_dual_mov_b32 v1, 0 :: v_dual_add_nc_u32 v8, 0x130, v70
	v_dual_mov_b32 v2, 0 :: v_dual_add_nc_u32 v7, -1, v51
	v_or_b32_e32 v9, 8, v71
	s_mov_b32 s3, 0
	s_delay_alu instid0(VALU_DEP_2)
	v_dual_mov_b32 v4, v2 :: v_dual_mov_b32 v3, v1
	.p2align	6
.LBB18_29:                              ; =>This Inner Loop Header: Depth=1
	scratch_load_b128 v[72:75], v9, off offset:-8
	ds_load_b128 v[76:79], v8
	v_add_nc_u32_e32 v7, 1, v7
	v_add_nc_u32_e32 v8, 16, v8
	;; [unrolled: 1-line block ×3, first 2 shown]
	s_delay_alu instid0(VALU_DEP_3) | instskip(SKIP_4) | instid1(VALU_DEP_2)
	v_cmp_lt_u32_e32 vcc_lo, 2, v7
	s_or_b32 s3, vcc_lo, s3
	s_waitcnt vmcnt(0) lgkmcnt(0)
	v_mul_f64 v[10:11], v[78:79], v[74:75]
	v_mul_f64 v[74:75], v[76:77], v[74:75]
	v_fma_f64 v[10:11], v[76:77], v[72:73], -v[10:11]
	s_delay_alu instid0(VALU_DEP_2) | instskip(NEXT) | instid1(VALU_DEP_2)
	v_fma_f64 v[72:73], v[78:79], v[72:73], v[74:75]
	v_add_f64 v[3:4], v[3:4], v[10:11]
	s_delay_alu instid0(VALU_DEP_2)
	v_add_f64 v[1:2], v[1:2], v[72:73]
	s_and_not1_b32 exec_lo, exec_lo, s3
	s_cbranch_execnz .LBB18_29
; %bb.30:
	s_or_b32 exec_lo, exec_lo, s3
	v_mov_b32_e32 v7, 0
	ds_load_b128 v[7:10], v7 offset:64
	s_waitcnt lgkmcnt(0)
	v_mul_f64 v[11:12], v[1:2], v[9:10]
	v_mul_f64 v[72:73], v[3:4], v[9:10]
	s_delay_alu instid0(VALU_DEP_2) | instskip(NEXT) | instid1(VALU_DEP_2)
	v_fma_f64 v[9:10], v[3:4], v[7:8], -v[11:12]
	v_fma_f64 v[11:12], v[1:2], v[7:8], v[72:73]
	scratch_store_b128 off, v[9:12], off offset:64
.LBB18_31:
	s_or_b32 exec_lo, exec_lo, s2
	s_waitcnt_vscnt null, 0x0
	s_barrier
	buffer_gl0_inv
	scratch_load_b128 v[1:4], v57, off
	s_mov_b32 s2, exec_lo
	s_waitcnt vmcnt(0)
	ds_store_b128 v5, v[1:4]
	s_waitcnt lgkmcnt(0)
	s_barrier
	buffer_gl0_inv
	v_cmpx_gt_u32_e32 5, v51
	s_cbranch_execz .LBB18_35
; %bb.32:
	v_dual_mov_b32 v1, 0 :: v_dual_add_nc_u32 v8, 0x130, v70
	v_dual_mov_b32 v2, 0 :: v_dual_add_nc_u32 v7, -1, v51
	v_or_b32_e32 v9, 8, v71
	s_mov_b32 s3, 0
	s_delay_alu instid0(VALU_DEP_2)
	v_dual_mov_b32 v4, v2 :: v_dual_mov_b32 v3, v1
	.p2align	6
.LBB18_33:                              ; =>This Inner Loop Header: Depth=1
	scratch_load_b128 v[72:75], v9, off offset:-8
	ds_load_b128 v[76:79], v8
	v_add_nc_u32_e32 v7, 1, v7
	v_add_nc_u32_e32 v8, 16, v8
	;; [unrolled: 1-line block ×3, first 2 shown]
	s_delay_alu instid0(VALU_DEP_3) | instskip(SKIP_4) | instid1(VALU_DEP_2)
	v_cmp_lt_u32_e32 vcc_lo, 3, v7
	s_or_b32 s3, vcc_lo, s3
	s_waitcnt vmcnt(0) lgkmcnt(0)
	v_mul_f64 v[10:11], v[78:79], v[74:75]
	v_mul_f64 v[74:75], v[76:77], v[74:75]
	v_fma_f64 v[10:11], v[76:77], v[72:73], -v[10:11]
	s_delay_alu instid0(VALU_DEP_2) | instskip(NEXT) | instid1(VALU_DEP_2)
	v_fma_f64 v[72:73], v[78:79], v[72:73], v[74:75]
	v_add_f64 v[3:4], v[3:4], v[10:11]
	s_delay_alu instid0(VALU_DEP_2)
	v_add_f64 v[1:2], v[1:2], v[72:73]
	s_and_not1_b32 exec_lo, exec_lo, s3
	s_cbranch_execnz .LBB18_33
; %bb.34:
	s_or_b32 exec_lo, exec_lo, s3
	v_mov_b32_e32 v7, 0
	ds_load_b128 v[7:10], v7 offset:80
	s_waitcnt lgkmcnt(0)
	v_mul_f64 v[11:12], v[1:2], v[9:10]
	v_mul_f64 v[72:73], v[3:4], v[9:10]
	s_delay_alu instid0(VALU_DEP_2) | instskip(NEXT) | instid1(VALU_DEP_2)
	v_fma_f64 v[9:10], v[3:4], v[7:8], -v[11:12]
	v_fma_f64 v[11:12], v[1:2], v[7:8], v[72:73]
	scratch_store_b128 off, v[9:12], off offset:80
.LBB18_35:
	s_or_b32 exec_lo, exec_lo, s2
	s_waitcnt_vscnt null, 0x0
	s_barrier
	buffer_gl0_inv
	scratch_load_b128 v[1:4], v54, off
	s_mov_b32 s2, exec_lo
	s_waitcnt vmcnt(0)
	ds_store_b128 v5, v[1:4]
	s_waitcnt lgkmcnt(0)
	s_barrier
	buffer_gl0_inv
	v_cmpx_gt_u32_e32 6, v51
	s_cbranch_execz .LBB18_39
; %bb.36:
	v_dual_mov_b32 v1, 0 :: v_dual_add_nc_u32 v8, 0x130, v70
	v_dual_mov_b32 v2, 0 :: v_dual_add_nc_u32 v7, -1, v51
	v_or_b32_e32 v9, 8, v71
	s_mov_b32 s3, 0
	s_delay_alu instid0(VALU_DEP_2)
	v_dual_mov_b32 v4, v2 :: v_dual_mov_b32 v3, v1
	.p2align	6
.LBB18_37:                              ; =>This Inner Loop Header: Depth=1
	scratch_load_b128 v[72:75], v9, off offset:-8
	ds_load_b128 v[76:79], v8
	v_add_nc_u32_e32 v7, 1, v7
	v_add_nc_u32_e32 v8, 16, v8
	;; [unrolled: 1-line block ×3, first 2 shown]
	s_delay_alu instid0(VALU_DEP_3) | instskip(SKIP_4) | instid1(VALU_DEP_2)
	v_cmp_lt_u32_e32 vcc_lo, 4, v7
	s_or_b32 s3, vcc_lo, s3
	s_waitcnt vmcnt(0) lgkmcnt(0)
	v_mul_f64 v[10:11], v[78:79], v[74:75]
	v_mul_f64 v[74:75], v[76:77], v[74:75]
	v_fma_f64 v[10:11], v[76:77], v[72:73], -v[10:11]
	s_delay_alu instid0(VALU_DEP_2) | instskip(NEXT) | instid1(VALU_DEP_2)
	v_fma_f64 v[72:73], v[78:79], v[72:73], v[74:75]
	v_add_f64 v[3:4], v[3:4], v[10:11]
	s_delay_alu instid0(VALU_DEP_2)
	v_add_f64 v[1:2], v[1:2], v[72:73]
	s_and_not1_b32 exec_lo, exec_lo, s3
	s_cbranch_execnz .LBB18_37
; %bb.38:
	s_or_b32 exec_lo, exec_lo, s3
	v_mov_b32_e32 v7, 0
	ds_load_b128 v[7:10], v7 offset:96
	s_waitcnt lgkmcnt(0)
	v_mul_f64 v[11:12], v[1:2], v[9:10]
	v_mul_f64 v[72:73], v[3:4], v[9:10]
	s_delay_alu instid0(VALU_DEP_2) | instskip(NEXT) | instid1(VALU_DEP_2)
	v_fma_f64 v[9:10], v[3:4], v[7:8], -v[11:12]
	v_fma_f64 v[11:12], v[1:2], v[7:8], v[72:73]
	scratch_store_b128 off, v[9:12], off offset:96
.LBB18_39:
	s_or_b32 exec_lo, exec_lo, s2
	s_waitcnt_vscnt null, 0x0
	s_barrier
	buffer_gl0_inv
	scratch_load_b128 v[1:4], v56, off
	s_mov_b32 s2, exec_lo
	s_waitcnt vmcnt(0)
	ds_store_b128 v5, v[1:4]
	s_waitcnt lgkmcnt(0)
	s_barrier
	buffer_gl0_inv
	v_cmpx_gt_u32_e32 7, v51
	s_cbranch_execz .LBB18_43
; %bb.40:
	v_dual_mov_b32 v1, 0 :: v_dual_add_nc_u32 v8, 0x130, v70
	v_dual_mov_b32 v2, 0 :: v_dual_add_nc_u32 v7, -1, v51
	v_or_b32_e32 v9, 8, v71
	s_mov_b32 s3, 0
	s_delay_alu instid0(VALU_DEP_2)
	v_dual_mov_b32 v4, v2 :: v_dual_mov_b32 v3, v1
	.p2align	6
.LBB18_41:                              ; =>This Inner Loop Header: Depth=1
	scratch_load_b128 v[72:75], v9, off offset:-8
	ds_load_b128 v[76:79], v8
	v_add_nc_u32_e32 v7, 1, v7
	v_add_nc_u32_e32 v8, 16, v8
	;; [unrolled: 1-line block ×3, first 2 shown]
	s_delay_alu instid0(VALU_DEP_3) | instskip(SKIP_4) | instid1(VALU_DEP_2)
	v_cmp_lt_u32_e32 vcc_lo, 5, v7
	s_or_b32 s3, vcc_lo, s3
	s_waitcnt vmcnt(0) lgkmcnt(0)
	v_mul_f64 v[10:11], v[78:79], v[74:75]
	v_mul_f64 v[74:75], v[76:77], v[74:75]
	v_fma_f64 v[10:11], v[76:77], v[72:73], -v[10:11]
	s_delay_alu instid0(VALU_DEP_2) | instskip(NEXT) | instid1(VALU_DEP_2)
	v_fma_f64 v[72:73], v[78:79], v[72:73], v[74:75]
	v_add_f64 v[3:4], v[3:4], v[10:11]
	s_delay_alu instid0(VALU_DEP_2)
	v_add_f64 v[1:2], v[1:2], v[72:73]
	s_and_not1_b32 exec_lo, exec_lo, s3
	s_cbranch_execnz .LBB18_41
; %bb.42:
	s_or_b32 exec_lo, exec_lo, s3
	v_mov_b32_e32 v7, 0
	ds_load_b128 v[7:10], v7 offset:112
	s_waitcnt lgkmcnt(0)
	v_mul_f64 v[11:12], v[1:2], v[9:10]
	v_mul_f64 v[72:73], v[3:4], v[9:10]
	s_delay_alu instid0(VALU_DEP_2) | instskip(NEXT) | instid1(VALU_DEP_2)
	v_fma_f64 v[9:10], v[3:4], v[7:8], -v[11:12]
	v_fma_f64 v[11:12], v[1:2], v[7:8], v[72:73]
	scratch_store_b128 off, v[9:12], off offset:112
.LBB18_43:
	s_or_b32 exec_lo, exec_lo, s2
	s_waitcnt_vscnt null, 0x0
	s_barrier
	buffer_gl0_inv
	scratch_load_b128 v[1:4], v60, off
	s_mov_b32 s2, exec_lo
	s_waitcnt vmcnt(0)
	ds_store_b128 v5, v[1:4]
	s_waitcnt lgkmcnt(0)
	s_barrier
	buffer_gl0_inv
	v_cmpx_gt_u32_e32 8, v51
	s_cbranch_execz .LBB18_47
; %bb.44:
	v_dual_mov_b32 v1, 0 :: v_dual_add_nc_u32 v8, 0x130, v70
	v_dual_mov_b32 v2, 0 :: v_dual_add_nc_u32 v7, -1, v51
	v_or_b32_e32 v9, 8, v71
	s_mov_b32 s3, 0
	s_delay_alu instid0(VALU_DEP_2)
	v_dual_mov_b32 v4, v2 :: v_dual_mov_b32 v3, v1
	.p2align	6
.LBB18_45:                              ; =>This Inner Loop Header: Depth=1
	scratch_load_b128 v[72:75], v9, off offset:-8
	ds_load_b128 v[76:79], v8
	v_add_nc_u32_e32 v7, 1, v7
	v_add_nc_u32_e32 v8, 16, v8
	;; [unrolled: 1-line block ×3, first 2 shown]
	s_delay_alu instid0(VALU_DEP_3) | instskip(SKIP_4) | instid1(VALU_DEP_2)
	v_cmp_lt_u32_e32 vcc_lo, 6, v7
	s_or_b32 s3, vcc_lo, s3
	s_waitcnt vmcnt(0) lgkmcnt(0)
	v_mul_f64 v[10:11], v[78:79], v[74:75]
	v_mul_f64 v[74:75], v[76:77], v[74:75]
	v_fma_f64 v[10:11], v[76:77], v[72:73], -v[10:11]
	s_delay_alu instid0(VALU_DEP_2) | instskip(NEXT) | instid1(VALU_DEP_2)
	v_fma_f64 v[72:73], v[78:79], v[72:73], v[74:75]
	v_add_f64 v[3:4], v[3:4], v[10:11]
	s_delay_alu instid0(VALU_DEP_2)
	v_add_f64 v[1:2], v[1:2], v[72:73]
	s_and_not1_b32 exec_lo, exec_lo, s3
	s_cbranch_execnz .LBB18_45
; %bb.46:
	s_or_b32 exec_lo, exec_lo, s3
	v_mov_b32_e32 v7, 0
	ds_load_b128 v[7:10], v7 offset:128
	s_waitcnt lgkmcnt(0)
	v_mul_f64 v[11:12], v[1:2], v[9:10]
	v_mul_f64 v[72:73], v[3:4], v[9:10]
	s_delay_alu instid0(VALU_DEP_2) | instskip(NEXT) | instid1(VALU_DEP_2)
	v_fma_f64 v[9:10], v[3:4], v[7:8], -v[11:12]
	v_fma_f64 v[11:12], v[1:2], v[7:8], v[72:73]
	scratch_store_b128 off, v[9:12], off offset:128
.LBB18_47:
	s_or_b32 exec_lo, exec_lo, s2
	s_waitcnt_vscnt null, 0x0
	s_barrier
	buffer_gl0_inv
	scratch_load_b128 v[1:4], v59, off
	s_mov_b32 s2, exec_lo
	s_waitcnt vmcnt(0)
	ds_store_b128 v5, v[1:4]
	s_waitcnt lgkmcnt(0)
	s_barrier
	buffer_gl0_inv
	v_cmpx_gt_u32_e32 9, v51
	s_cbranch_execz .LBB18_51
; %bb.48:
	v_dual_mov_b32 v1, 0 :: v_dual_add_nc_u32 v8, 0x130, v70
	v_dual_mov_b32 v2, 0 :: v_dual_add_nc_u32 v7, -1, v51
	v_or_b32_e32 v9, 8, v71
	s_mov_b32 s3, 0
	s_delay_alu instid0(VALU_DEP_2)
	v_dual_mov_b32 v4, v2 :: v_dual_mov_b32 v3, v1
	.p2align	6
.LBB18_49:                              ; =>This Inner Loop Header: Depth=1
	scratch_load_b128 v[72:75], v9, off offset:-8
	ds_load_b128 v[76:79], v8
	v_add_nc_u32_e32 v7, 1, v7
	v_add_nc_u32_e32 v8, 16, v8
	;; [unrolled: 1-line block ×3, first 2 shown]
	s_delay_alu instid0(VALU_DEP_3) | instskip(SKIP_4) | instid1(VALU_DEP_2)
	v_cmp_lt_u32_e32 vcc_lo, 7, v7
	s_or_b32 s3, vcc_lo, s3
	s_waitcnt vmcnt(0) lgkmcnt(0)
	v_mul_f64 v[10:11], v[78:79], v[74:75]
	v_mul_f64 v[74:75], v[76:77], v[74:75]
	v_fma_f64 v[10:11], v[76:77], v[72:73], -v[10:11]
	s_delay_alu instid0(VALU_DEP_2) | instskip(NEXT) | instid1(VALU_DEP_2)
	v_fma_f64 v[72:73], v[78:79], v[72:73], v[74:75]
	v_add_f64 v[3:4], v[3:4], v[10:11]
	s_delay_alu instid0(VALU_DEP_2)
	v_add_f64 v[1:2], v[1:2], v[72:73]
	s_and_not1_b32 exec_lo, exec_lo, s3
	s_cbranch_execnz .LBB18_49
; %bb.50:
	s_or_b32 exec_lo, exec_lo, s3
	v_mov_b32_e32 v7, 0
	ds_load_b128 v[7:10], v7 offset:144
	s_waitcnt lgkmcnt(0)
	v_mul_f64 v[11:12], v[1:2], v[9:10]
	v_mul_f64 v[72:73], v[3:4], v[9:10]
	s_delay_alu instid0(VALU_DEP_2) | instskip(NEXT) | instid1(VALU_DEP_2)
	v_fma_f64 v[9:10], v[3:4], v[7:8], -v[11:12]
	v_fma_f64 v[11:12], v[1:2], v[7:8], v[72:73]
	scratch_store_b128 off, v[9:12], off offset:144
.LBB18_51:
	s_or_b32 exec_lo, exec_lo, s2
	s_waitcnt_vscnt null, 0x0
	s_barrier
	buffer_gl0_inv
	scratch_load_b128 v[1:4], v62, off
	s_mov_b32 s2, exec_lo
	s_waitcnt vmcnt(0)
	ds_store_b128 v5, v[1:4]
	s_waitcnt lgkmcnt(0)
	s_barrier
	buffer_gl0_inv
	v_cmpx_gt_u32_e32 10, v51
	s_cbranch_execz .LBB18_55
; %bb.52:
	v_dual_mov_b32 v1, 0 :: v_dual_add_nc_u32 v8, 0x130, v70
	v_dual_mov_b32 v2, 0 :: v_dual_add_nc_u32 v7, -1, v51
	v_or_b32_e32 v9, 8, v71
	s_mov_b32 s3, 0
	s_delay_alu instid0(VALU_DEP_2)
	v_dual_mov_b32 v4, v2 :: v_dual_mov_b32 v3, v1
	.p2align	6
.LBB18_53:                              ; =>This Inner Loop Header: Depth=1
	scratch_load_b128 v[72:75], v9, off offset:-8
	ds_load_b128 v[76:79], v8
	v_add_nc_u32_e32 v7, 1, v7
	v_add_nc_u32_e32 v8, 16, v8
	;; [unrolled: 1-line block ×3, first 2 shown]
	s_delay_alu instid0(VALU_DEP_3) | instskip(SKIP_4) | instid1(VALU_DEP_2)
	v_cmp_lt_u32_e32 vcc_lo, 8, v7
	s_or_b32 s3, vcc_lo, s3
	s_waitcnt vmcnt(0) lgkmcnt(0)
	v_mul_f64 v[10:11], v[78:79], v[74:75]
	v_mul_f64 v[74:75], v[76:77], v[74:75]
	v_fma_f64 v[10:11], v[76:77], v[72:73], -v[10:11]
	s_delay_alu instid0(VALU_DEP_2) | instskip(NEXT) | instid1(VALU_DEP_2)
	v_fma_f64 v[72:73], v[78:79], v[72:73], v[74:75]
	v_add_f64 v[3:4], v[3:4], v[10:11]
	s_delay_alu instid0(VALU_DEP_2)
	v_add_f64 v[1:2], v[1:2], v[72:73]
	s_and_not1_b32 exec_lo, exec_lo, s3
	s_cbranch_execnz .LBB18_53
; %bb.54:
	s_or_b32 exec_lo, exec_lo, s3
	v_mov_b32_e32 v7, 0
	ds_load_b128 v[7:10], v7 offset:160
	s_waitcnt lgkmcnt(0)
	v_mul_f64 v[11:12], v[1:2], v[9:10]
	v_mul_f64 v[72:73], v[3:4], v[9:10]
	s_delay_alu instid0(VALU_DEP_2) | instskip(NEXT) | instid1(VALU_DEP_2)
	v_fma_f64 v[9:10], v[3:4], v[7:8], -v[11:12]
	v_fma_f64 v[11:12], v[1:2], v[7:8], v[72:73]
	scratch_store_b128 off, v[9:12], off offset:160
.LBB18_55:
	s_or_b32 exec_lo, exec_lo, s2
	s_waitcnt_vscnt null, 0x0
	s_barrier
	buffer_gl0_inv
	scratch_load_b128 v[1:4], v61, off
	s_mov_b32 s2, exec_lo
	s_waitcnt vmcnt(0)
	ds_store_b128 v5, v[1:4]
	s_waitcnt lgkmcnt(0)
	s_barrier
	buffer_gl0_inv
	v_cmpx_gt_u32_e32 11, v51
	s_cbranch_execz .LBB18_59
; %bb.56:
	v_dual_mov_b32 v1, 0 :: v_dual_add_nc_u32 v8, 0x130, v70
	v_dual_mov_b32 v2, 0 :: v_dual_add_nc_u32 v7, -1, v51
	v_or_b32_e32 v9, 8, v71
	s_mov_b32 s3, 0
	s_delay_alu instid0(VALU_DEP_2)
	v_dual_mov_b32 v4, v2 :: v_dual_mov_b32 v3, v1
	.p2align	6
.LBB18_57:                              ; =>This Inner Loop Header: Depth=1
	scratch_load_b128 v[72:75], v9, off offset:-8
	ds_load_b128 v[76:79], v8
	v_add_nc_u32_e32 v7, 1, v7
	v_add_nc_u32_e32 v8, 16, v8
	v_add_nc_u32_e32 v9, 16, v9
	s_delay_alu instid0(VALU_DEP_3) | instskip(SKIP_4) | instid1(VALU_DEP_2)
	v_cmp_lt_u32_e32 vcc_lo, 9, v7
	s_or_b32 s3, vcc_lo, s3
	s_waitcnt vmcnt(0) lgkmcnt(0)
	v_mul_f64 v[10:11], v[78:79], v[74:75]
	v_mul_f64 v[74:75], v[76:77], v[74:75]
	v_fma_f64 v[10:11], v[76:77], v[72:73], -v[10:11]
	s_delay_alu instid0(VALU_DEP_2) | instskip(NEXT) | instid1(VALU_DEP_2)
	v_fma_f64 v[72:73], v[78:79], v[72:73], v[74:75]
	v_add_f64 v[3:4], v[3:4], v[10:11]
	s_delay_alu instid0(VALU_DEP_2)
	v_add_f64 v[1:2], v[1:2], v[72:73]
	s_and_not1_b32 exec_lo, exec_lo, s3
	s_cbranch_execnz .LBB18_57
; %bb.58:
	s_or_b32 exec_lo, exec_lo, s3
	v_mov_b32_e32 v7, 0
	ds_load_b128 v[7:10], v7 offset:176
	s_waitcnt lgkmcnt(0)
	v_mul_f64 v[11:12], v[1:2], v[9:10]
	v_mul_f64 v[72:73], v[3:4], v[9:10]
	s_delay_alu instid0(VALU_DEP_2) | instskip(NEXT) | instid1(VALU_DEP_2)
	v_fma_f64 v[9:10], v[3:4], v[7:8], -v[11:12]
	v_fma_f64 v[11:12], v[1:2], v[7:8], v[72:73]
	scratch_store_b128 off, v[9:12], off offset:176
.LBB18_59:
	s_or_b32 exec_lo, exec_lo, s2
	s_waitcnt_vscnt null, 0x0
	s_barrier
	buffer_gl0_inv
	scratch_load_b128 v[1:4], v64, off
	s_mov_b32 s2, exec_lo
	s_waitcnt vmcnt(0)
	ds_store_b128 v5, v[1:4]
	s_waitcnt lgkmcnt(0)
	s_barrier
	buffer_gl0_inv
	v_cmpx_gt_u32_e32 12, v51
	s_cbranch_execz .LBB18_63
; %bb.60:
	v_dual_mov_b32 v1, 0 :: v_dual_add_nc_u32 v8, 0x130, v70
	v_dual_mov_b32 v2, 0 :: v_dual_add_nc_u32 v7, -1, v51
	v_or_b32_e32 v9, 8, v71
	s_mov_b32 s3, 0
	s_delay_alu instid0(VALU_DEP_2)
	v_dual_mov_b32 v4, v2 :: v_dual_mov_b32 v3, v1
	.p2align	6
.LBB18_61:                              ; =>This Inner Loop Header: Depth=1
	scratch_load_b128 v[72:75], v9, off offset:-8
	ds_load_b128 v[76:79], v8
	v_add_nc_u32_e32 v7, 1, v7
	v_add_nc_u32_e32 v8, 16, v8
	;; [unrolled: 1-line block ×3, first 2 shown]
	s_delay_alu instid0(VALU_DEP_3) | instskip(SKIP_4) | instid1(VALU_DEP_2)
	v_cmp_lt_u32_e32 vcc_lo, 10, v7
	s_or_b32 s3, vcc_lo, s3
	s_waitcnt vmcnt(0) lgkmcnt(0)
	v_mul_f64 v[10:11], v[78:79], v[74:75]
	v_mul_f64 v[74:75], v[76:77], v[74:75]
	v_fma_f64 v[10:11], v[76:77], v[72:73], -v[10:11]
	s_delay_alu instid0(VALU_DEP_2) | instskip(NEXT) | instid1(VALU_DEP_2)
	v_fma_f64 v[72:73], v[78:79], v[72:73], v[74:75]
	v_add_f64 v[3:4], v[3:4], v[10:11]
	s_delay_alu instid0(VALU_DEP_2)
	v_add_f64 v[1:2], v[1:2], v[72:73]
	s_and_not1_b32 exec_lo, exec_lo, s3
	s_cbranch_execnz .LBB18_61
; %bb.62:
	s_or_b32 exec_lo, exec_lo, s3
	v_mov_b32_e32 v7, 0
	ds_load_b128 v[7:10], v7 offset:192
	s_waitcnt lgkmcnt(0)
	v_mul_f64 v[11:12], v[1:2], v[9:10]
	v_mul_f64 v[72:73], v[3:4], v[9:10]
	s_delay_alu instid0(VALU_DEP_2) | instskip(NEXT) | instid1(VALU_DEP_2)
	v_fma_f64 v[9:10], v[3:4], v[7:8], -v[11:12]
	v_fma_f64 v[11:12], v[1:2], v[7:8], v[72:73]
	scratch_store_b128 off, v[9:12], off offset:192
.LBB18_63:
	s_or_b32 exec_lo, exec_lo, s2
	s_waitcnt_vscnt null, 0x0
	s_barrier
	buffer_gl0_inv
	scratch_load_b128 v[1:4], v63, off
	s_mov_b32 s2, exec_lo
	s_waitcnt vmcnt(0)
	ds_store_b128 v5, v[1:4]
	s_waitcnt lgkmcnt(0)
	s_barrier
	buffer_gl0_inv
	v_cmpx_gt_u32_e32 13, v51
	s_cbranch_execz .LBB18_67
; %bb.64:
	v_dual_mov_b32 v1, 0 :: v_dual_add_nc_u32 v8, 0x130, v70
	v_dual_mov_b32 v2, 0 :: v_dual_add_nc_u32 v7, -1, v51
	v_or_b32_e32 v9, 8, v71
	s_mov_b32 s3, 0
	s_delay_alu instid0(VALU_DEP_2)
	v_dual_mov_b32 v4, v2 :: v_dual_mov_b32 v3, v1
	.p2align	6
.LBB18_65:                              ; =>This Inner Loop Header: Depth=1
	scratch_load_b128 v[72:75], v9, off offset:-8
	ds_load_b128 v[76:79], v8
	v_add_nc_u32_e32 v7, 1, v7
	v_add_nc_u32_e32 v8, 16, v8
	;; [unrolled: 1-line block ×3, first 2 shown]
	s_delay_alu instid0(VALU_DEP_3) | instskip(SKIP_4) | instid1(VALU_DEP_2)
	v_cmp_lt_u32_e32 vcc_lo, 11, v7
	s_or_b32 s3, vcc_lo, s3
	s_waitcnt vmcnt(0) lgkmcnt(0)
	v_mul_f64 v[10:11], v[78:79], v[74:75]
	v_mul_f64 v[74:75], v[76:77], v[74:75]
	v_fma_f64 v[10:11], v[76:77], v[72:73], -v[10:11]
	s_delay_alu instid0(VALU_DEP_2) | instskip(NEXT) | instid1(VALU_DEP_2)
	v_fma_f64 v[72:73], v[78:79], v[72:73], v[74:75]
	v_add_f64 v[3:4], v[3:4], v[10:11]
	s_delay_alu instid0(VALU_DEP_2)
	v_add_f64 v[1:2], v[1:2], v[72:73]
	s_and_not1_b32 exec_lo, exec_lo, s3
	s_cbranch_execnz .LBB18_65
; %bb.66:
	s_or_b32 exec_lo, exec_lo, s3
	v_mov_b32_e32 v7, 0
	ds_load_b128 v[7:10], v7 offset:208
	s_waitcnt lgkmcnt(0)
	v_mul_f64 v[11:12], v[1:2], v[9:10]
	v_mul_f64 v[72:73], v[3:4], v[9:10]
	s_delay_alu instid0(VALU_DEP_2) | instskip(NEXT) | instid1(VALU_DEP_2)
	v_fma_f64 v[9:10], v[3:4], v[7:8], -v[11:12]
	v_fma_f64 v[11:12], v[1:2], v[7:8], v[72:73]
	scratch_store_b128 off, v[9:12], off offset:208
.LBB18_67:
	s_or_b32 exec_lo, exec_lo, s2
	s_waitcnt_vscnt null, 0x0
	s_barrier
	buffer_gl0_inv
	scratch_load_b128 v[1:4], v66, off
	s_mov_b32 s2, exec_lo
	s_waitcnt vmcnt(0)
	ds_store_b128 v5, v[1:4]
	s_waitcnt lgkmcnt(0)
	s_barrier
	buffer_gl0_inv
	v_cmpx_gt_u32_e32 14, v51
	s_cbranch_execz .LBB18_71
; %bb.68:
	v_dual_mov_b32 v1, 0 :: v_dual_add_nc_u32 v8, 0x130, v70
	v_dual_mov_b32 v2, 0 :: v_dual_add_nc_u32 v7, -1, v51
	v_or_b32_e32 v9, 8, v71
	s_mov_b32 s3, 0
	s_delay_alu instid0(VALU_DEP_2)
	v_dual_mov_b32 v4, v2 :: v_dual_mov_b32 v3, v1
	.p2align	6
.LBB18_69:                              ; =>This Inner Loop Header: Depth=1
	scratch_load_b128 v[72:75], v9, off offset:-8
	ds_load_b128 v[76:79], v8
	v_add_nc_u32_e32 v7, 1, v7
	v_add_nc_u32_e32 v8, 16, v8
	;; [unrolled: 1-line block ×3, first 2 shown]
	s_delay_alu instid0(VALU_DEP_3) | instskip(SKIP_4) | instid1(VALU_DEP_2)
	v_cmp_lt_u32_e32 vcc_lo, 12, v7
	s_or_b32 s3, vcc_lo, s3
	s_waitcnt vmcnt(0) lgkmcnt(0)
	v_mul_f64 v[10:11], v[78:79], v[74:75]
	v_mul_f64 v[74:75], v[76:77], v[74:75]
	v_fma_f64 v[10:11], v[76:77], v[72:73], -v[10:11]
	s_delay_alu instid0(VALU_DEP_2) | instskip(NEXT) | instid1(VALU_DEP_2)
	v_fma_f64 v[72:73], v[78:79], v[72:73], v[74:75]
	v_add_f64 v[3:4], v[3:4], v[10:11]
	s_delay_alu instid0(VALU_DEP_2)
	v_add_f64 v[1:2], v[1:2], v[72:73]
	s_and_not1_b32 exec_lo, exec_lo, s3
	s_cbranch_execnz .LBB18_69
; %bb.70:
	s_or_b32 exec_lo, exec_lo, s3
	v_mov_b32_e32 v7, 0
	ds_load_b128 v[7:10], v7 offset:224
	s_waitcnt lgkmcnt(0)
	v_mul_f64 v[11:12], v[1:2], v[9:10]
	v_mul_f64 v[72:73], v[3:4], v[9:10]
	s_delay_alu instid0(VALU_DEP_2) | instskip(NEXT) | instid1(VALU_DEP_2)
	v_fma_f64 v[9:10], v[3:4], v[7:8], -v[11:12]
	v_fma_f64 v[11:12], v[1:2], v[7:8], v[72:73]
	scratch_store_b128 off, v[9:12], off offset:224
.LBB18_71:
	s_or_b32 exec_lo, exec_lo, s2
	s_waitcnt_vscnt null, 0x0
	s_barrier
	buffer_gl0_inv
	scratch_load_b128 v[1:4], v65, off
	s_mov_b32 s2, exec_lo
	s_waitcnt vmcnt(0)
	ds_store_b128 v5, v[1:4]
	s_waitcnt lgkmcnt(0)
	s_barrier
	buffer_gl0_inv
	v_cmpx_gt_u32_e32 15, v51
	s_cbranch_execz .LBB18_75
; %bb.72:
	v_dual_mov_b32 v1, 0 :: v_dual_add_nc_u32 v8, 0x130, v70
	v_dual_mov_b32 v2, 0 :: v_dual_add_nc_u32 v7, -1, v51
	v_or_b32_e32 v9, 8, v71
	s_mov_b32 s3, 0
	s_delay_alu instid0(VALU_DEP_2)
	v_dual_mov_b32 v4, v2 :: v_dual_mov_b32 v3, v1
	.p2align	6
.LBB18_73:                              ; =>This Inner Loop Header: Depth=1
	scratch_load_b128 v[72:75], v9, off offset:-8
	ds_load_b128 v[76:79], v8
	v_add_nc_u32_e32 v7, 1, v7
	v_add_nc_u32_e32 v8, 16, v8
	;; [unrolled: 1-line block ×3, first 2 shown]
	s_delay_alu instid0(VALU_DEP_3) | instskip(SKIP_4) | instid1(VALU_DEP_2)
	v_cmp_lt_u32_e32 vcc_lo, 13, v7
	s_or_b32 s3, vcc_lo, s3
	s_waitcnt vmcnt(0) lgkmcnt(0)
	v_mul_f64 v[10:11], v[78:79], v[74:75]
	v_mul_f64 v[74:75], v[76:77], v[74:75]
	v_fma_f64 v[10:11], v[76:77], v[72:73], -v[10:11]
	s_delay_alu instid0(VALU_DEP_2) | instskip(NEXT) | instid1(VALU_DEP_2)
	v_fma_f64 v[72:73], v[78:79], v[72:73], v[74:75]
	v_add_f64 v[3:4], v[3:4], v[10:11]
	s_delay_alu instid0(VALU_DEP_2)
	v_add_f64 v[1:2], v[1:2], v[72:73]
	s_and_not1_b32 exec_lo, exec_lo, s3
	s_cbranch_execnz .LBB18_73
; %bb.74:
	s_or_b32 exec_lo, exec_lo, s3
	v_mov_b32_e32 v7, 0
	ds_load_b128 v[7:10], v7 offset:240
	s_waitcnt lgkmcnt(0)
	v_mul_f64 v[11:12], v[1:2], v[9:10]
	v_mul_f64 v[72:73], v[3:4], v[9:10]
	s_delay_alu instid0(VALU_DEP_2) | instskip(NEXT) | instid1(VALU_DEP_2)
	v_fma_f64 v[9:10], v[3:4], v[7:8], -v[11:12]
	v_fma_f64 v[11:12], v[1:2], v[7:8], v[72:73]
	scratch_store_b128 off, v[9:12], off offset:240
.LBB18_75:
	s_or_b32 exec_lo, exec_lo, s2
	s_waitcnt_vscnt null, 0x0
	s_barrier
	buffer_gl0_inv
	scratch_load_b128 v[1:4], v68, off
	s_mov_b32 s2, exec_lo
	s_waitcnt vmcnt(0)
	ds_store_b128 v5, v[1:4]
	s_waitcnt lgkmcnt(0)
	s_barrier
	buffer_gl0_inv
	v_cmpx_gt_u32_e32 16, v51
	s_cbranch_execz .LBB18_79
; %bb.76:
	v_dual_mov_b32 v1, 0 :: v_dual_add_nc_u32 v8, 0x130, v70
	v_dual_mov_b32 v2, 0 :: v_dual_add_nc_u32 v7, -1, v51
	v_or_b32_e32 v9, 8, v71
	s_mov_b32 s3, 0
	s_delay_alu instid0(VALU_DEP_2)
	v_dual_mov_b32 v4, v2 :: v_dual_mov_b32 v3, v1
	.p2align	6
.LBB18_77:                              ; =>This Inner Loop Header: Depth=1
	scratch_load_b128 v[72:75], v9, off offset:-8
	ds_load_b128 v[76:79], v8
	v_add_nc_u32_e32 v7, 1, v7
	v_add_nc_u32_e32 v8, 16, v8
	;; [unrolled: 1-line block ×3, first 2 shown]
	s_delay_alu instid0(VALU_DEP_3) | instskip(SKIP_4) | instid1(VALU_DEP_2)
	v_cmp_lt_u32_e32 vcc_lo, 14, v7
	s_or_b32 s3, vcc_lo, s3
	s_waitcnt vmcnt(0) lgkmcnt(0)
	v_mul_f64 v[10:11], v[78:79], v[74:75]
	v_mul_f64 v[74:75], v[76:77], v[74:75]
	v_fma_f64 v[10:11], v[76:77], v[72:73], -v[10:11]
	s_delay_alu instid0(VALU_DEP_2) | instskip(NEXT) | instid1(VALU_DEP_2)
	v_fma_f64 v[72:73], v[78:79], v[72:73], v[74:75]
	v_add_f64 v[3:4], v[3:4], v[10:11]
	s_delay_alu instid0(VALU_DEP_2)
	v_add_f64 v[1:2], v[1:2], v[72:73]
	s_and_not1_b32 exec_lo, exec_lo, s3
	s_cbranch_execnz .LBB18_77
; %bb.78:
	s_or_b32 exec_lo, exec_lo, s3
	v_mov_b32_e32 v7, 0
	ds_load_b128 v[7:10], v7 offset:256
	s_waitcnt lgkmcnt(0)
	v_mul_f64 v[11:12], v[1:2], v[9:10]
	v_mul_f64 v[72:73], v[3:4], v[9:10]
	s_delay_alu instid0(VALU_DEP_2) | instskip(NEXT) | instid1(VALU_DEP_2)
	v_fma_f64 v[9:10], v[3:4], v[7:8], -v[11:12]
	v_fma_f64 v[11:12], v[1:2], v[7:8], v[72:73]
	scratch_store_b128 off, v[9:12], off offset:256
.LBB18_79:
	s_or_b32 exec_lo, exec_lo, s2
	s_waitcnt_vscnt null, 0x0
	s_barrier
	buffer_gl0_inv
	scratch_load_b128 v[1:4], v69, off
	s_mov_b32 s2, exec_lo
	s_waitcnt vmcnt(0)
	ds_store_b128 v5, v[1:4]
	s_waitcnt lgkmcnt(0)
	s_barrier
	buffer_gl0_inv
	v_cmpx_gt_u32_e32 17, v51
	s_cbranch_execz .LBB18_83
; %bb.80:
	v_dual_mov_b32 v1, 0 :: v_dual_add_nc_u32 v8, 0x130, v70
	v_dual_mov_b32 v2, 0 :: v_dual_add_nc_u32 v7, -1, v51
	v_or_b32_e32 v9, 8, v71
	s_mov_b32 s3, 0
	s_delay_alu instid0(VALU_DEP_2)
	v_dual_mov_b32 v4, v2 :: v_dual_mov_b32 v3, v1
	.p2align	6
.LBB18_81:                              ; =>This Inner Loop Header: Depth=1
	scratch_load_b128 v[72:75], v9, off offset:-8
	ds_load_b128 v[76:79], v8
	v_add_nc_u32_e32 v7, 1, v7
	v_add_nc_u32_e32 v8, 16, v8
	;; [unrolled: 1-line block ×3, first 2 shown]
	s_delay_alu instid0(VALU_DEP_3) | instskip(SKIP_4) | instid1(VALU_DEP_2)
	v_cmp_lt_u32_e32 vcc_lo, 15, v7
	s_or_b32 s3, vcc_lo, s3
	s_waitcnt vmcnt(0) lgkmcnt(0)
	v_mul_f64 v[10:11], v[78:79], v[74:75]
	v_mul_f64 v[74:75], v[76:77], v[74:75]
	v_fma_f64 v[10:11], v[76:77], v[72:73], -v[10:11]
	s_delay_alu instid0(VALU_DEP_2) | instskip(NEXT) | instid1(VALU_DEP_2)
	v_fma_f64 v[72:73], v[78:79], v[72:73], v[74:75]
	v_add_f64 v[3:4], v[3:4], v[10:11]
	s_delay_alu instid0(VALU_DEP_2)
	v_add_f64 v[1:2], v[1:2], v[72:73]
	s_and_not1_b32 exec_lo, exec_lo, s3
	s_cbranch_execnz .LBB18_81
; %bb.82:
	s_or_b32 exec_lo, exec_lo, s3
	v_mov_b32_e32 v7, 0
	ds_load_b128 v[7:10], v7 offset:272
	s_waitcnt lgkmcnt(0)
	v_mul_f64 v[11:12], v[1:2], v[9:10]
	v_mul_f64 v[72:73], v[3:4], v[9:10]
	s_delay_alu instid0(VALU_DEP_2) | instskip(NEXT) | instid1(VALU_DEP_2)
	v_fma_f64 v[9:10], v[3:4], v[7:8], -v[11:12]
	v_fma_f64 v[11:12], v[1:2], v[7:8], v[72:73]
	scratch_store_b128 off, v[9:12], off offset:272
.LBB18_83:
	s_or_b32 exec_lo, exec_lo, s2
	s_waitcnt_vscnt null, 0x0
	s_barrier
	buffer_gl0_inv
	scratch_load_b128 v[1:4], v67, off
	s_mov_b32 s2, exec_lo
	s_waitcnt vmcnt(0)
	ds_store_b128 v5, v[1:4]
	s_waitcnt lgkmcnt(0)
	s_barrier
	buffer_gl0_inv
	v_cmpx_ne_u32_e32 18, v51
	s_cbranch_execz .LBB18_87
; %bb.84:
	v_mov_b32_e32 v1, 0
	v_mov_b32_e32 v2, 0
	v_or_b32_e32 v7, 8, v71
	s_mov_b32 s3, 0
	s_delay_alu instid0(VALU_DEP_2)
	v_dual_mov_b32 v4, v2 :: v_dual_mov_b32 v3, v1
	.p2align	6
.LBB18_85:                              ; =>This Inner Loop Header: Depth=1
	scratch_load_b128 v[8:11], v7, off offset:-8
	ds_load_b128 v[70:73], v5
	v_add_nc_u32_e32 v6, 1, v6
	v_add_nc_u32_e32 v5, 16, v5
	;; [unrolled: 1-line block ×3, first 2 shown]
	s_delay_alu instid0(VALU_DEP_3) | instskip(SKIP_4) | instid1(VALU_DEP_2)
	v_cmp_lt_u32_e32 vcc_lo, 16, v6
	s_or_b32 s3, vcc_lo, s3
	s_waitcnt vmcnt(0) lgkmcnt(0)
	v_mul_f64 v[74:75], v[72:73], v[10:11]
	v_mul_f64 v[10:11], v[70:71], v[10:11]
	v_fma_f64 v[70:71], v[70:71], v[8:9], -v[74:75]
	s_delay_alu instid0(VALU_DEP_2) | instskip(NEXT) | instid1(VALU_DEP_2)
	v_fma_f64 v[8:9], v[72:73], v[8:9], v[10:11]
	v_add_f64 v[3:4], v[3:4], v[70:71]
	s_delay_alu instid0(VALU_DEP_2)
	v_add_f64 v[1:2], v[1:2], v[8:9]
	s_and_not1_b32 exec_lo, exec_lo, s3
	s_cbranch_execnz .LBB18_85
; %bb.86:
	s_or_b32 exec_lo, exec_lo, s3
	v_mov_b32_e32 v5, 0
	ds_load_b128 v[5:8], v5 offset:288
	s_waitcnt lgkmcnt(0)
	v_mul_f64 v[9:10], v[1:2], v[7:8]
	v_mul_f64 v[7:8], v[3:4], v[7:8]
	s_delay_alu instid0(VALU_DEP_2) | instskip(NEXT) | instid1(VALU_DEP_2)
	v_fma_f64 v[3:4], v[3:4], v[5:6], -v[9:10]
	v_fma_f64 v[5:6], v[1:2], v[5:6], v[7:8]
	scratch_store_b128 off, v[3:6], off offset:288
.LBB18_87:
	s_or_b32 exec_lo, exec_lo, s2
	s_mov_b32 s3, -1
	s_waitcnt_vscnt null, 0x0
	s_barrier
	buffer_gl0_inv
.LBB18_88:
	s_and_b32 vcc_lo, exec_lo, s3
	s_cbranch_vccz .LBB18_90
; %bb.89:
	s_lshl_b64 s[2:3], s[18:19], 2
	v_mov_b32_e32 v1, 0
	s_add_u32 s2, s6, s2
	s_addc_u32 s3, s7, s3
	global_load_b32 v1, v1, s[2:3]
	s_waitcnt vmcnt(0)
	v_cmp_ne_u32_e32 vcc_lo, 0, v1
	s_cbranch_vccz .LBB18_91
.LBB18_90:
	s_endpgm
.LBB18_91:
	v_lshl_add_u32 v5, v51, 4, 0x130
	s_mov_b32 s2, exec_lo
	v_cmpx_eq_u32_e32 18, v51
	s_cbranch_execz .LBB18_93
; %bb.92:
	scratch_load_b128 v[1:4], v69, off
	v_mov_b32_e32 v6, 0
	s_delay_alu instid0(VALU_DEP_1)
	v_mov_b32_e32 v7, v6
	v_mov_b32_e32 v8, v6
	;; [unrolled: 1-line block ×3, first 2 shown]
	scratch_store_b128 off, v[6:9], off offset:272
	s_waitcnt vmcnt(0)
	ds_store_b128 v5, v[1:4]
.LBB18_93:
	s_or_b32 exec_lo, exec_lo, s2
	s_waitcnt lgkmcnt(0)
	s_waitcnt_vscnt null, 0x0
	s_barrier
	buffer_gl0_inv
	s_clause 0x1
	scratch_load_b128 v[6:9], off, off offset:288
	scratch_load_b128 v[70:73], off, off offset:272
	v_mov_b32_e32 v1, 0
	s_mov_b32 s2, exec_lo
	ds_load_b128 v[74:77], v1 offset:592
	s_waitcnt vmcnt(1) lgkmcnt(0)
	v_mul_f64 v[2:3], v[76:77], v[8:9]
	v_mul_f64 v[8:9], v[74:75], v[8:9]
	s_delay_alu instid0(VALU_DEP_2) | instskip(NEXT) | instid1(VALU_DEP_2)
	v_fma_f64 v[2:3], v[74:75], v[6:7], -v[2:3]
	v_fma_f64 v[6:7], v[76:77], v[6:7], v[8:9]
	s_delay_alu instid0(VALU_DEP_2) | instskip(NEXT) | instid1(VALU_DEP_2)
	v_add_f64 v[2:3], v[2:3], 0
	v_add_f64 v[8:9], v[6:7], 0
	s_waitcnt vmcnt(0)
	s_delay_alu instid0(VALU_DEP_2) | instskip(NEXT) | instid1(VALU_DEP_2)
	v_add_f64 v[6:7], v[70:71], -v[2:3]
	v_add_f64 v[8:9], v[72:73], -v[8:9]
	scratch_store_b128 off, v[6:9], off offset:272
	v_cmpx_lt_u32_e32 16, v51
	s_cbranch_execz .LBB18_95
; %bb.94:
	scratch_load_b128 v[6:9], v68, off
	v_mov_b32_e32 v2, v1
	v_mov_b32_e32 v3, v1
	;; [unrolled: 1-line block ×3, first 2 shown]
	scratch_store_b128 off, v[1:4], off offset:256
	s_waitcnt vmcnt(0)
	ds_store_b128 v5, v[6:9]
.LBB18_95:
	s_or_b32 exec_lo, exec_lo, s2
	s_waitcnt lgkmcnt(0)
	s_waitcnt_vscnt null, 0x0
	s_barrier
	buffer_gl0_inv
	s_clause 0x2
	scratch_load_b128 v[6:9], off, off offset:272
	scratch_load_b128 v[70:73], off, off offset:288
	;; [unrolled: 1-line block ×3, first 2 shown]
	ds_load_b128 v[78:81], v1 offset:576
	ds_load_b128 v[1:4], v1 offset:592
	s_mov_b32 s2, exec_lo
	s_waitcnt vmcnt(2) lgkmcnt(1)
	v_mul_f64 v[10:11], v[80:81], v[8:9]
	v_mul_f64 v[8:9], v[78:79], v[8:9]
	s_waitcnt vmcnt(1) lgkmcnt(0)
	v_mul_f64 v[82:83], v[1:2], v[72:73]
	v_mul_f64 v[72:73], v[3:4], v[72:73]
	s_delay_alu instid0(VALU_DEP_4) | instskip(NEXT) | instid1(VALU_DEP_4)
	v_fma_f64 v[10:11], v[78:79], v[6:7], -v[10:11]
	v_fma_f64 v[6:7], v[80:81], v[6:7], v[8:9]
	s_delay_alu instid0(VALU_DEP_4) | instskip(NEXT) | instid1(VALU_DEP_4)
	v_fma_f64 v[3:4], v[3:4], v[70:71], v[82:83]
	v_fma_f64 v[1:2], v[1:2], v[70:71], -v[72:73]
	s_delay_alu instid0(VALU_DEP_4) | instskip(NEXT) | instid1(VALU_DEP_4)
	v_add_f64 v[8:9], v[10:11], 0
	v_add_f64 v[6:7], v[6:7], 0
	s_delay_alu instid0(VALU_DEP_2) | instskip(NEXT) | instid1(VALU_DEP_2)
	v_add_f64 v[1:2], v[8:9], v[1:2]
	v_add_f64 v[3:4], v[6:7], v[3:4]
	s_waitcnt vmcnt(0)
	s_delay_alu instid0(VALU_DEP_2) | instskip(NEXT) | instid1(VALU_DEP_2)
	v_add_f64 v[1:2], v[74:75], -v[1:2]
	v_add_f64 v[3:4], v[76:77], -v[3:4]
	scratch_store_b128 off, v[1:4], off offset:256
	v_cmpx_lt_u32_e32 15, v51
	s_cbranch_execz .LBB18_97
; %bb.96:
	scratch_load_b128 v[1:4], v65, off
	v_mov_b32_e32 v6, 0
	s_delay_alu instid0(VALU_DEP_1)
	v_mov_b32_e32 v7, v6
	v_mov_b32_e32 v8, v6
	;; [unrolled: 1-line block ×3, first 2 shown]
	scratch_store_b128 off, v[6:9], off offset:240
	s_waitcnt vmcnt(0)
	ds_store_b128 v5, v[1:4]
.LBB18_97:
	s_or_b32 exec_lo, exec_lo, s2
	s_waitcnt lgkmcnt(0)
	s_waitcnt_vscnt null, 0x0
	s_barrier
	buffer_gl0_inv
	s_clause 0x3
	scratch_load_b128 v[6:9], off, off offset:256
	scratch_load_b128 v[70:73], off, off offset:272
	;; [unrolled: 1-line block ×4, first 2 shown]
	v_mov_b32_e32 v1, 0
	ds_load_b128 v[82:85], v1 offset:560
	ds_load_b128 v[86:89], v1 offset:576
	s_mov_b32 s2, exec_lo
	s_waitcnt vmcnt(3) lgkmcnt(1)
	v_mul_f64 v[2:3], v[84:85], v[8:9]
	v_mul_f64 v[8:9], v[82:83], v[8:9]
	s_waitcnt vmcnt(2) lgkmcnt(0)
	v_mul_f64 v[10:11], v[86:87], v[72:73]
	v_mul_f64 v[72:73], v[88:89], v[72:73]
	s_delay_alu instid0(VALU_DEP_4) | instskip(NEXT) | instid1(VALU_DEP_4)
	v_fma_f64 v[2:3], v[82:83], v[6:7], -v[2:3]
	v_fma_f64 v[82:83], v[84:85], v[6:7], v[8:9]
	ds_load_b128 v[6:9], v1 offset:592
	v_fma_f64 v[10:11], v[88:89], v[70:71], v[10:11]
	v_fma_f64 v[70:71], v[86:87], v[70:71], -v[72:73]
	s_waitcnt vmcnt(1) lgkmcnt(0)
	v_mul_f64 v[84:85], v[6:7], v[76:77]
	v_mul_f64 v[76:77], v[8:9], v[76:77]
	v_add_f64 v[2:3], v[2:3], 0
	v_add_f64 v[72:73], v[82:83], 0
	s_delay_alu instid0(VALU_DEP_4) | instskip(NEXT) | instid1(VALU_DEP_4)
	v_fma_f64 v[8:9], v[8:9], v[74:75], v[84:85]
	v_fma_f64 v[6:7], v[6:7], v[74:75], -v[76:77]
	s_delay_alu instid0(VALU_DEP_4) | instskip(NEXT) | instid1(VALU_DEP_4)
	v_add_f64 v[2:3], v[2:3], v[70:71]
	v_add_f64 v[10:11], v[72:73], v[10:11]
	s_delay_alu instid0(VALU_DEP_2) | instskip(NEXT) | instid1(VALU_DEP_2)
	v_add_f64 v[2:3], v[2:3], v[6:7]
	v_add_f64 v[8:9], v[10:11], v[8:9]
	s_waitcnt vmcnt(0)
	s_delay_alu instid0(VALU_DEP_2) | instskip(NEXT) | instid1(VALU_DEP_2)
	v_add_f64 v[6:7], v[78:79], -v[2:3]
	v_add_f64 v[8:9], v[80:81], -v[8:9]
	scratch_store_b128 off, v[6:9], off offset:240
	v_cmpx_lt_u32_e32 14, v51
	s_cbranch_execz .LBB18_99
; %bb.98:
	scratch_load_b128 v[6:9], v66, off
	v_mov_b32_e32 v2, v1
	v_mov_b32_e32 v3, v1
	;; [unrolled: 1-line block ×3, first 2 shown]
	scratch_store_b128 off, v[1:4], off offset:224
	s_waitcnt vmcnt(0)
	ds_store_b128 v5, v[6:9]
.LBB18_99:
	s_or_b32 exec_lo, exec_lo, s2
	s_waitcnt lgkmcnt(0)
	s_waitcnt_vscnt null, 0x0
	s_barrier
	buffer_gl0_inv
	s_clause 0x4
	scratch_load_b128 v[6:9], off, off offset:240
	scratch_load_b128 v[70:73], off, off offset:256
	;; [unrolled: 1-line block ×5, first 2 shown]
	ds_load_b128 v[86:89], v1 offset:544
	ds_load_b128 v[90:93], v1 offset:560
	s_mov_b32 s2, exec_lo
	s_waitcnt vmcnt(4) lgkmcnt(1)
	v_mul_f64 v[2:3], v[88:89], v[8:9]
	v_mul_f64 v[8:9], v[86:87], v[8:9]
	s_waitcnt vmcnt(3) lgkmcnt(0)
	v_mul_f64 v[10:11], v[90:91], v[72:73]
	v_mul_f64 v[72:73], v[92:93], v[72:73]
	s_delay_alu instid0(VALU_DEP_4) | instskip(NEXT) | instid1(VALU_DEP_4)
	v_fma_f64 v[86:87], v[86:87], v[6:7], -v[2:3]
	v_fma_f64 v[88:89], v[88:89], v[6:7], v[8:9]
	ds_load_b128 v[6:9], v1 offset:576
	ds_load_b128 v[1:4], v1 offset:592
	v_fma_f64 v[10:11], v[92:93], v[70:71], v[10:11]
	v_fma_f64 v[70:71], v[90:91], v[70:71], -v[72:73]
	s_waitcnt vmcnt(2) lgkmcnt(1)
	v_mul_f64 v[94:95], v[6:7], v[76:77]
	v_mul_f64 v[76:77], v[8:9], v[76:77]
	v_add_f64 v[72:73], v[86:87], 0
	v_add_f64 v[86:87], v[88:89], 0
	s_waitcnt vmcnt(1) lgkmcnt(0)
	v_mul_f64 v[88:89], v[1:2], v[80:81]
	v_mul_f64 v[80:81], v[3:4], v[80:81]
	v_fma_f64 v[8:9], v[8:9], v[74:75], v[94:95]
	v_fma_f64 v[6:7], v[6:7], v[74:75], -v[76:77]
	v_add_f64 v[70:71], v[72:73], v[70:71]
	v_add_f64 v[10:11], v[86:87], v[10:11]
	v_fma_f64 v[3:4], v[3:4], v[78:79], v[88:89]
	v_fma_f64 v[1:2], v[1:2], v[78:79], -v[80:81]
	s_delay_alu instid0(VALU_DEP_4) | instskip(NEXT) | instid1(VALU_DEP_4)
	v_add_f64 v[6:7], v[70:71], v[6:7]
	v_add_f64 v[8:9], v[10:11], v[8:9]
	s_delay_alu instid0(VALU_DEP_2) | instskip(NEXT) | instid1(VALU_DEP_2)
	v_add_f64 v[1:2], v[6:7], v[1:2]
	v_add_f64 v[3:4], v[8:9], v[3:4]
	s_waitcnt vmcnt(0)
	s_delay_alu instid0(VALU_DEP_2) | instskip(NEXT) | instid1(VALU_DEP_2)
	v_add_f64 v[1:2], v[82:83], -v[1:2]
	v_add_f64 v[3:4], v[84:85], -v[3:4]
	scratch_store_b128 off, v[1:4], off offset:224
	v_cmpx_lt_u32_e32 13, v51
	s_cbranch_execz .LBB18_101
; %bb.100:
	scratch_load_b128 v[1:4], v63, off
	v_mov_b32_e32 v6, 0
	s_delay_alu instid0(VALU_DEP_1)
	v_mov_b32_e32 v7, v6
	v_mov_b32_e32 v8, v6
	;; [unrolled: 1-line block ×3, first 2 shown]
	scratch_store_b128 off, v[6:9], off offset:208
	s_waitcnt vmcnt(0)
	ds_store_b128 v5, v[1:4]
.LBB18_101:
	s_or_b32 exec_lo, exec_lo, s2
	s_waitcnt lgkmcnt(0)
	s_waitcnt_vscnt null, 0x0
	s_barrier
	buffer_gl0_inv
	s_clause 0x5
	scratch_load_b128 v[6:9], off, off offset:224
	scratch_load_b128 v[70:73], off, off offset:240
	;; [unrolled: 1-line block ×6, first 2 shown]
	v_mov_b32_e32 v1, 0
	ds_load_b128 v[90:93], v1 offset:528
	ds_load_b128 v[94:97], v1 offset:544
	s_mov_b32 s2, exec_lo
	s_waitcnt vmcnt(5) lgkmcnt(1)
	v_mul_f64 v[2:3], v[92:93], v[8:9]
	v_mul_f64 v[8:9], v[90:91], v[8:9]
	s_waitcnt vmcnt(4) lgkmcnt(0)
	v_mul_f64 v[10:11], v[94:95], v[72:73]
	v_mul_f64 v[72:73], v[96:97], v[72:73]
	s_delay_alu instid0(VALU_DEP_4) | instskip(NEXT) | instid1(VALU_DEP_4)
	v_fma_f64 v[2:3], v[90:91], v[6:7], -v[2:3]
	v_fma_f64 v[98:99], v[92:93], v[6:7], v[8:9]
	ds_load_b128 v[6:9], v1 offset:560
	ds_load_b128 v[90:93], v1 offset:576
	v_fma_f64 v[10:11], v[96:97], v[70:71], v[10:11]
	v_fma_f64 v[70:71], v[94:95], v[70:71], -v[72:73]
	s_waitcnt vmcnt(3) lgkmcnt(1)
	v_mul_f64 v[100:101], v[6:7], v[76:77]
	v_mul_f64 v[76:77], v[8:9], v[76:77]
	s_waitcnt vmcnt(2) lgkmcnt(0)
	v_mul_f64 v[94:95], v[90:91], v[80:81]
	v_mul_f64 v[80:81], v[92:93], v[80:81]
	v_add_f64 v[2:3], v[2:3], 0
	v_add_f64 v[72:73], v[98:99], 0
	v_fma_f64 v[96:97], v[8:9], v[74:75], v[100:101]
	v_fma_f64 v[74:75], v[6:7], v[74:75], -v[76:77]
	ds_load_b128 v[6:9], v1 offset:592
	v_fma_f64 v[76:77], v[92:93], v[78:79], v[94:95]
	v_fma_f64 v[78:79], v[90:91], v[78:79], -v[80:81]
	v_add_f64 v[2:3], v[2:3], v[70:71]
	v_add_f64 v[10:11], v[72:73], v[10:11]
	s_waitcnt vmcnt(1) lgkmcnt(0)
	v_mul_f64 v[70:71], v[6:7], v[84:85]
	v_mul_f64 v[72:73], v[8:9], v[84:85]
	s_delay_alu instid0(VALU_DEP_4) | instskip(NEXT) | instid1(VALU_DEP_4)
	v_add_f64 v[2:3], v[2:3], v[74:75]
	v_add_f64 v[10:11], v[10:11], v[96:97]
	s_delay_alu instid0(VALU_DEP_4) | instskip(NEXT) | instid1(VALU_DEP_4)
	v_fma_f64 v[8:9], v[8:9], v[82:83], v[70:71]
	v_fma_f64 v[6:7], v[6:7], v[82:83], -v[72:73]
	s_delay_alu instid0(VALU_DEP_4) | instskip(NEXT) | instid1(VALU_DEP_4)
	v_add_f64 v[2:3], v[2:3], v[78:79]
	v_add_f64 v[10:11], v[10:11], v[76:77]
	s_delay_alu instid0(VALU_DEP_2) | instskip(NEXT) | instid1(VALU_DEP_2)
	v_add_f64 v[2:3], v[2:3], v[6:7]
	v_add_f64 v[8:9], v[10:11], v[8:9]
	s_waitcnt vmcnt(0)
	s_delay_alu instid0(VALU_DEP_2) | instskip(NEXT) | instid1(VALU_DEP_2)
	v_add_f64 v[6:7], v[86:87], -v[2:3]
	v_add_f64 v[8:9], v[88:89], -v[8:9]
	scratch_store_b128 off, v[6:9], off offset:208
	v_cmpx_lt_u32_e32 12, v51
	s_cbranch_execz .LBB18_103
; %bb.102:
	scratch_load_b128 v[6:9], v64, off
	v_mov_b32_e32 v2, v1
	v_mov_b32_e32 v3, v1
	;; [unrolled: 1-line block ×3, first 2 shown]
	scratch_store_b128 off, v[1:4], off offset:192
	s_waitcnt vmcnt(0)
	ds_store_b128 v5, v[6:9]
.LBB18_103:
	s_or_b32 exec_lo, exec_lo, s2
	s_waitcnt lgkmcnt(0)
	s_waitcnt_vscnt null, 0x0
	s_barrier
	buffer_gl0_inv
	s_clause 0x5
	scratch_load_b128 v[6:9], off, off offset:208
	scratch_load_b128 v[70:73], off, off offset:224
	;; [unrolled: 1-line block ×6, first 2 shown]
	ds_load_b128 v[90:93], v1 offset:512
	ds_load_b128 v[98:101], v1 offset:528
	scratch_load_b128 v[94:97], off, off offset:192
	s_mov_b32 s2, exec_lo
	s_waitcnt vmcnt(6) lgkmcnt(1)
	v_mul_f64 v[2:3], v[92:93], v[8:9]
	v_mul_f64 v[8:9], v[90:91], v[8:9]
	s_waitcnt vmcnt(5) lgkmcnt(0)
	v_mul_f64 v[10:11], v[98:99], v[72:73]
	v_mul_f64 v[72:73], v[100:101], v[72:73]
	s_delay_alu instid0(VALU_DEP_4) | instskip(NEXT) | instid1(VALU_DEP_4)
	v_fma_f64 v[2:3], v[90:91], v[6:7], -v[2:3]
	v_fma_f64 v[102:103], v[92:93], v[6:7], v[8:9]
	ds_load_b128 v[6:9], v1 offset:544
	ds_load_b128 v[90:93], v1 offset:560
	v_fma_f64 v[10:11], v[100:101], v[70:71], v[10:11]
	v_fma_f64 v[70:71], v[98:99], v[70:71], -v[72:73]
	s_waitcnt vmcnt(4) lgkmcnt(1)
	v_mul_f64 v[104:105], v[6:7], v[76:77]
	v_mul_f64 v[76:77], v[8:9], v[76:77]
	s_waitcnt vmcnt(3) lgkmcnt(0)
	v_mul_f64 v[98:99], v[90:91], v[80:81]
	v_mul_f64 v[80:81], v[92:93], v[80:81]
	v_add_f64 v[2:3], v[2:3], 0
	v_add_f64 v[72:73], v[102:103], 0
	v_fma_f64 v[100:101], v[8:9], v[74:75], v[104:105]
	v_fma_f64 v[74:75], v[6:7], v[74:75], -v[76:77]
	s_delay_alu instid0(VALU_DEP_4) | instskip(NEXT) | instid1(VALU_DEP_4)
	v_add_f64 v[70:71], v[2:3], v[70:71]
	v_add_f64 v[10:11], v[72:73], v[10:11]
	ds_load_b128 v[6:9], v1 offset:576
	ds_load_b128 v[1:4], v1 offset:592
	s_waitcnt vmcnt(2) lgkmcnt(1)
	v_mul_f64 v[72:73], v[6:7], v[84:85]
	v_mul_f64 v[76:77], v[8:9], v[84:85]
	v_fma_f64 v[84:85], v[92:93], v[78:79], v[98:99]
	v_fma_f64 v[78:79], v[90:91], v[78:79], -v[80:81]
	s_waitcnt vmcnt(1) lgkmcnt(0)
	v_mul_f64 v[80:81], v[3:4], v[88:89]
	v_add_f64 v[70:71], v[70:71], v[74:75]
	v_add_f64 v[10:11], v[10:11], v[100:101]
	v_mul_f64 v[74:75], v[1:2], v[88:89]
	v_fma_f64 v[8:9], v[8:9], v[82:83], v[72:73]
	v_fma_f64 v[6:7], v[6:7], v[82:83], -v[76:77]
	v_fma_f64 v[1:2], v[1:2], v[86:87], -v[80:81]
	v_add_f64 v[70:71], v[70:71], v[78:79]
	v_add_f64 v[10:11], v[10:11], v[84:85]
	v_fma_f64 v[3:4], v[3:4], v[86:87], v[74:75]
	s_delay_alu instid0(VALU_DEP_3) | instskip(NEXT) | instid1(VALU_DEP_3)
	v_add_f64 v[6:7], v[70:71], v[6:7]
	v_add_f64 v[8:9], v[10:11], v[8:9]
	s_delay_alu instid0(VALU_DEP_2) | instskip(NEXT) | instid1(VALU_DEP_2)
	v_add_f64 v[1:2], v[6:7], v[1:2]
	v_add_f64 v[3:4], v[8:9], v[3:4]
	s_waitcnt vmcnt(0)
	s_delay_alu instid0(VALU_DEP_2) | instskip(NEXT) | instid1(VALU_DEP_2)
	v_add_f64 v[1:2], v[94:95], -v[1:2]
	v_add_f64 v[3:4], v[96:97], -v[3:4]
	scratch_store_b128 off, v[1:4], off offset:192
	v_cmpx_lt_u32_e32 11, v51
	s_cbranch_execz .LBB18_105
; %bb.104:
	scratch_load_b128 v[1:4], v61, off
	v_mov_b32_e32 v6, 0
	s_delay_alu instid0(VALU_DEP_1)
	v_mov_b32_e32 v7, v6
	v_mov_b32_e32 v8, v6
	;; [unrolled: 1-line block ×3, first 2 shown]
	scratch_store_b128 off, v[6:9], off offset:176
	s_waitcnt vmcnt(0)
	ds_store_b128 v5, v[1:4]
.LBB18_105:
	s_or_b32 exec_lo, exec_lo, s2
	s_waitcnt lgkmcnt(0)
	s_waitcnt_vscnt null, 0x0
	s_barrier
	buffer_gl0_inv
	s_clause 0x6
	scratch_load_b128 v[6:9], off, off offset:192
	scratch_load_b128 v[70:73], off, off offset:208
	scratch_load_b128 v[74:77], off, off offset:224
	scratch_load_b128 v[78:81], off, off offset:240
	scratch_load_b128 v[82:85], off, off offset:256
	scratch_load_b128 v[86:89], off, off offset:272
	scratch_load_b128 v[90:93], off, off offset:288
	v_mov_b32_e32 v1, 0
	scratch_load_b128 v[98:101], off, off offset:176
	s_mov_b32 s2, exec_lo
	ds_load_b128 v[94:97], v1 offset:496
	ds_load_b128 v[102:105], v1 offset:512
	s_waitcnt vmcnt(7) lgkmcnt(1)
	v_mul_f64 v[2:3], v[96:97], v[8:9]
	v_mul_f64 v[8:9], v[94:95], v[8:9]
	s_waitcnt vmcnt(6) lgkmcnt(0)
	v_mul_f64 v[10:11], v[102:103], v[72:73]
	v_mul_f64 v[72:73], v[104:105], v[72:73]
	s_delay_alu instid0(VALU_DEP_4) | instskip(NEXT) | instid1(VALU_DEP_4)
	v_fma_f64 v[2:3], v[94:95], v[6:7], -v[2:3]
	v_fma_f64 v[106:107], v[96:97], v[6:7], v[8:9]
	ds_load_b128 v[6:9], v1 offset:528
	ds_load_b128 v[94:97], v1 offset:544
	v_fma_f64 v[10:11], v[104:105], v[70:71], v[10:11]
	v_fma_f64 v[70:71], v[102:103], v[70:71], -v[72:73]
	s_waitcnt vmcnt(5) lgkmcnt(1)
	v_mul_f64 v[108:109], v[6:7], v[76:77]
	v_mul_f64 v[76:77], v[8:9], v[76:77]
	s_waitcnt vmcnt(4) lgkmcnt(0)
	v_mul_f64 v[102:103], v[94:95], v[80:81]
	v_mul_f64 v[80:81], v[96:97], v[80:81]
	v_add_f64 v[2:3], v[2:3], 0
	v_add_f64 v[72:73], v[106:107], 0
	v_fma_f64 v[104:105], v[8:9], v[74:75], v[108:109]
	v_fma_f64 v[74:75], v[6:7], v[74:75], -v[76:77]
	v_fma_f64 v[96:97], v[96:97], v[78:79], v[102:103]
	v_fma_f64 v[78:79], v[94:95], v[78:79], -v[80:81]
	v_add_f64 v[2:3], v[2:3], v[70:71]
	v_add_f64 v[10:11], v[72:73], v[10:11]
	ds_load_b128 v[6:9], v1 offset:560
	ds_load_b128 v[70:73], v1 offset:576
	s_waitcnt vmcnt(3) lgkmcnt(1)
	v_mul_f64 v[76:77], v[6:7], v[84:85]
	v_mul_f64 v[84:85], v[8:9], v[84:85]
	s_waitcnt vmcnt(2) lgkmcnt(0)
	v_mul_f64 v[80:81], v[72:73], v[88:89]
	v_add_f64 v[2:3], v[2:3], v[74:75]
	v_add_f64 v[10:11], v[10:11], v[104:105]
	v_mul_f64 v[74:75], v[70:71], v[88:89]
	v_fma_f64 v[76:77], v[8:9], v[82:83], v[76:77]
	v_fma_f64 v[82:83], v[6:7], v[82:83], -v[84:85]
	ds_load_b128 v[6:9], v1 offset:592
	v_fma_f64 v[70:71], v[70:71], v[86:87], -v[80:81]
	v_add_f64 v[2:3], v[2:3], v[78:79]
	v_add_f64 v[10:11], v[10:11], v[96:97]
	v_fma_f64 v[72:73], v[72:73], v[86:87], v[74:75]
	s_waitcnt vmcnt(1) lgkmcnt(0)
	v_mul_f64 v[78:79], v[6:7], v[92:93]
	v_mul_f64 v[84:85], v[8:9], v[92:93]
	v_add_f64 v[2:3], v[2:3], v[82:83]
	v_add_f64 v[10:11], v[10:11], v[76:77]
	s_delay_alu instid0(VALU_DEP_4) | instskip(NEXT) | instid1(VALU_DEP_4)
	v_fma_f64 v[8:9], v[8:9], v[90:91], v[78:79]
	v_fma_f64 v[6:7], v[6:7], v[90:91], -v[84:85]
	s_delay_alu instid0(VALU_DEP_4) | instskip(NEXT) | instid1(VALU_DEP_4)
	v_add_f64 v[2:3], v[2:3], v[70:71]
	v_add_f64 v[10:11], v[10:11], v[72:73]
	s_delay_alu instid0(VALU_DEP_2) | instskip(NEXT) | instid1(VALU_DEP_2)
	v_add_f64 v[2:3], v[2:3], v[6:7]
	v_add_f64 v[8:9], v[10:11], v[8:9]
	s_waitcnt vmcnt(0)
	s_delay_alu instid0(VALU_DEP_2) | instskip(NEXT) | instid1(VALU_DEP_2)
	v_add_f64 v[6:7], v[98:99], -v[2:3]
	v_add_f64 v[8:9], v[100:101], -v[8:9]
	scratch_store_b128 off, v[6:9], off offset:176
	v_cmpx_lt_u32_e32 10, v51
	s_cbranch_execz .LBB18_107
; %bb.106:
	scratch_load_b128 v[6:9], v62, off
	v_mov_b32_e32 v2, v1
	v_mov_b32_e32 v3, v1
	;; [unrolled: 1-line block ×3, first 2 shown]
	scratch_store_b128 off, v[1:4], off offset:160
	s_waitcnt vmcnt(0)
	ds_store_b128 v5, v[6:9]
.LBB18_107:
	s_or_b32 exec_lo, exec_lo, s2
	s_waitcnt lgkmcnt(0)
	s_waitcnt_vscnt null, 0x0
	s_barrier
	buffer_gl0_inv
	s_clause 0x7
	scratch_load_b128 v[6:9], off, off offset:176
	scratch_load_b128 v[70:73], off, off offset:192
	;; [unrolled: 1-line block ×8, first 2 shown]
	ds_load_b128 v[98:101], v1 offset:480
	ds_load_b128 v[102:105], v1 offset:496
	scratch_load_b128 v[106:109], off, off offset:160
	s_mov_b32 s2, exec_lo
	s_waitcnt vmcnt(8) lgkmcnt(1)
	v_mul_f64 v[2:3], v[100:101], v[8:9]
	v_mul_f64 v[8:9], v[98:99], v[8:9]
	s_waitcnt vmcnt(7) lgkmcnt(0)
	v_mul_f64 v[10:11], v[102:103], v[72:73]
	v_mul_f64 v[72:73], v[104:105], v[72:73]
	s_delay_alu instid0(VALU_DEP_4) | instskip(NEXT) | instid1(VALU_DEP_4)
	v_fma_f64 v[2:3], v[98:99], v[6:7], -v[2:3]
	v_fma_f64 v[110:111], v[100:101], v[6:7], v[8:9]
	ds_load_b128 v[6:9], v1 offset:512
	ds_load_b128 v[98:101], v1 offset:528
	v_fma_f64 v[10:11], v[104:105], v[70:71], v[10:11]
	v_fma_f64 v[70:71], v[102:103], v[70:71], -v[72:73]
	s_waitcnt vmcnt(6) lgkmcnt(1)
	v_mul_f64 v[112:113], v[6:7], v[76:77]
	v_mul_f64 v[76:77], v[8:9], v[76:77]
	s_waitcnt vmcnt(5) lgkmcnt(0)
	v_mul_f64 v[102:103], v[98:99], v[80:81]
	v_mul_f64 v[80:81], v[100:101], v[80:81]
	v_add_f64 v[2:3], v[2:3], 0
	v_add_f64 v[72:73], v[110:111], 0
	v_fma_f64 v[104:105], v[8:9], v[74:75], v[112:113]
	v_fma_f64 v[74:75], v[6:7], v[74:75], -v[76:77]
	v_fma_f64 v[100:101], v[100:101], v[78:79], v[102:103]
	v_fma_f64 v[78:79], v[98:99], v[78:79], -v[80:81]
	v_add_f64 v[2:3], v[2:3], v[70:71]
	v_add_f64 v[10:11], v[72:73], v[10:11]
	ds_load_b128 v[6:9], v1 offset:544
	ds_load_b128 v[70:73], v1 offset:560
	s_waitcnt vmcnt(4) lgkmcnt(1)
	v_mul_f64 v[76:77], v[6:7], v[84:85]
	v_mul_f64 v[84:85], v[8:9], v[84:85]
	s_waitcnt vmcnt(3) lgkmcnt(0)
	v_mul_f64 v[80:81], v[72:73], v[88:89]
	v_add_f64 v[2:3], v[2:3], v[74:75]
	v_add_f64 v[10:11], v[10:11], v[104:105]
	v_mul_f64 v[74:75], v[70:71], v[88:89]
	v_fma_f64 v[76:77], v[8:9], v[82:83], v[76:77]
	v_fma_f64 v[82:83], v[6:7], v[82:83], -v[84:85]
	v_fma_f64 v[70:71], v[70:71], v[86:87], -v[80:81]
	v_add_f64 v[78:79], v[2:3], v[78:79]
	v_add_f64 v[10:11], v[10:11], v[100:101]
	ds_load_b128 v[6:9], v1 offset:576
	ds_load_b128 v[1:4], v1 offset:592
	v_fma_f64 v[72:73], v[72:73], v[86:87], v[74:75]
	s_waitcnt vmcnt(2) lgkmcnt(1)
	v_mul_f64 v[84:85], v[6:7], v[92:93]
	v_mul_f64 v[88:89], v[8:9], v[92:93]
	v_add_f64 v[74:75], v[78:79], v[82:83]
	v_add_f64 v[10:11], v[10:11], v[76:77]
	s_waitcnt vmcnt(1) lgkmcnt(0)
	v_mul_f64 v[76:77], v[1:2], v[96:97]
	v_mul_f64 v[78:79], v[3:4], v[96:97]
	v_fma_f64 v[8:9], v[8:9], v[90:91], v[84:85]
	v_fma_f64 v[6:7], v[6:7], v[90:91], -v[88:89]
	v_add_f64 v[70:71], v[74:75], v[70:71]
	v_add_f64 v[10:11], v[10:11], v[72:73]
	v_fma_f64 v[3:4], v[3:4], v[94:95], v[76:77]
	v_fma_f64 v[1:2], v[1:2], v[94:95], -v[78:79]
	s_delay_alu instid0(VALU_DEP_4) | instskip(NEXT) | instid1(VALU_DEP_4)
	v_add_f64 v[6:7], v[70:71], v[6:7]
	v_add_f64 v[8:9], v[10:11], v[8:9]
	s_delay_alu instid0(VALU_DEP_2) | instskip(NEXT) | instid1(VALU_DEP_2)
	v_add_f64 v[1:2], v[6:7], v[1:2]
	v_add_f64 v[3:4], v[8:9], v[3:4]
	s_waitcnt vmcnt(0)
	s_delay_alu instid0(VALU_DEP_2) | instskip(NEXT) | instid1(VALU_DEP_2)
	v_add_f64 v[1:2], v[106:107], -v[1:2]
	v_add_f64 v[3:4], v[108:109], -v[3:4]
	scratch_store_b128 off, v[1:4], off offset:160
	v_cmpx_lt_u32_e32 9, v51
	s_cbranch_execz .LBB18_109
; %bb.108:
	scratch_load_b128 v[1:4], v59, off
	v_mov_b32_e32 v6, 0
	s_delay_alu instid0(VALU_DEP_1)
	v_mov_b32_e32 v7, v6
	v_mov_b32_e32 v8, v6
	;; [unrolled: 1-line block ×3, first 2 shown]
	scratch_store_b128 off, v[6:9], off offset:144
	s_waitcnt vmcnt(0)
	ds_store_b128 v5, v[1:4]
.LBB18_109:
	s_or_b32 exec_lo, exec_lo, s2
	s_waitcnt lgkmcnt(0)
	s_waitcnt_vscnt null, 0x0
	s_barrier
	buffer_gl0_inv
	s_clause 0x7
	scratch_load_b128 v[6:9], off, off offset:160
	scratch_load_b128 v[70:73], off, off offset:176
	;; [unrolled: 1-line block ×8, first 2 shown]
	v_mov_b32_e32 v1, 0
	s_mov_b32 s2, exec_lo
	ds_load_b128 v[98:101], v1 offset:464
	s_clause 0x1
	scratch_load_b128 v[102:105], off, off offset:288
	scratch_load_b128 v[106:109], off, off offset:144
	ds_load_b128 v[110:113], v1 offset:480
	s_waitcnt vmcnt(9) lgkmcnt(1)
	v_mul_f64 v[2:3], v[100:101], v[8:9]
	v_mul_f64 v[8:9], v[98:99], v[8:9]
	s_waitcnt vmcnt(8) lgkmcnt(0)
	v_mul_f64 v[10:11], v[110:111], v[72:73]
	v_mul_f64 v[72:73], v[112:113], v[72:73]
	s_delay_alu instid0(VALU_DEP_4) | instskip(NEXT) | instid1(VALU_DEP_4)
	v_fma_f64 v[2:3], v[98:99], v[6:7], -v[2:3]
	v_fma_f64 v[114:115], v[100:101], v[6:7], v[8:9]
	ds_load_b128 v[6:9], v1 offset:496
	ds_load_b128 v[98:101], v1 offset:512
	v_fma_f64 v[10:11], v[112:113], v[70:71], v[10:11]
	v_fma_f64 v[70:71], v[110:111], v[70:71], -v[72:73]
	s_waitcnt vmcnt(7) lgkmcnt(1)
	v_mul_f64 v[116:117], v[6:7], v[76:77]
	v_mul_f64 v[76:77], v[8:9], v[76:77]
	s_waitcnt vmcnt(6) lgkmcnt(0)
	v_mul_f64 v[110:111], v[98:99], v[80:81]
	v_mul_f64 v[80:81], v[100:101], v[80:81]
	v_add_f64 v[2:3], v[2:3], 0
	v_add_f64 v[72:73], v[114:115], 0
	v_fma_f64 v[112:113], v[8:9], v[74:75], v[116:117]
	v_fma_f64 v[74:75], v[6:7], v[74:75], -v[76:77]
	v_fma_f64 v[100:101], v[100:101], v[78:79], v[110:111]
	v_fma_f64 v[78:79], v[98:99], v[78:79], -v[80:81]
	v_add_f64 v[2:3], v[2:3], v[70:71]
	v_add_f64 v[10:11], v[72:73], v[10:11]
	ds_load_b128 v[6:9], v1 offset:528
	ds_load_b128 v[70:73], v1 offset:544
	s_waitcnt vmcnt(5) lgkmcnt(1)
	v_mul_f64 v[76:77], v[6:7], v[84:85]
	v_mul_f64 v[84:85], v[8:9], v[84:85]
	s_waitcnt vmcnt(4) lgkmcnt(0)
	v_mul_f64 v[80:81], v[70:71], v[88:89]
	v_mul_f64 v[88:89], v[72:73], v[88:89]
	v_add_f64 v[2:3], v[2:3], v[74:75]
	v_add_f64 v[10:11], v[10:11], v[112:113]
	v_fma_f64 v[98:99], v[8:9], v[82:83], v[76:77]
	v_fma_f64 v[82:83], v[6:7], v[82:83], -v[84:85]
	ds_load_b128 v[6:9], v1 offset:560
	ds_load_b128 v[74:77], v1 offset:576
	v_fma_f64 v[72:73], v[72:73], v[86:87], v[80:81]
	v_fma_f64 v[70:71], v[70:71], v[86:87], -v[88:89]
	v_add_f64 v[2:3], v[2:3], v[78:79]
	v_add_f64 v[10:11], v[10:11], v[100:101]
	s_waitcnt vmcnt(3) lgkmcnt(1)
	v_mul_f64 v[78:79], v[6:7], v[92:93]
	v_mul_f64 v[84:85], v[8:9], v[92:93]
	s_waitcnt vmcnt(2) lgkmcnt(0)
	v_mul_f64 v[80:81], v[74:75], v[96:97]
	v_add_f64 v[2:3], v[2:3], v[82:83]
	v_add_f64 v[10:11], v[10:11], v[98:99]
	v_mul_f64 v[82:83], v[76:77], v[96:97]
	v_fma_f64 v[78:79], v[8:9], v[90:91], v[78:79]
	v_fma_f64 v[84:85], v[6:7], v[90:91], -v[84:85]
	ds_load_b128 v[6:9], v1 offset:592
	v_fma_f64 v[76:77], v[76:77], v[94:95], v[80:81]
	v_add_f64 v[2:3], v[2:3], v[70:71]
	v_add_f64 v[10:11], v[10:11], v[72:73]
	s_waitcnt vmcnt(1) lgkmcnt(0)
	v_mul_f64 v[70:71], v[6:7], v[104:105]
	v_mul_f64 v[72:73], v[8:9], v[104:105]
	v_fma_f64 v[74:75], v[74:75], v[94:95], -v[82:83]
	v_add_f64 v[2:3], v[2:3], v[84:85]
	v_add_f64 v[10:11], v[10:11], v[78:79]
	v_fma_f64 v[8:9], v[8:9], v[102:103], v[70:71]
	v_fma_f64 v[6:7], v[6:7], v[102:103], -v[72:73]
	s_delay_alu instid0(VALU_DEP_4) | instskip(NEXT) | instid1(VALU_DEP_4)
	v_add_f64 v[2:3], v[2:3], v[74:75]
	v_add_f64 v[10:11], v[10:11], v[76:77]
	s_delay_alu instid0(VALU_DEP_2) | instskip(NEXT) | instid1(VALU_DEP_2)
	v_add_f64 v[2:3], v[2:3], v[6:7]
	v_add_f64 v[8:9], v[10:11], v[8:9]
	s_waitcnt vmcnt(0)
	s_delay_alu instid0(VALU_DEP_2) | instskip(NEXT) | instid1(VALU_DEP_2)
	v_add_f64 v[6:7], v[106:107], -v[2:3]
	v_add_f64 v[8:9], v[108:109], -v[8:9]
	scratch_store_b128 off, v[6:9], off offset:144
	v_cmpx_lt_u32_e32 8, v51
	s_cbranch_execz .LBB18_111
; %bb.110:
	scratch_load_b128 v[6:9], v60, off
	v_mov_b32_e32 v2, v1
	v_mov_b32_e32 v3, v1
	;; [unrolled: 1-line block ×3, first 2 shown]
	scratch_store_b128 off, v[1:4], off offset:128
	s_waitcnt vmcnt(0)
	ds_store_b128 v5, v[6:9]
.LBB18_111:
	s_or_b32 exec_lo, exec_lo, s2
	s_waitcnt lgkmcnt(0)
	s_waitcnt_vscnt null, 0x0
	s_barrier
	buffer_gl0_inv
	s_clause 0x7
	scratch_load_b128 v[6:9], off, off offset:144
	scratch_load_b128 v[70:73], off, off offset:160
	;; [unrolled: 1-line block ×8, first 2 shown]
	ds_load_b128 v[98:101], v1 offset:448
	s_clause 0x1
	scratch_load_b128 v[102:105], off, off offset:272
	scratch_load_b128 v[106:109], off, off offset:288
	s_mov_b32 s2, exec_lo
	s_waitcnt vmcnt(9) lgkmcnt(0)
	v_mul_f64 v[2:3], v[100:101], v[8:9]
	v_mul_f64 v[110:111], v[98:99], v[8:9]
	ds_load_b128 v[8:11], v1 offset:464
	v_fma_f64 v[2:3], v[98:99], v[6:7], -v[2:3]
	v_fma_f64 v[6:7], v[100:101], v[6:7], v[110:111]
	ds_load_b128 v[98:101], v1 offset:480
	s_waitcnt vmcnt(8) lgkmcnt(1)
	v_mul_f64 v[112:113], v[8:9], v[72:73]
	v_mul_f64 v[72:73], v[10:11], v[72:73]
	s_waitcnt vmcnt(7) lgkmcnt(0)
	v_mul_f64 v[110:111], v[98:99], v[76:77]
	v_mul_f64 v[76:77], v[100:101], v[76:77]
	v_add_f64 v[2:3], v[2:3], 0
	v_fma_f64 v[10:11], v[10:11], v[70:71], v[112:113]
	v_fma_f64 v[70:71], v[8:9], v[70:71], -v[72:73]
	v_add_f64 v[72:73], v[6:7], 0
	ds_load_b128 v[6:9], v1 offset:496
	v_fma_f64 v[100:101], v[100:101], v[74:75], v[110:111]
	v_fma_f64 v[98:99], v[98:99], v[74:75], -v[76:77]
	scratch_load_b128 v[74:77], off, off offset:128
	v_add_f64 v[2:3], v[2:3], v[70:71]
	v_add_f64 v[10:11], v[72:73], v[10:11]
	ds_load_b128 v[70:73], v1 offset:512
	s_waitcnt vmcnt(7) lgkmcnt(1)
	v_mul_f64 v[112:113], v[6:7], v[80:81]
	v_mul_f64 v[80:81], v[8:9], v[80:81]
	s_waitcnt vmcnt(6) lgkmcnt(0)
	v_mul_f64 v[110:111], v[70:71], v[84:85]
	v_mul_f64 v[84:85], v[72:73], v[84:85]
	v_add_f64 v[2:3], v[2:3], v[98:99]
	v_add_f64 v[10:11], v[10:11], v[100:101]
	v_fma_f64 v[112:113], v[8:9], v[78:79], v[112:113]
	v_fma_f64 v[78:79], v[6:7], v[78:79], -v[80:81]
	ds_load_b128 v[6:9], v1 offset:528
	v_fma_f64 v[98:99], v[72:73], v[82:83], v[110:111]
	v_fma_f64 v[82:83], v[70:71], v[82:83], -v[84:85]
	ds_load_b128 v[70:73], v1 offset:544
	s_waitcnt vmcnt(5) lgkmcnt(1)
	v_mul_f64 v[80:81], v[6:7], v[88:89]
	v_mul_f64 v[88:89], v[8:9], v[88:89]
	v_add_f64 v[10:11], v[10:11], v[112:113]
	v_add_f64 v[2:3], v[2:3], v[78:79]
	s_waitcnt vmcnt(4) lgkmcnt(0)
	v_mul_f64 v[78:79], v[70:71], v[92:93]
	v_mul_f64 v[84:85], v[72:73], v[92:93]
	v_fma_f64 v[80:81], v[8:9], v[86:87], v[80:81]
	v_fma_f64 v[86:87], v[6:7], v[86:87], -v[88:89]
	ds_load_b128 v[6:9], v1 offset:560
	v_add_f64 v[10:11], v[10:11], v[98:99]
	v_add_f64 v[2:3], v[2:3], v[82:83]
	v_fma_f64 v[78:79], v[72:73], v[90:91], v[78:79]
	v_fma_f64 v[84:85], v[70:71], v[90:91], -v[84:85]
	ds_load_b128 v[70:73], v1 offset:576
	s_waitcnt vmcnt(3) lgkmcnt(1)
	v_mul_f64 v[82:83], v[6:7], v[96:97]
	v_mul_f64 v[88:89], v[8:9], v[96:97]
	v_add_f64 v[10:11], v[10:11], v[80:81]
	v_add_f64 v[2:3], v[2:3], v[86:87]
	s_waitcnt vmcnt(2) lgkmcnt(0)
	v_mul_f64 v[80:81], v[70:71], v[104:105]
	v_mul_f64 v[86:87], v[72:73], v[104:105]
	v_fma_f64 v[8:9], v[8:9], v[94:95], v[82:83]
	v_fma_f64 v[6:7], v[6:7], v[94:95], -v[88:89]
	v_add_f64 v[10:11], v[10:11], v[78:79]
	v_add_f64 v[82:83], v[2:3], v[84:85]
	ds_load_b128 v[1:4], v1 offset:592
	v_fma_f64 v[72:73], v[72:73], v[102:103], v[80:81]
	v_fma_f64 v[70:71], v[70:71], v[102:103], -v[86:87]
	s_waitcnt vmcnt(1) lgkmcnt(0)
	v_mul_f64 v[78:79], v[1:2], v[108:109]
	v_mul_f64 v[84:85], v[3:4], v[108:109]
	v_add_f64 v[8:9], v[10:11], v[8:9]
	v_add_f64 v[6:7], v[82:83], v[6:7]
	s_delay_alu instid0(VALU_DEP_4) | instskip(NEXT) | instid1(VALU_DEP_4)
	v_fma_f64 v[3:4], v[3:4], v[106:107], v[78:79]
	v_fma_f64 v[1:2], v[1:2], v[106:107], -v[84:85]
	s_delay_alu instid0(VALU_DEP_4) | instskip(NEXT) | instid1(VALU_DEP_4)
	v_add_f64 v[8:9], v[8:9], v[72:73]
	v_add_f64 v[6:7], v[6:7], v[70:71]
	s_delay_alu instid0(VALU_DEP_2) | instskip(NEXT) | instid1(VALU_DEP_2)
	v_add_f64 v[3:4], v[8:9], v[3:4]
	v_add_f64 v[1:2], v[6:7], v[1:2]
	s_waitcnt vmcnt(0)
	s_delay_alu instid0(VALU_DEP_2) | instskip(NEXT) | instid1(VALU_DEP_2)
	v_add_f64 v[3:4], v[76:77], -v[3:4]
	v_add_f64 v[1:2], v[74:75], -v[1:2]
	scratch_store_b128 off, v[1:4], off offset:128
	v_cmpx_lt_u32_e32 7, v51
	s_cbranch_execz .LBB18_113
; %bb.112:
	scratch_load_b128 v[1:4], v56, off
	v_mov_b32_e32 v6, 0
	s_delay_alu instid0(VALU_DEP_1)
	v_mov_b32_e32 v7, v6
	v_mov_b32_e32 v8, v6
	;; [unrolled: 1-line block ×3, first 2 shown]
	scratch_store_b128 off, v[6:9], off offset:112
	s_waitcnt vmcnt(0)
	ds_store_b128 v5, v[1:4]
.LBB18_113:
	s_or_b32 exec_lo, exec_lo, s2
	s_waitcnt lgkmcnt(0)
	s_waitcnt_vscnt null, 0x0
	s_barrier
	buffer_gl0_inv
	s_clause 0x7
	scratch_load_b128 v[6:9], off, off offset:128
	scratch_load_b128 v[70:73], off, off offset:144
	;; [unrolled: 1-line block ×8, first 2 shown]
	v_mov_b32_e32 v1, 0
	s_clause 0x1
	scratch_load_b128 v[102:105], off, off offset:256
	scratch_load_b128 v[106:109], off, off offset:272
	s_mov_b32 s2, exec_lo
	ds_load_b128 v[98:101], v1 offset:432
	s_waitcnt vmcnt(9) lgkmcnt(0)
	v_mul_f64 v[2:3], v[100:101], v[8:9]
	v_mul_f64 v[110:111], v[98:99], v[8:9]
	ds_load_b128 v[8:11], v1 offset:448
	v_fma_f64 v[2:3], v[98:99], v[6:7], -v[2:3]
	v_fma_f64 v[6:7], v[100:101], v[6:7], v[110:111]
	ds_load_b128 v[98:101], v1 offset:464
	s_waitcnt vmcnt(8) lgkmcnt(1)
	v_mul_f64 v[114:115], v[8:9], v[72:73]
	v_mul_f64 v[72:73], v[10:11], v[72:73]
	scratch_load_b128 v[110:113], off, off offset:288
	s_waitcnt vmcnt(8) lgkmcnt(0)
	v_mul_f64 v[116:117], v[98:99], v[76:77]
	v_mul_f64 v[76:77], v[100:101], v[76:77]
	v_add_f64 v[2:3], v[2:3], 0
	v_fma_f64 v[10:11], v[10:11], v[70:71], v[114:115]
	v_fma_f64 v[70:71], v[8:9], v[70:71], -v[72:73]
	v_add_f64 v[72:73], v[6:7], 0
	ds_load_b128 v[6:9], v1 offset:480
	v_fma_f64 v[100:101], v[100:101], v[74:75], v[116:117]
	v_fma_f64 v[74:75], v[98:99], v[74:75], -v[76:77]
	v_add_f64 v[2:3], v[2:3], v[70:71]
	v_add_f64 v[10:11], v[72:73], v[10:11]
	ds_load_b128 v[70:73], v1 offset:496
	s_waitcnt vmcnt(7) lgkmcnt(1)
	v_mul_f64 v[114:115], v[6:7], v[80:81]
	v_mul_f64 v[80:81], v[8:9], v[80:81]
	s_waitcnt vmcnt(6) lgkmcnt(0)
	v_mul_f64 v[98:99], v[70:71], v[84:85]
	v_mul_f64 v[84:85], v[72:73], v[84:85]
	v_add_f64 v[2:3], v[2:3], v[74:75]
	v_add_f64 v[10:11], v[10:11], v[100:101]
	scratch_load_b128 v[74:77], off, off offset:112
	v_fma_f64 v[114:115], v[8:9], v[78:79], v[114:115]
	v_fma_f64 v[78:79], v[6:7], v[78:79], -v[80:81]
	ds_load_b128 v[6:9], v1 offset:512
	v_fma_f64 v[98:99], v[72:73], v[82:83], v[98:99]
	v_fma_f64 v[82:83], v[70:71], v[82:83], -v[84:85]
	ds_load_b128 v[70:73], v1 offset:528
	s_waitcnt vmcnt(6) lgkmcnt(1)
	v_mul_f64 v[80:81], v[6:7], v[88:89]
	v_mul_f64 v[88:89], v[8:9], v[88:89]
	v_add_f64 v[10:11], v[10:11], v[114:115]
	v_add_f64 v[2:3], v[2:3], v[78:79]
	s_waitcnt vmcnt(5) lgkmcnt(0)
	v_mul_f64 v[78:79], v[70:71], v[92:93]
	v_mul_f64 v[84:85], v[72:73], v[92:93]
	v_fma_f64 v[80:81], v[8:9], v[86:87], v[80:81]
	v_fma_f64 v[86:87], v[6:7], v[86:87], -v[88:89]
	ds_load_b128 v[6:9], v1 offset:544
	v_add_f64 v[10:11], v[10:11], v[98:99]
	v_add_f64 v[2:3], v[2:3], v[82:83]
	v_fma_f64 v[78:79], v[72:73], v[90:91], v[78:79]
	v_fma_f64 v[84:85], v[70:71], v[90:91], -v[84:85]
	ds_load_b128 v[70:73], v1 offset:560
	s_waitcnt vmcnt(4) lgkmcnt(1)
	v_mul_f64 v[82:83], v[6:7], v[96:97]
	v_mul_f64 v[88:89], v[8:9], v[96:97]
	v_add_f64 v[10:11], v[10:11], v[80:81]
	v_add_f64 v[2:3], v[2:3], v[86:87]
	s_waitcnt vmcnt(3) lgkmcnt(0)
	v_mul_f64 v[80:81], v[70:71], v[104:105]
	v_mul_f64 v[86:87], v[72:73], v[104:105]
	v_fma_f64 v[82:83], v[8:9], v[94:95], v[82:83]
	v_fma_f64 v[88:89], v[6:7], v[94:95], -v[88:89]
	ds_load_b128 v[6:9], v1 offset:576
	v_add_f64 v[10:11], v[10:11], v[78:79]
	v_add_f64 v[2:3], v[2:3], v[84:85]
	v_fma_f64 v[80:81], v[72:73], v[102:103], v[80:81]
	v_fma_f64 v[86:87], v[70:71], v[102:103], -v[86:87]
	ds_load_b128 v[70:73], v1 offset:592
	s_waitcnt vmcnt(2) lgkmcnt(1)
	v_mul_f64 v[78:79], v[6:7], v[108:109]
	v_mul_f64 v[84:85], v[8:9], v[108:109]
	v_add_f64 v[10:11], v[10:11], v[82:83]
	v_add_f64 v[2:3], v[2:3], v[88:89]
	s_delay_alu instid0(VALU_DEP_4) | instskip(NEXT) | instid1(VALU_DEP_4)
	v_fma_f64 v[8:9], v[8:9], v[106:107], v[78:79]
	v_fma_f64 v[6:7], v[6:7], v[106:107], -v[84:85]
	s_waitcnt vmcnt(1) lgkmcnt(0)
	v_mul_f64 v[82:83], v[70:71], v[112:113]
	v_mul_f64 v[88:89], v[72:73], v[112:113]
	v_add_f64 v[10:11], v[10:11], v[80:81]
	v_add_f64 v[2:3], v[2:3], v[86:87]
	s_delay_alu instid0(VALU_DEP_4) | instskip(NEXT) | instid1(VALU_DEP_4)
	v_fma_f64 v[72:73], v[72:73], v[110:111], v[82:83]
	v_fma_f64 v[70:71], v[70:71], v[110:111], -v[88:89]
	s_delay_alu instid0(VALU_DEP_3) | instskip(SKIP_1) | instid1(VALU_DEP_2)
	v_add_f64 v[2:3], v[2:3], v[6:7]
	v_add_f64 v[6:7], v[10:11], v[8:9]
	;; [unrolled: 1-line block ×3, first 2 shown]
	s_delay_alu instid0(VALU_DEP_2) | instskip(SKIP_1) | instid1(VALU_DEP_2)
	v_add_f64 v[8:9], v[6:7], v[72:73]
	s_waitcnt vmcnt(0)
	v_add_f64 v[6:7], v[74:75], -v[2:3]
	s_delay_alu instid0(VALU_DEP_2)
	v_add_f64 v[8:9], v[76:77], -v[8:9]
	scratch_store_b128 off, v[6:9], off offset:112
	v_cmpx_lt_u32_e32 6, v51
	s_cbranch_execz .LBB18_115
; %bb.114:
	scratch_load_b128 v[6:9], v54, off
	v_mov_b32_e32 v2, v1
	v_mov_b32_e32 v3, v1
	;; [unrolled: 1-line block ×3, first 2 shown]
	scratch_store_b128 off, v[1:4], off offset:96
	s_waitcnt vmcnt(0)
	ds_store_b128 v5, v[6:9]
.LBB18_115:
	s_or_b32 exec_lo, exec_lo, s2
	s_waitcnt lgkmcnt(0)
	s_waitcnt_vscnt null, 0x0
	s_barrier
	buffer_gl0_inv
	s_clause 0x7
	scratch_load_b128 v[6:9], off, off offset:112
	scratch_load_b128 v[70:73], off, off offset:128
	;; [unrolled: 1-line block ×8, first 2 shown]
	ds_load_b128 v[98:101], v1 offset:416
	s_clause 0x1
	scratch_load_b128 v[102:105], off, off offset:240
	scratch_load_b128 v[106:109], off, off offset:256
	s_mov_b32 s2, exec_lo
	s_waitcnt vmcnt(9) lgkmcnt(0)
	v_mul_f64 v[2:3], v[100:101], v[8:9]
	v_mul_f64 v[110:111], v[98:99], v[8:9]
	ds_load_b128 v[8:11], v1 offset:432
	v_fma_f64 v[2:3], v[98:99], v[6:7], -v[2:3]
	v_fma_f64 v[6:7], v[100:101], v[6:7], v[110:111]
	ds_load_b128 v[98:101], v1 offset:448
	s_waitcnt vmcnt(8) lgkmcnt(1)
	v_mul_f64 v[114:115], v[8:9], v[72:73]
	v_mul_f64 v[72:73], v[10:11], v[72:73]
	scratch_load_b128 v[110:113], off, off offset:272
	s_waitcnt vmcnt(8) lgkmcnt(0)
	v_mul_f64 v[116:117], v[98:99], v[76:77]
	v_mul_f64 v[76:77], v[100:101], v[76:77]
	v_add_f64 v[2:3], v[2:3], 0
	v_add_f64 v[118:119], v[6:7], 0
	v_fma_f64 v[10:11], v[10:11], v[70:71], v[114:115]
	v_fma_f64 v[114:115], v[8:9], v[70:71], -v[72:73]
	ds_load_b128 v[6:9], v1 offset:464
	scratch_load_b128 v[70:73], off, off offset:288
	v_fma_f64 v[100:101], v[100:101], v[74:75], v[116:117]
	v_fma_f64 v[98:99], v[98:99], v[74:75], -v[76:77]
	ds_load_b128 v[74:77], v1 offset:480
	s_waitcnt vmcnt(8) lgkmcnt(1)
	v_mul_f64 v[120:121], v[6:7], v[80:81]
	v_mul_f64 v[80:81], v[8:9], v[80:81]
	v_add_f64 v[10:11], v[118:119], v[10:11]
	v_add_f64 v[2:3], v[2:3], v[114:115]
	s_waitcnt vmcnt(7) lgkmcnt(0)
	v_mul_f64 v[114:115], v[74:75], v[84:85]
	v_mul_f64 v[84:85], v[76:77], v[84:85]
	v_fma_f64 v[116:117], v[8:9], v[78:79], v[120:121]
	v_fma_f64 v[78:79], v[6:7], v[78:79], -v[80:81]
	ds_load_b128 v[6:9], v1 offset:496
	v_add_f64 v[10:11], v[10:11], v[100:101]
	v_add_f64 v[2:3], v[2:3], v[98:99]
	v_fma_f64 v[100:101], v[76:77], v[82:83], v[114:115]
	v_fma_f64 v[82:83], v[74:75], v[82:83], -v[84:85]
	ds_load_b128 v[74:77], v1 offset:512
	s_waitcnt vmcnt(6) lgkmcnt(1)
	v_mul_f64 v[98:99], v[6:7], v[88:89]
	v_mul_f64 v[88:89], v[8:9], v[88:89]
	s_waitcnt vmcnt(5) lgkmcnt(0)
	v_mul_f64 v[84:85], v[74:75], v[92:93]
	v_mul_f64 v[92:93], v[76:77], v[92:93]
	v_add_f64 v[10:11], v[10:11], v[116:117]
	v_add_f64 v[2:3], v[2:3], v[78:79]
	scratch_load_b128 v[78:81], off, off offset:96
	v_fma_f64 v[98:99], v[8:9], v[86:87], v[98:99]
	v_fma_f64 v[86:87], v[6:7], v[86:87], -v[88:89]
	ds_load_b128 v[6:9], v1 offset:528
	v_fma_f64 v[84:85], v[76:77], v[90:91], v[84:85]
	v_fma_f64 v[90:91], v[74:75], v[90:91], -v[92:93]
	ds_load_b128 v[74:77], v1 offset:544
	s_waitcnt vmcnt(5) lgkmcnt(1)
	v_mul_f64 v[88:89], v[8:9], v[96:97]
	v_add_f64 v[10:11], v[10:11], v[100:101]
	v_add_f64 v[2:3], v[2:3], v[82:83]
	v_mul_f64 v[82:83], v[6:7], v[96:97]
	s_waitcnt vmcnt(4) lgkmcnt(0)
	v_mul_f64 v[92:93], v[76:77], v[104:105]
	v_fma_f64 v[88:89], v[6:7], v[94:95], -v[88:89]
	v_add_f64 v[10:11], v[10:11], v[98:99]
	v_add_f64 v[2:3], v[2:3], v[86:87]
	v_mul_f64 v[86:87], v[74:75], v[104:105]
	v_fma_f64 v[82:83], v[8:9], v[94:95], v[82:83]
	ds_load_b128 v[6:9], v1 offset:560
	v_fma_f64 v[92:93], v[74:75], v[102:103], -v[92:93]
	v_add_f64 v[10:11], v[10:11], v[84:85]
	v_add_f64 v[2:3], v[2:3], v[90:91]
	v_fma_f64 v[86:87], v[76:77], v[102:103], v[86:87]
	ds_load_b128 v[74:77], v1 offset:576
	s_waitcnt vmcnt(3) lgkmcnt(1)
	v_mul_f64 v[84:85], v[6:7], v[108:109]
	v_mul_f64 v[90:91], v[8:9], v[108:109]
	v_add_f64 v[10:11], v[10:11], v[82:83]
	v_add_f64 v[2:3], v[2:3], v[88:89]
	s_delay_alu instid0(VALU_DEP_4) | instskip(NEXT) | instid1(VALU_DEP_4)
	v_fma_f64 v[8:9], v[8:9], v[106:107], v[84:85]
	v_fma_f64 v[6:7], v[6:7], v[106:107], -v[90:91]
	s_waitcnt vmcnt(2) lgkmcnt(0)
	v_mul_f64 v[82:83], v[74:75], v[112:113]
	v_mul_f64 v[88:89], v[76:77], v[112:113]
	v_add_f64 v[10:11], v[10:11], v[86:87]
	v_add_f64 v[84:85], v[2:3], v[92:93]
	ds_load_b128 v[1:4], v1 offset:592
	v_fma_f64 v[76:77], v[76:77], v[110:111], v[82:83]
	v_fma_f64 v[74:75], v[74:75], v[110:111], -v[88:89]
	s_waitcnt vmcnt(1) lgkmcnt(0)
	v_mul_f64 v[86:87], v[1:2], v[72:73]
	v_mul_f64 v[72:73], v[3:4], v[72:73]
	v_add_f64 v[8:9], v[10:11], v[8:9]
	v_add_f64 v[6:7], v[84:85], v[6:7]
	s_delay_alu instid0(VALU_DEP_4) | instskip(NEXT) | instid1(VALU_DEP_4)
	v_fma_f64 v[3:4], v[3:4], v[70:71], v[86:87]
	v_fma_f64 v[1:2], v[1:2], v[70:71], -v[72:73]
	s_delay_alu instid0(VALU_DEP_4) | instskip(NEXT) | instid1(VALU_DEP_4)
	v_add_f64 v[8:9], v[8:9], v[76:77]
	v_add_f64 v[6:7], v[6:7], v[74:75]
	s_delay_alu instid0(VALU_DEP_2) | instskip(NEXT) | instid1(VALU_DEP_2)
	v_add_f64 v[3:4], v[8:9], v[3:4]
	v_add_f64 v[1:2], v[6:7], v[1:2]
	s_waitcnt vmcnt(0)
	s_delay_alu instid0(VALU_DEP_2) | instskip(NEXT) | instid1(VALU_DEP_2)
	v_add_f64 v[3:4], v[80:81], -v[3:4]
	v_add_f64 v[1:2], v[78:79], -v[1:2]
	scratch_store_b128 off, v[1:4], off offset:96
	v_cmpx_lt_u32_e32 5, v51
	s_cbranch_execz .LBB18_117
; %bb.116:
	scratch_load_b128 v[1:4], v57, off
	v_mov_b32_e32 v6, 0
	s_delay_alu instid0(VALU_DEP_1)
	v_mov_b32_e32 v7, v6
	v_mov_b32_e32 v8, v6
	;; [unrolled: 1-line block ×3, first 2 shown]
	scratch_store_b128 off, v[6:9], off offset:80
	s_waitcnt vmcnt(0)
	ds_store_b128 v5, v[1:4]
.LBB18_117:
	s_or_b32 exec_lo, exec_lo, s2
	s_waitcnt lgkmcnt(0)
	s_waitcnt_vscnt null, 0x0
	s_barrier
	buffer_gl0_inv
	s_clause 0x7
	scratch_load_b128 v[6:9], off, off offset:96
	scratch_load_b128 v[70:73], off, off offset:112
	;; [unrolled: 1-line block ×8, first 2 shown]
	v_mov_b32_e32 v1, 0
	s_mov_b32 s2, exec_lo
	ds_load_b128 v[98:101], v1 offset:400
	s_clause 0x1
	scratch_load_b128 v[102:105], off, off offset:224
	scratch_load_b128 v[106:109], off, off offset:80
	ds_load_b128 v[110:113], v1 offset:416
	ds_load_b128 v[118:121], v1 offset:448
	s_waitcnt vmcnt(9) lgkmcnt(2)
	v_mul_f64 v[2:3], v[100:101], v[8:9]
	v_mul_f64 v[114:115], v[98:99], v[8:9]
	scratch_load_b128 v[8:11], off, off offset:240
	v_fma_f64 v[2:3], v[98:99], v[6:7], -v[2:3]
	v_fma_f64 v[6:7], v[100:101], v[6:7], v[114:115]
	scratch_load_b128 v[114:117], off, off offset:256
	ds_load_b128 v[98:101], v1 offset:432
	s_waitcnt vmcnt(10) lgkmcnt(2)
	v_mul_f64 v[122:123], v[110:111], v[72:73]
	v_mul_f64 v[72:73], v[112:113], v[72:73]
	s_waitcnt vmcnt(9) lgkmcnt(0)
	v_mul_f64 v[124:125], v[98:99], v[76:77]
	v_mul_f64 v[76:77], v[100:101], v[76:77]
	v_add_f64 v[2:3], v[2:3], 0
	v_add_f64 v[6:7], v[6:7], 0
	v_fma_f64 v[112:113], v[112:113], v[70:71], v[122:123]
	v_fma_f64 v[110:111], v[110:111], v[70:71], -v[72:73]
	scratch_load_b128 v[70:73], off, off offset:272
	v_fma_f64 v[124:125], v[100:101], v[74:75], v[124:125]
	v_fma_f64 v[126:127], v[98:99], v[74:75], -v[76:77]
	scratch_load_b128 v[98:101], off, off offset:288
	ds_load_b128 v[74:77], v1 offset:464
	s_waitcnt vmcnt(10)
	v_mul_f64 v[122:123], v[118:119], v[80:81]
	v_mul_f64 v[80:81], v[120:121], v[80:81]
	v_add_f64 v[6:7], v[6:7], v[112:113]
	v_add_f64 v[2:3], v[2:3], v[110:111]
	ds_load_b128 v[110:113], v1 offset:480
	s_waitcnt vmcnt(9) lgkmcnt(1)
	v_mul_f64 v[128:129], v[74:75], v[84:85]
	v_mul_f64 v[84:85], v[76:77], v[84:85]
	v_fma_f64 v[120:121], v[120:121], v[78:79], v[122:123]
	v_fma_f64 v[78:79], v[118:119], v[78:79], -v[80:81]
	s_waitcnt vmcnt(8) lgkmcnt(0)
	v_mul_f64 v[118:119], v[110:111], v[88:89]
	v_mul_f64 v[88:89], v[112:113], v[88:89]
	v_add_f64 v[6:7], v[6:7], v[124:125]
	v_add_f64 v[2:3], v[2:3], v[126:127]
	v_fma_f64 v[122:123], v[76:77], v[82:83], v[128:129]
	v_fma_f64 v[82:83], v[74:75], v[82:83], -v[84:85]
	v_fma_f64 v[112:113], v[112:113], v[86:87], v[118:119]
	v_fma_f64 v[86:87], v[110:111], v[86:87], -v[88:89]
	v_add_f64 v[6:7], v[6:7], v[120:121]
	v_add_f64 v[2:3], v[2:3], v[78:79]
	ds_load_b128 v[74:77], v1 offset:496
	ds_load_b128 v[78:81], v1 offset:512
	s_waitcnt vmcnt(7) lgkmcnt(1)
	v_mul_f64 v[84:85], v[74:75], v[92:93]
	v_mul_f64 v[92:93], v[76:77], v[92:93]
	s_waitcnt vmcnt(6) lgkmcnt(0)
	v_mul_f64 v[88:89], v[78:79], v[96:97]
	v_mul_f64 v[96:97], v[80:81], v[96:97]
	v_add_f64 v[6:7], v[6:7], v[122:123]
	v_add_f64 v[2:3], v[2:3], v[82:83]
	v_fma_f64 v[110:111], v[76:77], v[90:91], v[84:85]
	v_fma_f64 v[90:91], v[74:75], v[90:91], -v[92:93]
	ds_load_b128 v[74:77], v1 offset:528
	ds_load_b128 v[82:85], v1 offset:544
	v_fma_f64 v[80:81], v[80:81], v[94:95], v[88:89]
	v_fma_f64 v[78:79], v[78:79], v[94:95], -v[96:97]
	v_add_f64 v[6:7], v[6:7], v[112:113]
	v_add_f64 v[2:3], v[2:3], v[86:87]
	s_waitcnt vmcnt(5) lgkmcnt(1)
	v_mul_f64 v[86:87], v[74:75], v[104:105]
	v_mul_f64 v[92:93], v[76:77], v[104:105]
	s_delay_alu instid0(VALU_DEP_4) | instskip(NEXT) | instid1(VALU_DEP_4)
	v_add_f64 v[6:7], v[6:7], v[110:111]
	v_add_f64 v[2:3], v[2:3], v[90:91]
	s_delay_alu instid0(VALU_DEP_4) | instskip(NEXT) | instid1(VALU_DEP_4)
	v_fma_f64 v[86:87], v[76:77], v[102:103], v[86:87]
	v_fma_f64 v[90:91], v[74:75], v[102:103], -v[92:93]
	s_waitcnt vmcnt(3) lgkmcnt(0)
	v_mul_f64 v[88:89], v[82:83], v[10:11]
	v_mul_f64 v[10:11], v[84:85], v[10:11]
	v_add_f64 v[6:7], v[6:7], v[80:81]
	v_add_f64 v[2:3], v[2:3], v[78:79]
	ds_load_b128 v[74:77], v1 offset:560
	ds_load_b128 v[78:81], v1 offset:576
	v_fma_f64 v[84:85], v[84:85], v[8:9], v[88:89]
	v_fma_f64 v[8:9], v[82:83], v[8:9], -v[10:11]
	s_waitcnt vmcnt(2) lgkmcnt(1)
	v_mul_f64 v[92:93], v[74:75], v[116:117]
	v_mul_f64 v[94:95], v[76:77], v[116:117]
	v_add_f64 v[6:7], v[6:7], v[86:87]
	v_add_f64 v[2:3], v[2:3], v[90:91]
	s_waitcnt vmcnt(1) lgkmcnt(0)
	v_mul_f64 v[10:11], v[78:79], v[72:73]
	v_mul_f64 v[72:73], v[80:81], v[72:73]
	v_fma_f64 v[76:77], v[76:77], v[114:115], v[92:93]
	v_fma_f64 v[74:75], v[74:75], v[114:115], -v[94:95]
	v_add_f64 v[82:83], v[6:7], v[84:85]
	v_add_f64 v[2:3], v[2:3], v[8:9]
	ds_load_b128 v[6:9], v1 offset:592
	v_fma_f64 v[10:11], v[80:81], v[70:71], v[10:11]
	v_fma_f64 v[70:71], v[78:79], v[70:71], -v[72:73]
	s_waitcnt vmcnt(0) lgkmcnt(0)
	v_mul_f64 v[84:85], v[6:7], v[100:101]
	v_mul_f64 v[86:87], v[8:9], v[100:101]
	v_add_f64 v[72:73], v[82:83], v[76:77]
	v_add_f64 v[2:3], v[2:3], v[74:75]
	s_delay_alu instid0(VALU_DEP_4) | instskip(NEXT) | instid1(VALU_DEP_4)
	v_fma_f64 v[8:9], v[8:9], v[98:99], v[84:85]
	v_fma_f64 v[6:7], v[6:7], v[98:99], -v[86:87]
	s_delay_alu instid0(VALU_DEP_4) | instskip(NEXT) | instid1(VALU_DEP_4)
	v_add_f64 v[10:11], v[72:73], v[10:11]
	v_add_f64 v[2:3], v[2:3], v[70:71]
	s_delay_alu instid0(VALU_DEP_2) | instskip(NEXT) | instid1(VALU_DEP_2)
	v_add_f64 v[8:9], v[10:11], v[8:9]
	v_add_f64 v[2:3], v[2:3], v[6:7]
	s_delay_alu instid0(VALU_DEP_2) | instskip(NEXT) | instid1(VALU_DEP_2)
	v_add_f64 v[8:9], v[108:109], -v[8:9]
	v_add_f64 v[6:7], v[106:107], -v[2:3]
	scratch_store_b128 off, v[6:9], off offset:80
	v_cmpx_lt_u32_e32 4, v51
	s_cbranch_execz .LBB18_119
; %bb.118:
	scratch_load_b128 v[6:9], v52, off
	v_mov_b32_e32 v2, v1
	v_mov_b32_e32 v3, v1
	;; [unrolled: 1-line block ×3, first 2 shown]
	scratch_store_b128 off, v[1:4], off offset:64
	s_waitcnt vmcnt(0)
	ds_store_b128 v5, v[6:9]
.LBB18_119:
	s_or_b32 exec_lo, exec_lo, s2
	s_waitcnt lgkmcnt(0)
	s_waitcnt_vscnt null, 0x0
	s_barrier
	buffer_gl0_inv
	s_clause 0x8
	scratch_load_b128 v[6:9], off, off offset:80
	scratch_load_b128 v[70:73], off, off offset:96
	;; [unrolled: 1-line block ×9, first 2 shown]
	ds_load_b128 v[102:105], v1 offset:384
	ds_load_b128 v[106:109], v1 offset:400
	scratch_load_b128 v[110:113], off, off offset:64
	s_mov_b32 s2, exec_lo
	ds_load_b128 v[118:121], v1 offset:432
	s_waitcnt vmcnt(9) lgkmcnt(2)
	v_mul_f64 v[2:3], v[104:105], v[8:9]
	v_mul_f64 v[114:115], v[102:103], v[8:9]
	scratch_load_b128 v[8:11], off, off offset:224
	s_waitcnt vmcnt(9) lgkmcnt(1)
	v_mul_f64 v[122:123], v[106:107], v[72:73]
	v_mul_f64 v[72:73], v[108:109], v[72:73]
	v_fma_f64 v[2:3], v[102:103], v[6:7], -v[2:3]
	v_fma_f64 v[6:7], v[104:105], v[6:7], v[114:115]
	ds_load_b128 v[102:105], v1 offset:416
	scratch_load_b128 v[114:117], off, off offset:240
	v_fma_f64 v[108:109], v[108:109], v[70:71], v[122:123]
	v_fma_f64 v[106:107], v[106:107], v[70:71], -v[72:73]
	scratch_load_b128 v[70:73], off, off offset:256
	s_waitcnt vmcnt(9) lgkmcnt(1)
	v_mul_f64 v[122:123], v[118:119], v[80:81]
	v_mul_f64 v[80:81], v[120:121], v[80:81]
	s_waitcnt lgkmcnt(0)
	v_mul_f64 v[124:125], v[102:103], v[76:77]
	v_mul_f64 v[76:77], v[104:105], v[76:77]
	v_add_f64 v[2:3], v[2:3], 0
	v_add_f64 v[6:7], v[6:7], 0
	v_fma_f64 v[120:121], v[120:121], v[78:79], v[122:123]
	v_fma_f64 v[118:119], v[118:119], v[78:79], -v[80:81]
	scratch_load_b128 v[78:81], off, off offset:288
	v_fma_f64 v[124:125], v[104:105], v[74:75], v[124:125]
	v_fma_f64 v[126:127], v[102:103], v[74:75], -v[76:77]
	ds_load_b128 v[74:77], v1 offset:448
	scratch_load_b128 v[102:105], off, off offset:272
	v_add_f64 v[2:3], v[2:3], v[106:107]
	v_add_f64 v[6:7], v[6:7], v[108:109]
	ds_load_b128 v[106:109], v1 offset:464
	s_waitcnt vmcnt(10) lgkmcnt(1)
	v_mul_f64 v[128:129], v[74:75], v[84:85]
	v_mul_f64 v[84:85], v[76:77], v[84:85]
	s_waitcnt vmcnt(9) lgkmcnt(0)
	v_mul_f64 v[122:123], v[106:107], v[88:89]
	v_mul_f64 v[88:89], v[108:109], v[88:89]
	v_add_f64 v[2:3], v[2:3], v[126:127]
	v_add_f64 v[6:7], v[6:7], v[124:125]
	v_fma_f64 v[124:125], v[76:77], v[82:83], v[128:129]
	v_fma_f64 v[126:127], v[74:75], v[82:83], -v[84:85]
	ds_load_b128 v[74:77], v1 offset:480
	ds_load_b128 v[82:85], v1 offset:496
	v_fma_f64 v[108:109], v[108:109], v[86:87], v[122:123]
	v_fma_f64 v[86:87], v[106:107], v[86:87], -v[88:89]
	s_waitcnt vmcnt(7) lgkmcnt(0)
	v_mul_f64 v[106:107], v[82:83], v[96:97]
	v_mul_f64 v[96:97], v[84:85], v[96:97]
	v_add_f64 v[2:3], v[2:3], v[118:119]
	v_add_f64 v[6:7], v[6:7], v[120:121]
	v_mul_f64 v[118:119], v[74:75], v[92:93]
	v_mul_f64 v[92:93], v[76:77], v[92:93]
	v_fma_f64 v[84:85], v[84:85], v[94:95], v[106:107]
	v_fma_f64 v[82:83], v[82:83], v[94:95], -v[96:97]
	v_add_f64 v[2:3], v[2:3], v[126:127]
	v_add_f64 v[6:7], v[6:7], v[124:125]
	v_fma_f64 v[118:119], v[76:77], v[90:91], v[118:119]
	v_fma_f64 v[90:91], v[74:75], v[90:91], -v[92:93]
	s_delay_alu instid0(VALU_DEP_4) | instskip(NEXT) | instid1(VALU_DEP_4)
	v_add_f64 v[2:3], v[2:3], v[86:87]
	v_add_f64 v[6:7], v[6:7], v[108:109]
	ds_load_b128 v[74:77], v1 offset:512
	ds_load_b128 v[86:89], v1 offset:528
	s_waitcnt vmcnt(6) lgkmcnt(1)
	v_mul_f64 v[92:93], v[74:75], v[100:101]
	v_mul_f64 v[100:101], v[76:77], v[100:101]
	v_add_f64 v[2:3], v[2:3], v[90:91]
	v_add_f64 v[6:7], v[6:7], v[118:119]
	s_waitcnt vmcnt(4) lgkmcnt(0)
	v_mul_f64 v[90:91], v[86:87], v[10:11]
	v_mul_f64 v[10:11], v[88:89], v[10:11]
	v_fma_f64 v[92:93], v[76:77], v[98:99], v[92:93]
	v_fma_f64 v[94:95], v[74:75], v[98:99], -v[100:101]
	v_add_f64 v[2:3], v[2:3], v[82:83]
	v_add_f64 v[6:7], v[6:7], v[84:85]
	ds_load_b128 v[74:77], v1 offset:544
	ds_load_b128 v[82:85], v1 offset:560
	v_fma_f64 v[88:89], v[88:89], v[8:9], v[90:91]
	v_fma_f64 v[8:9], v[86:87], v[8:9], -v[10:11]
	s_waitcnt vmcnt(3) lgkmcnt(1)
	v_mul_f64 v[96:97], v[74:75], v[116:117]
	v_mul_f64 v[98:99], v[76:77], v[116:117]
	s_waitcnt vmcnt(2) lgkmcnt(0)
	v_mul_f64 v[10:11], v[82:83], v[72:73]
	v_mul_f64 v[72:73], v[84:85], v[72:73]
	v_add_f64 v[2:3], v[2:3], v[94:95]
	v_add_f64 v[6:7], v[6:7], v[92:93]
	v_fma_f64 v[76:77], v[76:77], v[114:115], v[96:97]
	v_fma_f64 v[74:75], v[74:75], v[114:115], -v[98:99]
	v_fma_f64 v[10:11], v[84:85], v[70:71], v[10:11]
	v_fma_f64 v[70:71], v[82:83], v[70:71], -v[72:73]
	v_add_f64 v[86:87], v[2:3], v[8:9]
	v_add_f64 v[88:89], v[6:7], v[88:89]
	ds_load_b128 v[6:9], v1 offset:576
	ds_load_b128 v[1:4], v1 offset:592
	s_waitcnt vmcnt(0) lgkmcnt(1)
	v_mul_f64 v[90:91], v[6:7], v[104:105]
	v_mul_f64 v[92:93], v[8:9], v[104:105]
	v_add_f64 v[72:73], v[86:87], v[74:75]
	v_add_f64 v[74:75], v[88:89], v[76:77]
	s_waitcnt lgkmcnt(0)
	v_mul_f64 v[76:77], v[1:2], v[80:81]
	v_mul_f64 v[80:81], v[3:4], v[80:81]
	v_fma_f64 v[8:9], v[8:9], v[102:103], v[90:91]
	v_fma_f64 v[6:7], v[6:7], v[102:103], -v[92:93]
	v_add_f64 v[70:71], v[72:73], v[70:71]
	v_add_f64 v[10:11], v[74:75], v[10:11]
	v_fma_f64 v[3:4], v[3:4], v[78:79], v[76:77]
	v_fma_f64 v[1:2], v[1:2], v[78:79], -v[80:81]
	s_delay_alu instid0(VALU_DEP_4) | instskip(NEXT) | instid1(VALU_DEP_4)
	v_add_f64 v[6:7], v[70:71], v[6:7]
	v_add_f64 v[8:9], v[10:11], v[8:9]
	s_delay_alu instid0(VALU_DEP_2) | instskip(NEXT) | instid1(VALU_DEP_2)
	v_add_f64 v[1:2], v[6:7], v[1:2]
	v_add_f64 v[3:4], v[8:9], v[3:4]
	s_delay_alu instid0(VALU_DEP_2) | instskip(NEXT) | instid1(VALU_DEP_2)
	v_add_f64 v[1:2], v[110:111], -v[1:2]
	v_add_f64 v[3:4], v[112:113], -v[3:4]
	scratch_store_b128 off, v[1:4], off offset:64
	v_cmpx_lt_u32_e32 3, v51
	s_cbranch_execz .LBB18_121
; %bb.120:
	scratch_load_b128 v[1:4], v53, off
	v_mov_b32_e32 v6, 0
	s_delay_alu instid0(VALU_DEP_1)
	v_mov_b32_e32 v7, v6
	v_mov_b32_e32 v8, v6
	;; [unrolled: 1-line block ×3, first 2 shown]
	scratch_store_b128 off, v[6:9], off offset:48
	s_waitcnt vmcnt(0)
	ds_store_b128 v5, v[1:4]
.LBB18_121:
	s_or_b32 exec_lo, exec_lo, s2
	s_waitcnt lgkmcnt(0)
	s_waitcnt_vscnt null, 0x0
	s_barrier
	buffer_gl0_inv
	s_clause 0x7
	scratch_load_b128 v[6:9], off, off offset:64
	scratch_load_b128 v[70:73], off, off offset:80
	;; [unrolled: 1-line block ×8, first 2 shown]
	v_mov_b32_e32 v1, 0
	s_mov_b32 s2, exec_lo
	ds_load_b128 v[98:101], v1 offset:368
	s_clause 0x1
	scratch_load_b128 v[102:105], off, off offset:192
	scratch_load_b128 v[106:109], off, off offset:48
	ds_load_b128 v[110:113], v1 offset:384
	ds_load_b128 v[118:121], v1 offset:416
	s_waitcnt vmcnt(9) lgkmcnt(2)
	v_mul_f64 v[2:3], v[100:101], v[8:9]
	v_mul_f64 v[114:115], v[98:99], v[8:9]
	scratch_load_b128 v[8:11], off, off offset:208
	v_fma_f64 v[2:3], v[98:99], v[6:7], -v[2:3]
	v_fma_f64 v[6:7], v[100:101], v[6:7], v[114:115]
	scratch_load_b128 v[114:117], off, off offset:224
	ds_load_b128 v[98:101], v1 offset:400
	s_waitcnt vmcnt(10) lgkmcnt(2)
	v_mul_f64 v[122:123], v[110:111], v[72:73]
	v_mul_f64 v[72:73], v[112:113], v[72:73]
	s_waitcnt vmcnt(9) lgkmcnt(0)
	v_mul_f64 v[124:125], v[98:99], v[76:77]
	v_mul_f64 v[76:77], v[100:101], v[76:77]
	v_add_f64 v[2:3], v[2:3], 0
	v_add_f64 v[6:7], v[6:7], 0
	v_fma_f64 v[112:113], v[112:113], v[70:71], v[122:123]
	v_fma_f64 v[110:111], v[110:111], v[70:71], -v[72:73]
	scratch_load_b128 v[70:73], off, off offset:240
	v_fma_f64 v[124:125], v[100:101], v[74:75], v[124:125]
	v_fma_f64 v[126:127], v[98:99], v[74:75], -v[76:77]
	scratch_load_b128 v[98:101], off, off offset:256
	ds_load_b128 v[74:77], v1 offset:432
	s_waitcnt vmcnt(10)
	v_mul_f64 v[122:123], v[118:119], v[80:81]
	v_mul_f64 v[80:81], v[120:121], v[80:81]
	v_add_f64 v[6:7], v[6:7], v[112:113]
	v_add_f64 v[2:3], v[2:3], v[110:111]
	ds_load_b128 v[110:113], v1 offset:448
	s_waitcnt vmcnt(9) lgkmcnt(1)
	v_mul_f64 v[128:129], v[74:75], v[84:85]
	v_mul_f64 v[84:85], v[76:77], v[84:85]
	v_fma_f64 v[120:121], v[120:121], v[78:79], v[122:123]
	v_fma_f64 v[118:119], v[118:119], v[78:79], -v[80:81]
	scratch_load_b128 v[78:81], off, off offset:272
	v_add_f64 v[6:7], v[6:7], v[124:125]
	v_add_f64 v[2:3], v[2:3], v[126:127]
	v_fma_f64 v[124:125], v[76:77], v[82:83], v[128:129]
	v_fma_f64 v[126:127], v[74:75], v[82:83], -v[84:85]
	scratch_load_b128 v[82:85], off, off offset:288
	ds_load_b128 v[74:77], v1 offset:464
	s_waitcnt vmcnt(10) lgkmcnt(1)
	v_mul_f64 v[122:123], v[110:111], v[88:89]
	v_mul_f64 v[88:89], v[112:113], v[88:89]
	s_waitcnt vmcnt(9) lgkmcnt(0)
	v_mul_f64 v[128:129], v[74:75], v[92:93]
	v_mul_f64 v[92:93], v[76:77], v[92:93]
	v_add_f64 v[6:7], v[6:7], v[120:121]
	v_add_f64 v[2:3], v[2:3], v[118:119]
	ds_load_b128 v[118:121], v1 offset:480
	v_fma_f64 v[112:113], v[112:113], v[86:87], v[122:123]
	v_fma_f64 v[86:87], v[110:111], v[86:87], -v[88:89]
	s_waitcnt vmcnt(8) lgkmcnt(0)
	v_mul_f64 v[110:111], v[118:119], v[96:97]
	v_mul_f64 v[96:97], v[120:121], v[96:97]
	v_fma_f64 v[122:123], v[76:77], v[90:91], v[128:129]
	v_fma_f64 v[90:91], v[74:75], v[90:91], -v[92:93]
	v_add_f64 v[6:7], v[6:7], v[124:125]
	v_add_f64 v[2:3], v[2:3], v[126:127]
	v_fma_f64 v[110:111], v[120:121], v[94:95], v[110:111]
	v_fma_f64 v[94:95], v[118:119], v[94:95], -v[96:97]
	s_delay_alu instid0(VALU_DEP_4) | instskip(NEXT) | instid1(VALU_DEP_4)
	v_add_f64 v[6:7], v[6:7], v[112:113]
	v_add_f64 v[2:3], v[2:3], v[86:87]
	ds_load_b128 v[74:77], v1 offset:496
	ds_load_b128 v[86:89], v1 offset:512
	s_waitcnt vmcnt(7) lgkmcnt(1)
	v_mul_f64 v[92:93], v[74:75], v[104:105]
	v_mul_f64 v[104:105], v[76:77], v[104:105]
	v_add_f64 v[6:7], v[6:7], v[122:123]
	v_add_f64 v[2:3], v[2:3], v[90:91]
	s_waitcnt vmcnt(5) lgkmcnt(0)
	v_mul_f64 v[96:97], v[86:87], v[10:11]
	v_mul_f64 v[10:11], v[88:89], v[10:11]
	v_fma_f64 v[112:113], v[76:77], v[102:103], v[92:93]
	v_fma_f64 v[102:103], v[74:75], v[102:103], -v[104:105]
	ds_load_b128 v[74:77], v1 offset:528
	ds_load_b128 v[90:93], v1 offset:544
	v_add_f64 v[6:7], v[6:7], v[110:111]
	v_add_f64 v[2:3], v[2:3], v[94:95]
	s_waitcnt vmcnt(4) lgkmcnt(1)
	v_mul_f64 v[94:95], v[74:75], v[116:117]
	v_mul_f64 v[104:105], v[76:77], v[116:117]
	v_fma_f64 v[88:89], v[88:89], v[8:9], v[96:97]
	v_fma_f64 v[8:9], v[86:87], v[8:9], -v[10:11]
	v_add_f64 v[6:7], v[6:7], v[112:113]
	v_add_f64 v[2:3], v[2:3], v[102:103]
	v_fma_f64 v[76:77], v[76:77], v[114:115], v[94:95]
	v_fma_f64 v[94:95], v[74:75], v[114:115], -v[104:105]
	s_waitcnt vmcnt(3) lgkmcnt(0)
	v_mul_f64 v[10:11], v[90:91], v[72:73]
	v_mul_f64 v[86:87], v[92:93], v[72:73]
	v_add_f64 v[88:89], v[6:7], v[88:89]
	v_add_f64 v[2:3], v[2:3], v[8:9]
	ds_load_b128 v[6:9], v1 offset:560
	ds_load_b128 v[72:75], v1 offset:576
	v_fma_f64 v[10:11], v[92:93], v[70:71], v[10:11]
	v_fma_f64 v[70:71], v[90:91], v[70:71], -v[86:87]
	s_waitcnt vmcnt(2) lgkmcnt(1)
	v_mul_f64 v[96:97], v[6:7], v[100:101]
	v_mul_f64 v[100:101], v[8:9], v[100:101]
	v_add_f64 v[76:77], v[88:89], v[76:77]
	v_add_f64 v[2:3], v[2:3], v[94:95]
	s_waitcnt vmcnt(1) lgkmcnt(0)
	v_mul_f64 v[86:87], v[72:73], v[80:81]
	v_mul_f64 v[80:81], v[74:75], v[80:81]
	v_fma_f64 v[88:89], v[8:9], v[98:99], v[96:97]
	v_fma_f64 v[90:91], v[6:7], v[98:99], -v[100:101]
	ds_load_b128 v[6:9], v1 offset:592
	v_add_f64 v[10:11], v[76:77], v[10:11]
	v_add_f64 v[2:3], v[2:3], v[70:71]
	v_fma_f64 v[74:75], v[74:75], v[78:79], v[86:87]
	v_fma_f64 v[72:73], v[72:73], v[78:79], -v[80:81]
	s_waitcnt vmcnt(0) lgkmcnt(0)
	v_mul_f64 v[70:71], v[6:7], v[84:85]
	v_mul_f64 v[76:77], v[8:9], v[84:85]
	v_add_f64 v[10:11], v[10:11], v[88:89]
	v_add_f64 v[2:3], v[2:3], v[90:91]
	s_delay_alu instid0(VALU_DEP_4) | instskip(NEXT) | instid1(VALU_DEP_4)
	v_fma_f64 v[8:9], v[8:9], v[82:83], v[70:71]
	v_fma_f64 v[6:7], v[6:7], v[82:83], -v[76:77]
	s_delay_alu instid0(VALU_DEP_4) | instskip(NEXT) | instid1(VALU_DEP_4)
	v_add_f64 v[10:11], v[10:11], v[74:75]
	v_add_f64 v[2:3], v[2:3], v[72:73]
	s_delay_alu instid0(VALU_DEP_2) | instskip(NEXT) | instid1(VALU_DEP_2)
	v_add_f64 v[8:9], v[10:11], v[8:9]
	v_add_f64 v[2:3], v[2:3], v[6:7]
	s_delay_alu instid0(VALU_DEP_2) | instskip(NEXT) | instid1(VALU_DEP_2)
	v_add_f64 v[8:9], v[108:109], -v[8:9]
	v_add_f64 v[6:7], v[106:107], -v[2:3]
	scratch_store_b128 off, v[6:9], off offset:48
	v_cmpx_lt_u32_e32 2, v51
	s_cbranch_execz .LBB18_123
; %bb.122:
	scratch_load_b128 v[6:9], v55, off
	v_mov_b32_e32 v2, v1
	v_mov_b32_e32 v3, v1
	;; [unrolled: 1-line block ×3, first 2 shown]
	scratch_store_b128 off, v[1:4], off offset:32
	s_waitcnt vmcnt(0)
	ds_store_b128 v5, v[6:9]
.LBB18_123:
	s_or_b32 exec_lo, exec_lo, s2
	s_waitcnt lgkmcnt(0)
	s_waitcnt_vscnt null, 0x0
	s_barrier
	buffer_gl0_inv
	s_clause 0x8
	scratch_load_b128 v[6:9], off, off offset:48
	scratch_load_b128 v[70:73], off, off offset:64
	;; [unrolled: 1-line block ×9, first 2 shown]
	ds_load_b128 v[102:105], v1 offset:352
	ds_load_b128 v[106:109], v1 offset:368
	scratch_load_b128 v[110:113], off, off offset:32
	s_mov_b32 s2, exec_lo
	ds_load_b128 v[118:121], v1 offset:400
	s_waitcnt vmcnt(9) lgkmcnt(2)
	v_mul_f64 v[2:3], v[104:105], v[8:9]
	v_mul_f64 v[114:115], v[102:103], v[8:9]
	scratch_load_b128 v[8:11], off, off offset:192
	s_waitcnt vmcnt(9) lgkmcnt(1)
	v_mul_f64 v[122:123], v[106:107], v[72:73]
	v_mul_f64 v[72:73], v[108:109], v[72:73]
	v_fma_f64 v[2:3], v[102:103], v[6:7], -v[2:3]
	v_fma_f64 v[6:7], v[104:105], v[6:7], v[114:115]
	ds_load_b128 v[102:105], v1 offset:384
	scratch_load_b128 v[114:117], off, off offset:208
	v_fma_f64 v[108:109], v[108:109], v[70:71], v[122:123]
	v_fma_f64 v[106:107], v[106:107], v[70:71], -v[72:73]
	scratch_load_b128 v[70:73], off, off offset:224
	s_waitcnt vmcnt(9) lgkmcnt(1)
	v_mul_f64 v[122:123], v[118:119], v[80:81]
	v_mul_f64 v[80:81], v[120:121], v[80:81]
	s_waitcnt lgkmcnt(0)
	v_mul_f64 v[124:125], v[102:103], v[76:77]
	v_mul_f64 v[76:77], v[104:105], v[76:77]
	v_add_f64 v[2:3], v[2:3], 0
	v_add_f64 v[6:7], v[6:7], 0
	v_fma_f64 v[120:121], v[120:121], v[78:79], v[122:123]
	v_fma_f64 v[118:119], v[118:119], v[78:79], -v[80:81]
	scratch_load_b128 v[78:81], off, off offset:256
	v_fma_f64 v[124:125], v[104:105], v[74:75], v[124:125]
	v_fma_f64 v[126:127], v[102:103], v[74:75], -v[76:77]
	ds_load_b128 v[74:77], v1 offset:416
	scratch_load_b128 v[102:105], off, off offset:240
	v_add_f64 v[2:3], v[2:3], v[106:107]
	v_add_f64 v[6:7], v[6:7], v[108:109]
	ds_load_b128 v[106:109], v1 offset:432
	s_waitcnt vmcnt(10) lgkmcnt(1)
	v_mul_f64 v[128:129], v[74:75], v[84:85]
	v_mul_f64 v[84:85], v[76:77], v[84:85]
	s_waitcnt vmcnt(9) lgkmcnt(0)
	v_mul_f64 v[122:123], v[106:107], v[88:89]
	v_mul_f64 v[88:89], v[108:109], v[88:89]
	v_add_f64 v[2:3], v[2:3], v[126:127]
	v_add_f64 v[6:7], v[6:7], v[124:125]
	v_fma_f64 v[124:125], v[76:77], v[82:83], v[128:129]
	v_fma_f64 v[126:127], v[74:75], v[82:83], -v[84:85]
	ds_load_b128 v[74:77], v1 offset:448
	scratch_load_b128 v[82:85], off, off offset:272
	v_fma_f64 v[108:109], v[108:109], v[86:87], v[122:123]
	v_fma_f64 v[106:107], v[106:107], v[86:87], -v[88:89]
	scratch_load_b128 v[86:89], off, off offset:288
	v_add_f64 v[2:3], v[2:3], v[118:119]
	v_add_f64 v[6:7], v[6:7], v[120:121]
	ds_load_b128 v[118:121], v1 offset:464
	s_waitcnt vmcnt(10) lgkmcnt(1)
	v_mul_f64 v[128:129], v[74:75], v[92:93]
	v_mul_f64 v[92:93], v[76:77], v[92:93]
	s_waitcnt vmcnt(9) lgkmcnt(0)
	v_mul_f64 v[122:123], v[118:119], v[96:97]
	v_mul_f64 v[96:97], v[120:121], v[96:97]
	v_add_f64 v[2:3], v[2:3], v[126:127]
	v_add_f64 v[6:7], v[6:7], v[124:125]
	v_fma_f64 v[124:125], v[76:77], v[90:91], v[128:129]
	v_fma_f64 v[126:127], v[74:75], v[90:91], -v[92:93]
	ds_load_b128 v[74:77], v1 offset:480
	ds_load_b128 v[90:93], v1 offset:496
	v_add_f64 v[2:3], v[2:3], v[106:107]
	v_add_f64 v[6:7], v[6:7], v[108:109]
	s_waitcnt vmcnt(8) lgkmcnt(1)
	v_mul_f64 v[106:107], v[74:75], v[100:101]
	v_mul_f64 v[100:101], v[76:77], v[100:101]
	v_fma_f64 v[108:109], v[120:121], v[94:95], v[122:123]
	v_fma_f64 v[94:95], v[118:119], v[94:95], -v[96:97]
	v_add_f64 v[2:3], v[2:3], v[126:127]
	v_add_f64 v[6:7], v[6:7], v[124:125]
	v_fma_f64 v[106:107], v[76:77], v[98:99], v[106:107]
	v_fma_f64 v[98:99], v[74:75], v[98:99], -v[100:101]
	s_waitcnt vmcnt(6) lgkmcnt(0)
	v_mul_f64 v[118:119], v[90:91], v[10:11]
	v_mul_f64 v[10:11], v[92:93], v[10:11]
	v_add_f64 v[2:3], v[2:3], v[94:95]
	v_add_f64 v[6:7], v[6:7], v[108:109]
	ds_load_b128 v[74:77], v1 offset:512
	ds_load_b128 v[94:97], v1 offset:528
	v_fma_f64 v[92:93], v[92:93], v[8:9], v[118:119]
	v_fma_f64 v[8:9], v[90:91], v[8:9], -v[10:11]
	s_waitcnt vmcnt(5) lgkmcnt(1)
	v_mul_f64 v[100:101], v[74:75], v[116:117]
	v_mul_f64 v[108:109], v[76:77], v[116:117]
	s_waitcnt vmcnt(4) lgkmcnt(0)
	v_mul_f64 v[10:11], v[94:95], v[72:73]
	v_mul_f64 v[90:91], v[96:97], v[72:73]
	v_add_f64 v[2:3], v[2:3], v[98:99]
	v_add_f64 v[6:7], v[6:7], v[106:107]
	v_fma_f64 v[76:77], v[76:77], v[114:115], v[100:101]
	v_fma_f64 v[98:99], v[74:75], v[114:115], -v[108:109]
	v_fma_f64 v[10:11], v[96:97], v[70:71], v[10:11]
	v_fma_f64 v[70:71], v[94:95], v[70:71], -v[90:91]
	v_add_f64 v[2:3], v[2:3], v[8:9]
	v_add_f64 v[92:93], v[6:7], v[92:93]
	ds_load_b128 v[6:9], v1 offset:544
	ds_load_b128 v[72:75], v1 offset:560
	s_waitcnt vmcnt(2) lgkmcnt(1)
	v_mul_f64 v[100:101], v[6:7], v[104:105]
	v_mul_f64 v[104:105], v[8:9], v[104:105]
	s_waitcnt lgkmcnt(0)
	v_mul_f64 v[90:91], v[72:73], v[80:81]
	v_mul_f64 v[80:81], v[74:75], v[80:81]
	v_add_f64 v[2:3], v[2:3], v[98:99]
	v_add_f64 v[76:77], v[92:93], v[76:77]
	v_fma_f64 v[92:93], v[8:9], v[102:103], v[100:101]
	v_fma_f64 v[94:95], v[6:7], v[102:103], -v[104:105]
	v_fma_f64 v[74:75], v[74:75], v[78:79], v[90:91]
	v_fma_f64 v[72:73], v[72:73], v[78:79], -v[80:81]
	v_add_f64 v[70:71], v[2:3], v[70:71]
	v_add_f64 v[10:11], v[76:77], v[10:11]
	ds_load_b128 v[6:9], v1 offset:576
	ds_load_b128 v[1:4], v1 offset:592
	s_waitcnt vmcnt(1) lgkmcnt(1)
	v_mul_f64 v[76:77], v[6:7], v[84:85]
	v_mul_f64 v[84:85], v[8:9], v[84:85]
	s_waitcnt vmcnt(0) lgkmcnt(0)
	v_mul_f64 v[78:79], v[1:2], v[88:89]
	v_mul_f64 v[80:81], v[3:4], v[88:89]
	v_add_f64 v[70:71], v[70:71], v[94:95]
	v_add_f64 v[10:11], v[10:11], v[92:93]
	v_fma_f64 v[8:9], v[8:9], v[82:83], v[76:77]
	v_fma_f64 v[6:7], v[6:7], v[82:83], -v[84:85]
	v_fma_f64 v[3:4], v[3:4], v[86:87], v[78:79]
	v_fma_f64 v[1:2], v[1:2], v[86:87], -v[80:81]
	v_add_f64 v[70:71], v[70:71], v[72:73]
	v_add_f64 v[10:11], v[10:11], v[74:75]
	s_delay_alu instid0(VALU_DEP_2) | instskip(NEXT) | instid1(VALU_DEP_2)
	v_add_f64 v[6:7], v[70:71], v[6:7]
	v_add_f64 v[8:9], v[10:11], v[8:9]
	s_delay_alu instid0(VALU_DEP_2) | instskip(NEXT) | instid1(VALU_DEP_2)
	;; [unrolled: 3-line block ×3, first 2 shown]
	v_add_f64 v[1:2], v[110:111], -v[1:2]
	v_add_f64 v[3:4], v[112:113], -v[3:4]
	scratch_store_b128 off, v[1:4], off offset:32
	v_cmpx_lt_u32_e32 1, v51
	s_cbranch_execz .LBB18_125
; %bb.124:
	scratch_load_b128 v[1:4], v58, off
	v_mov_b32_e32 v6, 0
	s_delay_alu instid0(VALU_DEP_1)
	v_mov_b32_e32 v7, v6
	v_mov_b32_e32 v8, v6
	;; [unrolled: 1-line block ×3, first 2 shown]
	scratch_store_b128 off, v[6:9], off offset:16
	s_waitcnt vmcnt(0)
	ds_store_b128 v5, v[1:4]
.LBB18_125:
	s_or_b32 exec_lo, exec_lo, s2
	s_waitcnt lgkmcnt(0)
	s_waitcnt_vscnt null, 0x0
	s_barrier
	buffer_gl0_inv
	s_clause 0x7
	scratch_load_b128 v[6:9], off, off offset:32
	scratch_load_b128 v[70:73], off, off offset:48
	;; [unrolled: 1-line block ×8, first 2 shown]
	v_mov_b32_e32 v1, 0
	s_mov_b32 s2, exec_lo
	ds_load_b128 v[98:101], v1 offset:336
	s_clause 0x1
	scratch_load_b128 v[102:105], off, off offset:160
	scratch_load_b128 v[106:109], off, off offset:16
	ds_load_b128 v[110:113], v1 offset:352
	ds_load_b128 v[118:121], v1 offset:384
	s_waitcnt vmcnt(9) lgkmcnt(2)
	v_mul_f64 v[2:3], v[100:101], v[8:9]
	v_mul_f64 v[114:115], v[98:99], v[8:9]
	scratch_load_b128 v[8:11], off, off offset:176
	v_fma_f64 v[2:3], v[98:99], v[6:7], -v[2:3]
	v_fma_f64 v[6:7], v[100:101], v[6:7], v[114:115]
	scratch_load_b128 v[114:117], off, off offset:192
	ds_load_b128 v[98:101], v1 offset:368
	s_waitcnt vmcnt(10) lgkmcnt(2)
	v_mul_f64 v[122:123], v[110:111], v[72:73]
	v_mul_f64 v[72:73], v[112:113], v[72:73]
	s_waitcnt vmcnt(9) lgkmcnt(0)
	v_mul_f64 v[124:125], v[98:99], v[76:77]
	v_mul_f64 v[76:77], v[100:101], v[76:77]
	v_add_f64 v[2:3], v[2:3], 0
	v_add_f64 v[6:7], v[6:7], 0
	v_fma_f64 v[112:113], v[112:113], v[70:71], v[122:123]
	v_fma_f64 v[110:111], v[110:111], v[70:71], -v[72:73]
	scratch_load_b128 v[70:73], off, off offset:208
	v_fma_f64 v[124:125], v[100:101], v[74:75], v[124:125]
	v_fma_f64 v[126:127], v[98:99], v[74:75], -v[76:77]
	scratch_load_b128 v[98:101], off, off offset:224
	ds_load_b128 v[74:77], v1 offset:400
	s_waitcnt vmcnt(10)
	v_mul_f64 v[122:123], v[118:119], v[80:81]
	v_mul_f64 v[80:81], v[120:121], v[80:81]
	v_add_f64 v[6:7], v[6:7], v[112:113]
	v_add_f64 v[2:3], v[2:3], v[110:111]
	ds_load_b128 v[110:113], v1 offset:416
	s_waitcnt vmcnt(9) lgkmcnt(1)
	v_mul_f64 v[128:129], v[74:75], v[84:85]
	v_mul_f64 v[84:85], v[76:77], v[84:85]
	v_fma_f64 v[120:121], v[120:121], v[78:79], v[122:123]
	v_fma_f64 v[118:119], v[118:119], v[78:79], -v[80:81]
	scratch_load_b128 v[78:81], off, off offset:240
	v_add_f64 v[6:7], v[6:7], v[124:125]
	v_add_f64 v[2:3], v[2:3], v[126:127]
	v_fma_f64 v[124:125], v[76:77], v[82:83], v[128:129]
	v_fma_f64 v[126:127], v[74:75], v[82:83], -v[84:85]
	scratch_load_b128 v[82:85], off, off offset:256
	ds_load_b128 v[74:77], v1 offset:432
	s_waitcnt vmcnt(10) lgkmcnt(1)
	v_mul_f64 v[122:123], v[110:111], v[88:89]
	v_mul_f64 v[88:89], v[112:113], v[88:89]
	s_waitcnt vmcnt(9) lgkmcnt(0)
	v_mul_f64 v[128:129], v[74:75], v[92:93]
	v_mul_f64 v[92:93], v[76:77], v[92:93]
	v_add_f64 v[6:7], v[6:7], v[120:121]
	v_add_f64 v[2:3], v[2:3], v[118:119]
	ds_load_b128 v[118:121], v1 offset:448
	v_fma_f64 v[112:113], v[112:113], v[86:87], v[122:123]
	v_fma_f64 v[110:111], v[110:111], v[86:87], -v[88:89]
	scratch_load_b128 v[86:89], off, off offset:272
	v_add_f64 v[6:7], v[6:7], v[124:125]
	v_add_f64 v[2:3], v[2:3], v[126:127]
	v_fma_f64 v[124:125], v[76:77], v[90:91], v[128:129]
	v_fma_f64 v[126:127], v[74:75], v[90:91], -v[92:93]
	scratch_load_b128 v[90:93], off, off offset:288
	ds_load_b128 v[74:77], v1 offset:464
	s_waitcnt vmcnt(10) lgkmcnt(1)
	v_mul_f64 v[122:123], v[118:119], v[96:97]
	v_mul_f64 v[96:97], v[120:121], v[96:97]
	s_waitcnt vmcnt(9) lgkmcnt(0)
	v_mul_f64 v[128:129], v[74:75], v[104:105]
	v_mul_f64 v[104:105], v[76:77], v[104:105]
	v_add_f64 v[6:7], v[6:7], v[112:113]
	v_add_f64 v[2:3], v[2:3], v[110:111]
	ds_load_b128 v[110:113], v1 offset:480
	v_fma_f64 v[120:121], v[120:121], v[94:95], v[122:123]
	v_fma_f64 v[94:95], v[118:119], v[94:95], -v[96:97]
	v_fma_f64 v[122:123], v[76:77], v[102:103], v[128:129]
	v_fma_f64 v[102:103], v[74:75], v[102:103], -v[104:105]
	v_add_f64 v[6:7], v[6:7], v[124:125]
	v_add_f64 v[2:3], v[2:3], v[126:127]
	s_waitcnt vmcnt(7) lgkmcnt(0)
	v_mul_f64 v[118:119], v[110:111], v[10:11]
	v_mul_f64 v[10:11], v[112:113], v[10:11]
	s_delay_alu instid0(VALU_DEP_4) | instskip(NEXT) | instid1(VALU_DEP_4)
	v_add_f64 v[6:7], v[6:7], v[120:121]
	v_add_f64 v[2:3], v[2:3], v[94:95]
	ds_load_b128 v[74:77], v1 offset:496
	ds_load_b128 v[94:97], v1 offset:512
	v_fma_f64 v[112:113], v[112:113], v[8:9], v[118:119]
	v_fma_f64 v[8:9], v[110:111], v[8:9], -v[10:11]
	s_waitcnt vmcnt(6) lgkmcnt(1)
	v_mul_f64 v[104:105], v[74:75], v[116:117]
	v_mul_f64 v[116:117], v[76:77], v[116:117]
	v_add_f64 v[6:7], v[6:7], v[122:123]
	v_add_f64 v[2:3], v[2:3], v[102:103]
	s_waitcnt vmcnt(5) lgkmcnt(0)
	v_mul_f64 v[10:11], v[94:95], v[72:73]
	v_mul_f64 v[102:103], v[96:97], v[72:73]
	v_fma_f64 v[76:77], v[76:77], v[114:115], v[104:105]
	v_fma_f64 v[104:105], v[74:75], v[114:115], -v[116:117]
	v_add_f64 v[110:111], v[6:7], v[112:113]
	v_add_f64 v[2:3], v[2:3], v[8:9]
	ds_load_b128 v[6:9], v1 offset:528
	ds_load_b128 v[72:75], v1 offset:544
	v_fma_f64 v[10:11], v[96:97], v[70:71], v[10:11]
	v_fma_f64 v[70:71], v[94:95], v[70:71], -v[102:103]
	s_waitcnt vmcnt(4) lgkmcnt(1)
	v_mul_f64 v[112:113], v[6:7], v[100:101]
	v_mul_f64 v[100:101], v[8:9], v[100:101]
	v_add_f64 v[76:77], v[110:111], v[76:77]
	v_add_f64 v[2:3], v[2:3], v[104:105]
	s_waitcnt vmcnt(3) lgkmcnt(0)
	v_mul_f64 v[102:103], v[72:73], v[80:81]
	v_mul_f64 v[80:81], v[74:75], v[80:81]
	v_fma_f64 v[104:105], v[8:9], v[98:99], v[112:113]
	v_fma_f64 v[98:99], v[6:7], v[98:99], -v[100:101]
	ds_load_b128 v[6:9], v1 offset:560
	ds_load_b128 v[94:97], v1 offset:576
	v_add_f64 v[10:11], v[76:77], v[10:11]
	v_add_f64 v[2:3], v[2:3], v[70:71]
	v_fma_f64 v[74:75], v[74:75], v[78:79], v[102:103]
	s_waitcnt vmcnt(2) lgkmcnt(1)
	v_mul_f64 v[70:71], v[6:7], v[84:85]
	v_mul_f64 v[76:77], v[8:9], v[84:85]
	v_fma_f64 v[72:73], v[72:73], v[78:79], -v[80:81]
	s_waitcnt vmcnt(1) lgkmcnt(0)
	v_mul_f64 v[78:79], v[94:95], v[88:89]
	v_mul_f64 v[80:81], v[96:97], v[88:89]
	v_add_f64 v[10:11], v[10:11], v[104:105]
	v_add_f64 v[2:3], v[2:3], v[98:99]
	v_fma_f64 v[70:71], v[8:9], v[82:83], v[70:71]
	v_fma_f64 v[76:77], v[6:7], v[82:83], -v[76:77]
	ds_load_b128 v[6:9], v1 offset:592
	v_fma_f64 v[78:79], v[96:97], v[86:87], v[78:79]
	v_fma_f64 v[80:81], v[94:95], v[86:87], -v[80:81]
	v_add_f64 v[10:11], v[10:11], v[74:75]
	v_add_f64 v[2:3], v[2:3], v[72:73]
	s_waitcnt vmcnt(0) lgkmcnt(0)
	v_mul_f64 v[72:73], v[6:7], v[92:93]
	v_mul_f64 v[74:75], v[8:9], v[92:93]
	s_delay_alu instid0(VALU_DEP_4) | instskip(NEXT) | instid1(VALU_DEP_4)
	v_add_f64 v[10:11], v[10:11], v[70:71]
	v_add_f64 v[2:3], v[2:3], v[76:77]
	s_delay_alu instid0(VALU_DEP_4) | instskip(NEXT) | instid1(VALU_DEP_4)
	v_fma_f64 v[8:9], v[8:9], v[90:91], v[72:73]
	v_fma_f64 v[6:7], v[6:7], v[90:91], -v[74:75]
	s_delay_alu instid0(VALU_DEP_4) | instskip(NEXT) | instid1(VALU_DEP_4)
	v_add_f64 v[10:11], v[10:11], v[78:79]
	v_add_f64 v[2:3], v[2:3], v[80:81]
	s_delay_alu instid0(VALU_DEP_2) | instskip(NEXT) | instid1(VALU_DEP_2)
	v_add_f64 v[8:9], v[10:11], v[8:9]
	v_add_f64 v[2:3], v[2:3], v[6:7]
	s_delay_alu instid0(VALU_DEP_2) | instskip(NEXT) | instid1(VALU_DEP_2)
	v_add_f64 v[8:9], v[108:109], -v[8:9]
	v_add_f64 v[6:7], v[106:107], -v[2:3]
	scratch_store_b128 off, v[6:9], off offset:16
	v_cmpx_ne_u32_e32 0, v51
	s_cbranch_execz .LBB18_127
; %bb.126:
	scratch_load_b128 v[6:9], off, off
	v_mov_b32_e32 v2, v1
	v_mov_b32_e32 v3, v1
	;; [unrolled: 1-line block ×3, first 2 shown]
	scratch_store_b128 off, v[1:4], off
	s_waitcnt vmcnt(0)
	ds_store_b128 v5, v[6:9]
.LBB18_127:
	s_or_b32 exec_lo, exec_lo, s2
	s_waitcnt lgkmcnt(0)
	s_waitcnt_vscnt null, 0x0
	s_barrier
	buffer_gl0_inv
	s_clause 0x8
	scratch_load_b128 v[2:5], off, off offset:16
	scratch_load_b128 v[6:9], off, off offset:32
	;; [unrolled: 1-line block ×9, first 2 shown]
	ds_load_b128 v[98:101], v1 offset:320
	ds_load_b128 v[102:105], v1 offset:336
	s_clause 0x1
	scratch_load_b128 v[106:109], off, off
	scratch_load_b128 v[110:113], off, off offset:160
	s_and_b32 vcc_lo, exec_lo, s20
	s_waitcnt vmcnt(10) lgkmcnt(1)
	v_mul_f64 v[10:11], v[100:101], v[4:5]
	v_mul_f64 v[4:5], v[98:99], v[4:5]
	s_waitcnt vmcnt(9) lgkmcnt(0)
	v_mul_f64 v[114:115], v[102:103], v[8:9]
	v_mul_f64 v[116:117], v[104:105], v[8:9]
	s_delay_alu instid0(VALU_DEP_4) | instskip(NEXT) | instid1(VALU_DEP_4)
	v_fma_f64 v[118:119], v[98:99], v[2:3], -v[10:11]
	v_fma_f64 v[120:121], v[100:101], v[2:3], v[4:5]
	ds_load_b128 v[2:5], v1 offset:352
	ds_load_b128 v[98:101], v1 offset:368
	scratch_load_b128 v[8:11], off, off offset:176
	v_fma_f64 v[114:115], v[104:105], v[6:7], v[114:115]
	v_fma_f64 v[6:7], v[102:103], v[6:7], -v[116:117]
	scratch_load_b128 v[102:105], off, off offset:192
	s_waitcnt vmcnt(10) lgkmcnt(1)
	v_mul_f64 v[122:123], v[2:3], v[72:73]
	v_mul_f64 v[72:73], v[4:5], v[72:73]
	v_add_f64 v[116:117], v[118:119], 0
	v_add_f64 v[118:119], v[120:121], 0
	s_waitcnt vmcnt(9) lgkmcnt(0)
	v_mul_f64 v[120:121], v[98:99], v[76:77]
	v_mul_f64 v[76:77], v[100:101], v[76:77]
	v_fma_f64 v[122:123], v[4:5], v[70:71], v[122:123]
	v_fma_f64 v[124:125], v[2:3], v[70:71], -v[72:73]
	ds_load_b128 v[2:5], v1 offset:384
	scratch_load_b128 v[70:73], off, off offset:208
	v_add_f64 v[6:7], v[116:117], v[6:7]
	v_add_f64 v[118:119], v[118:119], v[114:115]
	ds_load_b128 v[114:117], v1 offset:400
	v_fma_f64 v[100:101], v[100:101], v[74:75], v[120:121]
	v_fma_f64 v[98:99], v[98:99], v[74:75], -v[76:77]
	scratch_load_b128 v[74:77], off, off offset:224
	s_waitcnt vmcnt(10) lgkmcnt(1)
	v_mul_f64 v[126:127], v[2:3], v[80:81]
	v_mul_f64 v[80:81], v[4:5], v[80:81]
	s_waitcnt vmcnt(9) lgkmcnt(0)
	v_mul_f64 v[120:121], v[114:115], v[84:85]
	v_mul_f64 v[84:85], v[116:117], v[84:85]
	v_add_f64 v[6:7], v[6:7], v[124:125]
	v_add_f64 v[118:119], v[118:119], v[122:123]
	v_fma_f64 v[122:123], v[4:5], v[78:79], v[126:127]
	v_fma_f64 v[124:125], v[2:3], v[78:79], -v[80:81]
	ds_load_b128 v[2:5], v1 offset:416
	scratch_load_b128 v[78:81], off, off offset:240
	v_fma_f64 v[116:117], v[116:117], v[82:83], v[120:121]
	v_fma_f64 v[114:115], v[114:115], v[82:83], -v[84:85]
	scratch_load_b128 v[82:85], off, off offset:256
	v_add_f64 v[6:7], v[6:7], v[98:99]
	v_add_f64 v[118:119], v[118:119], v[100:101]
	ds_load_b128 v[98:101], v1 offset:432
	s_waitcnt vmcnt(10) lgkmcnt(1)
	v_mul_f64 v[126:127], v[2:3], v[88:89]
	v_mul_f64 v[88:89], v[4:5], v[88:89]
	s_waitcnt vmcnt(9) lgkmcnt(0)
	v_mul_f64 v[120:121], v[98:99], v[92:93]
	v_mul_f64 v[92:93], v[100:101], v[92:93]
	v_add_f64 v[6:7], v[6:7], v[124:125]
	v_add_f64 v[118:119], v[118:119], v[122:123]
	v_fma_f64 v[122:123], v[4:5], v[86:87], v[126:127]
	v_fma_f64 v[124:125], v[2:3], v[86:87], -v[88:89]
	ds_load_b128 v[2:5], v1 offset:448
	scratch_load_b128 v[86:89], off, off offset:272
	v_fma_f64 v[100:101], v[100:101], v[90:91], v[120:121]
	v_fma_f64 v[98:99], v[98:99], v[90:91], -v[92:93]
	scratch_load_b128 v[90:93], off, off offset:288
	v_add_f64 v[6:7], v[6:7], v[114:115]
	v_add_f64 v[118:119], v[118:119], v[116:117]
	ds_load_b128 v[114:117], v1 offset:464
	s_waitcnt vmcnt(10) lgkmcnt(1)
	v_mul_f64 v[126:127], v[2:3], v[96:97]
	v_mul_f64 v[96:97], v[4:5], v[96:97]
	s_waitcnt vmcnt(8) lgkmcnt(0)
	v_mul_f64 v[120:121], v[114:115], v[112:113]
	v_mul_f64 v[112:113], v[116:117], v[112:113]
	v_add_f64 v[6:7], v[6:7], v[124:125]
	v_add_f64 v[118:119], v[118:119], v[122:123]
	v_fma_f64 v[122:123], v[4:5], v[94:95], v[126:127]
	v_fma_f64 v[124:125], v[2:3], v[94:95], -v[96:97]
	ds_load_b128 v[2:5], v1 offset:480
	ds_load_b128 v[94:97], v1 offset:496
	v_fma_f64 v[116:117], v[116:117], v[110:111], v[120:121]
	v_fma_f64 v[110:111], v[114:115], v[110:111], -v[112:113]
	v_add_f64 v[6:7], v[6:7], v[98:99]
	v_add_f64 v[98:99], v[118:119], v[100:101]
	s_waitcnt vmcnt(7) lgkmcnt(1)
	v_mul_f64 v[100:101], v[2:3], v[10:11]
	v_mul_f64 v[10:11], v[4:5], v[10:11]
	s_waitcnt vmcnt(6) lgkmcnt(0)
	v_mul_f64 v[112:113], v[94:95], v[104:105]
	v_mul_f64 v[104:105], v[96:97], v[104:105]
	v_add_f64 v[6:7], v[6:7], v[124:125]
	v_add_f64 v[98:99], v[98:99], v[122:123]
	v_fma_f64 v[100:101], v[4:5], v[8:9], v[100:101]
	v_fma_f64 v[10:11], v[2:3], v[8:9], -v[10:11]
	v_fma_f64 v[96:97], v[96:97], v[102:103], v[112:113]
	v_fma_f64 v[94:95], v[94:95], v[102:103], -v[104:105]
	v_add_f64 v[110:111], v[6:7], v[110:111]
	v_add_f64 v[98:99], v[98:99], v[116:117]
	ds_load_b128 v[2:5], v1 offset:512
	ds_load_b128 v[6:9], v1 offset:528
	s_waitcnt vmcnt(5) lgkmcnt(1)
	v_mul_f64 v[114:115], v[2:3], v[72:73]
	v_mul_f64 v[72:73], v[4:5], v[72:73]
	v_add_f64 v[10:11], v[110:111], v[10:11]
	v_add_f64 v[98:99], v[98:99], v[100:101]
	s_waitcnt vmcnt(4) lgkmcnt(0)
	v_mul_f64 v[100:101], v[6:7], v[76:77]
	v_mul_f64 v[76:77], v[8:9], v[76:77]
	v_fma_f64 v[102:103], v[4:5], v[70:71], v[114:115]
	v_fma_f64 v[104:105], v[2:3], v[70:71], -v[72:73]
	ds_load_b128 v[2:5], v1 offset:544
	ds_load_b128 v[70:73], v1 offset:560
	v_add_f64 v[10:11], v[10:11], v[94:95]
	v_add_f64 v[94:95], v[98:99], v[96:97]
	v_fma_f64 v[8:9], v[8:9], v[74:75], v[100:101]
	v_fma_f64 v[6:7], v[6:7], v[74:75], -v[76:77]
	s_waitcnt vmcnt(3) lgkmcnt(1)
	v_mul_f64 v[96:97], v[2:3], v[80:81]
	v_mul_f64 v[80:81], v[4:5], v[80:81]
	s_waitcnt vmcnt(2) lgkmcnt(0)
	v_mul_f64 v[76:77], v[70:71], v[84:85]
	v_mul_f64 v[84:85], v[72:73], v[84:85]
	v_add_f64 v[10:11], v[10:11], v[104:105]
	v_add_f64 v[74:75], v[94:95], v[102:103]
	v_fma_f64 v[94:95], v[4:5], v[78:79], v[96:97]
	v_fma_f64 v[78:79], v[2:3], v[78:79], -v[80:81]
	v_fma_f64 v[72:73], v[72:73], v[82:83], v[76:77]
	v_fma_f64 v[70:71], v[70:71], v[82:83], -v[84:85]
	v_add_f64 v[10:11], v[10:11], v[6:7]
	v_add_f64 v[74:75], v[74:75], v[8:9]
	ds_load_b128 v[2:5], v1 offset:576
	ds_load_b128 v[6:9], v1 offset:592
	s_waitcnt vmcnt(1) lgkmcnt(1)
	v_mul_f64 v[80:81], v[2:3], v[88:89]
	v_mul_f64 v[88:89], v[4:5], v[88:89]
	s_waitcnt vmcnt(0) lgkmcnt(0)
	v_mul_f64 v[76:77], v[6:7], v[92:93]
	v_add_f64 v[10:11], v[10:11], v[78:79]
	v_add_f64 v[74:75], v[74:75], v[94:95]
	v_mul_f64 v[78:79], v[8:9], v[92:93]
	v_fma_f64 v[4:5], v[4:5], v[86:87], v[80:81]
	v_fma_f64 v[1:2], v[2:3], v[86:87], -v[88:89]
	v_fma_f64 v[8:9], v[8:9], v[90:91], v[76:77]
	v_add_f64 v[10:11], v[10:11], v[70:71]
	v_add_f64 v[70:71], v[74:75], v[72:73]
	v_fma_f64 v[6:7], v[6:7], v[90:91], -v[78:79]
	s_delay_alu instid0(VALU_DEP_3) | instskip(NEXT) | instid1(VALU_DEP_3)
	v_add_f64 v[1:2], v[10:11], v[1:2]
	v_add_f64 v[3:4], v[70:71], v[4:5]
	s_delay_alu instid0(VALU_DEP_2) | instskip(NEXT) | instid1(VALU_DEP_2)
	v_add_f64 v[1:2], v[1:2], v[6:7]
	v_add_f64 v[3:4], v[3:4], v[8:9]
	s_delay_alu instid0(VALU_DEP_2) | instskip(NEXT) | instid1(VALU_DEP_2)
	v_add_f64 v[1:2], v[106:107], -v[1:2]
	v_add_f64 v[3:4], v[108:109], -v[3:4]
	scratch_store_b128 off, v[1:4], off
	s_cbranch_vccz .LBB18_165
; %bb.128:
	v_dual_mov_b32 v1, s16 :: v_dual_mov_b32 v2, s17
	s_load_b64 s[0:1], s[0:1], 0x4
	flat_load_b32 v1, v[1:2] offset:68
	v_bfe_u32 v2, v0, 10, 10
	v_bfe_u32 v0, v0, 20, 10
	s_waitcnt lgkmcnt(0)
	s_lshr_b32 s0, s0, 16
	s_delay_alu instid0(VALU_DEP_2) | instskip(SKIP_1) | instid1(SALU_CYCLE_1)
	v_mul_u32_u24_e32 v2, s1, v2
	s_mul_i32 s0, s0, s1
	v_mul_u32_u24_e32 v3, s0, v51
	s_mov_b32 s0, exec_lo
	s_delay_alu instid0(VALU_DEP_1) | instskip(NEXT) | instid1(VALU_DEP_1)
	v_add3_u32 v0, v3, v2, v0
	v_lshl_add_u32 v0, v0, 4, 0x268
	s_waitcnt vmcnt(0)
	v_cmpx_ne_u32_e32 18, v1
	s_cbranch_execz .LBB18_130
; %bb.129:
	v_lshl_add_u32 v9, v1, 4, 0
	s_clause 0x1
	scratch_load_b128 v[1:4], v69, off
	scratch_load_b128 v[5:8], v9, off offset:-16
	s_waitcnt vmcnt(1)
	ds_store_2addr_b64 v0, v[1:2], v[3:4] offset1:1
	s_waitcnt vmcnt(0)
	s_clause 0x1
	scratch_store_b128 v69, v[5:8], off
	scratch_store_b128 v9, v[1:4], off offset:-16
.LBB18_130:
	s_or_b32 exec_lo, exec_lo, s0
	v_dual_mov_b32 v1, s16 :: v_dual_mov_b32 v2, s17
	s_mov_b32 s0, exec_lo
	flat_load_b32 v1, v[1:2] offset:64
	s_waitcnt vmcnt(0) lgkmcnt(0)
	v_cmpx_ne_u32_e32 17, v1
	s_cbranch_execz .LBB18_132
; %bb.131:
	v_lshl_add_u32 v9, v1, 4, 0
	s_clause 0x1
	scratch_load_b128 v[1:4], v68, off
	scratch_load_b128 v[5:8], v9, off offset:-16
	s_waitcnt vmcnt(1)
	ds_store_2addr_b64 v0, v[1:2], v[3:4] offset1:1
	s_waitcnt vmcnt(0)
	s_clause 0x1
	scratch_store_b128 v68, v[5:8], off
	scratch_store_b128 v9, v[1:4], off offset:-16
.LBB18_132:
	s_or_b32 exec_lo, exec_lo, s0
	v_dual_mov_b32 v1, s16 :: v_dual_mov_b32 v2, s17
	s_mov_b32 s0, exec_lo
	flat_load_b32 v1, v[1:2] offset:60
	s_waitcnt vmcnt(0) lgkmcnt(0)
	;; [unrolled: 19-line block ×16, first 2 shown]
	v_cmpx_ne_u32_e32 2, v1
	s_cbranch_execz .LBB18_162
; %bb.161:
	v_lshl_add_u32 v9, v1, 4, 0
	s_clause 0x1
	scratch_load_b128 v[1:4], v58, off
	scratch_load_b128 v[5:8], v9, off offset:-16
	s_waitcnt vmcnt(1)
	ds_store_2addr_b64 v0, v[1:2], v[3:4] offset1:1
	s_waitcnt vmcnt(0)
	s_clause 0x1
	scratch_store_b128 v58, v[5:8], off
	scratch_store_b128 v9, v[1:4], off offset:-16
.LBB18_162:
	s_or_b32 exec_lo, exec_lo, s0
	v_dual_mov_b32 v1, s16 :: v_dual_mov_b32 v2, s17
	s_mov_b32 s0, exec_lo
	flat_load_b32 v1, v[1:2]
	s_waitcnt vmcnt(0) lgkmcnt(0)
	v_cmpx_ne_u32_e32 1, v1
	s_cbranch_execz .LBB18_164
; %bb.163:
	v_lshl_add_u32 v9, v1, 4, 0
	scratch_load_b128 v[1:4], off, off
	scratch_load_b128 v[5:8], v9, off offset:-16
	s_waitcnt vmcnt(1)
	ds_store_2addr_b64 v0, v[1:2], v[3:4] offset1:1
	s_waitcnt vmcnt(0)
	scratch_store_b128 off, v[5:8], off
	scratch_store_b128 v9, v[1:4], off offset:-16
.LBB18_164:
	s_or_b32 exec_lo, exec_lo, s0
.LBB18_165:
	scratch_load_b128 v[0:3], off, off
	s_clause 0x11
	scratch_load_b128 v[4:7], v58, off
	scratch_load_b128 v[8:11], v55, off
	;; [unrolled: 1-line block ×18, first 2 shown]
	s_waitcnt vmcnt(18)
	global_store_b128 v[13:14], v[0:3], off
	s_waitcnt vmcnt(17)
	global_store_b128 v[15:16], v[4:7], off
	;; [unrolled: 2-line block ×19, first 2 shown]
	s_endpgm
	.section	.rodata,"a",@progbits
	.p2align	6, 0x0
	.amdhsa_kernel _ZN9rocsolver6v33100L18getri_kernel_smallILi19E19rocblas_complex_numIdEPS3_EEvT1_iilPiilS6_bb
		.amdhsa_group_segment_fixed_size 1640
		.amdhsa_private_segment_fixed_size 320
		.amdhsa_kernarg_size 60
		.amdhsa_user_sgpr_count 15
		.amdhsa_user_sgpr_dispatch_ptr 1
		.amdhsa_user_sgpr_queue_ptr 0
		.amdhsa_user_sgpr_kernarg_segment_ptr 1
		.amdhsa_user_sgpr_dispatch_id 0
		.amdhsa_user_sgpr_private_segment_size 0
		.amdhsa_wavefront_size32 1
		.amdhsa_uses_dynamic_stack 0
		.amdhsa_enable_private_segment 1
		.amdhsa_system_sgpr_workgroup_id_x 1
		.amdhsa_system_sgpr_workgroup_id_y 0
		.amdhsa_system_sgpr_workgroup_id_z 0
		.amdhsa_system_sgpr_workgroup_info 0
		.amdhsa_system_vgpr_workitem_id 2
		.amdhsa_next_free_vgpr 130
		.amdhsa_next_free_sgpr 22
		.amdhsa_reserve_vcc 1
		.amdhsa_float_round_mode_32 0
		.amdhsa_float_round_mode_16_64 0
		.amdhsa_float_denorm_mode_32 3
		.amdhsa_float_denorm_mode_16_64 3
		.amdhsa_dx10_clamp 1
		.amdhsa_ieee_mode 1
		.amdhsa_fp16_overflow 0
		.amdhsa_workgroup_processor_mode 1
		.amdhsa_memory_ordered 1
		.amdhsa_forward_progress 0
		.amdhsa_shared_vgpr_count 0
		.amdhsa_exception_fp_ieee_invalid_op 0
		.amdhsa_exception_fp_denorm_src 0
		.amdhsa_exception_fp_ieee_div_zero 0
		.amdhsa_exception_fp_ieee_overflow 0
		.amdhsa_exception_fp_ieee_underflow 0
		.amdhsa_exception_fp_ieee_inexact 0
		.amdhsa_exception_int_div_zero 0
	.end_amdhsa_kernel
	.section	.text._ZN9rocsolver6v33100L18getri_kernel_smallILi19E19rocblas_complex_numIdEPS3_EEvT1_iilPiilS6_bb,"axG",@progbits,_ZN9rocsolver6v33100L18getri_kernel_smallILi19E19rocblas_complex_numIdEPS3_EEvT1_iilPiilS6_bb,comdat
.Lfunc_end18:
	.size	_ZN9rocsolver6v33100L18getri_kernel_smallILi19E19rocblas_complex_numIdEPS3_EEvT1_iilPiilS6_bb, .Lfunc_end18-_ZN9rocsolver6v33100L18getri_kernel_smallILi19E19rocblas_complex_numIdEPS3_EEvT1_iilPiilS6_bb
                                        ; -- End function
	.section	.AMDGPU.csdata,"",@progbits
; Kernel info:
; codeLenInByte = 23768
; NumSgprs: 24
; NumVgprs: 130
; ScratchSize: 320
; MemoryBound: 0
; FloatMode: 240
; IeeeMode: 1
; LDSByteSize: 1640 bytes/workgroup (compile time only)
; SGPRBlocks: 2
; VGPRBlocks: 16
; NumSGPRsForWavesPerEU: 24
; NumVGPRsForWavesPerEU: 130
; Occupancy: 10
; WaveLimiterHint : 1
; COMPUTE_PGM_RSRC2:SCRATCH_EN: 1
; COMPUTE_PGM_RSRC2:USER_SGPR: 15
; COMPUTE_PGM_RSRC2:TRAP_HANDLER: 0
; COMPUTE_PGM_RSRC2:TGID_X_EN: 1
; COMPUTE_PGM_RSRC2:TGID_Y_EN: 0
; COMPUTE_PGM_RSRC2:TGID_Z_EN: 0
; COMPUTE_PGM_RSRC2:TIDIG_COMP_CNT: 2
	.section	.text._ZN9rocsolver6v33100L18getri_kernel_smallILi20E19rocblas_complex_numIdEPS3_EEvT1_iilPiilS6_bb,"axG",@progbits,_ZN9rocsolver6v33100L18getri_kernel_smallILi20E19rocblas_complex_numIdEPS3_EEvT1_iilPiilS6_bb,comdat
	.globl	_ZN9rocsolver6v33100L18getri_kernel_smallILi20E19rocblas_complex_numIdEPS3_EEvT1_iilPiilS6_bb ; -- Begin function _ZN9rocsolver6v33100L18getri_kernel_smallILi20E19rocblas_complex_numIdEPS3_EEvT1_iilPiilS6_bb
	.p2align	8
	.type	_ZN9rocsolver6v33100L18getri_kernel_smallILi20E19rocblas_complex_numIdEPS3_EEvT1_iilPiilS6_bb,@function
_ZN9rocsolver6v33100L18getri_kernel_smallILi20E19rocblas_complex_numIdEPS3_EEvT1_iilPiilS6_bb: ; @_ZN9rocsolver6v33100L18getri_kernel_smallILi20E19rocblas_complex_numIdEPS3_EEvT1_iilPiilS6_bb
; %bb.0:
	v_and_b32_e32 v53, 0x3ff, v0
	s_mov_b32 s4, exec_lo
	s_delay_alu instid0(VALU_DEP_1)
	v_cmpx_gt_u32_e32 20, v53
	s_cbranch_execz .LBB19_94
; %bb.1:
	s_mov_b32 s18, s15
	s_clause 0x2
	s_load_b32 s21, s[2:3], 0x38
	s_load_b128 s[12:15], s[2:3], 0x10
	s_load_b128 s[4:7], s[2:3], 0x28
                                        ; implicit-def: $sgpr16_sgpr17
	s_waitcnt lgkmcnt(0)
	s_bitcmp1_b32 s21, 8
	s_cselect_b32 s20, -1, 0
	s_bfe_u32 s8, s21, 0x10008
	s_ashr_i32 s19, s18, 31
	s_cmp_eq_u32 s8, 0
	s_cbranch_scc1 .LBB19_3
; %bb.2:
	s_load_b32 s8, s[2:3], 0x20
	s_mul_i32 s5, s18, s5
	s_mul_hi_u32 s9, s18, s4
	s_mul_i32 s10, s19, s4
	s_add_i32 s5, s9, s5
	s_mul_i32 s4, s18, s4
	s_add_i32 s5, s5, s10
	s_delay_alu instid0(SALU_CYCLE_1)
	s_lshl_b64 s[4:5], s[4:5], 2
	s_waitcnt lgkmcnt(0)
	s_ashr_i32 s9, s8, 31
	s_add_u32 s10, s14, s4
	s_addc_u32 s11, s15, s5
	s_lshl_b64 s[4:5], s[8:9], 2
	s_delay_alu instid0(SALU_CYCLE_1)
	s_add_u32 s16, s10, s4
	s_addc_u32 s17, s11, s5
.LBB19_3:
	s_load_b128 s[8:11], s[2:3], 0x0
	s_mul_i32 s2, s18, s13
	s_mul_hi_u32 s3, s18, s12
	s_mul_i32 s4, s19, s12
	s_add_i32 s3, s3, s2
	s_mul_i32 s2, s18, s12
	s_add_i32 s3, s3, s4
	v_lshlrev_b32_e32 v73, 4, v53
	s_lshl_b64 s[2:3], s[2:3], 4
	s_waitcnt lgkmcnt(0)
	v_add3_u32 v5, s11, s11, v53
	s_ashr_i32 s5, s10, 31
	s_mov_b32 s4, s10
	s_add_u32 s8, s8, s2
	s_addc_u32 s9, s9, s3
	v_add_nc_u32_e32 v7, s11, v5
	s_lshl_b64 s[2:3], s[4:5], 4
	v_ashrrev_i32_e32 v6, 31, v5
	s_add_u32 s2, s8, s2
	s_addc_u32 s3, s9, s3
	v_add_nc_u32_e32 v9, s11, v7
	v_add_co_u32 v13, s4, s2, v73
	v_ashrrev_i32_e32 v8, 31, v7
	s_mov_b32 s12, s11
	s_delay_alu instid0(VALU_DEP_3) | instskip(SKIP_3) | instid1(VALU_DEP_3)
	v_add_nc_u32_e32 v21, s11, v9
	s_ashr_i32 s13, s11, 31
	v_add_co_ci_u32_e64 v14, null, s3, 0, s4
	v_lshlrev_b64 v[5:6], 4, v[5:6]
	v_add_nc_u32_e32 v23, s11, v21
	s_lshl_b64 s[4:5], s[12:13], 4
	v_ashrrev_i32_e32 v10, 31, v9
	v_add_co_u32 v15, vcc_lo, v13, s4
	s_delay_alu instid0(VALU_DEP_3) | instskip(SKIP_3) | instid1(VALU_DEP_4)
	v_add_nc_u32_e32 v25, s11, v23
	v_lshlrev_b64 v[19:20], 4, v[7:8]
	v_ashrrev_i32_e32 v22, 31, v21
	v_add_co_ci_u32_e32 v16, vcc_lo, s5, v14, vcc_lo
	v_add_nc_u32_e32 v27, s11, v25
	v_add_co_u32 v17, vcc_lo, s2, v5
	v_lshlrev_b64 v[28:29], 4, v[9:10]
	v_ashrrev_i32_e32 v24, 31, v23
	s_delay_alu instid0(VALU_DEP_4) | instskip(SKIP_2) | instid1(VALU_DEP_3)
	v_add_nc_u32_e32 v30, s11, v27
	v_add_co_ci_u32_e32 v18, vcc_lo, s3, v6, vcc_lo
	v_add_co_u32 v19, vcc_lo, s2, v19
	v_add_nc_u32_e32 v33, s11, v30
	v_lshlrev_b64 v[31:32], 4, v[21:22]
	v_add_co_ci_u32_e32 v20, vcc_lo, s3, v20, vcc_lo
	v_add_co_u32 v21, vcc_lo, s2, v28
	s_delay_alu instid0(VALU_DEP_4) | instskip(SKIP_3) | instid1(VALU_DEP_4)
	v_add_nc_u32_e32 v35, s11, v33
	v_lshlrev_b64 v[36:37], 4, v[23:24]
	v_ashrrev_i32_e32 v26, 31, v25
	v_add_co_ci_u32_e32 v22, vcc_lo, s3, v29, vcc_lo
	v_add_nc_u32_e32 v38, s11, v35
	v_add_co_u32 v23, vcc_lo, s2, v31
	v_ashrrev_i32_e32 v28, 31, v27
	v_add_co_ci_u32_e32 v24, vcc_lo, s3, v32, vcc_lo
	s_delay_alu instid0(VALU_DEP_4) | instskip(SKIP_3) | instid1(VALU_DEP_4)
	v_add_nc_u32_e32 v41, s11, v38
	v_lshlrev_b64 v[39:40], 4, v[25:26]
	v_add_co_u32 v25, vcc_lo, s2, v36
	v_add_co_ci_u32_e32 v26, vcc_lo, s3, v37, vcc_lo
	v_add_nc_u32_e32 v43, s11, v41
	v_lshlrev_b64 v[36:37], 4, v[27:28]
	v_ashrrev_i32_e32 v31, 31, v30
	v_add_co_u32 v27, vcc_lo, s2, v39
	v_ashrrev_i32_e32 v34, 31, v33
	v_add_nc_u32_e32 v45, s11, v43
	v_add_co_ci_u32_e32 v28, vcc_lo, s3, v40, vcc_lo
	v_lshlrev_b64 v[31:32], 4, v[30:31]
	v_add_co_u32 v29, vcc_lo, s2, v36
	v_ashrrev_i32_e32 v36, 31, v35
	v_lshlrev_b64 v[33:34], 4, v[33:34]
	v_ashrrev_i32_e32 v39, 31, v38
	v_add_nc_u32_e32 v47, s11, v45
	v_add_co_ci_u32_e32 v30, vcc_lo, s3, v37, vcc_lo
	v_add_co_u32 v31, vcc_lo, s2, v31
	v_lshlrev_b64 v[35:36], 4, v[35:36]
	v_ashrrev_i32_e32 v42, 31, v41
	v_add_co_ci_u32_e32 v32, vcc_lo, s3, v32, vcc_lo
	v_add_co_u32 v33, vcc_lo, s2, v33
	v_lshlrev_b64 v[37:38], 4, v[38:39]
	v_add_nc_u32_e32 v49, s11, v47
	v_ashrrev_i32_e32 v44, 31, v43
	v_add_co_ci_u32_e32 v34, vcc_lo, s3, v34, vcc_lo
	v_add_co_u32 v35, vcc_lo, s2, v35
	v_lshlrev_b64 v[39:40], 4, v[41:42]
	v_ashrrev_i32_e32 v46, 31, v45
	v_add_co_ci_u32_e32 v36, vcc_lo, s3, v36, vcc_lo
	v_add_nc_u32_e32 v51, s11, v49
	v_add_co_u32 v37, vcc_lo, s2, v37
	v_lshlrev_b64 v[41:42], 4, v[43:44]
	v_ashrrev_i32_e32 v48, 31, v47
	v_add_co_ci_u32_e32 v38, vcc_lo, s3, v38, vcc_lo
	v_add_co_u32 v39, vcc_lo, s2, v39
	v_lshlrev_b64 v[43:44], 4, v[45:46]
	v_ashrrev_i32_e32 v50, 31, v49
	v_add_nc_u32_e32 v70, s11, v51
	v_add_co_ci_u32_e32 v40, vcc_lo, s3, v40, vcc_lo
	v_add_co_u32 v41, vcc_lo, s2, v41
	v_lshlrev_b64 v[45:46], 4, v[47:48]
	v_ashrrev_i32_e32 v52, 31, v51
	s_clause 0x6
	global_load_b128 v[1:4], v73, s[2:3]
	global_load_b128 v[5:8], v[15:16], off
	global_load_b128 v[9:12], v[17:18], off
	;; [unrolled: 1-line block ×6, first 2 shown]
	v_add_co_ci_u32_e32 v42, vcc_lo, s3, v42, vcc_lo
	s_clause 0x1
	global_load_b128 v[74:77], v[27:28], off
	global_load_b128 v[78:81], v[29:30], off
	v_add_co_u32 v43, vcc_lo, s2, v43
	v_lshlrev_b64 v[47:48], 4, v[49:50]
	v_ashrrev_i32_e32 v71, 31, v70
	v_add_co_ci_u32_e32 v44, vcc_lo, s3, v44, vcc_lo
	v_add_co_u32 v45, vcc_lo, s2, v45
	v_lshlrev_b64 v[49:50], 4, v[51:52]
	v_add_co_ci_u32_e32 v46, vcc_lo, s3, v46, vcc_lo
	v_lshlrev_b64 v[70:71], 4, v[70:71]
	v_add_co_u32 v47, vcc_lo, s2, v47
	v_add_co_ci_u32_e32 v48, vcc_lo, s3, v48, vcc_lo
	v_add_co_u32 v49, vcc_lo, s2, v49
	v_add_co_ci_u32_e32 v50, vcc_lo, s3, v50, vcc_lo
	;; [unrolled: 2-line block ×3, first 2 shown]
	s_clause 0xa
	global_load_b128 v[82:85], v[31:32], off
	global_load_b128 v[86:89], v[33:34], off
	;; [unrolled: 1-line block ×11, first 2 shown]
	s_movk_i32 s2, 0x50
	s_movk_i32 s3, 0x60
	s_bitcmp0_b32 s21, 0
	s_waitcnt vmcnt(19)
	scratch_store_b128 off, v[1:4], off
	s_waitcnt vmcnt(18)
	scratch_store_b128 off, v[5:8], off offset:16
	s_waitcnt vmcnt(17)
	scratch_store_b128 off, v[9:12], off offset:32
	s_waitcnt vmcnt(16)
	scratch_store_b128 off, v[54:57], off offset:48
	s_waitcnt vmcnt(15)
	scratch_store_b128 off, v[58:61], off offset:64
	s_waitcnt vmcnt(14)
	scratch_store_b128 off, v[62:65], off offset:80
	s_waitcnt vmcnt(13)
	scratch_store_b128 off, v[66:69], off offset:96
	s_waitcnt vmcnt(12)
	scratch_store_b128 off, v[74:77], off offset:112
	v_add_nc_u32_e64 v56, s2, 0
	s_movk_i32 s2, 0x70
	v_add_nc_u32_e64 v54, s3, 0
	s_movk_i32 s3, 0x80
	;; [unrolled: 2-line block ×5, first 2 shown]
	v_add_nc_u32_e64 v64, s3, 0
	v_add_nc_u32_e64 v63, s2, 0
	s_movk_i32 s2, 0xc0
	s_movk_i32 s3, 0xd0
	v_add_nc_u32_e64 v66, s2, 0
	v_add_nc_u32_e64 v65, s3, 0
	s_movk_i32 s2, 0xe0
	s_movk_i32 s3, 0xf0
	;; [unrolled: 4-line block ×4, first 2 shown]
	v_add_nc_u32_e64 v60, 0, 16
	v_add_nc_u32_e64 v58, 0, 32
	;; [unrolled: 1-line block ×6, first 2 shown]
	s_mov_b32 s3, -1
	s_waitcnt vmcnt(11)
	scratch_store_b128 off, v[78:81], off offset:128
	s_waitcnt vmcnt(10)
	scratch_store_b128 off, v[82:85], off offset:144
	;; [unrolled: 2-line block ×12, first 2 shown]
	s_cbranch_scc1 .LBB19_92
; %bb.4:
	v_cmp_eq_u32_e64 s2, 0, v53
	s_delay_alu instid0(VALU_DEP_1)
	s_and_saveexec_b32 s3, s2
	s_cbranch_execz .LBB19_6
; %bb.5:
	v_mov_b32_e32 v1, 0
	ds_store_b32 v1, v1 offset:640
.LBB19_6:
	s_or_b32 exec_lo, exec_lo, s3
	s_waitcnt lgkmcnt(0)
	s_waitcnt_vscnt null, 0x0
	s_barrier
	buffer_gl0_inv
	scratch_load_b128 v[1:4], v73, off
	s_waitcnt vmcnt(0)
	v_cmp_eq_f64_e32 vcc_lo, 0, v[1:2]
	v_cmp_eq_f64_e64 s3, 0, v[3:4]
	s_delay_alu instid0(VALU_DEP_1) | instskip(NEXT) | instid1(SALU_CYCLE_1)
	s_and_b32 s3, vcc_lo, s3
	s_and_saveexec_b32 s4, s3
	s_cbranch_execz .LBB19_10
; %bb.7:
	v_mov_b32_e32 v1, 0
	s_mov_b32 s5, 0
	ds_load_b32 v2, v1 offset:640
	s_waitcnt lgkmcnt(0)
	v_readfirstlane_b32 s3, v2
	v_add_nc_u32_e32 v2, 1, v53
	s_delay_alu instid0(VALU_DEP_2) | instskip(NEXT) | instid1(VALU_DEP_1)
	s_cmp_eq_u32 s3, 0
	v_cmp_gt_i32_e32 vcc_lo, s3, v2
	s_cselect_b32 s8, -1, 0
	s_delay_alu instid0(SALU_CYCLE_1) | instskip(NEXT) | instid1(SALU_CYCLE_1)
	s_or_b32 s8, s8, vcc_lo
	s_and_b32 exec_lo, exec_lo, s8
	s_cbranch_execz .LBB19_10
; %bb.8:
	v_mov_b32_e32 v3, s3
.LBB19_9:                               ; =>This Inner Loop Header: Depth=1
	ds_cmpstore_rtn_b32 v3, v1, v2, v3 offset:640
	s_waitcnt lgkmcnt(0)
	v_cmp_ne_u32_e32 vcc_lo, 0, v3
	v_cmp_le_i32_e64 s3, v3, v2
	s_delay_alu instid0(VALU_DEP_1) | instskip(NEXT) | instid1(SALU_CYCLE_1)
	s_and_b32 s3, vcc_lo, s3
	s_and_b32 s3, exec_lo, s3
	s_delay_alu instid0(SALU_CYCLE_1) | instskip(NEXT) | instid1(SALU_CYCLE_1)
	s_or_b32 s5, s3, s5
	s_and_not1_b32 exec_lo, exec_lo, s5
	s_cbranch_execnz .LBB19_9
.LBB19_10:
	s_or_b32 exec_lo, exec_lo, s4
	v_mov_b32_e32 v1, 0
	s_barrier
	buffer_gl0_inv
	ds_load_b32 v2, v1 offset:640
	s_and_saveexec_b32 s3, s2
	s_cbranch_execz .LBB19_12
; %bb.11:
	s_lshl_b64 s[4:5], s[18:19], 2
	s_delay_alu instid0(SALU_CYCLE_1)
	s_add_u32 s4, s6, s4
	s_addc_u32 s5, s7, s5
	s_waitcnt lgkmcnt(0)
	global_store_b32 v1, v2, s[4:5]
.LBB19_12:
	s_or_b32 exec_lo, exec_lo, s3
	s_waitcnt lgkmcnt(0)
	v_cmp_ne_u32_e32 vcc_lo, 0, v2
	s_mov_b32 s3, 0
	s_cbranch_vccnz .LBB19_92
; %bb.13:
	v_add_nc_u32_e32 v74, 0, v73
                                        ; implicit-def: $vgpr9_vgpr10
	scratch_load_b128 v[1:4], v74, off
	s_waitcnt vmcnt(0)
	v_mov_b32_e32 v5, v1
	v_cmp_gt_f64_e32 vcc_lo, 0, v[1:2]
	v_xor_b32_e32 v6, 0x80000000, v2
	v_xor_b32_e32 v7, 0x80000000, v4
	s_delay_alu instid0(VALU_DEP_2) | instskip(SKIP_1) | instid1(VALU_DEP_3)
	v_cndmask_b32_e32 v6, v2, v6, vcc_lo
	v_cmp_gt_f64_e32 vcc_lo, 0, v[3:4]
	v_dual_cndmask_b32 v8, v4, v7 :: v_dual_mov_b32 v7, v3
	s_delay_alu instid0(VALU_DEP_1) | instskip(SKIP_1) | instid1(SALU_CYCLE_1)
	v_cmp_ngt_f64_e32 vcc_lo, v[5:6], v[7:8]
                                        ; implicit-def: $vgpr5_vgpr6
	s_and_saveexec_b32 s3, vcc_lo
	s_xor_b32 s3, exec_lo, s3
	s_cbranch_execz .LBB19_15
; %bb.14:
	v_div_scale_f64 v[5:6], null, v[3:4], v[3:4], v[1:2]
	v_div_scale_f64 v[11:12], vcc_lo, v[1:2], v[3:4], v[1:2]
	s_delay_alu instid0(VALU_DEP_2) | instskip(SKIP_2) | instid1(VALU_DEP_1)
	v_rcp_f64_e32 v[7:8], v[5:6]
	s_waitcnt_depctr 0xfff
	v_fma_f64 v[9:10], -v[5:6], v[7:8], 1.0
	v_fma_f64 v[7:8], v[7:8], v[9:10], v[7:8]
	s_delay_alu instid0(VALU_DEP_1) | instskip(NEXT) | instid1(VALU_DEP_1)
	v_fma_f64 v[9:10], -v[5:6], v[7:8], 1.0
	v_fma_f64 v[7:8], v[7:8], v[9:10], v[7:8]
	s_delay_alu instid0(VALU_DEP_1) | instskip(NEXT) | instid1(VALU_DEP_1)
	v_mul_f64 v[9:10], v[11:12], v[7:8]
	v_fma_f64 v[5:6], -v[5:6], v[9:10], v[11:12]
	s_delay_alu instid0(VALU_DEP_1) | instskip(NEXT) | instid1(VALU_DEP_1)
	v_div_fmas_f64 v[5:6], v[5:6], v[7:8], v[9:10]
	v_div_fixup_f64 v[5:6], v[5:6], v[3:4], v[1:2]
	s_delay_alu instid0(VALU_DEP_1) | instskip(NEXT) | instid1(VALU_DEP_1)
	v_fma_f64 v[1:2], v[1:2], v[5:6], v[3:4]
	v_div_scale_f64 v[3:4], null, v[1:2], v[1:2], 1.0
	v_div_scale_f64 v[11:12], vcc_lo, 1.0, v[1:2], 1.0
	s_delay_alu instid0(VALU_DEP_2) | instskip(SKIP_2) | instid1(VALU_DEP_1)
	v_rcp_f64_e32 v[7:8], v[3:4]
	s_waitcnt_depctr 0xfff
	v_fma_f64 v[9:10], -v[3:4], v[7:8], 1.0
	v_fma_f64 v[7:8], v[7:8], v[9:10], v[7:8]
	s_delay_alu instid0(VALU_DEP_1) | instskip(NEXT) | instid1(VALU_DEP_1)
	v_fma_f64 v[9:10], -v[3:4], v[7:8], 1.0
	v_fma_f64 v[7:8], v[7:8], v[9:10], v[7:8]
	s_delay_alu instid0(VALU_DEP_1) | instskip(NEXT) | instid1(VALU_DEP_1)
	v_mul_f64 v[9:10], v[11:12], v[7:8]
	v_fma_f64 v[3:4], -v[3:4], v[9:10], v[11:12]
	s_delay_alu instid0(VALU_DEP_1) | instskip(NEXT) | instid1(VALU_DEP_1)
	v_div_fmas_f64 v[3:4], v[3:4], v[7:8], v[9:10]
	v_div_fixup_f64 v[7:8], v[3:4], v[1:2], 1.0
                                        ; implicit-def: $vgpr1_vgpr2
	s_delay_alu instid0(VALU_DEP_1) | instskip(SKIP_1) | instid1(VALU_DEP_2)
	v_mul_f64 v[5:6], v[5:6], v[7:8]
	v_xor_b32_e32 v8, 0x80000000, v8
	v_xor_b32_e32 v10, 0x80000000, v6
	s_delay_alu instid0(VALU_DEP_3)
	v_mov_b32_e32 v9, v5
.LBB19_15:
	s_and_not1_saveexec_b32 s3, s3
	s_cbranch_execz .LBB19_17
; %bb.16:
	v_div_scale_f64 v[5:6], null, v[1:2], v[1:2], v[3:4]
	v_div_scale_f64 v[11:12], vcc_lo, v[3:4], v[1:2], v[3:4]
	s_delay_alu instid0(VALU_DEP_2) | instskip(SKIP_2) | instid1(VALU_DEP_1)
	v_rcp_f64_e32 v[7:8], v[5:6]
	s_waitcnt_depctr 0xfff
	v_fma_f64 v[9:10], -v[5:6], v[7:8], 1.0
	v_fma_f64 v[7:8], v[7:8], v[9:10], v[7:8]
	s_delay_alu instid0(VALU_DEP_1) | instskip(NEXT) | instid1(VALU_DEP_1)
	v_fma_f64 v[9:10], -v[5:6], v[7:8], 1.0
	v_fma_f64 v[7:8], v[7:8], v[9:10], v[7:8]
	s_delay_alu instid0(VALU_DEP_1) | instskip(NEXT) | instid1(VALU_DEP_1)
	v_mul_f64 v[9:10], v[11:12], v[7:8]
	v_fma_f64 v[5:6], -v[5:6], v[9:10], v[11:12]
	s_delay_alu instid0(VALU_DEP_1) | instskip(NEXT) | instid1(VALU_DEP_1)
	v_div_fmas_f64 v[5:6], v[5:6], v[7:8], v[9:10]
	v_div_fixup_f64 v[7:8], v[5:6], v[1:2], v[3:4]
	s_delay_alu instid0(VALU_DEP_1) | instskip(NEXT) | instid1(VALU_DEP_1)
	v_fma_f64 v[1:2], v[3:4], v[7:8], v[1:2]
	v_div_scale_f64 v[3:4], null, v[1:2], v[1:2], 1.0
	s_delay_alu instid0(VALU_DEP_1) | instskip(SKIP_2) | instid1(VALU_DEP_1)
	v_rcp_f64_e32 v[5:6], v[3:4]
	s_waitcnt_depctr 0xfff
	v_fma_f64 v[9:10], -v[3:4], v[5:6], 1.0
	v_fma_f64 v[5:6], v[5:6], v[9:10], v[5:6]
	s_delay_alu instid0(VALU_DEP_1) | instskip(NEXT) | instid1(VALU_DEP_1)
	v_fma_f64 v[9:10], -v[3:4], v[5:6], 1.0
	v_fma_f64 v[5:6], v[5:6], v[9:10], v[5:6]
	v_div_scale_f64 v[9:10], vcc_lo, 1.0, v[1:2], 1.0
	s_delay_alu instid0(VALU_DEP_1) | instskip(NEXT) | instid1(VALU_DEP_1)
	v_mul_f64 v[11:12], v[9:10], v[5:6]
	v_fma_f64 v[3:4], -v[3:4], v[11:12], v[9:10]
	s_delay_alu instid0(VALU_DEP_1) | instskip(NEXT) | instid1(VALU_DEP_1)
	v_div_fmas_f64 v[3:4], v[3:4], v[5:6], v[11:12]
	v_div_fixup_f64 v[5:6], v[3:4], v[1:2], 1.0
	s_delay_alu instid0(VALU_DEP_1)
	v_mul_f64 v[7:8], v[7:8], -v[5:6]
	v_xor_b32_e32 v10, 0x80000000, v6
	v_mov_b32_e32 v9, v5
.LBB19_17:
	s_or_b32 exec_lo, exec_lo, s3
	scratch_store_b128 v74, v[5:8], off
	scratch_load_b128 v[1:4], v60, off
	v_xor_b32_e32 v12, 0x80000000, v8
	v_mov_b32_e32 v11, v7
	v_add_nc_u32_e32 v5, 0x140, v73
	ds_store_b128 v73, v[9:12]
	s_waitcnt vmcnt(0)
	ds_store_b128 v73, v[1:4] offset:320
	s_waitcnt lgkmcnt(0)
	s_waitcnt_vscnt null, 0x0
	s_barrier
	buffer_gl0_inv
	s_and_saveexec_b32 s3, s2
	s_cbranch_execz .LBB19_19
; %bb.18:
	scratch_load_b128 v[1:4], v74, off
	ds_load_b128 v[6:9], v5
	v_mov_b32_e32 v10, 0
	ds_load_b128 v[75:78], v10 offset:16
	s_waitcnt vmcnt(0) lgkmcnt(1)
	v_mul_f64 v[10:11], v[6:7], v[3:4]
	v_mul_f64 v[3:4], v[8:9], v[3:4]
	s_delay_alu instid0(VALU_DEP_2) | instskip(NEXT) | instid1(VALU_DEP_2)
	v_fma_f64 v[8:9], v[8:9], v[1:2], v[10:11]
	v_fma_f64 v[1:2], v[6:7], v[1:2], -v[3:4]
	s_delay_alu instid0(VALU_DEP_2) | instskip(NEXT) | instid1(VALU_DEP_2)
	v_add_f64 v[3:4], v[8:9], 0
	v_add_f64 v[1:2], v[1:2], 0
	s_waitcnt lgkmcnt(0)
	s_delay_alu instid0(VALU_DEP_2) | instskip(NEXT) | instid1(VALU_DEP_2)
	v_mul_f64 v[6:7], v[3:4], v[77:78]
	v_mul_f64 v[8:9], v[1:2], v[77:78]
	s_delay_alu instid0(VALU_DEP_2) | instskip(NEXT) | instid1(VALU_DEP_2)
	v_fma_f64 v[1:2], v[1:2], v[75:76], -v[6:7]
	v_fma_f64 v[3:4], v[3:4], v[75:76], v[8:9]
	scratch_store_b128 off, v[1:4], off offset:16
.LBB19_19:
	s_or_b32 exec_lo, exec_lo, s3
	s_waitcnt_vscnt null, 0x0
	s_barrier
	buffer_gl0_inv
	scratch_load_b128 v[1:4], v58, off
	s_mov_b32 s3, exec_lo
	s_waitcnt vmcnt(0)
	ds_store_b128 v5, v[1:4]
	s_waitcnt lgkmcnt(0)
	s_barrier
	buffer_gl0_inv
	v_cmpx_gt_u32_e32 2, v53
	s_cbranch_execz .LBB19_23
; %bb.20:
	scratch_load_b128 v[1:4], v74, off
	ds_load_b128 v[6:9], v5
	s_waitcnt vmcnt(0) lgkmcnt(0)
	v_mul_f64 v[10:11], v[8:9], v[3:4]
	v_mul_f64 v[3:4], v[6:7], v[3:4]
	s_delay_alu instid0(VALU_DEP_2) | instskip(NEXT) | instid1(VALU_DEP_2)
	v_fma_f64 v[6:7], v[6:7], v[1:2], -v[10:11]
	v_fma_f64 v[3:4], v[8:9], v[1:2], v[3:4]
	s_delay_alu instid0(VALU_DEP_2) | instskip(NEXT) | instid1(VALU_DEP_2)
	v_add_f64 v[1:2], v[6:7], 0
	v_add_f64 v[3:4], v[3:4], 0
	s_and_saveexec_b32 s4, s2
	s_cbranch_execz .LBB19_22
; %bb.21:
	scratch_load_b128 v[6:9], off, off offset:16
	v_mov_b32_e32 v10, 0
	ds_load_b128 v[75:78], v10 offset:336
	s_waitcnt vmcnt(0) lgkmcnt(0)
	v_mul_f64 v[10:11], v[75:76], v[8:9]
	v_mul_f64 v[8:9], v[77:78], v[8:9]
	s_delay_alu instid0(VALU_DEP_2) | instskip(NEXT) | instid1(VALU_DEP_2)
	v_fma_f64 v[10:11], v[77:78], v[6:7], v[10:11]
	v_fma_f64 v[6:7], v[75:76], v[6:7], -v[8:9]
	s_delay_alu instid0(VALU_DEP_2) | instskip(NEXT) | instid1(VALU_DEP_2)
	v_add_f64 v[3:4], v[3:4], v[10:11]
	v_add_f64 v[1:2], v[1:2], v[6:7]
.LBB19_22:
	s_or_b32 exec_lo, exec_lo, s4
	v_mov_b32_e32 v6, 0
	ds_load_b128 v[6:9], v6 offset:32
	s_waitcnt lgkmcnt(0)
	v_mul_f64 v[10:11], v[3:4], v[8:9]
	v_mul_f64 v[8:9], v[1:2], v[8:9]
	s_delay_alu instid0(VALU_DEP_2) | instskip(NEXT) | instid1(VALU_DEP_2)
	v_fma_f64 v[1:2], v[1:2], v[6:7], -v[10:11]
	v_fma_f64 v[3:4], v[3:4], v[6:7], v[8:9]
	scratch_store_b128 off, v[1:4], off offset:32
.LBB19_23:
	s_or_b32 exec_lo, exec_lo, s3
	s_waitcnt_vscnt null, 0x0
	s_barrier
	buffer_gl0_inv
	scratch_load_b128 v[1:4], v57, off
	v_add_nc_u32_e32 v6, -1, v53
	s_mov_b32 s2, exec_lo
	s_waitcnt vmcnt(0)
	ds_store_b128 v5, v[1:4]
	s_waitcnt lgkmcnt(0)
	s_barrier
	buffer_gl0_inv
	v_cmpx_gt_u32_e32 3, v53
	s_cbranch_execz .LBB19_27
; %bb.24:
	v_dual_mov_b32 v1, 0 :: v_dual_add_nc_u32 v8, 0x140, v73
	v_dual_mov_b32 v2, 0 :: v_dual_add_nc_u32 v7, -1, v53
	v_or_b32_e32 v9, 8, v74
	s_mov_b32 s3, 0
	s_delay_alu instid0(VALU_DEP_2)
	v_dual_mov_b32 v4, v2 :: v_dual_mov_b32 v3, v1
	.p2align	6
.LBB19_25:                              ; =>This Inner Loop Header: Depth=1
	scratch_load_b128 v[75:78], v9, off offset:-8
	ds_load_b128 v[79:82], v8
	v_add_nc_u32_e32 v7, 1, v7
	v_add_nc_u32_e32 v8, 16, v8
	;; [unrolled: 1-line block ×3, first 2 shown]
	s_delay_alu instid0(VALU_DEP_3) | instskip(SKIP_4) | instid1(VALU_DEP_2)
	v_cmp_lt_u32_e32 vcc_lo, 1, v7
	s_or_b32 s3, vcc_lo, s3
	s_waitcnt vmcnt(0) lgkmcnt(0)
	v_mul_f64 v[10:11], v[81:82], v[77:78]
	v_mul_f64 v[77:78], v[79:80], v[77:78]
	v_fma_f64 v[10:11], v[79:80], v[75:76], -v[10:11]
	s_delay_alu instid0(VALU_DEP_2) | instskip(NEXT) | instid1(VALU_DEP_2)
	v_fma_f64 v[75:76], v[81:82], v[75:76], v[77:78]
	v_add_f64 v[3:4], v[3:4], v[10:11]
	s_delay_alu instid0(VALU_DEP_2)
	v_add_f64 v[1:2], v[1:2], v[75:76]
	s_and_not1_b32 exec_lo, exec_lo, s3
	s_cbranch_execnz .LBB19_25
; %bb.26:
	s_or_b32 exec_lo, exec_lo, s3
	v_mov_b32_e32 v7, 0
	ds_load_b128 v[7:10], v7 offset:48
	s_waitcnt lgkmcnt(0)
	v_mul_f64 v[11:12], v[1:2], v[9:10]
	v_mul_f64 v[75:76], v[3:4], v[9:10]
	s_delay_alu instid0(VALU_DEP_2) | instskip(NEXT) | instid1(VALU_DEP_2)
	v_fma_f64 v[9:10], v[3:4], v[7:8], -v[11:12]
	v_fma_f64 v[11:12], v[1:2], v[7:8], v[75:76]
	scratch_store_b128 off, v[9:12], off offset:48
.LBB19_27:
	s_or_b32 exec_lo, exec_lo, s2
	s_waitcnt_vscnt null, 0x0
	s_barrier
	buffer_gl0_inv
	scratch_load_b128 v[1:4], v55, off
	s_mov_b32 s2, exec_lo
	s_waitcnt vmcnt(0)
	ds_store_b128 v5, v[1:4]
	s_waitcnt lgkmcnt(0)
	s_barrier
	buffer_gl0_inv
	v_cmpx_gt_u32_e32 4, v53
	s_cbranch_execz .LBB19_31
; %bb.28:
	v_dual_mov_b32 v1, 0 :: v_dual_add_nc_u32 v8, 0x140, v73
	v_dual_mov_b32 v2, 0 :: v_dual_add_nc_u32 v7, -1, v53
	v_or_b32_e32 v9, 8, v74
	s_mov_b32 s3, 0
	s_delay_alu instid0(VALU_DEP_2)
	v_dual_mov_b32 v4, v2 :: v_dual_mov_b32 v3, v1
	.p2align	6
.LBB19_29:                              ; =>This Inner Loop Header: Depth=1
	scratch_load_b128 v[75:78], v9, off offset:-8
	ds_load_b128 v[79:82], v8
	v_add_nc_u32_e32 v7, 1, v7
	v_add_nc_u32_e32 v8, 16, v8
	;; [unrolled: 1-line block ×3, first 2 shown]
	s_delay_alu instid0(VALU_DEP_3) | instskip(SKIP_4) | instid1(VALU_DEP_2)
	v_cmp_lt_u32_e32 vcc_lo, 2, v7
	s_or_b32 s3, vcc_lo, s3
	s_waitcnt vmcnt(0) lgkmcnt(0)
	v_mul_f64 v[10:11], v[81:82], v[77:78]
	v_mul_f64 v[77:78], v[79:80], v[77:78]
	v_fma_f64 v[10:11], v[79:80], v[75:76], -v[10:11]
	s_delay_alu instid0(VALU_DEP_2) | instskip(NEXT) | instid1(VALU_DEP_2)
	v_fma_f64 v[75:76], v[81:82], v[75:76], v[77:78]
	v_add_f64 v[3:4], v[3:4], v[10:11]
	s_delay_alu instid0(VALU_DEP_2)
	v_add_f64 v[1:2], v[1:2], v[75:76]
	s_and_not1_b32 exec_lo, exec_lo, s3
	s_cbranch_execnz .LBB19_29
; %bb.30:
	s_or_b32 exec_lo, exec_lo, s3
	v_mov_b32_e32 v7, 0
	ds_load_b128 v[7:10], v7 offset:64
	s_waitcnt lgkmcnt(0)
	v_mul_f64 v[11:12], v[1:2], v[9:10]
	v_mul_f64 v[75:76], v[3:4], v[9:10]
	s_delay_alu instid0(VALU_DEP_2) | instskip(NEXT) | instid1(VALU_DEP_2)
	v_fma_f64 v[9:10], v[3:4], v[7:8], -v[11:12]
	v_fma_f64 v[11:12], v[1:2], v[7:8], v[75:76]
	scratch_store_b128 off, v[9:12], off offset:64
.LBB19_31:
	s_or_b32 exec_lo, exec_lo, s2
	s_waitcnt_vscnt null, 0x0
	s_barrier
	buffer_gl0_inv
	scratch_load_b128 v[1:4], v56, off
	s_mov_b32 s2, exec_lo
	s_waitcnt vmcnt(0)
	ds_store_b128 v5, v[1:4]
	s_waitcnt lgkmcnt(0)
	s_barrier
	buffer_gl0_inv
	v_cmpx_gt_u32_e32 5, v53
	s_cbranch_execz .LBB19_35
; %bb.32:
	v_dual_mov_b32 v1, 0 :: v_dual_add_nc_u32 v8, 0x140, v73
	v_dual_mov_b32 v2, 0 :: v_dual_add_nc_u32 v7, -1, v53
	v_or_b32_e32 v9, 8, v74
	s_mov_b32 s3, 0
	s_delay_alu instid0(VALU_DEP_2)
	v_dual_mov_b32 v4, v2 :: v_dual_mov_b32 v3, v1
	.p2align	6
.LBB19_33:                              ; =>This Inner Loop Header: Depth=1
	scratch_load_b128 v[75:78], v9, off offset:-8
	ds_load_b128 v[79:82], v8
	v_add_nc_u32_e32 v7, 1, v7
	v_add_nc_u32_e32 v8, 16, v8
	;; [unrolled: 1-line block ×3, first 2 shown]
	s_delay_alu instid0(VALU_DEP_3) | instskip(SKIP_4) | instid1(VALU_DEP_2)
	v_cmp_lt_u32_e32 vcc_lo, 3, v7
	s_or_b32 s3, vcc_lo, s3
	s_waitcnt vmcnt(0) lgkmcnt(0)
	v_mul_f64 v[10:11], v[81:82], v[77:78]
	v_mul_f64 v[77:78], v[79:80], v[77:78]
	v_fma_f64 v[10:11], v[79:80], v[75:76], -v[10:11]
	s_delay_alu instid0(VALU_DEP_2) | instskip(NEXT) | instid1(VALU_DEP_2)
	v_fma_f64 v[75:76], v[81:82], v[75:76], v[77:78]
	v_add_f64 v[3:4], v[3:4], v[10:11]
	s_delay_alu instid0(VALU_DEP_2)
	v_add_f64 v[1:2], v[1:2], v[75:76]
	s_and_not1_b32 exec_lo, exec_lo, s3
	s_cbranch_execnz .LBB19_33
; %bb.34:
	s_or_b32 exec_lo, exec_lo, s3
	v_mov_b32_e32 v7, 0
	ds_load_b128 v[7:10], v7 offset:80
	s_waitcnt lgkmcnt(0)
	v_mul_f64 v[11:12], v[1:2], v[9:10]
	v_mul_f64 v[75:76], v[3:4], v[9:10]
	s_delay_alu instid0(VALU_DEP_2) | instskip(NEXT) | instid1(VALU_DEP_2)
	v_fma_f64 v[9:10], v[3:4], v[7:8], -v[11:12]
	v_fma_f64 v[11:12], v[1:2], v[7:8], v[75:76]
	scratch_store_b128 off, v[9:12], off offset:80
.LBB19_35:
	s_or_b32 exec_lo, exec_lo, s2
	s_waitcnt_vscnt null, 0x0
	s_barrier
	buffer_gl0_inv
	scratch_load_b128 v[1:4], v54, off
	s_mov_b32 s2, exec_lo
	s_waitcnt vmcnt(0)
	ds_store_b128 v5, v[1:4]
	s_waitcnt lgkmcnt(0)
	s_barrier
	buffer_gl0_inv
	v_cmpx_gt_u32_e32 6, v53
	s_cbranch_execz .LBB19_39
; %bb.36:
	v_dual_mov_b32 v1, 0 :: v_dual_add_nc_u32 v8, 0x140, v73
	v_dual_mov_b32 v2, 0 :: v_dual_add_nc_u32 v7, -1, v53
	v_or_b32_e32 v9, 8, v74
	s_mov_b32 s3, 0
	s_delay_alu instid0(VALU_DEP_2)
	v_dual_mov_b32 v4, v2 :: v_dual_mov_b32 v3, v1
	.p2align	6
.LBB19_37:                              ; =>This Inner Loop Header: Depth=1
	scratch_load_b128 v[75:78], v9, off offset:-8
	ds_load_b128 v[79:82], v8
	v_add_nc_u32_e32 v7, 1, v7
	v_add_nc_u32_e32 v8, 16, v8
	;; [unrolled: 1-line block ×3, first 2 shown]
	s_delay_alu instid0(VALU_DEP_3) | instskip(SKIP_4) | instid1(VALU_DEP_2)
	v_cmp_lt_u32_e32 vcc_lo, 4, v7
	s_or_b32 s3, vcc_lo, s3
	s_waitcnt vmcnt(0) lgkmcnt(0)
	v_mul_f64 v[10:11], v[81:82], v[77:78]
	v_mul_f64 v[77:78], v[79:80], v[77:78]
	v_fma_f64 v[10:11], v[79:80], v[75:76], -v[10:11]
	s_delay_alu instid0(VALU_DEP_2) | instskip(NEXT) | instid1(VALU_DEP_2)
	v_fma_f64 v[75:76], v[81:82], v[75:76], v[77:78]
	v_add_f64 v[3:4], v[3:4], v[10:11]
	s_delay_alu instid0(VALU_DEP_2)
	v_add_f64 v[1:2], v[1:2], v[75:76]
	s_and_not1_b32 exec_lo, exec_lo, s3
	s_cbranch_execnz .LBB19_37
; %bb.38:
	s_or_b32 exec_lo, exec_lo, s3
	v_mov_b32_e32 v7, 0
	ds_load_b128 v[7:10], v7 offset:96
	s_waitcnt lgkmcnt(0)
	v_mul_f64 v[11:12], v[1:2], v[9:10]
	v_mul_f64 v[75:76], v[3:4], v[9:10]
	s_delay_alu instid0(VALU_DEP_2) | instskip(NEXT) | instid1(VALU_DEP_2)
	v_fma_f64 v[9:10], v[3:4], v[7:8], -v[11:12]
	v_fma_f64 v[11:12], v[1:2], v[7:8], v[75:76]
	scratch_store_b128 off, v[9:12], off offset:96
.LBB19_39:
	s_or_b32 exec_lo, exec_lo, s2
	s_waitcnt_vscnt null, 0x0
	s_barrier
	buffer_gl0_inv
	scratch_load_b128 v[1:4], v62, off
	s_mov_b32 s2, exec_lo
	s_waitcnt vmcnt(0)
	ds_store_b128 v5, v[1:4]
	s_waitcnt lgkmcnt(0)
	s_barrier
	buffer_gl0_inv
	v_cmpx_gt_u32_e32 7, v53
	s_cbranch_execz .LBB19_43
; %bb.40:
	v_dual_mov_b32 v1, 0 :: v_dual_add_nc_u32 v8, 0x140, v73
	v_dual_mov_b32 v2, 0 :: v_dual_add_nc_u32 v7, -1, v53
	v_or_b32_e32 v9, 8, v74
	s_mov_b32 s3, 0
	s_delay_alu instid0(VALU_DEP_2)
	v_dual_mov_b32 v4, v2 :: v_dual_mov_b32 v3, v1
	.p2align	6
.LBB19_41:                              ; =>This Inner Loop Header: Depth=1
	scratch_load_b128 v[75:78], v9, off offset:-8
	ds_load_b128 v[79:82], v8
	v_add_nc_u32_e32 v7, 1, v7
	v_add_nc_u32_e32 v8, 16, v8
	;; [unrolled: 1-line block ×3, first 2 shown]
	s_delay_alu instid0(VALU_DEP_3) | instskip(SKIP_4) | instid1(VALU_DEP_2)
	v_cmp_lt_u32_e32 vcc_lo, 5, v7
	s_or_b32 s3, vcc_lo, s3
	s_waitcnt vmcnt(0) lgkmcnt(0)
	v_mul_f64 v[10:11], v[81:82], v[77:78]
	v_mul_f64 v[77:78], v[79:80], v[77:78]
	v_fma_f64 v[10:11], v[79:80], v[75:76], -v[10:11]
	s_delay_alu instid0(VALU_DEP_2) | instskip(NEXT) | instid1(VALU_DEP_2)
	v_fma_f64 v[75:76], v[81:82], v[75:76], v[77:78]
	v_add_f64 v[3:4], v[3:4], v[10:11]
	s_delay_alu instid0(VALU_DEP_2)
	v_add_f64 v[1:2], v[1:2], v[75:76]
	s_and_not1_b32 exec_lo, exec_lo, s3
	s_cbranch_execnz .LBB19_41
; %bb.42:
	s_or_b32 exec_lo, exec_lo, s3
	v_mov_b32_e32 v7, 0
	ds_load_b128 v[7:10], v7 offset:112
	s_waitcnt lgkmcnt(0)
	v_mul_f64 v[11:12], v[1:2], v[9:10]
	v_mul_f64 v[75:76], v[3:4], v[9:10]
	s_delay_alu instid0(VALU_DEP_2) | instskip(NEXT) | instid1(VALU_DEP_2)
	v_fma_f64 v[9:10], v[3:4], v[7:8], -v[11:12]
	v_fma_f64 v[11:12], v[1:2], v[7:8], v[75:76]
	scratch_store_b128 off, v[9:12], off offset:112
.LBB19_43:
	s_or_b32 exec_lo, exec_lo, s2
	s_waitcnt_vscnt null, 0x0
	s_barrier
	buffer_gl0_inv
	scratch_load_b128 v[1:4], v59, off
	s_mov_b32 s2, exec_lo
	s_waitcnt vmcnt(0)
	ds_store_b128 v5, v[1:4]
	s_waitcnt lgkmcnt(0)
	s_barrier
	buffer_gl0_inv
	v_cmpx_gt_u32_e32 8, v53
	s_cbranch_execz .LBB19_47
; %bb.44:
	v_dual_mov_b32 v1, 0 :: v_dual_add_nc_u32 v8, 0x140, v73
	v_dual_mov_b32 v2, 0 :: v_dual_add_nc_u32 v7, -1, v53
	v_or_b32_e32 v9, 8, v74
	s_mov_b32 s3, 0
	s_delay_alu instid0(VALU_DEP_2)
	v_dual_mov_b32 v4, v2 :: v_dual_mov_b32 v3, v1
	.p2align	6
.LBB19_45:                              ; =>This Inner Loop Header: Depth=1
	scratch_load_b128 v[75:78], v9, off offset:-8
	ds_load_b128 v[79:82], v8
	v_add_nc_u32_e32 v7, 1, v7
	v_add_nc_u32_e32 v8, 16, v8
	;; [unrolled: 1-line block ×3, first 2 shown]
	s_delay_alu instid0(VALU_DEP_3) | instskip(SKIP_4) | instid1(VALU_DEP_2)
	v_cmp_lt_u32_e32 vcc_lo, 6, v7
	s_or_b32 s3, vcc_lo, s3
	s_waitcnt vmcnt(0) lgkmcnt(0)
	v_mul_f64 v[10:11], v[81:82], v[77:78]
	v_mul_f64 v[77:78], v[79:80], v[77:78]
	v_fma_f64 v[10:11], v[79:80], v[75:76], -v[10:11]
	s_delay_alu instid0(VALU_DEP_2) | instskip(NEXT) | instid1(VALU_DEP_2)
	v_fma_f64 v[75:76], v[81:82], v[75:76], v[77:78]
	v_add_f64 v[3:4], v[3:4], v[10:11]
	s_delay_alu instid0(VALU_DEP_2)
	v_add_f64 v[1:2], v[1:2], v[75:76]
	s_and_not1_b32 exec_lo, exec_lo, s3
	s_cbranch_execnz .LBB19_45
; %bb.46:
	s_or_b32 exec_lo, exec_lo, s3
	v_mov_b32_e32 v7, 0
	ds_load_b128 v[7:10], v7 offset:128
	s_waitcnt lgkmcnt(0)
	v_mul_f64 v[11:12], v[1:2], v[9:10]
	v_mul_f64 v[75:76], v[3:4], v[9:10]
	s_delay_alu instid0(VALU_DEP_2) | instskip(NEXT) | instid1(VALU_DEP_2)
	v_fma_f64 v[9:10], v[3:4], v[7:8], -v[11:12]
	v_fma_f64 v[11:12], v[1:2], v[7:8], v[75:76]
	scratch_store_b128 off, v[9:12], off offset:128
.LBB19_47:
	s_or_b32 exec_lo, exec_lo, s2
	s_waitcnt_vscnt null, 0x0
	s_barrier
	buffer_gl0_inv
	scratch_load_b128 v[1:4], v61, off
	s_mov_b32 s2, exec_lo
	s_waitcnt vmcnt(0)
	ds_store_b128 v5, v[1:4]
	s_waitcnt lgkmcnt(0)
	s_barrier
	buffer_gl0_inv
	v_cmpx_gt_u32_e32 9, v53
	s_cbranch_execz .LBB19_51
; %bb.48:
	v_dual_mov_b32 v1, 0 :: v_dual_add_nc_u32 v8, 0x140, v73
	v_dual_mov_b32 v2, 0 :: v_dual_add_nc_u32 v7, -1, v53
	v_or_b32_e32 v9, 8, v74
	s_mov_b32 s3, 0
	s_delay_alu instid0(VALU_DEP_2)
	v_dual_mov_b32 v4, v2 :: v_dual_mov_b32 v3, v1
	.p2align	6
.LBB19_49:                              ; =>This Inner Loop Header: Depth=1
	scratch_load_b128 v[75:78], v9, off offset:-8
	ds_load_b128 v[79:82], v8
	v_add_nc_u32_e32 v7, 1, v7
	v_add_nc_u32_e32 v8, 16, v8
	;; [unrolled: 1-line block ×3, first 2 shown]
	s_delay_alu instid0(VALU_DEP_3) | instskip(SKIP_4) | instid1(VALU_DEP_2)
	v_cmp_lt_u32_e32 vcc_lo, 7, v7
	s_or_b32 s3, vcc_lo, s3
	s_waitcnt vmcnt(0) lgkmcnt(0)
	v_mul_f64 v[10:11], v[81:82], v[77:78]
	v_mul_f64 v[77:78], v[79:80], v[77:78]
	v_fma_f64 v[10:11], v[79:80], v[75:76], -v[10:11]
	s_delay_alu instid0(VALU_DEP_2) | instskip(NEXT) | instid1(VALU_DEP_2)
	v_fma_f64 v[75:76], v[81:82], v[75:76], v[77:78]
	v_add_f64 v[3:4], v[3:4], v[10:11]
	s_delay_alu instid0(VALU_DEP_2)
	v_add_f64 v[1:2], v[1:2], v[75:76]
	s_and_not1_b32 exec_lo, exec_lo, s3
	s_cbranch_execnz .LBB19_49
; %bb.50:
	s_or_b32 exec_lo, exec_lo, s3
	v_mov_b32_e32 v7, 0
	ds_load_b128 v[7:10], v7 offset:144
	s_waitcnt lgkmcnt(0)
	v_mul_f64 v[11:12], v[1:2], v[9:10]
	v_mul_f64 v[75:76], v[3:4], v[9:10]
	s_delay_alu instid0(VALU_DEP_2) | instskip(NEXT) | instid1(VALU_DEP_2)
	v_fma_f64 v[9:10], v[3:4], v[7:8], -v[11:12]
	v_fma_f64 v[11:12], v[1:2], v[7:8], v[75:76]
	scratch_store_b128 off, v[9:12], off offset:144
.LBB19_51:
	s_or_b32 exec_lo, exec_lo, s2
	s_waitcnt_vscnt null, 0x0
	s_barrier
	buffer_gl0_inv
	scratch_load_b128 v[1:4], v64, off
	s_mov_b32 s2, exec_lo
	s_waitcnt vmcnt(0)
	ds_store_b128 v5, v[1:4]
	s_waitcnt lgkmcnt(0)
	s_barrier
	buffer_gl0_inv
	v_cmpx_gt_u32_e32 10, v53
	s_cbranch_execz .LBB19_55
; %bb.52:
	v_dual_mov_b32 v1, 0 :: v_dual_add_nc_u32 v8, 0x140, v73
	v_dual_mov_b32 v2, 0 :: v_dual_add_nc_u32 v7, -1, v53
	v_or_b32_e32 v9, 8, v74
	s_mov_b32 s3, 0
	s_delay_alu instid0(VALU_DEP_2)
	v_dual_mov_b32 v4, v2 :: v_dual_mov_b32 v3, v1
	.p2align	6
.LBB19_53:                              ; =>This Inner Loop Header: Depth=1
	scratch_load_b128 v[75:78], v9, off offset:-8
	ds_load_b128 v[79:82], v8
	v_add_nc_u32_e32 v7, 1, v7
	v_add_nc_u32_e32 v8, 16, v8
	;; [unrolled: 1-line block ×3, first 2 shown]
	s_delay_alu instid0(VALU_DEP_3) | instskip(SKIP_4) | instid1(VALU_DEP_2)
	v_cmp_lt_u32_e32 vcc_lo, 8, v7
	s_or_b32 s3, vcc_lo, s3
	s_waitcnt vmcnt(0) lgkmcnt(0)
	v_mul_f64 v[10:11], v[81:82], v[77:78]
	v_mul_f64 v[77:78], v[79:80], v[77:78]
	v_fma_f64 v[10:11], v[79:80], v[75:76], -v[10:11]
	s_delay_alu instid0(VALU_DEP_2) | instskip(NEXT) | instid1(VALU_DEP_2)
	v_fma_f64 v[75:76], v[81:82], v[75:76], v[77:78]
	v_add_f64 v[3:4], v[3:4], v[10:11]
	s_delay_alu instid0(VALU_DEP_2)
	v_add_f64 v[1:2], v[1:2], v[75:76]
	s_and_not1_b32 exec_lo, exec_lo, s3
	s_cbranch_execnz .LBB19_53
; %bb.54:
	s_or_b32 exec_lo, exec_lo, s3
	v_mov_b32_e32 v7, 0
	ds_load_b128 v[7:10], v7 offset:160
	s_waitcnt lgkmcnt(0)
	v_mul_f64 v[11:12], v[1:2], v[9:10]
	v_mul_f64 v[75:76], v[3:4], v[9:10]
	s_delay_alu instid0(VALU_DEP_2) | instskip(NEXT) | instid1(VALU_DEP_2)
	v_fma_f64 v[9:10], v[3:4], v[7:8], -v[11:12]
	v_fma_f64 v[11:12], v[1:2], v[7:8], v[75:76]
	scratch_store_b128 off, v[9:12], off offset:160
.LBB19_55:
	s_or_b32 exec_lo, exec_lo, s2
	s_waitcnt_vscnt null, 0x0
	s_barrier
	buffer_gl0_inv
	scratch_load_b128 v[1:4], v63, off
	s_mov_b32 s2, exec_lo
	s_waitcnt vmcnt(0)
	ds_store_b128 v5, v[1:4]
	s_waitcnt lgkmcnt(0)
	s_barrier
	buffer_gl0_inv
	v_cmpx_gt_u32_e32 11, v53
	s_cbranch_execz .LBB19_59
; %bb.56:
	v_dual_mov_b32 v1, 0 :: v_dual_add_nc_u32 v8, 0x140, v73
	v_dual_mov_b32 v2, 0 :: v_dual_add_nc_u32 v7, -1, v53
	v_or_b32_e32 v9, 8, v74
	s_mov_b32 s3, 0
	s_delay_alu instid0(VALU_DEP_2)
	v_dual_mov_b32 v4, v2 :: v_dual_mov_b32 v3, v1
	.p2align	6
.LBB19_57:                              ; =>This Inner Loop Header: Depth=1
	scratch_load_b128 v[75:78], v9, off offset:-8
	ds_load_b128 v[79:82], v8
	v_add_nc_u32_e32 v7, 1, v7
	v_add_nc_u32_e32 v8, 16, v8
	;; [unrolled: 1-line block ×3, first 2 shown]
	s_delay_alu instid0(VALU_DEP_3) | instskip(SKIP_4) | instid1(VALU_DEP_2)
	v_cmp_lt_u32_e32 vcc_lo, 9, v7
	s_or_b32 s3, vcc_lo, s3
	s_waitcnt vmcnt(0) lgkmcnt(0)
	v_mul_f64 v[10:11], v[81:82], v[77:78]
	v_mul_f64 v[77:78], v[79:80], v[77:78]
	v_fma_f64 v[10:11], v[79:80], v[75:76], -v[10:11]
	s_delay_alu instid0(VALU_DEP_2) | instskip(NEXT) | instid1(VALU_DEP_2)
	v_fma_f64 v[75:76], v[81:82], v[75:76], v[77:78]
	v_add_f64 v[3:4], v[3:4], v[10:11]
	s_delay_alu instid0(VALU_DEP_2)
	v_add_f64 v[1:2], v[1:2], v[75:76]
	s_and_not1_b32 exec_lo, exec_lo, s3
	s_cbranch_execnz .LBB19_57
; %bb.58:
	s_or_b32 exec_lo, exec_lo, s3
	v_mov_b32_e32 v7, 0
	ds_load_b128 v[7:10], v7 offset:176
	s_waitcnt lgkmcnt(0)
	v_mul_f64 v[11:12], v[1:2], v[9:10]
	v_mul_f64 v[75:76], v[3:4], v[9:10]
	s_delay_alu instid0(VALU_DEP_2) | instskip(NEXT) | instid1(VALU_DEP_2)
	v_fma_f64 v[9:10], v[3:4], v[7:8], -v[11:12]
	v_fma_f64 v[11:12], v[1:2], v[7:8], v[75:76]
	scratch_store_b128 off, v[9:12], off offset:176
.LBB19_59:
	s_or_b32 exec_lo, exec_lo, s2
	s_waitcnt_vscnt null, 0x0
	s_barrier
	buffer_gl0_inv
	scratch_load_b128 v[1:4], v66, off
	s_mov_b32 s2, exec_lo
	s_waitcnt vmcnt(0)
	ds_store_b128 v5, v[1:4]
	s_waitcnt lgkmcnt(0)
	s_barrier
	buffer_gl0_inv
	v_cmpx_gt_u32_e32 12, v53
	s_cbranch_execz .LBB19_63
; %bb.60:
	v_dual_mov_b32 v1, 0 :: v_dual_add_nc_u32 v8, 0x140, v73
	v_dual_mov_b32 v2, 0 :: v_dual_add_nc_u32 v7, -1, v53
	v_or_b32_e32 v9, 8, v74
	s_mov_b32 s3, 0
	s_delay_alu instid0(VALU_DEP_2)
	v_dual_mov_b32 v4, v2 :: v_dual_mov_b32 v3, v1
	.p2align	6
.LBB19_61:                              ; =>This Inner Loop Header: Depth=1
	scratch_load_b128 v[75:78], v9, off offset:-8
	ds_load_b128 v[79:82], v8
	v_add_nc_u32_e32 v7, 1, v7
	v_add_nc_u32_e32 v8, 16, v8
	;; [unrolled: 1-line block ×3, first 2 shown]
	s_delay_alu instid0(VALU_DEP_3) | instskip(SKIP_4) | instid1(VALU_DEP_2)
	v_cmp_lt_u32_e32 vcc_lo, 10, v7
	s_or_b32 s3, vcc_lo, s3
	s_waitcnt vmcnt(0) lgkmcnt(0)
	v_mul_f64 v[10:11], v[81:82], v[77:78]
	v_mul_f64 v[77:78], v[79:80], v[77:78]
	v_fma_f64 v[10:11], v[79:80], v[75:76], -v[10:11]
	s_delay_alu instid0(VALU_DEP_2) | instskip(NEXT) | instid1(VALU_DEP_2)
	v_fma_f64 v[75:76], v[81:82], v[75:76], v[77:78]
	v_add_f64 v[3:4], v[3:4], v[10:11]
	s_delay_alu instid0(VALU_DEP_2)
	v_add_f64 v[1:2], v[1:2], v[75:76]
	s_and_not1_b32 exec_lo, exec_lo, s3
	s_cbranch_execnz .LBB19_61
; %bb.62:
	s_or_b32 exec_lo, exec_lo, s3
	v_mov_b32_e32 v7, 0
	ds_load_b128 v[7:10], v7 offset:192
	s_waitcnt lgkmcnt(0)
	v_mul_f64 v[11:12], v[1:2], v[9:10]
	v_mul_f64 v[75:76], v[3:4], v[9:10]
	s_delay_alu instid0(VALU_DEP_2) | instskip(NEXT) | instid1(VALU_DEP_2)
	v_fma_f64 v[9:10], v[3:4], v[7:8], -v[11:12]
	v_fma_f64 v[11:12], v[1:2], v[7:8], v[75:76]
	scratch_store_b128 off, v[9:12], off offset:192
.LBB19_63:
	s_or_b32 exec_lo, exec_lo, s2
	s_waitcnt_vscnt null, 0x0
	s_barrier
	buffer_gl0_inv
	scratch_load_b128 v[1:4], v65, off
	s_mov_b32 s2, exec_lo
	s_waitcnt vmcnt(0)
	ds_store_b128 v5, v[1:4]
	s_waitcnt lgkmcnt(0)
	s_barrier
	buffer_gl0_inv
	v_cmpx_gt_u32_e32 13, v53
	s_cbranch_execz .LBB19_67
; %bb.64:
	v_dual_mov_b32 v1, 0 :: v_dual_add_nc_u32 v8, 0x140, v73
	v_dual_mov_b32 v2, 0 :: v_dual_add_nc_u32 v7, -1, v53
	v_or_b32_e32 v9, 8, v74
	s_mov_b32 s3, 0
	s_delay_alu instid0(VALU_DEP_2)
	v_dual_mov_b32 v4, v2 :: v_dual_mov_b32 v3, v1
	.p2align	6
.LBB19_65:                              ; =>This Inner Loop Header: Depth=1
	scratch_load_b128 v[75:78], v9, off offset:-8
	ds_load_b128 v[79:82], v8
	v_add_nc_u32_e32 v7, 1, v7
	v_add_nc_u32_e32 v8, 16, v8
	;; [unrolled: 1-line block ×3, first 2 shown]
	s_delay_alu instid0(VALU_DEP_3) | instskip(SKIP_4) | instid1(VALU_DEP_2)
	v_cmp_lt_u32_e32 vcc_lo, 11, v7
	s_or_b32 s3, vcc_lo, s3
	s_waitcnt vmcnt(0) lgkmcnt(0)
	v_mul_f64 v[10:11], v[81:82], v[77:78]
	v_mul_f64 v[77:78], v[79:80], v[77:78]
	v_fma_f64 v[10:11], v[79:80], v[75:76], -v[10:11]
	s_delay_alu instid0(VALU_DEP_2) | instskip(NEXT) | instid1(VALU_DEP_2)
	v_fma_f64 v[75:76], v[81:82], v[75:76], v[77:78]
	v_add_f64 v[3:4], v[3:4], v[10:11]
	s_delay_alu instid0(VALU_DEP_2)
	v_add_f64 v[1:2], v[1:2], v[75:76]
	s_and_not1_b32 exec_lo, exec_lo, s3
	s_cbranch_execnz .LBB19_65
; %bb.66:
	s_or_b32 exec_lo, exec_lo, s3
	v_mov_b32_e32 v7, 0
	ds_load_b128 v[7:10], v7 offset:208
	s_waitcnt lgkmcnt(0)
	v_mul_f64 v[11:12], v[1:2], v[9:10]
	v_mul_f64 v[75:76], v[3:4], v[9:10]
	s_delay_alu instid0(VALU_DEP_2) | instskip(NEXT) | instid1(VALU_DEP_2)
	v_fma_f64 v[9:10], v[3:4], v[7:8], -v[11:12]
	v_fma_f64 v[11:12], v[1:2], v[7:8], v[75:76]
	scratch_store_b128 off, v[9:12], off offset:208
.LBB19_67:
	s_or_b32 exec_lo, exec_lo, s2
	s_waitcnt_vscnt null, 0x0
	s_barrier
	buffer_gl0_inv
	scratch_load_b128 v[1:4], v68, off
	s_mov_b32 s2, exec_lo
	s_waitcnt vmcnt(0)
	ds_store_b128 v5, v[1:4]
	s_waitcnt lgkmcnt(0)
	s_barrier
	buffer_gl0_inv
	v_cmpx_gt_u32_e32 14, v53
	s_cbranch_execz .LBB19_71
; %bb.68:
	v_dual_mov_b32 v1, 0 :: v_dual_add_nc_u32 v8, 0x140, v73
	v_dual_mov_b32 v2, 0 :: v_dual_add_nc_u32 v7, -1, v53
	v_or_b32_e32 v9, 8, v74
	s_mov_b32 s3, 0
	s_delay_alu instid0(VALU_DEP_2)
	v_dual_mov_b32 v4, v2 :: v_dual_mov_b32 v3, v1
	.p2align	6
.LBB19_69:                              ; =>This Inner Loop Header: Depth=1
	scratch_load_b128 v[75:78], v9, off offset:-8
	ds_load_b128 v[79:82], v8
	v_add_nc_u32_e32 v7, 1, v7
	v_add_nc_u32_e32 v8, 16, v8
	;; [unrolled: 1-line block ×3, first 2 shown]
	s_delay_alu instid0(VALU_DEP_3) | instskip(SKIP_4) | instid1(VALU_DEP_2)
	v_cmp_lt_u32_e32 vcc_lo, 12, v7
	s_or_b32 s3, vcc_lo, s3
	s_waitcnt vmcnt(0) lgkmcnt(0)
	v_mul_f64 v[10:11], v[81:82], v[77:78]
	v_mul_f64 v[77:78], v[79:80], v[77:78]
	v_fma_f64 v[10:11], v[79:80], v[75:76], -v[10:11]
	s_delay_alu instid0(VALU_DEP_2) | instskip(NEXT) | instid1(VALU_DEP_2)
	v_fma_f64 v[75:76], v[81:82], v[75:76], v[77:78]
	v_add_f64 v[3:4], v[3:4], v[10:11]
	s_delay_alu instid0(VALU_DEP_2)
	v_add_f64 v[1:2], v[1:2], v[75:76]
	s_and_not1_b32 exec_lo, exec_lo, s3
	s_cbranch_execnz .LBB19_69
; %bb.70:
	s_or_b32 exec_lo, exec_lo, s3
	v_mov_b32_e32 v7, 0
	ds_load_b128 v[7:10], v7 offset:224
	s_waitcnt lgkmcnt(0)
	v_mul_f64 v[11:12], v[1:2], v[9:10]
	v_mul_f64 v[75:76], v[3:4], v[9:10]
	s_delay_alu instid0(VALU_DEP_2) | instskip(NEXT) | instid1(VALU_DEP_2)
	v_fma_f64 v[9:10], v[3:4], v[7:8], -v[11:12]
	v_fma_f64 v[11:12], v[1:2], v[7:8], v[75:76]
	scratch_store_b128 off, v[9:12], off offset:224
.LBB19_71:
	s_or_b32 exec_lo, exec_lo, s2
	s_waitcnt_vscnt null, 0x0
	s_barrier
	buffer_gl0_inv
	scratch_load_b128 v[1:4], v67, off
	s_mov_b32 s2, exec_lo
	s_waitcnt vmcnt(0)
	ds_store_b128 v5, v[1:4]
	s_waitcnt lgkmcnt(0)
	s_barrier
	buffer_gl0_inv
	v_cmpx_gt_u32_e32 15, v53
	s_cbranch_execz .LBB19_75
; %bb.72:
	v_dual_mov_b32 v1, 0 :: v_dual_add_nc_u32 v8, 0x140, v73
	v_dual_mov_b32 v2, 0 :: v_dual_add_nc_u32 v7, -1, v53
	v_or_b32_e32 v9, 8, v74
	s_mov_b32 s3, 0
	s_delay_alu instid0(VALU_DEP_2)
	v_dual_mov_b32 v4, v2 :: v_dual_mov_b32 v3, v1
	.p2align	6
.LBB19_73:                              ; =>This Inner Loop Header: Depth=1
	scratch_load_b128 v[75:78], v9, off offset:-8
	ds_load_b128 v[79:82], v8
	v_add_nc_u32_e32 v7, 1, v7
	v_add_nc_u32_e32 v8, 16, v8
	;; [unrolled: 1-line block ×3, first 2 shown]
	s_delay_alu instid0(VALU_DEP_3) | instskip(SKIP_4) | instid1(VALU_DEP_2)
	v_cmp_lt_u32_e32 vcc_lo, 13, v7
	s_or_b32 s3, vcc_lo, s3
	s_waitcnt vmcnt(0) lgkmcnt(0)
	v_mul_f64 v[10:11], v[81:82], v[77:78]
	v_mul_f64 v[77:78], v[79:80], v[77:78]
	v_fma_f64 v[10:11], v[79:80], v[75:76], -v[10:11]
	s_delay_alu instid0(VALU_DEP_2) | instskip(NEXT) | instid1(VALU_DEP_2)
	v_fma_f64 v[75:76], v[81:82], v[75:76], v[77:78]
	v_add_f64 v[3:4], v[3:4], v[10:11]
	s_delay_alu instid0(VALU_DEP_2)
	v_add_f64 v[1:2], v[1:2], v[75:76]
	s_and_not1_b32 exec_lo, exec_lo, s3
	s_cbranch_execnz .LBB19_73
; %bb.74:
	s_or_b32 exec_lo, exec_lo, s3
	v_mov_b32_e32 v7, 0
	ds_load_b128 v[7:10], v7 offset:240
	s_waitcnt lgkmcnt(0)
	v_mul_f64 v[11:12], v[1:2], v[9:10]
	v_mul_f64 v[75:76], v[3:4], v[9:10]
	s_delay_alu instid0(VALU_DEP_2) | instskip(NEXT) | instid1(VALU_DEP_2)
	v_fma_f64 v[9:10], v[3:4], v[7:8], -v[11:12]
	v_fma_f64 v[11:12], v[1:2], v[7:8], v[75:76]
	scratch_store_b128 off, v[9:12], off offset:240
.LBB19_75:
	s_or_b32 exec_lo, exec_lo, s2
	s_waitcnt_vscnt null, 0x0
	s_barrier
	buffer_gl0_inv
	scratch_load_b128 v[1:4], v70, off
	s_mov_b32 s2, exec_lo
	s_waitcnt vmcnt(0)
	ds_store_b128 v5, v[1:4]
	s_waitcnt lgkmcnt(0)
	s_barrier
	buffer_gl0_inv
	v_cmpx_gt_u32_e32 16, v53
	s_cbranch_execz .LBB19_79
; %bb.76:
	v_dual_mov_b32 v1, 0 :: v_dual_add_nc_u32 v8, 0x140, v73
	v_dual_mov_b32 v2, 0 :: v_dual_add_nc_u32 v7, -1, v53
	v_or_b32_e32 v9, 8, v74
	s_mov_b32 s3, 0
	s_delay_alu instid0(VALU_DEP_2)
	v_dual_mov_b32 v4, v2 :: v_dual_mov_b32 v3, v1
	.p2align	6
.LBB19_77:                              ; =>This Inner Loop Header: Depth=1
	scratch_load_b128 v[75:78], v9, off offset:-8
	ds_load_b128 v[79:82], v8
	v_add_nc_u32_e32 v7, 1, v7
	v_add_nc_u32_e32 v8, 16, v8
	;; [unrolled: 1-line block ×3, first 2 shown]
	s_delay_alu instid0(VALU_DEP_3) | instskip(SKIP_4) | instid1(VALU_DEP_2)
	v_cmp_lt_u32_e32 vcc_lo, 14, v7
	s_or_b32 s3, vcc_lo, s3
	s_waitcnt vmcnt(0) lgkmcnt(0)
	v_mul_f64 v[10:11], v[81:82], v[77:78]
	v_mul_f64 v[77:78], v[79:80], v[77:78]
	v_fma_f64 v[10:11], v[79:80], v[75:76], -v[10:11]
	s_delay_alu instid0(VALU_DEP_2) | instskip(NEXT) | instid1(VALU_DEP_2)
	v_fma_f64 v[75:76], v[81:82], v[75:76], v[77:78]
	v_add_f64 v[3:4], v[3:4], v[10:11]
	s_delay_alu instid0(VALU_DEP_2)
	v_add_f64 v[1:2], v[1:2], v[75:76]
	s_and_not1_b32 exec_lo, exec_lo, s3
	s_cbranch_execnz .LBB19_77
; %bb.78:
	s_or_b32 exec_lo, exec_lo, s3
	v_mov_b32_e32 v7, 0
	ds_load_b128 v[7:10], v7 offset:256
	s_waitcnt lgkmcnt(0)
	v_mul_f64 v[11:12], v[1:2], v[9:10]
	v_mul_f64 v[75:76], v[3:4], v[9:10]
	s_delay_alu instid0(VALU_DEP_2) | instskip(NEXT) | instid1(VALU_DEP_2)
	v_fma_f64 v[9:10], v[3:4], v[7:8], -v[11:12]
	v_fma_f64 v[11:12], v[1:2], v[7:8], v[75:76]
	scratch_store_b128 off, v[9:12], off offset:256
.LBB19_79:
	s_or_b32 exec_lo, exec_lo, s2
	s_waitcnt_vscnt null, 0x0
	s_barrier
	buffer_gl0_inv
	scratch_load_b128 v[1:4], v69, off
	s_mov_b32 s2, exec_lo
	s_waitcnt vmcnt(0)
	ds_store_b128 v5, v[1:4]
	s_waitcnt lgkmcnt(0)
	s_barrier
	buffer_gl0_inv
	v_cmpx_gt_u32_e32 17, v53
	s_cbranch_execz .LBB19_83
; %bb.80:
	v_dual_mov_b32 v1, 0 :: v_dual_add_nc_u32 v8, 0x140, v73
	v_dual_mov_b32 v2, 0 :: v_dual_add_nc_u32 v7, -1, v53
	v_or_b32_e32 v9, 8, v74
	s_mov_b32 s3, 0
	s_delay_alu instid0(VALU_DEP_2)
	v_dual_mov_b32 v4, v2 :: v_dual_mov_b32 v3, v1
	.p2align	6
.LBB19_81:                              ; =>This Inner Loop Header: Depth=1
	scratch_load_b128 v[75:78], v9, off offset:-8
	ds_load_b128 v[79:82], v8
	v_add_nc_u32_e32 v7, 1, v7
	v_add_nc_u32_e32 v8, 16, v8
	;; [unrolled: 1-line block ×3, first 2 shown]
	s_delay_alu instid0(VALU_DEP_3) | instskip(SKIP_4) | instid1(VALU_DEP_2)
	v_cmp_lt_u32_e32 vcc_lo, 15, v7
	s_or_b32 s3, vcc_lo, s3
	s_waitcnt vmcnt(0) lgkmcnt(0)
	v_mul_f64 v[10:11], v[81:82], v[77:78]
	v_mul_f64 v[77:78], v[79:80], v[77:78]
	v_fma_f64 v[10:11], v[79:80], v[75:76], -v[10:11]
	s_delay_alu instid0(VALU_DEP_2) | instskip(NEXT) | instid1(VALU_DEP_2)
	v_fma_f64 v[75:76], v[81:82], v[75:76], v[77:78]
	v_add_f64 v[3:4], v[3:4], v[10:11]
	s_delay_alu instid0(VALU_DEP_2)
	v_add_f64 v[1:2], v[1:2], v[75:76]
	s_and_not1_b32 exec_lo, exec_lo, s3
	s_cbranch_execnz .LBB19_81
; %bb.82:
	s_or_b32 exec_lo, exec_lo, s3
	v_mov_b32_e32 v7, 0
	ds_load_b128 v[7:10], v7 offset:272
	s_waitcnt lgkmcnt(0)
	v_mul_f64 v[11:12], v[1:2], v[9:10]
	v_mul_f64 v[75:76], v[3:4], v[9:10]
	s_delay_alu instid0(VALU_DEP_2) | instskip(NEXT) | instid1(VALU_DEP_2)
	v_fma_f64 v[9:10], v[3:4], v[7:8], -v[11:12]
	v_fma_f64 v[11:12], v[1:2], v[7:8], v[75:76]
	scratch_store_b128 off, v[9:12], off offset:272
.LBB19_83:
	s_or_b32 exec_lo, exec_lo, s2
	s_waitcnt_vscnt null, 0x0
	s_barrier
	buffer_gl0_inv
	scratch_load_b128 v[1:4], v72, off
	s_mov_b32 s2, exec_lo
	s_waitcnt vmcnt(0)
	ds_store_b128 v5, v[1:4]
	s_waitcnt lgkmcnt(0)
	s_barrier
	buffer_gl0_inv
	v_cmpx_gt_u32_e32 18, v53
	s_cbranch_execz .LBB19_87
; %bb.84:
	v_dual_mov_b32 v1, 0 :: v_dual_add_nc_u32 v8, 0x140, v73
	v_dual_mov_b32 v2, 0 :: v_dual_add_nc_u32 v7, -1, v53
	v_or_b32_e32 v9, 8, v74
	s_mov_b32 s3, 0
	s_delay_alu instid0(VALU_DEP_2)
	v_dual_mov_b32 v4, v2 :: v_dual_mov_b32 v3, v1
	.p2align	6
.LBB19_85:                              ; =>This Inner Loop Header: Depth=1
	scratch_load_b128 v[75:78], v9, off offset:-8
	ds_load_b128 v[79:82], v8
	v_add_nc_u32_e32 v7, 1, v7
	v_add_nc_u32_e32 v8, 16, v8
	v_add_nc_u32_e32 v9, 16, v9
	s_delay_alu instid0(VALU_DEP_3) | instskip(SKIP_4) | instid1(VALU_DEP_2)
	v_cmp_lt_u32_e32 vcc_lo, 16, v7
	s_or_b32 s3, vcc_lo, s3
	s_waitcnt vmcnt(0) lgkmcnt(0)
	v_mul_f64 v[10:11], v[81:82], v[77:78]
	v_mul_f64 v[77:78], v[79:80], v[77:78]
	v_fma_f64 v[10:11], v[79:80], v[75:76], -v[10:11]
	s_delay_alu instid0(VALU_DEP_2) | instskip(NEXT) | instid1(VALU_DEP_2)
	v_fma_f64 v[75:76], v[81:82], v[75:76], v[77:78]
	v_add_f64 v[3:4], v[3:4], v[10:11]
	s_delay_alu instid0(VALU_DEP_2)
	v_add_f64 v[1:2], v[1:2], v[75:76]
	s_and_not1_b32 exec_lo, exec_lo, s3
	s_cbranch_execnz .LBB19_85
; %bb.86:
	s_or_b32 exec_lo, exec_lo, s3
	v_mov_b32_e32 v7, 0
	ds_load_b128 v[7:10], v7 offset:288
	s_waitcnt lgkmcnt(0)
	v_mul_f64 v[11:12], v[1:2], v[9:10]
	v_mul_f64 v[75:76], v[3:4], v[9:10]
	s_delay_alu instid0(VALU_DEP_2) | instskip(NEXT) | instid1(VALU_DEP_2)
	v_fma_f64 v[9:10], v[3:4], v[7:8], -v[11:12]
	v_fma_f64 v[11:12], v[1:2], v[7:8], v[75:76]
	scratch_store_b128 off, v[9:12], off offset:288
.LBB19_87:
	s_or_b32 exec_lo, exec_lo, s2
	s_waitcnt_vscnt null, 0x0
	s_barrier
	buffer_gl0_inv
	scratch_load_b128 v[1:4], v71, off
	s_mov_b32 s2, exec_lo
	s_waitcnt vmcnt(0)
	ds_store_b128 v5, v[1:4]
	s_waitcnt lgkmcnt(0)
	s_barrier
	buffer_gl0_inv
	v_cmpx_ne_u32_e32 19, v53
	s_cbranch_execz .LBB19_91
; %bb.88:
	v_mov_b32_e32 v1, 0
	v_mov_b32_e32 v2, 0
	v_or_b32_e32 v7, 8, v74
	s_mov_b32 s3, 0
	s_delay_alu instid0(VALU_DEP_2)
	v_dual_mov_b32 v4, v2 :: v_dual_mov_b32 v3, v1
	.p2align	6
.LBB19_89:                              ; =>This Inner Loop Header: Depth=1
	scratch_load_b128 v[8:11], v7, off offset:-8
	ds_load_b128 v[73:76], v5
	v_add_nc_u32_e32 v6, 1, v6
	v_add_nc_u32_e32 v5, 16, v5
	;; [unrolled: 1-line block ×3, first 2 shown]
	s_delay_alu instid0(VALU_DEP_3) | instskip(SKIP_4) | instid1(VALU_DEP_2)
	v_cmp_lt_u32_e32 vcc_lo, 17, v6
	s_or_b32 s3, vcc_lo, s3
	s_waitcnt vmcnt(0) lgkmcnt(0)
	v_mul_f64 v[77:78], v[75:76], v[10:11]
	v_mul_f64 v[10:11], v[73:74], v[10:11]
	v_fma_f64 v[73:74], v[73:74], v[8:9], -v[77:78]
	s_delay_alu instid0(VALU_DEP_2) | instskip(NEXT) | instid1(VALU_DEP_2)
	v_fma_f64 v[8:9], v[75:76], v[8:9], v[10:11]
	v_add_f64 v[3:4], v[3:4], v[73:74]
	s_delay_alu instid0(VALU_DEP_2)
	v_add_f64 v[1:2], v[1:2], v[8:9]
	s_and_not1_b32 exec_lo, exec_lo, s3
	s_cbranch_execnz .LBB19_89
; %bb.90:
	s_or_b32 exec_lo, exec_lo, s3
	v_mov_b32_e32 v5, 0
	ds_load_b128 v[5:8], v5 offset:304
	s_waitcnt lgkmcnt(0)
	v_mul_f64 v[9:10], v[1:2], v[7:8]
	v_mul_f64 v[7:8], v[3:4], v[7:8]
	s_delay_alu instid0(VALU_DEP_2) | instskip(NEXT) | instid1(VALU_DEP_2)
	v_fma_f64 v[3:4], v[3:4], v[5:6], -v[9:10]
	v_fma_f64 v[5:6], v[1:2], v[5:6], v[7:8]
	scratch_store_b128 off, v[3:6], off offset:304
.LBB19_91:
	s_or_b32 exec_lo, exec_lo, s2
	s_mov_b32 s3, -1
	s_waitcnt_vscnt null, 0x0
	s_barrier
	buffer_gl0_inv
.LBB19_92:
	s_and_b32 vcc_lo, exec_lo, s3
	s_cbranch_vccz .LBB19_94
; %bb.93:
	s_lshl_b64 s[2:3], s[18:19], 2
	v_mov_b32_e32 v1, 0
	s_add_u32 s2, s6, s2
	s_addc_u32 s3, s7, s3
	global_load_b32 v1, v1, s[2:3]
	s_waitcnt vmcnt(0)
	v_cmp_ne_u32_e32 vcc_lo, 0, v1
	s_cbranch_vccz .LBB19_95
.LBB19_94:
	s_endpgm
.LBB19_95:
	v_lshl_add_u32 v5, v53, 4, 0x140
	s_mov_b32 s2, exec_lo
	v_cmpx_eq_u32_e32 19, v53
	s_cbranch_execz .LBB19_97
; %bb.96:
	scratch_load_b128 v[1:4], v72, off
	v_mov_b32_e32 v6, 0
	s_delay_alu instid0(VALU_DEP_1)
	v_mov_b32_e32 v7, v6
	v_mov_b32_e32 v8, v6
	;; [unrolled: 1-line block ×3, first 2 shown]
	scratch_store_b128 off, v[6:9], off offset:288
	s_waitcnt vmcnt(0)
	ds_store_b128 v5, v[1:4]
.LBB19_97:
	s_or_b32 exec_lo, exec_lo, s2
	s_waitcnt lgkmcnt(0)
	s_waitcnt_vscnt null, 0x0
	s_barrier
	buffer_gl0_inv
	s_clause 0x1
	scratch_load_b128 v[6:9], off, off offset:304
	scratch_load_b128 v[73:76], off, off offset:288
	v_mov_b32_e32 v1, 0
	s_mov_b32 s2, exec_lo
	ds_load_b128 v[77:80], v1 offset:624
	s_waitcnt vmcnt(1) lgkmcnt(0)
	v_mul_f64 v[2:3], v[79:80], v[8:9]
	v_mul_f64 v[8:9], v[77:78], v[8:9]
	s_delay_alu instid0(VALU_DEP_2) | instskip(NEXT) | instid1(VALU_DEP_2)
	v_fma_f64 v[2:3], v[77:78], v[6:7], -v[2:3]
	v_fma_f64 v[6:7], v[79:80], v[6:7], v[8:9]
	s_delay_alu instid0(VALU_DEP_2) | instskip(NEXT) | instid1(VALU_DEP_2)
	v_add_f64 v[2:3], v[2:3], 0
	v_add_f64 v[8:9], v[6:7], 0
	s_waitcnt vmcnt(0)
	s_delay_alu instid0(VALU_DEP_2) | instskip(NEXT) | instid1(VALU_DEP_2)
	v_add_f64 v[6:7], v[73:74], -v[2:3]
	v_add_f64 v[8:9], v[75:76], -v[8:9]
	scratch_store_b128 off, v[6:9], off offset:288
	v_cmpx_lt_u32_e32 17, v53
	s_cbranch_execz .LBB19_99
; %bb.98:
	scratch_load_b128 v[6:9], v69, off
	v_mov_b32_e32 v2, v1
	v_mov_b32_e32 v3, v1
	;; [unrolled: 1-line block ×3, first 2 shown]
	scratch_store_b128 off, v[1:4], off offset:272
	s_waitcnt vmcnt(0)
	ds_store_b128 v5, v[6:9]
.LBB19_99:
	s_or_b32 exec_lo, exec_lo, s2
	s_waitcnt lgkmcnt(0)
	s_waitcnt_vscnt null, 0x0
	s_barrier
	buffer_gl0_inv
	s_clause 0x2
	scratch_load_b128 v[6:9], off, off offset:288
	scratch_load_b128 v[73:76], off, off offset:304
	;; [unrolled: 1-line block ×3, first 2 shown]
	ds_load_b128 v[81:84], v1 offset:608
	ds_load_b128 v[1:4], v1 offset:624
	s_mov_b32 s2, exec_lo
	s_waitcnt vmcnt(2) lgkmcnt(1)
	v_mul_f64 v[10:11], v[83:84], v[8:9]
	v_mul_f64 v[8:9], v[81:82], v[8:9]
	s_waitcnt vmcnt(1) lgkmcnt(0)
	v_mul_f64 v[85:86], v[1:2], v[75:76]
	v_mul_f64 v[75:76], v[3:4], v[75:76]
	s_delay_alu instid0(VALU_DEP_4) | instskip(NEXT) | instid1(VALU_DEP_4)
	v_fma_f64 v[10:11], v[81:82], v[6:7], -v[10:11]
	v_fma_f64 v[6:7], v[83:84], v[6:7], v[8:9]
	s_delay_alu instid0(VALU_DEP_4) | instskip(NEXT) | instid1(VALU_DEP_4)
	v_fma_f64 v[3:4], v[3:4], v[73:74], v[85:86]
	v_fma_f64 v[1:2], v[1:2], v[73:74], -v[75:76]
	s_delay_alu instid0(VALU_DEP_4) | instskip(NEXT) | instid1(VALU_DEP_4)
	v_add_f64 v[8:9], v[10:11], 0
	v_add_f64 v[6:7], v[6:7], 0
	s_delay_alu instid0(VALU_DEP_2) | instskip(NEXT) | instid1(VALU_DEP_2)
	v_add_f64 v[1:2], v[8:9], v[1:2]
	v_add_f64 v[3:4], v[6:7], v[3:4]
	s_waitcnt vmcnt(0)
	s_delay_alu instid0(VALU_DEP_2) | instskip(NEXT) | instid1(VALU_DEP_2)
	v_add_f64 v[1:2], v[77:78], -v[1:2]
	v_add_f64 v[3:4], v[79:80], -v[3:4]
	scratch_store_b128 off, v[1:4], off offset:272
	v_cmpx_lt_u32_e32 16, v53
	s_cbranch_execz .LBB19_101
; %bb.100:
	scratch_load_b128 v[1:4], v70, off
	v_mov_b32_e32 v6, 0
	s_delay_alu instid0(VALU_DEP_1)
	v_mov_b32_e32 v7, v6
	v_mov_b32_e32 v8, v6
	;; [unrolled: 1-line block ×3, first 2 shown]
	scratch_store_b128 off, v[6:9], off offset:256
	s_waitcnt vmcnt(0)
	ds_store_b128 v5, v[1:4]
.LBB19_101:
	s_or_b32 exec_lo, exec_lo, s2
	s_waitcnt lgkmcnt(0)
	s_waitcnt_vscnt null, 0x0
	s_barrier
	buffer_gl0_inv
	s_clause 0x3
	scratch_load_b128 v[6:9], off, off offset:272
	scratch_load_b128 v[73:76], off, off offset:288
	;; [unrolled: 1-line block ×4, first 2 shown]
	v_mov_b32_e32 v1, 0
	ds_load_b128 v[85:88], v1 offset:592
	ds_load_b128 v[89:92], v1 offset:608
	s_mov_b32 s2, exec_lo
	s_waitcnt vmcnt(3) lgkmcnt(1)
	v_mul_f64 v[2:3], v[87:88], v[8:9]
	v_mul_f64 v[8:9], v[85:86], v[8:9]
	s_waitcnt vmcnt(2) lgkmcnt(0)
	v_mul_f64 v[10:11], v[89:90], v[75:76]
	v_mul_f64 v[75:76], v[91:92], v[75:76]
	s_delay_alu instid0(VALU_DEP_4) | instskip(NEXT) | instid1(VALU_DEP_4)
	v_fma_f64 v[2:3], v[85:86], v[6:7], -v[2:3]
	v_fma_f64 v[85:86], v[87:88], v[6:7], v[8:9]
	ds_load_b128 v[6:9], v1 offset:624
	v_fma_f64 v[10:11], v[91:92], v[73:74], v[10:11]
	v_fma_f64 v[73:74], v[89:90], v[73:74], -v[75:76]
	s_waitcnt vmcnt(1) lgkmcnt(0)
	v_mul_f64 v[87:88], v[6:7], v[79:80]
	v_mul_f64 v[79:80], v[8:9], v[79:80]
	v_add_f64 v[2:3], v[2:3], 0
	v_add_f64 v[75:76], v[85:86], 0
	s_delay_alu instid0(VALU_DEP_4) | instskip(NEXT) | instid1(VALU_DEP_4)
	v_fma_f64 v[8:9], v[8:9], v[77:78], v[87:88]
	v_fma_f64 v[6:7], v[6:7], v[77:78], -v[79:80]
	s_delay_alu instid0(VALU_DEP_4) | instskip(NEXT) | instid1(VALU_DEP_4)
	v_add_f64 v[2:3], v[2:3], v[73:74]
	v_add_f64 v[10:11], v[75:76], v[10:11]
	s_delay_alu instid0(VALU_DEP_2) | instskip(NEXT) | instid1(VALU_DEP_2)
	v_add_f64 v[2:3], v[2:3], v[6:7]
	v_add_f64 v[8:9], v[10:11], v[8:9]
	s_waitcnt vmcnt(0)
	s_delay_alu instid0(VALU_DEP_2) | instskip(NEXT) | instid1(VALU_DEP_2)
	v_add_f64 v[6:7], v[81:82], -v[2:3]
	v_add_f64 v[8:9], v[83:84], -v[8:9]
	scratch_store_b128 off, v[6:9], off offset:256
	v_cmpx_lt_u32_e32 15, v53
	s_cbranch_execz .LBB19_103
; %bb.102:
	scratch_load_b128 v[6:9], v67, off
	v_mov_b32_e32 v2, v1
	v_mov_b32_e32 v3, v1
	;; [unrolled: 1-line block ×3, first 2 shown]
	scratch_store_b128 off, v[1:4], off offset:240
	s_waitcnt vmcnt(0)
	ds_store_b128 v5, v[6:9]
.LBB19_103:
	s_or_b32 exec_lo, exec_lo, s2
	s_waitcnt lgkmcnt(0)
	s_waitcnt_vscnt null, 0x0
	s_barrier
	buffer_gl0_inv
	s_clause 0x4
	scratch_load_b128 v[6:9], off, off offset:256
	scratch_load_b128 v[73:76], off, off offset:272
	;; [unrolled: 1-line block ×5, first 2 shown]
	ds_load_b128 v[89:92], v1 offset:576
	ds_load_b128 v[93:96], v1 offset:592
	s_mov_b32 s2, exec_lo
	s_waitcnt vmcnt(4) lgkmcnt(1)
	v_mul_f64 v[2:3], v[91:92], v[8:9]
	v_mul_f64 v[8:9], v[89:90], v[8:9]
	s_waitcnt vmcnt(3) lgkmcnt(0)
	v_mul_f64 v[10:11], v[93:94], v[75:76]
	v_mul_f64 v[75:76], v[95:96], v[75:76]
	s_delay_alu instid0(VALU_DEP_4) | instskip(NEXT) | instid1(VALU_DEP_4)
	v_fma_f64 v[89:90], v[89:90], v[6:7], -v[2:3]
	v_fma_f64 v[91:92], v[91:92], v[6:7], v[8:9]
	ds_load_b128 v[6:9], v1 offset:608
	ds_load_b128 v[1:4], v1 offset:624
	v_fma_f64 v[10:11], v[95:96], v[73:74], v[10:11]
	v_fma_f64 v[73:74], v[93:94], v[73:74], -v[75:76]
	s_waitcnt vmcnt(2) lgkmcnt(1)
	v_mul_f64 v[97:98], v[6:7], v[79:80]
	v_mul_f64 v[79:80], v[8:9], v[79:80]
	v_add_f64 v[75:76], v[89:90], 0
	v_add_f64 v[89:90], v[91:92], 0
	s_waitcnt vmcnt(1) lgkmcnt(0)
	v_mul_f64 v[91:92], v[1:2], v[83:84]
	v_mul_f64 v[83:84], v[3:4], v[83:84]
	v_fma_f64 v[8:9], v[8:9], v[77:78], v[97:98]
	v_fma_f64 v[6:7], v[6:7], v[77:78], -v[79:80]
	v_add_f64 v[73:74], v[75:76], v[73:74]
	v_add_f64 v[10:11], v[89:90], v[10:11]
	v_fma_f64 v[3:4], v[3:4], v[81:82], v[91:92]
	v_fma_f64 v[1:2], v[1:2], v[81:82], -v[83:84]
	s_delay_alu instid0(VALU_DEP_4) | instskip(NEXT) | instid1(VALU_DEP_4)
	v_add_f64 v[6:7], v[73:74], v[6:7]
	v_add_f64 v[8:9], v[10:11], v[8:9]
	s_delay_alu instid0(VALU_DEP_2) | instskip(NEXT) | instid1(VALU_DEP_2)
	v_add_f64 v[1:2], v[6:7], v[1:2]
	v_add_f64 v[3:4], v[8:9], v[3:4]
	s_waitcnt vmcnt(0)
	s_delay_alu instid0(VALU_DEP_2) | instskip(NEXT) | instid1(VALU_DEP_2)
	v_add_f64 v[1:2], v[85:86], -v[1:2]
	v_add_f64 v[3:4], v[87:88], -v[3:4]
	scratch_store_b128 off, v[1:4], off offset:240
	v_cmpx_lt_u32_e32 14, v53
	s_cbranch_execz .LBB19_105
; %bb.104:
	scratch_load_b128 v[1:4], v68, off
	v_mov_b32_e32 v6, 0
	s_delay_alu instid0(VALU_DEP_1)
	v_mov_b32_e32 v7, v6
	v_mov_b32_e32 v8, v6
	v_mov_b32_e32 v9, v6
	scratch_store_b128 off, v[6:9], off offset:224
	s_waitcnt vmcnt(0)
	ds_store_b128 v5, v[1:4]
.LBB19_105:
	s_or_b32 exec_lo, exec_lo, s2
	s_waitcnt lgkmcnt(0)
	s_waitcnt_vscnt null, 0x0
	s_barrier
	buffer_gl0_inv
	s_clause 0x5
	scratch_load_b128 v[6:9], off, off offset:240
	scratch_load_b128 v[73:76], off, off offset:256
	;; [unrolled: 1-line block ×6, first 2 shown]
	v_mov_b32_e32 v1, 0
	ds_load_b128 v[93:96], v1 offset:560
	ds_load_b128 v[97:100], v1 offset:576
	s_mov_b32 s2, exec_lo
	s_waitcnt vmcnt(5) lgkmcnt(1)
	v_mul_f64 v[2:3], v[95:96], v[8:9]
	v_mul_f64 v[8:9], v[93:94], v[8:9]
	s_waitcnt vmcnt(4) lgkmcnt(0)
	v_mul_f64 v[10:11], v[97:98], v[75:76]
	v_mul_f64 v[75:76], v[99:100], v[75:76]
	s_delay_alu instid0(VALU_DEP_4) | instskip(NEXT) | instid1(VALU_DEP_4)
	v_fma_f64 v[2:3], v[93:94], v[6:7], -v[2:3]
	v_fma_f64 v[101:102], v[95:96], v[6:7], v[8:9]
	ds_load_b128 v[6:9], v1 offset:592
	ds_load_b128 v[93:96], v1 offset:608
	v_fma_f64 v[10:11], v[99:100], v[73:74], v[10:11]
	v_fma_f64 v[73:74], v[97:98], v[73:74], -v[75:76]
	s_waitcnt vmcnt(3) lgkmcnt(1)
	v_mul_f64 v[103:104], v[6:7], v[79:80]
	v_mul_f64 v[79:80], v[8:9], v[79:80]
	s_waitcnt vmcnt(2) lgkmcnt(0)
	v_mul_f64 v[97:98], v[93:94], v[83:84]
	v_mul_f64 v[83:84], v[95:96], v[83:84]
	v_add_f64 v[2:3], v[2:3], 0
	v_add_f64 v[75:76], v[101:102], 0
	v_fma_f64 v[99:100], v[8:9], v[77:78], v[103:104]
	v_fma_f64 v[77:78], v[6:7], v[77:78], -v[79:80]
	ds_load_b128 v[6:9], v1 offset:624
	v_fma_f64 v[79:80], v[95:96], v[81:82], v[97:98]
	v_fma_f64 v[81:82], v[93:94], v[81:82], -v[83:84]
	v_add_f64 v[2:3], v[2:3], v[73:74]
	v_add_f64 v[10:11], v[75:76], v[10:11]
	s_waitcnt vmcnt(1) lgkmcnt(0)
	v_mul_f64 v[73:74], v[6:7], v[87:88]
	v_mul_f64 v[75:76], v[8:9], v[87:88]
	s_delay_alu instid0(VALU_DEP_4) | instskip(NEXT) | instid1(VALU_DEP_4)
	v_add_f64 v[2:3], v[2:3], v[77:78]
	v_add_f64 v[10:11], v[10:11], v[99:100]
	s_delay_alu instid0(VALU_DEP_4) | instskip(NEXT) | instid1(VALU_DEP_4)
	v_fma_f64 v[8:9], v[8:9], v[85:86], v[73:74]
	v_fma_f64 v[6:7], v[6:7], v[85:86], -v[75:76]
	s_delay_alu instid0(VALU_DEP_4) | instskip(NEXT) | instid1(VALU_DEP_4)
	v_add_f64 v[2:3], v[2:3], v[81:82]
	v_add_f64 v[10:11], v[10:11], v[79:80]
	s_delay_alu instid0(VALU_DEP_2) | instskip(NEXT) | instid1(VALU_DEP_2)
	v_add_f64 v[2:3], v[2:3], v[6:7]
	v_add_f64 v[8:9], v[10:11], v[8:9]
	s_waitcnt vmcnt(0)
	s_delay_alu instid0(VALU_DEP_2) | instskip(NEXT) | instid1(VALU_DEP_2)
	v_add_f64 v[6:7], v[89:90], -v[2:3]
	v_add_f64 v[8:9], v[91:92], -v[8:9]
	scratch_store_b128 off, v[6:9], off offset:224
	v_cmpx_lt_u32_e32 13, v53
	s_cbranch_execz .LBB19_107
; %bb.106:
	scratch_load_b128 v[6:9], v65, off
	v_mov_b32_e32 v2, v1
	v_mov_b32_e32 v3, v1
	;; [unrolled: 1-line block ×3, first 2 shown]
	scratch_store_b128 off, v[1:4], off offset:208
	s_waitcnt vmcnt(0)
	ds_store_b128 v5, v[6:9]
.LBB19_107:
	s_or_b32 exec_lo, exec_lo, s2
	s_waitcnt lgkmcnt(0)
	s_waitcnt_vscnt null, 0x0
	s_barrier
	buffer_gl0_inv
	s_clause 0x5
	scratch_load_b128 v[6:9], off, off offset:224
	scratch_load_b128 v[73:76], off, off offset:240
	;; [unrolled: 1-line block ×6, first 2 shown]
	ds_load_b128 v[93:96], v1 offset:544
	ds_load_b128 v[101:104], v1 offset:560
	scratch_load_b128 v[97:100], off, off offset:208
	s_mov_b32 s2, exec_lo
	s_waitcnt vmcnt(6) lgkmcnt(1)
	v_mul_f64 v[2:3], v[95:96], v[8:9]
	v_mul_f64 v[8:9], v[93:94], v[8:9]
	s_waitcnt vmcnt(5) lgkmcnt(0)
	v_mul_f64 v[10:11], v[101:102], v[75:76]
	v_mul_f64 v[75:76], v[103:104], v[75:76]
	s_delay_alu instid0(VALU_DEP_4) | instskip(NEXT) | instid1(VALU_DEP_4)
	v_fma_f64 v[2:3], v[93:94], v[6:7], -v[2:3]
	v_fma_f64 v[105:106], v[95:96], v[6:7], v[8:9]
	ds_load_b128 v[6:9], v1 offset:576
	ds_load_b128 v[93:96], v1 offset:592
	v_fma_f64 v[10:11], v[103:104], v[73:74], v[10:11]
	v_fma_f64 v[73:74], v[101:102], v[73:74], -v[75:76]
	s_waitcnt vmcnt(4) lgkmcnt(1)
	v_mul_f64 v[107:108], v[6:7], v[79:80]
	v_mul_f64 v[79:80], v[8:9], v[79:80]
	s_waitcnt vmcnt(3) lgkmcnt(0)
	v_mul_f64 v[101:102], v[93:94], v[83:84]
	v_mul_f64 v[83:84], v[95:96], v[83:84]
	v_add_f64 v[2:3], v[2:3], 0
	v_add_f64 v[75:76], v[105:106], 0
	v_fma_f64 v[103:104], v[8:9], v[77:78], v[107:108]
	v_fma_f64 v[77:78], v[6:7], v[77:78], -v[79:80]
	s_delay_alu instid0(VALU_DEP_4) | instskip(NEXT) | instid1(VALU_DEP_4)
	v_add_f64 v[73:74], v[2:3], v[73:74]
	v_add_f64 v[10:11], v[75:76], v[10:11]
	ds_load_b128 v[6:9], v1 offset:608
	ds_load_b128 v[1:4], v1 offset:624
	s_waitcnt vmcnt(2) lgkmcnt(1)
	v_mul_f64 v[75:76], v[6:7], v[87:88]
	v_mul_f64 v[79:80], v[8:9], v[87:88]
	v_fma_f64 v[87:88], v[95:96], v[81:82], v[101:102]
	v_fma_f64 v[81:82], v[93:94], v[81:82], -v[83:84]
	s_waitcnt vmcnt(1) lgkmcnt(0)
	v_mul_f64 v[83:84], v[3:4], v[91:92]
	v_add_f64 v[73:74], v[73:74], v[77:78]
	v_add_f64 v[10:11], v[10:11], v[103:104]
	v_mul_f64 v[77:78], v[1:2], v[91:92]
	v_fma_f64 v[8:9], v[8:9], v[85:86], v[75:76]
	v_fma_f64 v[6:7], v[6:7], v[85:86], -v[79:80]
	v_fma_f64 v[1:2], v[1:2], v[89:90], -v[83:84]
	v_add_f64 v[73:74], v[73:74], v[81:82]
	v_add_f64 v[10:11], v[10:11], v[87:88]
	v_fma_f64 v[3:4], v[3:4], v[89:90], v[77:78]
	s_delay_alu instid0(VALU_DEP_3) | instskip(NEXT) | instid1(VALU_DEP_3)
	v_add_f64 v[6:7], v[73:74], v[6:7]
	v_add_f64 v[8:9], v[10:11], v[8:9]
	s_delay_alu instid0(VALU_DEP_2) | instskip(NEXT) | instid1(VALU_DEP_2)
	v_add_f64 v[1:2], v[6:7], v[1:2]
	v_add_f64 v[3:4], v[8:9], v[3:4]
	s_waitcnt vmcnt(0)
	s_delay_alu instid0(VALU_DEP_2) | instskip(NEXT) | instid1(VALU_DEP_2)
	v_add_f64 v[1:2], v[97:98], -v[1:2]
	v_add_f64 v[3:4], v[99:100], -v[3:4]
	scratch_store_b128 off, v[1:4], off offset:208
	v_cmpx_lt_u32_e32 12, v53
	s_cbranch_execz .LBB19_109
; %bb.108:
	scratch_load_b128 v[1:4], v66, off
	v_mov_b32_e32 v6, 0
	s_delay_alu instid0(VALU_DEP_1)
	v_mov_b32_e32 v7, v6
	v_mov_b32_e32 v8, v6
	;; [unrolled: 1-line block ×3, first 2 shown]
	scratch_store_b128 off, v[6:9], off offset:192
	s_waitcnt vmcnt(0)
	ds_store_b128 v5, v[1:4]
.LBB19_109:
	s_or_b32 exec_lo, exec_lo, s2
	s_waitcnt lgkmcnt(0)
	s_waitcnt_vscnt null, 0x0
	s_barrier
	buffer_gl0_inv
	s_clause 0x6
	scratch_load_b128 v[6:9], off, off offset:208
	scratch_load_b128 v[73:76], off, off offset:224
	;; [unrolled: 1-line block ×7, first 2 shown]
	v_mov_b32_e32 v1, 0
	scratch_load_b128 v[101:104], off, off offset:192
	s_mov_b32 s2, exec_lo
	ds_load_b128 v[97:100], v1 offset:528
	ds_load_b128 v[105:108], v1 offset:544
	s_waitcnt vmcnt(7) lgkmcnt(1)
	v_mul_f64 v[2:3], v[99:100], v[8:9]
	v_mul_f64 v[8:9], v[97:98], v[8:9]
	s_waitcnt vmcnt(6) lgkmcnt(0)
	v_mul_f64 v[10:11], v[105:106], v[75:76]
	v_mul_f64 v[75:76], v[107:108], v[75:76]
	s_delay_alu instid0(VALU_DEP_4) | instskip(NEXT) | instid1(VALU_DEP_4)
	v_fma_f64 v[2:3], v[97:98], v[6:7], -v[2:3]
	v_fma_f64 v[109:110], v[99:100], v[6:7], v[8:9]
	ds_load_b128 v[6:9], v1 offset:560
	ds_load_b128 v[97:100], v1 offset:576
	v_fma_f64 v[10:11], v[107:108], v[73:74], v[10:11]
	v_fma_f64 v[73:74], v[105:106], v[73:74], -v[75:76]
	s_waitcnt vmcnt(5) lgkmcnt(1)
	v_mul_f64 v[111:112], v[6:7], v[79:80]
	v_mul_f64 v[79:80], v[8:9], v[79:80]
	s_waitcnt vmcnt(4) lgkmcnt(0)
	v_mul_f64 v[105:106], v[97:98], v[83:84]
	v_mul_f64 v[83:84], v[99:100], v[83:84]
	v_add_f64 v[2:3], v[2:3], 0
	v_add_f64 v[75:76], v[109:110], 0
	v_fma_f64 v[107:108], v[8:9], v[77:78], v[111:112]
	v_fma_f64 v[77:78], v[6:7], v[77:78], -v[79:80]
	v_fma_f64 v[99:100], v[99:100], v[81:82], v[105:106]
	v_fma_f64 v[81:82], v[97:98], v[81:82], -v[83:84]
	v_add_f64 v[2:3], v[2:3], v[73:74]
	v_add_f64 v[10:11], v[75:76], v[10:11]
	ds_load_b128 v[6:9], v1 offset:592
	ds_load_b128 v[73:76], v1 offset:608
	s_waitcnt vmcnt(3) lgkmcnt(1)
	v_mul_f64 v[79:80], v[6:7], v[87:88]
	v_mul_f64 v[87:88], v[8:9], v[87:88]
	s_waitcnt vmcnt(2) lgkmcnt(0)
	v_mul_f64 v[83:84], v[75:76], v[91:92]
	v_add_f64 v[2:3], v[2:3], v[77:78]
	v_add_f64 v[10:11], v[10:11], v[107:108]
	v_mul_f64 v[77:78], v[73:74], v[91:92]
	v_fma_f64 v[79:80], v[8:9], v[85:86], v[79:80]
	v_fma_f64 v[85:86], v[6:7], v[85:86], -v[87:88]
	ds_load_b128 v[6:9], v1 offset:624
	v_fma_f64 v[73:74], v[73:74], v[89:90], -v[83:84]
	v_add_f64 v[2:3], v[2:3], v[81:82]
	v_add_f64 v[10:11], v[10:11], v[99:100]
	v_fma_f64 v[75:76], v[75:76], v[89:90], v[77:78]
	s_waitcnt vmcnt(1) lgkmcnt(0)
	v_mul_f64 v[81:82], v[6:7], v[95:96]
	v_mul_f64 v[87:88], v[8:9], v[95:96]
	v_add_f64 v[2:3], v[2:3], v[85:86]
	v_add_f64 v[10:11], v[10:11], v[79:80]
	s_delay_alu instid0(VALU_DEP_4) | instskip(NEXT) | instid1(VALU_DEP_4)
	v_fma_f64 v[8:9], v[8:9], v[93:94], v[81:82]
	v_fma_f64 v[6:7], v[6:7], v[93:94], -v[87:88]
	s_delay_alu instid0(VALU_DEP_4) | instskip(NEXT) | instid1(VALU_DEP_4)
	v_add_f64 v[2:3], v[2:3], v[73:74]
	v_add_f64 v[10:11], v[10:11], v[75:76]
	s_delay_alu instid0(VALU_DEP_2) | instskip(NEXT) | instid1(VALU_DEP_2)
	v_add_f64 v[2:3], v[2:3], v[6:7]
	v_add_f64 v[8:9], v[10:11], v[8:9]
	s_waitcnt vmcnt(0)
	s_delay_alu instid0(VALU_DEP_2) | instskip(NEXT) | instid1(VALU_DEP_2)
	v_add_f64 v[6:7], v[101:102], -v[2:3]
	v_add_f64 v[8:9], v[103:104], -v[8:9]
	scratch_store_b128 off, v[6:9], off offset:192
	v_cmpx_lt_u32_e32 11, v53
	s_cbranch_execz .LBB19_111
; %bb.110:
	scratch_load_b128 v[6:9], v63, off
	v_mov_b32_e32 v2, v1
	v_mov_b32_e32 v3, v1
	;; [unrolled: 1-line block ×3, first 2 shown]
	scratch_store_b128 off, v[1:4], off offset:176
	s_waitcnt vmcnt(0)
	ds_store_b128 v5, v[6:9]
.LBB19_111:
	s_or_b32 exec_lo, exec_lo, s2
	s_waitcnt lgkmcnt(0)
	s_waitcnt_vscnt null, 0x0
	s_barrier
	buffer_gl0_inv
	s_clause 0x7
	scratch_load_b128 v[6:9], off, off offset:192
	scratch_load_b128 v[73:76], off, off offset:208
	scratch_load_b128 v[77:80], off, off offset:224
	scratch_load_b128 v[81:84], off, off offset:240
	scratch_load_b128 v[85:88], off, off offset:256
	scratch_load_b128 v[89:92], off, off offset:272
	scratch_load_b128 v[93:96], off, off offset:288
	scratch_load_b128 v[97:100], off, off offset:304
	ds_load_b128 v[101:104], v1 offset:512
	ds_load_b128 v[105:108], v1 offset:528
	scratch_load_b128 v[109:112], off, off offset:176
	s_mov_b32 s2, exec_lo
	s_waitcnt vmcnt(8) lgkmcnt(1)
	v_mul_f64 v[2:3], v[103:104], v[8:9]
	v_mul_f64 v[8:9], v[101:102], v[8:9]
	s_waitcnt vmcnt(7) lgkmcnt(0)
	v_mul_f64 v[10:11], v[105:106], v[75:76]
	v_mul_f64 v[75:76], v[107:108], v[75:76]
	s_delay_alu instid0(VALU_DEP_4) | instskip(NEXT) | instid1(VALU_DEP_4)
	v_fma_f64 v[2:3], v[101:102], v[6:7], -v[2:3]
	v_fma_f64 v[113:114], v[103:104], v[6:7], v[8:9]
	ds_load_b128 v[6:9], v1 offset:544
	ds_load_b128 v[101:104], v1 offset:560
	v_fma_f64 v[10:11], v[107:108], v[73:74], v[10:11]
	v_fma_f64 v[73:74], v[105:106], v[73:74], -v[75:76]
	s_waitcnt vmcnt(6) lgkmcnt(1)
	v_mul_f64 v[115:116], v[6:7], v[79:80]
	v_mul_f64 v[79:80], v[8:9], v[79:80]
	s_waitcnt vmcnt(5) lgkmcnt(0)
	v_mul_f64 v[105:106], v[101:102], v[83:84]
	v_mul_f64 v[83:84], v[103:104], v[83:84]
	v_add_f64 v[2:3], v[2:3], 0
	v_add_f64 v[75:76], v[113:114], 0
	v_fma_f64 v[107:108], v[8:9], v[77:78], v[115:116]
	v_fma_f64 v[77:78], v[6:7], v[77:78], -v[79:80]
	v_fma_f64 v[103:104], v[103:104], v[81:82], v[105:106]
	v_fma_f64 v[81:82], v[101:102], v[81:82], -v[83:84]
	v_add_f64 v[2:3], v[2:3], v[73:74]
	v_add_f64 v[10:11], v[75:76], v[10:11]
	ds_load_b128 v[6:9], v1 offset:576
	ds_load_b128 v[73:76], v1 offset:592
	s_waitcnt vmcnt(4) lgkmcnt(1)
	v_mul_f64 v[79:80], v[6:7], v[87:88]
	v_mul_f64 v[87:88], v[8:9], v[87:88]
	s_waitcnt vmcnt(3) lgkmcnt(0)
	v_mul_f64 v[83:84], v[75:76], v[91:92]
	v_add_f64 v[2:3], v[2:3], v[77:78]
	v_add_f64 v[10:11], v[10:11], v[107:108]
	v_mul_f64 v[77:78], v[73:74], v[91:92]
	v_fma_f64 v[79:80], v[8:9], v[85:86], v[79:80]
	v_fma_f64 v[85:86], v[6:7], v[85:86], -v[87:88]
	v_fma_f64 v[73:74], v[73:74], v[89:90], -v[83:84]
	v_add_f64 v[81:82], v[2:3], v[81:82]
	v_add_f64 v[10:11], v[10:11], v[103:104]
	ds_load_b128 v[6:9], v1 offset:608
	ds_load_b128 v[1:4], v1 offset:624
	v_fma_f64 v[75:76], v[75:76], v[89:90], v[77:78]
	s_waitcnt vmcnt(2) lgkmcnt(1)
	v_mul_f64 v[87:88], v[6:7], v[95:96]
	v_mul_f64 v[91:92], v[8:9], v[95:96]
	v_add_f64 v[77:78], v[81:82], v[85:86]
	v_add_f64 v[10:11], v[10:11], v[79:80]
	s_waitcnt vmcnt(1) lgkmcnt(0)
	v_mul_f64 v[79:80], v[1:2], v[99:100]
	v_mul_f64 v[81:82], v[3:4], v[99:100]
	v_fma_f64 v[8:9], v[8:9], v[93:94], v[87:88]
	v_fma_f64 v[6:7], v[6:7], v[93:94], -v[91:92]
	v_add_f64 v[73:74], v[77:78], v[73:74]
	v_add_f64 v[10:11], v[10:11], v[75:76]
	v_fma_f64 v[3:4], v[3:4], v[97:98], v[79:80]
	v_fma_f64 v[1:2], v[1:2], v[97:98], -v[81:82]
	s_delay_alu instid0(VALU_DEP_4) | instskip(NEXT) | instid1(VALU_DEP_4)
	v_add_f64 v[6:7], v[73:74], v[6:7]
	v_add_f64 v[8:9], v[10:11], v[8:9]
	s_delay_alu instid0(VALU_DEP_2) | instskip(NEXT) | instid1(VALU_DEP_2)
	v_add_f64 v[1:2], v[6:7], v[1:2]
	v_add_f64 v[3:4], v[8:9], v[3:4]
	s_waitcnt vmcnt(0)
	s_delay_alu instid0(VALU_DEP_2) | instskip(NEXT) | instid1(VALU_DEP_2)
	v_add_f64 v[1:2], v[109:110], -v[1:2]
	v_add_f64 v[3:4], v[111:112], -v[3:4]
	scratch_store_b128 off, v[1:4], off offset:176
	v_cmpx_lt_u32_e32 10, v53
	s_cbranch_execz .LBB19_113
; %bb.112:
	scratch_load_b128 v[1:4], v64, off
	v_mov_b32_e32 v6, 0
	s_delay_alu instid0(VALU_DEP_1)
	v_mov_b32_e32 v7, v6
	v_mov_b32_e32 v8, v6
	;; [unrolled: 1-line block ×3, first 2 shown]
	scratch_store_b128 off, v[6:9], off offset:160
	s_waitcnt vmcnt(0)
	ds_store_b128 v5, v[1:4]
.LBB19_113:
	s_or_b32 exec_lo, exec_lo, s2
	s_waitcnt lgkmcnt(0)
	s_waitcnt_vscnt null, 0x0
	s_barrier
	buffer_gl0_inv
	s_clause 0x7
	scratch_load_b128 v[6:9], off, off offset:176
	scratch_load_b128 v[73:76], off, off offset:192
	scratch_load_b128 v[77:80], off, off offset:208
	scratch_load_b128 v[81:84], off, off offset:224
	scratch_load_b128 v[85:88], off, off offset:240
	scratch_load_b128 v[89:92], off, off offset:256
	scratch_load_b128 v[93:96], off, off offset:272
	scratch_load_b128 v[97:100], off, off offset:288
	v_mov_b32_e32 v1, 0
	scratch_load_b128 v[105:108], off, off offset:304
	s_mov_b32 s2, exec_lo
	ds_load_b128 v[101:104], v1 offset:496
	s_waitcnt vmcnt(8) lgkmcnt(0)
	v_mul_f64 v[2:3], v[103:104], v[8:9]
	v_mul_f64 v[109:110], v[101:102], v[8:9]
	ds_load_b128 v[8:11], v1 offset:512
	v_fma_f64 v[2:3], v[101:102], v[6:7], -v[2:3]
	v_fma_f64 v[6:7], v[103:104], v[6:7], v[109:110]
	ds_load_b128 v[101:104], v1 offset:528
	s_waitcnt vmcnt(7) lgkmcnt(1)
	v_mul_f64 v[111:112], v[8:9], v[75:76]
	v_mul_f64 v[75:76], v[10:11], v[75:76]
	s_waitcnt vmcnt(6) lgkmcnt(0)
	v_mul_f64 v[109:110], v[101:102], v[79:80]
	v_mul_f64 v[79:80], v[103:104], v[79:80]
	v_add_f64 v[2:3], v[2:3], 0
	v_add_f64 v[113:114], v[6:7], 0
	v_fma_f64 v[10:11], v[10:11], v[73:74], v[111:112]
	v_fma_f64 v[111:112], v[8:9], v[73:74], -v[75:76]
	ds_load_b128 v[6:9], v1 offset:544
	scratch_load_b128 v[73:76], off, off offset:160
	v_fma_f64 v[103:104], v[103:104], v[77:78], v[109:110]
	v_fma_f64 v[101:102], v[101:102], v[77:78], -v[79:80]
	ds_load_b128 v[77:80], v1 offset:560
	s_waitcnt vmcnt(6) lgkmcnt(1)
	v_mul_f64 v[115:116], v[6:7], v[83:84]
	v_mul_f64 v[83:84], v[8:9], v[83:84]
	v_add_f64 v[10:11], v[113:114], v[10:11]
	v_add_f64 v[2:3], v[2:3], v[111:112]
	s_waitcnt vmcnt(5) lgkmcnt(0)
	v_mul_f64 v[109:110], v[77:78], v[87:88]
	v_mul_f64 v[87:88], v[79:80], v[87:88]
	v_fma_f64 v[111:112], v[8:9], v[81:82], v[115:116]
	v_fma_f64 v[81:82], v[6:7], v[81:82], -v[83:84]
	ds_load_b128 v[6:9], v1 offset:576
	v_add_f64 v[10:11], v[10:11], v[103:104]
	v_add_f64 v[2:3], v[2:3], v[101:102]
	v_fma_f64 v[101:102], v[79:80], v[85:86], v[109:110]
	v_fma_f64 v[85:86], v[77:78], v[85:86], -v[87:88]
	ds_load_b128 v[77:80], v1 offset:592
	s_waitcnt vmcnt(4) lgkmcnt(1)
	v_mul_f64 v[83:84], v[6:7], v[91:92]
	v_mul_f64 v[91:92], v[8:9], v[91:92]
	s_waitcnt vmcnt(3) lgkmcnt(0)
	v_mul_f64 v[87:88], v[79:80], v[95:96]
	v_add_f64 v[10:11], v[10:11], v[111:112]
	v_add_f64 v[2:3], v[2:3], v[81:82]
	v_mul_f64 v[81:82], v[77:78], v[95:96]
	v_fma_f64 v[83:84], v[8:9], v[89:90], v[83:84]
	v_fma_f64 v[89:90], v[6:7], v[89:90], -v[91:92]
	ds_load_b128 v[6:9], v1 offset:608
	v_fma_f64 v[87:88], v[77:78], v[93:94], -v[87:88]
	v_add_f64 v[10:11], v[10:11], v[101:102]
	v_add_f64 v[2:3], v[2:3], v[85:86]
	v_fma_f64 v[81:82], v[79:80], v[93:94], v[81:82]
	ds_load_b128 v[77:80], v1 offset:624
	s_waitcnt vmcnt(2) lgkmcnt(1)
	v_mul_f64 v[85:86], v[6:7], v[99:100]
	v_mul_f64 v[91:92], v[8:9], v[99:100]
	v_add_f64 v[10:11], v[10:11], v[83:84]
	v_add_f64 v[2:3], v[2:3], v[89:90]
	s_waitcnt vmcnt(1) lgkmcnt(0)
	v_mul_f64 v[83:84], v[77:78], v[107:108]
	v_mul_f64 v[89:90], v[79:80], v[107:108]
	v_fma_f64 v[8:9], v[8:9], v[97:98], v[85:86]
	v_fma_f64 v[6:7], v[6:7], v[97:98], -v[91:92]
	v_add_f64 v[10:11], v[10:11], v[81:82]
	v_add_f64 v[2:3], v[2:3], v[87:88]
	v_fma_f64 v[79:80], v[79:80], v[105:106], v[83:84]
	v_fma_f64 v[77:78], v[77:78], v[105:106], -v[89:90]
	s_delay_alu instid0(VALU_DEP_3) | instskip(SKIP_1) | instid1(VALU_DEP_2)
	v_add_f64 v[2:3], v[2:3], v[6:7]
	v_add_f64 v[6:7], v[10:11], v[8:9]
	;; [unrolled: 1-line block ×3, first 2 shown]
	s_delay_alu instid0(VALU_DEP_2) | instskip(SKIP_1) | instid1(VALU_DEP_2)
	v_add_f64 v[8:9], v[6:7], v[79:80]
	s_waitcnt vmcnt(0)
	v_add_f64 v[6:7], v[73:74], -v[2:3]
	s_delay_alu instid0(VALU_DEP_2)
	v_add_f64 v[8:9], v[75:76], -v[8:9]
	scratch_store_b128 off, v[6:9], off offset:160
	v_cmpx_lt_u32_e32 9, v53
	s_cbranch_execz .LBB19_115
; %bb.114:
	scratch_load_b128 v[6:9], v61, off
	v_mov_b32_e32 v2, v1
	v_mov_b32_e32 v3, v1
	v_mov_b32_e32 v4, v1
	scratch_store_b128 off, v[1:4], off offset:144
	s_waitcnt vmcnt(0)
	ds_store_b128 v5, v[6:9]
.LBB19_115:
	s_or_b32 exec_lo, exec_lo, s2
	s_waitcnt lgkmcnt(0)
	s_waitcnt_vscnt null, 0x0
	s_barrier
	buffer_gl0_inv
	s_clause 0x7
	scratch_load_b128 v[6:9], off, off offset:160
	scratch_load_b128 v[73:76], off, off offset:176
	;; [unrolled: 1-line block ×8, first 2 shown]
	ds_load_b128 v[101:104], v1 offset:480
	s_clause 0x1
	scratch_load_b128 v[105:108], off, off offset:288
	scratch_load_b128 v[109:112], off, off offset:304
	s_mov_b32 s2, exec_lo
	s_waitcnt vmcnt(9) lgkmcnt(0)
	v_mul_f64 v[2:3], v[103:104], v[8:9]
	v_mul_f64 v[113:114], v[101:102], v[8:9]
	ds_load_b128 v[8:11], v1 offset:496
	v_fma_f64 v[2:3], v[101:102], v[6:7], -v[2:3]
	v_fma_f64 v[6:7], v[103:104], v[6:7], v[113:114]
	ds_load_b128 v[101:104], v1 offset:512
	s_waitcnt vmcnt(8) lgkmcnt(1)
	v_mul_f64 v[115:116], v[8:9], v[75:76]
	v_mul_f64 v[75:76], v[10:11], v[75:76]
	s_waitcnt vmcnt(7) lgkmcnt(0)
	v_mul_f64 v[113:114], v[101:102], v[79:80]
	v_mul_f64 v[79:80], v[103:104], v[79:80]
	v_add_f64 v[2:3], v[2:3], 0
	v_fma_f64 v[10:11], v[10:11], v[73:74], v[115:116]
	v_fma_f64 v[73:74], v[8:9], v[73:74], -v[75:76]
	v_add_f64 v[75:76], v[6:7], 0
	ds_load_b128 v[6:9], v1 offset:528
	v_fma_f64 v[103:104], v[103:104], v[77:78], v[113:114]
	v_fma_f64 v[101:102], v[101:102], v[77:78], -v[79:80]
	scratch_load_b128 v[77:80], off, off offset:144
	v_add_f64 v[2:3], v[2:3], v[73:74]
	v_add_f64 v[10:11], v[75:76], v[10:11]
	ds_load_b128 v[73:76], v1 offset:544
	s_waitcnt vmcnt(7) lgkmcnt(1)
	v_mul_f64 v[115:116], v[6:7], v[83:84]
	v_mul_f64 v[83:84], v[8:9], v[83:84]
	s_waitcnt vmcnt(6) lgkmcnt(0)
	v_mul_f64 v[113:114], v[73:74], v[87:88]
	v_mul_f64 v[87:88], v[75:76], v[87:88]
	v_add_f64 v[2:3], v[2:3], v[101:102]
	v_add_f64 v[10:11], v[10:11], v[103:104]
	v_fma_f64 v[115:116], v[8:9], v[81:82], v[115:116]
	v_fma_f64 v[81:82], v[6:7], v[81:82], -v[83:84]
	ds_load_b128 v[6:9], v1 offset:560
	v_fma_f64 v[101:102], v[75:76], v[85:86], v[113:114]
	v_fma_f64 v[85:86], v[73:74], v[85:86], -v[87:88]
	ds_load_b128 v[73:76], v1 offset:576
	s_waitcnt vmcnt(5) lgkmcnt(1)
	v_mul_f64 v[83:84], v[6:7], v[91:92]
	v_mul_f64 v[91:92], v[8:9], v[91:92]
	v_add_f64 v[10:11], v[10:11], v[115:116]
	v_add_f64 v[2:3], v[2:3], v[81:82]
	s_waitcnt vmcnt(4) lgkmcnt(0)
	v_mul_f64 v[81:82], v[73:74], v[95:96]
	v_mul_f64 v[87:88], v[75:76], v[95:96]
	v_fma_f64 v[83:84], v[8:9], v[89:90], v[83:84]
	v_fma_f64 v[89:90], v[6:7], v[89:90], -v[91:92]
	ds_load_b128 v[6:9], v1 offset:592
	v_add_f64 v[10:11], v[10:11], v[101:102]
	v_add_f64 v[2:3], v[2:3], v[85:86]
	v_fma_f64 v[81:82], v[75:76], v[93:94], v[81:82]
	v_fma_f64 v[87:88], v[73:74], v[93:94], -v[87:88]
	ds_load_b128 v[73:76], v1 offset:608
	s_waitcnt vmcnt(3) lgkmcnt(1)
	v_mul_f64 v[85:86], v[6:7], v[99:100]
	v_mul_f64 v[91:92], v[8:9], v[99:100]
	v_add_f64 v[10:11], v[10:11], v[83:84]
	v_add_f64 v[2:3], v[2:3], v[89:90]
	s_waitcnt vmcnt(2) lgkmcnt(0)
	v_mul_f64 v[83:84], v[73:74], v[107:108]
	v_mul_f64 v[89:90], v[75:76], v[107:108]
	v_fma_f64 v[8:9], v[8:9], v[97:98], v[85:86]
	v_fma_f64 v[6:7], v[6:7], v[97:98], -v[91:92]
	v_add_f64 v[10:11], v[10:11], v[81:82]
	v_add_f64 v[85:86], v[2:3], v[87:88]
	ds_load_b128 v[1:4], v1 offset:624
	v_fma_f64 v[75:76], v[75:76], v[105:106], v[83:84]
	v_fma_f64 v[73:74], v[73:74], v[105:106], -v[89:90]
	s_waitcnt vmcnt(1) lgkmcnt(0)
	v_mul_f64 v[81:82], v[1:2], v[111:112]
	v_mul_f64 v[87:88], v[3:4], v[111:112]
	v_add_f64 v[8:9], v[10:11], v[8:9]
	v_add_f64 v[6:7], v[85:86], v[6:7]
	s_delay_alu instid0(VALU_DEP_4) | instskip(NEXT) | instid1(VALU_DEP_4)
	v_fma_f64 v[3:4], v[3:4], v[109:110], v[81:82]
	v_fma_f64 v[1:2], v[1:2], v[109:110], -v[87:88]
	s_delay_alu instid0(VALU_DEP_4) | instskip(NEXT) | instid1(VALU_DEP_4)
	v_add_f64 v[8:9], v[8:9], v[75:76]
	v_add_f64 v[6:7], v[6:7], v[73:74]
	s_delay_alu instid0(VALU_DEP_2) | instskip(NEXT) | instid1(VALU_DEP_2)
	v_add_f64 v[3:4], v[8:9], v[3:4]
	v_add_f64 v[1:2], v[6:7], v[1:2]
	s_waitcnt vmcnt(0)
	s_delay_alu instid0(VALU_DEP_2) | instskip(NEXT) | instid1(VALU_DEP_2)
	v_add_f64 v[3:4], v[79:80], -v[3:4]
	v_add_f64 v[1:2], v[77:78], -v[1:2]
	scratch_store_b128 off, v[1:4], off offset:144
	v_cmpx_lt_u32_e32 8, v53
	s_cbranch_execz .LBB19_117
; %bb.116:
	scratch_load_b128 v[1:4], v59, off
	v_mov_b32_e32 v6, 0
	s_delay_alu instid0(VALU_DEP_1)
	v_mov_b32_e32 v7, v6
	v_mov_b32_e32 v8, v6
	;; [unrolled: 1-line block ×3, first 2 shown]
	scratch_store_b128 off, v[6:9], off offset:128
	s_waitcnt vmcnt(0)
	ds_store_b128 v5, v[1:4]
.LBB19_117:
	s_or_b32 exec_lo, exec_lo, s2
	s_waitcnt lgkmcnt(0)
	s_waitcnt_vscnt null, 0x0
	s_barrier
	buffer_gl0_inv
	s_clause 0x7
	scratch_load_b128 v[6:9], off, off offset:144
	scratch_load_b128 v[73:76], off, off offset:160
	;; [unrolled: 1-line block ×8, first 2 shown]
	v_mov_b32_e32 v1, 0
	s_clause 0x1
	scratch_load_b128 v[105:108], off, off offset:272
	scratch_load_b128 v[109:112], off, off offset:288
	s_mov_b32 s2, exec_lo
	ds_load_b128 v[101:104], v1 offset:464
	s_waitcnt vmcnt(9) lgkmcnt(0)
	v_mul_f64 v[2:3], v[103:104], v[8:9]
	v_mul_f64 v[113:114], v[101:102], v[8:9]
	ds_load_b128 v[8:11], v1 offset:480
	v_fma_f64 v[2:3], v[101:102], v[6:7], -v[2:3]
	v_fma_f64 v[6:7], v[103:104], v[6:7], v[113:114]
	ds_load_b128 v[101:104], v1 offset:496
	s_waitcnt vmcnt(8) lgkmcnt(1)
	v_mul_f64 v[117:118], v[8:9], v[75:76]
	v_mul_f64 v[75:76], v[10:11], v[75:76]
	scratch_load_b128 v[113:116], off, off offset:304
	s_waitcnt vmcnt(8) lgkmcnt(0)
	v_mul_f64 v[119:120], v[101:102], v[79:80]
	v_mul_f64 v[79:80], v[103:104], v[79:80]
	v_add_f64 v[2:3], v[2:3], 0
	v_fma_f64 v[10:11], v[10:11], v[73:74], v[117:118]
	v_fma_f64 v[73:74], v[8:9], v[73:74], -v[75:76]
	v_add_f64 v[75:76], v[6:7], 0
	ds_load_b128 v[6:9], v1 offset:512
	v_fma_f64 v[103:104], v[103:104], v[77:78], v[119:120]
	v_fma_f64 v[77:78], v[101:102], v[77:78], -v[79:80]
	v_add_f64 v[2:3], v[2:3], v[73:74]
	v_add_f64 v[10:11], v[75:76], v[10:11]
	ds_load_b128 v[73:76], v1 offset:528
	s_waitcnt vmcnt(7) lgkmcnt(1)
	v_mul_f64 v[117:118], v[6:7], v[83:84]
	v_mul_f64 v[83:84], v[8:9], v[83:84]
	s_waitcnt vmcnt(6) lgkmcnt(0)
	v_mul_f64 v[101:102], v[73:74], v[87:88]
	v_mul_f64 v[87:88], v[75:76], v[87:88]
	v_add_f64 v[2:3], v[2:3], v[77:78]
	v_add_f64 v[10:11], v[10:11], v[103:104]
	scratch_load_b128 v[77:80], off, off offset:128
	v_fma_f64 v[117:118], v[8:9], v[81:82], v[117:118]
	v_fma_f64 v[81:82], v[6:7], v[81:82], -v[83:84]
	ds_load_b128 v[6:9], v1 offset:544
	v_fma_f64 v[101:102], v[75:76], v[85:86], v[101:102]
	v_fma_f64 v[85:86], v[73:74], v[85:86], -v[87:88]
	ds_load_b128 v[73:76], v1 offset:560
	s_waitcnt vmcnt(6) lgkmcnt(1)
	v_mul_f64 v[83:84], v[6:7], v[91:92]
	v_mul_f64 v[91:92], v[8:9], v[91:92]
	v_add_f64 v[10:11], v[10:11], v[117:118]
	v_add_f64 v[2:3], v[2:3], v[81:82]
	s_waitcnt vmcnt(5) lgkmcnt(0)
	v_mul_f64 v[81:82], v[73:74], v[95:96]
	v_mul_f64 v[87:88], v[75:76], v[95:96]
	v_fma_f64 v[83:84], v[8:9], v[89:90], v[83:84]
	v_fma_f64 v[89:90], v[6:7], v[89:90], -v[91:92]
	ds_load_b128 v[6:9], v1 offset:576
	v_add_f64 v[10:11], v[10:11], v[101:102]
	v_add_f64 v[2:3], v[2:3], v[85:86]
	v_fma_f64 v[81:82], v[75:76], v[93:94], v[81:82]
	v_fma_f64 v[87:88], v[73:74], v[93:94], -v[87:88]
	ds_load_b128 v[73:76], v1 offset:592
	s_waitcnt vmcnt(4) lgkmcnt(1)
	v_mul_f64 v[85:86], v[6:7], v[99:100]
	v_mul_f64 v[91:92], v[8:9], v[99:100]
	v_add_f64 v[10:11], v[10:11], v[83:84]
	v_add_f64 v[2:3], v[2:3], v[89:90]
	s_waitcnt vmcnt(3) lgkmcnt(0)
	v_mul_f64 v[83:84], v[73:74], v[107:108]
	v_mul_f64 v[89:90], v[75:76], v[107:108]
	v_fma_f64 v[85:86], v[8:9], v[97:98], v[85:86]
	v_fma_f64 v[91:92], v[6:7], v[97:98], -v[91:92]
	ds_load_b128 v[6:9], v1 offset:608
	v_add_f64 v[10:11], v[10:11], v[81:82]
	v_add_f64 v[2:3], v[2:3], v[87:88]
	v_fma_f64 v[83:84], v[75:76], v[105:106], v[83:84]
	v_fma_f64 v[89:90], v[73:74], v[105:106], -v[89:90]
	ds_load_b128 v[73:76], v1 offset:624
	s_waitcnt vmcnt(2) lgkmcnt(1)
	v_mul_f64 v[81:82], v[6:7], v[111:112]
	v_mul_f64 v[87:88], v[8:9], v[111:112]
	v_add_f64 v[10:11], v[10:11], v[85:86]
	v_add_f64 v[2:3], v[2:3], v[91:92]
	s_delay_alu instid0(VALU_DEP_4) | instskip(NEXT) | instid1(VALU_DEP_4)
	v_fma_f64 v[8:9], v[8:9], v[109:110], v[81:82]
	v_fma_f64 v[6:7], v[6:7], v[109:110], -v[87:88]
	s_waitcnt vmcnt(1) lgkmcnt(0)
	v_mul_f64 v[85:86], v[73:74], v[115:116]
	v_mul_f64 v[91:92], v[75:76], v[115:116]
	v_add_f64 v[10:11], v[10:11], v[83:84]
	v_add_f64 v[2:3], v[2:3], v[89:90]
	s_delay_alu instid0(VALU_DEP_4) | instskip(NEXT) | instid1(VALU_DEP_4)
	v_fma_f64 v[75:76], v[75:76], v[113:114], v[85:86]
	v_fma_f64 v[73:74], v[73:74], v[113:114], -v[91:92]
	s_delay_alu instid0(VALU_DEP_3) | instskip(SKIP_1) | instid1(VALU_DEP_2)
	v_add_f64 v[2:3], v[2:3], v[6:7]
	v_add_f64 v[6:7], v[10:11], v[8:9]
	;; [unrolled: 1-line block ×3, first 2 shown]
	s_delay_alu instid0(VALU_DEP_2) | instskip(SKIP_1) | instid1(VALU_DEP_2)
	v_add_f64 v[8:9], v[6:7], v[75:76]
	s_waitcnt vmcnt(0)
	v_add_f64 v[6:7], v[77:78], -v[2:3]
	s_delay_alu instid0(VALU_DEP_2)
	v_add_f64 v[8:9], v[79:80], -v[8:9]
	scratch_store_b128 off, v[6:9], off offset:128
	v_cmpx_lt_u32_e32 7, v53
	s_cbranch_execz .LBB19_119
; %bb.118:
	scratch_load_b128 v[6:9], v62, off
	v_mov_b32_e32 v2, v1
	v_mov_b32_e32 v3, v1
	v_mov_b32_e32 v4, v1
	scratch_store_b128 off, v[1:4], off offset:112
	s_waitcnt vmcnt(0)
	ds_store_b128 v5, v[6:9]
.LBB19_119:
	s_or_b32 exec_lo, exec_lo, s2
	s_waitcnt lgkmcnt(0)
	s_waitcnt_vscnt null, 0x0
	s_barrier
	buffer_gl0_inv
	s_clause 0x8
	scratch_load_b128 v[6:9], off, off offset:128
	scratch_load_b128 v[73:76], off, off offset:144
	;; [unrolled: 1-line block ×9, first 2 shown]
	ds_load_b128 v[105:108], v1 offset:448
	ds_load_b128 v[109:112], v1 offset:464
	scratch_load_b128 v[113:116], off, off offset:112
	s_mov_b32 s2, exec_lo
	ds_load_b128 v[121:124], v1 offset:496
	s_waitcnt vmcnt(9) lgkmcnt(2)
	v_mul_f64 v[2:3], v[107:108], v[8:9]
	v_mul_f64 v[117:118], v[105:106], v[8:9]
	scratch_load_b128 v[8:11], off, off offset:272
	s_waitcnt vmcnt(9) lgkmcnt(1)
	v_mul_f64 v[125:126], v[109:110], v[75:76]
	v_mul_f64 v[75:76], v[111:112], v[75:76]
	v_fma_f64 v[2:3], v[105:106], v[6:7], -v[2:3]
	v_fma_f64 v[6:7], v[107:108], v[6:7], v[117:118]
	ds_load_b128 v[105:108], v1 offset:480
	scratch_load_b128 v[117:120], off, off offset:288
	v_fma_f64 v[111:112], v[111:112], v[73:74], v[125:126]
	v_fma_f64 v[109:110], v[109:110], v[73:74], -v[75:76]
	scratch_load_b128 v[73:76], off, off offset:304
	s_waitcnt vmcnt(9) lgkmcnt(1)
	v_mul_f64 v[125:126], v[121:122], v[83:84]
	v_mul_f64 v[83:84], v[123:124], v[83:84]
	s_waitcnt lgkmcnt(0)
	v_mul_f64 v[127:128], v[105:106], v[79:80]
	v_mul_f64 v[79:80], v[107:108], v[79:80]
	v_add_f64 v[2:3], v[2:3], 0
	v_add_f64 v[6:7], v[6:7], 0
	s_delay_alu instid0(VALU_DEP_4) | instskip(NEXT) | instid1(VALU_DEP_4)
	v_fma_f64 v[127:128], v[107:108], v[77:78], v[127:128]
	v_fma_f64 v[129:130], v[105:106], v[77:78], -v[79:80]
	ds_load_b128 v[77:80], v1 offset:512
	ds_load_b128 v[105:108], v1 offset:528
	v_add_f64 v[2:3], v[2:3], v[109:110]
	v_add_f64 v[6:7], v[6:7], v[111:112]
	v_fma_f64 v[111:112], v[123:124], v[81:82], v[125:126]
	v_fma_f64 v[81:82], v[121:122], v[81:82], -v[83:84]
	s_waitcnt vmcnt(8) lgkmcnt(1)
	v_mul_f64 v[109:110], v[77:78], v[87:88]
	v_mul_f64 v[87:88], v[79:80], v[87:88]
	s_waitcnt vmcnt(7) lgkmcnt(0)
	v_mul_f64 v[121:122], v[105:106], v[91:92]
	v_mul_f64 v[91:92], v[107:108], v[91:92]
	v_add_f64 v[2:3], v[2:3], v[129:130]
	v_add_f64 v[6:7], v[6:7], v[127:128]
	v_fma_f64 v[109:110], v[79:80], v[85:86], v[109:110]
	v_fma_f64 v[85:86], v[77:78], v[85:86], -v[87:88]
	v_fma_f64 v[107:108], v[107:108], v[89:90], v[121:122]
	v_fma_f64 v[89:90], v[105:106], v[89:90], -v[91:92]
	v_add_f64 v[2:3], v[2:3], v[81:82]
	v_add_f64 v[6:7], v[6:7], v[111:112]
	ds_load_b128 v[77:80], v1 offset:544
	ds_load_b128 v[81:84], v1 offset:560
	s_waitcnt vmcnt(6) lgkmcnt(1)
	v_mul_f64 v[87:88], v[77:78], v[95:96]
	v_mul_f64 v[95:96], v[79:80], v[95:96]
	s_waitcnt vmcnt(5) lgkmcnt(0)
	v_mul_f64 v[91:92], v[81:82], v[99:100]
	v_mul_f64 v[99:100], v[83:84], v[99:100]
	v_add_f64 v[2:3], v[2:3], v[85:86]
	v_add_f64 v[6:7], v[6:7], v[109:110]
	v_fma_f64 v[105:106], v[79:80], v[93:94], v[87:88]
	v_fma_f64 v[93:94], v[77:78], v[93:94], -v[95:96]
	ds_load_b128 v[77:80], v1 offset:576
	ds_load_b128 v[85:88], v1 offset:592
	v_fma_f64 v[83:84], v[83:84], v[97:98], v[91:92]
	v_fma_f64 v[81:82], v[81:82], v[97:98], -v[99:100]
	v_add_f64 v[2:3], v[2:3], v[89:90]
	v_add_f64 v[6:7], v[6:7], v[107:108]
	s_waitcnt vmcnt(4) lgkmcnt(1)
	v_mul_f64 v[89:90], v[77:78], v[103:104]
	v_mul_f64 v[95:96], v[79:80], v[103:104]
	s_delay_alu instid0(VALU_DEP_4) | instskip(NEXT) | instid1(VALU_DEP_4)
	v_add_f64 v[2:3], v[2:3], v[93:94]
	v_add_f64 v[6:7], v[6:7], v[105:106]
	s_delay_alu instid0(VALU_DEP_4) | instskip(NEXT) | instid1(VALU_DEP_4)
	v_fma_f64 v[89:90], v[79:80], v[101:102], v[89:90]
	v_fma_f64 v[93:94], v[77:78], v[101:102], -v[95:96]
	s_waitcnt vmcnt(2) lgkmcnt(0)
	v_mul_f64 v[91:92], v[85:86], v[10:11]
	v_mul_f64 v[10:11], v[87:88], v[10:11]
	v_add_f64 v[81:82], v[2:3], v[81:82]
	v_add_f64 v[6:7], v[6:7], v[83:84]
	ds_load_b128 v[77:80], v1 offset:608
	ds_load_b128 v[1:4], v1 offset:624
	v_fma_f64 v[87:88], v[87:88], v[8:9], v[91:92]
	v_fma_f64 v[8:9], v[85:86], v[8:9], -v[10:11]
	s_waitcnt vmcnt(1) lgkmcnt(1)
	v_mul_f64 v[83:84], v[77:78], v[119:120]
	v_mul_f64 v[95:96], v[79:80], v[119:120]
	v_add_f64 v[10:11], v[81:82], v[93:94]
	v_add_f64 v[6:7], v[6:7], v[89:90]
	s_waitcnt vmcnt(0) lgkmcnt(0)
	v_mul_f64 v[81:82], v[1:2], v[75:76]
	v_mul_f64 v[75:76], v[3:4], v[75:76]
	v_fma_f64 v[79:80], v[79:80], v[117:118], v[83:84]
	v_fma_f64 v[77:78], v[77:78], v[117:118], -v[95:96]
	v_add_f64 v[8:9], v[10:11], v[8:9]
	v_add_f64 v[6:7], v[6:7], v[87:88]
	v_fma_f64 v[3:4], v[3:4], v[73:74], v[81:82]
	v_fma_f64 v[1:2], v[1:2], v[73:74], -v[75:76]
	s_delay_alu instid0(VALU_DEP_4) | instskip(NEXT) | instid1(VALU_DEP_4)
	v_add_f64 v[8:9], v[8:9], v[77:78]
	v_add_f64 v[6:7], v[6:7], v[79:80]
	s_delay_alu instid0(VALU_DEP_2) | instskip(NEXT) | instid1(VALU_DEP_2)
	v_add_f64 v[1:2], v[8:9], v[1:2]
	v_add_f64 v[3:4], v[6:7], v[3:4]
	s_delay_alu instid0(VALU_DEP_2) | instskip(NEXT) | instid1(VALU_DEP_2)
	v_add_f64 v[1:2], v[113:114], -v[1:2]
	v_add_f64 v[3:4], v[115:116], -v[3:4]
	scratch_store_b128 off, v[1:4], off offset:112
	v_cmpx_lt_u32_e32 6, v53
	s_cbranch_execz .LBB19_121
; %bb.120:
	scratch_load_b128 v[1:4], v54, off
	v_mov_b32_e32 v6, 0
	s_delay_alu instid0(VALU_DEP_1)
	v_mov_b32_e32 v7, v6
	v_mov_b32_e32 v8, v6
	;; [unrolled: 1-line block ×3, first 2 shown]
	scratch_store_b128 off, v[6:9], off offset:96
	s_waitcnt vmcnt(0)
	ds_store_b128 v5, v[1:4]
.LBB19_121:
	s_or_b32 exec_lo, exec_lo, s2
	s_waitcnt lgkmcnt(0)
	s_waitcnt_vscnt null, 0x0
	s_barrier
	buffer_gl0_inv
	s_clause 0x7
	scratch_load_b128 v[6:9], off, off offset:112
	scratch_load_b128 v[73:76], off, off offset:128
	;; [unrolled: 1-line block ×8, first 2 shown]
	v_mov_b32_e32 v1, 0
	s_mov_b32 s2, exec_lo
	ds_load_b128 v[101:104], v1 offset:432
	s_clause 0x1
	scratch_load_b128 v[105:108], off, off offset:240
	scratch_load_b128 v[109:112], off, off offset:96
	ds_load_b128 v[113:116], v1 offset:448
	ds_load_b128 v[121:124], v1 offset:480
	s_waitcnt vmcnt(9) lgkmcnt(2)
	v_mul_f64 v[2:3], v[103:104], v[8:9]
	v_mul_f64 v[117:118], v[101:102], v[8:9]
	scratch_load_b128 v[8:11], off, off offset:256
	v_fma_f64 v[2:3], v[101:102], v[6:7], -v[2:3]
	v_fma_f64 v[6:7], v[103:104], v[6:7], v[117:118]
	scratch_load_b128 v[117:120], off, off offset:272
	ds_load_b128 v[101:104], v1 offset:464
	s_waitcnt vmcnt(10) lgkmcnt(2)
	v_mul_f64 v[125:126], v[113:114], v[75:76]
	v_mul_f64 v[75:76], v[115:116], v[75:76]
	s_waitcnt vmcnt(9) lgkmcnt(0)
	v_mul_f64 v[127:128], v[101:102], v[79:80]
	v_mul_f64 v[79:80], v[103:104], v[79:80]
	v_add_f64 v[2:3], v[2:3], 0
	v_add_f64 v[6:7], v[6:7], 0
	v_fma_f64 v[115:116], v[115:116], v[73:74], v[125:126]
	v_fma_f64 v[113:114], v[113:114], v[73:74], -v[75:76]
	scratch_load_b128 v[73:76], off, off offset:288
	v_fma_f64 v[127:128], v[103:104], v[77:78], v[127:128]
	v_fma_f64 v[129:130], v[101:102], v[77:78], -v[79:80]
	scratch_load_b128 v[101:104], off, off offset:304
	ds_load_b128 v[77:80], v1 offset:496
	s_waitcnt vmcnt(10)
	v_mul_f64 v[125:126], v[121:122], v[83:84]
	v_mul_f64 v[83:84], v[123:124], v[83:84]
	v_add_f64 v[6:7], v[6:7], v[115:116]
	v_add_f64 v[2:3], v[2:3], v[113:114]
	ds_load_b128 v[113:116], v1 offset:512
	s_waitcnt vmcnt(9) lgkmcnt(1)
	v_mul_f64 v[131:132], v[77:78], v[87:88]
	v_mul_f64 v[87:88], v[79:80], v[87:88]
	v_fma_f64 v[123:124], v[123:124], v[81:82], v[125:126]
	v_fma_f64 v[81:82], v[121:122], v[81:82], -v[83:84]
	s_waitcnt vmcnt(8) lgkmcnt(0)
	v_mul_f64 v[121:122], v[113:114], v[91:92]
	v_mul_f64 v[91:92], v[115:116], v[91:92]
	v_add_f64 v[6:7], v[6:7], v[127:128]
	v_add_f64 v[2:3], v[2:3], v[129:130]
	v_fma_f64 v[125:126], v[79:80], v[85:86], v[131:132]
	v_fma_f64 v[85:86], v[77:78], v[85:86], -v[87:88]
	v_fma_f64 v[115:116], v[115:116], v[89:90], v[121:122]
	v_fma_f64 v[89:90], v[113:114], v[89:90], -v[91:92]
	v_add_f64 v[6:7], v[6:7], v[123:124]
	v_add_f64 v[2:3], v[2:3], v[81:82]
	ds_load_b128 v[77:80], v1 offset:528
	ds_load_b128 v[81:84], v1 offset:544
	s_waitcnt vmcnt(7) lgkmcnt(1)
	v_mul_f64 v[87:88], v[77:78], v[95:96]
	v_mul_f64 v[95:96], v[79:80], v[95:96]
	s_waitcnt vmcnt(6) lgkmcnt(0)
	v_mul_f64 v[91:92], v[81:82], v[99:100]
	v_mul_f64 v[99:100], v[83:84], v[99:100]
	v_add_f64 v[6:7], v[6:7], v[125:126]
	v_add_f64 v[2:3], v[2:3], v[85:86]
	v_fma_f64 v[113:114], v[79:80], v[93:94], v[87:88]
	v_fma_f64 v[93:94], v[77:78], v[93:94], -v[95:96]
	ds_load_b128 v[77:80], v1 offset:560
	ds_load_b128 v[85:88], v1 offset:576
	v_fma_f64 v[83:84], v[83:84], v[97:98], v[91:92]
	v_fma_f64 v[81:82], v[81:82], v[97:98], -v[99:100]
	v_add_f64 v[6:7], v[6:7], v[115:116]
	v_add_f64 v[2:3], v[2:3], v[89:90]
	s_waitcnt vmcnt(5) lgkmcnt(1)
	v_mul_f64 v[89:90], v[77:78], v[107:108]
	v_mul_f64 v[95:96], v[79:80], v[107:108]
	s_delay_alu instid0(VALU_DEP_4) | instskip(NEXT) | instid1(VALU_DEP_4)
	v_add_f64 v[6:7], v[6:7], v[113:114]
	v_add_f64 v[2:3], v[2:3], v[93:94]
	s_delay_alu instid0(VALU_DEP_4) | instskip(NEXT) | instid1(VALU_DEP_4)
	v_fma_f64 v[89:90], v[79:80], v[105:106], v[89:90]
	v_fma_f64 v[93:94], v[77:78], v[105:106], -v[95:96]
	s_waitcnt vmcnt(3) lgkmcnt(0)
	v_mul_f64 v[91:92], v[85:86], v[10:11]
	v_mul_f64 v[10:11], v[87:88], v[10:11]
	v_add_f64 v[6:7], v[6:7], v[83:84]
	v_add_f64 v[2:3], v[2:3], v[81:82]
	ds_load_b128 v[77:80], v1 offset:592
	ds_load_b128 v[81:84], v1 offset:608
	v_fma_f64 v[87:88], v[87:88], v[8:9], v[91:92]
	v_fma_f64 v[8:9], v[85:86], v[8:9], -v[10:11]
	s_waitcnt vmcnt(2) lgkmcnt(1)
	v_mul_f64 v[95:96], v[77:78], v[119:120]
	v_mul_f64 v[97:98], v[79:80], v[119:120]
	v_add_f64 v[6:7], v[6:7], v[89:90]
	v_add_f64 v[2:3], v[2:3], v[93:94]
	s_waitcnt vmcnt(1) lgkmcnt(0)
	v_mul_f64 v[10:11], v[81:82], v[75:76]
	v_mul_f64 v[75:76], v[83:84], v[75:76]
	v_fma_f64 v[79:80], v[79:80], v[117:118], v[95:96]
	v_fma_f64 v[77:78], v[77:78], v[117:118], -v[97:98]
	v_add_f64 v[85:86], v[6:7], v[87:88]
	v_add_f64 v[2:3], v[2:3], v[8:9]
	ds_load_b128 v[6:9], v1 offset:624
	v_fma_f64 v[10:11], v[83:84], v[73:74], v[10:11]
	v_fma_f64 v[73:74], v[81:82], v[73:74], -v[75:76]
	s_waitcnt vmcnt(0) lgkmcnt(0)
	v_mul_f64 v[87:88], v[6:7], v[103:104]
	v_mul_f64 v[89:90], v[8:9], v[103:104]
	v_add_f64 v[75:76], v[85:86], v[79:80]
	v_add_f64 v[2:3], v[2:3], v[77:78]
	s_delay_alu instid0(VALU_DEP_4) | instskip(NEXT) | instid1(VALU_DEP_4)
	v_fma_f64 v[8:9], v[8:9], v[101:102], v[87:88]
	v_fma_f64 v[6:7], v[6:7], v[101:102], -v[89:90]
	s_delay_alu instid0(VALU_DEP_4) | instskip(NEXT) | instid1(VALU_DEP_4)
	v_add_f64 v[10:11], v[75:76], v[10:11]
	v_add_f64 v[2:3], v[2:3], v[73:74]
	s_delay_alu instid0(VALU_DEP_2) | instskip(NEXT) | instid1(VALU_DEP_2)
	v_add_f64 v[8:9], v[10:11], v[8:9]
	v_add_f64 v[2:3], v[2:3], v[6:7]
	s_delay_alu instid0(VALU_DEP_2) | instskip(NEXT) | instid1(VALU_DEP_2)
	v_add_f64 v[8:9], v[111:112], -v[8:9]
	v_add_f64 v[6:7], v[109:110], -v[2:3]
	scratch_store_b128 off, v[6:9], off offset:96
	v_cmpx_lt_u32_e32 5, v53
	s_cbranch_execz .LBB19_123
; %bb.122:
	scratch_load_b128 v[6:9], v56, off
	v_mov_b32_e32 v2, v1
	v_mov_b32_e32 v3, v1
	;; [unrolled: 1-line block ×3, first 2 shown]
	scratch_store_b128 off, v[1:4], off offset:80
	s_waitcnt vmcnt(0)
	ds_store_b128 v5, v[6:9]
.LBB19_123:
	s_or_b32 exec_lo, exec_lo, s2
	s_waitcnt lgkmcnt(0)
	s_waitcnt_vscnt null, 0x0
	s_barrier
	buffer_gl0_inv
	s_clause 0x8
	scratch_load_b128 v[6:9], off, off offset:96
	scratch_load_b128 v[73:76], off, off offset:112
	;; [unrolled: 1-line block ×9, first 2 shown]
	ds_load_b128 v[105:108], v1 offset:416
	ds_load_b128 v[109:112], v1 offset:432
	scratch_load_b128 v[113:116], off, off offset:80
	s_mov_b32 s2, exec_lo
	ds_load_b128 v[121:124], v1 offset:464
	s_waitcnt vmcnt(9) lgkmcnt(2)
	v_mul_f64 v[2:3], v[107:108], v[8:9]
	v_mul_f64 v[117:118], v[105:106], v[8:9]
	scratch_load_b128 v[8:11], off, off offset:240
	s_waitcnt vmcnt(9) lgkmcnt(1)
	v_mul_f64 v[125:126], v[109:110], v[75:76]
	v_mul_f64 v[75:76], v[111:112], v[75:76]
	v_fma_f64 v[2:3], v[105:106], v[6:7], -v[2:3]
	v_fma_f64 v[6:7], v[107:108], v[6:7], v[117:118]
	ds_load_b128 v[105:108], v1 offset:448
	scratch_load_b128 v[117:120], off, off offset:256
	v_fma_f64 v[111:112], v[111:112], v[73:74], v[125:126]
	v_fma_f64 v[109:110], v[109:110], v[73:74], -v[75:76]
	scratch_load_b128 v[73:76], off, off offset:272
	s_waitcnt vmcnt(9) lgkmcnt(1)
	v_mul_f64 v[125:126], v[121:122], v[83:84]
	v_mul_f64 v[83:84], v[123:124], v[83:84]
	s_waitcnt lgkmcnt(0)
	v_mul_f64 v[127:128], v[105:106], v[79:80]
	v_mul_f64 v[79:80], v[107:108], v[79:80]
	v_add_f64 v[2:3], v[2:3], 0
	v_add_f64 v[6:7], v[6:7], 0
	v_fma_f64 v[123:124], v[123:124], v[81:82], v[125:126]
	v_fma_f64 v[121:122], v[121:122], v[81:82], -v[83:84]
	scratch_load_b128 v[81:84], off, off offset:304
	v_fma_f64 v[127:128], v[107:108], v[77:78], v[127:128]
	v_fma_f64 v[129:130], v[105:106], v[77:78], -v[79:80]
	ds_load_b128 v[77:80], v1 offset:480
	scratch_load_b128 v[105:108], off, off offset:288
	v_add_f64 v[2:3], v[2:3], v[109:110]
	v_add_f64 v[6:7], v[6:7], v[111:112]
	ds_load_b128 v[109:112], v1 offset:496
	s_waitcnt vmcnt(10) lgkmcnt(1)
	v_mul_f64 v[131:132], v[77:78], v[87:88]
	v_mul_f64 v[87:88], v[79:80], v[87:88]
	s_waitcnt vmcnt(9) lgkmcnt(0)
	v_mul_f64 v[125:126], v[109:110], v[91:92]
	v_mul_f64 v[91:92], v[111:112], v[91:92]
	v_add_f64 v[2:3], v[2:3], v[129:130]
	v_add_f64 v[6:7], v[6:7], v[127:128]
	v_fma_f64 v[127:128], v[79:80], v[85:86], v[131:132]
	v_fma_f64 v[129:130], v[77:78], v[85:86], -v[87:88]
	ds_load_b128 v[77:80], v1 offset:512
	ds_load_b128 v[85:88], v1 offset:528
	v_fma_f64 v[111:112], v[111:112], v[89:90], v[125:126]
	v_fma_f64 v[89:90], v[109:110], v[89:90], -v[91:92]
	s_waitcnt vmcnt(7) lgkmcnt(0)
	v_mul_f64 v[109:110], v[85:86], v[99:100]
	v_mul_f64 v[99:100], v[87:88], v[99:100]
	v_add_f64 v[2:3], v[2:3], v[121:122]
	v_add_f64 v[6:7], v[6:7], v[123:124]
	v_mul_f64 v[121:122], v[77:78], v[95:96]
	v_mul_f64 v[95:96], v[79:80], v[95:96]
	v_fma_f64 v[87:88], v[87:88], v[97:98], v[109:110]
	v_fma_f64 v[85:86], v[85:86], v[97:98], -v[99:100]
	v_add_f64 v[2:3], v[2:3], v[129:130]
	v_add_f64 v[6:7], v[6:7], v[127:128]
	v_fma_f64 v[121:122], v[79:80], v[93:94], v[121:122]
	v_fma_f64 v[93:94], v[77:78], v[93:94], -v[95:96]
	s_delay_alu instid0(VALU_DEP_4) | instskip(NEXT) | instid1(VALU_DEP_4)
	v_add_f64 v[2:3], v[2:3], v[89:90]
	v_add_f64 v[6:7], v[6:7], v[111:112]
	ds_load_b128 v[77:80], v1 offset:544
	ds_load_b128 v[89:92], v1 offset:560
	s_waitcnt vmcnt(6) lgkmcnt(1)
	v_mul_f64 v[95:96], v[77:78], v[103:104]
	v_mul_f64 v[103:104], v[79:80], v[103:104]
	v_add_f64 v[2:3], v[2:3], v[93:94]
	v_add_f64 v[6:7], v[6:7], v[121:122]
	s_waitcnt vmcnt(4) lgkmcnt(0)
	v_mul_f64 v[93:94], v[89:90], v[10:11]
	v_mul_f64 v[10:11], v[91:92], v[10:11]
	v_fma_f64 v[95:96], v[79:80], v[101:102], v[95:96]
	v_fma_f64 v[97:98], v[77:78], v[101:102], -v[103:104]
	v_add_f64 v[2:3], v[2:3], v[85:86]
	v_add_f64 v[6:7], v[6:7], v[87:88]
	ds_load_b128 v[77:80], v1 offset:576
	ds_load_b128 v[85:88], v1 offset:592
	v_fma_f64 v[91:92], v[91:92], v[8:9], v[93:94]
	v_fma_f64 v[8:9], v[89:90], v[8:9], -v[10:11]
	s_waitcnt vmcnt(3) lgkmcnt(1)
	v_mul_f64 v[99:100], v[77:78], v[119:120]
	v_mul_f64 v[101:102], v[79:80], v[119:120]
	s_waitcnt vmcnt(2) lgkmcnt(0)
	v_mul_f64 v[10:11], v[85:86], v[75:76]
	v_mul_f64 v[75:76], v[87:88], v[75:76]
	v_add_f64 v[2:3], v[2:3], v[97:98]
	v_add_f64 v[6:7], v[6:7], v[95:96]
	v_fma_f64 v[79:80], v[79:80], v[117:118], v[99:100]
	v_fma_f64 v[77:78], v[77:78], v[117:118], -v[101:102]
	v_fma_f64 v[10:11], v[87:88], v[73:74], v[10:11]
	v_fma_f64 v[73:74], v[85:86], v[73:74], -v[75:76]
	v_add_f64 v[89:90], v[2:3], v[8:9]
	v_add_f64 v[91:92], v[6:7], v[91:92]
	ds_load_b128 v[6:9], v1 offset:608
	ds_load_b128 v[1:4], v1 offset:624
	s_waitcnt vmcnt(0) lgkmcnt(1)
	v_mul_f64 v[93:94], v[6:7], v[107:108]
	v_mul_f64 v[95:96], v[8:9], v[107:108]
	v_add_f64 v[75:76], v[89:90], v[77:78]
	v_add_f64 v[77:78], v[91:92], v[79:80]
	s_waitcnt lgkmcnt(0)
	v_mul_f64 v[79:80], v[1:2], v[83:84]
	v_mul_f64 v[83:84], v[3:4], v[83:84]
	v_fma_f64 v[8:9], v[8:9], v[105:106], v[93:94]
	v_fma_f64 v[6:7], v[6:7], v[105:106], -v[95:96]
	v_add_f64 v[73:74], v[75:76], v[73:74]
	v_add_f64 v[10:11], v[77:78], v[10:11]
	v_fma_f64 v[3:4], v[3:4], v[81:82], v[79:80]
	v_fma_f64 v[1:2], v[1:2], v[81:82], -v[83:84]
	s_delay_alu instid0(VALU_DEP_4) | instskip(NEXT) | instid1(VALU_DEP_4)
	v_add_f64 v[6:7], v[73:74], v[6:7]
	v_add_f64 v[8:9], v[10:11], v[8:9]
	s_delay_alu instid0(VALU_DEP_2) | instskip(NEXT) | instid1(VALU_DEP_2)
	v_add_f64 v[1:2], v[6:7], v[1:2]
	v_add_f64 v[3:4], v[8:9], v[3:4]
	s_delay_alu instid0(VALU_DEP_2) | instskip(NEXT) | instid1(VALU_DEP_2)
	v_add_f64 v[1:2], v[113:114], -v[1:2]
	v_add_f64 v[3:4], v[115:116], -v[3:4]
	scratch_store_b128 off, v[1:4], off offset:80
	v_cmpx_lt_u32_e32 4, v53
	s_cbranch_execz .LBB19_125
; %bb.124:
	scratch_load_b128 v[1:4], v55, off
	v_mov_b32_e32 v6, 0
	s_delay_alu instid0(VALU_DEP_1)
	v_mov_b32_e32 v7, v6
	v_mov_b32_e32 v8, v6
	;; [unrolled: 1-line block ×3, first 2 shown]
	scratch_store_b128 off, v[6:9], off offset:64
	s_waitcnt vmcnt(0)
	ds_store_b128 v5, v[1:4]
.LBB19_125:
	s_or_b32 exec_lo, exec_lo, s2
	s_waitcnt lgkmcnt(0)
	s_waitcnt_vscnt null, 0x0
	s_barrier
	buffer_gl0_inv
	s_clause 0x7
	scratch_load_b128 v[6:9], off, off offset:80
	scratch_load_b128 v[73:76], off, off offset:96
	;; [unrolled: 1-line block ×8, first 2 shown]
	v_mov_b32_e32 v1, 0
	s_mov_b32 s2, exec_lo
	ds_load_b128 v[101:104], v1 offset:400
	s_clause 0x1
	scratch_load_b128 v[105:108], off, off offset:208
	scratch_load_b128 v[109:112], off, off offset:64
	ds_load_b128 v[113:116], v1 offset:416
	ds_load_b128 v[121:124], v1 offset:448
	s_waitcnt vmcnt(9) lgkmcnt(2)
	v_mul_f64 v[2:3], v[103:104], v[8:9]
	v_mul_f64 v[117:118], v[101:102], v[8:9]
	scratch_load_b128 v[8:11], off, off offset:224
	v_fma_f64 v[2:3], v[101:102], v[6:7], -v[2:3]
	v_fma_f64 v[6:7], v[103:104], v[6:7], v[117:118]
	scratch_load_b128 v[117:120], off, off offset:240
	ds_load_b128 v[101:104], v1 offset:432
	s_waitcnt vmcnt(10) lgkmcnt(2)
	v_mul_f64 v[125:126], v[113:114], v[75:76]
	v_mul_f64 v[75:76], v[115:116], v[75:76]
	s_waitcnt vmcnt(9) lgkmcnt(0)
	v_mul_f64 v[127:128], v[101:102], v[79:80]
	v_mul_f64 v[79:80], v[103:104], v[79:80]
	v_add_f64 v[2:3], v[2:3], 0
	v_add_f64 v[6:7], v[6:7], 0
	v_fma_f64 v[115:116], v[115:116], v[73:74], v[125:126]
	v_fma_f64 v[113:114], v[113:114], v[73:74], -v[75:76]
	scratch_load_b128 v[73:76], off, off offset:256
	v_fma_f64 v[127:128], v[103:104], v[77:78], v[127:128]
	v_fma_f64 v[129:130], v[101:102], v[77:78], -v[79:80]
	scratch_load_b128 v[101:104], off, off offset:272
	ds_load_b128 v[77:80], v1 offset:464
	s_waitcnt vmcnt(10)
	v_mul_f64 v[125:126], v[121:122], v[83:84]
	v_mul_f64 v[83:84], v[123:124], v[83:84]
	v_add_f64 v[6:7], v[6:7], v[115:116]
	v_add_f64 v[2:3], v[2:3], v[113:114]
	ds_load_b128 v[113:116], v1 offset:480
	s_waitcnt vmcnt(9) lgkmcnt(1)
	v_mul_f64 v[131:132], v[77:78], v[87:88]
	v_mul_f64 v[87:88], v[79:80], v[87:88]
	v_fma_f64 v[123:124], v[123:124], v[81:82], v[125:126]
	v_fma_f64 v[121:122], v[121:122], v[81:82], -v[83:84]
	scratch_load_b128 v[81:84], off, off offset:288
	v_add_f64 v[6:7], v[6:7], v[127:128]
	v_add_f64 v[2:3], v[2:3], v[129:130]
	v_fma_f64 v[127:128], v[79:80], v[85:86], v[131:132]
	v_fma_f64 v[129:130], v[77:78], v[85:86], -v[87:88]
	scratch_load_b128 v[85:88], off, off offset:304
	ds_load_b128 v[77:80], v1 offset:496
	s_waitcnt vmcnt(10) lgkmcnt(1)
	v_mul_f64 v[125:126], v[113:114], v[91:92]
	v_mul_f64 v[91:92], v[115:116], v[91:92]
	s_waitcnt vmcnt(9) lgkmcnt(0)
	v_mul_f64 v[131:132], v[77:78], v[95:96]
	v_mul_f64 v[95:96], v[79:80], v[95:96]
	v_add_f64 v[6:7], v[6:7], v[123:124]
	v_add_f64 v[2:3], v[2:3], v[121:122]
	ds_load_b128 v[121:124], v1 offset:512
	v_fma_f64 v[115:116], v[115:116], v[89:90], v[125:126]
	v_fma_f64 v[89:90], v[113:114], v[89:90], -v[91:92]
	s_waitcnt vmcnt(8) lgkmcnt(0)
	v_mul_f64 v[113:114], v[121:122], v[99:100]
	v_mul_f64 v[99:100], v[123:124], v[99:100]
	v_fma_f64 v[125:126], v[79:80], v[93:94], v[131:132]
	v_fma_f64 v[93:94], v[77:78], v[93:94], -v[95:96]
	v_add_f64 v[6:7], v[6:7], v[127:128]
	v_add_f64 v[2:3], v[2:3], v[129:130]
	v_fma_f64 v[113:114], v[123:124], v[97:98], v[113:114]
	v_fma_f64 v[97:98], v[121:122], v[97:98], -v[99:100]
	s_delay_alu instid0(VALU_DEP_4) | instskip(NEXT) | instid1(VALU_DEP_4)
	v_add_f64 v[6:7], v[6:7], v[115:116]
	v_add_f64 v[2:3], v[2:3], v[89:90]
	ds_load_b128 v[77:80], v1 offset:528
	ds_load_b128 v[89:92], v1 offset:544
	s_waitcnt vmcnt(7) lgkmcnt(1)
	v_mul_f64 v[95:96], v[77:78], v[107:108]
	v_mul_f64 v[107:108], v[79:80], v[107:108]
	v_add_f64 v[6:7], v[6:7], v[125:126]
	v_add_f64 v[2:3], v[2:3], v[93:94]
	s_waitcnt vmcnt(5) lgkmcnt(0)
	v_mul_f64 v[99:100], v[89:90], v[10:11]
	v_mul_f64 v[10:11], v[91:92], v[10:11]
	v_fma_f64 v[115:116], v[79:80], v[105:106], v[95:96]
	v_fma_f64 v[105:106], v[77:78], v[105:106], -v[107:108]
	ds_load_b128 v[77:80], v1 offset:560
	ds_load_b128 v[93:96], v1 offset:576
	v_add_f64 v[6:7], v[6:7], v[113:114]
	v_add_f64 v[2:3], v[2:3], v[97:98]
	s_waitcnt vmcnt(4) lgkmcnt(1)
	v_mul_f64 v[97:98], v[77:78], v[119:120]
	v_mul_f64 v[107:108], v[79:80], v[119:120]
	v_fma_f64 v[91:92], v[91:92], v[8:9], v[99:100]
	v_fma_f64 v[8:9], v[89:90], v[8:9], -v[10:11]
	v_add_f64 v[6:7], v[6:7], v[115:116]
	v_add_f64 v[2:3], v[2:3], v[105:106]
	v_fma_f64 v[79:80], v[79:80], v[117:118], v[97:98]
	v_fma_f64 v[97:98], v[77:78], v[117:118], -v[107:108]
	s_waitcnt vmcnt(3) lgkmcnt(0)
	v_mul_f64 v[10:11], v[93:94], v[75:76]
	v_mul_f64 v[89:90], v[95:96], v[75:76]
	v_add_f64 v[91:92], v[6:7], v[91:92]
	v_add_f64 v[2:3], v[2:3], v[8:9]
	ds_load_b128 v[6:9], v1 offset:592
	ds_load_b128 v[75:78], v1 offset:608
	v_fma_f64 v[10:11], v[95:96], v[73:74], v[10:11]
	v_fma_f64 v[73:74], v[93:94], v[73:74], -v[89:90]
	s_waitcnt vmcnt(2) lgkmcnt(1)
	v_mul_f64 v[99:100], v[6:7], v[103:104]
	v_mul_f64 v[103:104], v[8:9], v[103:104]
	v_add_f64 v[79:80], v[91:92], v[79:80]
	v_add_f64 v[2:3], v[2:3], v[97:98]
	s_waitcnt vmcnt(1) lgkmcnt(0)
	v_mul_f64 v[89:90], v[75:76], v[83:84]
	v_mul_f64 v[83:84], v[77:78], v[83:84]
	v_fma_f64 v[91:92], v[8:9], v[101:102], v[99:100]
	v_fma_f64 v[93:94], v[6:7], v[101:102], -v[103:104]
	ds_load_b128 v[6:9], v1 offset:624
	v_add_f64 v[10:11], v[79:80], v[10:11]
	v_add_f64 v[2:3], v[2:3], v[73:74]
	v_fma_f64 v[77:78], v[77:78], v[81:82], v[89:90]
	v_fma_f64 v[75:76], v[75:76], v[81:82], -v[83:84]
	s_waitcnt vmcnt(0) lgkmcnt(0)
	v_mul_f64 v[73:74], v[6:7], v[87:88]
	v_mul_f64 v[79:80], v[8:9], v[87:88]
	v_add_f64 v[10:11], v[10:11], v[91:92]
	v_add_f64 v[2:3], v[2:3], v[93:94]
	s_delay_alu instid0(VALU_DEP_4) | instskip(NEXT) | instid1(VALU_DEP_4)
	v_fma_f64 v[8:9], v[8:9], v[85:86], v[73:74]
	v_fma_f64 v[6:7], v[6:7], v[85:86], -v[79:80]
	s_delay_alu instid0(VALU_DEP_4) | instskip(NEXT) | instid1(VALU_DEP_4)
	v_add_f64 v[10:11], v[10:11], v[77:78]
	v_add_f64 v[2:3], v[2:3], v[75:76]
	s_delay_alu instid0(VALU_DEP_2) | instskip(NEXT) | instid1(VALU_DEP_2)
	v_add_f64 v[8:9], v[10:11], v[8:9]
	v_add_f64 v[2:3], v[2:3], v[6:7]
	s_delay_alu instid0(VALU_DEP_2) | instskip(NEXT) | instid1(VALU_DEP_2)
	v_add_f64 v[8:9], v[111:112], -v[8:9]
	v_add_f64 v[6:7], v[109:110], -v[2:3]
	scratch_store_b128 off, v[6:9], off offset:64
	v_cmpx_lt_u32_e32 3, v53
	s_cbranch_execz .LBB19_127
; %bb.126:
	scratch_load_b128 v[6:9], v57, off
	v_mov_b32_e32 v2, v1
	v_mov_b32_e32 v3, v1
	;; [unrolled: 1-line block ×3, first 2 shown]
	scratch_store_b128 off, v[1:4], off offset:48
	s_waitcnt vmcnt(0)
	ds_store_b128 v5, v[6:9]
.LBB19_127:
	s_or_b32 exec_lo, exec_lo, s2
	s_waitcnt lgkmcnt(0)
	s_waitcnt_vscnt null, 0x0
	s_barrier
	buffer_gl0_inv
	s_clause 0x8
	scratch_load_b128 v[6:9], off, off offset:64
	scratch_load_b128 v[73:76], off, off offset:80
	;; [unrolled: 1-line block ×9, first 2 shown]
	ds_load_b128 v[105:108], v1 offset:384
	ds_load_b128 v[109:112], v1 offset:400
	scratch_load_b128 v[113:116], off, off offset:48
	s_mov_b32 s2, exec_lo
	ds_load_b128 v[121:124], v1 offset:432
	s_waitcnt vmcnt(9) lgkmcnt(2)
	v_mul_f64 v[2:3], v[107:108], v[8:9]
	v_mul_f64 v[117:118], v[105:106], v[8:9]
	scratch_load_b128 v[8:11], off, off offset:208
	s_waitcnt vmcnt(9) lgkmcnt(1)
	v_mul_f64 v[125:126], v[109:110], v[75:76]
	v_mul_f64 v[75:76], v[111:112], v[75:76]
	v_fma_f64 v[2:3], v[105:106], v[6:7], -v[2:3]
	v_fma_f64 v[6:7], v[107:108], v[6:7], v[117:118]
	ds_load_b128 v[105:108], v1 offset:416
	scratch_load_b128 v[117:120], off, off offset:224
	v_fma_f64 v[111:112], v[111:112], v[73:74], v[125:126]
	v_fma_f64 v[109:110], v[109:110], v[73:74], -v[75:76]
	scratch_load_b128 v[73:76], off, off offset:240
	s_waitcnt vmcnt(9) lgkmcnt(1)
	v_mul_f64 v[125:126], v[121:122], v[83:84]
	v_mul_f64 v[83:84], v[123:124], v[83:84]
	s_waitcnt lgkmcnt(0)
	v_mul_f64 v[127:128], v[105:106], v[79:80]
	v_mul_f64 v[79:80], v[107:108], v[79:80]
	v_add_f64 v[2:3], v[2:3], 0
	v_add_f64 v[6:7], v[6:7], 0
	v_fma_f64 v[123:124], v[123:124], v[81:82], v[125:126]
	v_fma_f64 v[121:122], v[121:122], v[81:82], -v[83:84]
	scratch_load_b128 v[81:84], off, off offset:272
	v_fma_f64 v[127:128], v[107:108], v[77:78], v[127:128]
	v_fma_f64 v[129:130], v[105:106], v[77:78], -v[79:80]
	ds_load_b128 v[77:80], v1 offset:448
	scratch_load_b128 v[105:108], off, off offset:256
	v_add_f64 v[2:3], v[2:3], v[109:110]
	v_add_f64 v[6:7], v[6:7], v[111:112]
	ds_load_b128 v[109:112], v1 offset:464
	s_waitcnt vmcnt(10) lgkmcnt(1)
	v_mul_f64 v[131:132], v[77:78], v[87:88]
	v_mul_f64 v[87:88], v[79:80], v[87:88]
	s_waitcnt vmcnt(9) lgkmcnt(0)
	v_mul_f64 v[125:126], v[109:110], v[91:92]
	v_mul_f64 v[91:92], v[111:112], v[91:92]
	v_add_f64 v[2:3], v[2:3], v[129:130]
	v_add_f64 v[6:7], v[6:7], v[127:128]
	v_fma_f64 v[127:128], v[79:80], v[85:86], v[131:132]
	v_fma_f64 v[129:130], v[77:78], v[85:86], -v[87:88]
	ds_load_b128 v[77:80], v1 offset:480
	scratch_load_b128 v[85:88], off, off offset:288
	v_fma_f64 v[111:112], v[111:112], v[89:90], v[125:126]
	v_fma_f64 v[109:110], v[109:110], v[89:90], -v[91:92]
	scratch_load_b128 v[89:92], off, off offset:304
	v_add_f64 v[2:3], v[2:3], v[121:122]
	v_add_f64 v[6:7], v[6:7], v[123:124]
	ds_load_b128 v[121:124], v1 offset:496
	s_waitcnt vmcnt(10) lgkmcnt(1)
	v_mul_f64 v[131:132], v[77:78], v[95:96]
	v_mul_f64 v[95:96], v[79:80], v[95:96]
	s_waitcnt vmcnt(9) lgkmcnt(0)
	v_mul_f64 v[125:126], v[121:122], v[99:100]
	v_mul_f64 v[99:100], v[123:124], v[99:100]
	v_add_f64 v[2:3], v[2:3], v[129:130]
	v_add_f64 v[6:7], v[6:7], v[127:128]
	v_fma_f64 v[127:128], v[79:80], v[93:94], v[131:132]
	v_fma_f64 v[129:130], v[77:78], v[93:94], -v[95:96]
	ds_load_b128 v[77:80], v1 offset:512
	ds_load_b128 v[93:96], v1 offset:528
	v_add_f64 v[2:3], v[2:3], v[109:110]
	v_add_f64 v[6:7], v[6:7], v[111:112]
	s_waitcnt vmcnt(8) lgkmcnt(1)
	v_mul_f64 v[109:110], v[77:78], v[103:104]
	v_mul_f64 v[103:104], v[79:80], v[103:104]
	v_fma_f64 v[111:112], v[123:124], v[97:98], v[125:126]
	v_fma_f64 v[97:98], v[121:122], v[97:98], -v[99:100]
	v_add_f64 v[2:3], v[2:3], v[129:130]
	v_add_f64 v[6:7], v[6:7], v[127:128]
	v_fma_f64 v[109:110], v[79:80], v[101:102], v[109:110]
	v_fma_f64 v[101:102], v[77:78], v[101:102], -v[103:104]
	s_waitcnt vmcnt(6) lgkmcnt(0)
	v_mul_f64 v[121:122], v[93:94], v[10:11]
	v_mul_f64 v[10:11], v[95:96], v[10:11]
	v_add_f64 v[2:3], v[2:3], v[97:98]
	v_add_f64 v[6:7], v[6:7], v[111:112]
	ds_load_b128 v[77:80], v1 offset:544
	ds_load_b128 v[97:100], v1 offset:560
	v_fma_f64 v[95:96], v[95:96], v[8:9], v[121:122]
	v_fma_f64 v[8:9], v[93:94], v[8:9], -v[10:11]
	s_waitcnt vmcnt(5) lgkmcnt(1)
	v_mul_f64 v[103:104], v[77:78], v[119:120]
	v_mul_f64 v[111:112], v[79:80], v[119:120]
	s_waitcnt vmcnt(4) lgkmcnt(0)
	v_mul_f64 v[10:11], v[97:98], v[75:76]
	v_mul_f64 v[93:94], v[99:100], v[75:76]
	v_add_f64 v[2:3], v[2:3], v[101:102]
	v_add_f64 v[6:7], v[6:7], v[109:110]
	v_fma_f64 v[79:80], v[79:80], v[117:118], v[103:104]
	v_fma_f64 v[101:102], v[77:78], v[117:118], -v[111:112]
	v_fma_f64 v[10:11], v[99:100], v[73:74], v[10:11]
	v_fma_f64 v[73:74], v[97:98], v[73:74], -v[93:94]
	v_add_f64 v[2:3], v[2:3], v[8:9]
	v_add_f64 v[95:96], v[6:7], v[95:96]
	ds_load_b128 v[6:9], v1 offset:576
	ds_load_b128 v[75:78], v1 offset:592
	s_waitcnt vmcnt(2) lgkmcnt(1)
	v_mul_f64 v[103:104], v[6:7], v[107:108]
	v_mul_f64 v[107:108], v[8:9], v[107:108]
	s_waitcnt lgkmcnt(0)
	v_mul_f64 v[93:94], v[75:76], v[83:84]
	v_mul_f64 v[83:84], v[77:78], v[83:84]
	v_add_f64 v[2:3], v[2:3], v[101:102]
	v_add_f64 v[79:80], v[95:96], v[79:80]
	v_fma_f64 v[95:96], v[8:9], v[105:106], v[103:104]
	v_fma_f64 v[97:98], v[6:7], v[105:106], -v[107:108]
	v_fma_f64 v[77:78], v[77:78], v[81:82], v[93:94]
	v_fma_f64 v[75:76], v[75:76], v[81:82], -v[83:84]
	v_add_f64 v[73:74], v[2:3], v[73:74]
	v_add_f64 v[10:11], v[79:80], v[10:11]
	ds_load_b128 v[6:9], v1 offset:608
	ds_load_b128 v[1:4], v1 offset:624
	s_waitcnt vmcnt(1) lgkmcnt(1)
	v_mul_f64 v[79:80], v[6:7], v[87:88]
	v_mul_f64 v[87:88], v[8:9], v[87:88]
	s_waitcnt vmcnt(0) lgkmcnt(0)
	v_mul_f64 v[81:82], v[1:2], v[91:92]
	v_mul_f64 v[83:84], v[3:4], v[91:92]
	v_add_f64 v[73:74], v[73:74], v[97:98]
	v_add_f64 v[10:11], v[10:11], v[95:96]
	v_fma_f64 v[8:9], v[8:9], v[85:86], v[79:80]
	v_fma_f64 v[6:7], v[6:7], v[85:86], -v[87:88]
	v_fma_f64 v[3:4], v[3:4], v[89:90], v[81:82]
	v_fma_f64 v[1:2], v[1:2], v[89:90], -v[83:84]
	v_add_f64 v[73:74], v[73:74], v[75:76]
	v_add_f64 v[10:11], v[10:11], v[77:78]
	s_delay_alu instid0(VALU_DEP_2) | instskip(NEXT) | instid1(VALU_DEP_2)
	v_add_f64 v[6:7], v[73:74], v[6:7]
	v_add_f64 v[8:9], v[10:11], v[8:9]
	s_delay_alu instid0(VALU_DEP_2) | instskip(NEXT) | instid1(VALU_DEP_2)
	;; [unrolled: 3-line block ×3, first 2 shown]
	v_add_f64 v[1:2], v[113:114], -v[1:2]
	v_add_f64 v[3:4], v[115:116], -v[3:4]
	scratch_store_b128 off, v[1:4], off offset:48
	v_cmpx_lt_u32_e32 2, v53
	s_cbranch_execz .LBB19_129
; %bb.128:
	scratch_load_b128 v[1:4], v58, off
	v_mov_b32_e32 v6, 0
	s_delay_alu instid0(VALU_DEP_1)
	v_mov_b32_e32 v7, v6
	v_mov_b32_e32 v8, v6
	v_mov_b32_e32 v9, v6
	scratch_store_b128 off, v[6:9], off offset:32
	s_waitcnt vmcnt(0)
	ds_store_b128 v5, v[1:4]
.LBB19_129:
	s_or_b32 exec_lo, exec_lo, s2
	s_waitcnt lgkmcnt(0)
	s_waitcnt_vscnt null, 0x0
	s_barrier
	buffer_gl0_inv
	s_clause 0x7
	scratch_load_b128 v[6:9], off, off offset:48
	scratch_load_b128 v[73:76], off, off offset:64
	;; [unrolled: 1-line block ×8, first 2 shown]
	v_mov_b32_e32 v1, 0
	s_mov_b32 s2, exec_lo
	ds_load_b128 v[101:104], v1 offset:368
	s_clause 0x1
	scratch_load_b128 v[105:108], off, off offset:176
	scratch_load_b128 v[109:112], off, off offset:32
	ds_load_b128 v[113:116], v1 offset:384
	ds_load_b128 v[121:124], v1 offset:416
	s_waitcnt vmcnt(9) lgkmcnt(2)
	v_mul_f64 v[2:3], v[103:104], v[8:9]
	v_mul_f64 v[117:118], v[101:102], v[8:9]
	scratch_load_b128 v[8:11], off, off offset:192
	v_fma_f64 v[2:3], v[101:102], v[6:7], -v[2:3]
	v_fma_f64 v[6:7], v[103:104], v[6:7], v[117:118]
	scratch_load_b128 v[117:120], off, off offset:208
	ds_load_b128 v[101:104], v1 offset:400
	s_waitcnt vmcnt(10) lgkmcnt(2)
	v_mul_f64 v[125:126], v[113:114], v[75:76]
	v_mul_f64 v[75:76], v[115:116], v[75:76]
	s_waitcnt vmcnt(9) lgkmcnt(0)
	v_mul_f64 v[127:128], v[101:102], v[79:80]
	v_mul_f64 v[79:80], v[103:104], v[79:80]
	v_add_f64 v[2:3], v[2:3], 0
	v_add_f64 v[6:7], v[6:7], 0
	v_fma_f64 v[115:116], v[115:116], v[73:74], v[125:126]
	v_fma_f64 v[113:114], v[113:114], v[73:74], -v[75:76]
	scratch_load_b128 v[73:76], off, off offset:224
	v_fma_f64 v[127:128], v[103:104], v[77:78], v[127:128]
	v_fma_f64 v[129:130], v[101:102], v[77:78], -v[79:80]
	scratch_load_b128 v[101:104], off, off offset:240
	ds_load_b128 v[77:80], v1 offset:432
	s_waitcnt vmcnt(10)
	v_mul_f64 v[125:126], v[121:122], v[83:84]
	v_mul_f64 v[83:84], v[123:124], v[83:84]
	v_add_f64 v[6:7], v[6:7], v[115:116]
	v_add_f64 v[2:3], v[2:3], v[113:114]
	ds_load_b128 v[113:116], v1 offset:448
	s_waitcnt vmcnt(9) lgkmcnt(1)
	v_mul_f64 v[131:132], v[77:78], v[87:88]
	v_mul_f64 v[87:88], v[79:80], v[87:88]
	v_fma_f64 v[123:124], v[123:124], v[81:82], v[125:126]
	v_fma_f64 v[121:122], v[121:122], v[81:82], -v[83:84]
	scratch_load_b128 v[81:84], off, off offset:256
	v_add_f64 v[6:7], v[6:7], v[127:128]
	v_add_f64 v[2:3], v[2:3], v[129:130]
	v_fma_f64 v[127:128], v[79:80], v[85:86], v[131:132]
	v_fma_f64 v[129:130], v[77:78], v[85:86], -v[87:88]
	scratch_load_b128 v[85:88], off, off offset:272
	ds_load_b128 v[77:80], v1 offset:464
	s_waitcnt vmcnt(10) lgkmcnt(1)
	v_mul_f64 v[125:126], v[113:114], v[91:92]
	v_mul_f64 v[91:92], v[115:116], v[91:92]
	s_waitcnt vmcnt(9) lgkmcnt(0)
	v_mul_f64 v[131:132], v[77:78], v[95:96]
	v_mul_f64 v[95:96], v[79:80], v[95:96]
	v_add_f64 v[6:7], v[6:7], v[123:124]
	v_add_f64 v[2:3], v[2:3], v[121:122]
	ds_load_b128 v[121:124], v1 offset:480
	v_fma_f64 v[115:116], v[115:116], v[89:90], v[125:126]
	v_fma_f64 v[113:114], v[113:114], v[89:90], -v[91:92]
	scratch_load_b128 v[89:92], off, off offset:288
	v_add_f64 v[6:7], v[6:7], v[127:128]
	v_add_f64 v[2:3], v[2:3], v[129:130]
	v_fma_f64 v[127:128], v[79:80], v[93:94], v[131:132]
	v_fma_f64 v[129:130], v[77:78], v[93:94], -v[95:96]
	scratch_load_b128 v[93:96], off, off offset:304
	ds_load_b128 v[77:80], v1 offset:496
	s_waitcnt vmcnt(10) lgkmcnt(1)
	v_mul_f64 v[125:126], v[121:122], v[99:100]
	v_mul_f64 v[99:100], v[123:124], v[99:100]
	s_waitcnt vmcnt(9) lgkmcnt(0)
	v_mul_f64 v[131:132], v[77:78], v[107:108]
	v_mul_f64 v[107:108], v[79:80], v[107:108]
	v_add_f64 v[6:7], v[6:7], v[115:116]
	v_add_f64 v[2:3], v[2:3], v[113:114]
	ds_load_b128 v[113:116], v1 offset:512
	v_fma_f64 v[123:124], v[123:124], v[97:98], v[125:126]
	v_fma_f64 v[97:98], v[121:122], v[97:98], -v[99:100]
	v_fma_f64 v[125:126], v[79:80], v[105:106], v[131:132]
	v_fma_f64 v[105:106], v[77:78], v[105:106], -v[107:108]
	v_add_f64 v[6:7], v[6:7], v[127:128]
	v_add_f64 v[2:3], v[2:3], v[129:130]
	s_waitcnt vmcnt(7) lgkmcnt(0)
	v_mul_f64 v[121:122], v[113:114], v[10:11]
	v_mul_f64 v[10:11], v[115:116], v[10:11]
	s_delay_alu instid0(VALU_DEP_4) | instskip(NEXT) | instid1(VALU_DEP_4)
	v_add_f64 v[6:7], v[6:7], v[123:124]
	v_add_f64 v[2:3], v[2:3], v[97:98]
	ds_load_b128 v[77:80], v1 offset:528
	ds_load_b128 v[97:100], v1 offset:544
	v_fma_f64 v[115:116], v[115:116], v[8:9], v[121:122]
	v_fma_f64 v[8:9], v[113:114], v[8:9], -v[10:11]
	s_waitcnt vmcnt(6) lgkmcnt(1)
	v_mul_f64 v[107:108], v[77:78], v[119:120]
	v_mul_f64 v[119:120], v[79:80], v[119:120]
	v_add_f64 v[6:7], v[6:7], v[125:126]
	v_add_f64 v[2:3], v[2:3], v[105:106]
	s_waitcnt vmcnt(5) lgkmcnt(0)
	v_mul_f64 v[10:11], v[97:98], v[75:76]
	v_mul_f64 v[105:106], v[99:100], v[75:76]
	v_fma_f64 v[79:80], v[79:80], v[117:118], v[107:108]
	v_fma_f64 v[107:108], v[77:78], v[117:118], -v[119:120]
	v_add_f64 v[113:114], v[6:7], v[115:116]
	v_add_f64 v[2:3], v[2:3], v[8:9]
	ds_load_b128 v[6:9], v1 offset:560
	ds_load_b128 v[75:78], v1 offset:576
	v_fma_f64 v[10:11], v[99:100], v[73:74], v[10:11]
	v_fma_f64 v[73:74], v[97:98], v[73:74], -v[105:106]
	s_waitcnt vmcnt(4) lgkmcnt(1)
	v_mul_f64 v[115:116], v[6:7], v[103:104]
	v_mul_f64 v[103:104], v[8:9], v[103:104]
	v_add_f64 v[79:80], v[113:114], v[79:80]
	v_add_f64 v[2:3], v[2:3], v[107:108]
	s_waitcnt vmcnt(3) lgkmcnt(0)
	v_mul_f64 v[105:106], v[75:76], v[83:84]
	v_mul_f64 v[83:84], v[77:78], v[83:84]
	v_fma_f64 v[107:108], v[8:9], v[101:102], v[115:116]
	v_fma_f64 v[101:102], v[6:7], v[101:102], -v[103:104]
	ds_load_b128 v[6:9], v1 offset:592
	ds_load_b128 v[97:100], v1 offset:608
	v_add_f64 v[10:11], v[79:80], v[10:11]
	v_add_f64 v[2:3], v[2:3], v[73:74]
	v_fma_f64 v[77:78], v[77:78], v[81:82], v[105:106]
	s_waitcnt vmcnt(2) lgkmcnt(1)
	v_mul_f64 v[73:74], v[6:7], v[87:88]
	v_mul_f64 v[79:80], v[8:9], v[87:88]
	v_fma_f64 v[75:76], v[75:76], v[81:82], -v[83:84]
	s_waitcnt vmcnt(1) lgkmcnt(0)
	v_mul_f64 v[81:82], v[97:98], v[91:92]
	v_mul_f64 v[83:84], v[99:100], v[91:92]
	v_add_f64 v[10:11], v[10:11], v[107:108]
	v_add_f64 v[2:3], v[2:3], v[101:102]
	v_fma_f64 v[73:74], v[8:9], v[85:86], v[73:74]
	v_fma_f64 v[79:80], v[6:7], v[85:86], -v[79:80]
	ds_load_b128 v[6:9], v1 offset:624
	v_fma_f64 v[81:82], v[99:100], v[89:90], v[81:82]
	v_fma_f64 v[83:84], v[97:98], v[89:90], -v[83:84]
	v_add_f64 v[10:11], v[10:11], v[77:78]
	v_add_f64 v[2:3], v[2:3], v[75:76]
	s_waitcnt vmcnt(0) lgkmcnt(0)
	v_mul_f64 v[75:76], v[6:7], v[95:96]
	v_mul_f64 v[77:78], v[8:9], v[95:96]
	s_delay_alu instid0(VALU_DEP_4) | instskip(NEXT) | instid1(VALU_DEP_4)
	v_add_f64 v[10:11], v[10:11], v[73:74]
	v_add_f64 v[2:3], v[2:3], v[79:80]
	s_delay_alu instid0(VALU_DEP_4) | instskip(NEXT) | instid1(VALU_DEP_4)
	v_fma_f64 v[8:9], v[8:9], v[93:94], v[75:76]
	v_fma_f64 v[6:7], v[6:7], v[93:94], -v[77:78]
	s_delay_alu instid0(VALU_DEP_4) | instskip(NEXT) | instid1(VALU_DEP_4)
	v_add_f64 v[10:11], v[10:11], v[81:82]
	v_add_f64 v[2:3], v[2:3], v[83:84]
	s_delay_alu instid0(VALU_DEP_2) | instskip(NEXT) | instid1(VALU_DEP_2)
	v_add_f64 v[8:9], v[10:11], v[8:9]
	v_add_f64 v[2:3], v[2:3], v[6:7]
	s_delay_alu instid0(VALU_DEP_2) | instskip(NEXT) | instid1(VALU_DEP_2)
	v_add_f64 v[8:9], v[111:112], -v[8:9]
	v_add_f64 v[6:7], v[109:110], -v[2:3]
	scratch_store_b128 off, v[6:9], off offset:32
	v_cmpx_lt_u32_e32 1, v53
	s_cbranch_execz .LBB19_131
; %bb.130:
	scratch_load_b128 v[6:9], v60, off
	v_mov_b32_e32 v2, v1
	v_mov_b32_e32 v3, v1
	;; [unrolled: 1-line block ×3, first 2 shown]
	scratch_store_b128 off, v[1:4], off offset:16
	s_waitcnt vmcnt(0)
	ds_store_b128 v5, v[6:9]
.LBB19_131:
	s_or_b32 exec_lo, exec_lo, s2
	s_waitcnt lgkmcnt(0)
	s_waitcnt_vscnt null, 0x0
	s_barrier
	buffer_gl0_inv
	s_clause 0x8
	scratch_load_b128 v[6:9], off, off offset:32
	scratch_load_b128 v[73:76], off, off offset:48
	;; [unrolled: 1-line block ×9, first 2 shown]
	ds_load_b128 v[105:108], v1 offset:352
	ds_load_b128 v[109:112], v1 offset:368
	scratch_load_b128 v[113:116], off, off offset:16
	s_mov_b32 s2, exec_lo
	ds_load_b128 v[121:124], v1 offset:400
	s_waitcnt vmcnt(9) lgkmcnt(2)
	v_mul_f64 v[2:3], v[107:108], v[8:9]
	v_mul_f64 v[117:118], v[105:106], v[8:9]
	scratch_load_b128 v[8:11], off, off offset:176
	s_waitcnt vmcnt(9) lgkmcnt(1)
	v_mul_f64 v[125:126], v[109:110], v[75:76]
	v_mul_f64 v[75:76], v[111:112], v[75:76]
	v_fma_f64 v[2:3], v[105:106], v[6:7], -v[2:3]
	v_fma_f64 v[6:7], v[107:108], v[6:7], v[117:118]
	ds_load_b128 v[105:108], v1 offset:384
	scratch_load_b128 v[117:120], off, off offset:192
	v_fma_f64 v[111:112], v[111:112], v[73:74], v[125:126]
	v_fma_f64 v[109:110], v[109:110], v[73:74], -v[75:76]
	scratch_load_b128 v[73:76], off, off offset:208
	s_waitcnt vmcnt(9) lgkmcnt(1)
	v_mul_f64 v[125:126], v[121:122], v[83:84]
	v_mul_f64 v[83:84], v[123:124], v[83:84]
	s_waitcnt lgkmcnt(0)
	v_mul_f64 v[127:128], v[105:106], v[79:80]
	v_mul_f64 v[79:80], v[107:108], v[79:80]
	v_add_f64 v[2:3], v[2:3], 0
	v_add_f64 v[6:7], v[6:7], 0
	v_fma_f64 v[123:124], v[123:124], v[81:82], v[125:126]
	v_fma_f64 v[121:122], v[121:122], v[81:82], -v[83:84]
	scratch_load_b128 v[81:84], off, off offset:240
	v_fma_f64 v[127:128], v[107:108], v[77:78], v[127:128]
	v_fma_f64 v[129:130], v[105:106], v[77:78], -v[79:80]
	ds_load_b128 v[77:80], v1 offset:416
	scratch_load_b128 v[105:108], off, off offset:224
	v_add_f64 v[2:3], v[2:3], v[109:110]
	v_add_f64 v[6:7], v[6:7], v[111:112]
	ds_load_b128 v[109:112], v1 offset:432
	s_waitcnt vmcnt(10) lgkmcnt(1)
	v_mul_f64 v[131:132], v[77:78], v[87:88]
	v_mul_f64 v[87:88], v[79:80], v[87:88]
	s_waitcnt vmcnt(9) lgkmcnt(0)
	v_mul_f64 v[125:126], v[109:110], v[91:92]
	v_mul_f64 v[91:92], v[111:112], v[91:92]
	v_add_f64 v[2:3], v[2:3], v[129:130]
	v_add_f64 v[6:7], v[6:7], v[127:128]
	v_fma_f64 v[127:128], v[79:80], v[85:86], v[131:132]
	v_fma_f64 v[129:130], v[77:78], v[85:86], -v[87:88]
	ds_load_b128 v[77:80], v1 offset:448
	scratch_load_b128 v[85:88], off, off offset:256
	v_fma_f64 v[111:112], v[111:112], v[89:90], v[125:126]
	v_fma_f64 v[109:110], v[109:110], v[89:90], -v[91:92]
	scratch_load_b128 v[89:92], off, off offset:272
	v_add_f64 v[2:3], v[2:3], v[121:122]
	v_add_f64 v[6:7], v[6:7], v[123:124]
	ds_load_b128 v[121:124], v1 offset:464
	s_waitcnt vmcnt(10) lgkmcnt(1)
	v_mul_f64 v[131:132], v[77:78], v[95:96]
	v_mul_f64 v[95:96], v[79:80], v[95:96]
	s_waitcnt vmcnt(9) lgkmcnt(0)
	v_mul_f64 v[125:126], v[121:122], v[99:100]
	v_mul_f64 v[99:100], v[123:124], v[99:100]
	v_add_f64 v[2:3], v[2:3], v[129:130]
	v_add_f64 v[6:7], v[6:7], v[127:128]
	v_fma_f64 v[127:128], v[79:80], v[93:94], v[131:132]
	v_fma_f64 v[129:130], v[77:78], v[93:94], -v[95:96]
	ds_load_b128 v[77:80], v1 offset:480
	scratch_load_b128 v[93:96], off, off offset:288
	v_fma_f64 v[123:124], v[123:124], v[97:98], v[125:126]
	v_fma_f64 v[121:122], v[121:122], v[97:98], -v[99:100]
	scratch_load_b128 v[97:100], off, off offset:304
	v_add_f64 v[2:3], v[2:3], v[109:110]
	v_add_f64 v[6:7], v[6:7], v[111:112]
	ds_load_b128 v[109:112], v1 offset:496
	s_waitcnt vmcnt(10) lgkmcnt(1)
	v_mul_f64 v[131:132], v[77:78], v[103:104]
	v_mul_f64 v[103:104], v[79:80], v[103:104]
	v_add_f64 v[2:3], v[2:3], v[129:130]
	v_add_f64 v[6:7], v[6:7], v[127:128]
	s_delay_alu instid0(VALU_DEP_4) | instskip(NEXT) | instid1(VALU_DEP_4)
	v_fma_f64 v[127:128], v[79:80], v[101:102], v[131:132]
	v_fma_f64 v[129:130], v[77:78], v[101:102], -v[103:104]
	ds_load_b128 v[77:80], v1 offset:512
	ds_load_b128 v[101:104], v1 offset:528
	s_waitcnt vmcnt(8) lgkmcnt(2)
	v_mul_f64 v[125:126], v[109:110], v[10:11]
	v_mul_f64 v[10:11], v[111:112], v[10:11]
	v_add_f64 v[2:3], v[2:3], v[121:122]
	v_add_f64 v[6:7], v[6:7], v[123:124]
	s_delay_alu instid0(VALU_DEP_4)
	v_fma_f64 v[111:112], v[111:112], v[8:9], v[125:126]
	s_waitcnt vmcnt(7) lgkmcnt(1)
	v_mul_f64 v[121:122], v[77:78], v[119:120]
	v_mul_f64 v[119:120], v[79:80], v[119:120]
	v_fma_f64 v[8:9], v[109:110], v[8:9], -v[10:11]
	s_waitcnt vmcnt(6) lgkmcnt(0)
	v_mul_f64 v[10:11], v[101:102], v[75:76]
	v_mul_f64 v[109:110], v[103:104], v[75:76]
	v_add_f64 v[2:3], v[2:3], v[129:130]
	v_add_f64 v[6:7], v[6:7], v[127:128]
	v_fma_f64 v[79:80], v[79:80], v[117:118], v[121:122]
	v_fma_f64 v[117:118], v[77:78], v[117:118], -v[119:120]
	v_fma_f64 v[10:11], v[103:104], v[73:74], v[10:11]
	v_fma_f64 v[73:74], v[101:102], v[73:74], -v[109:110]
	v_add_f64 v[2:3], v[2:3], v[8:9]
	v_add_f64 v[111:112], v[6:7], v[111:112]
	ds_load_b128 v[6:9], v1 offset:544
	ds_load_b128 v[75:78], v1 offset:560
	s_waitcnt vmcnt(4) lgkmcnt(1)
	v_mul_f64 v[119:120], v[6:7], v[107:108]
	v_mul_f64 v[107:108], v[8:9], v[107:108]
	s_waitcnt lgkmcnt(0)
	v_mul_f64 v[109:110], v[75:76], v[83:84]
	v_mul_f64 v[83:84], v[77:78], v[83:84]
	v_add_f64 v[2:3], v[2:3], v[117:118]
	v_add_f64 v[79:80], v[111:112], v[79:80]
	v_fma_f64 v[111:112], v[8:9], v[105:106], v[119:120]
	v_fma_f64 v[105:106], v[6:7], v[105:106], -v[107:108]
	ds_load_b128 v[6:9], v1 offset:576
	ds_load_b128 v[101:104], v1 offset:592
	v_fma_f64 v[77:78], v[77:78], v[81:82], v[109:110]
	v_fma_f64 v[75:76], v[75:76], v[81:82], -v[83:84]
	v_add_f64 v[2:3], v[2:3], v[73:74]
	v_add_f64 v[10:11], v[79:80], v[10:11]
	s_waitcnt vmcnt(3) lgkmcnt(1)
	v_mul_f64 v[73:74], v[6:7], v[87:88]
	v_mul_f64 v[79:80], v[8:9], v[87:88]
	s_waitcnt vmcnt(2) lgkmcnt(0)
	v_mul_f64 v[81:82], v[101:102], v[91:92]
	v_mul_f64 v[83:84], v[103:104], v[91:92]
	v_add_f64 v[2:3], v[2:3], v[105:106]
	v_add_f64 v[10:11], v[10:11], v[111:112]
	v_fma_f64 v[73:74], v[8:9], v[85:86], v[73:74]
	v_fma_f64 v[79:80], v[6:7], v[85:86], -v[79:80]
	v_fma_f64 v[81:82], v[103:104], v[89:90], v[81:82]
	v_fma_f64 v[83:84], v[101:102], v[89:90], -v[83:84]
	v_add_f64 v[75:76], v[2:3], v[75:76]
	v_add_f64 v[10:11], v[10:11], v[77:78]
	ds_load_b128 v[6:9], v1 offset:608
	ds_load_b128 v[1:4], v1 offset:624
	s_waitcnt vmcnt(1) lgkmcnt(1)
	v_mul_f64 v[77:78], v[6:7], v[95:96]
	v_mul_f64 v[85:86], v[8:9], v[95:96]
	v_add_f64 v[75:76], v[75:76], v[79:80]
	v_add_f64 v[10:11], v[10:11], v[73:74]
	s_waitcnt vmcnt(0) lgkmcnt(0)
	v_mul_f64 v[73:74], v[1:2], v[99:100]
	v_mul_f64 v[79:80], v[3:4], v[99:100]
	v_fma_f64 v[8:9], v[8:9], v[93:94], v[77:78]
	v_fma_f64 v[6:7], v[6:7], v[93:94], -v[85:86]
	v_add_f64 v[75:76], v[75:76], v[83:84]
	v_add_f64 v[10:11], v[10:11], v[81:82]
	v_fma_f64 v[3:4], v[3:4], v[97:98], v[73:74]
	v_fma_f64 v[1:2], v[1:2], v[97:98], -v[79:80]
	s_delay_alu instid0(VALU_DEP_4) | instskip(NEXT) | instid1(VALU_DEP_4)
	v_add_f64 v[6:7], v[75:76], v[6:7]
	v_add_f64 v[8:9], v[10:11], v[8:9]
	s_delay_alu instid0(VALU_DEP_2) | instskip(NEXT) | instid1(VALU_DEP_2)
	v_add_f64 v[1:2], v[6:7], v[1:2]
	v_add_f64 v[3:4], v[8:9], v[3:4]
	s_delay_alu instid0(VALU_DEP_2) | instskip(NEXT) | instid1(VALU_DEP_2)
	v_add_f64 v[1:2], v[113:114], -v[1:2]
	v_add_f64 v[3:4], v[115:116], -v[3:4]
	scratch_store_b128 off, v[1:4], off offset:16
	v_cmpx_ne_u32_e32 0, v53
	s_cbranch_execz .LBB19_133
; %bb.132:
	scratch_load_b128 v[1:4], off, off
	v_mov_b32_e32 v6, 0
	s_delay_alu instid0(VALU_DEP_1)
	v_mov_b32_e32 v7, v6
	v_mov_b32_e32 v8, v6
	;; [unrolled: 1-line block ×3, first 2 shown]
	scratch_store_b128 off, v[6:9], off
	s_waitcnt vmcnt(0)
	ds_store_b128 v5, v[1:4]
.LBB19_133:
	s_or_b32 exec_lo, exec_lo, s2
	s_waitcnt lgkmcnt(0)
	s_waitcnt_vscnt null, 0x0
	s_barrier
	buffer_gl0_inv
	s_clause 0x7
	scratch_load_b128 v[1:4], off, off offset:16
	scratch_load_b128 v[5:8], off, off offset:32
	;; [unrolled: 1-line block ×8, first 2 shown]
	v_mov_b32_e32 v129, 0
	s_and_b32 vcc_lo, exec_lo, s20
	ds_load_b128 v[93:96], v129 offset:336
	s_clause 0x1
	scratch_load_b128 v[97:100], off, off offset:144
	scratch_load_b128 v[101:104], off, off
	ds_load_b128 v[105:108], v129 offset:352
	scratch_load_b128 v[109:112], off, off offset:160
	s_waitcnt vmcnt(10) lgkmcnt(1)
	v_mul_f64 v[113:114], v[95:96], v[3:4]
	v_mul_f64 v[3:4], v[93:94], v[3:4]
	s_delay_alu instid0(VALU_DEP_2) | instskip(NEXT) | instid1(VALU_DEP_2)
	v_fma_f64 v[119:120], v[93:94], v[1:2], -v[113:114]
	v_fma_f64 v[121:122], v[95:96], v[1:2], v[3:4]
	scratch_load_b128 v[93:96], off, off offset:176
	ds_load_b128 v[1:4], v129 offset:368
	s_waitcnt vmcnt(10) lgkmcnt(1)
	v_mul_f64 v[117:118], v[105:106], v[7:8]
	v_mul_f64 v[7:8], v[107:108], v[7:8]
	ds_load_b128 v[113:116], v129 offset:384
	s_waitcnt vmcnt(9) lgkmcnt(1)
	v_mul_f64 v[123:124], v[1:2], v[11:12]
	v_mul_f64 v[11:12], v[3:4], v[11:12]
	v_fma_f64 v[107:108], v[107:108], v[5:6], v[117:118]
	v_fma_f64 v[105:106], v[105:106], v[5:6], -v[7:8]
	v_add_f64 v[117:118], v[119:120], 0
	v_add_f64 v[119:120], v[121:122], 0
	scratch_load_b128 v[5:8], off, off offset:192
	v_fma_f64 v[123:124], v[3:4], v[9:10], v[123:124]
	v_fma_f64 v[125:126], v[1:2], v[9:10], -v[11:12]
	scratch_load_b128 v[9:12], off, off offset:208
	ds_load_b128 v[1:4], v129 offset:400
	s_waitcnt vmcnt(10) lgkmcnt(1)
	v_mul_f64 v[121:122], v[113:114], v[75:76]
	v_mul_f64 v[75:76], v[115:116], v[75:76]
	v_add_f64 v[117:118], v[117:118], v[105:106]
	v_add_f64 v[119:120], v[119:120], v[107:108]
	s_waitcnt vmcnt(9) lgkmcnt(0)
	v_mul_f64 v[127:128], v[1:2], v[79:80]
	v_mul_f64 v[79:80], v[3:4], v[79:80]
	ds_load_b128 v[105:108], v129 offset:416
	v_fma_f64 v[115:116], v[115:116], v[73:74], v[121:122]
	v_fma_f64 v[113:114], v[113:114], v[73:74], -v[75:76]
	scratch_load_b128 v[73:76], off, off offset:224
	v_add_f64 v[117:118], v[117:118], v[125:126]
	v_add_f64 v[119:120], v[119:120], v[123:124]
	v_fma_f64 v[123:124], v[3:4], v[77:78], v[127:128]
	v_fma_f64 v[125:126], v[1:2], v[77:78], -v[79:80]
	scratch_load_b128 v[77:80], off, off offset:240
	ds_load_b128 v[1:4], v129 offset:432
	s_waitcnt vmcnt(10) lgkmcnt(1)
	v_mul_f64 v[121:122], v[105:106], v[83:84]
	v_mul_f64 v[83:84], v[107:108], v[83:84]
	s_waitcnt vmcnt(9) lgkmcnt(0)
	v_mul_f64 v[127:128], v[1:2], v[87:88]
	v_mul_f64 v[87:88], v[3:4], v[87:88]
	v_add_f64 v[117:118], v[117:118], v[113:114]
	v_add_f64 v[119:120], v[119:120], v[115:116]
	ds_load_b128 v[113:116], v129 offset:448
	v_fma_f64 v[107:108], v[107:108], v[81:82], v[121:122]
	v_fma_f64 v[105:106], v[105:106], v[81:82], -v[83:84]
	scratch_load_b128 v[81:84], off, off offset:256
	v_add_f64 v[117:118], v[117:118], v[125:126]
	v_add_f64 v[119:120], v[119:120], v[123:124]
	v_fma_f64 v[123:124], v[3:4], v[85:86], v[127:128]
	v_fma_f64 v[125:126], v[1:2], v[85:86], -v[87:88]
	scratch_load_b128 v[85:88], off, off offset:272
	ds_load_b128 v[1:4], v129 offset:464
	s_waitcnt vmcnt(10) lgkmcnt(1)
	v_mul_f64 v[121:122], v[113:114], v[91:92]
	v_mul_f64 v[91:92], v[115:116], v[91:92]
	s_waitcnt vmcnt(9) lgkmcnt(0)
	v_mul_f64 v[127:128], v[1:2], v[99:100]
	v_mul_f64 v[99:100], v[3:4], v[99:100]
	v_add_f64 v[117:118], v[117:118], v[105:106]
	v_add_f64 v[119:120], v[119:120], v[107:108]
	ds_load_b128 v[105:108], v129 offset:480
	v_fma_f64 v[115:116], v[115:116], v[89:90], v[121:122]
	v_fma_f64 v[113:114], v[113:114], v[89:90], -v[91:92]
	scratch_load_b128 v[89:92], off, off offset:288
	v_add_f64 v[117:118], v[117:118], v[125:126]
	v_add_f64 v[119:120], v[119:120], v[123:124]
	v_fma_f64 v[125:126], v[3:4], v[97:98], v[127:128]
	v_fma_f64 v[127:128], v[1:2], v[97:98], -v[99:100]
	scratch_load_b128 v[97:100], off, off offset:304
	ds_load_b128 v[1:4], v129 offset:496
	s_waitcnt vmcnt(9) lgkmcnt(1)
	v_mul_f64 v[121:122], v[105:106], v[111:112]
	v_mul_f64 v[123:124], v[107:108], v[111:112]
	v_add_f64 v[117:118], v[117:118], v[113:114]
	v_add_f64 v[115:116], v[119:120], v[115:116]
	ds_load_b128 v[111:114], v129 offset:512
	v_fma_f64 v[107:108], v[107:108], v[109:110], v[121:122]
	v_fma_f64 v[105:106], v[105:106], v[109:110], -v[123:124]
	s_waitcnt vmcnt(8) lgkmcnt(1)
	v_mul_f64 v[119:120], v[1:2], v[95:96]
	v_mul_f64 v[95:96], v[3:4], v[95:96]
	v_add_f64 v[109:110], v[117:118], v[127:128]
	v_add_f64 v[115:116], v[115:116], v[125:126]
	s_delay_alu instid0(VALU_DEP_4) | instskip(NEXT) | instid1(VALU_DEP_4)
	v_fma_f64 v[119:120], v[3:4], v[93:94], v[119:120]
	v_fma_f64 v[121:122], v[1:2], v[93:94], -v[95:96]
	ds_load_b128 v[1:4], v129 offset:528
	ds_load_b128 v[93:96], v129 offset:544
	s_waitcnt vmcnt(7) lgkmcnt(2)
	v_mul_f64 v[117:118], v[111:112], v[7:8]
	v_mul_f64 v[7:8], v[113:114], v[7:8]
	v_add_f64 v[105:106], v[109:110], v[105:106]
	v_add_f64 v[107:108], v[115:116], v[107:108]
	s_waitcnt vmcnt(6) lgkmcnt(1)
	v_mul_f64 v[109:110], v[1:2], v[11:12]
	v_mul_f64 v[11:12], v[3:4], v[11:12]
	v_fma_f64 v[113:114], v[113:114], v[5:6], v[117:118]
	v_fma_f64 v[5:6], v[111:112], v[5:6], -v[7:8]
	v_add_f64 v[7:8], v[105:106], v[121:122]
	v_add_f64 v[105:106], v[107:108], v[119:120]
	s_waitcnt vmcnt(5) lgkmcnt(0)
	v_mul_f64 v[107:108], v[93:94], v[75:76]
	v_mul_f64 v[75:76], v[95:96], v[75:76]
	v_fma_f64 v[109:110], v[3:4], v[9:10], v[109:110]
	v_fma_f64 v[9:10], v[1:2], v[9:10], -v[11:12]
	v_add_f64 v[11:12], v[7:8], v[5:6]
	v_add_f64 v[105:106], v[105:106], v[113:114]
	ds_load_b128 v[1:4], v129 offset:560
	ds_load_b128 v[5:8], v129 offset:576
	v_fma_f64 v[95:96], v[95:96], v[73:74], v[107:108]
	v_fma_f64 v[73:74], v[93:94], v[73:74], -v[75:76]
	s_waitcnt vmcnt(4) lgkmcnt(1)
	v_mul_f64 v[111:112], v[1:2], v[79:80]
	v_mul_f64 v[79:80], v[3:4], v[79:80]
	s_waitcnt vmcnt(3) lgkmcnt(0)
	v_mul_f64 v[75:76], v[5:6], v[83:84]
	v_mul_f64 v[83:84], v[7:8], v[83:84]
	v_add_f64 v[9:10], v[11:12], v[9:10]
	v_add_f64 v[11:12], v[105:106], v[109:110]
	v_fma_f64 v[93:94], v[3:4], v[77:78], v[111:112]
	v_fma_f64 v[77:78], v[1:2], v[77:78], -v[79:80]
	v_fma_f64 v[7:8], v[7:8], v[81:82], v[75:76]
	v_fma_f64 v[5:6], v[5:6], v[81:82], -v[83:84]
	v_add_f64 v[73:74], v[9:10], v[73:74]
	v_add_f64 v[79:80], v[11:12], v[95:96]
	ds_load_b128 v[1:4], v129 offset:592
	ds_load_b128 v[9:12], v129 offset:608
	s_waitcnt vmcnt(2) lgkmcnt(1)
	v_mul_f64 v[95:96], v[1:2], v[87:88]
	v_mul_f64 v[87:88], v[3:4], v[87:88]
	v_add_f64 v[73:74], v[73:74], v[77:78]
	v_add_f64 v[75:76], v[79:80], v[93:94]
	s_waitcnt vmcnt(1) lgkmcnt(0)
	v_mul_f64 v[77:78], v[9:10], v[91:92]
	v_mul_f64 v[79:80], v[11:12], v[91:92]
	v_fma_f64 v[81:82], v[3:4], v[85:86], v[95:96]
	v_fma_f64 v[83:84], v[1:2], v[85:86], -v[87:88]
	ds_load_b128 v[1:4], v129 offset:624
	v_add_f64 v[5:6], v[73:74], v[5:6]
	v_add_f64 v[7:8], v[75:76], v[7:8]
	v_fma_f64 v[11:12], v[11:12], v[89:90], v[77:78]
	v_fma_f64 v[9:10], v[9:10], v[89:90], -v[79:80]
	s_waitcnt vmcnt(0) lgkmcnt(0)
	v_mul_f64 v[73:74], v[1:2], v[99:100]
	v_mul_f64 v[75:76], v[3:4], v[99:100]
	v_add_f64 v[5:6], v[5:6], v[83:84]
	v_add_f64 v[7:8], v[7:8], v[81:82]
	s_delay_alu instid0(VALU_DEP_4) | instskip(NEXT) | instid1(VALU_DEP_4)
	v_fma_f64 v[3:4], v[3:4], v[97:98], v[73:74]
	v_fma_f64 v[1:2], v[1:2], v[97:98], -v[75:76]
	s_delay_alu instid0(VALU_DEP_4) | instskip(NEXT) | instid1(VALU_DEP_4)
	v_add_f64 v[5:6], v[5:6], v[9:10]
	v_add_f64 v[7:8], v[7:8], v[11:12]
	s_delay_alu instid0(VALU_DEP_2) | instskip(NEXT) | instid1(VALU_DEP_2)
	v_add_f64 v[1:2], v[5:6], v[1:2]
	v_add_f64 v[3:4], v[7:8], v[3:4]
	s_delay_alu instid0(VALU_DEP_2) | instskip(NEXT) | instid1(VALU_DEP_2)
	v_add_f64 v[1:2], v[101:102], -v[1:2]
	v_add_f64 v[3:4], v[103:104], -v[3:4]
	scratch_store_b128 off, v[1:4], off
	s_cbranch_vccz .LBB19_173
; %bb.134:
	v_dual_mov_b32 v1, s16 :: v_dual_mov_b32 v2, s17
	s_load_b64 s[0:1], s[0:1], 0x4
	flat_load_b32 v1, v[1:2] offset:72
	v_bfe_u32 v2, v0, 10, 10
	v_bfe_u32 v0, v0, 20, 10
	s_waitcnt lgkmcnt(0)
	s_lshr_b32 s0, s0, 16
	s_delay_alu instid0(VALU_DEP_2) | instskip(SKIP_1) | instid1(SALU_CYCLE_1)
	v_mul_u32_u24_e32 v2, s1, v2
	s_mul_i32 s0, s0, s1
	v_mul_u32_u24_e32 v3, s0, v53
	s_mov_b32 s0, exec_lo
	s_delay_alu instid0(VALU_DEP_1) | instskip(NEXT) | instid1(VALU_DEP_1)
	v_add3_u32 v0, v3, v2, v0
	v_lshl_add_u32 v0, v0, 4, 0x288
	s_waitcnt vmcnt(0)
	v_cmpx_ne_u32_e32 19, v1
	s_cbranch_execz .LBB19_136
; %bb.135:
	v_lshl_add_u32 v9, v1, 4, 0
	s_clause 0x1
	scratch_load_b128 v[1:4], v72, off
	scratch_load_b128 v[5:8], v9, off offset:-16
	s_waitcnt vmcnt(1)
	ds_store_2addr_b64 v0, v[1:2], v[3:4] offset1:1
	s_waitcnt vmcnt(0)
	s_clause 0x1
	scratch_store_b128 v72, v[5:8], off
	scratch_store_b128 v9, v[1:4], off offset:-16
.LBB19_136:
	s_or_b32 exec_lo, exec_lo, s0
	v_dual_mov_b32 v1, s16 :: v_dual_mov_b32 v2, s17
	s_mov_b32 s0, exec_lo
	flat_load_b32 v1, v[1:2] offset:68
	s_waitcnt vmcnt(0) lgkmcnt(0)
	v_cmpx_ne_u32_e32 18, v1
	s_cbranch_execz .LBB19_138
; %bb.137:
	v_lshl_add_u32 v9, v1, 4, 0
	s_clause 0x1
	scratch_load_b128 v[1:4], v69, off
	scratch_load_b128 v[5:8], v9, off offset:-16
	s_waitcnt vmcnt(1)
	ds_store_2addr_b64 v0, v[1:2], v[3:4] offset1:1
	s_waitcnt vmcnt(0)
	s_clause 0x1
	scratch_store_b128 v69, v[5:8], off
	scratch_store_b128 v9, v[1:4], off offset:-16
.LBB19_138:
	s_or_b32 exec_lo, exec_lo, s0
	v_dual_mov_b32 v1, s16 :: v_dual_mov_b32 v2, s17
	s_mov_b32 s0, exec_lo
	flat_load_b32 v1, v[1:2] offset:64
	s_waitcnt vmcnt(0) lgkmcnt(0)
	;; [unrolled: 19-line block ×17, first 2 shown]
	v_cmpx_ne_u32_e32 2, v1
	s_cbranch_execz .LBB19_170
; %bb.169:
	v_lshl_add_u32 v9, v1, 4, 0
	s_clause 0x1
	scratch_load_b128 v[1:4], v60, off
	scratch_load_b128 v[5:8], v9, off offset:-16
	s_waitcnt vmcnt(1)
	ds_store_2addr_b64 v0, v[1:2], v[3:4] offset1:1
	s_waitcnt vmcnt(0)
	s_clause 0x1
	scratch_store_b128 v60, v[5:8], off
	scratch_store_b128 v9, v[1:4], off offset:-16
.LBB19_170:
	s_or_b32 exec_lo, exec_lo, s0
	v_dual_mov_b32 v1, s16 :: v_dual_mov_b32 v2, s17
	s_mov_b32 s0, exec_lo
	flat_load_b32 v1, v[1:2]
	s_waitcnt vmcnt(0) lgkmcnt(0)
	v_cmpx_ne_u32_e32 1, v1
	s_cbranch_execz .LBB19_172
; %bb.171:
	v_lshl_add_u32 v9, v1, 4, 0
	scratch_load_b128 v[1:4], off, off
	scratch_load_b128 v[5:8], v9, off offset:-16
	s_waitcnt vmcnt(1)
	ds_store_2addr_b64 v0, v[1:2], v[3:4] offset1:1
	s_waitcnt vmcnt(0)
	scratch_store_b128 off, v[5:8], off
	scratch_store_b128 v9, v[1:4], off offset:-16
.LBB19_172:
	s_or_b32 exec_lo, exec_lo, s0
.LBB19_173:
	scratch_load_b128 v[0:3], off, off
	s_clause 0x12
	scratch_load_b128 v[4:7], v60, off
	scratch_load_b128 v[8:11], v58, off
	;; [unrolled: 1-line block ×19, first 2 shown]
	s_waitcnt vmcnt(19)
	global_store_b128 v[13:14], v[0:3], off
	s_waitcnt vmcnt(18)
	global_store_b128 v[15:16], v[4:7], off
	;; [unrolled: 2-line block ×20, first 2 shown]
	s_endpgm
	.section	.rodata,"a",@progbits
	.p2align	6, 0x0
	.amdhsa_kernel _ZN9rocsolver6v33100L18getri_kernel_smallILi20E19rocblas_complex_numIdEPS3_EEvT1_iilPiilS6_bb
		.amdhsa_group_segment_fixed_size 1672
		.amdhsa_private_segment_fixed_size 336
		.amdhsa_kernarg_size 60
		.amdhsa_user_sgpr_count 15
		.amdhsa_user_sgpr_dispatch_ptr 1
		.amdhsa_user_sgpr_queue_ptr 0
		.amdhsa_user_sgpr_kernarg_segment_ptr 1
		.amdhsa_user_sgpr_dispatch_id 0
		.amdhsa_user_sgpr_private_segment_size 0
		.amdhsa_wavefront_size32 1
		.amdhsa_uses_dynamic_stack 0
		.amdhsa_enable_private_segment 1
		.amdhsa_system_sgpr_workgroup_id_x 1
		.amdhsa_system_sgpr_workgroup_id_y 0
		.amdhsa_system_sgpr_workgroup_id_z 0
		.amdhsa_system_sgpr_workgroup_info 0
		.amdhsa_system_vgpr_workitem_id 2
		.amdhsa_next_free_vgpr 133
		.amdhsa_next_free_sgpr 22
		.amdhsa_reserve_vcc 1
		.amdhsa_float_round_mode_32 0
		.amdhsa_float_round_mode_16_64 0
		.amdhsa_float_denorm_mode_32 3
		.amdhsa_float_denorm_mode_16_64 3
		.amdhsa_dx10_clamp 1
		.amdhsa_ieee_mode 1
		.amdhsa_fp16_overflow 0
		.amdhsa_workgroup_processor_mode 1
		.amdhsa_memory_ordered 1
		.amdhsa_forward_progress 0
		.amdhsa_shared_vgpr_count 0
		.amdhsa_exception_fp_ieee_invalid_op 0
		.amdhsa_exception_fp_denorm_src 0
		.amdhsa_exception_fp_ieee_div_zero 0
		.amdhsa_exception_fp_ieee_overflow 0
		.amdhsa_exception_fp_ieee_underflow 0
		.amdhsa_exception_fp_ieee_inexact 0
		.amdhsa_exception_int_div_zero 0
	.end_amdhsa_kernel
	.section	.text._ZN9rocsolver6v33100L18getri_kernel_smallILi20E19rocblas_complex_numIdEPS3_EEvT1_iilPiilS6_bb,"axG",@progbits,_ZN9rocsolver6v33100L18getri_kernel_smallILi20E19rocblas_complex_numIdEPS3_EEvT1_iilPiilS6_bb,comdat
.Lfunc_end19:
	.size	_ZN9rocsolver6v33100L18getri_kernel_smallILi20E19rocblas_complex_numIdEPS3_EEvT1_iilPiilS6_bb, .Lfunc_end19-_ZN9rocsolver6v33100L18getri_kernel_smallILi20E19rocblas_complex_numIdEPS3_EEvT1_iilPiilS6_bb
                                        ; -- End function
	.section	.AMDGPU.csdata,"",@progbits
; Kernel info:
; codeLenInByte = 25652
; NumSgprs: 24
; NumVgprs: 133
; ScratchSize: 336
; MemoryBound: 0
; FloatMode: 240
; IeeeMode: 1
; LDSByteSize: 1672 bytes/workgroup (compile time only)
; SGPRBlocks: 2
; VGPRBlocks: 16
; NumSGPRsForWavesPerEU: 24
; NumVGPRsForWavesPerEU: 133
; Occupancy: 10
; WaveLimiterHint : 1
; COMPUTE_PGM_RSRC2:SCRATCH_EN: 1
; COMPUTE_PGM_RSRC2:USER_SGPR: 15
; COMPUTE_PGM_RSRC2:TRAP_HANDLER: 0
; COMPUTE_PGM_RSRC2:TGID_X_EN: 1
; COMPUTE_PGM_RSRC2:TGID_Y_EN: 0
; COMPUTE_PGM_RSRC2:TGID_Z_EN: 0
; COMPUTE_PGM_RSRC2:TIDIG_COMP_CNT: 2
	.section	.text._ZN9rocsolver6v33100L18getri_kernel_smallILi21E19rocblas_complex_numIdEPS3_EEvT1_iilPiilS6_bb,"axG",@progbits,_ZN9rocsolver6v33100L18getri_kernel_smallILi21E19rocblas_complex_numIdEPS3_EEvT1_iilPiilS6_bb,comdat
	.globl	_ZN9rocsolver6v33100L18getri_kernel_smallILi21E19rocblas_complex_numIdEPS3_EEvT1_iilPiilS6_bb ; -- Begin function _ZN9rocsolver6v33100L18getri_kernel_smallILi21E19rocblas_complex_numIdEPS3_EEvT1_iilPiilS6_bb
	.p2align	8
	.type	_ZN9rocsolver6v33100L18getri_kernel_smallILi21E19rocblas_complex_numIdEPS3_EEvT1_iilPiilS6_bb,@function
_ZN9rocsolver6v33100L18getri_kernel_smallILi21E19rocblas_complex_numIdEPS3_EEvT1_iilPiilS6_bb: ; @_ZN9rocsolver6v33100L18getri_kernel_smallILi21E19rocblas_complex_numIdEPS3_EEvT1_iilPiilS6_bb
; %bb.0:
	v_and_b32_e32 v55, 0x3ff, v0
	s_mov_b32 s4, exec_lo
	s_delay_alu instid0(VALU_DEP_1)
	v_cmpx_gt_u32_e32 21, v55
	s_cbranch_execz .LBB20_98
; %bb.1:
	s_mov_b32 s18, s15
	s_clause 0x2
	s_load_b32 s21, s[2:3], 0x38
	s_load_b128 s[12:15], s[2:3], 0x10
	s_load_b128 s[4:7], s[2:3], 0x28
                                        ; implicit-def: $sgpr16_sgpr17
	s_waitcnt lgkmcnt(0)
	s_bitcmp1_b32 s21, 8
	s_cselect_b32 s20, -1, 0
	s_bfe_u32 s8, s21, 0x10008
	s_ashr_i32 s19, s18, 31
	s_cmp_eq_u32 s8, 0
	s_cbranch_scc1 .LBB20_3
; %bb.2:
	s_load_b32 s8, s[2:3], 0x20
	s_mul_i32 s5, s18, s5
	s_mul_hi_u32 s9, s18, s4
	s_mul_i32 s10, s19, s4
	s_add_i32 s5, s9, s5
	s_mul_i32 s4, s18, s4
	s_add_i32 s5, s5, s10
	s_delay_alu instid0(SALU_CYCLE_1)
	s_lshl_b64 s[4:5], s[4:5], 2
	s_waitcnt lgkmcnt(0)
	s_ashr_i32 s9, s8, 31
	s_add_u32 s10, s14, s4
	s_addc_u32 s11, s15, s5
	s_lshl_b64 s[4:5], s[8:9], 2
	s_delay_alu instid0(SALU_CYCLE_1)
	s_add_u32 s16, s10, s4
	s_addc_u32 s17, s11, s5
.LBB20_3:
	s_load_b128 s[8:11], s[2:3], 0x0
	s_mul_i32 s2, s18, s13
	s_mul_hi_u32 s3, s18, s12
	s_mul_i32 s4, s19, s12
	s_add_i32 s3, s3, s2
	s_mul_i32 s2, s18, s12
	s_add_i32 s3, s3, s4
	v_lshlrev_b32_e32 v76, 4, v55
	s_lshl_b64 s[2:3], s[2:3], 4
	s_waitcnt lgkmcnt(0)
	v_add3_u32 v5, s11, s11, v55
	s_ashr_i32 s5, s10, 31
	s_mov_b32 s4, s10
	s_add_u32 s8, s8, s2
	s_addc_u32 s9, s9, s3
	v_add_nc_u32_e32 v7, s11, v5
	s_lshl_b64 s[2:3], s[4:5], 4
	v_ashrrev_i32_e32 v6, 31, v5
	s_add_u32 s2, s8, s2
	s_addc_u32 s3, s9, s3
	v_add_nc_u32_e32 v19, s11, v7
	v_add_co_u32 v13, s8, s2, v76
	v_ashrrev_i32_e32 v8, 31, v7
	s_mov_b32 s4, s11
	s_ashr_i32 s5, s11, 31
	v_add_nc_u32_e32 v21, s11, v19
	v_add_co_ci_u32_e64 v14, null, s3, 0, s8
	v_lshlrev_b64 v[5:6], 4, v[5:6]
	s_lshl_b64 s[4:5], s[4:5], 4
	v_ashrrev_i32_e32 v20, 31, v19
	v_add_co_u32 v15, vcc_lo, v13, s4
	v_lshlrev_b64 v[23:24], 4, v[7:8]
	v_add_nc_u32_e32 v27, s11, v21
	v_add_co_ci_u32_e32 v16, vcc_lo, s5, v14, vcc_lo
	v_add_co_u32 v17, vcc_lo, s2, v5
	v_lshlrev_b64 v[25:26], 4, v[19:20]
	v_ashrrev_i32_e32 v22, 31, v21
	v_add_co_ci_u32_e32 v18, vcc_lo, s3, v6, vcc_lo
	v_add_co_u32 v19, vcc_lo, s2, v23
	v_ashrrev_i32_e32 v28, 31, v27
	v_add_co_ci_u32_e32 v20, vcc_lo, s3, v24, vcc_lo
	v_lshlrev_b64 v[23:24], 4, v[21:22]
	v_add_co_u32 v21, vcc_lo, s2, v25
	v_add_co_ci_u32_e32 v22, vcc_lo, s3, v26, vcc_lo
	v_lshlrev_b64 v[25:26], 4, v[27:28]
	v_add_nc_u32_e32 v27, s11, v27
	v_add_co_u32 v23, vcc_lo, s2, v23
	v_add_co_ci_u32_e32 v24, vcc_lo, s3, v24, vcc_lo
	s_delay_alu instid0(VALU_DEP_3) | instskip(SKIP_3) | instid1(VALU_DEP_4)
	v_add_nc_u32_e32 v29, s11, v27
	v_ashrrev_i32_e32 v28, 31, v27
	v_add_co_u32 v25, vcc_lo, s2, v25
	v_add_co_ci_u32_e32 v26, vcc_lo, s3, v26, vcc_lo
	v_add_nc_u32_e32 v32, s11, v29
	v_ashrrev_i32_e32 v30, 31, v29
	v_lshlrev_b64 v[27:28], 4, v[27:28]
	s_clause 0x2
	global_load_b128 v[1:4], v76, s[2:3]
	global_load_b128 v[5:8], v[15:16], off
	global_load_b128 v[9:12], v[17:18], off
	v_add_nc_u32_e32 v34, s11, v32
	v_lshlrev_b64 v[30:31], 4, v[29:30]
	v_ashrrev_i32_e32 v33, 31, v32
	v_add_co_u32 v27, vcc_lo, s2, v27
	s_delay_alu instid0(VALU_DEP_4)
	v_ashrrev_i32_e32 v35, 31, v34
	v_add_nc_u32_e32 v36, s11, v34
	v_add_co_ci_u32_e32 v28, vcc_lo, s3, v28, vcc_lo
	v_add_co_u32 v29, vcc_lo, s2, v30
	v_add_co_ci_u32_e32 v30, vcc_lo, s3, v31, vcc_lo
	v_lshlrev_b64 v[31:32], 4, v[32:33]
	v_lshlrev_b64 v[33:34], 4, v[34:35]
	v_add_nc_u32_e32 v35, s11, v36
	v_ashrrev_i32_e32 v37, 31, v36
	s_clause 0x5
	global_load_b128 v[56:59], v[19:20], off
	global_load_b128 v[60:63], v[21:22], off
	;; [unrolled: 1-line block ×6, first 2 shown]
	v_add_co_u32 v31, vcc_lo, s2, v31
	v_add_nc_u32_e32 v39, s11, v35
	v_lshlrev_b64 v[37:38], 4, v[36:37]
	v_ashrrev_i32_e32 v36, 31, v35
	v_add_co_ci_u32_e32 v32, vcc_lo, s3, v32, vcc_lo
	s_delay_alu instid0(VALU_DEP_4) | instskip(SKIP_1) | instid1(VALU_DEP_4)
	v_add_nc_u32_e32 v43, s11, v39
	v_add_co_u32 v33, vcc_lo, s2, v33
	v_lshlrev_b64 v[41:42], 4, v[35:36]
	v_add_co_ci_u32_e32 v34, vcc_lo, s3, v34, vcc_lo
	v_add_co_u32 v35, vcc_lo, s2, v37
	v_ashrrev_i32_e32 v44, 31, v43
	v_add_nc_u32_e32 v45, s11, v43
	v_add_co_ci_u32_e32 v36, vcc_lo, s3, v38, vcc_lo
	v_ashrrev_i32_e32 v40, 31, v39
	v_add_co_u32 v37, vcc_lo, s2, v41
	v_add_co_ci_u32_e32 v38, vcc_lo, s3, v42, vcc_lo
	v_lshlrev_b64 v[41:42], 4, v[43:44]
	v_add_nc_u32_e32 v43, s11, v45
	v_lshlrev_b64 v[39:40], 4, v[39:40]
	v_ashrrev_i32_e32 v46, 31, v45
	s_clause 0x2
	global_load_b128 v[81:84], v[31:32], off
	global_load_b128 v[85:88], v[33:34], off
	;; [unrolled: 1-line block ×3, first 2 shown]
	v_add_nc_u32_e32 v47, s11, v43
	v_ashrrev_i32_e32 v44, 31, v43
	v_add_co_u32 v39, vcc_lo, s2, v39
	v_lshlrev_b64 v[45:46], 4, v[45:46]
	s_delay_alu instid0(VALU_DEP_4)
	v_add_nc_u32_e32 v51, s11, v47
	v_add_co_ci_u32_e32 v40, vcc_lo, s3, v40, vcc_lo
	v_add_co_u32 v41, vcc_lo, s2, v41
	v_lshlrev_b64 v[49:50], 4, v[43:44]
	v_add_co_ci_u32_e32 v42, vcc_lo, s3, v42, vcc_lo
	v_add_co_u32 v43, vcc_lo, s2, v45
	v_ashrrev_i32_e32 v52, 31, v51
	v_add_nc_u32_e32 v53, s11, v51
	v_ashrrev_i32_e32 v48, 31, v47
	v_add_co_ci_u32_e32 v44, vcc_lo, s3, v46, vcc_lo
	v_add_co_u32 v45, vcc_lo, s2, v49
	v_add_co_ci_u32_e32 v46, vcc_lo, s3, v50, vcc_lo
	v_lshlrev_b64 v[49:50], 4, v[51:52]
	v_add_nc_u32_e32 v51, s11, v53
	v_lshlrev_b64 v[47:48], 4, v[47:48]
	v_ashrrev_i32_e32 v54, 31, v53
	s_clause 0x3
	global_load_b128 v[93:96], v[37:38], off
	global_load_b128 v[97:100], v[39:40], off
	global_load_b128 v[101:104], v[41:42], off
	global_load_b128 v[105:108], v[43:44], off
	v_ashrrev_i32_e32 v52, 31, v51
	s_bitcmp0_b32 s21, 0
	v_add_co_u32 v47, vcc_lo, s2, v47
	v_lshlrev_b64 v[53:54], 4, v[53:54]
	v_add_co_ci_u32_e32 v48, vcc_lo, s3, v48, vcc_lo
	v_add_co_u32 v49, vcc_lo, s2, v49
	v_lshlrev_b64 v[117:118], 4, v[51:52]
	v_add_co_ci_u32_e32 v50, vcc_lo, s3, v50, vcc_lo
	v_add_co_u32 v51, vcc_lo, s2, v53
	v_add_co_ci_u32_e32 v52, vcc_lo, s3, v54, vcc_lo
	s_delay_alu instid0(VALU_DEP_4)
	v_add_co_u32 v53, vcc_lo, s2, v117
	v_add_co_ci_u32_e32 v54, vcc_lo, s3, v118, vcc_lo
	s_clause 0x4
	global_load_b128 v[109:112], v[45:46], off
	global_load_b128 v[113:116], v[47:48], off
	;; [unrolled: 1-line block ×5, first 2 shown]
	s_movk_i32 s2, 0x50
	s_movk_i32 s3, 0x60
	s_waitcnt vmcnt(20)
	scratch_store_b128 off, v[1:4], off
	s_waitcnt vmcnt(19)
	scratch_store_b128 off, v[5:8], off offset:16
	s_waitcnt vmcnt(18)
	scratch_store_b128 off, v[9:12], off offset:32
	;; [unrolled: 2-line block ×9, first 2 shown]
	v_add_nc_u32_e64 v61, s2, 0
	s_movk_i32 s2, 0x70
	v_add_nc_u32_e64 v58, s3, 0
	v_add_nc_u32_e64 v60, s2, 0
	s_movk_i32 s2, 0x90
	s_movk_i32 s3, 0x80
	v_add_nc_u32_e64 v66, s2, 0
	s_movk_i32 s2, 0xb0
	v_add_nc_u32_e64 v57, s3, 0
	;; [unrolled: 2-line block ×10, first 2 shown]
	v_add_nc_u32_e64 v74, s2, 0
	s_movk_i32 s2, 0x130
	s_movk_i32 s3, 0x140
	v_add_nc_u32_e64 v64, 0, 16
	v_add_nc_u32_e64 v62, 0, 32
	;; [unrolled: 1-line block ×6, first 2 shown]
	s_mov_b32 s3, -1
	s_waitcnt vmcnt(10)
	scratch_store_b128 off, v[85:88], off offset:160
	s_waitcnt vmcnt(9)
	scratch_store_b128 off, v[89:92], off offset:176
	;; [unrolled: 2-line block ×11, first 2 shown]
	s_cbranch_scc1 .LBB20_96
; %bb.4:
	v_cmp_eq_u32_e64 s2, 0, v55
	s_delay_alu instid0(VALU_DEP_1)
	s_and_saveexec_b32 s3, s2
	s_cbranch_execz .LBB20_6
; %bb.5:
	v_mov_b32_e32 v1, 0
	ds_store_b32 v1, v1 offset:672
.LBB20_6:
	s_or_b32 exec_lo, exec_lo, s3
	s_waitcnt lgkmcnt(0)
	s_waitcnt_vscnt null, 0x0
	s_barrier
	buffer_gl0_inv
	scratch_load_b128 v[1:4], v76, off
	s_waitcnt vmcnt(0)
	v_cmp_eq_f64_e32 vcc_lo, 0, v[1:2]
	v_cmp_eq_f64_e64 s3, 0, v[3:4]
	s_delay_alu instid0(VALU_DEP_1) | instskip(NEXT) | instid1(SALU_CYCLE_1)
	s_and_b32 s3, vcc_lo, s3
	s_and_saveexec_b32 s4, s3
	s_cbranch_execz .LBB20_10
; %bb.7:
	v_mov_b32_e32 v1, 0
	s_mov_b32 s5, 0
	ds_load_b32 v2, v1 offset:672
	s_waitcnt lgkmcnt(0)
	v_readfirstlane_b32 s3, v2
	v_add_nc_u32_e32 v2, 1, v55
	s_delay_alu instid0(VALU_DEP_2) | instskip(NEXT) | instid1(VALU_DEP_1)
	s_cmp_eq_u32 s3, 0
	v_cmp_gt_i32_e32 vcc_lo, s3, v2
	s_cselect_b32 s8, -1, 0
	s_delay_alu instid0(SALU_CYCLE_1) | instskip(NEXT) | instid1(SALU_CYCLE_1)
	s_or_b32 s8, s8, vcc_lo
	s_and_b32 exec_lo, exec_lo, s8
	s_cbranch_execz .LBB20_10
; %bb.8:
	v_mov_b32_e32 v3, s3
.LBB20_9:                               ; =>This Inner Loop Header: Depth=1
	ds_cmpstore_rtn_b32 v3, v1, v2, v3 offset:672
	s_waitcnt lgkmcnt(0)
	v_cmp_ne_u32_e32 vcc_lo, 0, v3
	v_cmp_le_i32_e64 s3, v3, v2
	s_delay_alu instid0(VALU_DEP_1) | instskip(NEXT) | instid1(SALU_CYCLE_1)
	s_and_b32 s3, vcc_lo, s3
	s_and_b32 s3, exec_lo, s3
	s_delay_alu instid0(SALU_CYCLE_1) | instskip(NEXT) | instid1(SALU_CYCLE_1)
	s_or_b32 s5, s3, s5
	s_and_not1_b32 exec_lo, exec_lo, s5
	s_cbranch_execnz .LBB20_9
.LBB20_10:
	s_or_b32 exec_lo, exec_lo, s4
	v_mov_b32_e32 v1, 0
	s_barrier
	buffer_gl0_inv
	ds_load_b32 v2, v1 offset:672
	s_and_saveexec_b32 s3, s2
	s_cbranch_execz .LBB20_12
; %bb.11:
	s_lshl_b64 s[4:5], s[18:19], 2
	s_delay_alu instid0(SALU_CYCLE_1)
	s_add_u32 s4, s6, s4
	s_addc_u32 s5, s7, s5
	s_waitcnt lgkmcnt(0)
	global_store_b32 v1, v2, s[4:5]
.LBB20_12:
	s_or_b32 exec_lo, exec_lo, s3
	s_waitcnt lgkmcnt(0)
	v_cmp_ne_u32_e32 vcc_lo, 0, v2
	s_mov_b32 s3, 0
	s_cbranch_vccnz .LBB20_96
; %bb.13:
	v_add_nc_u32_e32 v77, 0, v76
                                        ; implicit-def: $vgpr9_vgpr10
	scratch_load_b128 v[1:4], v77, off
	s_waitcnt vmcnt(0)
	v_cmp_gt_f64_e32 vcc_lo, 0, v[1:2]
	v_xor_b32_e32 v6, 0x80000000, v2
	v_xor_b32_e32 v7, 0x80000000, v4
	s_delay_alu instid0(VALU_DEP_2) | instskip(SKIP_1) | instid1(VALU_DEP_3)
	v_cndmask_b32_e32 v6, v2, v6, vcc_lo
	v_cmp_gt_f64_e32 vcc_lo, 0, v[3:4]
	v_dual_mov_b32 v5, v1 :: v_dual_cndmask_b32 v8, v4, v7
	v_mov_b32_e32 v7, v3
	s_delay_alu instid0(VALU_DEP_1) | instskip(SKIP_1) | instid1(SALU_CYCLE_1)
	v_cmp_ngt_f64_e32 vcc_lo, v[5:6], v[7:8]
                                        ; implicit-def: $vgpr5_vgpr6
	s_and_saveexec_b32 s3, vcc_lo
	s_xor_b32 s3, exec_lo, s3
	s_cbranch_execz .LBB20_15
; %bb.14:
	v_div_scale_f64 v[5:6], null, v[3:4], v[3:4], v[1:2]
	v_div_scale_f64 v[11:12], vcc_lo, v[1:2], v[3:4], v[1:2]
	s_delay_alu instid0(VALU_DEP_2) | instskip(SKIP_2) | instid1(VALU_DEP_1)
	v_rcp_f64_e32 v[7:8], v[5:6]
	s_waitcnt_depctr 0xfff
	v_fma_f64 v[9:10], -v[5:6], v[7:8], 1.0
	v_fma_f64 v[7:8], v[7:8], v[9:10], v[7:8]
	s_delay_alu instid0(VALU_DEP_1) | instskip(NEXT) | instid1(VALU_DEP_1)
	v_fma_f64 v[9:10], -v[5:6], v[7:8], 1.0
	v_fma_f64 v[7:8], v[7:8], v[9:10], v[7:8]
	s_delay_alu instid0(VALU_DEP_1) | instskip(NEXT) | instid1(VALU_DEP_1)
	v_mul_f64 v[9:10], v[11:12], v[7:8]
	v_fma_f64 v[5:6], -v[5:6], v[9:10], v[11:12]
	s_delay_alu instid0(VALU_DEP_1) | instskip(NEXT) | instid1(VALU_DEP_1)
	v_div_fmas_f64 v[5:6], v[5:6], v[7:8], v[9:10]
	v_div_fixup_f64 v[5:6], v[5:6], v[3:4], v[1:2]
	s_delay_alu instid0(VALU_DEP_1) | instskip(NEXT) | instid1(VALU_DEP_1)
	v_fma_f64 v[1:2], v[1:2], v[5:6], v[3:4]
	v_div_scale_f64 v[3:4], null, v[1:2], v[1:2], 1.0
	v_div_scale_f64 v[11:12], vcc_lo, 1.0, v[1:2], 1.0
	s_delay_alu instid0(VALU_DEP_2) | instskip(SKIP_2) | instid1(VALU_DEP_1)
	v_rcp_f64_e32 v[7:8], v[3:4]
	s_waitcnt_depctr 0xfff
	v_fma_f64 v[9:10], -v[3:4], v[7:8], 1.0
	v_fma_f64 v[7:8], v[7:8], v[9:10], v[7:8]
	s_delay_alu instid0(VALU_DEP_1) | instskip(NEXT) | instid1(VALU_DEP_1)
	v_fma_f64 v[9:10], -v[3:4], v[7:8], 1.0
	v_fma_f64 v[7:8], v[7:8], v[9:10], v[7:8]
	s_delay_alu instid0(VALU_DEP_1) | instskip(NEXT) | instid1(VALU_DEP_1)
	v_mul_f64 v[9:10], v[11:12], v[7:8]
	v_fma_f64 v[3:4], -v[3:4], v[9:10], v[11:12]
	s_delay_alu instid0(VALU_DEP_1) | instskip(NEXT) | instid1(VALU_DEP_1)
	v_div_fmas_f64 v[3:4], v[3:4], v[7:8], v[9:10]
	v_div_fixup_f64 v[7:8], v[3:4], v[1:2], 1.0
                                        ; implicit-def: $vgpr1_vgpr2
	s_delay_alu instid0(VALU_DEP_1) | instskip(SKIP_1) | instid1(VALU_DEP_2)
	v_mul_f64 v[5:6], v[5:6], v[7:8]
	v_xor_b32_e32 v8, 0x80000000, v8
	v_xor_b32_e32 v10, 0x80000000, v6
	s_delay_alu instid0(VALU_DEP_3)
	v_mov_b32_e32 v9, v5
.LBB20_15:
	s_and_not1_saveexec_b32 s3, s3
	s_cbranch_execz .LBB20_17
; %bb.16:
	v_div_scale_f64 v[5:6], null, v[1:2], v[1:2], v[3:4]
	v_div_scale_f64 v[11:12], vcc_lo, v[3:4], v[1:2], v[3:4]
	s_delay_alu instid0(VALU_DEP_2) | instskip(SKIP_2) | instid1(VALU_DEP_1)
	v_rcp_f64_e32 v[7:8], v[5:6]
	s_waitcnt_depctr 0xfff
	v_fma_f64 v[9:10], -v[5:6], v[7:8], 1.0
	v_fma_f64 v[7:8], v[7:8], v[9:10], v[7:8]
	s_delay_alu instid0(VALU_DEP_1) | instskip(NEXT) | instid1(VALU_DEP_1)
	v_fma_f64 v[9:10], -v[5:6], v[7:8], 1.0
	v_fma_f64 v[7:8], v[7:8], v[9:10], v[7:8]
	s_delay_alu instid0(VALU_DEP_1) | instskip(NEXT) | instid1(VALU_DEP_1)
	v_mul_f64 v[9:10], v[11:12], v[7:8]
	v_fma_f64 v[5:6], -v[5:6], v[9:10], v[11:12]
	s_delay_alu instid0(VALU_DEP_1) | instskip(NEXT) | instid1(VALU_DEP_1)
	v_div_fmas_f64 v[5:6], v[5:6], v[7:8], v[9:10]
	v_div_fixup_f64 v[7:8], v[5:6], v[1:2], v[3:4]
	s_delay_alu instid0(VALU_DEP_1) | instskip(NEXT) | instid1(VALU_DEP_1)
	v_fma_f64 v[1:2], v[3:4], v[7:8], v[1:2]
	v_div_scale_f64 v[3:4], null, v[1:2], v[1:2], 1.0
	s_delay_alu instid0(VALU_DEP_1) | instskip(SKIP_2) | instid1(VALU_DEP_1)
	v_rcp_f64_e32 v[5:6], v[3:4]
	s_waitcnt_depctr 0xfff
	v_fma_f64 v[9:10], -v[3:4], v[5:6], 1.0
	v_fma_f64 v[5:6], v[5:6], v[9:10], v[5:6]
	s_delay_alu instid0(VALU_DEP_1) | instskip(NEXT) | instid1(VALU_DEP_1)
	v_fma_f64 v[9:10], -v[3:4], v[5:6], 1.0
	v_fma_f64 v[5:6], v[5:6], v[9:10], v[5:6]
	v_div_scale_f64 v[9:10], vcc_lo, 1.0, v[1:2], 1.0
	s_delay_alu instid0(VALU_DEP_1) | instskip(NEXT) | instid1(VALU_DEP_1)
	v_mul_f64 v[11:12], v[9:10], v[5:6]
	v_fma_f64 v[3:4], -v[3:4], v[11:12], v[9:10]
	s_delay_alu instid0(VALU_DEP_1) | instskip(NEXT) | instid1(VALU_DEP_1)
	v_div_fmas_f64 v[3:4], v[3:4], v[5:6], v[11:12]
	v_div_fixup_f64 v[5:6], v[3:4], v[1:2], 1.0
	s_delay_alu instid0(VALU_DEP_1)
	v_mul_f64 v[7:8], v[7:8], -v[5:6]
	v_xor_b32_e32 v10, 0x80000000, v6
	v_mov_b32_e32 v9, v5
.LBB20_17:
	s_or_b32 exec_lo, exec_lo, s3
	scratch_store_b128 v77, v[5:8], off
	scratch_load_b128 v[1:4], v64, off
	v_xor_b32_e32 v12, 0x80000000, v8
	v_mov_b32_e32 v11, v7
	v_add_nc_u32_e32 v5, 0x150, v76
	ds_store_b128 v76, v[9:12]
	s_waitcnt vmcnt(0)
	ds_store_b128 v76, v[1:4] offset:336
	s_waitcnt lgkmcnt(0)
	s_waitcnt_vscnt null, 0x0
	s_barrier
	buffer_gl0_inv
	s_and_saveexec_b32 s3, s2
	s_cbranch_execz .LBB20_19
; %bb.18:
	scratch_load_b128 v[1:4], v77, off
	ds_load_b128 v[6:9], v5
	v_mov_b32_e32 v10, 0
	ds_load_b128 v[78:81], v10 offset:16
	s_waitcnt vmcnt(0) lgkmcnt(1)
	v_mul_f64 v[10:11], v[6:7], v[3:4]
	v_mul_f64 v[3:4], v[8:9], v[3:4]
	s_delay_alu instid0(VALU_DEP_2) | instskip(NEXT) | instid1(VALU_DEP_2)
	v_fma_f64 v[8:9], v[8:9], v[1:2], v[10:11]
	v_fma_f64 v[1:2], v[6:7], v[1:2], -v[3:4]
	s_delay_alu instid0(VALU_DEP_2) | instskip(NEXT) | instid1(VALU_DEP_2)
	v_add_f64 v[3:4], v[8:9], 0
	v_add_f64 v[1:2], v[1:2], 0
	s_waitcnt lgkmcnt(0)
	s_delay_alu instid0(VALU_DEP_2) | instskip(NEXT) | instid1(VALU_DEP_2)
	v_mul_f64 v[6:7], v[3:4], v[80:81]
	v_mul_f64 v[8:9], v[1:2], v[80:81]
	s_delay_alu instid0(VALU_DEP_2) | instskip(NEXT) | instid1(VALU_DEP_2)
	v_fma_f64 v[1:2], v[1:2], v[78:79], -v[6:7]
	v_fma_f64 v[3:4], v[3:4], v[78:79], v[8:9]
	scratch_store_b128 off, v[1:4], off offset:16
.LBB20_19:
	s_or_b32 exec_lo, exec_lo, s3
	s_waitcnt_vscnt null, 0x0
	s_barrier
	buffer_gl0_inv
	scratch_load_b128 v[1:4], v62, off
	s_mov_b32 s3, exec_lo
	s_waitcnt vmcnt(0)
	ds_store_b128 v5, v[1:4]
	s_waitcnt lgkmcnt(0)
	s_barrier
	buffer_gl0_inv
	v_cmpx_gt_u32_e32 2, v55
	s_cbranch_execz .LBB20_23
; %bb.20:
	scratch_load_b128 v[1:4], v77, off
	ds_load_b128 v[6:9], v5
	s_waitcnt vmcnt(0) lgkmcnt(0)
	v_mul_f64 v[10:11], v[8:9], v[3:4]
	v_mul_f64 v[3:4], v[6:7], v[3:4]
	s_delay_alu instid0(VALU_DEP_2) | instskip(NEXT) | instid1(VALU_DEP_2)
	v_fma_f64 v[6:7], v[6:7], v[1:2], -v[10:11]
	v_fma_f64 v[3:4], v[8:9], v[1:2], v[3:4]
	s_delay_alu instid0(VALU_DEP_2) | instskip(NEXT) | instid1(VALU_DEP_2)
	v_add_f64 v[1:2], v[6:7], 0
	v_add_f64 v[3:4], v[3:4], 0
	s_and_saveexec_b32 s4, s2
	s_cbranch_execz .LBB20_22
; %bb.21:
	scratch_load_b128 v[6:9], off, off offset:16
	v_mov_b32_e32 v10, 0
	ds_load_b128 v[78:81], v10 offset:352
	s_waitcnt vmcnt(0) lgkmcnt(0)
	v_mul_f64 v[10:11], v[78:79], v[8:9]
	v_mul_f64 v[8:9], v[80:81], v[8:9]
	s_delay_alu instid0(VALU_DEP_2) | instskip(NEXT) | instid1(VALU_DEP_2)
	v_fma_f64 v[10:11], v[80:81], v[6:7], v[10:11]
	v_fma_f64 v[6:7], v[78:79], v[6:7], -v[8:9]
	s_delay_alu instid0(VALU_DEP_2) | instskip(NEXT) | instid1(VALU_DEP_2)
	v_add_f64 v[3:4], v[3:4], v[10:11]
	v_add_f64 v[1:2], v[1:2], v[6:7]
.LBB20_22:
	s_or_b32 exec_lo, exec_lo, s4
	v_mov_b32_e32 v6, 0
	ds_load_b128 v[6:9], v6 offset:32
	s_waitcnt lgkmcnt(0)
	v_mul_f64 v[10:11], v[3:4], v[8:9]
	v_mul_f64 v[8:9], v[1:2], v[8:9]
	s_delay_alu instid0(VALU_DEP_2) | instskip(NEXT) | instid1(VALU_DEP_2)
	v_fma_f64 v[1:2], v[1:2], v[6:7], -v[10:11]
	v_fma_f64 v[3:4], v[3:4], v[6:7], v[8:9]
	scratch_store_b128 off, v[1:4], off offset:32
.LBB20_23:
	s_or_b32 exec_lo, exec_lo, s3
	s_waitcnt_vscnt null, 0x0
	s_barrier
	buffer_gl0_inv
	scratch_load_b128 v[1:4], v59, off
	v_add_nc_u32_e32 v6, -1, v55
	s_mov_b32 s2, exec_lo
	s_waitcnt vmcnt(0)
	ds_store_b128 v5, v[1:4]
	s_waitcnt lgkmcnt(0)
	s_barrier
	buffer_gl0_inv
	v_cmpx_gt_u32_e32 3, v55
	s_cbranch_execz .LBB20_27
; %bb.24:
	v_dual_mov_b32 v1, 0 :: v_dual_add_nc_u32 v8, 0x150, v76
	v_dual_mov_b32 v2, 0 :: v_dual_add_nc_u32 v7, -1, v55
	v_or_b32_e32 v9, 8, v77
	s_mov_b32 s3, 0
	s_delay_alu instid0(VALU_DEP_2)
	v_dual_mov_b32 v4, v2 :: v_dual_mov_b32 v3, v1
	.p2align	6
.LBB20_25:                              ; =>This Inner Loop Header: Depth=1
	scratch_load_b128 v[78:81], v9, off offset:-8
	ds_load_b128 v[82:85], v8
	v_add_nc_u32_e32 v7, 1, v7
	v_add_nc_u32_e32 v8, 16, v8
	;; [unrolled: 1-line block ×3, first 2 shown]
	s_delay_alu instid0(VALU_DEP_3) | instskip(SKIP_4) | instid1(VALU_DEP_2)
	v_cmp_lt_u32_e32 vcc_lo, 1, v7
	s_or_b32 s3, vcc_lo, s3
	s_waitcnt vmcnt(0) lgkmcnt(0)
	v_mul_f64 v[10:11], v[84:85], v[80:81]
	v_mul_f64 v[80:81], v[82:83], v[80:81]
	v_fma_f64 v[10:11], v[82:83], v[78:79], -v[10:11]
	s_delay_alu instid0(VALU_DEP_2) | instskip(NEXT) | instid1(VALU_DEP_2)
	v_fma_f64 v[78:79], v[84:85], v[78:79], v[80:81]
	v_add_f64 v[3:4], v[3:4], v[10:11]
	s_delay_alu instid0(VALU_DEP_2)
	v_add_f64 v[1:2], v[1:2], v[78:79]
	s_and_not1_b32 exec_lo, exec_lo, s3
	s_cbranch_execnz .LBB20_25
; %bb.26:
	s_or_b32 exec_lo, exec_lo, s3
	v_mov_b32_e32 v7, 0
	ds_load_b128 v[7:10], v7 offset:48
	s_waitcnt lgkmcnt(0)
	v_mul_f64 v[11:12], v[1:2], v[9:10]
	v_mul_f64 v[78:79], v[3:4], v[9:10]
	s_delay_alu instid0(VALU_DEP_2) | instskip(NEXT) | instid1(VALU_DEP_2)
	v_fma_f64 v[9:10], v[3:4], v[7:8], -v[11:12]
	v_fma_f64 v[11:12], v[1:2], v[7:8], v[78:79]
	scratch_store_b128 off, v[9:12], off offset:48
.LBB20_27:
	s_or_b32 exec_lo, exec_lo, s2
	s_waitcnt_vscnt null, 0x0
	s_barrier
	buffer_gl0_inv
	scratch_load_b128 v[1:4], v56, off
	s_mov_b32 s2, exec_lo
	s_waitcnt vmcnt(0)
	ds_store_b128 v5, v[1:4]
	s_waitcnt lgkmcnt(0)
	s_barrier
	buffer_gl0_inv
	v_cmpx_gt_u32_e32 4, v55
	s_cbranch_execz .LBB20_31
; %bb.28:
	v_dual_mov_b32 v1, 0 :: v_dual_add_nc_u32 v8, 0x150, v76
	v_dual_mov_b32 v2, 0 :: v_dual_add_nc_u32 v7, -1, v55
	v_or_b32_e32 v9, 8, v77
	s_mov_b32 s3, 0
	s_delay_alu instid0(VALU_DEP_2)
	v_dual_mov_b32 v4, v2 :: v_dual_mov_b32 v3, v1
	.p2align	6
.LBB20_29:                              ; =>This Inner Loop Header: Depth=1
	scratch_load_b128 v[78:81], v9, off offset:-8
	ds_load_b128 v[82:85], v8
	v_add_nc_u32_e32 v7, 1, v7
	v_add_nc_u32_e32 v8, 16, v8
	;; [unrolled: 1-line block ×3, first 2 shown]
	s_delay_alu instid0(VALU_DEP_3) | instskip(SKIP_4) | instid1(VALU_DEP_2)
	v_cmp_lt_u32_e32 vcc_lo, 2, v7
	s_or_b32 s3, vcc_lo, s3
	s_waitcnt vmcnt(0) lgkmcnt(0)
	v_mul_f64 v[10:11], v[84:85], v[80:81]
	v_mul_f64 v[80:81], v[82:83], v[80:81]
	v_fma_f64 v[10:11], v[82:83], v[78:79], -v[10:11]
	s_delay_alu instid0(VALU_DEP_2) | instskip(NEXT) | instid1(VALU_DEP_2)
	v_fma_f64 v[78:79], v[84:85], v[78:79], v[80:81]
	v_add_f64 v[3:4], v[3:4], v[10:11]
	s_delay_alu instid0(VALU_DEP_2)
	v_add_f64 v[1:2], v[1:2], v[78:79]
	s_and_not1_b32 exec_lo, exec_lo, s3
	s_cbranch_execnz .LBB20_29
; %bb.30:
	s_or_b32 exec_lo, exec_lo, s3
	v_mov_b32_e32 v7, 0
	ds_load_b128 v[7:10], v7 offset:64
	s_waitcnt lgkmcnt(0)
	v_mul_f64 v[11:12], v[1:2], v[9:10]
	v_mul_f64 v[78:79], v[3:4], v[9:10]
	s_delay_alu instid0(VALU_DEP_2) | instskip(NEXT) | instid1(VALU_DEP_2)
	v_fma_f64 v[9:10], v[3:4], v[7:8], -v[11:12]
	v_fma_f64 v[11:12], v[1:2], v[7:8], v[78:79]
	scratch_store_b128 off, v[9:12], off offset:64
.LBB20_31:
	s_or_b32 exec_lo, exec_lo, s2
	s_waitcnt_vscnt null, 0x0
	s_barrier
	buffer_gl0_inv
	scratch_load_b128 v[1:4], v61, off
	s_mov_b32 s2, exec_lo
	s_waitcnt vmcnt(0)
	ds_store_b128 v5, v[1:4]
	s_waitcnt lgkmcnt(0)
	s_barrier
	buffer_gl0_inv
	v_cmpx_gt_u32_e32 5, v55
	s_cbranch_execz .LBB20_35
; %bb.32:
	v_dual_mov_b32 v1, 0 :: v_dual_add_nc_u32 v8, 0x150, v76
	v_dual_mov_b32 v2, 0 :: v_dual_add_nc_u32 v7, -1, v55
	v_or_b32_e32 v9, 8, v77
	s_mov_b32 s3, 0
	s_delay_alu instid0(VALU_DEP_2)
	v_dual_mov_b32 v4, v2 :: v_dual_mov_b32 v3, v1
	.p2align	6
.LBB20_33:                              ; =>This Inner Loop Header: Depth=1
	scratch_load_b128 v[78:81], v9, off offset:-8
	ds_load_b128 v[82:85], v8
	v_add_nc_u32_e32 v7, 1, v7
	v_add_nc_u32_e32 v8, 16, v8
	v_add_nc_u32_e32 v9, 16, v9
	s_delay_alu instid0(VALU_DEP_3) | instskip(SKIP_4) | instid1(VALU_DEP_2)
	v_cmp_lt_u32_e32 vcc_lo, 3, v7
	s_or_b32 s3, vcc_lo, s3
	s_waitcnt vmcnt(0) lgkmcnt(0)
	v_mul_f64 v[10:11], v[84:85], v[80:81]
	v_mul_f64 v[80:81], v[82:83], v[80:81]
	v_fma_f64 v[10:11], v[82:83], v[78:79], -v[10:11]
	s_delay_alu instid0(VALU_DEP_2) | instskip(NEXT) | instid1(VALU_DEP_2)
	v_fma_f64 v[78:79], v[84:85], v[78:79], v[80:81]
	v_add_f64 v[3:4], v[3:4], v[10:11]
	s_delay_alu instid0(VALU_DEP_2)
	v_add_f64 v[1:2], v[1:2], v[78:79]
	s_and_not1_b32 exec_lo, exec_lo, s3
	s_cbranch_execnz .LBB20_33
; %bb.34:
	s_or_b32 exec_lo, exec_lo, s3
	v_mov_b32_e32 v7, 0
	ds_load_b128 v[7:10], v7 offset:80
	s_waitcnt lgkmcnt(0)
	v_mul_f64 v[11:12], v[1:2], v[9:10]
	v_mul_f64 v[78:79], v[3:4], v[9:10]
	s_delay_alu instid0(VALU_DEP_2) | instskip(NEXT) | instid1(VALU_DEP_2)
	v_fma_f64 v[9:10], v[3:4], v[7:8], -v[11:12]
	v_fma_f64 v[11:12], v[1:2], v[7:8], v[78:79]
	scratch_store_b128 off, v[9:12], off offset:80
.LBB20_35:
	s_or_b32 exec_lo, exec_lo, s2
	s_waitcnt_vscnt null, 0x0
	s_barrier
	buffer_gl0_inv
	scratch_load_b128 v[1:4], v58, off
	s_mov_b32 s2, exec_lo
	s_waitcnt vmcnt(0)
	ds_store_b128 v5, v[1:4]
	s_waitcnt lgkmcnt(0)
	s_barrier
	buffer_gl0_inv
	v_cmpx_gt_u32_e32 6, v55
	s_cbranch_execz .LBB20_39
; %bb.36:
	v_dual_mov_b32 v1, 0 :: v_dual_add_nc_u32 v8, 0x150, v76
	v_dual_mov_b32 v2, 0 :: v_dual_add_nc_u32 v7, -1, v55
	v_or_b32_e32 v9, 8, v77
	s_mov_b32 s3, 0
	s_delay_alu instid0(VALU_DEP_2)
	v_dual_mov_b32 v4, v2 :: v_dual_mov_b32 v3, v1
	.p2align	6
.LBB20_37:                              ; =>This Inner Loop Header: Depth=1
	scratch_load_b128 v[78:81], v9, off offset:-8
	ds_load_b128 v[82:85], v8
	v_add_nc_u32_e32 v7, 1, v7
	v_add_nc_u32_e32 v8, 16, v8
	;; [unrolled: 1-line block ×3, first 2 shown]
	s_delay_alu instid0(VALU_DEP_3) | instskip(SKIP_4) | instid1(VALU_DEP_2)
	v_cmp_lt_u32_e32 vcc_lo, 4, v7
	s_or_b32 s3, vcc_lo, s3
	s_waitcnt vmcnt(0) lgkmcnt(0)
	v_mul_f64 v[10:11], v[84:85], v[80:81]
	v_mul_f64 v[80:81], v[82:83], v[80:81]
	v_fma_f64 v[10:11], v[82:83], v[78:79], -v[10:11]
	s_delay_alu instid0(VALU_DEP_2) | instskip(NEXT) | instid1(VALU_DEP_2)
	v_fma_f64 v[78:79], v[84:85], v[78:79], v[80:81]
	v_add_f64 v[3:4], v[3:4], v[10:11]
	s_delay_alu instid0(VALU_DEP_2)
	v_add_f64 v[1:2], v[1:2], v[78:79]
	s_and_not1_b32 exec_lo, exec_lo, s3
	s_cbranch_execnz .LBB20_37
; %bb.38:
	s_or_b32 exec_lo, exec_lo, s3
	v_mov_b32_e32 v7, 0
	ds_load_b128 v[7:10], v7 offset:96
	s_waitcnt lgkmcnt(0)
	v_mul_f64 v[11:12], v[1:2], v[9:10]
	v_mul_f64 v[78:79], v[3:4], v[9:10]
	s_delay_alu instid0(VALU_DEP_2) | instskip(NEXT) | instid1(VALU_DEP_2)
	v_fma_f64 v[9:10], v[3:4], v[7:8], -v[11:12]
	v_fma_f64 v[11:12], v[1:2], v[7:8], v[78:79]
	scratch_store_b128 off, v[9:12], off offset:96
.LBB20_39:
	s_or_b32 exec_lo, exec_lo, s2
	s_waitcnt_vscnt null, 0x0
	s_barrier
	buffer_gl0_inv
	scratch_load_b128 v[1:4], v60, off
	s_mov_b32 s2, exec_lo
	s_waitcnt vmcnt(0)
	ds_store_b128 v5, v[1:4]
	s_waitcnt lgkmcnt(0)
	s_barrier
	buffer_gl0_inv
	v_cmpx_gt_u32_e32 7, v55
	s_cbranch_execz .LBB20_43
; %bb.40:
	v_dual_mov_b32 v1, 0 :: v_dual_add_nc_u32 v8, 0x150, v76
	v_dual_mov_b32 v2, 0 :: v_dual_add_nc_u32 v7, -1, v55
	v_or_b32_e32 v9, 8, v77
	s_mov_b32 s3, 0
	s_delay_alu instid0(VALU_DEP_2)
	v_dual_mov_b32 v4, v2 :: v_dual_mov_b32 v3, v1
	.p2align	6
.LBB20_41:                              ; =>This Inner Loop Header: Depth=1
	scratch_load_b128 v[78:81], v9, off offset:-8
	ds_load_b128 v[82:85], v8
	v_add_nc_u32_e32 v7, 1, v7
	v_add_nc_u32_e32 v8, 16, v8
	;; [unrolled: 1-line block ×3, first 2 shown]
	s_delay_alu instid0(VALU_DEP_3) | instskip(SKIP_4) | instid1(VALU_DEP_2)
	v_cmp_lt_u32_e32 vcc_lo, 5, v7
	s_or_b32 s3, vcc_lo, s3
	s_waitcnt vmcnt(0) lgkmcnt(0)
	v_mul_f64 v[10:11], v[84:85], v[80:81]
	v_mul_f64 v[80:81], v[82:83], v[80:81]
	v_fma_f64 v[10:11], v[82:83], v[78:79], -v[10:11]
	s_delay_alu instid0(VALU_DEP_2) | instskip(NEXT) | instid1(VALU_DEP_2)
	v_fma_f64 v[78:79], v[84:85], v[78:79], v[80:81]
	v_add_f64 v[3:4], v[3:4], v[10:11]
	s_delay_alu instid0(VALU_DEP_2)
	v_add_f64 v[1:2], v[1:2], v[78:79]
	s_and_not1_b32 exec_lo, exec_lo, s3
	s_cbranch_execnz .LBB20_41
; %bb.42:
	s_or_b32 exec_lo, exec_lo, s3
	v_mov_b32_e32 v7, 0
	ds_load_b128 v[7:10], v7 offset:112
	s_waitcnt lgkmcnt(0)
	v_mul_f64 v[11:12], v[1:2], v[9:10]
	v_mul_f64 v[78:79], v[3:4], v[9:10]
	s_delay_alu instid0(VALU_DEP_2) | instskip(NEXT) | instid1(VALU_DEP_2)
	v_fma_f64 v[9:10], v[3:4], v[7:8], -v[11:12]
	v_fma_f64 v[11:12], v[1:2], v[7:8], v[78:79]
	scratch_store_b128 off, v[9:12], off offset:112
.LBB20_43:
	s_or_b32 exec_lo, exec_lo, s2
	s_waitcnt_vscnt null, 0x0
	s_barrier
	buffer_gl0_inv
	scratch_load_b128 v[1:4], v57, off
	s_mov_b32 s2, exec_lo
	s_waitcnt vmcnt(0)
	ds_store_b128 v5, v[1:4]
	s_waitcnt lgkmcnt(0)
	s_barrier
	buffer_gl0_inv
	v_cmpx_gt_u32_e32 8, v55
	s_cbranch_execz .LBB20_47
; %bb.44:
	v_dual_mov_b32 v1, 0 :: v_dual_add_nc_u32 v8, 0x150, v76
	v_dual_mov_b32 v2, 0 :: v_dual_add_nc_u32 v7, -1, v55
	v_or_b32_e32 v9, 8, v77
	s_mov_b32 s3, 0
	s_delay_alu instid0(VALU_DEP_2)
	v_dual_mov_b32 v4, v2 :: v_dual_mov_b32 v3, v1
	.p2align	6
.LBB20_45:                              ; =>This Inner Loop Header: Depth=1
	scratch_load_b128 v[78:81], v9, off offset:-8
	ds_load_b128 v[82:85], v8
	v_add_nc_u32_e32 v7, 1, v7
	v_add_nc_u32_e32 v8, 16, v8
	;; [unrolled: 1-line block ×3, first 2 shown]
	s_delay_alu instid0(VALU_DEP_3) | instskip(SKIP_4) | instid1(VALU_DEP_2)
	v_cmp_lt_u32_e32 vcc_lo, 6, v7
	s_or_b32 s3, vcc_lo, s3
	s_waitcnt vmcnt(0) lgkmcnt(0)
	v_mul_f64 v[10:11], v[84:85], v[80:81]
	v_mul_f64 v[80:81], v[82:83], v[80:81]
	v_fma_f64 v[10:11], v[82:83], v[78:79], -v[10:11]
	s_delay_alu instid0(VALU_DEP_2) | instskip(NEXT) | instid1(VALU_DEP_2)
	v_fma_f64 v[78:79], v[84:85], v[78:79], v[80:81]
	v_add_f64 v[3:4], v[3:4], v[10:11]
	s_delay_alu instid0(VALU_DEP_2)
	v_add_f64 v[1:2], v[1:2], v[78:79]
	s_and_not1_b32 exec_lo, exec_lo, s3
	s_cbranch_execnz .LBB20_45
; %bb.46:
	s_or_b32 exec_lo, exec_lo, s3
	v_mov_b32_e32 v7, 0
	ds_load_b128 v[7:10], v7 offset:128
	s_waitcnt lgkmcnt(0)
	v_mul_f64 v[11:12], v[1:2], v[9:10]
	v_mul_f64 v[78:79], v[3:4], v[9:10]
	s_delay_alu instid0(VALU_DEP_2) | instskip(NEXT) | instid1(VALU_DEP_2)
	v_fma_f64 v[9:10], v[3:4], v[7:8], -v[11:12]
	v_fma_f64 v[11:12], v[1:2], v[7:8], v[78:79]
	scratch_store_b128 off, v[9:12], off offset:128
.LBB20_47:
	s_or_b32 exec_lo, exec_lo, s2
	s_waitcnt_vscnt null, 0x0
	s_barrier
	buffer_gl0_inv
	scratch_load_b128 v[1:4], v66, off
	s_mov_b32 s2, exec_lo
	s_waitcnt vmcnt(0)
	ds_store_b128 v5, v[1:4]
	s_waitcnt lgkmcnt(0)
	s_barrier
	buffer_gl0_inv
	v_cmpx_gt_u32_e32 9, v55
	s_cbranch_execz .LBB20_51
; %bb.48:
	v_dual_mov_b32 v1, 0 :: v_dual_add_nc_u32 v8, 0x150, v76
	v_dual_mov_b32 v2, 0 :: v_dual_add_nc_u32 v7, -1, v55
	v_or_b32_e32 v9, 8, v77
	s_mov_b32 s3, 0
	s_delay_alu instid0(VALU_DEP_2)
	v_dual_mov_b32 v4, v2 :: v_dual_mov_b32 v3, v1
	.p2align	6
.LBB20_49:                              ; =>This Inner Loop Header: Depth=1
	scratch_load_b128 v[78:81], v9, off offset:-8
	ds_load_b128 v[82:85], v8
	v_add_nc_u32_e32 v7, 1, v7
	v_add_nc_u32_e32 v8, 16, v8
	v_add_nc_u32_e32 v9, 16, v9
	s_delay_alu instid0(VALU_DEP_3) | instskip(SKIP_4) | instid1(VALU_DEP_2)
	v_cmp_lt_u32_e32 vcc_lo, 7, v7
	s_or_b32 s3, vcc_lo, s3
	s_waitcnt vmcnt(0) lgkmcnt(0)
	v_mul_f64 v[10:11], v[84:85], v[80:81]
	v_mul_f64 v[80:81], v[82:83], v[80:81]
	v_fma_f64 v[10:11], v[82:83], v[78:79], -v[10:11]
	s_delay_alu instid0(VALU_DEP_2) | instskip(NEXT) | instid1(VALU_DEP_2)
	v_fma_f64 v[78:79], v[84:85], v[78:79], v[80:81]
	v_add_f64 v[3:4], v[3:4], v[10:11]
	s_delay_alu instid0(VALU_DEP_2)
	v_add_f64 v[1:2], v[1:2], v[78:79]
	s_and_not1_b32 exec_lo, exec_lo, s3
	s_cbranch_execnz .LBB20_49
; %bb.50:
	s_or_b32 exec_lo, exec_lo, s3
	v_mov_b32_e32 v7, 0
	ds_load_b128 v[7:10], v7 offset:144
	s_waitcnt lgkmcnt(0)
	v_mul_f64 v[11:12], v[1:2], v[9:10]
	v_mul_f64 v[78:79], v[3:4], v[9:10]
	s_delay_alu instid0(VALU_DEP_2) | instskip(NEXT) | instid1(VALU_DEP_2)
	v_fma_f64 v[9:10], v[3:4], v[7:8], -v[11:12]
	v_fma_f64 v[11:12], v[1:2], v[7:8], v[78:79]
	scratch_store_b128 off, v[9:12], off offset:144
.LBB20_51:
	s_or_b32 exec_lo, exec_lo, s2
	s_waitcnt_vscnt null, 0x0
	s_barrier
	buffer_gl0_inv
	scratch_load_b128 v[1:4], v63, off
	s_mov_b32 s2, exec_lo
	s_waitcnt vmcnt(0)
	ds_store_b128 v5, v[1:4]
	s_waitcnt lgkmcnt(0)
	s_barrier
	buffer_gl0_inv
	v_cmpx_gt_u32_e32 10, v55
	s_cbranch_execz .LBB20_55
; %bb.52:
	v_dual_mov_b32 v1, 0 :: v_dual_add_nc_u32 v8, 0x150, v76
	v_dual_mov_b32 v2, 0 :: v_dual_add_nc_u32 v7, -1, v55
	v_or_b32_e32 v9, 8, v77
	s_mov_b32 s3, 0
	s_delay_alu instid0(VALU_DEP_2)
	v_dual_mov_b32 v4, v2 :: v_dual_mov_b32 v3, v1
	.p2align	6
.LBB20_53:                              ; =>This Inner Loop Header: Depth=1
	scratch_load_b128 v[78:81], v9, off offset:-8
	ds_load_b128 v[82:85], v8
	v_add_nc_u32_e32 v7, 1, v7
	v_add_nc_u32_e32 v8, 16, v8
	v_add_nc_u32_e32 v9, 16, v9
	s_delay_alu instid0(VALU_DEP_3) | instskip(SKIP_4) | instid1(VALU_DEP_2)
	v_cmp_lt_u32_e32 vcc_lo, 8, v7
	s_or_b32 s3, vcc_lo, s3
	s_waitcnt vmcnt(0) lgkmcnt(0)
	v_mul_f64 v[10:11], v[84:85], v[80:81]
	v_mul_f64 v[80:81], v[82:83], v[80:81]
	v_fma_f64 v[10:11], v[82:83], v[78:79], -v[10:11]
	s_delay_alu instid0(VALU_DEP_2) | instskip(NEXT) | instid1(VALU_DEP_2)
	v_fma_f64 v[78:79], v[84:85], v[78:79], v[80:81]
	v_add_f64 v[3:4], v[3:4], v[10:11]
	s_delay_alu instid0(VALU_DEP_2)
	v_add_f64 v[1:2], v[1:2], v[78:79]
	s_and_not1_b32 exec_lo, exec_lo, s3
	s_cbranch_execnz .LBB20_53
; %bb.54:
	s_or_b32 exec_lo, exec_lo, s3
	v_mov_b32_e32 v7, 0
	ds_load_b128 v[7:10], v7 offset:160
	s_waitcnt lgkmcnt(0)
	v_mul_f64 v[11:12], v[1:2], v[9:10]
	v_mul_f64 v[78:79], v[3:4], v[9:10]
	s_delay_alu instid0(VALU_DEP_2) | instskip(NEXT) | instid1(VALU_DEP_2)
	v_fma_f64 v[9:10], v[3:4], v[7:8], -v[11:12]
	v_fma_f64 v[11:12], v[1:2], v[7:8], v[78:79]
	scratch_store_b128 off, v[9:12], off offset:160
.LBB20_55:
	s_or_b32 exec_lo, exec_lo, s2
	s_waitcnt_vscnt null, 0x0
	s_barrier
	buffer_gl0_inv
	scratch_load_b128 v[1:4], v65, off
	s_mov_b32 s2, exec_lo
	s_waitcnt vmcnt(0)
	ds_store_b128 v5, v[1:4]
	s_waitcnt lgkmcnt(0)
	s_barrier
	buffer_gl0_inv
	v_cmpx_gt_u32_e32 11, v55
	s_cbranch_execz .LBB20_59
; %bb.56:
	v_dual_mov_b32 v1, 0 :: v_dual_add_nc_u32 v8, 0x150, v76
	v_dual_mov_b32 v2, 0 :: v_dual_add_nc_u32 v7, -1, v55
	v_or_b32_e32 v9, 8, v77
	s_mov_b32 s3, 0
	s_delay_alu instid0(VALU_DEP_2)
	v_dual_mov_b32 v4, v2 :: v_dual_mov_b32 v3, v1
	.p2align	6
.LBB20_57:                              ; =>This Inner Loop Header: Depth=1
	scratch_load_b128 v[78:81], v9, off offset:-8
	ds_load_b128 v[82:85], v8
	v_add_nc_u32_e32 v7, 1, v7
	v_add_nc_u32_e32 v8, 16, v8
	;; [unrolled: 1-line block ×3, first 2 shown]
	s_delay_alu instid0(VALU_DEP_3) | instskip(SKIP_4) | instid1(VALU_DEP_2)
	v_cmp_lt_u32_e32 vcc_lo, 9, v7
	s_or_b32 s3, vcc_lo, s3
	s_waitcnt vmcnt(0) lgkmcnt(0)
	v_mul_f64 v[10:11], v[84:85], v[80:81]
	v_mul_f64 v[80:81], v[82:83], v[80:81]
	v_fma_f64 v[10:11], v[82:83], v[78:79], -v[10:11]
	s_delay_alu instid0(VALU_DEP_2) | instskip(NEXT) | instid1(VALU_DEP_2)
	v_fma_f64 v[78:79], v[84:85], v[78:79], v[80:81]
	v_add_f64 v[3:4], v[3:4], v[10:11]
	s_delay_alu instid0(VALU_DEP_2)
	v_add_f64 v[1:2], v[1:2], v[78:79]
	s_and_not1_b32 exec_lo, exec_lo, s3
	s_cbranch_execnz .LBB20_57
; %bb.58:
	s_or_b32 exec_lo, exec_lo, s3
	v_mov_b32_e32 v7, 0
	ds_load_b128 v[7:10], v7 offset:176
	s_waitcnt lgkmcnt(0)
	v_mul_f64 v[11:12], v[1:2], v[9:10]
	v_mul_f64 v[78:79], v[3:4], v[9:10]
	s_delay_alu instid0(VALU_DEP_2) | instskip(NEXT) | instid1(VALU_DEP_2)
	v_fma_f64 v[9:10], v[3:4], v[7:8], -v[11:12]
	v_fma_f64 v[11:12], v[1:2], v[7:8], v[78:79]
	scratch_store_b128 off, v[9:12], off offset:176
.LBB20_59:
	s_or_b32 exec_lo, exec_lo, s2
	s_waitcnt_vscnt null, 0x0
	s_barrier
	buffer_gl0_inv
	scratch_load_b128 v[1:4], v68, off
	s_mov_b32 s2, exec_lo
	s_waitcnt vmcnt(0)
	ds_store_b128 v5, v[1:4]
	s_waitcnt lgkmcnt(0)
	s_barrier
	buffer_gl0_inv
	v_cmpx_gt_u32_e32 12, v55
	s_cbranch_execz .LBB20_63
; %bb.60:
	v_dual_mov_b32 v1, 0 :: v_dual_add_nc_u32 v8, 0x150, v76
	v_dual_mov_b32 v2, 0 :: v_dual_add_nc_u32 v7, -1, v55
	v_or_b32_e32 v9, 8, v77
	s_mov_b32 s3, 0
	s_delay_alu instid0(VALU_DEP_2)
	v_dual_mov_b32 v4, v2 :: v_dual_mov_b32 v3, v1
	.p2align	6
.LBB20_61:                              ; =>This Inner Loop Header: Depth=1
	scratch_load_b128 v[78:81], v9, off offset:-8
	ds_load_b128 v[82:85], v8
	v_add_nc_u32_e32 v7, 1, v7
	v_add_nc_u32_e32 v8, 16, v8
	;; [unrolled: 1-line block ×3, first 2 shown]
	s_delay_alu instid0(VALU_DEP_3) | instskip(SKIP_4) | instid1(VALU_DEP_2)
	v_cmp_lt_u32_e32 vcc_lo, 10, v7
	s_or_b32 s3, vcc_lo, s3
	s_waitcnt vmcnt(0) lgkmcnt(0)
	v_mul_f64 v[10:11], v[84:85], v[80:81]
	v_mul_f64 v[80:81], v[82:83], v[80:81]
	v_fma_f64 v[10:11], v[82:83], v[78:79], -v[10:11]
	s_delay_alu instid0(VALU_DEP_2) | instskip(NEXT) | instid1(VALU_DEP_2)
	v_fma_f64 v[78:79], v[84:85], v[78:79], v[80:81]
	v_add_f64 v[3:4], v[3:4], v[10:11]
	s_delay_alu instid0(VALU_DEP_2)
	v_add_f64 v[1:2], v[1:2], v[78:79]
	s_and_not1_b32 exec_lo, exec_lo, s3
	s_cbranch_execnz .LBB20_61
; %bb.62:
	s_or_b32 exec_lo, exec_lo, s3
	v_mov_b32_e32 v7, 0
	ds_load_b128 v[7:10], v7 offset:192
	s_waitcnt lgkmcnt(0)
	v_mul_f64 v[11:12], v[1:2], v[9:10]
	v_mul_f64 v[78:79], v[3:4], v[9:10]
	s_delay_alu instid0(VALU_DEP_2) | instskip(NEXT) | instid1(VALU_DEP_2)
	v_fma_f64 v[9:10], v[3:4], v[7:8], -v[11:12]
	v_fma_f64 v[11:12], v[1:2], v[7:8], v[78:79]
	scratch_store_b128 off, v[9:12], off offset:192
.LBB20_63:
	s_or_b32 exec_lo, exec_lo, s2
	s_waitcnt_vscnt null, 0x0
	s_barrier
	buffer_gl0_inv
	scratch_load_b128 v[1:4], v67, off
	s_mov_b32 s2, exec_lo
	s_waitcnt vmcnt(0)
	ds_store_b128 v5, v[1:4]
	s_waitcnt lgkmcnt(0)
	s_barrier
	buffer_gl0_inv
	v_cmpx_gt_u32_e32 13, v55
	s_cbranch_execz .LBB20_67
; %bb.64:
	v_dual_mov_b32 v1, 0 :: v_dual_add_nc_u32 v8, 0x150, v76
	v_dual_mov_b32 v2, 0 :: v_dual_add_nc_u32 v7, -1, v55
	v_or_b32_e32 v9, 8, v77
	s_mov_b32 s3, 0
	s_delay_alu instid0(VALU_DEP_2)
	v_dual_mov_b32 v4, v2 :: v_dual_mov_b32 v3, v1
	.p2align	6
.LBB20_65:                              ; =>This Inner Loop Header: Depth=1
	scratch_load_b128 v[78:81], v9, off offset:-8
	ds_load_b128 v[82:85], v8
	v_add_nc_u32_e32 v7, 1, v7
	v_add_nc_u32_e32 v8, 16, v8
	;; [unrolled: 1-line block ×3, first 2 shown]
	s_delay_alu instid0(VALU_DEP_3) | instskip(SKIP_4) | instid1(VALU_DEP_2)
	v_cmp_lt_u32_e32 vcc_lo, 11, v7
	s_or_b32 s3, vcc_lo, s3
	s_waitcnt vmcnt(0) lgkmcnt(0)
	v_mul_f64 v[10:11], v[84:85], v[80:81]
	v_mul_f64 v[80:81], v[82:83], v[80:81]
	v_fma_f64 v[10:11], v[82:83], v[78:79], -v[10:11]
	s_delay_alu instid0(VALU_DEP_2) | instskip(NEXT) | instid1(VALU_DEP_2)
	v_fma_f64 v[78:79], v[84:85], v[78:79], v[80:81]
	v_add_f64 v[3:4], v[3:4], v[10:11]
	s_delay_alu instid0(VALU_DEP_2)
	v_add_f64 v[1:2], v[1:2], v[78:79]
	s_and_not1_b32 exec_lo, exec_lo, s3
	s_cbranch_execnz .LBB20_65
; %bb.66:
	s_or_b32 exec_lo, exec_lo, s3
	v_mov_b32_e32 v7, 0
	ds_load_b128 v[7:10], v7 offset:208
	s_waitcnt lgkmcnt(0)
	v_mul_f64 v[11:12], v[1:2], v[9:10]
	v_mul_f64 v[78:79], v[3:4], v[9:10]
	s_delay_alu instid0(VALU_DEP_2) | instskip(NEXT) | instid1(VALU_DEP_2)
	v_fma_f64 v[9:10], v[3:4], v[7:8], -v[11:12]
	v_fma_f64 v[11:12], v[1:2], v[7:8], v[78:79]
	scratch_store_b128 off, v[9:12], off offset:208
.LBB20_67:
	s_or_b32 exec_lo, exec_lo, s2
	s_waitcnt_vscnt null, 0x0
	s_barrier
	buffer_gl0_inv
	scratch_load_b128 v[1:4], v70, off
	s_mov_b32 s2, exec_lo
	s_waitcnt vmcnt(0)
	ds_store_b128 v5, v[1:4]
	s_waitcnt lgkmcnt(0)
	s_barrier
	buffer_gl0_inv
	v_cmpx_gt_u32_e32 14, v55
	s_cbranch_execz .LBB20_71
; %bb.68:
	v_dual_mov_b32 v1, 0 :: v_dual_add_nc_u32 v8, 0x150, v76
	v_dual_mov_b32 v2, 0 :: v_dual_add_nc_u32 v7, -1, v55
	v_or_b32_e32 v9, 8, v77
	s_mov_b32 s3, 0
	s_delay_alu instid0(VALU_DEP_2)
	v_dual_mov_b32 v4, v2 :: v_dual_mov_b32 v3, v1
	.p2align	6
.LBB20_69:                              ; =>This Inner Loop Header: Depth=1
	scratch_load_b128 v[78:81], v9, off offset:-8
	ds_load_b128 v[82:85], v8
	v_add_nc_u32_e32 v7, 1, v7
	v_add_nc_u32_e32 v8, 16, v8
	;; [unrolled: 1-line block ×3, first 2 shown]
	s_delay_alu instid0(VALU_DEP_3) | instskip(SKIP_4) | instid1(VALU_DEP_2)
	v_cmp_lt_u32_e32 vcc_lo, 12, v7
	s_or_b32 s3, vcc_lo, s3
	s_waitcnt vmcnt(0) lgkmcnt(0)
	v_mul_f64 v[10:11], v[84:85], v[80:81]
	v_mul_f64 v[80:81], v[82:83], v[80:81]
	v_fma_f64 v[10:11], v[82:83], v[78:79], -v[10:11]
	s_delay_alu instid0(VALU_DEP_2) | instskip(NEXT) | instid1(VALU_DEP_2)
	v_fma_f64 v[78:79], v[84:85], v[78:79], v[80:81]
	v_add_f64 v[3:4], v[3:4], v[10:11]
	s_delay_alu instid0(VALU_DEP_2)
	v_add_f64 v[1:2], v[1:2], v[78:79]
	s_and_not1_b32 exec_lo, exec_lo, s3
	s_cbranch_execnz .LBB20_69
; %bb.70:
	s_or_b32 exec_lo, exec_lo, s3
	v_mov_b32_e32 v7, 0
	ds_load_b128 v[7:10], v7 offset:224
	s_waitcnt lgkmcnt(0)
	v_mul_f64 v[11:12], v[1:2], v[9:10]
	v_mul_f64 v[78:79], v[3:4], v[9:10]
	s_delay_alu instid0(VALU_DEP_2) | instskip(NEXT) | instid1(VALU_DEP_2)
	v_fma_f64 v[9:10], v[3:4], v[7:8], -v[11:12]
	v_fma_f64 v[11:12], v[1:2], v[7:8], v[78:79]
	scratch_store_b128 off, v[9:12], off offset:224
.LBB20_71:
	s_or_b32 exec_lo, exec_lo, s2
	s_waitcnt_vscnt null, 0x0
	s_barrier
	buffer_gl0_inv
	scratch_load_b128 v[1:4], v69, off
	s_mov_b32 s2, exec_lo
	s_waitcnt vmcnt(0)
	ds_store_b128 v5, v[1:4]
	s_waitcnt lgkmcnt(0)
	s_barrier
	buffer_gl0_inv
	v_cmpx_gt_u32_e32 15, v55
	s_cbranch_execz .LBB20_75
; %bb.72:
	v_dual_mov_b32 v1, 0 :: v_dual_add_nc_u32 v8, 0x150, v76
	v_dual_mov_b32 v2, 0 :: v_dual_add_nc_u32 v7, -1, v55
	v_or_b32_e32 v9, 8, v77
	s_mov_b32 s3, 0
	s_delay_alu instid0(VALU_DEP_2)
	v_dual_mov_b32 v4, v2 :: v_dual_mov_b32 v3, v1
	.p2align	6
.LBB20_73:                              ; =>This Inner Loop Header: Depth=1
	scratch_load_b128 v[78:81], v9, off offset:-8
	ds_load_b128 v[82:85], v8
	v_add_nc_u32_e32 v7, 1, v7
	v_add_nc_u32_e32 v8, 16, v8
	v_add_nc_u32_e32 v9, 16, v9
	s_delay_alu instid0(VALU_DEP_3) | instskip(SKIP_4) | instid1(VALU_DEP_2)
	v_cmp_lt_u32_e32 vcc_lo, 13, v7
	s_or_b32 s3, vcc_lo, s3
	s_waitcnt vmcnt(0) lgkmcnt(0)
	v_mul_f64 v[10:11], v[84:85], v[80:81]
	v_mul_f64 v[80:81], v[82:83], v[80:81]
	v_fma_f64 v[10:11], v[82:83], v[78:79], -v[10:11]
	s_delay_alu instid0(VALU_DEP_2) | instskip(NEXT) | instid1(VALU_DEP_2)
	v_fma_f64 v[78:79], v[84:85], v[78:79], v[80:81]
	v_add_f64 v[3:4], v[3:4], v[10:11]
	s_delay_alu instid0(VALU_DEP_2)
	v_add_f64 v[1:2], v[1:2], v[78:79]
	s_and_not1_b32 exec_lo, exec_lo, s3
	s_cbranch_execnz .LBB20_73
; %bb.74:
	s_or_b32 exec_lo, exec_lo, s3
	v_mov_b32_e32 v7, 0
	ds_load_b128 v[7:10], v7 offset:240
	s_waitcnt lgkmcnt(0)
	v_mul_f64 v[11:12], v[1:2], v[9:10]
	v_mul_f64 v[78:79], v[3:4], v[9:10]
	s_delay_alu instid0(VALU_DEP_2) | instskip(NEXT) | instid1(VALU_DEP_2)
	v_fma_f64 v[9:10], v[3:4], v[7:8], -v[11:12]
	v_fma_f64 v[11:12], v[1:2], v[7:8], v[78:79]
	scratch_store_b128 off, v[9:12], off offset:240
.LBB20_75:
	s_or_b32 exec_lo, exec_lo, s2
	s_waitcnt_vscnt null, 0x0
	s_barrier
	buffer_gl0_inv
	scratch_load_b128 v[1:4], v72, off
	s_mov_b32 s2, exec_lo
	s_waitcnt vmcnt(0)
	ds_store_b128 v5, v[1:4]
	s_waitcnt lgkmcnt(0)
	s_barrier
	buffer_gl0_inv
	v_cmpx_gt_u32_e32 16, v55
	s_cbranch_execz .LBB20_79
; %bb.76:
	v_dual_mov_b32 v1, 0 :: v_dual_add_nc_u32 v8, 0x150, v76
	v_dual_mov_b32 v2, 0 :: v_dual_add_nc_u32 v7, -1, v55
	v_or_b32_e32 v9, 8, v77
	s_mov_b32 s3, 0
	s_delay_alu instid0(VALU_DEP_2)
	v_dual_mov_b32 v4, v2 :: v_dual_mov_b32 v3, v1
	.p2align	6
.LBB20_77:                              ; =>This Inner Loop Header: Depth=1
	scratch_load_b128 v[78:81], v9, off offset:-8
	ds_load_b128 v[82:85], v8
	v_add_nc_u32_e32 v7, 1, v7
	v_add_nc_u32_e32 v8, 16, v8
	;; [unrolled: 1-line block ×3, first 2 shown]
	s_delay_alu instid0(VALU_DEP_3) | instskip(SKIP_4) | instid1(VALU_DEP_2)
	v_cmp_lt_u32_e32 vcc_lo, 14, v7
	s_or_b32 s3, vcc_lo, s3
	s_waitcnt vmcnt(0) lgkmcnt(0)
	v_mul_f64 v[10:11], v[84:85], v[80:81]
	v_mul_f64 v[80:81], v[82:83], v[80:81]
	v_fma_f64 v[10:11], v[82:83], v[78:79], -v[10:11]
	s_delay_alu instid0(VALU_DEP_2) | instskip(NEXT) | instid1(VALU_DEP_2)
	v_fma_f64 v[78:79], v[84:85], v[78:79], v[80:81]
	v_add_f64 v[3:4], v[3:4], v[10:11]
	s_delay_alu instid0(VALU_DEP_2)
	v_add_f64 v[1:2], v[1:2], v[78:79]
	s_and_not1_b32 exec_lo, exec_lo, s3
	s_cbranch_execnz .LBB20_77
; %bb.78:
	s_or_b32 exec_lo, exec_lo, s3
	v_mov_b32_e32 v7, 0
	ds_load_b128 v[7:10], v7 offset:256
	s_waitcnt lgkmcnt(0)
	v_mul_f64 v[11:12], v[1:2], v[9:10]
	v_mul_f64 v[78:79], v[3:4], v[9:10]
	s_delay_alu instid0(VALU_DEP_2) | instskip(NEXT) | instid1(VALU_DEP_2)
	v_fma_f64 v[9:10], v[3:4], v[7:8], -v[11:12]
	v_fma_f64 v[11:12], v[1:2], v[7:8], v[78:79]
	scratch_store_b128 off, v[9:12], off offset:256
.LBB20_79:
	s_or_b32 exec_lo, exec_lo, s2
	s_waitcnt_vscnt null, 0x0
	s_barrier
	buffer_gl0_inv
	scratch_load_b128 v[1:4], v71, off
	s_mov_b32 s2, exec_lo
	s_waitcnt vmcnt(0)
	ds_store_b128 v5, v[1:4]
	s_waitcnt lgkmcnt(0)
	s_barrier
	buffer_gl0_inv
	v_cmpx_gt_u32_e32 17, v55
	s_cbranch_execz .LBB20_83
; %bb.80:
	v_dual_mov_b32 v1, 0 :: v_dual_add_nc_u32 v8, 0x150, v76
	v_dual_mov_b32 v2, 0 :: v_dual_add_nc_u32 v7, -1, v55
	v_or_b32_e32 v9, 8, v77
	s_mov_b32 s3, 0
	s_delay_alu instid0(VALU_DEP_2)
	v_dual_mov_b32 v4, v2 :: v_dual_mov_b32 v3, v1
	.p2align	6
.LBB20_81:                              ; =>This Inner Loop Header: Depth=1
	scratch_load_b128 v[78:81], v9, off offset:-8
	ds_load_b128 v[82:85], v8
	v_add_nc_u32_e32 v7, 1, v7
	v_add_nc_u32_e32 v8, 16, v8
	;; [unrolled: 1-line block ×3, first 2 shown]
	s_delay_alu instid0(VALU_DEP_3) | instskip(SKIP_4) | instid1(VALU_DEP_2)
	v_cmp_lt_u32_e32 vcc_lo, 15, v7
	s_or_b32 s3, vcc_lo, s3
	s_waitcnt vmcnt(0) lgkmcnt(0)
	v_mul_f64 v[10:11], v[84:85], v[80:81]
	v_mul_f64 v[80:81], v[82:83], v[80:81]
	v_fma_f64 v[10:11], v[82:83], v[78:79], -v[10:11]
	s_delay_alu instid0(VALU_DEP_2) | instskip(NEXT) | instid1(VALU_DEP_2)
	v_fma_f64 v[78:79], v[84:85], v[78:79], v[80:81]
	v_add_f64 v[3:4], v[3:4], v[10:11]
	s_delay_alu instid0(VALU_DEP_2)
	v_add_f64 v[1:2], v[1:2], v[78:79]
	s_and_not1_b32 exec_lo, exec_lo, s3
	s_cbranch_execnz .LBB20_81
; %bb.82:
	s_or_b32 exec_lo, exec_lo, s3
	v_mov_b32_e32 v7, 0
	ds_load_b128 v[7:10], v7 offset:272
	s_waitcnt lgkmcnt(0)
	v_mul_f64 v[11:12], v[1:2], v[9:10]
	v_mul_f64 v[78:79], v[3:4], v[9:10]
	s_delay_alu instid0(VALU_DEP_2) | instskip(NEXT) | instid1(VALU_DEP_2)
	v_fma_f64 v[9:10], v[3:4], v[7:8], -v[11:12]
	v_fma_f64 v[11:12], v[1:2], v[7:8], v[78:79]
	scratch_store_b128 off, v[9:12], off offset:272
.LBB20_83:
	s_or_b32 exec_lo, exec_lo, s2
	s_waitcnt_vscnt null, 0x0
	s_barrier
	buffer_gl0_inv
	scratch_load_b128 v[1:4], v74, off
	s_mov_b32 s2, exec_lo
	s_waitcnt vmcnt(0)
	ds_store_b128 v5, v[1:4]
	s_waitcnt lgkmcnt(0)
	s_barrier
	buffer_gl0_inv
	v_cmpx_gt_u32_e32 18, v55
	s_cbranch_execz .LBB20_87
; %bb.84:
	v_dual_mov_b32 v1, 0 :: v_dual_add_nc_u32 v8, 0x150, v76
	v_dual_mov_b32 v2, 0 :: v_dual_add_nc_u32 v7, -1, v55
	v_or_b32_e32 v9, 8, v77
	s_mov_b32 s3, 0
	s_delay_alu instid0(VALU_DEP_2)
	v_dual_mov_b32 v4, v2 :: v_dual_mov_b32 v3, v1
	.p2align	6
.LBB20_85:                              ; =>This Inner Loop Header: Depth=1
	scratch_load_b128 v[78:81], v9, off offset:-8
	ds_load_b128 v[82:85], v8
	v_add_nc_u32_e32 v7, 1, v7
	v_add_nc_u32_e32 v8, 16, v8
	;; [unrolled: 1-line block ×3, first 2 shown]
	s_delay_alu instid0(VALU_DEP_3) | instskip(SKIP_4) | instid1(VALU_DEP_2)
	v_cmp_lt_u32_e32 vcc_lo, 16, v7
	s_or_b32 s3, vcc_lo, s3
	s_waitcnt vmcnt(0) lgkmcnt(0)
	v_mul_f64 v[10:11], v[84:85], v[80:81]
	v_mul_f64 v[80:81], v[82:83], v[80:81]
	v_fma_f64 v[10:11], v[82:83], v[78:79], -v[10:11]
	s_delay_alu instid0(VALU_DEP_2) | instskip(NEXT) | instid1(VALU_DEP_2)
	v_fma_f64 v[78:79], v[84:85], v[78:79], v[80:81]
	v_add_f64 v[3:4], v[3:4], v[10:11]
	s_delay_alu instid0(VALU_DEP_2)
	v_add_f64 v[1:2], v[1:2], v[78:79]
	s_and_not1_b32 exec_lo, exec_lo, s3
	s_cbranch_execnz .LBB20_85
; %bb.86:
	s_or_b32 exec_lo, exec_lo, s3
	v_mov_b32_e32 v7, 0
	ds_load_b128 v[7:10], v7 offset:288
	s_waitcnt lgkmcnt(0)
	v_mul_f64 v[11:12], v[1:2], v[9:10]
	v_mul_f64 v[78:79], v[3:4], v[9:10]
	s_delay_alu instid0(VALU_DEP_2) | instskip(NEXT) | instid1(VALU_DEP_2)
	v_fma_f64 v[9:10], v[3:4], v[7:8], -v[11:12]
	v_fma_f64 v[11:12], v[1:2], v[7:8], v[78:79]
	scratch_store_b128 off, v[9:12], off offset:288
.LBB20_87:
	s_or_b32 exec_lo, exec_lo, s2
	s_waitcnt_vscnt null, 0x0
	s_barrier
	buffer_gl0_inv
	scratch_load_b128 v[1:4], v75, off
	s_mov_b32 s2, exec_lo
	s_waitcnt vmcnt(0)
	ds_store_b128 v5, v[1:4]
	s_waitcnt lgkmcnt(0)
	s_barrier
	buffer_gl0_inv
	v_cmpx_gt_u32_e32 19, v55
	s_cbranch_execz .LBB20_91
; %bb.88:
	v_dual_mov_b32 v1, 0 :: v_dual_add_nc_u32 v8, 0x150, v76
	v_dual_mov_b32 v2, 0 :: v_dual_add_nc_u32 v7, -1, v55
	v_or_b32_e32 v9, 8, v77
	s_mov_b32 s3, 0
	s_delay_alu instid0(VALU_DEP_2)
	v_dual_mov_b32 v4, v2 :: v_dual_mov_b32 v3, v1
	.p2align	6
.LBB20_89:                              ; =>This Inner Loop Header: Depth=1
	scratch_load_b128 v[78:81], v9, off offset:-8
	ds_load_b128 v[82:85], v8
	v_add_nc_u32_e32 v7, 1, v7
	v_add_nc_u32_e32 v8, 16, v8
	;; [unrolled: 1-line block ×3, first 2 shown]
	s_delay_alu instid0(VALU_DEP_3) | instskip(SKIP_4) | instid1(VALU_DEP_2)
	v_cmp_lt_u32_e32 vcc_lo, 17, v7
	s_or_b32 s3, vcc_lo, s3
	s_waitcnt vmcnt(0) lgkmcnt(0)
	v_mul_f64 v[10:11], v[84:85], v[80:81]
	v_mul_f64 v[80:81], v[82:83], v[80:81]
	v_fma_f64 v[10:11], v[82:83], v[78:79], -v[10:11]
	s_delay_alu instid0(VALU_DEP_2) | instskip(NEXT) | instid1(VALU_DEP_2)
	v_fma_f64 v[78:79], v[84:85], v[78:79], v[80:81]
	v_add_f64 v[3:4], v[3:4], v[10:11]
	s_delay_alu instid0(VALU_DEP_2)
	v_add_f64 v[1:2], v[1:2], v[78:79]
	s_and_not1_b32 exec_lo, exec_lo, s3
	s_cbranch_execnz .LBB20_89
; %bb.90:
	s_or_b32 exec_lo, exec_lo, s3
	v_mov_b32_e32 v7, 0
	ds_load_b128 v[7:10], v7 offset:304
	s_waitcnt lgkmcnt(0)
	v_mul_f64 v[11:12], v[1:2], v[9:10]
	v_mul_f64 v[78:79], v[3:4], v[9:10]
	s_delay_alu instid0(VALU_DEP_2) | instskip(NEXT) | instid1(VALU_DEP_2)
	v_fma_f64 v[9:10], v[3:4], v[7:8], -v[11:12]
	v_fma_f64 v[11:12], v[1:2], v[7:8], v[78:79]
	scratch_store_b128 off, v[9:12], off offset:304
.LBB20_91:
	s_or_b32 exec_lo, exec_lo, s2
	s_waitcnt_vscnt null, 0x0
	s_barrier
	buffer_gl0_inv
	scratch_load_b128 v[1:4], v73, off
	s_mov_b32 s2, exec_lo
	s_waitcnt vmcnt(0)
	ds_store_b128 v5, v[1:4]
	s_waitcnt lgkmcnt(0)
	s_barrier
	buffer_gl0_inv
	v_cmpx_ne_u32_e32 20, v55
	s_cbranch_execz .LBB20_95
; %bb.92:
	v_mov_b32_e32 v1, 0
	v_mov_b32_e32 v2, 0
	v_or_b32_e32 v7, 8, v77
	s_mov_b32 s3, 0
	s_delay_alu instid0(VALU_DEP_2)
	v_dual_mov_b32 v4, v2 :: v_dual_mov_b32 v3, v1
	.p2align	6
.LBB20_93:                              ; =>This Inner Loop Header: Depth=1
	scratch_load_b128 v[8:11], v7, off offset:-8
	ds_load_b128 v[76:79], v5
	v_add_nc_u32_e32 v6, 1, v6
	v_add_nc_u32_e32 v5, 16, v5
	;; [unrolled: 1-line block ×3, first 2 shown]
	s_delay_alu instid0(VALU_DEP_3) | instskip(SKIP_4) | instid1(VALU_DEP_2)
	v_cmp_lt_u32_e32 vcc_lo, 18, v6
	s_or_b32 s3, vcc_lo, s3
	s_waitcnt vmcnt(0) lgkmcnt(0)
	v_mul_f64 v[80:81], v[78:79], v[10:11]
	v_mul_f64 v[10:11], v[76:77], v[10:11]
	v_fma_f64 v[76:77], v[76:77], v[8:9], -v[80:81]
	s_delay_alu instid0(VALU_DEP_2) | instskip(NEXT) | instid1(VALU_DEP_2)
	v_fma_f64 v[8:9], v[78:79], v[8:9], v[10:11]
	v_add_f64 v[3:4], v[3:4], v[76:77]
	s_delay_alu instid0(VALU_DEP_2)
	v_add_f64 v[1:2], v[1:2], v[8:9]
	s_and_not1_b32 exec_lo, exec_lo, s3
	s_cbranch_execnz .LBB20_93
; %bb.94:
	s_or_b32 exec_lo, exec_lo, s3
	v_mov_b32_e32 v5, 0
	ds_load_b128 v[5:8], v5 offset:320
	s_waitcnt lgkmcnt(0)
	v_mul_f64 v[9:10], v[1:2], v[7:8]
	v_mul_f64 v[7:8], v[3:4], v[7:8]
	s_delay_alu instid0(VALU_DEP_2) | instskip(NEXT) | instid1(VALU_DEP_2)
	v_fma_f64 v[3:4], v[3:4], v[5:6], -v[9:10]
	v_fma_f64 v[5:6], v[1:2], v[5:6], v[7:8]
	scratch_store_b128 off, v[3:6], off offset:320
.LBB20_95:
	s_or_b32 exec_lo, exec_lo, s2
	s_mov_b32 s3, -1
	s_waitcnt_vscnt null, 0x0
	s_barrier
	buffer_gl0_inv
.LBB20_96:
	s_and_b32 vcc_lo, exec_lo, s3
	s_cbranch_vccz .LBB20_98
; %bb.97:
	s_lshl_b64 s[2:3], s[18:19], 2
	v_mov_b32_e32 v1, 0
	s_add_u32 s2, s6, s2
	s_addc_u32 s3, s7, s3
	global_load_b32 v1, v1, s[2:3]
	s_waitcnt vmcnt(0)
	v_cmp_ne_u32_e32 vcc_lo, 0, v1
	s_cbranch_vccz .LBB20_99
.LBB20_98:
	s_endpgm
.LBB20_99:
	v_lshl_add_u32 v5, v55, 4, 0x150
	s_mov_b32 s2, exec_lo
	v_cmpx_eq_u32_e32 20, v55
	s_cbranch_execz .LBB20_101
; %bb.100:
	scratch_load_b128 v[1:4], v75, off
	v_mov_b32_e32 v6, 0
	s_delay_alu instid0(VALU_DEP_1)
	v_mov_b32_e32 v7, v6
	v_mov_b32_e32 v8, v6
	;; [unrolled: 1-line block ×3, first 2 shown]
	scratch_store_b128 off, v[6:9], off offset:304
	s_waitcnt vmcnt(0)
	ds_store_b128 v5, v[1:4]
.LBB20_101:
	s_or_b32 exec_lo, exec_lo, s2
	s_waitcnt lgkmcnt(0)
	s_waitcnt_vscnt null, 0x0
	s_barrier
	buffer_gl0_inv
	s_clause 0x1
	scratch_load_b128 v[6:9], off, off offset:320
	scratch_load_b128 v[76:79], off, off offset:304
	v_mov_b32_e32 v1, 0
	s_mov_b32 s2, exec_lo
	ds_load_b128 v[80:83], v1 offset:656
	s_waitcnt vmcnt(1) lgkmcnt(0)
	v_mul_f64 v[2:3], v[82:83], v[8:9]
	v_mul_f64 v[8:9], v[80:81], v[8:9]
	s_delay_alu instid0(VALU_DEP_2) | instskip(NEXT) | instid1(VALU_DEP_2)
	v_fma_f64 v[2:3], v[80:81], v[6:7], -v[2:3]
	v_fma_f64 v[6:7], v[82:83], v[6:7], v[8:9]
	s_delay_alu instid0(VALU_DEP_2) | instskip(NEXT) | instid1(VALU_DEP_2)
	v_add_f64 v[2:3], v[2:3], 0
	v_add_f64 v[8:9], v[6:7], 0
	s_waitcnt vmcnt(0)
	s_delay_alu instid0(VALU_DEP_2) | instskip(NEXT) | instid1(VALU_DEP_2)
	v_add_f64 v[6:7], v[76:77], -v[2:3]
	v_add_f64 v[8:9], v[78:79], -v[8:9]
	scratch_store_b128 off, v[6:9], off offset:304
	v_cmpx_lt_u32_e32 18, v55
	s_cbranch_execz .LBB20_103
; %bb.102:
	scratch_load_b128 v[6:9], v74, off
	v_mov_b32_e32 v2, v1
	v_mov_b32_e32 v3, v1
	;; [unrolled: 1-line block ×3, first 2 shown]
	scratch_store_b128 off, v[1:4], off offset:288
	s_waitcnt vmcnt(0)
	ds_store_b128 v5, v[6:9]
.LBB20_103:
	s_or_b32 exec_lo, exec_lo, s2
	s_waitcnt lgkmcnt(0)
	s_waitcnt_vscnt null, 0x0
	s_barrier
	buffer_gl0_inv
	s_clause 0x2
	scratch_load_b128 v[6:9], off, off offset:304
	scratch_load_b128 v[76:79], off, off offset:320
	;; [unrolled: 1-line block ×3, first 2 shown]
	ds_load_b128 v[84:87], v1 offset:640
	ds_load_b128 v[1:4], v1 offset:656
	s_mov_b32 s2, exec_lo
	s_waitcnt vmcnt(2) lgkmcnt(1)
	v_mul_f64 v[10:11], v[86:87], v[8:9]
	v_mul_f64 v[8:9], v[84:85], v[8:9]
	s_waitcnt vmcnt(1) lgkmcnt(0)
	v_mul_f64 v[88:89], v[1:2], v[78:79]
	v_mul_f64 v[78:79], v[3:4], v[78:79]
	s_delay_alu instid0(VALU_DEP_4) | instskip(NEXT) | instid1(VALU_DEP_4)
	v_fma_f64 v[10:11], v[84:85], v[6:7], -v[10:11]
	v_fma_f64 v[6:7], v[86:87], v[6:7], v[8:9]
	s_delay_alu instid0(VALU_DEP_4) | instskip(NEXT) | instid1(VALU_DEP_4)
	v_fma_f64 v[3:4], v[3:4], v[76:77], v[88:89]
	v_fma_f64 v[1:2], v[1:2], v[76:77], -v[78:79]
	s_delay_alu instid0(VALU_DEP_4) | instskip(NEXT) | instid1(VALU_DEP_4)
	v_add_f64 v[8:9], v[10:11], 0
	v_add_f64 v[6:7], v[6:7], 0
	s_delay_alu instid0(VALU_DEP_2) | instskip(NEXT) | instid1(VALU_DEP_2)
	v_add_f64 v[1:2], v[8:9], v[1:2]
	v_add_f64 v[3:4], v[6:7], v[3:4]
	s_waitcnt vmcnt(0)
	s_delay_alu instid0(VALU_DEP_2) | instskip(NEXT) | instid1(VALU_DEP_2)
	v_add_f64 v[1:2], v[80:81], -v[1:2]
	v_add_f64 v[3:4], v[82:83], -v[3:4]
	scratch_store_b128 off, v[1:4], off offset:288
	v_cmpx_lt_u32_e32 17, v55
	s_cbranch_execz .LBB20_105
; %bb.104:
	scratch_load_b128 v[1:4], v71, off
	v_mov_b32_e32 v6, 0
	s_delay_alu instid0(VALU_DEP_1)
	v_mov_b32_e32 v7, v6
	v_mov_b32_e32 v8, v6
	;; [unrolled: 1-line block ×3, first 2 shown]
	scratch_store_b128 off, v[6:9], off offset:272
	s_waitcnt vmcnt(0)
	ds_store_b128 v5, v[1:4]
.LBB20_105:
	s_or_b32 exec_lo, exec_lo, s2
	s_waitcnt lgkmcnt(0)
	s_waitcnt_vscnt null, 0x0
	s_barrier
	buffer_gl0_inv
	s_clause 0x3
	scratch_load_b128 v[6:9], off, off offset:288
	scratch_load_b128 v[76:79], off, off offset:304
	;; [unrolled: 1-line block ×4, first 2 shown]
	v_mov_b32_e32 v1, 0
	ds_load_b128 v[88:91], v1 offset:624
	ds_load_b128 v[92:95], v1 offset:640
	s_mov_b32 s2, exec_lo
	s_waitcnt vmcnt(3) lgkmcnt(1)
	v_mul_f64 v[2:3], v[90:91], v[8:9]
	v_mul_f64 v[8:9], v[88:89], v[8:9]
	s_waitcnt vmcnt(2) lgkmcnt(0)
	v_mul_f64 v[10:11], v[92:93], v[78:79]
	v_mul_f64 v[78:79], v[94:95], v[78:79]
	s_delay_alu instid0(VALU_DEP_4) | instskip(NEXT) | instid1(VALU_DEP_4)
	v_fma_f64 v[2:3], v[88:89], v[6:7], -v[2:3]
	v_fma_f64 v[88:89], v[90:91], v[6:7], v[8:9]
	ds_load_b128 v[6:9], v1 offset:656
	v_fma_f64 v[10:11], v[94:95], v[76:77], v[10:11]
	v_fma_f64 v[76:77], v[92:93], v[76:77], -v[78:79]
	s_waitcnt vmcnt(1) lgkmcnt(0)
	v_mul_f64 v[90:91], v[6:7], v[82:83]
	v_mul_f64 v[82:83], v[8:9], v[82:83]
	v_add_f64 v[2:3], v[2:3], 0
	v_add_f64 v[78:79], v[88:89], 0
	s_delay_alu instid0(VALU_DEP_4) | instskip(NEXT) | instid1(VALU_DEP_4)
	v_fma_f64 v[8:9], v[8:9], v[80:81], v[90:91]
	v_fma_f64 v[6:7], v[6:7], v[80:81], -v[82:83]
	s_delay_alu instid0(VALU_DEP_4) | instskip(NEXT) | instid1(VALU_DEP_4)
	v_add_f64 v[2:3], v[2:3], v[76:77]
	v_add_f64 v[10:11], v[78:79], v[10:11]
	s_delay_alu instid0(VALU_DEP_2) | instskip(NEXT) | instid1(VALU_DEP_2)
	v_add_f64 v[2:3], v[2:3], v[6:7]
	v_add_f64 v[8:9], v[10:11], v[8:9]
	s_waitcnt vmcnt(0)
	s_delay_alu instid0(VALU_DEP_2) | instskip(NEXT) | instid1(VALU_DEP_2)
	v_add_f64 v[6:7], v[84:85], -v[2:3]
	v_add_f64 v[8:9], v[86:87], -v[8:9]
	scratch_store_b128 off, v[6:9], off offset:272
	v_cmpx_lt_u32_e32 16, v55
	s_cbranch_execz .LBB20_107
; %bb.106:
	scratch_load_b128 v[6:9], v72, off
	v_mov_b32_e32 v2, v1
	v_mov_b32_e32 v3, v1
	;; [unrolled: 1-line block ×3, first 2 shown]
	scratch_store_b128 off, v[1:4], off offset:256
	s_waitcnt vmcnt(0)
	ds_store_b128 v5, v[6:9]
.LBB20_107:
	s_or_b32 exec_lo, exec_lo, s2
	s_waitcnt lgkmcnt(0)
	s_waitcnt_vscnt null, 0x0
	s_barrier
	buffer_gl0_inv
	s_clause 0x4
	scratch_load_b128 v[6:9], off, off offset:272
	scratch_load_b128 v[76:79], off, off offset:288
	;; [unrolled: 1-line block ×5, first 2 shown]
	ds_load_b128 v[92:95], v1 offset:608
	ds_load_b128 v[96:99], v1 offset:624
	s_mov_b32 s2, exec_lo
	s_waitcnt vmcnt(4) lgkmcnt(1)
	v_mul_f64 v[2:3], v[94:95], v[8:9]
	v_mul_f64 v[8:9], v[92:93], v[8:9]
	s_waitcnt vmcnt(3) lgkmcnt(0)
	v_mul_f64 v[10:11], v[96:97], v[78:79]
	v_mul_f64 v[78:79], v[98:99], v[78:79]
	s_delay_alu instid0(VALU_DEP_4) | instskip(NEXT) | instid1(VALU_DEP_4)
	v_fma_f64 v[92:93], v[92:93], v[6:7], -v[2:3]
	v_fma_f64 v[94:95], v[94:95], v[6:7], v[8:9]
	ds_load_b128 v[6:9], v1 offset:640
	ds_load_b128 v[1:4], v1 offset:656
	v_fma_f64 v[10:11], v[98:99], v[76:77], v[10:11]
	v_fma_f64 v[76:77], v[96:97], v[76:77], -v[78:79]
	s_waitcnt vmcnt(2) lgkmcnt(1)
	v_mul_f64 v[100:101], v[6:7], v[82:83]
	v_mul_f64 v[82:83], v[8:9], v[82:83]
	v_add_f64 v[78:79], v[92:93], 0
	v_add_f64 v[92:93], v[94:95], 0
	s_waitcnt vmcnt(1) lgkmcnt(0)
	v_mul_f64 v[94:95], v[1:2], v[86:87]
	v_mul_f64 v[86:87], v[3:4], v[86:87]
	v_fma_f64 v[8:9], v[8:9], v[80:81], v[100:101]
	v_fma_f64 v[6:7], v[6:7], v[80:81], -v[82:83]
	v_add_f64 v[76:77], v[78:79], v[76:77]
	v_add_f64 v[10:11], v[92:93], v[10:11]
	v_fma_f64 v[3:4], v[3:4], v[84:85], v[94:95]
	v_fma_f64 v[1:2], v[1:2], v[84:85], -v[86:87]
	s_delay_alu instid0(VALU_DEP_4) | instskip(NEXT) | instid1(VALU_DEP_4)
	v_add_f64 v[6:7], v[76:77], v[6:7]
	v_add_f64 v[8:9], v[10:11], v[8:9]
	s_delay_alu instid0(VALU_DEP_2) | instskip(NEXT) | instid1(VALU_DEP_2)
	v_add_f64 v[1:2], v[6:7], v[1:2]
	v_add_f64 v[3:4], v[8:9], v[3:4]
	s_waitcnt vmcnt(0)
	s_delay_alu instid0(VALU_DEP_2) | instskip(NEXT) | instid1(VALU_DEP_2)
	v_add_f64 v[1:2], v[88:89], -v[1:2]
	v_add_f64 v[3:4], v[90:91], -v[3:4]
	scratch_store_b128 off, v[1:4], off offset:256
	v_cmpx_lt_u32_e32 15, v55
	s_cbranch_execz .LBB20_109
; %bb.108:
	scratch_load_b128 v[1:4], v69, off
	v_mov_b32_e32 v6, 0
	s_delay_alu instid0(VALU_DEP_1)
	v_mov_b32_e32 v7, v6
	v_mov_b32_e32 v8, v6
	;; [unrolled: 1-line block ×3, first 2 shown]
	scratch_store_b128 off, v[6:9], off offset:240
	s_waitcnt vmcnt(0)
	ds_store_b128 v5, v[1:4]
.LBB20_109:
	s_or_b32 exec_lo, exec_lo, s2
	s_waitcnt lgkmcnt(0)
	s_waitcnt_vscnt null, 0x0
	s_barrier
	buffer_gl0_inv
	s_clause 0x5
	scratch_load_b128 v[6:9], off, off offset:256
	scratch_load_b128 v[76:79], off, off offset:272
	;; [unrolled: 1-line block ×6, first 2 shown]
	v_mov_b32_e32 v1, 0
	ds_load_b128 v[96:99], v1 offset:592
	ds_load_b128 v[100:103], v1 offset:608
	s_mov_b32 s2, exec_lo
	s_waitcnt vmcnt(5) lgkmcnt(1)
	v_mul_f64 v[2:3], v[98:99], v[8:9]
	v_mul_f64 v[8:9], v[96:97], v[8:9]
	s_waitcnt vmcnt(4) lgkmcnt(0)
	v_mul_f64 v[10:11], v[100:101], v[78:79]
	v_mul_f64 v[78:79], v[102:103], v[78:79]
	s_delay_alu instid0(VALU_DEP_4) | instskip(NEXT) | instid1(VALU_DEP_4)
	v_fma_f64 v[2:3], v[96:97], v[6:7], -v[2:3]
	v_fma_f64 v[104:105], v[98:99], v[6:7], v[8:9]
	ds_load_b128 v[6:9], v1 offset:624
	ds_load_b128 v[96:99], v1 offset:640
	v_fma_f64 v[10:11], v[102:103], v[76:77], v[10:11]
	v_fma_f64 v[76:77], v[100:101], v[76:77], -v[78:79]
	s_waitcnt vmcnt(3) lgkmcnt(1)
	v_mul_f64 v[106:107], v[6:7], v[82:83]
	v_mul_f64 v[82:83], v[8:9], v[82:83]
	s_waitcnt vmcnt(2) lgkmcnt(0)
	v_mul_f64 v[100:101], v[96:97], v[86:87]
	v_mul_f64 v[86:87], v[98:99], v[86:87]
	v_add_f64 v[2:3], v[2:3], 0
	v_add_f64 v[78:79], v[104:105], 0
	v_fma_f64 v[102:103], v[8:9], v[80:81], v[106:107]
	v_fma_f64 v[80:81], v[6:7], v[80:81], -v[82:83]
	ds_load_b128 v[6:9], v1 offset:656
	v_fma_f64 v[82:83], v[98:99], v[84:85], v[100:101]
	v_fma_f64 v[84:85], v[96:97], v[84:85], -v[86:87]
	v_add_f64 v[2:3], v[2:3], v[76:77]
	v_add_f64 v[10:11], v[78:79], v[10:11]
	s_waitcnt vmcnt(1) lgkmcnt(0)
	v_mul_f64 v[76:77], v[6:7], v[90:91]
	v_mul_f64 v[78:79], v[8:9], v[90:91]
	s_delay_alu instid0(VALU_DEP_4) | instskip(NEXT) | instid1(VALU_DEP_4)
	v_add_f64 v[2:3], v[2:3], v[80:81]
	v_add_f64 v[10:11], v[10:11], v[102:103]
	s_delay_alu instid0(VALU_DEP_4) | instskip(NEXT) | instid1(VALU_DEP_4)
	v_fma_f64 v[8:9], v[8:9], v[88:89], v[76:77]
	v_fma_f64 v[6:7], v[6:7], v[88:89], -v[78:79]
	s_delay_alu instid0(VALU_DEP_4) | instskip(NEXT) | instid1(VALU_DEP_4)
	v_add_f64 v[2:3], v[2:3], v[84:85]
	v_add_f64 v[10:11], v[10:11], v[82:83]
	s_delay_alu instid0(VALU_DEP_2) | instskip(NEXT) | instid1(VALU_DEP_2)
	v_add_f64 v[2:3], v[2:3], v[6:7]
	v_add_f64 v[8:9], v[10:11], v[8:9]
	s_waitcnt vmcnt(0)
	s_delay_alu instid0(VALU_DEP_2) | instskip(NEXT) | instid1(VALU_DEP_2)
	v_add_f64 v[6:7], v[92:93], -v[2:3]
	v_add_f64 v[8:9], v[94:95], -v[8:9]
	scratch_store_b128 off, v[6:9], off offset:240
	v_cmpx_lt_u32_e32 14, v55
	s_cbranch_execz .LBB20_111
; %bb.110:
	scratch_load_b128 v[6:9], v70, off
	v_mov_b32_e32 v2, v1
	v_mov_b32_e32 v3, v1
	;; [unrolled: 1-line block ×3, first 2 shown]
	scratch_store_b128 off, v[1:4], off offset:224
	s_waitcnt vmcnt(0)
	ds_store_b128 v5, v[6:9]
.LBB20_111:
	s_or_b32 exec_lo, exec_lo, s2
	s_waitcnt lgkmcnt(0)
	s_waitcnt_vscnt null, 0x0
	s_barrier
	buffer_gl0_inv
	s_clause 0x5
	scratch_load_b128 v[6:9], off, off offset:240
	scratch_load_b128 v[76:79], off, off offset:256
	;; [unrolled: 1-line block ×6, first 2 shown]
	ds_load_b128 v[96:99], v1 offset:576
	ds_load_b128 v[104:107], v1 offset:592
	scratch_load_b128 v[100:103], off, off offset:224
	s_mov_b32 s2, exec_lo
	s_waitcnt vmcnt(6) lgkmcnt(1)
	v_mul_f64 v[2:3], v[98:99], v[8:9]
	v_mul_f64 v[8:9], v[96:97], v[8:9]
	s_waitcnt vmcnt(5) lgkmcnt(0)
	v_mul_f64 v[10:11], v[104:105], v[78:79]
	v_mul_f64 v[78:79], v[106:107], v[78:79]
	s_delay_alu instid0(VALU_DEP_4) | instskip(NEXT) | instid1(VALU_DEP_4)
	v_fma_f64 v[2:3], v[96:97], v[6:7], -v[2:3]
	v_fma_f64 v[108:109], v[98:99], v[6:7], v[8:9]
	ds_load_b128 v[6:9], v1 offset:608
	ds_load_b128 v[96:99], v1 offset:624
	v_fma_f64 v[10:11], v[106:107], v[76:77], v[10:11]
	v_fma_f64 v[76:77], v[104:105], v[76:77], -v[78:79]
	s_waitcnt vmcnt(4) lgkmcnt(1)
	v_mul_f64 v[110:111], v[6:7], v[82:83]
	v_mul_f64 v[82:83], v[8:9], v[82:83]
	s_waitcnt vmcnt(3) lgkmcnt(0)
	v_mul_f64 v[104:105], v[96:97], v[86:87]
	v_mul_f64 v[86:87], v[98:99], v[86:87]
	v_add_f64 v[2:3], v[2:3], 0
	v_add_f64 v[78:79], v[108:109], 0
	v_fma_f64 v[106:107], v[8:9], v[80:81], v[110:111]
	v_fma_f64 v[80:81], v[6:7], v[80:81], -v[82:83]
	s_delay_alu instid0(VALU_DEP_4) | instskip(NEXT) | instid1(VALU_DEP_4)
	v_add_f64 v[76:77], v[2:3], v[76:77]
	v_add_f64 v[10:11], v[78:79], v[10:11]
	ds_load_b128 v[6:9], v1 offset:640
	ds_load_b128 v[1:4], v1 offset:656
	s_waitcnt vmcnt(2) lgkmcnt(1)
	v_mul_f64 v[78:79], v[6:7], v[90:91]
	v_mul_f64 v[82:83], v[8:9], v[90:91]
	v_fma_f64 v[90:91], v[98:99], v[84:85], v[104:105]
	v_fma_f64 v[84:85], v[96:97], v[84:85], -v[86:87]
	s_waitcnt vmcnt(1) lgkmcnt(0)
	v_mul_f64 v[86:87], v[3:4], v[94:95]
	v_add_f64 v[76:77], v[76:77], v[80:81]
	v_add_f64 v[10:11], v[10:11], v[106:107]
	v_mul_f64 v[80:81], v[1:2], v[94:95]
	v_fma_f64 v[8:9], v[8:9], v[88:89], v[78:79]
	v_fma_f64 v[6:7], v[6:7], v[88:89], -v[82:83]
	v_fma_f64 v[1:2], v[1:2], v[92:93], -v[86:87]
	v_add_f64 v[76:77], v[76:77], v[84:85]
	v_add_f64 v[10:11], v[10:11], v[90:91]
	v_fma_f64 v[3:4], v[3:4], v[92:93], v[80:81]
	s_delay_alu instid0(VALU_DEP_3) | instskip(NEXT) | instid1(VALU_DEP_3)
	v_add_f64 v[6:7], v[76:77], v[6:7]
	v_add_f64 v[8:9], v[10:11], v[8:9]
	s_delay_alu instid0(VALU_DEP_2) | instskip(NEXT) | instid1(VALU_DEP_2)
	v_add_f64 v[1:2], v[6:7], v[1:2]
	v_add_f64 v[3:4], v[8:9], v[3:4]
	s_waitcnt vmcnt(0)
	s_delay_alu instid0(VALU_DEP_2) | instskip(NEXT) | instid1(VALU_DEP_2)
	v_add_f64 v[1:2], v[100:101], -v[1:2]
	v_add_f64 v[3:4], v[102:103], -v[3:4]
	scratch_store_b128 off, v[1:4], off offset:224
	v_cmpx_lt_u32_e32 13, v55
	s_cbranch_execz .LBB20_113
; %bb.112:
	scratch_load_b128 v[1:4], v67, off
	v_mov_b32_e32 v6, 0
	s_delay_alu instid0(VALU_DEP_1)
	v_mov_b32_e32 v7, v6
	v_mov_b32_e32 v8, v6
	;; [unrolled: 1-line block ×3, first 2 shown]
	scratch_store_b128 off, v[6:9], off offset:208
	s_waitcnt vmcnt(0)
	ds_store_b128 v5, v[1:4]
.LBB20_113:
	s_or_b32 exec_lo, exec_lo, s2
	s_waitcnt lgkmcnt(0)
	s_waitcnt_vscnt null, 0x0
	s_barrier
	buffer_gl0_inv
	s_clause 0x6
	scratch_load_b128 v[6:9], off, off offset:224
	scratch_load_b128 v[76:79], off, off offset:240
	scratch_load_b128 v[80:83], off, off offset:256
	scratch_load_b128 v[84:87], off, off offset:272
	scratch_load_b128 v[88:91], off, off offset:288
	scratch_load_b128 v[92:95], off, off offset:304
	scratch_load_b128 v[96:99], off, off offset:320
	v_mov_b32_e32 v1, 0
	scratch_load_b128 v[104:107], off, off offset:208
	s_mov_b32 s2, exec_lo
	ds_load_b128 v[100:103], v1 offset:560
	ds_load_b128 v[108:111], v1 offset:576
	s_waitcnt vmcnt(7) lgkmcnt(1)
	v_mul_f64 v[2:3], v[102:103], v[8:9]
	v_mul_f64 v[8:9], v[100:101], v[8:9]
	s_waitcnt vmcnt(6) lgkmcnt(0)
	v_mul_f64 v[10:11], v[108:109], v[78:79]
	v_mul_f64 v[78:79], v[110:111], v[78:79]
	s_delay_alu instid0(VALU_DEP_4) | instskip(NEXT) | instid1(VALU_DEP_4)
	v_fma_f64 v[2:3], v[100:101], v[6:7], -v[2:3]
	v_fma_f64 v[112:113], v[102:103], v[6:7], v[8:9]
	ds_load_b128 v[6:9], v1 offset:592
	ds_load_b128 v[100:103], v1 offset:608
	v_fma_f64 v[10:11], v[110:111], v[76:77], v[10:11]
	v_fma_f64 v[76:77], v[108:109], v[76:77], -v[78:79]
	s_waitcnt vmcnt(5) lgkmcnt(1)
	v_mul_f64 v[114:115], v[6:7], v[82:83]
	v_mul_f64 v[82:83], v[8:9], v[82:83]
	s_waitcnt vmcnt(4) lgkmcnt(0)
	v_mul_f64 v[108:109], v[100:101], v[86:87]
	v_mul_f64 v[86:87], v[102:103], v[86:87]
	v_add_f64 v[2:3], v[2:3], 0
	v_add_f64 v[78:79], v[112:113], 0
	v_fma_f64 v[110:111], v[8:9], v[80:81], v[114:115]
	v_fma_f64 v[80:81], v[6:7], v[80:81], -v[82:83]
	v_fma_f64 v[102:103], v[102:103], v[84:85], v[108:109]
	v_fma_f64 v[84:85], v[100:101], v[84:85], -v[86:87]
	v_add_f64 v[2:3], v[2:3], v[76:77]
	v_add_f64 v[10:11], v[78:79], v[10:11]
	ds_load_b128 v[6:9], v1 offset:624
	ds_load_b128 v[76:79], v1 offset:640
	s_waitcnt vmcnt(3) lgkmcnt(1)
	v_mul_f64 v[82:83], v[6:7], v[90:91]
	v_mul_f64 v[90:91], v[8:9], v[90:91]
	s_waitcnt vmcnt(2) lgkmcnt(0)
	v_mul_f64 v[86:87], v[78:79], v[94:95]
	v_add_f64 v[2:3], v[2:3], v[80:81]
	v_add_f64 v[10:11], v[10:11], v[110:111]
	v_mul_f64 v[80:81], v[76:77], v[94:95]
	v_fma_f64 v[82:83], v[8:9], v[88:89], v[82:83]
	v_fma_f64 v[88:89], v[6:7], v[88:89], -v[90:91]
	ds_load_b128 v[6:9], v1 offset:656
	v_fma_f64 v[76:77], v[76:77], v[92:93], -v[86:87]
	v_add_f64 v[2:3], v[2:3], v[84:85]
	v_add_f64 v[10:11], v[10:11], v[102:103]
	v_fma_f64 v[78:79], v[78:79], v[92:93], v[80:81]
	s_waitcnt vmcnt(1) lgkmcnt(0)
	v_mul_f64 v[84:85], v[6:7], v[98:99]
	v_mul_f64 v[90:91], v[8:9], v[98:99]
	v_add_f64 v[2:3], v[2:3], v[88:89]
	v_add_f64 v[10:11], v[10:11], v[82:83]
	s_delay_alu instid0(VALU_DEP_4) | instskip(NEXT) | instid1(VALU_DEP_4)
	v_fma_f64 v[8:9], v[8:9], v[96:97], v[84:85]
	v_fma_f64 v[6:7], v[6:7], v[96:97], -v[90:91]
	s_delay_alu instid0(VALU_DEP_4) | instskip(NEXT) | instid1(VALU_DEP_4)
	v_add_f64 v[2:3], v[2:3], v[76:77]
	v_add_f64 v[10:11], v[10:11], v[78:79]
	s_delay_alu instid0(VALU_DEP_2) | instskip(NEXT) | instid1(VALU_DEP_2)
	v_add_f64 v[2:3], v[2:3], v[6:7]
	v_add_f64 v[8:9], v[10:11], v[8:9]
	s_waitcnt vmcnt(0)
	s_delay_alu instid0(VALU_DEP_2) | instskip(NEXT) | instid1(VALU_DEP_2)
	v_add_f64 v[6:7], v[104:105], -v[2:3]
	v_add_f64 v[8:9], v[106:107], -v[8:9]
	scratch_store_b128 off, v[6:9], off offset:208
	v_cmpx_lt_u32_e32 12, v55
	s_cbranch_execz .LBB20_115
; %bb.114:
	scratch_load_b128 v[6:9], v68, off
	v_mov_b32_e32 v2, v1
	v_mov_b32_e32 v3, v1
	;; [unrolled: 1-line block ×3, first 2 shown]
	scratch_store_b128 off, v[1:4], off offset:192
	s_waitcnt vmcnt(0)
	ds_store_b128 v5, v[6:9]
.LBB20_115:
	s_or_b32 exec_lo, exec_lo, s2
	s_waitcnt lgkmcnt(0)
	s_waitcnt_vscnt null, 0x0
	s_barrier
	buffer_gl0_inv
	s_clause 0x7
	scratch_load_b128 v[6:9], off, off offset:208
	scratch_load_b128 v[76:79], off, off offset:224
	;; [unrolled: 1-line block ×8, first 2 shown]
	ds_load_b128 v[104:107], v1 offset:544
	ds_load_b128 v[108:111], v1 offset:560
	scratch_load_b128 v[112:115], off, off offset:192
	s_mov_b32 s2, exec_lo
	s_waitcnt vmcnt(8) lgkmcnt(1)
	v_mul_f64 v[2:3], v[106:107], v[8:9]
	v_mul_f64 v[8:9], v[104:105], v[8:9]
	s_waitcnt vmcnt(7) lgkmcnt(0)
	v_mul_f64 v[10:11], v[108:109], v[78:79]
	v_mul_f64 v[78:79], v[110:111], v[78:79]
	s_delay_alu instid0(VALU_DEP_4) | instskip(NEXT) | instid1(VALU_DEP_4)
	v_fma_f64 v[2:3], v[104:105], v[6:7], -v[2:3]
	v_fma_f64 v[116:117], v[106:107], v[6:7], v[8:9]
	ds_load_b128 v[6:9], v1 offset:576
	ds_load_b128 v[104:107], v1 offset:592
	v_fma_f64 v[10:11], v[110:111], v[76:77], v[10:11]
	v_fma_f64 v[76:77], v[108:109], v[76:77], -v[78:79]
	s_waitcnt vmcnt(6) lgkmcnt(1)
	v_mul_f64 v[118:119], v[6:7], v[82:83]
	v_mul_f64 v[82:83], v[8:9], v[82:83]
	s_waitcnt vmcnt(5) lgkmcnt(0)
	v_mul_f64 v[108:109], v[104:105], v[86:87]
	v_mul_f64 v[86:87], v[106:107], v[86:87]
	v_add_f64 v[2:3], v[2:3], 0
	v_add_f64 v[78:79], v[116:117], 0
	v_fma_f64 v[110:111], v[8:9], v[80:81], v[118:119]
	v_fma_f64 v[80:81], v[6:7], v[80:81], -v[82:83]
	v_fma_f64 v[106:107], v[106:107], v[84:85], v[108:109]
	v_fma_f64 v[84:85], v[104:105], v[84:85], -v[86:87]
	v_add_f64 v[2:3], v[2:3], v[76:77]
	v_add_f64 v[10:11], v[78:79], v[10:11]
	ds_load_b128 v[6:9], v1 offset:608
	ds_load_b128 v[76:79], v1 offset:624
	s_waitcnt vmcnt(4) lgkmcnt(1)
	v_mul_f64 v[82:83], v[6:7], v[90:91]
	v_mul_f64 v[90:91], v[8:9], v[90:91]
	s_waitcnt vmcnt(3) lgkmcnt(0)
	v_mul_f64 v[86:87], v[78:79], v[94:95]
	v_add_f64 v[2:3], v[2:3], v[80:81]
	v_add_f64 v[10:11], v[10:11], v[110:111]
	v_mul_f64 v[80:81], v[76:77], v[94:95]
	v_fma_f64 v[82:83], v[8:9], v[88:89], v[82:83]
	v_fma_f64 v[88:89], v[6:7], v[88:89], -v[90:91]
	v_fma_f64 v[76:77], v[76:77], v[92:93], -v[86:87]
	v_add_f64 v[84:85], v[2:3], v[84:85]
	v_add_f64 v[10:11], v[10:11], v[106:107]
	ds_load_b128 v[6:9], v1 offset:640
	ds_load_b128 v[1:4], v1 offset:656
	v_fma_f64 v[78:79], v[78:79], v[92:93], v[80:81]
	s_waitcnt vmcnt(2) lgkmcnt(1)
	v_mul_f64 v[90:91], v[6:7], v[98:99]
	v_mul_f64 v[94:95], v[8:9], v[98:99]
	v_add_f64 v[80:81], v[84:85], v[88:89]
	v_add_f64 v[10:11], v[10:11], v[82:83]
	s_waitcnt vmcnt(1) lgkmcnt(0)
	v_mul_f64 v[82:83], v[1:2], v[102:103]
	v_mul_f64 v[84:85], v[3:4], v[102:103]
	v_fma_f64 v[8:9], v[8:9], v[96:97], v[90:91]
	v_fma_f64 v[6:7], v[6:7], v[96:97], -v[94:95]
	v_add_f64 v[76:77], v[80:81], v[76:77]
	v_add_f64 v[10:11], v[10:11], v[78:79]
	v_fma_f64 v[3:4], v[3:4], v[100:101], v[82:83]
	v_fma_f64 v[1:2], v[1:2], v[100:101], -v[84:85]
	s_delay_alu instid0(VALU_DEP_4) | instskip(NEXT) | instid1(VALU_DEP_4)
	v_add_f64 v[6:7], v[76:77], v[6:7]
	v_add_f64 v[8:9], v[10:11], v[8:9]
	s_delay_alu instid0(VALU_DEP_2) | instskip(NEXT) | instid1(VALU_DEP_2)
	v_add_f64 v[1:2], v[6:7], v[1:2]
	v_add_f64 v[3:4], v[8:9], v[3:4]
	s_waitcnt vmcnt(0)
	s_delay_alu instid0(VALU_DEP_2) | instskip(NEXT) | instid1(VALU_DEP_2)
	v_add_f64 v[1:2], v[112:113], -v[1:2]
	v_add_f64 v[3:4], v[114:115], -v[3:4]
	scratch_store_b128 off, v[1:4], off offset:192
	v_cmpx_lt_u32_e32 11, v55
	s_cbranch_execz .LBB20_117
; %bb.116:
	scratch_load_b128 v[1:4], v65, off
	v_mov_b32_e32 v6, 0
	s_delay_alu instid0(VALU_DEP_1)
	v_mov_b32_e32 v7, v6
	v_mov_b32_e32 v8, v6
	;; [unrolled: 1-line block ×3, first 2 shown]
	scratch_store_b128 off, v[6:9], off offset:176
	s_waitcnt vmcnt(0)
	ds_store_b128 v5, v[1:4]
.LBB20_117:
	s_or_b32 exec_lo, exec_lo, s2
	s_waitcnt lgkmcnt(0)
	s_waitcnt_vscnt null, 0x0
	s_barrier
	buffer_gl0_inv
	s_clause 0x7
	scratch_load_b128 v[6:9], off, off offset:192
	scratch_load_b128 v[76:79], off, off offset:208
	;; [unrolled: 1-line block ×8, first 2 shown]
	v_mov_b32_e32 v1, 0
	scratch_load_b128 v[108:111], off, off offset:320
	s_mov_b32 s2, exec_lo
	ds_load_b128 v[104:107], v1 offset:528
	s_waitcnt vmcnt(8) lgkmcnt(0)
	v_mul_f64 v[2:3], v[106:107], v[8:9]
	v_mul_f64 v[112:113], v[104:105], v[8:9]
	ds_load_b128 v[8:11], v1 offset:544
	v_fma_f64 v[2:3], v[104:105], v[6:7], -v[2:3]
	v_fma_f64 v[6:7], v[106:107], v[6:7], v[112:113]
	ds_load_b128 v[104:107], v1 offset:560
	s_waitcnt vmcnt(7) lgkmcnt(1)
	v_mul_f64 v[114:115], v[8:9], v[78:79]
	v_mul_f64 v[78:79], v[10:11], v[78:79]
	s_waitcnt vmcnt(6) lgkmcnt(0)
	v_mul_f64 v[112:113], v[104:105], v[82:83]
	v_mul_f64 v[82:83], v[106:107], v[82:83]
	v_add_f64 v[2:3], v[2:3], 0
	v_add_f64 v[116:117], v[6:7], 0
	v_fma_f64 v[10:11], v[10:11], v[76:77], v[114:115]
	v_fma_f64 v[114:115], v[8:9], v[76:77], -v[78:79]
	ds_load_b128 v[6:9], v1 offset:576
	scratch_load_b128 v[76:79], off, off offset:176
	v_fma_f64 v[106:107], v[106:107], v[80:81], v[112:113]
	v_fma_f64 v[104:105], v[104:105], v[80:81], -v[82:83]
	ds_load_b128 v[80:83], v1 offset:592
	s_waitcnt vmcnt(6) lgkmcnt(1)
	v_mul_f64 v[118:119], v[6:7], v[86:87]
	v_mul_f64 v[86:87], v[8:9], v[86:87]
	v_add_f64 v[10:11], v[116:117], v[10:11]
	v_add_f64 v[2:3], v[2:3], v[114:115]
	s_waitcnt vmcnt(5) lgkmcnt(0)
	v_mul_f64 v[112:113], v[80:81], v[90:91]
	v_mul_f64 v[90:91], v[82:83], v[90:91]
	v_fma_f64 v[114:115], v[8:9], v[84:85], v[118:119]
	v_fma_f64 v[84:85], v[6:7], v[84:85], -v[86:87]
	ds_load_b128 v[6:9], v1 offset:608
	v_add_f64 v[10:11], v[10:11], v[106:107]
	v_add_f64 v[2:3], v[2:3], v[104:105]
	v_fma_f64 v[104:105], v[82:83], v[88:89], v[112:113]
	v_fma_f64 v[88:89], v[80:81], v[88:89], -v[90:91]
	ds_load_b128 v[80:83], v1 offset:624
	s_waitcnt vmcnt(4) lgkmcnt(1)
	v_mul_f64 v[86:87], v[6:7], v[94:95]
	v_mul_f64 v[94:95], v[8:9], v[94:95]
	s_waitcnt vmcnt(3) lgkmcnt(0)
	v_mul_f64 v[90:91], v[82:83], v[98:99]
	v_add_f64 v[10:11], v[10:11], v[114:115]
	v_add_f64 v[2:3], v[2:3], v[84:85]
	v_mul_f64 v[84:85], v[80:81], v[98:99]
	v_fma_f64 v[86:87], v[8:9], v[92:93], v[86:87]
	v_fma_f64 v[92:93], v[6:7], v[92:93], -v[94:95]
	ds_load_b128 v[6:9], v1 offset:640
	v_fma_f64 v[90:91], v[80:81], v[96:97], -v[90:91]
	v_add_f64 v[10:11], v[10:11], v[104:105]
	v_add_f64 v[2:3], v[2:3], v[88:89]
	v_fma_f64 v[84:85], v[82:83], v[96:97], v[84:85]
	ds_load_b128 v[80:83], v1 offset:656
	s_waitcnt vmcnt(2) lgkmcnt(1)
	v_mul_f64 v[88:89], v[6:7], v[102:103]
	v_mul_f64 v[94:95], v[8:9], v[102:103]
	v_add_f64 v[10:11], v[10:11], v[86:87]
	v_add_f64 v[2:3], v[2:3], v[92:93]
	s_waitcnt vmcnt(1) lgkmcnt(0)
	v_mul_f64 v[86:87], v[80:81], v[110:111]
	v_mul_f64 v[92:93], v[82:83], v[110:111]
	v_fma_f64 v[8:9], v[8:9], v[100:101], v[88:89]
	v_fma_f64 v[6:7], v[6:7], v[100:101], -v[94:95]
	v_add_f64 v[10:11], v[10:11], v[84:85]
	v_add_f64 v[2:3], v[2:3], v[90:91]
	v_fma_f64 v[82:83], v[82:83], v[108:109], v[86:87]
	v_fma_f64 v[80:81], v[80:81], v[108:109], -v[92:93]
	s_delay_alu instid0(VALU_DEP_3) | instskip(SKIP_1) | instid1(VALU_DEP_2)
	v_add_f64 v[2:3], v[2:3], v[6:7]
	v_add_f64 v[6:7], v[10:11], v[8:9]
	;; [unrolled: 1-line block ×3, first 2 shown]
	s_delay_alu instid0(VALU_DEP_2) | instskip(SKIP_1) | instid1(VALU_DEP_2)
	v_add_f64 v[8:9], v[6:7], v[82:83]
	s_waitcnt vmcnt(0)
	v_add_f64 v[6:7], v[76:77], -v[2:3]
	s_delay_alu instid0(VALU_DEP_2)
	v_add_f64 v[8:9], v[78:79], -v[8:9]
	scratch_store_b128 off, v[6:9], off offset:176
	v_cmpx_lt_u32_e32 10, v55
	s_cbranch_execz .LBB20_119
; %bb.118:
	scratch_load_b128 v[6:9], v63, off
	v_mov_b32_e32 v2, v1
	v_mov_b32_e32 v3, v1
	v_mov_b32_e32 v4, v1
	scratch_store_b128 off, v[1:4], off offset:160
	s_waitcnt vmcnt(0)
	ds_store_b128 v5, v[6:9]
.LBB20_119:
	s_or_b32 exec_lo, exec_lo, s2
	s_waitcnt lgkmcnt(0)
	s_waitcnt_vscnt null, 0x0
	s_barrier
	buffer_gl0_inv
	s_clause 0x7
	scratch_load_b128 v[6:9], off, off offset:176
	scratch_load_b128 v[76:79], off, off offset:192
	;; [unrolled: 1-line block ×8, first 2 shown]
	ds_load_b128 v[104:107], v1 offset:512
	s_clause 0x1
	scratch_load_b128 v[108:111], off, off offset:304
	scratch_load_b128 v[112:115], off, off offset:320
	s_mov_b32 s2, exec_lo
	s_waitcnt vmcnt(9) lgkmcnt(0)
	v_mul_f64 v[2:3], v[106:107], v[8:9]
	v_mul_f64 v[116:117], v[104:105], v[8:9]
	ds_load_b128 v[8:11], v1 offset:528
	v_fma_f64 v[2:3], v[104:105], v[6:7], -v[2:3]
	v_fma_f64 v[6:7], v[106:107], v[6:7], v[116:117]
	ds_load_b128 v[104:107], v1 offset:544
	s_waitcnt vmcnt(8) lgkmcnt(1)
	v_mul_f64 v[118:119], v[8:9], v[78:79]
	v_mul_f64 v[78:79], v[10:11], v[78:79]
	s_waitcnt vmcnt(7) lgkmcnt(0)
	v_mul_f64 v[116:117], v[104:105], v[82:83]
	v_mul_f64 v[82:83], v[106:107], v[82:83]
	v_add_f64 v[2:3], v[2:3], 0
	v_fma_f64 v[10:11], v[10:11], v[76:77], v[118:119]
	v_fma_f64 v[76:77], v[8:9], v[76:77], -v[78:79]
	v_add_f64 v[78:79], v[6:7], 0
	ds_load_b128 v[6:9], v1 offset:560
	v_fma_f64 v[106:107], v[106:107], v[80:81], v[116:117]
	v_fma_f64 v[104:105], v[104:105], v[80:81], -v[82:83]
	scratch_load_b128 v[80:83], off, off offset:160
	v_add_f64 v[2:3], v[2:3], v[76:77]
	v_add_f64 v[10:11], v[78:79], v[10:11]
	ds_load_b128 v[76:79], v1 offset:576
	s_waitcnt vmcnt(7) lgkmcnt(1)
	v_mul_f64 v[118:119], v[6:7], v[86:87]
	v_mul_f64 v[86:87], v[8:9], v[86:87]
	s_waitcnt vmcnt(6) lgkmcnt(0)
	v_mul_f64 v[116:117], v[76:77], v[90:91]
	v_mul_f64 v[90:91], v[78:79], v[90:91]
	v_add_f64 v[2:3], v[2:3], v[104:105]
	v_add_f64 v[10:11], v[10:11], v[106:107]
	v_fma_f64 v[118:119], v[8:9], v[84:85], v[118:119]
	v_fma_f64 v[84:85], v[6:7], v[84:85], -v[86:87]
	ds_load_b128 v[6:9], v1 offset:592
	v_fma_f64 v[104:105], v[78:79], v[88:89], v[116:117]
	v_fma_f64 v[88:89], v[76:77], v[88:89], -v[90:91]
	ds_load_b128 v[76:79], v1 offset:608
	s_waitcnt vmcnt(5) lgkmcnt(1)
	v_mul_f64 v[86:87], v[6:7], v[94:95]
	v_mul_f64 v[94:95], v[8:9], v[94:95]
	v_add_f64 v[10:11], v[10:11], v[118:119]
	v_add_f64 v[2:3], v[2:3], v[84:85]
	s_waitcnt vmcnt(4) lgkmcnt(0)
	v_mul_f64 v[84:85], v[76:77], v[98:99]
	v_mul_f64 v[90:91], v[78:79], v[98:99]
	v_fma_f64 v[86:87], v[8:9], v[92:93], v[86:87]
	v_fma_f64 v[92:93], v[6:7], v[92:93], -v[94:95]
	ds_load_b128 v[6:9], v1 offset:624
	v_add_f64 v[10:11], v[10:11], v[104:105]
	v_add_f64 v[2:3], v[2:3], v[88:89]
	v_fma_f64 v[84:85], v[78:79], v[96:97], v[84:85]
	v_fma_f64 v[90:91], v[76:77], v[96:97], -v[90:91]
	ds_load_b128 v[76:79], v1 offset:640
	s_waitcnt vmcnt(3) lgkmcnt(1)
	v_mul_f64 v[88:89], v[6:7], v[102:103]
	v_mul_f64 v[94:95], v[8:9], v[102:103]
	v_add_f64 v[10:11], v[10:11], v[86:87]
	v_add_f64 v[2:3], v[2:3], v[92:93]
	s_waitcnt vmcnt(2) lgkmcnt(0)
	v_mul_f64 v[86:87], v[76:77], v[110:111]
	v_mul_f64 v[92:93], v[78:79], v[110:111]
	v_fma_f64 v[8:9], v[8:9], v[100:101], v[88:89]
	v_fma_f64 v[6:7], v[6:7], v[100:101], -v[94:95]
	v_add_f64 v[10:11], v[10:11], v[84:85]
	v_add_f64 v[88:89], v[2:3], v[90:91]
	ds_load_b128 v[1:4], v1 offset:656
	v_fma_f64 v[78:79], v[78:79], v[108:109], v[86:87]
	v_fma_f64 v[76:77], v[76:77], v[108:109], -v[92:93]
	s_waitcnt vmcnt(1) lgkmcnt(0)
	v_mul_f64 v[84:85], v[1:2], v[114:115]
	v_mul_f64 v[90:91], v[3:4], v[114:115]
	v_add_f64 v[8:9], v[10:11], v[8:9]
	v_add_f64 v[6:7], v[88:89], v[6:7]
	s_delay_alu instid0(VALU_DEP_4) | instskip(NEXT) | instid1(VALU_DEP_4)
	v_fma_f64 v[3:4], v[3:4], v[112:113], v[84:85]
	v_fma_f64 v[1:2], v[1:2], v[112:113], -v[90:91]
	s_delay_alu instid0(VALU_DEP_4) | instskip(NEXT) | instid1(VALU_DEP_4)
	v_add_f64 v[8:9], v[8:9], v[78:79]
	v_add_f64 v[6:7], v[6:7], v[76:77]
	s_delay_alu instid0(VALU_DEP_2) | instskip(NEXT) | instid1(VALU_DEP_2)
	v_add_f64 v[3:4], v[8:9], v[3:4]
	v_add_f64 v[1:2], v[6:7], v[1:2]
	s_waitcnt vmcnt(0)
	s_delay_alu instid0(VALU_DEP_2) | instskip(NEXT) | instid1(VALU_DEP_2)
	v_add_f64 v[3:4], v[82:83], -v[3:4]
	v_add_f64 v[1:2], v[80:81], -v[1:2]
	scratch_store_b128 off, v[1:4], off offset:160
	v_cmpx_lt_u32_e32 9, v55
	s_cbranch_execz .LBB20_121
; %bb.120:
	scratch_load_b128 v[1:4], v66, off
	v_mov_b32_e32 v6, 0
	s_delay_alu instid0(VALU_DEP_1)
	v_mov_b32_e32 v7, v6
	v_mov_b32_e32 v8, v6
	;; [unrolled: 1-line block ×3, first 2 shown]
	scratch_store_b128 off, v[6:9], off offset:144
	s_waitcnt vmcnt(0)
	ds_store_b128 v5, v[1:4]
.LBB20_121:
	s_or_b32 exec_lo, exec_lo, s2
	s_waitcnt lgkmcnt(0)
	s_waitcnt_vscnt null, 0x0
	s_barrier
	buffer_gl0_inv
	s_clause 0x7
	scratch_load_b128 v[6:9], off, off offset:160
	scratch_load_b128 v[76:79], off, off offset:176
	;; [unrolled: 1-line block ×8, first 2 shown]
	v_mov_b32_e32 v1, 0
	s_clause 0x1
	scratch_load_b128 v[108:111], off, off offset:288
	scratch_load_b128 v[112:115], off, off offset:304
	s_mov_b32 s2, exec_lo
	ds_load_b128 v[104:107], v1 offset:496
	s_waitcnt vmcnt(9) lgkmcnt(0)
	v_mul_f64 v[2:3], v[106:107], v[8:9]
	v_mul_f64 v[116:117], v[104:105], v[8:9]
	ds_load_b128 v[8:11], v1 offset:512
	v_fma_f64 v[2:3], v[104:105], v[6:7], -v[2:3]
	v_fma_f64 v[6:7], v[106:107], v[6:7], v[116:117]
	ds_load_b128 v[104:107], v1 offset:528
	s_waitcnt vmcnt(8) lgkmcnt(1)
	v_mul_f64 v[120:121], v[8:9], v[78:79]
	v_mul_f64 v[78:79], v[10:11], v[78:79]
	scratch_load_b128 v[116:119], off, off offset:320
	s_waitcnt vmcnt(8) lgkmcnt(0)
	v_mul_f64 v[122:123], v[104:105], v[82:83]
	v_mul_f64 v[82:83], v[106:107], v[82:83]
	v_add_f64 v[2:3], v[2:3], 0
	v_fma_f64 v[10:11], v[10:11], v[76:77], v[120:121]
	v_fma_f64 v[76:77], v[8:9], v[76:77], -v[78:79]
	v_add_f64 v[78:79], v[6:7], 0
	ds_load_b128 v[6:9], v1 offset:544
	v_fma_f64 v[106:107], v[106:107], v[80:81], v[122:123]
	v_fma_f64 v[80:81], v[104:105], v[80:81], -v[82:83]
	v_add_f64 v[2:3], v[2:3], v[76:77]
	v_add_f64 v[10:11], v[78:79], v[10:11]
	ds_load_b128 v[76:79], v1 offset:560
	s_waitcnt vmcnt(7) lgkmcnt(1)
	v_mul_f64 v[120:121], v[6:7], v[86:87]
	v_mul_f64 v[86:87], v[8:9], v[86:87]
	s_waitcnt vmcnt(6) lgkmcnt(0)
	v_mul_f64 v[104:105], v[76:77], v[90:91]
	v_mul_f64 v[90:91], v[78:79], v[90:91]
	v_add_f64 v[2:3], v[2:3], v[80:81]
	v_add_f64 v[10:11], v[10:11], v[106:107]
	scratch_load_b128 v[80:83], off, off offset:144
	v_fma_f64 v[120:121], v[8:9], v[84:85], v[120:121]
	v_fma_f64 v[84:85], v[6:7], v[84:85], -v[86:87]
	ds_load_b128 v[6:9], v1 offset:576
	v_fma_f64 v[104:105], v[78:79], v[88:89], v[104:105]
	v_fma_f64 v[88:89], v[76:77], v[88:89], -v[90:91]
	ds_load_b128 v[76:79], v1 offset:592
	s_waitcnt vmcnt(6) lgkmcnt(1)
	v_mul_f64 v[86:87], v[6:7], v[94:95]
	v_mul_f64 v[94:95], v[8:9], v[94:95]
	v_add_f64 v[10:11], v[10:11], v[120:121]
	v_add_f64 v[2:3], v[2:3], v[84:85]
	s_waitcnt vmcnt(5) lgkmcnt(0)
	v_mul_f64 v[84:85], v[76:77], v[98:99]
	v_mul_f64 v[90:91], v[78:79], v[98:99]
	v_fma_f64 v[86:87], v[8:9], v[92:93], v[86:87]
	v_fma_f64 v[92:93], v[6:7], v[92:93], -v[94:95]
	ds_load_b128 v[6:9], v1 offset:608
	v_add_f64 v[10:11], v[10:11], v[104:105]
	v_add_f64 v[2:3], v[2:3], v[88:89]
	v_fma_f64 v[84:85], v[78:79], v[96:97], v[84:85]
	v_fma_f64 v[90:91], v[76:77], v[96:97], -v[90:91]
	ds_load_b128 v[76:79], v1 offset:624
	s_waitcnt vmcnt(4) lgkmcnt(1)
	v_mul_f64 v[88:89], v[6:7], v[102:103]
	v_mul_f64 v[94:95], v[8:9], v[102:103]
	v_add_f64 v[10:11], v[10:11], v[86:87]
	v_add_f64 v[2:3], v[2:3], v[92:93]
	s_waitcnt vmcnt(3) lgkmcnt(0)
	v_mul_f64 v[86:87], v[76:77], v[110:111]
	v_mul_f64 v[92:93], v[78:79], v[110:111]
	v_fma_f64 v[88:89], v[8:9], v[100:101], v[88:89]
	v_fma_f64 v[94:95], v[6:7], v[100:101], -v[94:95]
	ds_load_b128 v[6:9], v1 offset:640
	v_add_f64 v[10:11], v[10:11], v[84:85]
	v_add_f64 v[2:3], v[2:3], v[90:91]
	v_fma_f64 v[86:87], v[78:79], v[108:109], v[86:87]
	v_fma_f64 v[92:93], v[76:77], v[108:109], -v[92:93]
	ds_load_b128 v[76:79], v1 offset:656
	s_waitcnt vmcnt(2) lgkmcnt(1)
	v_mul_f64 v[84:85], v[6:7], v[114:115]
	v_mul_f64 v[90:91], v[8:9], v[114:115]
	v_add_f64 v[10:11], v[10:11], v[88:89]
	v_add_f64 v[2:3], v[2:3], v[94:95]
	s_delay_alu instid0(VALU_DEP_4) | instskip(NEXT) | instid1(VALU_DEP_4)
	v_fma_f64 v[8:9], v[8:9], v[112:113], v[84:85]
	v_fma_f64 v[6:7], v[6:7], v[112:113], -v[90:91]
	s_waitcnt vmcnt(1) lgkmcnt(0)
	v_mul_f64 v[88:89], v[76:77], v[118:119]
	v_mul_f64 v[94:95], v[78:79], v[118:119]
	v_add_f64 v[10:11], v[10:11], v[86:87]
	v_add_f64 v[2:3], v[2:3], v[92:93]
	s_delay_alu instid0(VALU_DEP_4) | instskip(NEXT) | instid1(VALU_DEP_4)
	v_fma_f64 v[78:79], v[78:79], v[116:117], v[88:89]
	v_fma_f64 v[76:77], v[76:77], v[116:117], -v[94:95]
	s_delay_alu instid0(VALU_DEP_3) | instskip(SKIP_1) | instid1(VALU_DEP_2)
	v_add_f64 v[2:3], v[2:3], v[6:7]
	v_add_f64 v[6:7], v[10:11], v[8:9]
	v_add_f64 v[2:3], v[2:3], v[76:77]
	s_delay_alu instid0(VALU_DEP_2) | instskip(SKIP_1) | instid1(VALU_DEP_2)
	v_add_f64 v[8:9], v[6:7], v[78:79]
	s_waitcnt vmcnt(0)
	v_add_f64 v[6:7], v[80:81], -v[2:3]
	s_delay_alu instid0(VALU_DEP_2)
	v_add_f64 v[8:9], v[82:83], -v[8:9]
	scratch_store_b128 off, v[6:9], off offset:144
	v_cmpx_lt_u32_e32 8, v55
	s_cbranch_execz .LBB20_123
; %bb.122:
	scratch_load_b128 v[6:9], v57, off
	v_mov_b32_e32 v2, v1
	v_mov_b32_e32 v3, v1
	v_mov_b32_e32 v4, v1
	scratch_store_b128 off, v[1:4], off offset:128
	s_waitcnt vmcnt(0)
	ds_store_b128 v5, v[6:9]
.LBB20_123:
	s_or_b32 exec_lo, exec_lo, s2
	s_waitcnt lgkmcnt(0)
	s_waitcnt_vscnt null, 0x0
	s_barrier
	buffer_gl0_inv
	s_clause 0x8
	scratch_load_b128 v[6:9], off, off offset:144
	scratch_load_b128 v[76:79], off, off offset:160
	;; [unrolled: 1-line block ×9, first 2 shown]
	ds_load_b128 v[108:111], v1 offset:480
	ds_load_b128 v[112:115], v1 offset:496
	scratch_load_b128 v[116:119], off, off offset:128
	s_mov_b32 s2, exec_lo
	ds_load_b128 v[124:127], v1 offset:528
	s_waitcnt vmcnt(9) lgkmcnt(2)
	v_mul_f64 v[2:3], v[110:111], v[8:9]
	v_mul_f64 v[120:121], v[108:109], v[8:9]
	scratch_load_b128 v[8:11], off, off offset:288
	s_waitcnt vmcnt(9) lgkmcnt(1)
	v_mul_f64 v[128:129], v[112:113], v[78:79]
	v_mul_f64 v[78:79], v[114:115], v[78:79]
	v_fma_f64 v[2:3], v[108:109], v[6:7], -v[2:3]
	v_fma_f64 v[6:7], v[110:111], v[6:7], v[120:121]
	ds_load_b128 v[108:111], v1 offset:512
	scratch_load_b128 v[120:123], off, off offset:304
	v_fma_f64 v[114:115], v[114:115], v[76:77], v[128:129]
	v_fma_f64 v[112:113], v[112:113], v[76:77], -v[78:79]
	scratch_load_b128 v[76:79], off, off offset:320
	s_waitcnt vmcnt(9) lgkmcnt(1)
	v_mul_f64 v[128:129], v[124:125], v[86:87]
	v_mul_f64 v[86:87], v[126:127], v[86:87]
	s_waitcnt lgkmcnt(0)
	v_mul_f64 v[130:131], v[108:109], v[82:83]
	v_mul_f64 v[82:83], v[110:111], v[82:83]
	v_add_f64 v[2:3], v[2:3], 0
	v_add_f64 v[6:7], v[6:7], 0
	s_delay_alu instid0(VALU_DEP_4) | instskip(NEXT) | instid1(VALU_DEP_4)
	v_fma_f64 v[130:131], v[110:111], v[80:81], v[130:131]
	v_fma_f64 v[132:133], v[108:109], v[80:81], -v[82:83]
	ds_load_b128 v[80:83], v1 offset:544
	ds_load_b128 v[108:111], v1 offset:560
	v_add_f64 v[2:3], v[2:3], v[112:113]
	v_add_f64 v[6:7], v[6:7], v[114:115]
	v_fma_f64 v[114:115], v[126:127], v[84:85], v[128:129]
	v_fma_f64 v[84:85], v[124:125], v[84:85], -v[86:87]
	s_waitcnt vmcnt(8) lgkmcnt(1)
	v_mul_f64 v[112:113], v[80:81], v[90:91]
	v_mul_f64 v[90:91], v[82:83], v[90:91]
	s_waitcnt vmcnt(7) lgkmcnt(0)
	v_mul_f64 v[124:125], v[108:109], v[94:95]
	v_mul_f64 v[94:95], v[110:111], v[94:95]
	v_add_f64 v[2:3], v[2:3], v[132:133]
	v_add_f64 v[6:7], v[6:7], v[130:131]
	v_fma_f64 v[112:113], v[82:83], v[88:89], v[112:113]
	v_fma_f64 v[88:89], v[80:81], v[88:89], -v[90:91]
	v_fma_f64 v[110:111], v[110:111], v[92:93], v[124:125]
	v_fma_f64 v[92:93], v[108:109], v[92:93], -v[94:95]
	v_add_f64 v[2:3], v[2:3], v[84:85]
	v_add_f64 v[6:7], v[6:7], v[114:115]
	ds_load_b128 v[80:83], v1 offset:576
	ds_load_b128 v[84:87], v1 offset:592
	s_waitcnt vmcnt(6) lgkmcnt(1)
	v_mul_f64 v[90:91], v[80:81], v[98:99]
	v_mul_f64 v[98:99], v[82:83], v[98:99]
	s_waitcnt vmcnt(5) lgkmcnt(0)
	v_mul_f64 v[94:95], v[84:85], v[102:103]
	v_mul_f64 v[102:103], v[86:87], v[102:103]
	v_add_f64 v[2:3], v[2:3], v[88:89]
	v_add_f64 v[6:7], v[6:7], v[112:113]
	v_fma_f64 v[108:109], v[82:83], v[96:97], v[90:91]
	v_fma_f64 v[96:97], v[80:81], v[96:97], -v[98:99]
	ds_load_b128 v[80:83], v1 offset:608
	ds_load_b128 v[88:91], v1 offset:624
	v_fma_f64 v[86:87], v[86:87], v[100:101], v[94:95]
	v_fma_f64 v[84:85], v[84:85], v[100:101], -v[102:103]
	v_add_f64 v[2:3], v[2:3], v[92:93]
	v_add_f64 v[6:7], v[6:7], v[110:111]
	s_waitcnt vmcnt(4) lgkmcnt(1)
	v_mul_f64 v[92:93], v[80:81], v[106:107]
	v_mul_f64 v[98:99], v[82:83], v[106:107]
	s_delay_alu instid0(VALU_DEP_4) | instskip(NEXT) | instid1(VALU_DEP_4)
	v_add_f64 v[2:3], v[2:3], v[96:97]
	v_add_f64 v[6:7], v[6:7], v[108:109]
	s_delay_alu instid0(VALU_DEP_4) | instskip(NEXT) | instid1(VALU_DEP_4)
	v_fma_f64 v[92:93], v[82:83], v[104:105], v[92:93]
	v_fma_f64 v[96:97], v[80:81], v[104:105], -v[98:99]
	s_waitcnt vmcnt(2) lgkmcnt(0)
	v_mul_f64 v[94:95], v[88:89], v[10:11]
	v_mul_f64 v[10:11], v[90:91], v[10:11]
	v_add_f64 v[84:85], v[2:3], v[84:85]
	v_add_f64 v[6:7], v[6:7], v[86:87]
	ds_load_b128 v[80:83], v1 offset:640
	ds_load_b128 v[1:4], v1 offset:656
	v_fma_f64 v[90:91], v[90:91], v[8:9], v[94:95]
	v_fma_f64 v[8:9], v[88:89], v[8:9], -v[10:11]
	s_waitcnt vmcnt(1) lgkmcnt(1)
	v_mul_f64 v[86:87], v[80:81], v[122:123]
	v_mul_f64 v[98:99], v[82:83], v[122:123]
	v_add_f64 v[10:11], v[84:85], v[96:97]
	v_add_f64 v[6:7], v[6:7], v[92:93]
	s_waitcnt vmcnt(0) lgkmcnt(0)
	v_mul_f64 v[84:85], v[1:2], v[78:79]
	v_mul_f64 v[78:79], v[3:4], v[78:79]
	v_fma_f64 v[82:83], v[82:83], v[120:121], v[86:87]
	v_fma_f64 v[80:81], v[80:81], v[120:121], -v[98:99]
	v_add_f64 v[8:9], v[10:11], v[8:9]
	v_add_f64 v[6:7], v[6:7], v[90:91]
	v_fma_f64 v[3:4], v[3:4], v[76:77], v[84:85]
	v_fma_f64 v[1:2], v[1:2], v[76:77], -v[78:79]
	s_delay_alu instid0(VALU_DEP_4) | instskip(NEXT) | instid1(VALU_DEP_4)
	v_add_f64 v[8:9], v[8:9], v[80:81]
	v_add_f64 v[6:7], v[6:7], v[82:83]
	s_delay_alu instid0(VALU_DEP_2) | instskip(NEXT) | instid1(VALU_DEP_2)
	v_add_f64 v[1:2], v[8:9], v[1:2]
	v_add_f64 v[3:4], v[6:7], v[3:4]
	s_delay_alu instid0(VALU_DEP_2) | instskip(NEXT) | instid1(VALU_DEP_2)
	v_add_f64 v[1:2], v[116:117], -v[1:2]
	v_add_f64 v[3:4], v[118:119], -v[3:4]
	scratch_store_b128 off, v[1:4], off offset:128
	v_cmpx_lt_u32_e32 7, v55
	s_cbranch_execz .LBB20_125
; %bb.124:
	scratch_load_b128 v[1:4], v60, off
	v_mov_b32_e32 v6, 0
	s_delay_alu instid0(VALU_DEP_1)
	v_mov_b32_e32 v7, v6
	v_mov_b32_e32 v8, v6
	;; [unrolled: 1-line block ×3, first 2 shown]
	scratch_store_b128 off, v[6:9], off offset:112
	s_waitcnt vmcnt(0)
	ds_store_b128 v5, v[1:4]
.LBB20_125:
	s_or_b32 exec_lo, exec_lo, s2
	s_waitcnt lgkmcnt(0)
	s_waitcnt_vscnt null, 0x0
	s_barrier
	buffer_gl0_inv
	s_clause 0x7
	scratch_load_b128 v[6:9], off, off offset:128
	scratch_load_b128 v[76:79], off, off offset:144
	;; [unrolled: 1-line block ×8, first 2 shown]
	v_mov_b32_e32 v1, 0
	s_mov_b32 s2, exec_lo
	ds_load_b128 v[104:107], v1 offset:464
	s_clause 0x1
	scratch_load_b128 v[108:111], off, off offset:256
	scratch_load_b128 v[112:115], off, off offset:112
	ds_load_b128 v[116:119], v1 offset:480
	ds_load_b128 v[124:127], v1 offset:512
	s_waitcnt vmcnt(9) lgkmcnt(2)
	v_mul_f64 v[2:3], v[106:107], v[8:9]
	v_mul_f64 v[120:121], v[104:105], v[8:9]
	scratch_load_b128 v[8:11], off, off offset:272
	v_fma_f64 v[2:3], v[104:105], v[6:7], -v[2:3]
	v_fma_f64 v[6:7], v[106:107], v[6:7], v[120:121]
	scratch_load_b128 v[120:123], off, off offset:288
	ds_load_b128 v[104:107], v1 offset:496
	s_waitcnt vmcnt(10) lgkmcnt(2)
	v_mul_f64 v[128:129], v[116:117], v[78:79]
	v_mul_f64 v[78:79], v[118:119], v[78:79]
	s_waitcnt vmcnt(9) lgkmcnt(0)
	v_mul_f64 v[130:131], v[104:105], v[82:83]
	v_mul_f64 v[82:83], v[106:107], v[82:83]
	v_add_f64 v[2:3], v[2:3], 0
	v_add_f64 v[6:7], v[6:7], 0
	v_fma_f64 v[118:119], v[118:119], v[76:77], v[128:129]
	v_fma_f64 v[116:117], v[116:117], v[76:77], -v[78:79]
	scratch_load_b128 v[76:79], off, off offset:304
	v_fma_f64 v[130:131], v[106:107], v[80:81], v[130:131]
	v_fma_f64 v[132:133], v[104:105], v[80:81], -v[82:83]
	scratch_load_b128 v[104:107], off, off offset:320
	ds_load_b128 v[80:83], v1 offset:528
	s_waitcnt vmcnt(10)
	v_mul_f64 v[128:129], v[124:125], v[86:87]
	v_mul_f64 v[86:87], v[126:127], v[86:87]
	v_add_f64 v[6:7], v[6:7], v[118:119]
	v_add_f64 v[2:3], v[2:3], v[116:117]
	ds_load_b128 v[116:119], v1 offset:544
	s_waitcnt vmcnt(9) lgkmcnt(1)
	v_mul_f64 v[134:135], v[80:81], v[90:91]
	v_mul_f64 v[90:91], v[82:83], v[90:91]
	v_fma_f64 v[126:127], v[126:127], v[84:85], v[128:129]
	v_fma_f64 v[84:85], v[124:125], v[84:85], -v[86:87]
	s_waitcnt vmcnt(8) lgkmcnt(0)
	v_mul_f64 v[124:125], v[116:117], v[94:95]
	v_mul_f64 v[94:95], v[118:119], v[94:95]
	v_add_f64 v[6:7], v[6:7], v[130:131]
	v_add_f64 v[2:3], v[2:3], v[132:133]
	v_fma_f64 v[128:129], v[82:83], v[88:89], v[134:135]
	v_fma_f64 v[88:89], v[80:81], v[88:89], -v[90:91]
	v_fma_f64 v[118:119], v[118:119], v[92:93], v[124:125]
	v_fma_f64 v[92:93], v[116:117], v[92:93], -v[94:95]
	v_add_f64 v[6:7], v[6:7], v[126:127]
	v_add_f64 v[2:3], v[2:3], v[84:85]
	ds_load_b128 v[80:83], v1 offset:560
	ds_load_b128 v[84:87], v1 offset:576
	s_waitcnt vmcnt(7) lgkmcnt(1)
	v_mul_f64 v[90:91], v[80:81], v[98:99]
	v_mul_f64 v[98:99], v[82:83], v[98:99]
	s_waitcnt vmcnt(6) lgkmcnt(0)
	v_mul_f64 v[94:95], v[84:85], v[102:103]
	v_mul_f64 v[102:103], v[86:87], v[102:103]
	v_add_f64 v[6:7], v[6:7], v[128:129]
	v_add_f64 v[2:3], v[2:3], v[88:89]
	v_fma_f64 v[116:117], v[82:83], v[96:97], v[90:91]
	v_fma_f64 v[96:97], v[80:81], v[96:97], -v[98:99]
	ds_load_b128 v[80:83], v1 offset:592
	ds_load_b128 v[88:91], v1 offset:608
	v_fma_f64 v[86:87], v[86:87], v[100:101], v[94:95]
	v_fma_f64 v[84:85], v[84:85], v[100:101], -v[102:103]
	v_add_f64 v[6:7], v[6:7], v[118:119]
	v_add_f64 v[2:3], v[2:3], v[92:93]
	s_waitcnt vmcnt(5) lgkmcnt(1)
	v_mul_f64 v[92:93], v[80:81], v[110:111]
	v_mul_f64 v[98:99], v[82:83], v[110:111]
	s_delay_alu instid0(VALU_DEP_4) | instskip(NEXT) | instid1(VALU_DEP_4)
	v_add_f64 v[6:7], v[6:7], v[116:117]
	v_add_f64 v[2:3], v[2:3], v[96:97]
	s_delay_alu instid0(VALU_DEP_4) | instskip(NEXT) | instid1(VALU_DEP_4)
	v_fma_f64 v[92:93], v[82:83], v[108:109], v[92:93]
	v_fma_f64 v[96:97], v[80:81], v[108:109], -v[98:99]
	s_waitcnt vmcnt(3) lgkmcnt(0)
	v_mul_f64 v[94:95], v[88:89], v[10:11]
	v_mul_f64 v[10:11], v[90:91], v[10:11]
	v_add_f64 v[6:7], v[6:7], v[86:87]
	v_add_f64 v[2:3], v[2:3], v[84:85]
	ds_load_b128 v[80:83], v1 offset:624
	ds_load_b128 v[84:87], v1 offset:640
	v_fma_f64 v[90:91], v[90:91], v[8:9], v[94:95]
	v_fma_f64 v[8:9], v[88:89], v[8:9], -v[10:11]
	s_waitcnt vmcnt(2) lgkmcnt(1)
	v_mul_f64 v[98:99], v[80:81], v[122:123]
	v_mul_f64 v[100:101], v[82:83], v[122:123]
	v_add_f64 v[6:7], v[6:7], v[92:93]
	v_add_f64 v[2:3], v[2:3], v[96:97]
	s_waitcnt vmcnt(1) lgkmcnt(0)
	v_mul_f64 v[10:11], v[84:85], v[78:79]
	v_mul_f64 v[78:79], v[86:87], v[78:79]
	v_fma_f64 v[82:83], v[82:83], v[120:121], v[98:99]
	v_fma_f64 v[80:81], v[80:81], v[120:121], -v[100:101]
	v_add_f64 v[88:89], v[6:7], v[90:91]
	v_add_f64 v[2:3], v[2:3], v[8:9]
	ds_load_b128 v[6:9], v1 offset:656
	v_fma_f64 v[10:11], v[86:87], v[76:77], v[10:11]
	v_fma_f64 v[76:77], v[84:85], v[76:77], -v[78:79]
	s_waitcnt vmcnt(0) lgkmcnt(0)
	v_mul_f64 v[90:91], v[6:7], v[106:107]
	v_mul_f64 v[92:93], v[8:9], v[106:107]
	v_add_f64 v[78:79], v[88:89], v[82:83]
	v_add_f64 v[2:3], v[2:3], v[80:81]
	s_delay_alu instid0(VALU_DEP_4) | instskip(NEXT) | instid1(VALU_DEP_4)
	v_fma_f64 v[8:9], v[8:9], v[104:105], v[90:91]
	v_fma_f64 v[6:7], v[6:7], v[104:105], -v[92:93]
	s_delay_alu instid0(VALU_DEP_4) | instskip(NEXT) | instid1(VALU_DEP_4)
	v_add_f64 v[10:11], v[78:79], v[10:11]
	v_add_f64 v[2:3], v[2:3], v[76:77]
	s_delay_alu instid0(VALU_DEP_2) | instskip(NEXT) | instid1(VALU_DEP_2)
	v_add_f64 v[8:9], v[10:11], v[8:9]
	v_add_f64 v[2:3], v[2:3], v[6:7]
	s_delay_alu instid0(VALU_DEP_2) | instskip(NEXT) | instid1(VALU_DEP_2)
	v_add_f64 v[8:9], v[114:115], -v[8:9]
	v_add_f64 v[6:7], v[112:113], -v[2:3]
	scratch_store_b128 off, v[6:9], off offset:112
	v_cmpx_lt_u32_e32 6, v55
	s_cbranch_execz .LBB20_127
; %bb.126:
	scratch_load_b128 v[6:9], v58, off
	v_mov_b32_e32 v2, v1
	v_mov_b32_e32 v3, v1
	;; [unrolled: 1-line block ×3, first 2 shown]
	scratch_store_b128 off, v[1:4], off offset:96
	s_waitcnt vmcnt(0)
	ds_store_b128 v5, v[6:9]
.LBB20_127:
	s_or_b32 exec_lo, exec_lo, s2
	s_waitcnt lgkmcnt(0)
	s_waitcnt_vscnt null, 0x0
	s_barrier
	buffer_gl0_inv
	s_clause 0x8
	scratch_load_b128 v[6:9], off, off offset:112
	scratch_load_b128 v[76:79], off, off offset:128
	;; [unrolled: 1-line block ×9, first 2 shown]
	ds_load_b128 v[108:111], v1 offset:448
	ds_load_b128 v[112:115], v1 offset:464
	scratch_load_b128 v[116:119], off, off offset:96
	s_mov_b32 s2, exec_lo
	ds_load_b128 v[124:127], v1 offset:496
	s_waitcnt vmcnt(9) lgkmcnt(2)
	v_mul_f64 v[2:3], v[110:111], v[8:9]
	v_mul_f64 v[120:121], v[108:109], v[8:9]
	scratch_load_b128 v[8:11], off, off offset:256
	s_waitcnt vmcnt(9) lgkmcnt(1)
	v_mul_f64 v[128:129], v[112:113], v[78:79]
	v_mul_f64 v[78:79], v[114:115], v[78:79]
	v_fma_f64 v[2:3], v[108:109], v[6:7], -v[2:3]
	v_fma_f64 v[6:7], v[110:111], v[6:7], v[120:121]
	ds_load_b128 v[108:111], v1 offset:480
	scratch_load_b128 v[120:123], off, off offset:272
	v_fma_f64 v[114:115], v[114:115], v[76:77], v[128:129]
	v_fma_f64 v[112:113], v[112:113], v[76:77], -v[78:79]
	scratch_load_b128 v[76:79], off, off offset:288
	s_waitcnt vmcnt(9) lgkmcnt(1)
	v_mul_f64 v[128:129], v[124:125], v[86:87]
	v_mul_f64 v[86:87], v[126:127], v[86:87]
	s_waitcnt lgkmcnt(0)
	v_mul_f64 v[130:131], v[108:109], v[82:83]
	v_mul_f64 v[82:83], v[110:111], v[82:83]
	v_add_f64 v[2:3], v[2:3], 0
	v_add_f64 v[6:7], v[6:7], 0
	v_fma_f64 v[126:127], v[126:127], v[84:85], v[128:129]
	v_fma_f64 v[124:125], v[124:125], v[84:85], -v[86:87]
	scratch_load_b128 v[84:87], off, off offset:320
	v_fma_f64 v[130:131], v[110:111], v[80:81], v[130:131]
	v_fma_f64 v[132:133], v[108:109], v[80:81], -v[82:83]
	ds_load_b128 v[80:83], v1 offset:512
	scratch_load_b128 v[108:111], off, off offset:304
	v_add_f64 v[2:3], v[2:3], v[112:113]
	v_add_f64 v[6:7], v[6:7], v[114:115]
	ds_load_b128 v[112:115], v1 offset:528
	s_waitcnt vmcnt(10) lgkmcnt(1)
	v_mul_f64 v[134:135], v[80:81], v[90:91]
	v_mul_f64 v[90:91], v[82:83], v[90:91]
	s_waitcnt vmcnt(9) lgkmcnt(0)
	v_mul_f64 v[128:129], v[112:113], v[94:95]
	v_mul_f64 v[94:95], v[114:115], v[94:95]
	v_add_f64 v[2:3], v[2:3], v[132:133]
	v_add_f64 v[6:7], v[6:7], v[130:131]
	v_fma_f64 v[130:131], v[82:83], v[88:89], v[134:135]
	v_fma_f64 v[132:133], v[80:81], v[88:89], -v[90:91]
	ds_load_b128 v[80:83], v1 offset:544
	ds_load_b128 v[88:91], v1 offset:560
	v_fma_f64 v[114:115], v[114:115], v[92:93], v[128:129]
	v_fma_f64 v[92:93], v[112:113], v[92:93], -v[94:95]
	s_waitcnt vmcnt(7) lgkmcnt(0)
	v_mul_f64 v[112:113], v[88:89], v[102:103]
	v_mul_f64 v[102:103], v[90:91], v[102:103]
	v_add_f64 v[2:3], v[2:3], v[124:125]
	v_add_f64 v[6:7], v[6:7], v[126:127]
	v_mul_f64 v[124:125], v[80:81], v[98:99]
	v_mul_f64 v[98:99], v[82:83], v[98:99]
	v_fma_f64 v[90:91], v[90:91], v[100:101], v[112:113]
	v_fma_f64 v[88:89], v[88:89], v[100:101], -v[102:103]
	v_add_f64 v[2:3], v[2:3], v[132:133]
	v_add_f64 v[6:7], v[6:7], v[130:131]
	v_fma_f64 v[124:125], v[82:83], v[96:97], v[124:125]
	v_fma_f64 v[96:97], v[80:81], v[96:97], -v[98:99]
	s_delay_alu instid0(VALU_DEP_4) | instskip(NEXT) | instid1(VALU_DEP_4)
	v_add_f64 v[2:3], v[2:3], v[92:93]
	v_add_f64 v[6:7], v[6:7], v[114:115]
	ds_load_b128 v[80:83], v1 offset:576
	ds_load_b128 v[92:95], v1 offset:592
	s_waitcnt vmcnt(6) lgkmcnt(1)
	v_mul_f64 v[98:99], v[80:81], v[106:107]
	v_mul_f64 v[106:107], v[82:83], v[106:107]
	v_add_f64 v[2:3], v[2:3], v[96:97]
	v_add_f64 v[6:7], v[6:7], v[124:125]
	s_waitcnt vmcnt(4) lgkmcnt(0)
	v_mul_f64 v[96:97], v[92:93], v[10:11]
	v_mul_f64 v[10:11], v[94:95], v[10:11]
	v_fma_f64 v[98:99], v[82:83], v[104:105], v[98:99]
	v_fma_f64 v[100:101], v[80:81], v[104:105], -v[106:107]
	v_add_f64 v[2:3], v[2:3], v[88:89]
	v_add_f64 v[6:7], v[6:7], v[90:91]
	ds_load_b128 v[80:83], v1 offset:608
	ds_load_b128 v[88:91], v1 offset:624
	v_fma_f64 v[94:95], v[94:95], v[8:9], v[96:97]
	v_fma_f64 v[8:9], v[92:93], v[8:9], -v[10:11]
	s_waitcnt vmcnt(3) lgkmcnt(1)
	v_mul_f64 v[102:103], v[80:81], v[122:123]
	v_mul_f64 v[104:105], v[82:83], v[122:123]
	s_waitcnt vmcnt(2) lgkmcnt(0)
	v_mul_f64 v[10:11], v[88:89], v[78:79]
	v_mul_f64 v[78:79], v[90:91], v[78:79]
	v_add_f64 v[2:3], v[2:3], v[100:101]
	v_add_f64 v[6:7], v[6:7], v[98:99]
	v_fma_f64 v[82:83], v[82:83], v[120:121], v[102:103]
	v_fma_f64 v[80:81], v[80:81], v[120:121], -v[104:105]
	v_fma_f64 v[10:11], v[90:91], v[76:77], v[10:11]
	v_fma_f64 v[76:77], v[88:89], v[76:77], -v[78:79]
	v_add_f64 v[92:93], v[2:3], v[8:9]
	v_add_f64 v[94:95], v[6:7], v[94:95]
	ds_load_b128 v[6:9], v1 offset:640
	ds_load_b128 v[1:4], v1 offset:656
	s_waitcnt vmcnt(0) lgkmcnt(1)
	v_mul_f64 v[96:97], v[6:7], v[110:111]
	v_mul_f64 v[98:99], v[8:9], v[110:111]
	v_add_f64 v[78:79], v[92:93], v[80:81]
	v_add_f64 v[80:81], v[94:95], v[82:83]
	s_waitcnt lgkmcnt(0)
	v_mul_f64 v[82:83], v[1:2], v[86:87]
	v_mul_f64 v[86:87], v[3:4], v[86:87]
	v_fma_f64 v[8:9], v[8:9], v[108:109], v[96:97]
	v_fma_f64 v[6:7], v[6:7], v[108:109], -v[98:99]
	v_add_f64 v[76:77], v[78:79], v[76:77]
	v_add_f64 v[10:11], v[80:81], v[10:11]
	v_fma_f64 v[3:4], v[3:4], v[84:85], v[82:83]
	v_fma_f64 v[1:2], v[1:2], v[84:85], -v[86:87]
	s_delay_alu instid0(VALU_DEP_4) | instskip(NEXT) | instid1(VALU_DEP_4)
	v_add_f64 v[6:7], v[76:77], v[6:7]
	v_add_f64 v[8:9], v[10:11], v[8:9]
	s_delay_alu instid0(VALU_DEP_2) | instskip(NEXT) | instid1(VALU_DEP_2)
	v_add_f64 v[1:2], v[6:7], v[1:2]
	v_add_f64 v[3:4], v[8:9], v[3:4]
	s_delay_alu instid0(VALU_DEP_2) | instskip(NEXT) | instid1(VALU_DEP_2)
	v_add_f64 v[1:2], v[116:117], -v[1:2]
	v_add_f64 v[3:4], v[118:119], -v[3:4]
	scratch_store_b128 off, v[1:4], off offset:96
	v_cmpx_lt_u32_e32 5, v55
	s_cbranch_execz .LBB20_129
; %bb.128:
	scratch_load_b128 v[1:4], v61, off
	v_mov_b32_e32 v6, 0
	s_delay_alu instid0(VALU_DEP_1)
	v_mov_b32_e32 v7, v6
	v_mov_b32_e32 v8, v6
	;; [unrolled: 1-line block ×3, first 2 shown]
	scratch_store_b128 off, v[6:9], off offset:80
	s_waitcnt vmcnt(0)
	ds_store_b128 v5, v[1:4]
.LBB20_129:
	s_or_b32 exec_lo, exec_lo, s2
	s_waitcnt lgkmcnt(0)
	s_waitcnt_vscnt null, 0x0
	s_barrier
	buffer_gl0_inv
	s_clause 0x7
	scratch_load_b128 v[6:9], off, off offset:96
	scratch_load_b128 v[76:79], off, off offset:112
	;; [unrolled: 1-line block ×8, first 2 shown]
	v_mov_b32_e32 v1, 0
	s_mov_b32 s2, exec_lo
	ds_load_b128 v[104:107], v1 offset:432
	s_clause 0x1
	scratch_load_b128 v[108:111], off, off offset:224
	scratch_load_b128 v[112:115], off, off offset:80
	ds_load_b128 v[116:119], v1 offset:448
	ds_load_b128 v[124:127], v1 offset:480
	s_waitcnt vmcnt(9) lgkmcnt(2)
	v_mul_f64 v[2:3], v[106:107], v[8:9]
	v_mul_f64 v[120:121], v[104:105], v[8:9]
	scratch_load_b128 v[8:11], off, off offset:240
	v_fma_f64 v[2:3], v[104:105], v[6:7], -v[2:3]
	v_fma_f64 v[6:7], v[106:107], v[6:7], v[120:121]
	scratch_load_b128 v[120:123], off, off offset:256
	ds_load_b128 v[104:107], v1 offset:464
	s_waitcnt vmcnt(10) lgkmcnt(2)
	v_mul_f64 v[128:129], v[116:117], v[78:79]
	v_mul_f64 v[78:79], v[118:119], v[78:79]
	s_waitcnt vmcnt(9) lgkmcnt(0)
	v_mul_f64 v[130:131], v[104:105], v[82:83]
	v_mul_f64 v[82:83], v[106:107], v[82:83]
	v_add_f64 v[2:3], v[2:3], 0
	v_add_f64 v[6:7], v[6:7], 0
	v_fma_f64 v[118:119], v[118:119], v[76:77], v[128:129]
	v_fma_f64 v[116:117], v[116:117], v[76:77], -v[78:79]
	scratch_load_b128 v[76:79], off, off offset:272
	v_fma_f64 v[130:131], v[106:107], v[80:81], v[130:131]
	v_fma_f64 v[132:133], v[104:105], v[80:81], -v[82:83]
	scratch_load_b128 v[104:107], off, off offset:288
	ds_load_b128 v[80:83], v1 offset:496
	s_waitcnt vmcnt(10)
	v_mul_f64 v[128:129], v[124:125], v[86:87]
	v_mul_f64 v[86:87], v[126:127], v[86:87]
	v_add_f64 v[6:7], v[6:7], v[118:119]
	v_add_f64 v[2:3], v[2:3], v[116:117]
	ds_load_b128 v[116:119], v1 offset:512
	s_waitcnt vmcnt(9) lgkmcnt(1)
	v_mul_f64 v[134:135], v[80:81], v[90:91]
	v_mul_f64 v[90:91], v[82:83], v[90:91]
	v_fma_f64 v[126:127], v[126:127], v[84:85], v[128:129]
	v_fma_f64 v[124:125], v[124:125], v[84:85], -v[86:87]
	scratch_load_b128 v[84:87], off, off offset:304
	v_add_f64 v[6:7], v[6:7], v[130:131]
	v_add_f64 v[2:3], v[2:3], v[132:133]
	v_fma_f64 v[130:131], v[82:83], v[88:89], v[134:135]
	v_fma_f64 v[132:133], v[80:81], v[88:89], -v[90:91]
	scratch_load_b128 v[88:91], off, off offset:320
	ds_load_b128 v[80:83], v1 offset:528
	s_waitcnt vmcnt(10) lgkmcnt(1)
	v_mul_f64 v[128:129], v[116:117], v[94:95]
	v_mul_f64 v[94:95], v[118:119], v[94:95]
	s_waitcnt vmcnt(9) lgkmcnt(0)
	v_mul_f64 v[134:135], v[80:81], v[98:99]
	v_mul_f64 v[98:99], v[82:83], v[98:99]
	v_add_f64 v[6:7], v[6:7], v[126:127]
	v_add_f64 v[2:3], v[2:3], v[124:125]
	ds_load_b128 v[124:127], v1 offset:544
	v_fma_f64 v[118:119], v[118:119], v[92:93], v[128:129]
	v_fma_f64 v[92:93], v[116:117], v[92:93], -v[94:95]
	s_waitcnt vmcnt(8) lgkmcnt(0)
	v_mul_f64 v[116:117], v[124:125], v[102:103]
	v_mul_f64 v[102:103], v[126:127], v[102:103]
	v_fma_f64 v[128:129], v[82:83], v[96:97], v[134:135]
	v_fma_f64 v[96:97], v[80:81], v[96:97], -v[98:99]
	v_add_f64 v[6:7], v[6:7], v[130:131]
	v_add_f64 v[2:3], v[2:3], v[132:133]
	v_fma_f64 v[116:117], v[126:127], v[100:101], v[116:117]
	v_fma_f64 v[100:101], v[124:125], v[100:101], -v[102:103]
	s_delay_alu instid0(VALU_DEP_4) | instskip(NEXT) | instid1(VALU_DEP_4)
	v_add_f64 v[6:7], v[6:7], v[118:119]
	v_add_f64 v[2:3], v[2:3], v[92:93]
	ds_load_b128 v[80:83], v1 offset:560
	ds_load_b128 v[92:95], v1 offset:576
	s_waitcnt vmcnt(7) lgkmcnt(1)
	v_mul_f64 v[98:99], v[80:81], v[110:111]
	v_mul_f64 v[110:111], v[82:83], v[110:111]
	v_add_f64 v[6:7], v[6:7], v[128:129]
	v_add_f64 v[2:3], v[2:3], v[96:97]
	s_waitcnt vmcnt(5) lgkmcnt(0)
	v_mul_f64 v[102:103], v[92:93], v[10:11]
	v_mul_f64 v[10:11], v[94:95], v[10:11]
	v_fma_f64 v[118:119], v[82:83], v[108:109], v[98:99]
	v_fma_f64 v[108:109], v[80:81], v[108:109], -v[110:111]
	ds_load_b128 v[80:83], v1 offset:592
	ds_load_b128 v[96:99], v1 offset:608
	v_add_f64 v[6:7], v[6:7], v[116:117]
	v_add_f64 v[2:3], v[2:3], v[100:101]
	s_waitcnt vmcnt(4) lgkmcnt(1)
	v_mul_f64 v[100:101], v[80:81], v[122:123]
	v_mul_f64 v[110:111], v[82:83], v[122:123]
	v_fma_f64 v[94:95], v[94:95], v[8:9], v[102:103]
	v_fma_f64 v[8:9], v[92:93], v[8:9], -v[10:11]
	v_add_f64 v[6:7], v[6:7], v[118:119]
	v_add_f64 v[2:3], v[2:3], v[108:109]
	v_fma_f64 v[82:83], v[82:83], v[120:121], v[100:101]
	v_fma_f64 v[100:101], v[80:81], v[120:121], -v[110:111]
	s_waitcnt vmcnt(3) lgkmcnt(0)
	v_mul_f64 v[10:11], v[96:97], v[78:79]
	v_mul_f64 v[92:93], v[98:99], v[78:79]
	v_add_f64 v[94:95], v[6:7], v[94:95]
	v_add_f64 v[2:3], v[2:3], v[8:9]
	ds_load_b128 v[6:9], v1 offset:624
	ds_load_b128 v[78:81], v1 offset:640
	v_fma_f64 v[10:11], v[98:99], v[76:77], v[10:11]
	v_fma_f64 v[76:77], v[96:97], v[76:77], -v[92:93]
	s_waitcnt vmcnt(2) lgkmcnt(1)
	v_mul_f64 v[102:103], v[6:7], v[106:107]
	v_mul_f64 v[106:107], v[8:9], v[106:107]
	v_add_f64 v[82:83], v[94:95], v[82:83]
	v_add_f64 v[2:3], v[2:3], v[100:101]
	s_waitcnt vmcnt(1) lgkmcnt(0)
	v_mul_f64 v[92:93], v[78:79], v[86:87]
	v_mul_f64 v[86:87], v[80:81], v[86:87]
	v_fma_f64 v[94:95], v[8:9], v[104:105], v[102:103]
	v_fma_f64 v[96:97], v[6:7], v[104:105], -v[106:107]
	ds_load_b128 v[6:9], v1 offset:656
	v_add_f64 v[10:11], v[82:83], v[10:11]
	v_add_f64 v[2:3], v[2:3], v[76:77]
	v_fma_f64 v[80:81], v[80:81], v[84:85], v[92:93]
	v_fma_f64 v[78:79], v[78:79], v[84:85], -v[86:87]
	s_waitcnt vmcnt(0) lgkmcnt(0)
	v_mul_f64 v[76:77], v[6:7], v[90:91]
	v_mul_f64 v[82:83], v[8:9], v[90:91]
	v_add_f64 v[10:11], v[10:11], v[94:95]
	v_add_f64 v[2:3], v[2:3], v[96:97]
	s_delay_alu instid0(VALU_DEP_4) | instskip(NEXT) | instid1(VALU_DEP_4)
	v_fma_f64 v[8:9], v[8:9], v[88:89], v[76:77]
	v_fma_f64 v[6:7], v[6:7], v[88:89], -v[82:83]
	s_delay_alu instid0(VALU_DEP_4) | instskip(NEXT) | instid1(VALU_DEP_4)
	v_add_f64 v[10:11], v[10:11], v[80:81]
	v_add_f64 v[2:3], v[2:3], v[78:79]
	s_delay_alu instid0(VALU_DEP_2) | instskip(NEXT) | instid1(VALU_DEP_2)
	v_add_f64 v[8:9], v[10:11], v[8:9]
	v_add_f64 v[2:3], v[2:3], v[6:7]
	s_delay_alu instid0(VALU_DEP_2) | instskip(NEXT) | instid1(VALU_DEP_2)
	v_add_f64 v[8:9], v[114:115], -v[8:9]
	v_add_f64 v[6:7], v[112:113], -v[2:3]
	scratch_store_b128 off, v[6:9], off offset:80
	v_cmpx_lt_u32_e32 4, v55
	s_cbranch_execz .LBB20_131
; %bb.130:
	scratch_load_b128 v[6:9], v56, off
	v_mov_b32_e32 v2, v1
	v_mov_b32_e32 v3, v1
	;; [unrolled: 1-line block ×3, first 2 shown]
	scratch_store_b128 off, v[1:4], off offset:64
	s_waitcnt vmcnt(0)
	ds_store_b128 v5, v[6:9]
.LBB20_131:
	s_or_b32 exec_lo, exec_lo, s2
	s_waitcnt lgkmcnt(0)
	s_waitcnt_vscnt null, 0x0
	s_barrier
	buffer_gl0_inv
	s_clause 0x8
	scratch_load_b128 v[6:9], off, off offset:80
	scratch_load_b128 v[76:79], off, off offset:96
	;; [unrolled: 1-line block ×9, first 2 shown]
	ds_load_b128 v[108:111], v1 offset:416
	ds_load_b128 v[112:115], v1 offset:432
	scratch_load_b128 v[116:119], off, off offset:64
	s_mov_b32 s2, exec_lo
	ds_load_b128 v[124:127], v1 offset:464
	s_waitcnt vmcnt(9) lgkmcnt(2)
	v_mul_f64 v[2:3], v[110:111], v[8:9]
	v_mul_f64 v[120:121], v[108:109], v[8:9]
	scratch_load_b128 v[8:11], off, off offset:224
	s_waitcnt vmcnt(9) lgkmcnt(1)
	v_mul_f64 v[128:129], v[112:113], v[78:79]
	v_mul_f64 v[78:79], v[114:115], v[78:79]
	v_fma_f64 v[2:3], v[108:109], v[6:7], -v[2:3]
	v_fma_f64 v[6:7], v[110:111], v[6:7], v[120:121]
	ds_load_b128 v[108:111], v1 offset:448
	scratch_load_b128 v[120:123], off, off offset:240
	v_fma_f64 v[114:115], v[114:115], v[76:77], v[128:129]
	v_fma_f64 v[112:113], v[112:113], v[76:77], -v[78:79]
	scratch_load_b128 v[76:79], off, off offset:256
	s_waitcnt vmcnt(9) lgkmcnt(1)
	v_mul_f64 v[128:129], v[124:125], v[86:87]
	v_mul_f64 v[86:87], v[126:127], v[86:87]
	s_waitcnt lgkmcnt(0)
	v_mul_f64 v[130:131], v[108:109], v[82:83]
	v_mul_f64 v[82:83], v[110:111], v[82:83]
	v_add_f64 v[2:3], v[2:3], 0
	v_add_f64 v[6:7], v[6:7], 0
	v_fma_f64 v[126:127], v[126:127], v[84:85], v[128:129]
	v_fma_f64 v[124:125], v[124:125], v[84:85], -v[86:87]
	scratch_load_b128 v[84:87], off, off offset:288
	v_fma_f64 v[130:131], v[110:111], v[80:81], v[130:131]
	v_fma_f64 v[132:133], v[108:109], v[80:81], -v[82:83]
	ds_load_b128 v[80:83], v1 offset:480
	scratch_load_b128 v[108:111], off, off offset:272
	v_add_f64 v[2:3], v[2:3], v[112:113]
	v_add_f64 v[6:7], v[6:7], v[114:115]
	ds_load_b128 v[112:115], v1 offset:496
	s_waitcnt vmcnt(10) lgkmcnt(1)
	v_mul_f64 v[134:135], v[80:81], v[90:91]
	v_mul_f64 v[90:91], v[82:83], v[90:91]
	s_waitcnt vmcnt(9) lgkmcnt(0)
	v_mul_f64 v[128:129], v[112:113], v[94:95]
	v_mul_f64 v[94:95], v[114:115], v[94:95]
	v_add_f64 v[2:3], v[2:3], v[132:133]
	v_add_f64 v[6:7], v[6:7], v[130:131]
	v_fma_f64 v[130:131], v[82:83], v[88:89], v[134:135]
	v_fma_f64 v[132:133], v[80:81], v[88:89], -v[90:91]
	ds_load_b128 v[80:83], v1 offset:512
	scratch_load_b128 v[88:91], off, off offset:304
	v_fma_f64 v[114:115], v[114:115], v[92:93], v[128:129]
	v_fma_f64 v[112:113], v[112:113], v[92:93], -v[94:95]
	scratch_load_b128 v[92:95], off, off offset:320
	v_add_f64 v[2:3], v[2:3], v[124:125]
	v_add_f64 v[6:7], v[6:7], v[126:127]
	ds_load_b128 v[124:127], v1 offset:528
	s_waitcnt vmcnt(10) lgkmcnt(1)
	v_mul_f64 v[134:135], v[80:81], v[98:99]
	v_mul_f64 v[98:99], v[82:83], v[98:99]
	s_waitcnt vmcnt(9) lgkmcnt(0)
	v_mul_f64 v[128:129], v[124:125], v[102:103]
	v_mul_f64 v[102:103], v[126:127], v[102:103]
	v_add_f64 v[2:3], v[2:3], v[132:133]
	v_add_f64 v[6:7], v[6:7], v[130:131]
	v_fma_f64 v[130:131], v[82:83], v[96:97], v[134:135]
	v_fma_f64 v[132:133], v[80:81], v[96:97], -v[98:99]
	ds_load_b128 v[80:83], v1 offset:544
	ds_load_b128 v[96:99], v1 offset:560
	v_add_f64 v[2:3], v[2:3], v[112:113]
	v_add_f64 v[6:7], v[6:7], v[114:115]
	s_waitcnt vmcnt(8) lgkmcnt(1)
	v_mul_f64 v[112:113], v[80:81], v[106:107]
	v_mul_f64 v[106:107], v[82:83], v[106:107]
	v_fma_f64 v[114:115], v[126:127], v[100:101], v[128:129]
	v_fma_f64 v[100:101], v[124:125], v[100:101], -v[102:103]
	v_add_f64 v[2:3], v[2:3], v[132:133]
	v_add_f64 v[6:7], v[6:7], v[130:131]
	v_fma_f64 v[112:113], v[82:83], v[104:105], v[112:113]
	v_fma_f64 v[104:105], v[80:81], v[104:105], -v[106:107]
	s_waitcnt vmcnt(6) lgkmcnt(0)
	v_mul_f64 v[124:125], v[96:97], v[10:11]
	v_mul_f64 v[10:11], v[98:99], v[10:11]
	v_add_f64 v[2:3], v[2:3], v[100:101]
	v_add_f64 v[6:7], v[6:7], v[114:115]
	ds_load_b128 v[80:83], v1 offset:576
	ds_load_b128 v[100:103], v1 offset:592
	v_fma_f64 v[98:99], v[98:99], v[8:9], v[124:125]
	v_fma_f64 v[8:9], v[96:97], v[8:9], -v[10:11]
	s_waitcnt vmcnt(5) lgkmcnt(1)
	v_mul_f64 v[106:107], v[80:81], v[122:123]
	v_mul_f64 v[114:115], v[82:83], v[122:123]
	s_waitcnt vmcnt(4) lgkmcnt(0)
	v_mul_f64 v[10:11], v[100:101], v[78:79]
	v_mul_f64 v[96:97], v[102:103], v[78:79]
	v_add_f64 v[2:3], v[2:3], v[104:105]
	v_add_f64 v[6:7], v[6:7], v[112:113]
	v_fma_f64 v[82:83], v[82:83], v[120:121], v[106:107]
	v_fma_f64 v[104:105], v[80:81], v[120:121], -v[114:115]
	v_fma_f64 v[10:11], v[102:103], v[76:77], v[10:11]
	v_fma_f64 v[76:77], v[100:101], v[76:77], -v[96:97]
	v_add_f64 v[2:3], v[2:3], v[8:9]
	v_add_f64 v[98:99], v[6:7], v[98:99]
	ds_load_b128 v[6:9], v1 offset:608
	ds_load_b128 v[78:81], v1 offset:624
	s_waitcnt vmcnt(2) lgkmcnt(1)
	v_mul_f64 v[106:107], v[6:7], v[110:111]
	v_mul_f64 v[110:111], v[8:9], v[110:111]
	s_waitcnt lgkmcnt(0)
	v_mul_f64 v[96:97], v[78:79], v[86:87]
	v_mul_f64 v[86:87], v[80:81], v[86:87]
	v_add_f64 v[2:3], v[2:3], v[104:105]
	v_add_f64 v[82:83], v[98:99], v[82:83]
	v_fma_f64 v[98:99], v[8:9], v[108:109], v[106:107]
	v_fma_f64 v[100:101], v[6:7], v[108:109], -v[110:111]
	v_fma_f64 v[80:81], v[80:81], v[84:85], v[96:97]
	v_fma_f64 v[78:79], v[78:79], v[84:85], -v[86:87]
	v_add_f64 v[76:77], v[2:3], v[76:77]
	v_add_f64 v[10:11], v[82:83], v[10:11]
	ds_load_b128 v[6:9], v1 offset:640
	ds_load_b128 v[1:4], v1 offset:656
	s_waitcnt vmcnt(1) lgkmcnt(1)
	v_mul_f64 v[82:83], v[6:7], v[90:91]
	v_mul_f64 v[90:91], v[8:9], v[90:91]
	s_waitcnt vmcnt(0) lgkmcnt(0)
	v_mul_f64 v[84:85], v[1:2], v[94:95]
	v_mul_f64 v[86:87], v[3:4], v[94:95]
	v_add_f64 v[76:77], v[76:77], v[100:101]
	v_add_f64 v[10:11], v[10:11], v[98:99]
	v_fma_f64 v[8:9], v[8:9], v[88:89], v[82:83]
	v_fma_f64 v[6:7], v[6:7], v[88:89], -v[90:91]
	v_fma_f64 v[3:4], v[3:4], v[92:93], v[84:85]
	v_fma_f64 v[1:2], v[1:2], v[92:93], -v[86:87]
	v_add_f64 v[76:77], v[76:77], v[78:79]
	v_add_f64 v[10:11], v[10:11], v[80:81]
	s_delay_alu instid0(VALU_DEP_2) | instskip(NEXT) | instid1(VALU_DEP_2)
	v_add_f64 v[6:7], v[76:77], v[6:7]
	v_add_f64 v[8:9], v[10:11], v[8:9]
	s_delay_alu instid0(VALU_DEP_2) | instskip(NEXT) | instid1(VALU_DEP_2)
	;; [unrolled: 3-line block ×3, first 2 shown]
	v_add_f64 v[1:2], v[116:117], -v[1:2]
	v_add_f64 v[3:4], v[118:119], -v[3:4]
	scratch_store_b128 off, v[1:4], off offset:64
	v_cmpx_lt_u32_e32 3, v55
	s_cbranch_execz .LBB20_133
; %bb.132:
	scratch_load_b128 v[1:4], v59, off
	v_mov_b32_e32 v6, 0
	s_delay_alu instid0(VALU_DEP_1)
	v_mov_b32_e32 v7, v6
	v_mov_b32_e32 v8, v6
	;; [unrolled: 1-line block ×3, first 2 shown]
	scratch_store_b128 off, v[6:9], off offset:48
	s_waitcnt vmcnt(0)
	ds_store_b128 v5, v[1:4]
.LBB20_133:
	s_or_b32 exec_lo, exec_lo, s2
	s_waitcnt lgkmcnt(0)
	s_waitcnt_vscnt null, 0x0
	s_barrier
	buffer_gl0_inv
	s_clause 0x7
	scratch_load_b128 v[6:9], off, off offset:64
	scratch_load_b128 v[76:79], off, off offset:80
	;; [unrolled: 1-line block ×8, first 2 shown]
	v_mov_b32_e32 v1, 0
	s_mov_b32 s2, exec_lo
	ds_load_b128 v[104:107], v1 offset:400
	s_clause 0x1
	scratch_load_b128 v[108:111], off, off offset:192
	scratch_load_b128 v[112:115], off, off offset:48
	ds_load_b128 v[116:119], v1 offset:416
	ds_load_b128 v[124:127], v1 offset:448
	s_waitcnt vmcnt(9) lgkmcnt(2)
	v_mul_f64 v[2:3], v[106:107], v[8:9]
	v_mul_f64 v[120:121], v[104:105], v[8:9]
	scratch_load_b128 v[8:11], off, off offset:208
	v_fma_f64 v[2:3], v[104:105], v[6:7], -v[2:3]
	v_fma_f64 v[6:7], v[106:107], v[6:7], v[120:121]
	scratch_load_b128 v[120:123], off, off offset:224
	ds_load_b128 v[104:107], v1 offset:432
	s_waitcnt vmcnt(10) lgkmcnt(2)
	v_mul_f64 v[128:129], v[116:117], v[78:79]
	v_mul_f64 v[78:79], v[118:119], v[78:79]
	s_waitcnt vmcnt(9) lgkmcnt(0)
	v_mul_f64 v[130:131], v[104:105], v[82:83]
	v_mul_f64 v[82:83], v[106:107], v[82:83]
	v_add_f64 v[2:3], v[2:3], 0
	v_add_f64 v[6:7], v[6:7], 0
	v_fma_f64 v[118:119], v[118:119], v[76:77], v[128:129]
	v_fma_f64 v[116:117], v[116:117], v[76:77], -v[78:79]
	scratch_load_b128 v[76:79], off, off offset:240
	v_fma_f64 v[130:131], v[106:107], v[80:81], v[130:131]
	v_fma_f64 v[132:133], v[104:105], v[80:81], -v[82:83]
	scratch_load_b128 v[104:107], off, off offset:256
	ds_load_b128 v[80:83], v1 offset:464
	s_waitcnt vmcnt(10)
	v_mul_f64 v[128:129], v[124:125], v[86:87]
	v_mul_f64 v[86:87], v[126:127], v[86:87]
	v_add_f64 v[6:7], v[6:7], v[118:119]
	v_add_f64 v[2:3], v[2:3], v[116:117]
	ds_load_b128 v[116:119], v1 offset:480
	s_waitcnt vmcnt(9) lgkmcnt(1)
	v_mul_f64 v[134:135], v[80:81], v[90:91]
	v_mul_f64 v[90:91], v[82:83], v[90:91]
	v_fma_f64 v[126:127], v[126:127], v[84:85], v[128:129]
	v_fma_f64 v[124:125], v[124:125], v[84:85], -v[86:87]
	scratch_load_b128 v[84:87], off, off offset:272
	v_add_f64 v[6:7], v[6:7], v[130:131]
	v_add_f64 v[2:3], v[2:3], v[132:133]
	v_fma_f64 v[130:131], v[82:83], v[88:89], v[134:135]
	v_fma_f64 v[132:133], v[80:81], v[88:89], -v[90:91]
	scratch_load_b128 v[88:91], off, off offset:288
	ds_load_b128 v[80:83], v1 offset:496
	s_waitcnt vmcnt(10) lgkmcnt(1)
	v_mul_f64 v[128:129], v[116:117], v[94:95]
	v_mul_f64 v[94:95], v[118:119], v[94:95]
	s_waitcnt vmcnt(9) lgkmcnt(0)
	v_mul_f64 v[134:135], v[80:81], v[98:99]
	v_mul_f64 v[98:99], v[82:83], v[98:99]
	v_add_f64 v[6:7], v[6:7], v[126:127]
	v_add_f64 v[2:3], v[2:3], v[124:125]
	ds_load_b128 v[124:127], v1 offset:512
	v_fma_f64 v[118:119], v[118:119], v[92:93], v[128:129]
	v_fma_f64 v[116:117], v[116:117], v[92:93], -v[94:95]
	scratch_load_b128 v[92:95], off, off offset:304
	v_add_f64 v[6:7], v[6:7], v[130:131]
	v_add_f64 v[2:3], v[2:3], v[132:133]
	v_fma_f64 v[130:131], v[82:83], v[96:97], v[134:135]
	v_fma_f64 v[132:133], v[80:81], v[96:97], -v[98:99]
	scratch_load_b128 v[96:99], off, off offset:320
	ds_load_b128 v[80:83], v1 offset:528
	s_waitcnt vmcnt(10) lgkmcnt(1)
	v_mul_f64 v[128:129], v[124:125], v[102:103]
	v_mul_f64 v[102:103], v[126:127], v[102:103]
	s_waitcnt vmcnt(9) lgkmcnt(0)
	v_mul_f64 v[134:135], v[80:81], v[110:111]
	v_mul_f64 v[110:111], v[82:83], v[110:111]
	v_add_f64 v[6:7], v[6:7], v[118:119]
	v_add_f64 v[2:3], v[2:3], v[116:117]
	ds_load_b128 v[116:119], v1 offset:544
	v_fma_f64 v[126:127], v[126:127], v[100:101], v[128:129]
	v_fma_f64 v[100:101], v[124:125], v[100:101], -v[102:103]
	v_fma_f64 v[128:129], v[82:83], v[108:109], v[134:135]
	v_fma_f64 v[108:109], v[80:81], v[108:109], -v[110:111]
	v_add_f64 v[6:7], v[6:7], v[130:131]
	v_add_f64 v[2:3], v[2:3], v[132:133]
	s_waitcnt vmcnt(7) lgkmcnt(0)
	v_mul_f64 v[124:125], v[116:117], v[10:11]
	v_mul_f64 v[10:11], v[118:119], v[10:11]
	s_delay_alu instid0(VALU_DEP_4) | instskip(NEXT) | instid1(VALU_DEP_4)
	v_add_f64 v[6:7], v[6:7], v[126:127]
	v_add_f64 v[2:3], v[2:3], v[100:101]
	ds_load_b128 v[80:83], v1 offset:560
	ds_load_b128 v[100:103], v1 offset:576
	v_fma_f64 v[118:119], v[118:119], v[8:9], v[124:125]
	v_fma_f64 v[8:9], v[116:117], v[8:9], -v[10:11]
	s_waitcnt vmcnt(6) lgkmcnt(1)
	v_mul_f64 v[110:111], v[80:81], v[122:123]
	v_mul_f64 v[122:123], v[82:83], v[122:123]
	v_add_f64 v[6:7], v[6:7], v[128:129]
	v_add_f64 v[2:3], v[2:3], v[108:109]
	s_waitcnt vmcnt(5) lgkmcnt(0)
	v_mul_f64 v[10:11], v[100:101], v[78:79]
	v_mul_f64 v[108:109], v[102:103], v[78:79]
	v_fma_f64 v[82:83], v[82:83], v[120:121], v[110:111]
	v_fma_f64 v[110:111], v[80:81], v[120:121], -v[122:123]
	v_add_f64 v[116:117], v[6:7], v[118:119]
	v_add_f64 v[2:3], v[2:3], v[8:9]
	ds_load_b128 v[6:9], v1 offset:592
	ds_load_b128 v[78:81], v1 offset:608
	v_fma_f64 v[10:11], v[102:103], v[76:77], v[10:11]
	v_fma_f64 v[76:77], v[100:101], v[76:77], -v[108:109]
	s_waitcnt vmcnt(4) lgkmcnt(1)
	v_mul_f64 v[118:119], v[6:7], v[106:107]
	v_mul_f64 v[106:107], v[8:9], v[106:107]
	v_add_f64 v[82:83], v[116:117], v[82:83]
	v_add_f64 v[2:3], v[2:3], v[110:111]
	s_waitcnt vmcnt(3) lgkmcnt(0)
	v_mul_f64 v[108:109], v[78:79], v[86:87]
	v_mul_f64 v[86:87], v[80:81], v[86:87]
	v_fma_f64 v[110:111], v[8:9], v[104:105], v[118:119]
	v_fma_f64 v[104:105], v[6:7], v[104:105], -v[106:107]
	ds_load_b128 v[6:9], v1 offset:624
	ds_load_b128 v[100:103], v1 offset:640
	v_add_f64 v[10:11], v[82:83], v[10:11]
	v_add_f64 v[2:3], v[2:3], v[76:77]
	v_fma_f64 v[80:81], v[80:81], v[84:85], v[108:109]
	s_waitcnt vmcnt(2) lgkmcnt(1)
	v_mul_f64 v[76:77], v[6:7], v[90:91]
	v_mul_f64 v[82:83], v[8:9], v[90:91]
	v_fma_f64 v[78:79], v[78:79], v[84:85], -v[86:87]
	s_waitcnt vmcnt(1) lgkmcnt(0)
	v_mul_f64 v[84:85], v[100:101], v[94:95]
	v_mul_f64 v[86:87], v[102:103], v[94:95]
	v_add_f64 v[10:11], v[10:11], v[110:111]
	v_add_f64 v[2:3], v[2:3], v[104:105]
	v_fma_f64 v[76:77], v[8:9], v[88:89], v[76:77]
	v_fma_f64 v[82:83], v[6:7], v[88:89], -v[82:83]
	ds_load_b128 v[6:9], v1 offset:656
	v_fma_f64 v[84:85], v[102:103], v[92:93], v[84:85]
	v_fma_f64 v[86:87], v[100:101], v[92:93], -v[86:87]
	v_add_f64 v[10:11], v[10:11], v[80:81]
	v_add_f64 v[2:3], v[2:3], v[78:79]
	s_waitcnt vmcnt(0) lgkmcnt(0)
	v_mul_f64 v[78:79], v[6:7], v[98:99]
	v_mul_f64 v[80:81], v[8:9], v[98:99]
	s_delay_alu instid0(VALU_DEP_4) | instskip(NEXT) | instid1(VALU_DEP_4)
	v_add_f64 v[10:11], v[10:11], v[76:77]
	v_add_f64 v[2:3], v[2:3], v[82:83]
	s_delay_alu instid0(VALU_DEP_4) | instskip(NEXT) | instid1(VALU_DEP_4)
	v_fma_f64 v[8:9], v[8:9], v[96:97], v[78:79]
	v_fma_f64 v[6:7], v[6:7], v[96:97], -v[80:81]
	s_delay_alu instid0(VALU_DEP_4) | instskip(NEXT) | instid1(VALU_DEP_4)
	v_add_f64 v[10:11], v[10:11], v[84:85]
	v_add_f64 v[2:3], v[2:3], v[86:87]
	s_delay_alu instid0(VALU_DEP_2) | instskip(NEXT) | instid1(VALU_DEP_2)
	v_add_f64 v[8:9], v[10:11], v[8:9]
	v_add_f64 v[2:3], v[2:3], v[6:7]
	s_delay_alu instid0(VALU_DEP_2) | instskip(NEXT) | instid1(VALU_DEP_2)
	v_add_f64 v[8:9], v[114:115], -v[8:9]
	v_add_f64 v[6:7], v[112:113], -v[2:3]
	scratch_store_b128 off, v[6:9], off offset:48
	v_cmpx_lt_u32_e32 2, v55
	s_cbranch_execz .LBB20_135
; %bb.134:
	scratch_load_b128 v[6:9], v62, off
	v_mov_b32_e32 v2, v1
	v_mov_b32_e32 v3, v1
	;; [unrolled: 1-line block ×3, first 2 shown]
	scratch_store_b128 off, v[1:4], off offset:32
	s_waitcnt vmcnt(0)
	ds_store_b128 v5, v[6:9]
.LBB20_135:
	s_or_b32 exec_lo, exec_lo, s2
	s_waitcnt lgkmcnt(0)
	s_waitcnt_vscnt null, 0x0
	s_barrier
	buffer_gl0_inv
	s_clause 0x8
	scratch_load_b128 v[6:9], off, off offset:48
	scratch_load_b128 v[76:79], off, off offset:64
	;; [unrolled: 1-line block ×9, first 2 shown]
	ds_load_b128 v[108:111], v1 offset:384
	ds_load_b128 v[112:115], v1 offset:400
	scratch_load_b128 v[116:119], off, off offset:32
	s_mov_b32 s2, exec_lo
	ds_load_b128 v[124:127], v1 offset:432
	s_waitcnt vmcnt(9) lgkmcnt(2)
	v_mul_f64 v[2:3], v[110:111], v[8:9]
	v_mul_f64 v[120:121], v[108:109], v[8:9]
	scratch_load_b128 v[8:11], off, off offset:192
	s_waitcnt vmcnt(9) lgkmcnt(1)
	v_mul_f64 v[128:129], v[112:113], v[78:79]
	v_mul_f64 v[78:79], v[114:115], v[78:79]
	v_fma_f64 v[2:3], v[108:109], v[6:7], -v[2:3]
	v_fma_f64 v[6:7], v[110:111], v[6:7], v[120:121]
	ds_load_b128 v[108:111], v1 offset:416
	scratch_load_b128 v[120:123], off, off offset:208
	v_fma_f64 v[114:115], v[114:115], v[76:77], v[128:129]
	v_fma_f64 v[112:113], v[112:113], v[76:77], -v[78:79]
	scratch_load_b128 v[76:79], off, off offset:224
	s_waitcnt vmcnt(9) lgkmcnt(1)
	v_mul_f64 v[128:129], v[124:125], v[86:87]
	v_mul_f64 v[86:87], v[126:127], v[86:87]
	s_waitcnt lgkmcnt(0)
	v_mul_f64 v[130:131], v[108:109], v[82:83]
	v_mul_f64 v[82:83], v[110:111], v[82:83]
	v_add_f64 v[2:3], v[2:3], 0
	v_add_f64 v[6:7], v[6:7], 0
	v_fma_f64 v[126:127], v[126:127], v[84:85], v[128:129]
	v_fma_f64 v[124:125], v[124:125], v[84:85], -v[86:87]
	scratch_load_b128 v[84:87], off, off offset:256
	v_fma_f64 v[130:131], v[110:111], v[80:81], v[130:131]
	v_fma_f64 v[132:133], v[108:109], v[80:81], -v[82:83]
	ds_load_b128 v[80:83], v1 offset:448
	scratch_load_b128 v[108:111], off, off offset:240
	v_add_f64 v[2:3], v[2:3], v[112:113]
	v_add_f64 v[6:7], v[6:7], v[114:115]
	ds_load_b128 v[112:115], v1 offset:464
	s_waitcnt vmcnt(10) lgkmcnt(1)
	v_mul_f64 v[134:135], v[80:81], v[90:91]
	v_mul_f64 v[90:91], v[82:83], v[90:91]
	s_waitcnt vmcnt(9) lgkmcnt(0)
	v_mul_f64 v[128:129], v[112:113], v[94:95]
	v_mul_f64 v[94:95], v[114:115], v[94:95]
	v_add_f64 v[2:3], v[2:3], v[132:133]
	v_add_f64 v[6:7], v[6:7], v[130:131]
	v_fma_f64 v[130:131], v[82:83], v[88:89], v[134:135]
	v_fma_f64 v[132:133], v[80:81], v[88:89], -v[90:91]
	ds_load_b128 v[80:83], v1 offset:480
	scratch_load_b128 v[88:91], off, off offset:272
	v_fma_f64 v[114:115], v[114:115], v[92:93], v[128:129]
	v_fma_f64 v[112:113], v[112:113], v[92:93], -v[94:95]
	scratch_load_b128 v[92:95], off, off offset:288
	v_add_f64 v[2:3], v[2:3], v[124:125]
	v_add_f64 v[6:7], v[6:7], v[126:127]
	ds_load_b128 v[124:127], v1 offset:496
	s_waitcnt vmcnt(10) lgkmcnt(1)
	v_mul_f64 v[134:135], v[80:81], v[98:99]
	v_mul_f64 v[98:99], v[82:83], v[98:99]
	s_waitcnt vmcnt(9) lgkmcnt(0)
	v_mul_f64 v[128:129], v[124:125], v[102:103]
	v_mul_f64 v[102:103], v[126:127], v[102:103]
	v_add_f64 v[2:3], v[2:3], v[132:133]
	v_add_f64 v[6:7], v[6:7], v[130:131]
	v_fma_f64 v[130:131], v[82:83], v[96:97], v[134:135]
	v_fma_f64 v[132:133], v[80:81], v[96:97], -v[98:99]
	ds_load_b128 v[80:83], v1 offset:512
	scratch_load_b128 v[96:99], off, off offset:304
	v_fma_f64 v[126:127], v[126:127], v[100:101], v[128:129]
	v_fma_f64 v[124:125], v[124:125], v[100:101], -v[102:103]
	scratch_load_b128 v[100:103], off, off offset:320
	v_add_f64 v[2:3], v[2:3], v[112:113]
	v_add_f64 v[6:7], v[6:7], v[114:115]
	ds_load_b128 v[112:115], v1 offset:528
	s_waitcnt vmcnt(10) lgkmcnt(1)
	v_mul_f64 v[134:135], v[80:81], v[106:107]
	v_mul_f64 v[106:107], v[82:83], v[106:107]
	v_add_f64 v[2:3], v[2:3], v[132:133]
	v_add_f64 v[6:7], v[6:7], v[130:131]
	s_delay_alu instid0(VALU_DEP_4) | instskip(NEXT) | instid1(VALU_DEP_4)
	v_fma_f64 v[130:131], v[82:83], v[104:105], v[134:135]
	v_fma_f64 v[132:133], v[80:81], v[104:105], -v[106:107]
	ds_load_b128 v[80:83], v1 offset:544
	ds_load_b128 v[104:107], v1 offset:560
	s_waitcnt vmcnt(8) lgkmcnt(2)
	v_mul_f64 v[128:129], v[112:113], v[10:11]
	v_mul_f64 v[10:11], v[114:115], v[10:11]
	v_add_f64 v[2:3], v[2:3], v[124:125]
	v_add_f64 v[6:7], v[6:7], v[126:127]
	s_delay_alu instid0(VALU_DEP_4)
	v_fma_f64 v[114:115], v[114:115], v[8:9], v[128:129]
	s_waitcnt vmcnt(7) lgkmcnt(1)
	v_mul_f64 v[124:125], v[80:81], v[122:123]
	v_mul_f64 v[122:123], v[82:83], v[122:123]
	v_fma_f64 v[8:9], v[112:113], v[8:9], -v[10:11]
	s_waitcnt vmcnt(6) lgkmcnt(0)
	v_mul_f64 v[10:11], v[104:105], v[78:79]
	v_mul_f64 v[112:113], v[106:107], v[78:79]
	v_add_f64 v[2:3], v[2:3], v[132:133]
	v_add_f64 v[6:7], v[6:7], v[130:131]
	v_fma_f64 v[82:83], v[82:83], v[120:121], v[124:125]
	v_fma_f64 v[120:121], v[80:81], v[120:121], -v[122:123]
	v_fma_f64 v[10:11], v[106:107], v[76:77], v[10:11]
	v_fma_f64 v[76:77], v[104:105], v[76:77], -v[112:113]
	v_add_f64 v[2:3], v[2:3], v[8:9]
	v_add_f64 v[114:115], v[6:7], v[114:115]
	ds_load_b128 v[6:9], v1 offset:576
	ds_load_b128 v[78:81], v1 offset:592
	s_waitcnt vmcnt(4) lgkmcnt(1)
	v_mul_f64 v[122:123], v[6:7], v[110:111]
	v_mul_f64 v[110:111], v[8:9], v[110:111]
	s_waitcnt lgkmcnt(0)
	v_mul_f64 v[112:113], v[78:79], v[86:87]
	v_mul_f64 v[86:87], v[80:81], v[86:87]
	v_add_f64 v[2:3], v[2:3], v[120:121]
	v_add_f64 v[82:83], v[114:115], v[82:83]
	v_fma_f64 v[114:115], v[8:9], v[108:109], v[122:123]
	v_fma_f64 v[108:109], v[6:7], v[108:109], -v[110:111]
	ds_load_b128 v[6:9], v1 offset:608
	ds_load_b128 v[104:107], v1 offset:624
	v_fma_f64 v[80:81], v[80:81], v[84:85], v[112:113]
	v_fma_f64 v[78:79], v[78:79], v[84:85], -v[86:87]
	v_add_f64 v[2:3], v[2:3], v[76:77]
	v_add_f64 v[10:11], v[82:83], v[10:11]
	s_waitcnt vmcnt(3) lgkmcnt(1)
	v_mul_f64 v[76:77], v[6:7], v[90:91]
	v_mul_f64 v[82:83], v[8:9], v[90:91]
	s_waitcnt vmcnt(2) lgkmcnt(0)
	v_mul_f64 v[84:85], v[104:105], v[94:95]
	v_mul_f64 v[86:87], v[106:107], v[94:95]
	v_add_f64 v[2:3], v[2:3], v[108:109]
	v_add_f64 v[10:11], v[10:11], v[114:115]
	v_fma_f64 v[76:77], v[8:9], v[88:89], v[76:77]
	v_fma_f64 v[82:83], v[6:7], v[88:89], -v[82:83]
	v_fma_f64 v[84:85], v[106:107], v[92:93], v[84:85]
	v_fma_f64 v[86:87], v[104:105], v[92:93], -v[86:87]
	v_add_f64 v[78:79], v[2:3], v[78:79]
	v_add_f64 v[10:11], v[10:11], v[80:81]
	ds_load_b128 v[6:9], v1 offset:640
	ds_load_b128 v[1:4], v1 offset:656
	s_waitcnt vmcnt(1) lgkmcnt(1)
	v_mul_f64 v[80:81], v[6:7], v[98:99]
	v_mul_f64 v[88:89], v[8:9], v[98:99]
	v_add_f64 v[78:79], v[78:79], v[82:83]
	v_add_f64 v[10:11], v[10:11], v[76:77]
	s_waitcnt vmcnt(0) lgkmcnt(0)
	v_mul_f64 v[76:77], v[1:2], v[102:103]
	v_mul_f64 v[82:83], v[3:4], v[102:103]
	v_fma_f64 v[8:9], v[8:9], v[96:97], v[80:81]
	v_fma_f64 v[6:7], v[6:7], v[96:97], -v[88:89]
	v_add_f64 v[78:79], v[78:79], v[86:87]
	v_add_f64 v[10:11], v[10:11], v[84:85]
	v_fma_f64 v[3:4], v[3:4], v[100:101], v[76:77]
	v_fma_f64 v[1:2], v[1:2], v[100:101], -v[82:83]
	s_delay_alu instid0(VALU_DEP_4) | instskip(NEXT) | instid1(VALU_DEP_4)
	v_add_f64 v[6:7], v[78:79], v[6:7]
	v_add_f64 v[8:9], v[10:11], v[8:9]
	s_delay_alu instid0(VALU_DEP_2) | instskip(NEXT) | instid1(VALU_DEP_2)
	v_add_f64 v[1:2], v[6:7], v[1:2]
	v_add_f64 v[3:4], v[8:9], v[3:4]
	s_delay_alu instid0(VALU_DEP_2) | instskip(NEXT) | instid1(VALU_DEP_2)
	v_add_f64 v[1:2], v[116:117], -v[1:2]
	v_add_f64 v[3:4], v[118:119], -v[3:4]
	scratch_store_b128 off, v[1:4], off offset:32
	v_cmpx_lt_u32_e32 1, v55
	s_cbranch_execz .LBB20_137
; %bb.136:
	scratch_load_b128 v[1:4], v64, off
	v_mov_b32_e32 v6, 0
	s_delay_alu instid0(VALU_DEP_1)
	v_mov_b32_e32 v7, v6
	v_mov_b32_e32 v8, v6
	;; [unrolled: 1-line block ×3, first 2 shown]
	scratch_store_b128 off, v[6:9], off offset:16
	s_waitcnt vmcnt(0)
	ds_store_b128 v5, v[1:4]
.LBB20_137:
	s_or_b32 exec_lo, exec_lo, s2
	s_waitcnt lgkmcnt(0)
	s_waitcnt_vscnt null, 0x0
	s_barrier
	buffer_gl0_inv
	s_clause 0x7
	scratch_load_b128 v[6:9], off, off offset:32
	scratch_load_b128 v[76:79], off, off offset:48
	;; [unrolled: 1-line block ×8, first 2 shown]
	v_mov_b32_e32 v1, 0
	s_mov_b32 s2, exec_lo
	ds_load_b128 v[104:107], v1 offset:368
	s_clause 0x1
	scratch_load_b128 v[108:111], off, off offset:160
	scratch_load_b128 v[112:115], off, off offset:16
	ds_load_b128 v[116:119], v1 offset:384
	ds_load_b128 v[124:127], v1 offset:416
	s_waitcnt vmcnt(9) lgkmcnt(2)
	v_mul_f64 v[2:3], v[106:107], v[8:9]
	v_mul_f64 v[120:121], v[104:105], v[8:9]
	scratch_load_b128 v[8:11], off, off offset:176
	v_fma_f64 v[2:3], v[104:105], v[6:7], -v[2:3]
	v_fma_f64 v[6:7], v[106:107], v[6:7], v[120:121]
	scratch_load_b128 v[120:123], off, off offset:192
	ds_load_b128 v[104:107], v1 offset:400
	s_waitcnt vmcnt(10) lgkmcnt(2)
	v_mul_f64 v[128:129], v[116:117], v[78:79]
	v_mul_f64 v[78:79], v[118:119], v[78:79]
	s_waitcnt vmcnt(9) lgkmcnt(0)
	v_mul_f64 v[130:131], v[104:105], v[82:83]
	v_mul_f64 v[82:83], v[106:107], v[82:83]
	v_add_f64 v[2:3], v[2:3], 0
	v_add_f64 v[6:7], v[6:7], 0
	v_fma_f64 v[118:119], v[118:119], v[76:77], v[128:129]
	v_fma_f64 v[116:117], v[116:117], v[76:77], -v[78:79]
	scratch_load_b128 v[76:79], off, off offset:208
	v_fma_f64 v[130:131], v[106:107], v[80:81], v[130:131]
	v_fma_f64 v[132:133], v[104:105], v[80:81], -v[82:83]
	scratch_load_b128 v[104:107], off, off offset:224
	ds_load_b128 v[80:83], v1 offset:432
	s_waitcnt vmcnt(10)
	v_mul_f64 v[128:129], v[124:125], v[86:87]
	v_mul_f64 v[86:87], v[126:127], v[86:87]
	v_add_f64 v[6:7], v[6:7], v[118:119]
	v_add_f64 v[2:3], v[2:3], v[116:117]
	ds_load_b128 v[116:119], v1 offset:448
	s_waitcnt vmcnt(9) lgkmcnt(1)
	v_mul_f64 v[134:135], v[80:81], v[90:91]
	v_mul_f64 v[90:91], v[82:83], v[90:91]
	v_fma_f64 v[126:127], v[126:127], v[84:85], v[128:129]
	v_fma_f64 v[124:125], v[124:125], v[84:85], -v[86:87]
	scratch_load_b128 v[84:87], off, off offset:240
	v_add_f64 v[6:7], v[6:7], v[130:131]
	v_add_f64 v[2:3], v[2:3], v[132:133]
	v_fma_f64 v[130:131], v[82:83], v[88:89], v[134:135]
	v_fma_f64 v[132:133], v[80:81], v[88:89], -v[90:91]
	scratch_load_b128 v[88:91], off, off offset:256
	ds_load_b128 v[80:83], v1 offset:464
	s_waitcnt vmcnt(10) lgkmcnt(1)
	v_mul_f64 v[128:129], v[116:117], v[94:95]
	v_mul_f64 v[94:95], v[118:119], v[94:95]
	s_waitcnt vmcnt(9) lgkmcnt(0)
	v_mul_f64 v[134:135], v[80:81], v[98:99]
	v_mul_f64 v[98:99], v[82:83], v[98:99]
	v_add_f64 v[6:7], v[6:7], v[126:127]
	v_add_f64 v[2:3], v[2:3], v[124:125]
	ds_load_b128 v[124:127], v1 offset:480
	v_fma_f64 v[118:119], v[118:119], v[92:93], v[128:129]
	v_fma_f64 v[116:117], v[116:117], v[92:93], -v[94:95]
	scratch_load_b128 v[92:95], off, off offset:272
	v_add_f64 v[6:7], v[6:7], v[130:131]
	v_add_f64 v[2:3], v[2:3], v[132:133]
	v_fma_f64 v[130:131], v[82:83], v[96:97], v[134:135]
	v_fma_f64 v[132:133], v[80:81], v[96:97], -v[98:99]
	scratch_load_b128 v[96:99], off, off offset:288
	ds_load_b128 v[80:83], v1 offset:496
	s_waitcnt vmcnt(10) lgkmcnt(1)
	v_mul_f64 v[128:129], v[124:125], v[102:103]
	v_mul_f64 v[102:103], v[126:127], v[102:103]
	s_waitcnt vmcnt(9) lgkmcnt(0)
	v_mul_f64 v[134:135], v[80:81], v[110:111]
	v_mul_f64 v[110:111], v[82:83], v[110:111]
	v_add_f64 v[6:7], v[6:7], v[118:119]
	v_add_f64 v[2:3], v[2:3], v[116:117]
	ds_load_b128 v[116:119], v1 offset:512
	v_fma_f64 v[126:127], v[126:127], v[100:101], v[128:129]
	v_fma_f64 v[124:125], v[124:125], v[100:101], -v[102:103]
	scratch_load_b128 v[100:103], off, off offset:304
	v_add_f64 v[6:7], v[6:7], v[130:131]
	v_add_f64 v[2:3], v[2:3], v[132:133]
	v_fma_f64 v[130:131], v[82:83], v[108:109], v[134:135]
	v_fma_f64 v[132:133], v[80:81], v[108:109], -v[110:111]
	scratch_load_b128 v[108:111], off, off offset:320
	ds_load_b128 v[80:83], v1 offset:528
	s_waitcnt vmcnt(9) lgkmcnt(1)
	v_mul_f64 v[128:129], v[116:117], v[10:11]
	v_mul_f64 v[10:11], v[118:119], v[10:11]
	v_add_f64 v[6:7], v[6:7], v[126:127]
	v_add_f64 v[2:3], v[2:3], v[124:125]
	ds_load_b128 v[124:127], v1 offset:544
	s_waitcnt vmcnt(8) lgkmcnt(1)
	v_mul_f64 v[134:135], v[80:81], v[122:123]
	v_mul_f64 v[122:123], v[82:83], v[122:123]
	v_fma_f64 v[118:119], v[118:119], v[8:9], v[128:129]
	v_fma_f64 v[8:9], v[116:117], v[8:9], -v[10:11]
	v_add_f64 v[6:7], v[6:7], v[130:131]
	v_add_f64 v[2:3], v[2:3], v[132:133]
	v_fma_f64 v[82:83], v[82:83], v[120:121], v[134:135]
	v_fma_f64 v[120:121], v[80:81], v[120:121], -v[122:123]
	s_waitcnt vmcnt(7) lgkmcnt(0)
	v_mul_f64 v[10:11], v[124:125], v[78:79]
	v_mul_f64 v[116:117], v[126:127], v[78:79]
	v_add_f64 v[118:119], v[6:7], v[118:119]
	v_add_f64 v[2:3], v[2:3], v[8:9]
	ds_load_b128 v[6:9], v1 offset:560
	ds_load_b128 v[78:81], v1 offset:576
	v_fma_f64 v[10:11], v[126:127], v[76:77], v[10:11]
	v_fma_f64 v[76:77], v[124:125], v[76:77], -v[116:117]
	s_waitcnt vmcnt(6) lgkmcnt(1)
	v_mul_f64 v[122:123], v[6:7], v[106:107]
	v_mul_f64 v[106:107], v[8:9], v[106:107]
	v_add_f64 v[82:83], v[118:119], v[82:83]
	v_add_f64 v[2:3], v[2:3], v[120:121]
	s_waitcnt vmcnt(5) lgkmcnt(0)
	v_mul_f64 v[116:117], v[78:79], v[86:87]
	v_mul_f64 v[86:87], v[80:81], v[86:87]
	v_fma_f64 v[118:119], v[8:9], v[104:105], v[122:123]
	v_fma_f64 v[120:121], v[6:7], v[104:105], -v[106:107]
	ds_load_b128 v[6:9], v1 offset:592
	ds_load_b128 v[104:107], v1 offset:608
	v_add_f64 v[10:11], v[82:83], v[10:11]
	v_add_f64 v[2:3], v[2:3], v[76:77]
	v_fma_f64 v[80:81], v[80:81], v[84:85], v[116:117]
	s_waitcnt vmcnt(4) lgkmcnt(1)
	v_mul_f64 v[76:77], v[6:7], v[90:91]
	v_mul_f64 v[82:83], v[8:9], v[90:91]
	v_fma_f64 v[78:79], v[78:79], v[84:85], -v[86:87]
	s_waitcnt vmcnt(3) lgkmcnt(0)
	v_mul_f64 v[84:85], v[104:105], v[94:95]
	v_mul_f64 v[86:87], v[106:107], v[94:95]
	v_add_f64 v[10:11], v[10:11], v[118:119]
	v_add_f64 v[2:3], v[2:3], v[120:121]
	v_fma_f64 v[90:91], v[8:9], v[88:89], v[76:77]
	v_fma_f64 v[82:83], v[6:7], v[88:89], -v[82:83]
	v_fma_f64 v[84:85], v[106:107], v[92:93], v[84:85]
	v_fma_f64 v[86:87], v[104:105], v[92:93], -v[86:87]
	v_add_f64 v[10:11], v[10:11], v[80:81]
	v_add_f64 v[2:3], v[2:3], v[78:79]
	ds_load_b128 v[6:9], v1 offset:624
	ds_load_b128 v[76:79], v1 offset:640
	s_waitcnt vmcnt(2) lgkmcnt(1)
	v_mul_f64 v[80:81], v[6:7], v[98:99]
	v_mul_f64 v[88:89], v[8:9], v[98:99]
	v_add_f64 v[10:11], v[10:11], v[90:91]
	v_add_f64 v[2:3], v[2:3], v[82:83]
	s_waitcnt vmcnt(1) lgkmcnt(0)
	v_mul_f64 v[82:83], v[76:77], v[102:103]
	v_mul_f64 v[90:91], v[78:79], v[102:103]
	v_fma_f64 v[80:81], v[8:9], v[96:97], v[80:81]
	v_fma_f64 v[88:89], v[6:7], v[96:97], -v[88:89]
	ds_load_b128 v[6:9], v1 offset:656
	v_add_f64 v[10:11], v[10:11], v[84:85]
	v_add_f64 v[2:3], v[2:3], v[86:87]
	v_fma_f64 v[78:79], v[78:79], v[100:101], v[82:83]
	v_fma_f64 v[76:77], v[76:77], v[100:101], -v[90:91]
	s_waitcnt vmcnt(0) lgkmcnt(0)
	v_mul_f64 v[84:85], v[6:7], v[110:111]
	v_mul_f64 v[86:87], v[8:9], v[110:111]
	v_add_f64 v[10:11], v[10:11], v[80:81]
	v_add_f64 v[2:3], v[2:3], v[88:89]
	s_delay_alu instid0(VALU_DEP_4) | instskip(NEXT) | instid1(VALU_DEP_4)
	v_fma_f64 v[8:9], v[8:9], v[108:109], v[84:85]
	v_fma_f64 v[6:7], v[6:7], v[108:109], -v[86:87]
	s_delay_alu instid0(VALU_DEP_4) | instskip(NEXT) | instid1(VALU_DEP_4)
	v_add_f64 v[10:11], v[10:11], v[78:79]
	v_add_f64 v[2:3], v[2:3], v[76:77]
	s_delay_alu instid0(VALU_DEP_2) | instskip(NEXT) | instid1(VALU_DEP_2)
	v_add_f64 v[8:9], v[10:11], v[8:9]
	v_add_f64 v[2:3], v[2:3], v[6:7]
	s_delay_alu instid0(VALU_DEP_2) | instskip(NEXT) | instid1(VALU_DEP_2)
	v_add_f64 v[8:9], v[114:115], -v[8:9]
	v_add_f64 v[6:7], v[112:113], -v[2:3]
	scratch_store_b128 off, v[6:9], off offset:16
	v_cmpx_ne_u32_e32 0, v55
	s_cbranch_execz .LBB20_139
; %bb.138:
	scratch_load_b128 v[6:9], off, off
	v_mov_b32_e32 v2, v1
	v_mov_b32_e32 v3, v1
	;; [unrolled: 1-line block ×3, first 2 shown]
	scratch_store_b128 off, v[1:4], off
	s_waitcnt vmcnt(0)
	ds_store_b128 v5, v[6:9]
.LBB20_139:
	s_or_b32 exec_lo, exec_lo, s2
	s_waitcnt lgkmcnt(0)
	s_waitcnt_vscnt null, 0x0
	s_barrier
	buffer_gl0_inv
	s_clause 0x8
	scratch_load_b128 v[2:5], off, off offset:16
	scratch_load_b128 v[6:9], off, off offset:32
	;; [unrolled: 1-line block ×9, first 2 shown]
	ds_load_b128 v[104:107], v1 offset:352
	ds_load_b128 v[108:111], v1 offset:368
	s_clause 0x1
	scratch_load_b128 v[112:115], off, off
	scratch_load_b128 v[116:119], off, off offset:160
	s_and_b32 vcc_lo, exec_lo, s20
	s_waitcnt vmcnt(10) lgkmcnt(1)
	v_mul_f64 v[10:11], v[106:107], v[4:5]
	v_mul_f64 v[4:5], v[104:105], v[4:5]
	s_waitcnt vmcnt(9) lgkmcnt(0)
	v_mul_f64 v[120:121], v[108:109], v[8:9]
	v_mul_f64 v[122:123], v[110:111], v[8:9]
	s_delay_alu instid0(VALU_DEP_4) | instskip(NEXT) | instid1(VALU_DEP_4)
	v_fma_f64 v[124:125], v[104:105], v[2:3], -v[10:11]
	v_fma_f64 v[126:127], v[106:107], v[2:3], v[4:5]
	ds_load_b128 v[2:5], v1 offset:384
	ds_load_b128 v[104:107], v1 offset:400
	scratch_load_b128 v[8:11], off, off offset:176
	v_fma_f64 v[120:121], v[110:111], v[6:7], v[120:121]
	v_fma_f64 v[6:7], v[108:109], v[6:7], -v[122:123]
	scratch_load_b128 v[108:111], off, off offset:192
	s_waitcnt vmcnt(10) lgkmcnt(1)
	v_mul_f64 v[128:129], v[2:3], v[78:79]
	v_mul_f64 v[78:79], v[4:5], v[78:79]
	v_add_f64 v[122:123], v[124:125], 0
	v_add_f64 v[124:125], v[126:127], 0
	s_waitcnt vmcnt(9) lgkmcnt(0)
	v_mul_f64 v[126:127], v[104:105], v[82:83]
	v_mul_f64 v[82:83], v[106:107], v[82:83]
	v_fma_f64 v[128:129], v[4:5], v[76:77], v[128:129]
	v_fma_f64 v[130:131], v[2:3], v[76:77], -v[78:79]
	ds_load_b128 v[2:5], v1 offset:416
	scratch_load_b128 v[76:79], off, off offset:208
	v_add_f64 v[6:7], v[122:123], v[6:7]
	v_add_f64 v[124:125], v[124:125], v[120:121]
	ds_load_b128 v[120:123], v1 offset:432
	v_fma_f64 v[106:107], v[106:107], v[80:81], v[126:127]
	v_fma_f64 v[104:105], v[104:105], v[80:81], -v[82:83]
	scratch_load_b128 v[80:83], off, off offset:224
	s_waitcnt vmcnt(10) lgkmcnt(1)
	v_mul_f64 v[132:133], v[2:3], v[86:87]
	v_mul_f64 v[86:87], v[4:5], v[86:87]
	s_waitcnt vmcnt(9) lgkmcnt(0)
	v_mul_f64 v[126:127], v[120:121], v[90:91]
	v_mul_f64 v[90:91], v[122:123], v[90:91]
	v_add_f64 v[6:7], v[6:7], v[130:131]
	v_add_f64 v[124:125], v[124:125], v[128:129]
	v_fma_f64 v[128:129], v[4:5], v[84:85], v[132:133]
	v_fma_f64 v[130:131], v[2:3], v[84:85], -v[86:87]
	ds_load_b128 v[2:5], v1 offset:448
	scratch_load_b128 v[84:87], off, off offset:240
	v_fma_f64 v[122:123], v[122:123], v[88:89], v[126:127]
	v_fma_f64 v[120:121], v[120:121], v[88:89], -v[90:91]
	scratch_load_b128 v[88:91], off, off offset:256
	v_add_f64 v[6:7], v[6:7], v[104:105]
	v_add_f64 v[124:125], v[124:125], v[106:107]
	ds_load_b128 v[104:107], v1 offset:464
	s_waitcnt vmcnt(10) lgkmcnt(1)
	v_mul_f64 v[132:133], v[2:3], v[94:95]
	v_mul_f64 v[94:95], v[4:5], v[94:95]
	s_waitcnt vmcnt(9) lgkmcnt(0)
	v_mul_f64 v[126:127], v[104:105], v[98:99]
	v_mul_f64 v[98:99], v[106:107], v[98:99]
	v_add_f64 v[6:7], v[6:7], v[130:131]
	v_add_f64 v[124:125], v[124:125], v[128:129]
	v_fma_f64 v[128:129], v[4:5], v[92:93], v[132:133]
	v_fma_f64 v[130:131], v[2:3], v[92:93], -v[94:95]
	ds_load_b128 v[2:5], v1 offset:480
	scratch_load_b128 v[92:95], off, off offset:272
	v_fma_f64 v[106:107], v[106:107], v[96:97], v[126:127]
	v_fma_f64 v[104:105], v[104:105], v[96:97], -v[98:99]
	scratch_load_b128 v[96:99], off, off offset:288
	v_add_f64 v[6:7], v[6:7], v[120:121]
	v_add_f64 v[124:125], v[124:125], v[122:123]
	ds_load_b128 v[120:123], v1 offset:496
	;; [unrolled: 18-line block ×3, first 2 shown]
	s_waitcnt vmcnt(9) lgkmcnt(1)
	v_mul_f64 v[132:133], v[2:3], v[10:11]
	v_mul_f64 v[10:11], v[4:5], v[10:11]
	s_waitcnt vmcnt(8) lgkmcnt(0)
	v_mul_f64 v[126:127], v[104:105], v[110:111]
	v_mul_f64 v[110:111], v[106:107], v[110:111]
	v_add_f64 v[6:7], v[6:7], v[130:131]
	v_add_f64 v[124:125], v[124:125], v[128:129]
	v_fma_f64 v[128:129], v[4:5], v[8:9], v[132:133]
	v_fma_f64 v[10:11], v[2:3], v[8:9], -v[10:11]
	v_fma_f64 v[106:107], v[106:107], v[108:109], v[126:127]
	v_fma_f64 v[104:105], v[104:105], v[108:109], -v[110:111]
	v_add_f64 v[120:121], v[6:7], v[120:121]
	v_add_f64 v[122:123], v[124:125], v[122:123]
	ds_load_b128 v[2:5], v1 offset:544
	ds_load_b128 v[6:9], v1 offset:560
	s_waitcnt vmcnt(7) lgkmcnt(1)
	v_mul_f64 v[124:125], v[2:3], v[78:79]
	v_mul_f64 v[78:79], v[4:5], v[78:79]
	s_waitcnt vmcnt(6) lgkmcnt(0)
	v_mul_f64 v[110:111], v[6:7], v[82:83]
	v_mul_f64 v[82:83], v[8:9], v[82:83]
	v_add_f64 v[10:11], v[120:121], v[10:11]
	v_add_f64 v[108:109], v[122:123], v[128:129]
	v_fma_f64 v[120:121], v[4:5], v[76:77], v[124:125]
	v_fma_f64 v[122:123], v[2:3], v[76:77], -v[78:79]
	ds_load_b128 v[2:5], v1 offset:576
	ds_load_b128 v[76:79], v1 offset:592
	v_fma_f64 v[8:9], v[8:9], v[80:81], v[110:111]
	v_fma_f64 v[6:7], v[6:7], v[80:81], -v[82:83]
	v_add_f64 v[10:11], v[10:11], v[104:105]
	v_add_f64 v[104:105], v[108:109], v[106:107]
	s_waitcnt vmcnt(5) lgkmcnt(1)
	v_mul_f64 v[106:107], v[2:3], v[86:87]
	v_mul_f64 v[86:87], v[4:5], v[86:87]
	s_waitcnt vmcnt(4) lgkmcnt(0)
	v_mul_f64 v[82:83], v[76:77], v[90:91]
	v_mul_f64 v[90:91], v[78:79], v[90:91]
	v_add_f64 v[10:11], v[10:11], v[122:123]
	v_add_f64 v[80:81], v[104:105], v[120:121]
	v_fma_f64 v[104:105], v[4:5], v[84:85], v[106:107]
	v_fma_f64 v[84:85], v[2:3], v[84:85], -v[86:87]
	v_fma_f64 v[78:79], v[78:79], v[88:89], v[82:83]
	v_fma_f64 v[76:77], v[76:77], v[88:89], -v[90:91]
	v_add_f64 v[10:11], v[10:11], v[6:7]
	v_add_f64 v[80:81], v[80:81], v[8:9]
	ds_load_b128 v[2:5], v1 offset:608
	ds_load_b128 v[6:9], v1 offset:624
	s_waitcnt vmcnt(3) lgkmcnt(1)
	v_mul_f64 v[86:87], v[2:3], v[94:95]
	v_mul_f64 v[94:95], v[4:5], v[94:95]
	s_waitcnt vmcnt(2) lgkmcnt(0)
	v_mul_f64 v[82:83], v[6:7], v[98:99]
	v_add_f64 v[10:11], v[10:11], v[84:85]
	v_add_f64 v[80:81], v[80:81], v[104:105]
	v_mul_f64 v[84:85], v[8:9], v[98:99]
	v_fma_f64 v[86:87], v[4:5], v[92:93], v[86:87]
	v_fma_f64 v[88:89], v[2:3], v[92:93], -v[94:95]
	v_fma_f64 v[8:9], v[8:9], v[96:97], v[82:83]
	v_add_f64 v[10:11], v[10:11], v[76:77]
	v_add_f64 v[80:81], v[80:81], v[78:79]
	ds_load_b128 v[2:5], v1 offset:640
	ds_load_b128 v[76:79], v1 offset:656
	v_fma_f64 v[6:7], v[6:7], v[96:97], -v[84:85]
	s_waitcnt vmcnt(1) lgkmcnt(1)
	v_mul_f64 v[90:91], v[2:3], v[102:103]
	v_mul_f64 v[92:93], v[4:5], v[102:103]
	s_waitcnt vmcnt(0) lgkmcnt(0)
	v_mul_f64 v[82:83], v[76:77], v[118:119]
	v_mul_f64 v[84:85], v[78:79], v[118:119]
	v_add_f64 v[10:11], v[10:11], v[88:89]
	v_add_f64 v[80:81], v[80:81], v[86:87]
	v_fma_f64 v[4:5], v[4:5], v[100:101], v[90:91]
	v_fma_f64 v[1:2], v[2:3], v[100:101], -v[92:93]
	v_fma_f64 v[76:77], v[76:77], v[116:117], -v[84:85]
	v_add_f64 v[6:7], v[10:11], v[6:7]
	v_add_f64 v[8:9], v[80:81], v[8:9]
	v_fma_f64 v[10:11], v[78:79], v[116:117], v[82:83]
	s_delay_alu instid0(VALU_DEP_3) | instskip(NEXT) | instid1(VALU_DEP_3)
	v_add_f64 v[1:2], v[6:7], v[1:2]
	v_add_f64 v[3:4], v[8:9], v[4:5]
	s_delay_alu instid0(VALU_DEP_2) | instskip(NEXT) | instid1(VALU_DEP_2)
	v_add_f64 v[1:2], v[1:2], v[76:77]
	v_add_f64 v[3:4], v[3:4], v[10:11]
	s_delay_alu instid0(VALU_DEP_2) | instskip(NEXT) | instid1(VALU_DEP_2)
	v_add_f64 v[1:2], v[112:113], -v[1:2]
	v_add_f64 v[3:4], v[114:115], -v[3:4]
	scratch_store_b128 off, v[1:4], off
	s_cbranch_vccz .LBB20_181
; %bb.140:
	v_dual_mov_b32 v1, s16 :: v_dual_mov_b32 v2, s17
	s_load_b64 s[0:1], s[0:1], 0x4
	flat_load_b32 v1, v[1:2] offset:76
	v_bfe_u32 v2, v0, 10, 10
	v_bfe_u32 v0, v0, 20, 10
	s_waitcnt lgkmcnt(0)
	s_lshr_b32 s0, s0, 16
	s_delay_alu instid0(VALU_DEP_2) | instskip(SKIP_1) | instid1(SALU_CYCLE_1)
	v_mul_u32_u24_e32 v2, s1, v2
	s_mul_i32 s0, s0, s1
	v_mul_u32_u24_e32 v3, s0, v55
	s_mov_b32 s0, exec_lo
	s_delay_alu instid0(VALU_DEP_1) | instskip(NEXT) | instid1(VALU_DEP_1)
	v_add3_u32 v0, v3, v2, v0
	v_lshl_add_u32 v0, v0, 4, 0x2a8
	s_waitcnt vmcnt(0)
	v_cmpx_ne_u32_e32 20, v1
	s_cbranch_execz .LBB20_142
; %bb.141:
	v_lshl_add_u32 v9, v1, 4, 0
	s_clause 0x1
	scratch_load_b128 v[1:4], v75, off
	scratch_load_b128 v[5:8], v9, off offset:-16
	s_waitcnt vmcnt(1)
	ds_store_2addr_b64 v0, v[1:2], v[3:4] offset1:1
	s_waitcnt vmcnt(0)
	s_clause 0x1
	scratch_store_b128 v75, v[5:8], off
	scratch_store_b128 v9, v[1:4], off offset:-16
.LBB20_142:
	s_or_b32 exec_lo, exec_lo, s0
	v_dual_mov_b32 v1, s16 :: v_dual_mov_b32 v2, s17
	s_mov_b32 s0, exec_lo
	flat_load_b32 v1, v[1:2] offset:72
	s_waitcnt vmcnt(0) lgkmcnt(0)
	v_cmpx_ne_u32_e32 19, v1
	s_cbranch_execz .LBB20_144
; %bb.143:
	v_lshl_add_u32 v9, v1, 4, 0
	s_clause 0x1
	scratch_load_b128 v[1:4], v74, off
	scratch_load_b128 v[5:8], v9, off offset:-16
	s_waitcnt vmcnt(1)
	ds_store_2addr_b64 v0, v[1:2], v[3:4] offset1:1
	s_waitcnt vmcnt(0)
	s_clause 0x1
	scratch_store_b128 v74, v[5:8], off
	scratch_store_b128 v9, v[1:4], off offset:-16
.LBB20_144:
	s_or_b32 exec_lo, exec_lo, s0
	v_dual_mov_b32 v1, s16 :: v_dual_mov_b32 v2, s17
	s_mov_b32 s0, exec_lo
	flat_load_b32 v1, v[1:2] offset:68
	s_waitcnt vmcnt(0) lgkmcnt(0)
	;; [unrolled: 19-line block ×18, first 2 shown]
	v_cmpx_ne_u32_e32 2, v1
	s_cbranch_execz .LBB20_178
; %bb.177:
	v_lshl_add_u32 v9, v1, 4, 0
	s_clause 0x1
	scratch_load_b128 v[1:4], v64, off
	scratch_load_b128 v[5:8], v9, off offset:-16
	s_waitcnt vmcnt(1)
	ds_store_2addr_b64 v0, v[1:2], v[3:4] offset1:1
	s_waitcnt vmcnt(0)
	s_clause 0x1
	scratch_store_b128 v64, v[5:8], off
	scratch_store_b128 v9, v[1:4], off offset:-16
.LBB20_178:
	s_or_b32 exec_lo, exec_lo, s0
	v_dual_mov_b32 v1, s16 :: v_dual_mov_b32 v2, s17
	s_mov_b32 s0, exec_lo
	flat_load_b32 v1, v[1:2]
	s_waitcnt vmcnt(0) lgkmcnt(0)
	v_cmpx_ne_u32_e32 1, v1
	s_cbranch_execz .LBB20_180
; %bb.179:
	v_lshl_add_u32 v9, v1, 4, 0
	scratch_load_b128 v[1:4], off, off
	scratch_load_b128 v[5:8], v9, off offset:-16
	s_waitcnt vmcnt(1)
	ds_store_2addr_b64 v0, v[1:2], v[3:4] offset1:1
	s_waitcnt vmcnt(0)
	scratch_store_b128 off, v[5:8], off
	scratch_store_b128 v9, v[1:4], off offset:-16
.LBB20_180:
	s_or_b32 exec_lo, exec_lo, s0
.LBB20_181:
	scratch_load_b128 v[0:3], off, off
	s_clause 0x13
	scratch_load_b128 v[4:7], v64, off
	scratch_load_b128 v[8:11], v62, off
	;; [unrolled: 1-line block ×20, first 2 shown]
	s_waitcnt vmcnt(20)
	global_store_b128 v[13:14], v[0:3], off
	s_waitcnt vmcnt(19)
	global_store_b128 v[15:16], v[4:7], off
	s_waitcnt vmcnt(18)
	global_store_b128 v[17:18], v[8:11], off
	s_waitcnt vmcnt(17)
	global_store_b128 v[19:20], v[76:79], off
	s_waitcnt vmcnt(16)
	global_store_b128 v[21:22], v[80:83], off
	s_waitcnt vmcnt(15)
	global_store_b128 v[23:24], v[84:87], off
	s_waitcnt vmcnt(14)
	global_store_b128 v[25:26], v[88:91], off
	s_waitcnt vmcnt(13)
	global_store_b128 v[27:28], v[58:61], off
	s_waitcnt vmcnt(12)
	global_store_b128 v[29:30], v[92:95], off
	s_waitcnt vmcnt(11)
	global_store_b128 v[31:32], v[96:99], off
	s_waitcnt vmcnt(10)
	global_store_b128 v[33:34], v[100:103], off
	s_waitcnt vmcnt(9)
	global_store_b128 v[35:36], v[62:65], off
	s_waitcnt vmcnt(8)
	global_store_b128 v[37:38], v[104:107], off
	s_waitcnt vmcnt(7)
	global_store_b128 v[39:40], v[108:111], off
	s_waitcnt vmcnt(6)
	global_store_b128 v[41:42], v[112:115], off
	s_waitcnt vmcnt(5)
	global_store_b128 v[43:44], v[66:69], off
	s_waitcnt vmcnt(4)
	global_store_b128 v[45:46], v[116:119], off
	s_waitcnt vmcnt(3)
	global_store_b128 v[47:48], v[120:123], off
	s_waitcnt vmcnt(2)
	global_store_b128 v[49:50], v[124:127], off
	s_waitcnt vmcnt(1)
	global_store_b128 v[51:52], v[128:131], off
	s_waitcnt vmcnt(0)
	global_store_b128 v[53:54], v[70:73], off
	s_endpgm
	.section	.rodata,"a",@progbits
	.p2align	6, 0x0
	.amdhsa_kernel _ZN9rocsolver6v33100L18getri_kernel_smallILi21E19rocblas_complex_numIdEPS3_EEvT1_iilPiilS6_bb
		.amdhsa_group_segment_fixed_size 1704
		.amdhsa_private_segment_fixed_size 352
		.amdhsa_kernarg_size 60
		.amdhsa_user_sgpr_count 15
		.amdhsa_user_sgpr_dispatch_ptr 1
		.amdhsa_user_sgpr_queue_ptr 0
		.amdhsa_user_sgpr_kernarg_segment_ptr 1
		.amdhsa_user_sgpr_dispatch_id 0
		.amdhsa_user_sgpr_private_segment_size 0
		.amdhsa_wavefront_size32 1
		.amdhsa_uses_dynamic_stack 0
		.amdhsa_enable_private_segment 1
		.amdhsa_system_sgpr_workgroup_id_x 1
		.amdhsa_system_sgpr_workgroup_id_y 0
		.amdhsa_system_sgpr_workgroup_id_z 0
		.amdhsa_system_sgpr_workgroup_info 0
		.amdhsa_system_vgpr_workitem_id 2
		.amdhsa_next_free_vgpr 136
		.amdhsa_next_free_sgpr 22
		.amdhsa_reserve_vcc 1
		.amdhsa_float_round_mode_32 0
		.amdhsa_float_round_mode_16_64 0
		.amdhsa_float_denorm_mode_32 3
		.amdhsa_float_denorm_mode_16_64 3
		.amdhsa_dx10_clamp 1
		.amdhsa_ieee_mode 1
		.amdhsa_fp16_overflow 0
		.amdhsa_workgroup_processor_mode 1
		.amdhsa_memory_ordered 1
		.amdhsa_forward_progress 0
		.amdhsa_shared_vgpr_count 0
		.amdhsa_exception_fp_ieee_invalid_op 0
		.amdhsa_exception_fp_denorm_src 0
		.amdhsa_exception_fp_ieee_div_zero 0
		.amdhsa_exception_fp_ieee_overflow 0
		.amdhsa_exception_fp_ieee_underflow 0
		.amdhsa_exception_fp_ieee_inexact 0
		.amdhsa_exception_int_div_zero 0
	.end_amdhsa_kernel
	.section	.text._ZN9rocsolver6v33100L18getri_kernel_smallILi21E19rocblas_complex_numIdEPS3_EEvT1_iilPiilS6_bb,"axG",@progbits,_ZN9rocsolver6v33100L18getri_kernel_smallILi21E19rocblas_complex_numIdEPS3_EEvT1_iilPiilS6_bb,comdat
.Lfunc_end20:
	.size	_ZN9rocsolver6v33100L18getri_kernel_smallILi21E19rocblas_complex_numIdEPS3_EEvT1_iilPiilS6_bb, .Lfunc_end20-_ZN9rocsolver6v33100L18getri_kernel_smallILi21E19rocblas_complex_numIdEPS3_EEvT1_iilPiilS6_bb
                                        ; -- End function
	.section	.AMDGPU.csdata,"",@progbits
; Kernel info:
; codeLenInByte = 27604
; NumSgprs: 24
; NumVgprs: 136
; ScratchSize: 352
; MemoryBound: 0
; FloatMode: 240
; IeeeMode: 1
; LDSByteSize: 1704 bytes/workgroup (compile time only)
; SGPRBlocks: 2
; VGPRBlocks: 16
; NumSGPRsForWavesPerEU: 24
; NumVGPRsForWavesPerEU: 136
; Occupancy: 10
; WaveLimiterHint : 1
; COMPUTE_PGM_RSRC2:SCRATCH_EN: 1
; COMPUTE_PGM_RSRC2:USER_SGPR: 15
; COMPUTE_PGM_RSRC2:TRAP_HANDLER: 0
; COMPUTE_PGM_RSRC2:TGID_X_EN: 1
; COMPUTE_PGM_RSRC2:TGID_Y_EN: 0
; COMPUTE_PGM_RSRC2:TGID_Z_EN: 0
; COMPUTE_PGM_RSRC2:TIDIG_COMP_CNT: 2
	.section	.text._ZN9rocsolver6v33100L18getri_kernel_smallILi22E19rocblas_complex_numIdEPS3_EEvT1_iilPiilS6_bb,"axG",@progbits,_ZN9rocsolver6v33100L18getri_kernel_smallILi22E19rocblas_complex_numIdEPS3_EEvT1_iilPiilS6_bb,comdat
	.globl	_ZN9rocsolver6v33100L18getri_kernel_smallILi22E19rocblas_complex_numIdEPS3_EEvT1_iilPiilS6_bb ; -- Begin function _ZN9rocsolver6v33100L18getri_kernel_smallILi22E19rocblas_complex_numIdEPS3_EEvT1_iilPiilS6_bb
	.p2align	8
	.type	_ZN9rocsolver6v33100L18getri_kernel_smallILi22E19rocblas_complex_numIdEPS3_EEvT1_iilPiilS6_bb,@function
_ZN9rocsolver6v33100L18getri_kernel_smallILi22E19rocblas_complex_numIdEPS3_EEvT1_iilPiilS6_bb: ; @_ZN9rocsolver6v33100L18getri_kernel_smallILi22E19rocblas_complex_numIdEPS3_EEvT1_iilPiilS6_bb
; %bb.0:
	v_and_b32_e32 v57, 0x3ff, v0
	s_mov_b32 s4, exec_lo
	s_delay_alu instid0(VALU_DEP_1)
	v_cmpx_gt_u32_e32 22, v57
	s_cbranch_execz .LBB21_102
; %bb.1:
	s_mov_b32 s18, s15
	s_clause 0x2
	s_load_b32 s21, s[2:3], 0x38
	s_load_b128 s[12:15], s[2:3], 0x10
	s_load_b128 s[4:7], s[2:3], 0x28
                                        ; implicit-def: $sgpr16_sgpr17
	s_waitcnt lgkmcnt(0)
	s_bitcmp1_b32 s21, 8
	s_cselect_b32 s20, -1, 0
	s_bfe_u32 s8, s21, 0x10008
	s_ashr_i32 s19, s18, 31
	s_cmp_eq_u32 s8, 0
	s_cbranch_scc1 .LBB21_3
; %bb.2:
	s_load_b32 s8, s[2:3], 0x20
	s_mul_i32 s5, s18, s5
	s_mul_hi_u32 s9, s18, s4
	s_mul_i32 s10, s19, s4
	s_add_i32 s5, s9, s5
	s_mul_i32 s4, s18, s4
	s_add_i32 s5, s5, s10
	s_delay_alu instid0(SALU_CYCLE_1)
	s_lshl_b64 s[4:5], s[4:5], 2
	s_waitcnt lgkmcnt(0)
	s_ashr_i32 s9, s8, 31
	s_add_u32 s10, s14, s4
	s_addc_u32 s11, s15, s5
	s_lshl_b64 s[4:5], s[8:9], 2
	s_delay_alu instid0(SALU_CYCLE_1)
	s_add_u32 s16, s10, s4
	s_addc_u32 s17, s11, s5
.LBB21_3:
	s_load_b128 s[8:11], s[2:3], 0x0
	s_mul_i32 s3, s18, s13
	s_mul_hi_u32 s4, s18, s12
	s_mul_i32 s5, s19, s12
	s_add_i32 s3, s4, s3
	s_mul_i32 s2, s18, s12
	s_add_i32 s3, s3, s5
	v_lshlrev_b32_e32 v79, 4, v57
	s_lshl_b64 s[2:3], s[2:3], 4
	s_waitcnt lgkmcnt(0)
	v_add3_u32 v5, s11, s11, v57
	s_ashr_i32 s5, s10, 31
	s_mov_b32 s4, s10
	s_add_u32 s8, s8, s2
	s_addc_u32 s9, s9, s3
	v_add_nc_u32_e32 v7, s11, v5
	s_lshl_b64 s[2:3], s[4:5], 4
	v_ashrrev_i32_e32 v6, 31, v5
	s_add_u32 s2, s8, s2
	s_addc_u32 s3, s9, s3
	v_add_nc_u32_e32 v9, s11, v7
	v_add_co_u32 v13, s8, s2, v79
	v_ashrrev_i32_e32 v8, 31, v7
	s_mov_b32 s4, s11
	s_delay_alu instid0(VALU_DEP_3) | instskip(SKIP_3) | instid1(VALU_DEP_3)
	v_add_nc_u32_e32 v21, s11, v9
	s_ashr_i32 s5, s11, 31
	v_add_co_ci_u32_e64 v14, null, s3, 0, s8
	v_lshlrev_b64 v[5:6], 4, v[5:6]
	v_add_nc_u32_e32 v23, s11, v21
	s_lshl_b64 s[4:5], s[4:5], 4
	v_ashrrev_i32_e32 v10, 31, v9
	v_add_co_u32 v15, vcc_lo, v13, s4
	s_delay_alu instid0(VALU_DEP_3) | instskip(SKIP_3) | instid1(VALU_DEP_4)
	v_add_nc_u32_e32 v25, s11, v23
	v_lshlrev_b64 v[19:20], 4, v[7:8]
	v_ashrrev_i32_e32 v22, 31, v21
	v_add_co_ci_u32_e32 v16, vcc_lo, s5, v14, vcc_lo
	v_add_nc_u32_e32 v27, s11, v25
	v_add_co_u32 v17, vcc_lo, s2, v5
	v_lshlrev_b64 v[30:31], 4, v[9:10]
	v_add_co_ci_u32_e32 v18, vcc_lo, s3, v6, vcc_lo
	s_delay_alu instid0(VALU_DEP_4) | instskip(SKIP_3) | instid1(VALU_DEP_4)
	v_add_nc_u32_e32 v29, s11, v27
	v_add_co_u32 v19, vcc_lo, s2, v19
	v_lshlrev_b64 v[33:34], 4, v[21:22]
	v_ashrrev_i32_e32 v24, 31, v23
	v_add_nc_u32_e32 v32, s11, v29
	v_add_co_ci_u32_e32 v20, vcc_lo, s3, v20, vcc_lo
	v_add_co_u32 v21, vcc_lo, s2, v30
	s_delay_alu instid0(VALU_DEP_3) | instskip(SKIP_3) | instid1(VALU_DEP_4)
	v_add_nc_u32_e32 v35, s11, v32
	v_ashrrev_i32_e32 v26, 31, v25
	v_add_co_ci_u32_e32 v22, vcc_lo, s3, v31, vcc_lo
	v_lshlrev_b64 v[30:31], 4, v[23:24]
	v_add_nc_u32_e32 v37, s11, v35
	v_add_co_u32 v23, vcc_lo, s2, v33
	v_add_co_ci_u32_e32 v24, vcc_lo, s3, v34, vcc_lo
	s_delay_alu instid0(VALU_DEP_3) | instskip(SKIP_3) | instid1(VALU_DEP_4)
	v_add_nc_u32_e32 v39, s11, v37
	v_lshlrev_b64 v[33:34], 4, v[25:26]
	v_ashrrev_i32_e32 v28, 31, v27
	v_add_co_u32 v25, vcc_lo, s2, v30
	v_add_nc_u32_e32 v41, s11, v39
	v_ashrrev_i32_e32 v30, 31, v29
	v_add_co_ci_u32_e32 v26, vcc_lo, s3, v31, vcc_lo
	v_lshlrev_b64 v[44:45], 4, v[27:28]
	s_delay_alu instid0(VALU_DEP_4) | instskip(SKIP_3) | instid1(VALU_DEP_4)
	v_add_nc_u32_e32 v43, s11, v41
	v_add_co_u32 v27, vcc_lo, s2, v33
	v_ashrrev_i32_e32 v33, 31, v32
	v_lshlrev_b64 v[47:48], 4, v[29:30]
	v_add_nc_u32_e32 v46, s11, v43
	v_ashrrev_i32_e32 v36, 31, v35
	v_add_co_ci_u32_e32 v28, vcc_lo, s3, v34, vcc_lo
	v_add_co_u32 v29, vcc_lo, s2, v44
	s_delay_alu instid0(VALU_DEP_4) | instskip(SKIP_3) | instid1(VALU_DEP_4)
	v_add_nc_u32_e32 v49, s11, v46
	v_lshlrev_b64 v[33:34], 4, v[32:33]
	v_ashrrev_i32_e32 v38, 31, v37
	v_add_co_ci_u32_e32 v30, vcc_lo, s3, v45, vcc_lo
	v_add_nc_u32_e32 v51, s11, v49
	v_add_co_u32 v31, vcc_lo, s2, v47
	v_lshlrev_b64 v[35:36], 4, v[35:36]
	v_ashrrev_i32_e32 v40, 31, v39
	s_delay_alu instid0(VALU_DEP_4) | instskip(SKIP_2) | instid1(VALU_DEP_3)
	v_add_nc_u32_e32 v53, s11, v51
	v_add_co_ci_u32_e32 v32, vcc_lo, s3, v48, vcc_lo
	v_add_co_u32 v33, vcc_lo, s2, v33
	v_add_nc_u32_e32 v55, s11, v53
	v_lshlrev_b64 v[37:38], 4, v[37:38]
	v_ashrrev_i32_e32 v42, 31, v41
	v_add_co_ci_u32_e32 v34, vcc_lo, s3, v34, vcc_lo
	s_delay_alu instid0(VALU_DEP_4) | instskip(SKIP_3) | instid1(VALU_DEP_4)
	v_add_nc_u32_e32 v44, s11, v55
	v_add_co_u32 v35, vcc_lo, s2, v35
	v_lshlrev_b64 v[39:40], 4, v[39:40]
	v_add_co_ci_u32_e32 v36, vcc_lo, s3, v36, vcc_lo
	v_ashrrev_i32_e32 v45, 31, v44
	v_add_co_u32 v37, vcc_lo, s2, v37
	v_lshlrev_b64 v[41:42], 4, v[41:42]
	v_ashrrev_i32_e32 v47, 31, v46
	s_delay_alu instid0(VALU_DEP_4) | instskip(SKIP_3) | instid1(VALU_DEP_3)
	v_lshlrev_b64 v[128:129], 4, v[44:45]
	v_ashrrev_i32_e32 v44, 31, v43
	v_add_co_ci_u32_e32 v38, vcc_lo, s3, v38, vcc_lo
	v_add_co_u32 v39, vcc_lo, s2, v39
	v_lshlrev_b64 v[43:44], 4, v[43:44]
	v_ashrrev_i32_e32 v50, 31, v49
	v_add_co_ci_u32_e32 v40, vcc_lo, s3, v40, vcc_lo
	v_add_co_u32 v41, vcc_lo, s2, v41
	;; [unrolled: 4-line block ×3, first 2 shown]
	v_lshlrev_b64 v[47:48], 4, v[49:50]
	v_ashrrev_i32_e32 v54, 31, v53
	v_add_co_ci_u32_e32 v44, vcc_lo, s3, v44, vcc_lo
	s_clause 0x8
	global_load_b128 v[1:4], v79, s[2:3]
	global_load_b128 v[5:8], v[15:16], off
	global_load_b128 v[9:12], v[17:18], off
	;; [unrolled: 1-line block ×8, first 2 shown]
	v_add_co_u32 v45, vcc_lo, s2, v45
	v_lshlrev_b64 v[49:50], 4, v[51:52]
	s_clause 0x1
	global_load_b128 v[84:87], v[31:32], off
	global_load_b128 v[88:91], v[33:34], off
	v_ashrrev_i32_e32 v56, 31, v55
	v_add_co_ci_u32_e32 v46, vcc_lo, s3, v46, vcc_lo
	v_add_co_u32 v47, vcc_lo, s2, v47
	v_lshlrev_b64 v[51:52], 4, v[53:54]
	v_add_co_ci_u32_e32 v48, vcc_lo, s3, v48, vcc_lo
	v_add_co_u32 v49, vcc_lo, s2, v49
	v_lshlrev_b64 v[53:54], 4, v[55:56]
	v_add_co_ci_u32_e32 v50, vcc_lo, s3, v50, vcc_lo
	v_add_co_u32 v51, vcc_lo, s2, v51
	v_add_co_ci_u32_e32 v52, vcc_lo, s3, v52, vcc_lo
	s_delay_alu instid0(VALU_DEP_4)
	v_add_co_u32 v53, vcc_lo, s2, v53
	v_add_co_ci_u32_e32 v54, vcc_lo, s3, v54, vcc_lo
	v_add_co_u32 v55, vcc_lo, s2, v128
	v_add_co_ci_u32_e32 v56, vcc_lo, s3, v129, vcc_lo
	s_clause 0xa
	global_load_b128 v[92:95], v[35:36], off
	global_load_b128 v[96:99], v[37:38], off
	global_load_b128 v[100:103], v[39:40], off
	global_load_b128 v[104:107], v[41:42], off
	global_load_b128 v[108:111], v[43:44], off
	global_load_b128 v[112:115], v[45:46], off
	global_load_b128 v[116:119], v[47:48], off
	global_load_b128 v[120:123], v[49:50], off
	global_load_b128 v[124:127], v[51:52], off
	global_load_b128 v[128:131], v[53:54], off
	global_load_b128 v[132:135], v[55:56], off
	s_movk_i32 s2, 0x50
	s_movk_i32 s3, 0x60
	s_bitcmp0_b32 s21, 0
	s_waitcnt vmcnt(21)
	scratch_store_b128 off, v[1:4], off
	s_waitcnt vmcnt(20)
	scratch_store_b128 off, v[5:8], off offset:16
	s_waitcnt vmcnt(19)
	scratch_store_b128 off, v[9:12], off offset:32
	;; [unrolled: 2-line block ×9, first 2 shown]
	v_add_nc_u32_e64 v63, s2, 0
	s_movk_i32 s2, 0x70
	v_add_nc_u32_e64 v58, s3, 0
	s_movk_i32 s3, 0x80
	;; [unrolled: 2-line block ×9, first 2 shown]
	v_add_nc_u32_e64 v72, s3, 0
	v_add_nc_u32_e64 v71, s2, 0
	s_movk_i32 s2, 0x100
	s_movk_i32 s3, 0x110
	v_add_nc_u32_e64 v74, s2, 0
	v_add_nc_u32_e64 v73, s3, 0
	s_movk_i32 s2, 0x120
	s_movk_i32 s3, 0x130
	;; [unrolled: 4-line block ×3, first 2 shown]
	v_add_nc_u32_e64 v65, 0, 16
	v_add_nc_u32_e64 v60, 0, 32
	;; [unrolled: 1-line block ×6, first 2 shown]
	s_mov_b32 s3, -1
	s_waitcnt vmcnt(11)
	scratch_store_b128 off, v[88:91], off offset:160
	s_waitcnt vmcnt(10)
	scratch_store_b128 off, v[92:95], off offset:176
	;; [unrolled: 2-line block ×12, first 2 shown]
	s_cbranch_scc1 .LBB21_100
; %bb.4:
	v_cmp_eq_u32_e64 s2, 0, v57
	s_delay_alu instid0(VALU_DEP_1)
	s_and_saveexec_b32 s3, s2
	s_cbranch_execz .LBB21_6
; %bb.5:
	v_mov_b32_e32 v1, 0
	ds_store_b32 v1, v1 offset:704
.LBB21_6:
	s_or_b32 exec_lo, exec_lo, s3
	s_waitcnt lgkmcnt(0)
	s_waitcnt_vscnt null, 0x0
	s_barrier
	buffer_gl0_inv
	scratch_load_b128 v[1:4], v79, off
	s_waitcnt vmcnt(0)
	v_cmp_eq_f64_e32 vcc_lo, 0, v[1:2]
	v_cmp_eq_f64_e64 s3, 0, v[3:4]
	s_delay_alu instid0(VALU_DEP_1) | instskip(NEXT) | instid1(SALU_CYCLE_1)
	s_and_b32 s3, vcc_lo, s3
	s_and_saveexec_b32 s4, s3
	s_cbranch_execz .LBB21_10
; %bb.7:
	v_mov_b32_e32 v1, 0
	s_mov_b32 s5, 0
	ds_load_b32 v2, v1 offset:704
	s_waitcnt lgkmcnt(0)
	v_readfirstlane_b32 s3, v2
	v_add_nc_u32_e32 v2, 1, v57
	s_delay_alu instid0(VALU_DEP_2) | instskip(NEXT) | instid1(VALU_DEP_1)
	s_cmp_eq_u32 s3, 0
	v_cmp_gt_i32_e32 vcc_lo, s3, v2
	s_cselect_b32 s8, -1, 0
	s_delay_alu instid0(SALU_CYCLE_1) | instskip(NEXT) | instid1(SALU_CYCLE_1)
	s_or_b32 s8, s8, vcc_lo
	s_and_b32 exec_lo, exec_lo, s8
	s_cbranch_execz .LBB21_10
; %bb.8:
	v_mov_b32_e32 v3, s3
.LBB21_9:                               ; =>This Inner Loop Header: Depth=1
	ds_cmpstore_rtn_b32 v3, v1, v2, v3 offset:704
	s_waitcnt lgkmcnt(0)
	v_cmp_ne_u32_e32 vcc_lo, 0, v3
	v_cmp_le_i32_e64 s3, v3, v2
	s_delay_alu instid0(VALU_DEP_1) | instskip(NEXT) | instid1(SALU_CYCLE_1)
	s_and_b32 s3, vcc_lo, s3
	s_and_b32 s3, exec_lo, s3
	s_delay_alu instid0(SALU_CYCLE_1) | instskip(NEXT) | instid1(SALU_CYCLE_1)
	s_or_b32 s5, s3, s5
	s_and_not1_b32 exec_lo, exec_lo, s5
	s_cbranch_execnz .LBB21_9
.LBB21_10:
	s_or_b32 exec_lo, exec_lo, s4
	v_mov_b32_e32 v1, 0
	s_barrier
	buffer_gl0_inv
	ds_load_b32 v2, v1 offset:704
	s_and_saveexec_b32 s3, s2
	s_cbranch_execz .LBB21_12
; %bb.11:
	s_lshl_b64 s[4:5], s[18:19], 2
	s_delay_alu instid0(SALU_CYCLE_1)
	s_add_u32 s4, s6, s4
	s_addc_u32 s5, s7, s5
	s_waitcnt lgkmcnt(0)
	global_store_b32 v1, v2, s[4:5]
.LBB21_12:
	s_or_b32 exec_lo, exec_lo, s3
	s_waitcnt lgkmcnt(0)
	v_cmp_ne_u32_e32 vcc_lo, 0, v2
	s_mov_b32 s3, 0
	s_cbranch_vccnz .LBB21_100
; %bb.13:
	v_add_nc_u32_e32 v80, 0, v79
                                        ; implicit-def: $vgpr9_vgpr10
	scratch_load_b128 v[1:4], v80, off
	s_waitcnt vmcnt(0)
	v_mov_b32_e32 v5, v1
	v_cmp_gt_f64_e32 vcc_lo, 0, v[1:2]
	v_xor_b32_e32 v6, 0x80000000, v2
	v_xor_b32_e32 v7, 0x80000000, v4
	s_delay_alu instid0(VALU_DEP_2) | instskip(SKIP_1) | instid1(VALU_DEP_3)
	v_cndmask_b32_e32 v6, v2, v6, vcc_lo
	v_cmp_gt_f64_e32 vcc_lo, 0, v[3:4]
	v_dual_cndmask_b32 v8, v4, v7 :: v_dual_mov_b32 v7, v3
	s_delay_alu instid0(VALU_DEP_1) | instskip(SKIP_1) | instid1(SALU_CYCLE_1)
	v_cmp_ngt_f64_e32 vcc_lo, v[5:6], v[7:8]
                                        ; implicit-def: $vgpr5_vgpr6
	s_and_saveexec_b32 s3, vcc_lo
	s_xor_b32 s3, exec_lo, s3
	s_cbranch_execz .LBB21_15
; %bb.14:
	v_div_scale_f64 v[5:6], null, v[3:4], v[3:4], v[1:2]
	v_div_scale_f64 v[11:12], vcc_lo, v[1:2], v[3:4], v[1:2]
	s_delay_alu instid0(VALU_DEP_2) | instskip(SKIP_2) | instid1(VALU_DEP_1)
	v_rcp_f64_e32 v[7:8], v[5:6]
	s_waitcnt_depctr 0xfff
	v_fma_f64 v[9:10], -v[5:6], v[7:8], 1.0
	v_fma_f64 v[7:8], v[7:8], v[9:10], v[7:8]
	s_delay_alu instid0(VALU_DEP_1) | instskip(NEXT) | instid1(VALU_DEP_1)
	v_fma_f64 v[9:10], -v[5:6], v[7:8], 1.0
	v_fma_f64 v[7:8], v[7:8], v[9:10], v[7:8]
	s_delay_alu instid0(VALU_DEP_1) | instskip(NEXT) | instid1(VALU_DEP_1)
	v_mul_f64 v[9:10], v[11:12], v[7:8]
	v_fma_f64 v[5:6], -v[5:6], v[9:10], v[11:12]
	s_delay_alu instid0(VALU_DEP_1) | instskip(NEXT) | instid1(VALU_DEP_1)
	v_div_fmas_f64 v[5:6], v[5:6], v[7:8], v[9:10]
	v_div_fixup_f64 v[5:6], v[5:6], v[3:4], v[1:2]
	s_delay_alu instid0(VALU_DEP_1) | instskip(NEXT) | instid1(VALU_DEP_1)
	v_fma_f64 v[1:2], v[1:2], v[5:6], v[3:4]
	v_div_scale_f64 v[3:4], null, v[1:2], v[1:2], 1.0
	v_div_scale_f64 v[11:12], vcc_lo, 1.0, v[1:2], 1.0
	s_delay_alu instid0(VALU_DEP_2) | instskip(SKIP_2) | instid1(VALU_DEP_1)
	v_rcp_f64_e32 v[7:8], v[3:4]
	s_waitcnt_depctr 0xfff
	v_fma_f64 v[9:10], -v[3:4], v[7:8], 1.0
	v_fma_f64 v[7:8], v[7:8], v[9:10], v[7:8]
	s_delay_alu instid0(VALU_DEP_1) | instskip(NEXT) | instid1(VALU_DEP_1)
	v_fma_f64 v[9:10], -v[3:4], v[7:8], 1.0
	v_fma_f64 v[7:8], v[7:8], v[9:10], v[7:8]
	s_delay_alu instid0(VALU_DEP_1) | instskip(NEXT) | instid1(VALU_DEP_1)
	v_mul_f64 v[9:10], v[11:12], v[7:8]
	v_fma_f64 v[3:4], -v[3:4], v[9:10], v[11:12]
	s_delay_alu instid0(VALU_DEP_1) | instskip(NEXT) | instid1(VALU_DEP_1)
	v_div_fmas_f64 v[3:4], v[3:4], v[7:8], v[9:10]
	v_div_fixup_f64 v[7:8], v[3:4], v[1:2], 1.0
                                        ; implicit-def: $vgpr1_vgpr2
	s_delay_alu instid0(VALU_DEP_1) | instskip(SKIP_1) | instid1(VALU_DEP_2)
	v_mul_f64 v[5:6], v[5:6], v[7:8]
	v_xor_b32_e32 v8, 0x80000000, v8
	v_xor_b32_e32 v10, 0x80000000, v6
	s_delay_alu instid0(VALU_DEP_3)
	v_mov_b32_e32 v9, v5
.LBB21_15:
	s_and_not1_saveexec_b32 s3, s3
	s_cbranch_execz .LBB21_17
; %bb.16:
	v_div_scale_f64 v[5:6], null, v[1:2], v[1:2], v[3:4]
	v_div_scale_f64 v[11:12], vcc_lo, v[3:4], v[1:2], v[3:4]
	s_delay_alu instid0(VALU_DEP_2) | instskip(SKIP_2) | instid1(VALU_DEP_1)
	v_rcp_f64_e32 v[7:8], v[5:6]
	s_waitcnt_depctr 0xfff
	v_fma_f64 v[9:10], -v[5:6], v[7:8], 1.0
	v_fma_f64 v[7:8], v[7:8], v[9:10], v[7:8]
	s_delay_alu instid0(VALU_DEP_1) | instskip(NEXT) | instid1(VALU_DEP_1)
	v_fma_f64 v[9:10], -v[5:6], v[7:8], 1.0
	v_fma_f64 v[7:8], v[7:8], v[9:10], v[7:8]
	s_delay_alu instid0(VALU_DEP_1) | instskip(NEXT) | instid1(VALU_DEP_1)
	v_mul_f64 v[9:10], v[11:12], v[7:8]
	v_fma_f64 v[5:6], -v[5:6], v[9:10], v[11:12]
	s_delay_alu instid0(VALU_DEP_1) | instskip(NEXT) | instid1(VALU_DEP_1)
	v_div_fmas_f64 v[5:6], v[5:6], v[7:8], v[9:10]
	v_div_fixup_f64 v[7:8], v[5:6], v[1:2], v[3:4]
	s_delay_alu instid0(VALU_DEP_1) | instskip(NEXT) | instid1(VALU_DEP_1)
	v_fma_f64 v[1:2], v[3:4], v[7:8], v[1:2]
	v_div_scale_f64 v[3:4], null, v[1:2], v[1:2], 1.0
	s_delay_alu instid0(VALU_DEP_1) | instskip(SKIP_2) | instid1(VALU_DEP_1)
	v_rcp_f64_e32 v[5:6], v[3:4]
	s_waitcnt_depctr 0xfff
	v_fma_f64 v[9:10], -v[3:4], v[5:6], 1.0
	v_fma_f64 v[5:6], v[5:6], v[9:10], v[5:6]
	s_delay_alu instid0(VALU_DEP_1) | instskip(NEXT) | instid1(VALU_DEP_1)
	v_fma_f64 v[9:10], -v[3:4], v[5:6], 1.0
	v_fma_f64 v[5:6], v[5:6], v[9:10], v[5:6]
	v_div_scale_f64 v[9:10], vcc_lo, 1.0, v[1:2], 1.0
	s_delay_alu instid0(VALU_DEP_1) | instskip(NEXT) | instid1(VALU_DEP_1)
	v_mul_f64 v[11:12], v[9:10], v[5:6]
	v_fma_f64 v[3:4], -v[3:4], v[11:12], v[9:10]
	s_delay_alu instid0(VALU_DEP_1) | instskip(NEXT) | instid1(VALU_DEP_1)
	v_div_fmas_f64 v[3:4], v[3:4], v[5:6], v[11:12]
	v_div_fixup_f64 v[5:6], v[3:4], v[1:2], 1.0
	s_delay_alu instid0(VALU_DEP_1)
	v_mul_f64 v[7:8], v[7:8], -v[5:6]
	v_xor_b32_e32 v10, 0x80000000, v6
	v_mov_b32_e32 v9, v5
.LBB21_17:
	s_or_b32 exec_lo, exec_lo, s3
	scratch_store_b128 v80, v[5:8], off
	scratch_load_b128 v[1:4], v65, off
	v_xor_b32_e32 v12, 0x80000000, v8
	v_mov_b32_e32 v11, v7
	v_add_nc_u32_e32 v5, 0x160, v79
	ds_store_b128 v79, v[9:12]
	s_waitcnt vmcnt(0)
	ds_store_b128 v79, v[1:4] offset:352
	s_waitcnt lgkmcnt(0)
	s_waitcnt_vscnt null, 0x0
	s_barrier
	buffer_gl0_inv
	s_and_saveexec_b32 s3, s2
	s_cbranch_execz .LBB21_19
; %bb.18:
	scratch_load_b128 v[1:4], v80, off
	ds_load_b128 v[6:9], v5
	v_mov_b32_e32 v10, 0
	ds_load_b128 v[81:84], v10 offset:16
	s_waitcnt vmcnt(0) lgkmcnt(1)
	v_mul_f64 v[10:11], v[6:7], v[3:4]
	v_mul_f64 v[3:4], v[8:9], v[3:4]
	s_delay_alu instid0(VALU_DEP_2) | instskip(NEXT) | instid1(VALU_DEP_2)
	v_fma_f64 v[8:9], v[8:9], v[1:2], v[10:11]
	v_fma_f64 v[1:2], v[6:7], v[1:2], -v[3:4]
	s_delay_alu instid0(VALU_DEP_2) | instskip(NEXT) | instid1(VALU_DEP_2)
	v_add_f64 v[3:4], v[8:9], 0
	v_add_f64 v[1:2], v[1:2], 0
	s_waitcnt lgkmcnt(0)
	s_delay_alu instid0(VALU_DEP_2) | instskip(NEXT) | instid1(VALU_DEP_2)
	v_mul_f64 v[6:7], v[3:4], v[83:84]
	v_mul_f64 v[8:9], v[1:2], v[83:84]
	s_delay_alu instid0(VALU_DEP_2) | instskip(NEXT) | instid1(VALU_DEP_2)
	v_fma_f64 v[1:2], v[1:2], v[81:82], -v[6:7]
	v_fma_f64 v[3:4], v[3:4], v[81:82], v[8:9]
	scratch_store_b128 off, v[1:4], off offset:16
.LBB21_19:
	s_or_b32 exec_lo, exec_lo, s3
	s_waitcnt_vscnt null, 0x0
	s_barrier
	buffer_gl0_inv
	scratch_load_b128 v[1:4], v60, off
	s_mov_b32 s3, exec_lo
	s_waitcnt vmcnt(0)
	ds_store_b128 v5, v[1:4]
	s_waitcnt lgkmcnt(0)
	s_barrier
	buffer_gl0_inv
	v_cmpx_gt_u32_e32 2, v57
	s_cbranch_execz .LBB21_23
; %bb.20:
	scratch_load_b128 v[1:4], v80, off
	ds_load_b128 v[6:9], v5
	s_waitcnt vmcnt(0) lgkmcnt(0)
	v_mul_f64 v[10:11], v[8:9], v[3:4]
	v_mul_f64 v[3:4], v[6:7], v[3:4]
	s_delay_alu instid0(VALU_DEP_2) | instskip(NEXT) | instid1(VALU_DEP_2)
	v_fma_f64 v[6:7], v[6:7], v[1:2], -v[10:11]
	v_fma_f64 v[3:4], v[8:9], v[1:2], v[3:4]
	s_delay_alu instid0(VALU_DEP_2) | instskip(NEXT) | instid1(VALU_DEP_2)
	v_add_f64 v[1:2], v[6:7], 0
	v_add_f64 v[3:4], v[3:4], 0
	s_and_saveexec_b32 s4, s2
	s_cbranch_execz .LBB21_22
; %bb.21:
	scratch_load_b128 v[6:9], off, off offset:16
	v_mov_b32_e32 v10, 0
	ds_load_b128 v[81:84], v10 offset:368
	s_waitcnt vmcnt(0) lgkmcnt(0)
	v_mul_f64 v[10:11], v[81:82], v[8:9]
	v_mul_f64 v[8:9], v[83:84], v[8:9]
	s_delay_alu instid0(VALU_DEP_2) | instskip(NEXT) | instid1(VALU_DEP_2)
	v_fma_f64 v[10:11], v[83:84], v[6:7], v[10:11]
	v_fma_f64 v[6:7], v[81:82], v[6:7], -v[8:9]
	s_delay_alu instid0(VALU_DEP_2) | instskip(NEXT) | instid1(VALU_DEP_2)
	v_add_f64 v[3:4], v[3:4], v[10:11]
	v_add_f64 v[1:2], v[1:2], v[6:7]
.LBB21_22:
	s_or_b32 exec_lo, exec_lo, s4
	v_mov_b32_e32 v6, 0
	ds_load_b128 v[6:9], v6 offset:32
	s_waitcnt lgkmcnt(0)
	v_mul_f64 v[10:11], v[3:4], v[8:9]
	v_mul_f64 v[8:9], v[1:2], v[8:9]
	s_delay_alu instid0(VALU_DEP_2) | instskip(NEXT) | instid1(VALU_DEP_2)
	v_fma_f64 v[1:2], v[1:2], v[6:7], -v[10:11]
	v_fma_f64 v[3:4], v[3:4], v[6:7], v[8:9]
	scratch_store_b128 off, v[1:4], off offset:32
.LBB21_23:
	s_or_b32 exec_lo, exec_lo, s3
	s_waitcnt_vscnt null, 0x0
	s_barrier
	buffer_gl0_inv
	scratch_load_b128 v[1:4], v64, off
	v_add_nc_u32_e32 v6, -1, v57
	s_mov_b32 s2, exec_lo
	s_waitcnt vmcnt(0)
	ds_store_b128 v5, v[1:4]
	s_waitcnt lgkmcnt(0)
	s_barrier
	buffer_gl0_inv
	v_cmpx_gt_u32_e32 3, v57
	s_cbranch_execz .LBB21_27
; %bb.24:
	v_dual_mov_b32 v1, 0 :: v_dual_add_nc_u32 v8, 0x160, v79
	v_dual_mov_b32 v2, 0 :: v_dual_add_nc_u32 v7, -1, v57
	v_or_b32_e32 v9, 8, v80
	s_mov_b32 s3, 0
	s_delay_alu instid0(VALU_DEP_2)
	v_dual_mov_b32 v4, v2 :: v_dual_mov_b32 v3, v1
	.p2align	6
.LBB21_25:                              ; =>This Inner Loop Header: Depth=1
	scratch_load_b128 v[81:84], v9, off offset:-8
	ds_load_b128 v[85:88], v8
	v_add_nc_u32_e32 v7, 1, v7
	v_add_nc_u32_e32 v8, 16, v8
	;; [unrolled: 1-line block ×3, first 2 shown]
	s_delay_alu instid0(VALU_DEP_3) | instskip(SKIP_4) | instid1(VALU_DEP_2)
	v_cmp_lt_u32_e32 vcc_lo, 1, v7
	s_or_b32 s3, vcc_lo, s3
	s_waitcnt vmcnt(0) lgkmcnt(0)
	v_mul_f64 v[10:11], v[87:88], v[83:84]
	v_mul_f64 v[83:84], v[85:86], v[83:84]
	v_fma_f64 v[10:11], v[85:86], v[81:82], -v[10:11]
	s_delay_alu instid0(VALU_DEP_2) | instskip(NEXT) | instid1(VALU_DEP_2)
	v_fma_f64 v[81:82], v[87:88], v[81:82], v[83:84]
	v_add_f64 v[3:4], v[3:4], v[10:11]
	s_delay_alu instid0(VALU_DEP_2)
	v_add_f64 v[1:2], v[1:2], v[81:82]
	s_and_not1_b32 exec_lo, exec_lo, s3
	s_cbranch_execnz .LBB21_25
; %bb.26:
	s_or_b32 exec_lo, exec_lo, s3
	v_mov_b32_e32 v7, 0
	ds_load_b128 v[7:10], v7 offset:48
	s_waitcnt lgkmcnt(0)
	v_mul_f64 v[11:12], v[1:2], v[9:10]
	v_mul_f64 v[81:82], v[3:4], v[9:10]
	s_delay_alu instid0(VALU_DEP_2) | instskip(NEXT) | instid1(VALU_DEP_2)
	v_fma_f64 v[9:10], v[3:4], v[7:8], -v[11:12]
	v_fma_f64 v[11:12], v[1:2], v[7:8], v[81:82]
	scratch_store_b128 off, v[9:12], off offset:48
.LBB21_27:
	s_or_b32 exec_lo, exec_lo, s2
	s_waitcnt_vscnt null, 0x0
	s_barrier
	buffer_gl0_inv
	scratch_load_b128 v[1:4], v59, off
	s_mov_b32 s2, exec_lo
	s_waitcnt vmcnt(0)
	ds_store_b128 v5, v[1:4]
	s_waitcnt lgkmcnt(0)
	s_barrier
	buffer_gl0_inv
	v_cmpx_gt_u32_e32 4, v57
	s_cbranch_execz .LBB21_31
; %bb.28:
	v_dual_mov_b32 v1, 0 :: v_dual_add_nc_u32 v8, 0x160, v79
	v_dual_mov_b32 v2, 0 :: v_dual_add_nc_u32 v7, -1, v57
	v_or_b32_e32 v9, 8, v80
	s_mov_b32 s3, 0
	s_delay_alu instid0(VALU_DEP_2)
	v_dual_mov_b32 v4, v2 :: v_dual_mov_b32 v3, v1
	.p2align	6
.LBB21_29:                              ; =>This Inner Loop Header: Depth=1
	scratch_load_b128 v[81:84], v9, off offset:-8
	ds_load_b128 v[85:88], v8
	v_add_nc_u32_e32 v7, 1, v7
	v_add_nc_u32_e32 v8, 16, v8
	;; [unrolled: 1-line block ×3, first 2 shown]
	s_delay_alu instid0(VALU_DEP_3) | instskip(SKIP_4) | instid1(VALU_DEP_2)
	v_cmp_lt_u32_e32 vcc_lo, 2, v7
	s_or_b32 s3, vcc_lo, s3
	s_waitcnt vmcnt(0) lgkmcnt(0)
	v_mul_f64 v[10:11], v[87:88], v[83:84]
	v_mul_f64 v[83:84], v[85:86], v[83:84]
	v_fma_f64 v[10:11], v[85:86], v[81:82], -v[10:11]
	s_delay_alu instid0(VALU_DEP_2) | instskip(NEXT) | instid1(VALU_DEP_2)
	v_fma_f64 v[81:82], v[87:88], v[81:82], v[83:84]
	v_add_f64 v[3:4], v[3:4], v[10:11]
	s_delay_alu instid0(VALU_DEP_2)
	v_add_f64 v[1:2], v[1:2], v[81:82]
	s_and_not1_b32 exec_lo, exec_lo, s3
	s_cbranch_execnz .LBB21_29
; %bb.30:
	s_or_b32 exec_lo, exec_lo, s3
	v_mov_b32_e32 v7, 0
	ds_load_b128 v[7:10], v7 offset:64
	s_waitcnt lgkmcnt(0)
	v_mul_f64 v[11:12], v[1:2], v[9:10]
	v_mul_f64 v[81:82], v[3:4], v[9:10]
	s_delay_alu instid0(VALU_DEP_2) | instskip(NEXT) | instid1(VALU_DEP_2)
	v_fma_f64 v[9:10], v[3:4], v[7:8], -v[11:12]
	v_fma_f64 v[11:12], v[1:2], v[7:8], v[81:82]
	scratch_store_b128 off, v[9:12], off offset:64
.LBB21_31:
	s_or_b32 exec_lo, exec_lo, s2
	s_waitcnt_vscnt null, 0x0
	s_barrier
	buffer_gl0_inv
	scratch_load_b128 v[1:4], v63, off
	s_mov_b32 s2, exec_lo
	s_waitcnt vmcnt(0)
	ds_store_b128 v5, v[1:4]
	s_waitcnt lgkmcnt(0)
	s_barrier
	buffer_gl0_inv
	v_cmpx_gt_u32_e32 5, v57
	s_cbranch_execz .LBB21_35
; %bb.32:
	v_dual_mov_b32 v1, 0 :: v_dual_add_nc_u32 v8, 0x160, v79
	v_dual_mov_b32 v2, 0 :: v_dual_add_nc_u32 v7, -1, v57
	v_or_b32_e32 v9, 8, v80
	s_mov_b32 s3, 0
	s_delay_alu instid0(VALU_DEP_2)
	v_dual_mov_b32 v4, v2 :: v_dual_mov_b32 v3, v1
	.p2align	6
.LBB21_33:                              ; =>This Inner Loop Header: Depth=1
	scratch_load_b128 v[81:84], v9, off offset:-8
	ds_load_b128 v[85:88], v8
	v_add_nc_u32_e32 v7, 1, v7
	v_add_nc_u32_e32 v8, 16, v8
	;; [unrolled: 1-line block ×3, first 2 shown]
	s_delay_alu instid0(VALU_DEP_3) | instskip(SKIP_4) | instid1(VALU_DEP_2)
	v_cmp_lt_u32_e32 vcc_lo, 3, v7
	s_or_b32 s3, vcc_lo, s3
	s_waitcnt vmcnt(0) lgkmcnt(0)
	v_mul_f64 v[10:11], v[87:88], v[83:84]
	v_mul_f64 v[83:84], v[85:86], v[83:84]
	v_fma_f64 v[10:11], v[85:86], v[81:82], -v[10:11]
	s_delay_alu instid0(VALU_DEP_2) | instskip(NEXT) | instid1(VALU_DEP_2)
	v_fma_f64 v[81:82], v[87:88], v[81:82], v[83:84]
	v_add_f64 v[3:4], v[3:4], v[10:11]
	s_delay_alu instid0(VALU_DEP_2)
	v_add_f64 v[1:2], v[1:2], v[81:82]
	s_and_not1_b32 exec_lo, exec_lo, s3
	s_cbranch_execnz .LBB21_33
; %bb.34:
	s_or_b32 exec_lo, exec_lo, s3
	v_mov_b32_e32 v7, 0
	ds_load_b128 v[7:10], v7 offset:80
	s_waitcnt lgkmcnt(0)
	v_mul_f64 v[11:12], v[1:2], v[9:10]
	v_mul_f64 v[81:82], v[3:4], v[9:10]
	s_delay_alu instid0(VALU_DEP_2) | instskip(NEXT) | instid1(VALU_DEP_2)
	v_fma_f64 v[9:10], v[3:4], v[7:8], -v[11:12]
	v_fma_f64 v[11:12], v[1:2], v[7:8], v[81:82]
	scratch_store_b128 off, v[9:12], off offset:80
.LBB21_35:
	s_or_b32 exec_lo, exec_lo, s2
	s_waitcnt_vscnt null, 0x0
	s_barrier
	buffer_gl0_inv
	scratch_load_b128 v[1:4], v58, off
	s_mov_b32 s2, exec_lo
	s_waitcnt vmcnt(0)
	ds_store_b128 v5, v[1:4]
	s_waitcnt lgkmcnt(0)
	s_barrier
	buffer_gl0_inv
	v_cmpx_gt_u32_e32 6, v57
	s_cbranch_execz .LBB21_39
; %bb.36:
	v_dual_mov_b32 v1, 0 :: v_dual_add_nc_u32 v8, 0x160, v79
	v_dual_mov_b32 v2, 0 :: v_dual_add_nc_u32 v7, -1, v57
	v_or_b32_e32 v9, 8, v80
	s_mov_b32 s3, 0
	s_delay_alu instid0(VALU_DEP_2)
	v_dual_mov_b32 v4, v2 :: v_dual_mov_b32 v3, v1
	.p2align	6
.LBB21_37:                              ; =>This Inner Loop Header: Depth=1
	scratch_load_b128 v[81:84], v9, off offset:-8
	ds_load_b128 v[85:88], v8
	v_add_nc_u32_e32 v7, 1, v7
	v_add_nc_u32_e32 v8, 16, v8
	;; [unrolled: 1-line block ×3, first 2 shown]
	s_delay_alu instid0(VALU_DEP_3) | instskip(SKIP_4) | instid1(VALU_DEP_2)
	v_cmp_lt_u32_e32 vcc_lo, 4, v7
	s_or_b32 s3, vcc_lo, s3
	s_waitcnt vmcnt(0) lgkmcnt(0)
	v_mul_f64 v[10:11], v[87:88], v[83:84]
	v_mul_f64 v[83:84], v[85:86], v[83:84]
	v_fma_f64 v[10:11], v[85:86], v[81:82], -v[10:11]
	s_delay_alu instid0(VALU_DEP_2) | instskip(NEXT) | instid1(VALU_DEP_2)
	v_fma_f64 v[81:82], v[87:88], v[81:82], v[83:84]
	v_add_f64 v[3:4], v[3:4], v[10:11]
	s_delay_alu instid0(VALU_DEP_2)
	v_add_f64 v[1:2], v[1:2], v[81:82]
	s_and_not1_b32 exec_lo, exec_lo, s3
	s_cbranch_execnz .LBB21_37
; %bb.38:
	s_or_b32 exec_lo, exec_lo, s3
	v_mov_b32_e32 v7, 0
	ds_load_b128 v[7:10], v7 offset:96
	s_waitcnt lgkmcnt(0)
	v_mul_f64 v[11:12], v[1:2], v[9:10]
	v_mul_f64 v[81:82], v[3:4], v[9:10]
	s_delay_alu instid0(VALU_DEP_2) | instskip(NEXT) | instid1(VALU_DEP_2)
	v_fma_f64 v[9:10], v[3:4], v[7:8], -v[11:12]
	v_fma_f64 v[11:12], v[1:2], v[7:8], v[81:82]
	scratch_store_b128 off, v[9:12], off offset:96
.LBB21_39:
	s_or_b32 exec_lo, exec_lo, s2
	s_waitcnt_vscnt null, 0x0
	s_barrier
	buffer_gl0_inv
	scratch_load_b128 v[1:4], v67, off
	s_mov_b32 s2, exec_lo
	s_waitcnt vmcnt(0)
	ds_store_b128 v5, v[1:4]
	s_waitcnt lgkmcnt(0)
	s_barrier
	buffer_gl0_inv
	v_cmpx_gt_u32_e32 7, v57
	s_cbranch_execz .LBB21_43
; %bb.40:
	v_dual_mov_b32 v1, 0 :: v_dual_add_nc_u32 v8, 0x160, v79
	v_dual_mov_b32 v2, 0 :: v_dual_add_nc_u32 v7, -1, v57
	v_or_b32_e32 v9, 8, v80
	s_mov_b32 s3, 0
	s_delay_alu instid0(VALU_DEP_2)
	v_dual_mov_b32 v4, v2 :: v_dual_mov_b32 v3, v1
	.p2align	6
.LBB21_41:                              ; =>This Inner Loop Header: Depth=1
	scratch_load_b128 v[81:84], v9, off offset:-8
	ds_load_b128 v[85:88], v8
	v_add_nc_u32_e32 v7, 1, v7
	v_add_nc_u32_e32 v8, 16, v8
	;; [unrolled: 1-line block ×3, first 2 shown]
	s_delay_alu instid0(VALU_DEP_3) | instskip(SKIP_4) | instid1(VALU_DEP_2)
	v_cmp_lt_u32_e32 vcc_lo, 5, v7
	s_or_b32 s3, vcc_lo, s3
	s_waitcnt vmcnt(0) lgkmcnt(0)
	v_mul_f64 v[10:11], v[87:88], v[83:84]
	v_mul_f64 v[83:84], v[85:86], v[83:84]
	v_fma_f64 v[10:11], v[85:86], v[81:82], -v[10:11]
	s_delay_alu instid0(VALU_DEP_2) | instskip(NEXT) | instid1(VALU_DEP_2)
	v_fma_f64 v[81:82], v[87:88], v[81:82], v[83:84]
	v_add_f64 v[3:4], v[3:4], v[10:11]
	s_delay_alu instid0(VALU_DEP_2)
	v_add_f64 v[1:2], v[1:2], v[81:82]
	s_and_not1_b32 exec_lo, exec_lo, s3
	s_cbranch_execnz .LBB21_41
; %bb.42:
	s_or_b32 exec_lo, exec_lo, s3
	v_mov_b32_e32 v7, 0
	ds_load_b128 v[7:10], v7 offset:112
	s_waitcnt lgkmcnt(0)
	v_mul_f64 v[11:12], v[1:2], v[9:10]
	v_mul_f64 v[81:82], v[3:4], v[9:10]
	s_delay_alu instid0(VALU_DEP_2) | instskip(NEXT) | instid1(VALU_DEP_2)
	v_fma_f64 v[9:10], v[3:4], v[7:8], -v[11:12]
	v_fma_f64 v[11:12], v[1:2], v[7:8], v[81:82]
	scratch_store_b128 off, v[9:12], off offset:112
.LBB21_43:
	s_or_b32 exec_lo, exec_lo, s2
	s_waitcnt_vscnt null, 0x0
	s_barrier
	buffer_gl0_inv
	scratch_load_b128 v[1:4], v62, off
	s_mov_b32 s2, exec_lo
	s_waitcnt vmcnt(0)
	ds_store_b128 v5, v[1:4]
	s_waitcnt lgkmcnt(0)
	s_barrier
	buffer_gl0_inv
	v_cmpx_gt_u32_e32 8, v57
	s_cbranch_execz .LBB21_47
; %bb.44:
	v_dual_mov_b32 v1, 0 :: v_dual_add_nc_u32 v8, 0x160, v79
	v_dual_mov_b32 v2, 0 :: v_dual_add_nc_u32 v7, -1, v57
	v_or_b32_e32 v9, 8, v80
	s_mov_b32 s3, 0
	s_delay_alu instid0(VALU_DEP_2)
	v_dual_mov_b32 v4, v2 :: v_dual_mov_b32 v3, v1
	.p2align	6
.LBB21_45:                              ; =>This Inner Loop Header: Depth=1
	scratch_load_b128 v[81:84], v9, off offset:-8
	ds_load_b128 v[85:88], v8
	v_add_nc_u32_e32 v7, 1, v7
	v_add_nc_u32_e32 v8, 16, v8
	;; [unrolled: 1-line block ×3, first 2 shown]
	s_delay_alu instid0(VALU_DEP_3) | instskip(SKIP_4) | instid1(VALU_DEP_2)
	v_cmp_lt_u32_e32 vcc_lo, 6, v7
	s_or_b32 s3, vcc_lo, s3
	s_waitcnt vmcnt(0) lgkmcnt(0)
	v_mul_f64 v[10:11], v[87:88], v[83:84]
	v_mul_f64 v[83:84], v[85:86], v[83:84]
	v_fma_f64 v[10:11], v[85:86], v[81:82], -v[10:11]
	s_delay_alu instid0(VALU_DEP_2) | instskip(NEXT) | instid1(VALU_DEP_2)
	v_fma_f64 v[81:82], v[87:88], v[81:82], v[83:84]
	v_add_f64 v[3:4], v[3:4], v[10:11]
	s_delay_alu instid0(VALU_DEP_2)
	v_add_f64 v[1:2], v[1:2], v[81:82]
	s_and_not1_b32 exec_lo, exec_lo, s3
	s_cbranch_execnz .LBB21_45
; %bb.46:
	s_or_b32 exec_lo, exec_lo, s3
	v_mov_b32_e32 v7, 0
	ds_load_b128 v[7:10], v7 offset:128
	s_waitcnt lgkmcnt(0)
	v_mul_f64 v[11:12], v[1:2], v[9:10]
	v_mul_f64 v[81:82], v[3:4], v[9:10]
	s_delay_alu instid0(VALU_DEP_2) | instskip(NEXT) | instid1(VALU_DEP_2)
	v_fma_f64 v[9:10], v[3:4], v[7:8], -v[11:12]
	v_fma_f64 v[11:12], v[1:2], v[7:8], v[81:82]
	scratch_store_b128 off, v[9:12], off offset:128
.LBB21_47:
	s_or_b32 exec_lo, exec_lo, s2
	s_waitcnt_vscnt null, 0x0
	s_barrier
	buffer_gl0_inv
	scratch_load_b128 v[1:4], v66, off
	s_mov_b32 s2, exec_lo
	s_waitcnt vmcnt(0)
	ds_store_b128 v5, v[1:4]
	s_waitcnt lgkmcnt(0)
	s_barrier
	buffer_gl0_inv
	v_cmpx_gt_u32_e32 9, v57
	s_cbranch_execz .LBB21_51
; %bb.48:
	v_dual_mov_b32 v1, 0 :: v_dual_add_nc_u32 v8, 0x160, v79
	v_dual_mov_b32 v2, 0 :: v_dual_add_nc_u32 v7, -1, v57
	v_or_b32_e32 v9, 8, v80
	s_mov_b32 s3, 0
	s_delay_alu instid0(VALU_DEP_2)
	v_dual_mov_b32 v4, v2 :: v_dual_mov_b32 v3, v1
	.p2align	6
.LBB21_49:                              ; =>This Inner Loop Header: Depth=1
	scratch_load_b128 v[81:84], v9, off offset:-8
	ds_load_b128 v[85:88], v8
	v_add_nc_u32_e32 v7, 1, v7
	v_add_nc_u32_e32 v8, 16, v8
	;; [unrolled: 1-line block ×3, first 2 shown]
	s_delay_alu instid0(VALU_DEP_3) | instskip(SKIP_4) | instid1(VALU_DEP_2)
	v_cmp_lt_u32_e32 vcc_lo, 7, v7
	s_or_b32 s3, vcc_lo, s3
	s_waitcnt vmcnt(0) lgkmcnt(0)
	v_mul_f64 v[10:11], v[87:88], v[83:84]
	v_mul_f64 v[83:84], v[85:86], v[83:84]
	v_fma_f64 v[10:11], v[85:86], v[81:82], -v[10:11]
	s_delay_alu instid0(VALU_DEP_2) | instskip(NEXT) | instid1(VALU_DEP_2)
	v_fma_f64 v[81:82], v[87:88], v[81:82], v[83:84]
	v_add_f64 v[3:4], v[3:4], v[10:11]
	s_delay_alu instid0(VALU_DEP_2)
	v_add_f64 v[1:2], v[1:2], v[81:82]
	s_and_not1_b32 exec_lo, exec_lo, s3
	s_cbranch_execnz .LBB21_49
; %bb.50:
	s_or_b32 exec_lo, exec_lo, s3
	v_mov_b32_e32 v7, 0
	ds_load_b128 v[7:10], v7 offset:144
	s_waitcnt lgkmcnt(0)
	v_mul_f64 v[11:12], v[1:2], v[9:10]
	v_mul_f64 v[81:82], v[3:4], v[9:10]
	s_delay_alu instid0(VALU_DEP_2) | instskip(NEXT) | instid1(VALU_DEP_2)
	v_fma_f64 v[9:10], v[3:4], v[7:8], -v[11:12]
	v_fma_f64 v[11:12], v[1:2], v[7:8], v[81:82]
	scratch_store_b128 off, v[9:12], off offset:144
.LBB21_51:
	s_or_b32 exec_lo, exec_lo, s2
	s_waitcnt_vscnt null, 0x0
	s_barrier
	buffer_gl0_inv
	scratch_load_b128 v[1:4], v61, off
	s_mov_b32 s2, exec_lo
	s_waitcnt vmcnt(0)
	ds_store_b128 v5, v[1:4]
	s_waitcnt lgkmcnt(0)
	s_barrier
	buffer_gl0_inv
	v_cmpx_gt_u32_e32 10, v57
	s_cbranch_execz .LBB21_55
; %bb.52:
	v_dual_mov_b32 v1, 0 :: v_dual_add_nc_u32 v8, 0x160, v79
	v_dual_mov_b32 v2, 0 :: v_dual_add_nc_u32 v7, -1, v57
	v_or_b32_e32 v9, 8, v80
	s_mov_b32 s3, 0
	s_delay_alu instid0(VALU_DEP_2)
	v_dual_mov_b32 v4, v2 :: v_dual_mov_b32 v3, v1
	.p2align	6
.LBB21_53:                              ; =>This Inner Loop Header: Depth=1
	scratch_load_b128 v[81:84], v9, off offset:-8
	ds_load_b128 v[85:88], v8
	v_add_nc_u32_e32 v7, 1, v7
	v_add_nc_u32_e32 v8, 16, v8
	;; [unrolled: 1-line block ×3, first 2 shown]
	s_delay_alu instid0(VALU_DEP_3) | instskip(SKIP_4) | instid1(VALU_DEP_2)
	v_cmp_lt_u32_e32 vcc_lo, 8, v7
	s_or_b32 s3, vcc_lo, s3
	s_waitcnt vmcnt(0) lgkmcnt(0)
	v_mul_f64 v[10:11], v[87:88], v[83:84]
	v_mul_f64 v[83:84], v[85:86], v[83:84]
	v_fma_f64 v[10:11], v[85:86], v[81:82], -v[10:11]
	s_delay_alu instid0(VALU_DEP_2) | instskip(NEXT) | instid1(VALU_DEP_2)
	v_fma_f64 v[81:82], v[87:88], v[81:82], v[83:84]
	v_add_f64 v[3:4], v[3:4], v[10:11]
	s_delay_alu instid0(VALU_DEP_2)
	v_add_f64 v[1:2], v[1:2], v[81:82]
	s_and_not1_b32 exec_lo, exec_lo, s3
	s_cbranch_execnz .LBB21_53
; %bb.54:
	s_or_b32 exec_lo, exec_lo, s3
	v_mov_b32_e32 v7, 0
	ds_load_b128 v[7:10], v7 offset:160
	s_waitcnt lgkmcnt(0)
	v_mul_f64 v[11:12], v[1:2], v[9:10]
	v_mul_f64 v[81:82], v[3:4], v[9:10]
	s_delay_alu instid0(VALU_DEP_2) | instskip(NEXT) | instid1(VALU_DEP_2)
	v_fma_f64 v[9:10], v[3:4], v[7:8], -v[11:12]
	v_fma_f64 v[11:12], v[1:2], v[7:8], v[81:82]
	scratch_store_b128 off, v[9:12], off offset:160
.LBB21_55:
	s_or_b32 exec_lo, exec_lo, s2
	s_waitcnt_vscnt null, 0x0
	s_barrier
	buffer_gl0_inv
	scratch_load_b128 v[1:4], v70, off
	s_mov_b32 s2, exec_lo
	s_waitcnt vmcnt(0)
	ds_store_b128 v5, v[1:4]
	s_waitcnt lgkmcnt(0)
	s_barrier
	buffer_gl0_inv
	v_cmpx_gt_u32_e32 11, v57
	s_cbranch_execz .LBB21_59
; %bb.56:
	v_dual_mov_b32 v1, 0 :: v_dual_add_nc_u32 v8, 0x160, v79
	v_dual_mov_b32 v2, 0 :: v_dual_add_nc_u32 v7, -1, v57
	v_or_b32_e32 v9, 8, v80
	s_mov_b32 s3, 0
	s_delay_alu instid0(VALU_DEP_2)
	v_dual_mov_b32 v4, v2 :: v_dual_mov_b32 v3, v1
	.p2align	6
.LBB21_57:                              ; =>This Inner Loop Header: Depth=1
	scratch_load_b128 v[81:84], v9, off offset:-8
	ds_load_b128 v[85:88], v8
	v_add_nc_u32_e32 v7, 1, v7
	v_add_nc_u32_e32 v8, 16, v8
	;; [unrolled: 1-line block ×3, first 2 shown]
	s_delay_alu instid0(VALU_DEP_3) | instskip(SKIP_4) | instid1(VALU_DEP_2)
	v_cmp_lt_u32_e32 vcc_lo, 9, v7
	s_or_b32 s3, vcc_lo, s3
	s_waitcnt vmcnt(0) lgkmcnt(0)
	v_mul_f64 v[10:11], v[87:88], v[83:84]
	v_mul_f64 v[83:84], v[85:86], v[83:84]
	v_fma_f64 v[10:11], v[85:86], v[81:82], -v[10:11]
	s_delay_alu instid0(VALU_DEP_2) | instskip(NEXT) | instid1(VALU_DEP_2)
	v_fma_f64 v[81:82], v[87:88], v[81:82], v[83:84]
	v_add_f64 v[3:4], v[3:4], v[10:11]
	s_delay_alu instid0(VALU_DEP_2)
	v_add_f64 v[1:2], v[1:2], v[81:82]
	s_and_not1_b32 exec_lo, exec_lo, s3
	s_cbranch_execnz .LBB21_57
; %bb.58:
	s_or_b32 exec_lo, exec_lo, s3
	v_mov_b32_e32 v7, 0
	ds_load_b128 v[7:10], v7 offset:176
	s_waitcnt lgkmcnt(0)
	v_mul_f64 v[11:12], v[1:2], v[9:10]
	v_mul_f64 v[81:82], v[3:4], v[9:10]
	s_delay_alu instid0(VALU_DEP_2) | instskip(NEXT) | instid1(VALU_DEP_2)
	v_fma_f64 v[9:10], v[3:4], v[7:8], -v[11:12]
	v_fma_f64 v[11:12], v[1:2], v[7:8], v[81:82]
	scratch_store_b128 off, v[9:12], off offset:176
.LBB21_59:
	s_or_b32 exec_lo, exec_lo, s2
	s_waitcnt_vscnt null, 0x0
	s_barrier
	buffer_gl0_inv
	scratch_load_b128 v[1:4], v68, off
	s_mov_b32 s2, exec_lo
	s_waitcnt vmcnt(0)
	ds_store_b128 v5, v[1:4]
	s_waitcnt lgkmcnt(0)
	s_barrier
	buffer_gl0_inv
	v_cmpx_gt_u32_e32 12, v57
	s_cbranch_execz .LBB21_63
; %bb.60:
	v_dual_mov_b32 v1, 0 :: v_dual_add_nc_u32 v8, 0x160, v79
	v_dual_mov_b32 v2, 0 :: v_dual_add_nc_u32 v7, -1, v57
	v_or_b32_e32 v9, 8, v80
	s_mov_b32 s3, 0
	s_delay_alu instid0(VALU_DEP_2)
	v_dual_mov_b32 v4, v2 :: v_dual_mov_b32 v3, v1
	.p2align	6
.LBB21_61:                              ; =>This Inner Loop Header: Depth=1
	scratch_load_b128 v[81:84], v9, off offset:-8
	ds_load_b128 v[85:88], v8
	v_add_nc_u32_e32 v7, 1, v7
	v_add_nc_u32_e32 v8, 16, v8
	;; [unrolled: 1-line block ×3, first 2 shown]
	s_delay_alu instid0(VALU_DEP_3) | instskip(SKIP_4) | instid1(VALU_DEP_2)
	v_cmp_lt_u32_e32 vcc_lo, 10, v7
	s_or_b32 s3, vcc_lo, s3
	s_waitcnt vmcnt(0) lgkmcnt(0)
	v_mul_f64 v[10:11], v[87:88], v[83:84]
	v_mul_f64 v[83:84], v[85:86], v[83:84]
	v_fma_f64 v[10:11], v[85:86], v[81:82], -v[10:11]
	s_delay_alu instid0(VALU_DEP_2) | instskip(NEXT) | instid1(VALU_DEP_2)
	v_fma_f64 v[81:82], v[87:88], v[81:82], v[83:84]
	v_add_f64 v[3:4], v[3:4], v[10:11]
	s_delay_alu instid0(VALU_DEP_2)
	v_add_f64 v[1:2], v[1:2], v[81:82]
	s_and_not1_b32 exec_lo, exec_lo, s3
	s_cbranch_execnz .LBB21_61
; %bb.62:
	s_or_b32 exec_lo, exec_lo, s3
	v_mov_b32_e32 v7, 0
	ds_load_b128 v[7:10], v7 offset:192
	s_waitcnt lgkmcnt(0)
	v_mul_f64 v[11:12], v[1:2], v[9:10]
	v_mul_f64 v[81:82], v[3:4], v[9:10]
	s_delay_alu instid0(VALU_DEP_2) | instskip(NEXT) | instid1(VALU_DEP_2)
	v_fma_f64 v[9:10], v[3:4], v[7:8], -v[11:12]
	v_fma_f64 v[11:12], v[1:2], v[7:8], v[81:82]
	scratch_store_b128 off, v[9:12], off offset:192
.LBB21_63:
	s_or_b32 exec_lo, exec_lo, s2
	s_waitcnt_vscnt null, 0x0
	s_barrier
	buffer_gl0_inv
	scratch_load_b128 v[1:4], v69, off
	s_mov_b32 s2, exec_lo
	s_waitcnt vmcnt(0)
	ds_store_b128 v5, v[1:4]
	s_waitcnt lgkmcnt(0)
	s_barrier
	buffer_gl0_inv
	v_cmpx_gt_u32_e32 13, v57
	s_cbranch_execz .LBB21_67
; %bb.64:
	v_dual_mov_b32 v1, 0 :: v_dual_add_nc_u32 v8, 0x160, v79
	v_dual_mov_b32 v2, 0 :: v_dual_add_nc_u32 v7, -1, v57
	v_or_b32_e32 v9, 8, v80
	s_mov_b32 s3, 0
	s_delay_alu instid0(VALU_DEP_2)
	v_dual_mov_b32 v4, v2 :: v_dual_mov_b32 v3, v1
	.p2align	6
.LBB21_65:                              ; =>This Inner Loop Header: Depth=1
	scratch_load_b128 v[81:84], v9, off offset:-8
	ds_load_b128 v[85:88], v8
	v_add_nc_u32_e32 v7, 1, v7
	v_add_nc_u32_e32 v8, 16, v8
	;; [unrolled: 1-line block ×3, first 2 shown]
	s_delay_alu instid0(VALU_DEP_3) | instskip(SKIP_4) | instid1(VALU_DEP_2)
	v_cmp_lt_u32_e32 vcc_lo, 11, v7
	s_or_b32 s3, vcc_lo, s3
	s_waitcnt vmcnt(0) lgkmcnt(0)
	v_mul_f64 v[10:11], v[87:88], v[83:84]
	v_mul_f64 v[83:84], v[85:86], v[83:84]
	v_fma_f64 v[10:11], v[85:86], v[81:82], -v[10:11]
	s_delay_alu instid0(VALU_DEP_2) | instskip(NEXT) | instid1(VALU_DEP_2)
	v_fma_f64 v[81:82], v[87:88], v[81:82], v[83:84]
	v_add_f64 v[3:4], v[3:4], v[10:11]
	s_delay_alu instid0(VALU_DEP_2)
	v_add_f64 v[1:2], v[1:2], v[81:82]
	s_and_not1_b32 exec_lo, exec_lo, s3
	s_cbranch_execnz .LBB21_65
; %bb.66:
	s_or_b32 exec_lo, exec_lo, s3
	v_mov_b32_e32 v7, 0
	ds_load_b128 v[7:10], v7 offset:208
	s_waitcnt lgkmcnt(0)
	v_mul_f64 v[11:12], v[1:2], v[9:10]
	v_mul_f64 v[81:82], v[3:4], v[9:10]
	s_delay_alu instid0(VALU_DEP_2) | instskip(NEXT) | instid1(VALU_DEP_2)
	v_fma_f64 v[9:10], v[3:4], v[7:8], -v[11:12]
	v_fma_f64 v[11:12], v[1:2], v[7:8], v[81:82]
	scratch_store_b128 off, v[9:12], off offset:208
.LBB21_67:
	s_or_b32 exec_lo, exec_lo, s2
	s_waitcnt_vscnt null, 0x0
	s_barrier
	buffer_gl0_inv
	scratch_load_b128 v[1:4], v72, off
	s_mov_b32 s2, exec_lo
	s_waitcnt vmcnt(0)
	ds_store_b128 v5, v[1:4]
	s_waitcnt lgkmcnt(0)
	s_barrier
	buffer_gl0_inv
	v_cmpx_gt_u32_e32 14, v57
	s_cbranch_execz .LBB21_71
; %bb.68:
	v_dual_mov_b32 v1, 0 :: v_dual_add_nc_u32 v8, 0x160, v79
	v_dual_mov_b32 v2, 0 :: v_dual_add_nc_u32 v7, -1, v57
	v_or_b32_e32 v9, 8, v80
	s_mov_b32 s3, 0
	s_delay_alu instid0(VALU_DEP_2)
	v_dual_mov_b32 v4, v2 :: v_dual_mov_b32 v3, v1
	.p2align	6
.LBB21_69:                              ; =>This Inner Loop Header: Depth=1
	scratch_load_b128 v[81:84], v9, off offset:-8
	ds_load_b128 v[85:88], v8
	v_add_nc_u32_e32 v7, 1, v7
	v_add_nc_u32_e32 v8, 16, v8
	;; [unrolled: 1-line block ×3, first 2 shown]
	s_delay_alu instid0(VALU_DEP_3) | instskip(SKIP_4) | instid1(VALU_DEP_2)
	v_cmp_lt_u32_e32 vcc_lo, 12, v7
	s_or_b32 s3, vcc_lo, s3
	s_waitcnt vmcnt(0) lgkmcnt(0)
	v_mul_f64 v[10:11], v[87:88], v[83:84]
	v_mul_f64 v[83:84], v[85:86], v[83:84]
	v_fma_f64 v[10:11], v[85:86], v[81:82], -v[10:11]
	s_delay_alu instid0(VALU_DEP_2) | instskip(NEXT) | instid1(VALU_DEP_2)
	v_fma_f64 v[81:82], v[87:88], v[81:82], v[83:84]
	v_add_f64 v[3:4], v[3:4], v[10:11]
	s_delay_alu instid0(VALU_DEP_2)
	v_add_f64 v[1:2], v[1:2], v[81:82]
	s_and_not1_b32 exec_lo, exec_lo, s3
	s_cbranch_execnz .LBB21_69
; %bb.70:
	s_or_b32 exec_lo, exec_lo, s3
	v_mov_b32_e32 v7, 0
	ds_load_b128 v[7:10], v7 offset:224
	s_waitcnt lgkmcnt(0)
	v_mul_f64 v[11:12], v[1:2], v[9:10]
	v_mul_f64 v[81:82], v[3:4], v[9:10]
	s_delay_alu instid0(VALU_DEP_2) | instskip(NEXT) | instid1(VALU_DEP_2)
	v_fma_f64 v[9:10], v[3:4], v[7:8], -v[11:12]
	v_fma_f64 v[11:12], v[1:2], v[7:8], v[81:82]
	scratch_store_b128 off, v[9:12], off offset:224
.LBB21_71:
	s_or_b32 exec_lo, exec_lo, s2
	s_waitcnt_vscnt null, 0x0
	s_barrier
	buffer_gl0_inv
	scratch_load_b128 v[1:4], v71, off
	s_mov_b32 s2, exec_lo
	s_waitcnt vmcnt(0)
	ds_store_b128 v5, v[1:4]
	s_waitcnt lgkmcnt(0)
	s_barrier
	buffer_gl0_inv
	v_cmpx_gt_u32_e32 15, v57
	s_cbranch_execz .LBB21_75
; %bb.72:
	v_dual_mov_b32 v1, 0 :: v_dual_add_nc_u32 v8, 0x160, v79
	v_dual_mov_b32 v2, 0 :: v_dual_add_nc_u32 v7, -1, v57
	v_or_b32_e32 v9, 8, v80
	s_mov_b32 s3, 0
	s_delay_alu instid0(VALU_DEP_2)
	v_dual_mov_b32 v4, v2 :: v_dual_mov_b32 v3, v1
	.p2align	6
.LBB21_73:                              ; =>This Inner Loop Header: Depth=1
	scratch_load_b128 v[81:84], v9, off offset:-8
	ds_load_b128 v[85:88], v8
	v_add_nc_u32_e32 v7, 1, v7
	v_add_nc_u32_e32 v8, 16, v8
	v_add_nc_u32_e32 v9, 16, v9
	s_delay_alu instid0(VALU_DEP_3) | instskip(SKIP_4) | instid1(VALU_DEP_2)
	v_cmp_lt_u32_e32 vcc_lo, 13, v7
	s_or_b32 s3, vcc_lo, s3
	s_waitcnt vmcnt(0) lgkmcnt(0)
	v_mul_f64 v[10:11], v[87:88], v[83:84]
	v_mul_f64 v[83:84], v[85:86], v[83:84]
	v_fma_f64 v[10:11], v[85:86], v[81:82], -v[10:11]
	s_delay_alu instid0(VALU_DEP_2) | instskip(NEXT) | instid1(VALU_DEP_2)
	v_fma_f64 v[81:82], v[87:88], v[81:82], v[83:84]
	v_add_f64 v[3:4], v[3:4], v[10:11]
	s_delay_alu instid0(VALU_DEP_2)
	v_add_f64 v[1:2], v[1:2], v[81:82]
	s_and_not1_b32 exec_lo, exec_lo, s3
	s_cbranch_execnz .LBB21_73
; %bb.74:
	s_or_b32 exec_lo, exec_lo, s3
	v_mov_b32_e32 v7, 0
	ds_load_b128 v[7:10], v7 offset:240
	s_waitcnt lgkmcnt(0)
	v_mul_f64 v[11:12], v[1:2], v[9:10]
	v_mul_f64 v[81:82], v[3:4], v[9:10]
	s_delay_alu instid0(VALU_DEP_2) | instskip(NEXT) | instid1(VALU_DEP_2)
	v_fma_f64 v[9:10], v[3:4], v[7:8], -v[11:12]
	v_fma_f64 v[11:12], v[1:2], v[7:8], v[81:82]
	scratch_store_b128 off, v[9:12], off offset:240
.LBB21_75:
	s_or_b32 exec_lo, exec_lo, s2
	s_waitcnt_vscnt null, 0x0
	s_barrier
	buffer_gl0_inv
	scratch_load_b128 v[1:4], v74, off
	s_mov_b32 s2, exec_lo
	s_waitcnt vmcnt(0)
	ds_store_b128 v5, v[1:4]
	s_waitcnt lgkmcnt(0)
	s_barrier
	buffer_gl0_inv
	v_cmpx_gt_u32_e32 16, v57
	s_cbranch_execz .LBB21_79
; %bb.76:
	v_dual_mov_b32 v1, 0 :: v_dual_add_nc_u32 v8, 0x160, v79
	v_dual_mov_b32 v2, 0 :: v_dual_add_nc_u32 v7, -1, v57
	v_or_b32_e32 v9, 8, v80
	s_mov_b32 s3, 0
	s_delay_alu instid0(VALU_DEP_2)
	v_dual_mov_b32 v4, v2 :: v_dual_mov_b32 v3, v1
	.p2align	6
.LBB21_77:                              ; =>This Inner Loop Header: Depth=1
	scratch_load_b128 v[81:84], v9, off offset:-8
	ds_load_b128 v[85:88], v8
	v_add_nc_u32_e32 v7, 1, v7
	v_add_nc_u32_e32 v8, 16, v8
	;; [unrolled: 1-line block ×3, first 2 shown]
	s_delay_alu instid0(VALU_DEP_3) | instskip(SKIP_4) | instid1(VALU_DEP_2)
	v_cmp_lt_u32_e32 vcc_lo, 14, v7
	s_or_b32 s3, vcc_lo, s3
	s_waitcnt vmcnt(0) lgkmcnt(0)
	v_mul_f64 v[10:11], v[87:88], v[83:84]
	v_mul_f64 v[83:84], v[85:86], v[83:84]
	v_fma_f64 v[10:11], v[85:86], v[81:82], -v[10:11]
	s_delay_alu instid0(VALU_DEP_2) | instskip(NEXT) | instid1(VALU_DEP_2)
	v_fma_f64 v[81:82], v[87:88], v[81:82], v[83:84]
	v_add_f64 v[3:4], v[3:4], v[10:11]
	s_delay_alu instid0(VALU_DEP_2)
	v_add_f64 v[1:2], v[1:2], v[81:82]
	s_and_not1_b32 exec_lo, exec_lo, s3
	s_cbranch_execnz .LBB21_77
; %bb.78:
	s_or_b32 exec_lo, exec_lo, s3
	v_mov_b32_e32 v7, 0
	ds_load_b128 v[7:10], v7 offset:256
	s_waitcnt lgkmcnt(0)
	v_mul_f64 v[11:12], v[1:2], v[9:10]
	v_mul_f64 v[81:82], v[3:4], v[9:10]
	s_delay_alu instid0(VALU_DEP_2) | instskip(NEXT) | instid1(VALU_DEP_2)
	v_fma_f64 v[9:10], v[3:4], v[7:8], -v[11:12]
	v_fma_f64 v[11:12], v[1:2], v[7:8], v[81:82]
	scratch_store_b128 off, v[9:12], off offset:256
.LBB21_79:
	s_or_b32 exec_lo, exec_lo, s2
	s_waitcnt_vscnt null, 0x0
	s_barrier
	buffer_gl0_inv
	scratch_load_b128 v[1:4], v73, off
	s_mov_b32 s2, exec_lo
	s_waitcnt vmcnt(0)
	ds_store_b128 v5, v[1:4]
	s_waitcnt lgkmcnt(0)
	s_barrier
	buffer_gl0_inv
	v_cmpx_gt_u32_e32 17, v57
	s_cbranch_execz .LBB21_83
; %bb.80:
	v_dual_mov_b32 v1, 0 :: v_dual_add_nc_u32 v8, 0x160, v79
	v_dual_mov_b32 v2, 0 :: v_dual_add_nc_u32 v7, -1, v57
	v_or_b32_e32 v9, 8, v80
	s_mov_b32 s3, 0
	s_delay_alu instid0(VALU_DEP_2)
	v_dual_mov_b32 v4, v2 :: v_dual_mov_b32 v3, v1
	.p2align	6
.LBB21_81:                              ; =>This Inner Loop Header: Depth=1
	scratch_load_b128 v[81:84], v9, off offset:-8
	ds_load_b128 v[85:88], v8
	v_add_nc_u32_e32 v7, 1, v7
	v_add_nc_u32_e32 v8, 16, v8
	;; [unrolled: 1-line block ×3, first 2 shown]
	s_delay_alu instid0(VALU_DEP_3) | instskip(SKIP_4) | instid1(VALU_DEP_2)
	v_cmp_lt_u32_e32 vcc_lo, 15, v7
	s_or_b32 s3, vcc_lo, s3
	s_waitcnt vmcnt(0) lgkmcnt(0)
	v_mul_f64 v[10:11], v[87:88], v[83:84]
	v_mul_f64 v[83:84], v[85:86], v[83:84]
	v_fma_f64 v[10:11], v[85:86], v[81:82], -v[10:11]
	s_delay_alu instid0(VALU_DEP_2) | instskip(NEXT) | instid1(VALU_DEP_2)
	v_fma_f64 v[81:82], v[87:88], v[81:82], v[83:84]
	v_add_f64 v[3:4], v[3:4], v[10:11]
	s_delay_alu instid0(VALU_DEP_2)
	v_add_f64 v[1:2], v[1:2], v[81:82]
	s_and_not1_b32 exec_lo, exec_lo, s3
	s_cbranch_execnz .LBB21_81
; %bb.82:
	s_or_b32 exec_lo, exec_lo, s3
	v_mov_b32_e32 v7, 0
	ds_load_b128 v[7:10], v7 offset:272
	s_waitcnt lgkmcnt(0)
	v_mul_f64 v[11:12], v[1:2], v[9:10]
	v_mul_f64 v[81:82], v[3:4], v[9:10]
	s_delay_alu instid0(VALU_DEP_2) | instskip(NEXT) | instid1(VALU_DEP_2)
	v_fma_f64 v[9:10], v[3:4], v[7:8], -v[11:12]
	v_fma_f64 v[11:12], v[1:2], v[7:8], v[81:82]
	scratch_store_b128 off, v[9:12], off offset:272
.LBB21_83:
	s_or_b32 exec_lo, exec_lo, s2
	s_waitcnt_vscnt null, 0x0
	s_barrier
	buffer_gl0_inv
	scratch_load_b128 v[1:4], v76, off
	s_mov_b32 s2, exec_lo
	s_waitcnt vmcnt(0)
	ds_store_b128 v5, v[1:4]
	s_waitcnt lgkmcnt(0)
	s_barrier
	buffer_gl0_inv
	v_cmpx_gt_u32_e32 18, v57
	s_cbranch_execz .LBB21_87
; %bb.84:
	v_dual_mov_b32 v1, 0 :: v_dual_add_nc_u32 v8, 0x160, v79
	v_dual_mov_b32 v2, 0 :: v_dual_add_nc_u32 v7, -1, v57
	v_or_b32_e32 v9, 8, v80
	s_mov_b32 s3, 0
	s_delay_alu instid0(VALU_DEP_2)
	v_dual_mov_b32 v4, v2 :: v_dual_mov_b32 v3, v1
	.p2align	6
.LBB21_85:                              ; =>This Inner Loop Header: Depth=1
	scratch_load_b128 v[81:84], v9, off offset:-8
	ds_load_b128 v[85:88], v8
	v_add_nc_u32_e32 v7, 1, v7
	v_add_nc_u32_e32 v8, 16, v8
	;; [unrolled: 1-line block ×3, first 2 shown]
	s_delay_alu instid0(VALU_DEP_3) | instskip(SKIP_4) | instid1(VALU_DEP_2)
	v_cmp_lt_u32_e32 vcc_lo, 16, v7
	s_or_b32 s3, vcc_lo, s3
	s_waitcnt vmcnt(0) lgkmcnt(0)
	v_mul_f64 v[10:11], v[87:88], v[83:84]
	v_mul_f64 v[83:84], v[85:86], v[83:84]
	v_fma_f64 v[10:11], v[85:86], v[81:82], -v[10:11]
	s_delay_alu instid0(VALU_DEP_2) | instskip(NEXT) | instid1(VALU_DEP_2)
	v_fma_f64 v[81:82], v[87:88], v[81:82], v[83:84]
	v_add_f64 v[3:4], v[3:4], v[10:11]
	s_delay_alu instid0(VALU_DEP_2)
	v_add_f64 v[1:2], v[1:2], v[81:82]
	s_and_not1_b32 exec_lo, exec_lo, s3
	s_cbranch_execnz .LBB21_85
; %bb.86:
	s_or_b32 exec_lo, exec_lo, s3
	v_mov_b32_e32 v7, 0
	ds_load_b128 v[7:10], v7 offset:288
	s_waitcnt lgkmcnt(0)
	v_mul_f64 v[11:12], v[1:2], v[9:10]
	v_mul_f64 v[81:82], v[3:4], v[9:10]
	s_delay_alu instid0(VALU_DEP_2) | instskip(NEXT) | instid1(VALU_DEP_2)
	v_fma_f64 v[9:10], v[3:4], v[7:8], -v[11:12]
	v_fma_f64 v[11:12], v[1:2], v[7:8], v[81:82]
	scratch_store_b128 off, v[9:12], off offset:288
.LBB21_87:
	s_or_b32 exec_lo, exec_lo, s2
	s_waitcnt_vscnt null, 0x0
	s_barrier
	buffer_gl0_inv
	scratch_load_b128 v[1:4], v75, off
	s_mov_b32 s2, exec_lo
	s_waitcnt vmcnt(0)
	ds_store_b128 v5, v[1:4]
	s_waitcnt lgkmcnt(0)
	s_barrier
	buffer_gl0_inv
	v_cmpx_gt_u32_e32 19, v57
	s_cbranch_execz .LBB21_91
; %bb.88:
	v_dual_mov_b32 v1, 0 :: v_dual_add_nc_u32 v8, 0x160, v79
	v_dual_mov_b32 v2, 0 :: v_dual_add_nc_u32 v7, -1, v57
	v_or_b32_e32 v9, 8, v80
	s_mov_b32 s3, 0
	s_delay_alu instid0(VALU_DEP_2)
	v_dual_mov_b32 v4, v2 :: v_dual_mov_b32 v3, v1
	.p2align	6
.LBB21_89:                              ; =>This Inner Loop Header: Depth=1
	scratch_load_b128 v[81:84], v9, off offset:-8
	ds_load_b128 v[85:88], v8
	v_add_nc_u32_e32 v7, 1, v7
	v_add_nc_u32_e32 v8, 16, v8
	;; [unrolled: 1-line block ×3, first 2 shown]
	s_delay_alu instid0(VALU_DEP_3) | instskip(SKIP_4) | instid1(VALU_DEP_2)
	v_cmp_lt_u32_e32 vcc_lo, 17, v7
	s_or_b32 s3, vcc_lo, s3
	s_waitcnt vmcnt(0) lgkmcnt(0)
	v_mul_f64 v[10:11], v[87:88], v[83:84]
	v_mul_f64 v[83:84], v[85:86], v[83:84]
	v_fma_f64 v[10:11], v[85:86], v[81:82], -v[10:11]
	s_delay_alu instid0(VALU_DEP_2) | instskip(NEXT) | instid1(VALU_DEP_2)
	v_fma_f64 v[81:82], v[87:88], v[81:82], v[83:84]
	v_add_f64 v[3:4], v[3:4], v[10:11]
	s_delay_alu instid0(VALU_DEP_2)
	v_add_f64 v[1:2], v[1:2], v[81:82]
	s_and_not1_b32 exec_lo, exec_lo, s3
	s_cbranch_execnz .LBB21_89
; %bb.90:
	s_or_b32 exec_lo, exec_lo, s3
	v_mov_b32_e32 v7, 0
	ds_load_b128 v[7:10], v7 offset:304
	s_waitcnt lgkmcnt(0)
	v_mul_f64 v[11:12], v[1:2], v[9:10]
	v_mul_f64 v[81:82], v[3:4], v[9:10]
	s_delay_alu instid0(VALU_DEP_2) | instskip(NEXT) | instid1(VALU_DEP_2)
	v_fma_f64 v[9:10], v[3:4], v[7:8], -v[11:12]
	v_fma_f64 v[11:12], v[1:2], v[7:8], v[81:82]
	scratch_store_b128 off, v[9:12], off offset:304
.LBB21_91:
	s_or_b32 exec_lo, exec_lo, s2
	s_waitcnt_vscnt null, 0x0
	s_barrier
	buffer_gl0_inv
	scratch_load_b128 v[1:4], v78, off
	s_mov_b32 s2, exec_lo
	s_waitcnt vmcnt(0)
	ds_store_b128 v5, v[1:4]
	s_waitcnt lgkmcnt(0)
	s_barrier
	buffer_gl0_inv
	v_cmpx_gt_u32_e32 20, v57
	s_cbranch_execz .LBB21_95
; %bb.92:
	v_dual_mov_b32 v1, 0 :: v_dual_add_nc_u32 v8, 0x160, v79
	v_dual_mov_b32 v2, 0 :: v_dual_add_nc_u32 v7, -1, v57
	v_or_b32_e32 v9, 8, v80
	s_mov_b32 s3, 0
	s_delay_alu instid0(VALU_DEP_2)
	v_dual_mov_b32 v4, v2 :: v_dual_mov_b32 v3, v1
	.p2align	6
.LBB21_93:                              ; =>This Inner Loop Header: Depth=1
	scratch_load_b128 v[81:84], v9, off offset:-8
	ds_load_b128 v[85:88], v8
	v_add_nc_u32_e32 v7, 1, v7
	v_add_nc_u32_e32 v8, 16, v8
	;; [unrolled: 1-line block ×3, first 2 shown]
	s_delay_alu instid0(VALU_DEP_3) | instskip(SKIP_4) | instid1(VALU_DEP_2)
	v_cmp_lt_u32_e32 vcc_lo, 18, v7
	s_or_b32 s3, vcc_lo, s3
	s_waitcnt vmcnt(0) lgkmcnt(0)
	v_mul_f64 v[10:11], v[87:88], v[83:84]
	v_mul_f64 v[83:84], v[85:86], v[83:84]
	v_fma_f64 v[10:11], v[85:86], v[81:82], -v[10:11]
	s_delay_alu instid0(VALU_DEP_2) | instskip(NEXT) | instid1(VALU_DEP_2)
	v_fma_f64 v[81:82], v[87:88], v[81:82], v[83:84]
	v_add_f64 v[3:4], v[3:4], v[10:11]
	s_delay_alu instid0(VALU_DEP_2)
	v_add_f64 v[1:2], v[1:2], v[81:82]
	s_and_not1_b32 exec_lo, exec_lo, s3
	s_cbranch_execnz .LBB21_93
; %bb.94:
	s_or_b32 exec_lo, exec_lo, s3
	v_mov_b32_e32 v7, 0
	ds_load_b128 v[7:10], v7 offset:320
	s_waitcnt lgkmcnt(0)
	v_mul_f64 v[11:12], v[1:2], v[9:10]
	v_mul_f64 v[81:82], v[3:4], v[9:10]
	s_delay_alu instid0(VALU_DEP_2) | instskip(NEXT) | instid1(VALU_DEP_2)
	v_fma_f64 v[9:10], v[3:4], v[7:8], -v[11:12]
	v_fma_f64 v[11:12], v[1:2], v[7:8], v[81:82]
	scratch_store_b128 off, v[9:12], off offset:320
.LBB21_95:
	s_or_b32 exec_lo, exec_lo, s2
	s_waitcnt_vscnt null, 0x0
	s_barrier
	buffer_gl0_inv
	scratch_load_b128 v[1:4], v77, off
	s_mov_b32 s2, exec_lo
	s_waitcnt vmcnt(0)
	ds_store_b128 v5, v[1:4]
	s_waitcnt lgkmcnt(0)
	s_barrier
	buffer_gl0_inv
	v_cmpx_ne_u32_e32 21, v57
	s_cbranch_execz .LBB21_99
; %bb.96:
	v_mov_b32_e32 v1, 0
	v_mov_b32_e32 v2, 0
	v_or_b32_e32 v7, 8, v80
	s_mov_b32 s3, 0
	s_delay_alu instid0(VALU_DEP_2)
	v_dual_mov_b32 v4, v2 :: v_dual_mov_b32 v3, v1
	.p2align	6
.LBB21_97:                              ; =>This Inner Loop Header: Depth=1
	scratch_load_b128 v[8:11], v7, off offset:-8
	ds_load_b128 v[79:82], v5
	v_add_nc_u32_e32 v6, 1, v6
	v_add_nc_u32_e32 v5, 16, v5
	;; [unrolled: 1-line block ×3, first 2 shown]
	s_delay_alu instid0(VALU_DEP_3) | instskip(SKIP_4) | instid1(VALU_DEP_2)
	v_cmp_lt_u32_e32 vcc_lo, 19, v6
	s_or_b32 s3, vcc_lo, s3
	s_waitcnt vmcnt(0) lgkmcnt(0)
	v_mul_f64 v[83:84], v[81:82], v[10:11]
	v_mul_f64 v[10:11], v[79:80], v[10:11]
	v_fma_f64 v[79:80], v[79:80], v[8:9], -v[83:84]
	s_delay_alu instid0(VALU_DEP_2) | instskip(NEXT) | instid1(VALU_DEP_2)
	v_fma_f64 v[8:9], v[81:82], v[8:9], v[10:11]
	v_add_f64 v[3:4], v[3:4], v[79:80]
	s_delay_alu instid0(VALU_DEP_2)
	v_add_f64 v[1:2], v[1:2], v[8:9]
	s_and_not1_b32 exec_lo, exec_lo, s3
	s_cbranch_execnz .LBB21_97
; %bb.98:
	s_or_b32 exec_lo, exec_lo, s3
	v_mov_b32_e32 v5, 0
	ds_load_b128 v[5:8], v5 offset:336
	s_waitcnt lgkmcnt(0)
	v_mul_f64 v[9:10], v[1:2], v[7:8]
	v_mul_f64 v[7:8], v[3:4], v[7:8]
	s_delay_alu instid0(VALU_DEP_2) | instskip(NEXT) | instid1(VALU_DEP_2)
	v_fma_f64 v[3:4], v[3:4], v[5:6], -v[9:10]
	v_fma_f64 v[5:6], v[1:2], v[5:6], v[7:8]
	scratch_store_b128 off, v[3:6], off offset:336
.LBB21_99:
	s_or_b32 exec_lo, exec_lo, s2
	s_mov_b32 s3, -1
	s_waitcnt_vscnt null, 0x0
	s_barrier
	buffer_gl0_inv
.LBB21_100:
	s_and_b32 vcc_lo, exec_lo, s3
	s_cbranch_vccz .LBB21_102
; %bb.101:
	s_lshl_b64 s[2:3], s[18:19], 2
	v_mov_b32_e32 v1, 0
	s_add_u32 s2, s6, s2
	s_addc_u32 s3, s7, s3
	global_load_b32 v1, v1, s[2:3]
	s_waitcnt vmcnt(0)
	v_cmp_ne_u32_e32 vcc_lo, 0, v1
	s_cbranch_vccz .LBB21_103
.LBB21_102:
	s_endpgm
.LBB21_103:
	v_lshl_add_u32 v5, v57, 4, 0x160
	s_mov_b32 s2, exec_lo
	v_cmpx_eq_u32_e32 21, v57
	s_cbranch_execz .LBB21_105
; %bb.104:
	scratch_load_b128 v[1:4], v78, off
	v_mov_b32_e32 v6, 0
	s_delay_alu instid0(VALU_DEP_1)
	v_mov_b32_e32 v7, v6
	v_mov_b32_e32 v8, v6
	;; [unrolled: 1-line block ×3, first 2 shown]
	scratch_store_b128 off, v[6:9], off offset:320
	s_waitcnt vmcnt(0)
	ds_store_b128 v5, v[1:4]
.LBB21_105:
	s_or_b32 exec_lo, exec_lo, s2
	s_waitcnt lgkmcnt(0)
	s_waitcnt_vscnt null, 0x0
	s_barrier
	buffer_gl0_inv
	s_clause 0x1
	scratch_load_b128 v[6:9], off, off offset:336
	scratch_load_b128 v[79:82], off, off offset:320
	v_mov_b32_e32 v1, 0
	s_mov_b32 s2, exec_lo
	ds_load_b128 v[83:86], v1 offset:688
	s_waitcnt vmcnt(1) lgkmcnt(0)
	v_mul_f64 v[2:3], v[85:86], v[8:9]
	v_mul_f64 v[8:9], v[83:84], v[8:9]
	s_delay_alu instid0(VALU_DEP_2) | instskip(NEXT) | instid1(VALU_DEP_2)
	v_fma_f64 v[2:3], v[83:84], v[6:7], -v[2:3]
	v_fma_f64 v[6:7], v[85:86], v[6:7], v[8:9]
	s_delay_alu instid0(VALU_DEP_2) | instskip(NEXT) | instid1(VALU_DEP_2)
	v_add_f64 v[2:3], v[2:3], 0
	v_add_f64 v[8:9], v[6:7], 0
	s_waitcnt vmcnt(0)
	s_delay_alu instid0(VALU_DEP_2) | instskip(NEXT) | instid1(VALU_DEP_2)
	v_add_f64 v[6:7], v[79:80], -v[2:3]
	v_add_f64 v[8:9], v[81:82], -v[8:9]
	scratch_store_b128 off, v[6:9], off offset:320
	v_cmpx_lt_u32_e32 19, v57
	s_cbranch_execz .LBB21_107
; %bb.106:
	scratch_load_b128 v[6:9], v75, off
	v_mov_b32_e32 v2, v1
	v_mov_b32_e32 v3, v1
	;; [unrolled: 1-line block ×3, first 2 shown]
	scratch_store_b128 off, v[1:4], off offset:304
	s_waitcnt vmcnt(0)
	ds_store_b128 v5, v[6:9]
.LBB21_107:
	s_or_b32 exec_lo, exec_lo, s2
	s_waitcnt lgkmcnt(0)
	s_waitcnt_vscnt null, 0x0
	s_barrier
	buffer_gl0_inv
	s_clause 0x2
	scratch_load_b128 v[6:9], off, off offset:320
	scratch_load_b128 v[79:82], off, off offset:336
	;; [unrolled: 1-line block ×3, first 2 shown]
	ds_load_b128 v[87:90], v1 offset:672
	ds_load_b128 v[1:4], v1 offset:688
	s_mov_b32 s2, exec_lo
	s_waitcnt vmcnt(2) lgkmcnt(1)
	v_mul_f64 v[10:11], v[89:90], v[8:9]
	v_mul_f64 v[8:9], v[87:88], v[8:9]
	s_waitcnt vmcnt(1) lgkmcnt(0)
	v_mul_f64 v[91:92], v[1:2], v[81:82]
	v_mul_f64 v[81:82], v[3:4], v[81:82]
	s_delay_alu instid0(VALU_DEP_4) | instskip(NEXT) | instid1(VALU_DEP_4)
	v_fma_f64 v[10:11], v[87:88], v[6:7], -v[10:11]
	v_fma_f64 v[6:7], v[89:90], v[6:7], v[8:9]
	s_delay_alu instid0(VALU_DEP_4) | instskip(NEXT) | instid1(VALU_DEP_4)
	v_fma_f64 v[3:4], v[3:4], v[79:80], v[91:92]
	v_fma_f64 v[1:2], v[1:2], v[79:80], -v[81:82]
	s_delay_alu instid0(VALU_DEP_4) | instskip(NEXT) | instid1(VALU_DEP_4)
	v_add_f64 v[8:9], v[10:11], 0
	v_add_f64 v[6:7], v[6:7], 0
	s_delay_alu instid0(VALU_DEP_2) | instskip(NEXT) | instid1(VALU_DEP_2)
	v_add_f64 v[1:2], v[8:9], v[1:2]
	v_add_f64 v[3:4], v[6:7], v[3:4]
	s_waitcnt vmcnt(0)
	s_delay_alu instid0(VALU_DEP_2) | instskip(NEXT) | instid1(VALU_DEP_2)
	v_add_f64 v[1:2], v[83:84], -v[1:2]
	v_add_f64 v[3:4], v[85:86], -v[3:4]
	scratch_store_b128 off, v[1:4], off offset:304
	v_cmpx_lt_u32_e32 18, v57
	s_cbranch_execz .LBB21_109
; %bb.108:
	scratch_load_b128 v[1:4], v76, off
	v_mov_b32_e32 v6, 0
	s_delay_alu instid0(VALU_DEP_1)
	v_mov_b32_e32 v7, v6
	v_mov_b32_e32 v8, v6
	;; [unrolled: 1-line block ×3, first 2 shown]
	scratch_store_b128 off, v[6:9], off offset:288
	s_waitcnt vmcnt(0)
	ds_store_b128 v5, v[1:4]
.LBB21_109:
	s_or_b32 exec_lo, exec_lo, s2
	s_waitcnt lgkmcnt(0)
	s_waitcnt_vscnt null, 0x0
	s_barrier
	buffer_gl0_inv
	s_clause 0x3
	scratch_load_b128 v[6:9], off, off offset:304
	scratch_load_b128 v[79:82], off, off offset:320
	;; [unrolled: 1-line block ×4, first 2 shown]
	v_mov_b32_e32 v1, 0
	ds_load_b128 v[91:94], v1 offset:656
	ds_load_b128 v[95:98], v1 offset:672
	s_mov_b32 s2, exec_lo
	s_waitcnt vmcnt(3) lgkmcnt(1)
	v_mul_f64 v[2:3], v[93:94], v[8:9]
	v_mul_f64 v[8:9], v[91:92], v[8:9]
	s_waitcnt vmcnt(2) lgkmcnt(0)
	v_mul_f64 v[10:11], v[95:96], v[81:82]
	v_mul_f64 v[81:82], v[97:98], v[81:82]
	s_delay_alu instid0(VALU_DEP_4) | instskip(NEXT) | instid1(VALU_DEP_4)
	v_fma_f64 v[2:3], v[91:92], v[6:7], -v[2:3]
	v_fma_f64 v[91:92], v[93:94], v[6:7], v[8:9]
	ds_load_b128 v[6:9], v1 offset:688
	v_fma_f64 v[10:11], v[97:98], v[79:80], v[10:11]
	v_fma_f64 v[79:80], v[95:96], v[79:80], -v[81:82]
	s_waitcnt vmcnt(1) lgkmcnt(0)
	v_mul_f64 v[93:94], v[6:7], v[85:86]
	v_mul_f64 v[85:86], v[8:9], v[85:86]
	v_add_f64 v[2:3], v[2:3], 0
	v_add_f64 v[81:82], v[91:92], 0
	s_delay_alu instid0(VALU_DEP_4) | instskip(NEXT) | instid1(VALU_DEP_4)
	v_fma_f64 v[8:9], v[8:9], v[83:84], v[93:94]
	v_fma_f64 v[6:7], v[6:7], v[83:84], -v[85:86]
	s_delay_alu instid0(VALU_DEP_4) | instskip(NEXT) | instid1(VALU_DEP_4)
	v_add_f64 v[2:3], v[2:3], v[79:80]
	v_add_f64 v[10:11], v[81:82], v[10:11]
	s_delay_alu instid0(VALU_DEP_2) | instskip(NEXT) | instid1(VALU_DEP_2)
	v_add_f64 v[2:3], v[2:3], v[6:7]
	v_add_f64 v[8:9], v[10:11], v[8:9]
	s_waitcnt vmcnt(0)
	s_delay_alu instid0(VALU_DEP_2) | instskip(NEXT) | instid1(VALU_DEP_2)
	v_add_f64 v[6:7], v[87:88], -v[2:3]
	v_add_f64 v[8:9], v[89:90], -v[8:9]
	scratch_store_b128 off, v[6:9], off offset:288
	v_cmpx_lt_u32_e32 17, v57
	s_cbranch_execz .LBB21_111
; %bb.110:
	scratch_load_b128 v[6:9], v73, off
	v_mov_b32_e32 v2, v1
	v_mov_b32_e32 v3, v1
	;; [unrolled: 1-line block ×3, first 2 shown]
	scratch_store_b128 off, v[1:4], off offset:272
	s_waitcnt vmcnt(0)
	ds_store_b128 v5, v[6:9]
.LBB21_111:
	s_or_b32 exec_lo, exec_lo, s2
	s_waitcnt lgkmcnt(0)
	s_waitcnt_vscnt null, 0x0
	s_barrier
	buffer_gl0_inv
	s_clause 0x4
	scratch_load_b128 v[6:9], off, off offset:288
	scratch_load_b128 v[79:82], off, off offset:304
	scratch_load_b128 v[83:86], off, off offset:320
	scratch_load_b128 v[87:90], off, off offset:336
	scratch_load_b128 v[91:94], off, off offset:272
	ds_load_b128 v[95:98], v1 offset:640
	ds_load_b128 v[99:102], v1 offset:656
	s_mov_b32 s2, exec_lo
	s_waitcnt vmcnt(4) lgkmcnt(1)
	v_mul_f64 v[2:3], v[97:98], v[8:9]
	v_mul_f64 v[8:9], v[95:96], v[8:9]
	s_waitcnt vmcnt(3) lgkmcnt(0)
	v_mul_f64 v[10:11], v[99:100], v[81:82]
	v_mul_f64 v[81:82], v[101:102], v[81:82]
	s_delay_alu instid0(VALU_DEP_4) | instskip(NEXT) | instid1(VALU_DEP_4)
	v_fma_f64 v[95:96], v[95:96], v[6:7], -v[2:3]
	v_fma_f64 v[97:98], v[97:98], v[6:7], v[8:9]
	ds_load_b128 v[6:9], v1 offset:672
	ds_load_b128 v[1:4], v1 offset:688
	v_fma_f64 v[10:11], v[101:102], v[79:80], v[10:11]
	v_fma_f64 v[79:80], v[99:100], v[79:80], -v[81:82]
	s_waitcnt vmcnt(2) lgkmcnt(1)
	v_mul_f64 v[103:104], v[6:7], v[85:86]
	v_mul_f64 v[85:86], v[8:9], v[85:86]
	v_add_f64 v[81:82], v[95:96], 0
	v_add_f64 v[95:96], v[97:98], 0
	s_waitcnt vmcnt(1) lgkmcnt(0)
	v_mul_f64 v[97:98], v[1:2], v[89:90]
	v_mul_f64 v[89:90], v[3:4], v[89:90]
	v_fma_f64 v[8:9], v[8:9], v[83:84], v[103:104]
	v_fma_f64 v[6:7], v[6:7], v[83:84], -v[85:86]
	v_add_f64 v[79:80], v[81:82], v[79:80]
	v_add_f64 v[10:11], v[95:96], v[10:11]
	v_fma_f64 v[3:4], v[3:4], v[87:88], v[97:98]
	v_fma_f64 v[1:2], v[1:2], v[87:88], -v[89:90]
	s_delay_alu instid0(VALU_DEP_4) | instskip(NEXT) | instid1(VALU_DEP_4)
	v_add_f64 v[6:7], v[79:80], v[6:7]
	v_add_f64 v[8:9], v[10:11], v[8:9]
	s_delay_alu instid0(VALU_DEP_2) | instskip(NEXT) | instid1(VALU_DEP_2)
	v_add_f64 v[1:2], v[6:7], v[1:2]
	v_add_f64 v[3:4], v[8:9], v[3:4]
	s_waitcnt vmcnt(0)
	s_delay_alu instid0(VALU_DEP_2) | instskip(NEXT) | instid1(VALU_DEP_2)
	v_add_f64 v[1:2], v[91:92], -v[1:2]
	v_add_f64 v[3:4], v[93:94], -v[3:4]
	scratch_store_b128 off, v[1:4], off offset:272
	v_cmpx_lt_u32_e32 16, v57
	s_cbranch_execz .LBB21_113
; %bb.112:
	scratch_load_b128 v[1:4], v74, off
	v_mov_b32_e32 v6, 0
	s_delay_alu instid0(VALU_DEP_1)
	v_mov_b32_e32 v7, v6
	v_mov_b32_e32 v8, v6
	v_mov_b32_e32 v9, v6
	scratch_store_b128 off, v[6:9], off offset:256
	s_waitcnt vmcnt(0)
	ds_store_b128 v5, v[1:4]
.LBB21_113:
	s_or_b32 exec_lo, exec_lo, s2
	s_waitcnt lgkmcnt(0)
	s_waitcnt_vscnt null, 0x0
	s_barrier
	buffer_gl0_inv
	s_clause 0x5
	scratch_load_b128 v[6:9], off, off offset:272
	scratch_load_b128 v[79:82], off, off offset:288
	;; [unrolled: 1-line block ×6, first 2 shown]
	v_mov_b32_e32 v1, 0
	ds_load_b128 v[99:102], v1 offset:624
	ds_load_b128 v[103:106], v1 offset:640
	s_mov_b32 s2, exec_lo
	s_waitcnt vmcnt(5) lgkmcnt(1)
	v_mul_f64 v[2:3], v[101:102], v[8:9]
	v_mul_f64 v[8:9], v[99:100], v[8:9]
	s_waitcnt vmcnt(4) lgkmcnt(0)
	v_mul_f64 v[10:11], v[103:104], v[81:82]
	v_mul_f64 v[81:82], v[105:106], v[81:82]
	s_delay_alu instid0(VALU_DEP_4) | instskip(NEXT) | instid1(VALU_DEP_4)
	v_fma_f64 v[2:3], v[99:100], v[6:7], -v[2:3]
	v_fma_f64 v[107:108], v[101:102], v[6:7], v[8:9]
	ds_load_b128 v[6:9], v1 offset:656
	ds_load_b128 v[99:102], v1 offset:672
	v_fma_f64 v[10:11], v[105:106], v[79:80], v[10:11]
	v_fma_f64 v[79:80], v[103:104], v[79:80], -v[81:82]
	s_waitcnt vmcnt(3) lgkmcnt(1)
	v_mul_f64 v[109:110], v[6:7], v[85:86]
	v_mul_f64 v[85:86], v[8:9], v[85:86]
	s_waitcnt vmcnt(2) lgkmcnt(0)
	v_mul_f64 v[103:104], v[99:100], v[89:90]
	v_mul_f64 v[89:90], v[101:102], v[89:90]
	v_add_f64 v[2:3], v[2:3], 0
	v_add_f64 v[81:82], v[107:108], 0
	v_fma_f64 v[105:106], v[8:9], v[83:84], v[109:110]
	v_fma_f64 v[83:84], v[6:7], v[83:84], -v[85:86]
	ds_load_b128 v[6:9], v1 offset:688
	v_fma_f64 v[85:86], v[101:102], v[87:88], v[103:104]
	v_fma_f64 v[87:88], v[99:100], v[87:88], -v[89:90]
	v_add_f64 v[2:3], v[2:3], v[79:80]
	v_add_f64 v[10:11], v[81:82], v[10:11]
	s_waitcnt vmcnt(1) lgkmcnt(0)
	v_mul_f64 v[79:80], v[6:7], v[93:94]
	v_mul_f64 v[81:82], v[8:9], v[93:94]
	s_delay_alu instid0(VALU_DEP_4) | instskip(NEXT) | instid1(VALU_DEP_4)
	v_add_f64 v[2:3], v[2:3], v[83:84]
	v_add_f64 v[10:11], v[10:11], v[105:106]
	s_delay_alu instid0(VALU_DEP_4) | instskip(NEXT) | instid1(VALU_DEP_4)
	v_fma_f64 v[8:9], v[8:9], v[91:92], v[79:80]
	v_fma_f64 v[6:7], v[6:7], v[91:92], -v[81:82]
	s_delay_alu instid0(VALU_DEP_4) | instskip(NEXT) | instid1(VALU_DEP_4)
	v_add_f64 v[2:3], v[2:3], v[87:88]
	v_add_f64 v[10:11], v[10:11], v[85:86]
	s_delay_alu instid0(VALU_DEP_2) | instskip(NEXT) | instid1(VALU_DEP_2)
	v_add_f64 v[2:3], v[2:3], v[6:7]
	v_add_f64 v[8:9], v[10:11], v[8:9]
	s_waitcnt vmcnt(0)
	s_delay_alu instid0(VALU_DEP_2) | instskip(NEXT) | instid1(VALU_DEP_2)
	v_add_f64 v[6:7], v[95:96], -v[2:3]
	v_add_f64 v[8:9], v[97:98], -v[8:9]
	scratch_store_b128 off, v[6:9], off offset:256
	v_cmpx_lt_u32_e32 15, v57
	s_cbranch_execz .LBB21_115
; %bb.114:
	scratch_load_b128 v[6:9], v71, off
	v_mov_b32_e32 v2, v1
	v_mov_b32_e32 v3, v1
	;; [unrolled: 1-line block ×3, first 2 shown]
	scratch_store_b128 off, v[1:4], off offset:240
	s_waitcnt vmcnt(0)
	ds_store_b128 v5, v[6:9]
.LBB21_115:
	s_or_b32 exec_lo, exec_lo, s2
	s_waitcnt lgkmcnt(0)
	s_waitcnt_vscnt null, 0x0
	s_barrier
	buffer_gl0_inv
	s_clause 0x5
	scratch_load_b128 v[6:9], off, off offset:256
	scratch_load_b128 v[79:82], off, off offset:272
	;; [unrolled: 1-line block ×6, first 2 shown]
	ds_load_b128 v[99:102], v1 offset:608
	ds_load_b128 v[107:110], v1 offset:624
	scratch_load_b128 v[103:106], off, off offset:240
	s_mov_b32 s2, exec_lo
	s_waitcnt vmcnt(6) lgkmcnt(1)
	v_mul_f64 v[2:3], v[101:102], v[8:9]
	v_mul_f64 v[8:9], v[99:100], v[8:9]
	s_waitcnt vmcnt(5) lgkmcnt(0)
	v_mul_f64 v[10:11], v[107:108], v[81:82]
	v_mul_f64 v[81:82], v[109:110], v[81:82]
	s_delay_alu instid0(VALU_DEP_4) | instskip(NEXT) | instid1(VALU_DEP_4)
	v_fma_f64 v[2:3], v[99:100], v[6:7], -v[2:3]
	v_fma_f64 v[111:112], v[101:102], v[6:7], v[8:9]
	ds_load_b128 v[6:9], v1 offset:640
	ds_load_b128 v[99:102], v1 offset:656
	v_fma_f64 v[10:11], v[109:110], v[79:80], v[10:11]
	v_fma_f64 v[79:80], v[107:108], v[79:80], -v[81:82]
	s_waitcnt vmcnt(4) lgkmcnt(1)
	v_mul_f64 v[113:114], v[6:7], v[85:86]
	v_mul_f64 v[85:86], v[8:9], v[85:86]
	s_waitcnt vmcnt(3) lgkmcnt(0)
	v_mul_f64 v[107:108], v[99:100], v[89:90]
	v_mul_f64 v[89:90], v[101:102], v[89:90]
	v_add_f64 v[2:3], v[2:3], 0
	v_add_f64 v[81:82], v[111:112], 0
	v_fma_f64 v[109:110], v[8:9], v[83:84], v[113:114]
	v_fma_f64 v[83:84], v[6:7], v[83:84], -v[85:86]
	s_delay_alu instid0(VALU_DEP_4) | instskip(NEXT) | instid1(VALU_DEP_4)
	v_add_f64 v[79:80], v[2:3], v[79:80]
	v_add_f64 v[10:11], v[81:82], v[10:11]
	ds_load_b128 v[6:9], v1 offset:672
	ds_load_b128 v[1:4], v1 offset:688
	s_waitcnt vmcnt(2) lgkmcnt(1)
	v_mul_f64 v[81:82], v[6:7], v[93:94]
	v_mul_f64 v[85:86], v[8:9], v[93:94]
	v_fma_f64 v[93:94], v[101:102], v[87:88], v[107:108]
	v_fma_f64 v[87:88], v[99:100], v[87:88], -v[89:90]
	s_waitcnt vmcnt(1) lgkmcnt(0)
	v_mul_f64 v[89:90], v[3:4], v[97:98]
	v_add_f64 v[79:80], v[79:80], v[83:84]
	v_add_f64 v[10:11], v[10:11], v[109:110]
	v_mul_f64 v[83:84], v[1:2], v[97:98]
	v_fma_f64 v[8:9], v[8:9], v[91:92], v[81:82]
	v_fma_f64 v[6:7], v[6:7], v[91:92], -v[85:86]
	v_fma_f64 v[1:2], v[1:2], v[95:96], -v[89:90]
	v_add_f64 v[79:80], v[79:80], v[87:88]
	v_add_f64 v[10:11], v[10:11], v[93:94]
	v_fma_f64 v[3:4], v[3:4], v[95:96], v[83:84]
	s_delay_alu instid0(VALU_DEP_3) | instskip(NEXT) | instid1(VALU_DEP_3)
	v_add_f64 v[6:7], v[79:80], v[6:7]
	v_add_f64 v[8:9], v[10:11], v[8:9]
	s_delay_alu instid0(VALU_DEP_2) | instskip(NEXT) | instid1(VALU_DEP_2)
	v_add_f64 v[1:2], v[6:7], v[1:2]
	v_add_f64 v[3:4], v[8:9], v[3:4]
	s_waitcnt vmcnt(0)
	s_delay_alu instid0(VALU_DEP_2) | instskip(NEXT) | instid1(VALU_DEP_2)
	v_add_f64 v[1:2], v[103:104], -v[1:2]
	v_add_f64 v[3:4], v[105:106], -v[3:4]
	scratch_store_b128 off, v[1:4], off offset:240
	v_cmpx_lt_u32_e32 14, v57
	s_cbranch_execz .LBB21_117
; %bb.116:
	scratch_load_b128 v[1:4], v72, off
	v_mov_b32_e32 v6, 0
	s_delay_alu instid0(VALU_DEP_1)
	v_mov_b32_e32 v7, v6
	v_mov_b32_e32 v8, v6
	;; [unrolled: 1-line block ×3, first 2 shown]
	scratch_store_b128 off, v[6:9], off offset:224
	s_waitcnt vmcnt(0)
	ds_store_b128 v5, v[1:4]
.LBB21_117:
	s_or_b32 exec_lo, exec_lo, s2
	s_waitcnt lgkmcnt(0)
	s_waitcnt_vscnt null, 0x0
	s_barrier
	buffer_gl0_inv
	s_clause 0x6
	scratch_load_b128 v[6:9], off, off offset:240
	scratch_load_b128 v[79:82], off, off offset:256
	;; [unrolled: 1-line block ×7, first 2 shown]
	v_mov_b32_e32 v1, 0
	scratch_load_b128 v[107:110], off, off offset:224
	s_mov_b32 s2, exec_lo
	ds_load_b128 v[103:106], v1 offset:592
	ds_load_b128 v[111:114], v1 offset:608
	s_waitcnt vmcnt(7) lgkmcnt(1)
	v_mul_f64 v[2:3], v[105:106], v[8:9]
	v_mul_f64 v[8:9], v[103:104], v[8:9]
	s_waitcnt vmcnt(6) lgkmcnt(0)
	v_mul_f64 v[10:11], v[111:112], v[81:82]
	v_mul_f64 v[81:82], v[113:114], v[81:82]
	s_delay_alu instid0(VALU_DEP_4) | instskip(NEXT) | instid1(VALU_DEP_4)
	v_fma_f64 v[2:3], v[103:104], v[6:7], -v[2:3]
	v_fma_f64 v[115:116], v[105:106], v[6:7], v[8:9]
	ds_load_b128 v[6:9], v1 offset:624
	ds_load_b128 v[103:106], v1 offset:640
	v_fma_f64 v[10:11], v[113:114], v[79:80], v[10:11]
	v_fma_f64 v[79:80], v[111:112], v[79:80], -v[81:82]
	s_waitcnt vmcnt(5) lgkmcnt(1)
	v_mul_f64 v[117:118], v[6:7], v[85:86]
	v_mul_f64 v[85:86], v[8:9], v[85:86]
	s_waitcnt vmcnt(4) lgkmcnt(0)
	v_mul_f64 v[111:112], v[103:104], v[89:90]
	v_mul_f64 v[89:90], v[105:106], v[89:90]
	v_add_f64 v[2:3], v[2:3], 0
	v_add_f64 v[81:82], v[115:116], 0
	v_fma_f64 v[113:114], v[8:9], v[83:84], v[117:118]
	v_fma_f64 v[83:84], v[6:7], v[83:84], -v[85:86]
	v_fma_f64 v[105:106], v[105:106], v[87:88], v[111:112]
	v_fma_f64 v[87:88], v[103:104], v[87:88], -v[89:90]
	v_add_f64 v[2:3], v[2:3], v[79:80]
	v_add_f64 v[10:11], v[81:82], v[10:11]
	ds_load_b128 v[6:9], v1 offset:656
	ds_load_b128 v[79:82], v1 offset:672
	s_waitcnt vmcnt(3) lgkmcnt(1)
	v_mul_f64 v[85:86], v[6:7], v[93:94]
	v_mul_f64 v[93:94], v[8:9], v[93:94]
	s_waitcnt vmcnt(2) lgkmcnt(0)
	v_mul_f64 v[89:90], v[81:82], v[97:98]
	v_add_f64 v[2:3], v[2:3], v[83:84]
	v_add_f64 v[10:11], v[10:11], v[113:114]
	v_mul_f64 v[83:84], v[79:80], v[97:98]
	v_fma_f64 v[85:86], v[8:9], v[91:92], v[85:86]
	v_fma_f64 v[91:92], v[6:7], v[91:92], -v[93:94]
	ds_load_b128 v[6:9], v1 offset:688
	v_fma_f64 v[79:80], v[79:80], v[95:96], -v[89:90]
	v_add_f64 v[2:3], v[2:3], v[87:88]
	v_add_f64 v[10:11], v[10:11], v[105:106]
	v_fma_f64 v[81:82], v[81:82], v[95:96], v[83:84]
	s_waitcnt vmcnt(1) lgkmcnt(0)
	v_mul_f64 v[87:88], v[6:7], v[101:102]
	v_mul_f64 v[93:94], v[8:9], v[101:102]
	v_add_f64 v[2:3], v[2:3], v[91:92]
	v_add_f64 v[10:11], v[10:11], v[85:86]
	s_delay_alu instid0(VALU_DEP_4) | instskip(NEXT) | instid1(VALU_DEP_4)
	v_fma_f64 v[8:9], v[8:9], v[99:100], v[87:88]
	v_fma_f64 v[6:7], v[6:7], v[99:100], -v[93:94]
	s_delay_alu instid0(VALU_DEP_4) | instskip(NEXT) | instid1(VALU_DEP_4)
	v_add_f64 v[2:3], v[2:3], v[79:80]
	v_add_f64 v[10:11], v[10:11], v[81:82]
	s_delay_alu instid0(VALU_DEP_2) | instskip(NEXT) | instid1(VALU_DEP_2)
	v_add_f64 v[2:3], v[2:3], v[6:7]
	v_add_f64 v[8:9], v[10:11], v[8:9]
	s_waitcnt vmcnt(0)
	s_delay_alu instid0(VALU_DEP_2) | instskip(NEXT) | instid1(VALU_DEP_2)
	v_add_f64 v[6:7], v[107:108], -v[2:3]
	v_add_f64 v[8:9], v[109:110], -v[8:9]
	scratch_store_b128 off, v[6:9], off offset:224
	v_cmpx_lt_u32_e32 13, v57
	s_cbranch_execz .LBB21_119
; %bb.118:
	scratch_load_b128 v[6:9], v69, off
	v_mov_b32_e32 v2, v1
	v_mov_b32_e32 v3, v1
	;; [unrolled: 1-line block ×3, first 2 shown]
	scratch_store_b128 off, v[1:4], off offset:208
	s_waitcnt vmcnt(0)
	ds_store_b128 v5, v[6:9]
.LBB21_119:
	s_or_b32 exec_lo, exec_lo, s2
	s_waitcnt lgkmcnt(0)
	s_waitcnt_vscnt null, 0x0
	s_barrier
	buffer_gl0_inv
	s_clause 0x7
	scratch_load_b128 v[6:9], off, off offset:224
	scratch_load_b128 v[79:82], off, off offset:240
	;; [unrolled: 1-line block ×8, first 2 shown]
	ds_load_b128 v[107:110], v1 offset:576
	s_mov_b32 s2, exec_lo
	s_waitcnt vmcnt(7) lgkmcnt(0)
	v_mul_f64 v[2:3], v[109:110], v[8:9]
	v_mul_f64 v[111:112], v[107:108], v[8:9]
	ds_load_b128 v[8:11], v1 offset:592
	v_fma_f64 v[2:3], v[107:108], v[6:7], -v[2:3]
	v_fma_f64 v[6:7], v[109:110], v[6:7], v[111:112]
	ds_load_b128 v[107:110], v1 offset:608
	s_waitcnt vmcnt(6) lgkmcnt(1)
	v_mul_f64 v[115:116], v[8:9], v[81:82]
	v_mul_f64 v[81:82], v[10:11], v[81:82]
	scratch_load_b128 v[111:114], off, off offset:208
	s_waitcnt vmcnt(6) lgkmcnt(0)
	v_mul_f64 v[117:118], v[107:108], v[85:86]
	v_mul_f64 v[85:86], v[109:110], v[85:86]
	v_add_f64 v[2:3], v[2:3], 0
	v_fma_f64 v[10:11], v[10:11], v[79:80], v[115:116]
	v_fma_f64 v[79:80], v[8:9], v[79:80], -v[81:82]
	v_add_f64 v[81:82], v[6:7], 0
	ds_load_b128 v[6:9], v1 offset:624
	v_fma_f64 v[109:110], v[109:110], v[83:84], v[117:118]
	v_fma_f64 v[83:84], v[107:108], v[83:84], -v[85:86]
	v_add_f64 v[2:3], v[2:3], v[79:80]
	v_add_f64 v[10:11], v[81:82], v[10:11]
	ds_load_b128 v[79:82], v1 offset:640
	s_waitcnt vmcnt(5) lgkmcnt(1)
	v_mul_f64 v[115:116], v[6:7], v[89:90]
	v_mul_f64 v[89:90], v[8:9], v[89:90]
	s_waitcnt vmcnt(4) lgkmcnt(0)
	v_mul_f64 v[85:86], v[79:80], v[93:94]
	v_mul_f64 v[93:94], v[81:82], v[93:94]
	v_add_f64 v[2:3], v[2:3], v[83:84]
	v_add_f64 v[10:11], v[10:11], v[109:110]
	v_fma_f64 v[107:108], v[8:9], v[87:88], v[115:116]
	v_fma_f64 v[87:88], v[6:7], v[87:88], -v[89:90]
	ds_load_b128 v[6:9], v1 offset:656
	v_fma_f64 v[85:86], v[81:82], v[91:92], v[85:86]
	v_fma_f64 v[91:92], v[79:80], v[91:92], -v[93:94]
	ds_load_b128 v[79:82], v1 offset:672
	s_waitcnt vmcnt(3) lgkmcnt(1)
	v_mul_f64 v[83:84], v[6:7], v[97:98]
	v_mul_f64 v[89:90], v[8:9], v[97:98]
	v_add_f64 v[10:11], v[10:11], v[107:108]
	v_add_f64 v[2:3], v[2:3], v[87:88]
	s_waitcnt vmcnt(2) lgkmcnt(0)
	v_mul_f64 v[87:88], v[79:80], v[101:102]
	v_mul_f64 v[93:94], v[81:82], v[101:102]
	v_fma_f64 v[8:9], v[8:9], v[95:96], v[83:84]
	v_fma_f64 v[6:7], v[6:7], v[95:96], -v[89:90]
	v_add_f64 v[10:11], v[10:11], v[85:86]
	v_add_f64 v[83:84], v[2:3], v[91:92]
	ds_load_b128 v[1:4], v1 offset:688
	v_fma_f64 v[81:82], v[81:82], v[99:100], v[87:88]
	v_fma_f64 v[79:80], v[79:80], v[99:100], -v[93:94]
	s_waitcnt vmcnt(1) lgkmcnt(0)
	v_mul_f64 v[85:86], v[1:2], v[105:106]
	v_mul_f64 v[89:90], v[3:4], v[105:106]
	v_add_f64 v[8:9], v[10:11], v[8:9]
	v_add_f64 v[6:7], v[83:84], v[6:7]
	s_delay_alu instid0(VALU_DEP_4) | instskip(NEXT) | instid1(VALU_DEP_4)
	v_fma_f64 v[3:4], v[3:4], v[103:104], v[85:86]
	v_fma_f64 v[1:2], v[1:2], v[103:104], -v[89:90]
	s_delay_alu instid0(VALU_DEP_4) | instskip(NEXT) | instid1(VALU_DEP_4)
	v_add_f64 v[8:9], v[8:9], v[81:82]
	v_add_f64 v[6:7], v[6:7], v[79:80]
	s_delay_alu instid0(VALU_DEP_2) | instskip(NEXT) | instid1(VALU_DEP_2)
	v_add_f64 v[3:4], v[8:9], v[3:4]
	v_add_f64 v[1:2], v[6:7], v[1:2]
	s_waitcnt vmcnt(0)
	s_delay_alu instid0(VALU_DEP_2) | instskip(NEXT) | instid1(VALU_DEP_2)
	v_add_f64 v[3:4], v[113:114], -v[3:4]
	v_add_f64 v[1:2], v[111:112], -v[1:2]
	scratch_store_b128 off, v[1:4], off offset:208
	v_cmpx_lt_u32_e32 12, v57
	s_cbranch_execz .LBB21_121
; %bb.120:
	scratch_load_b128 v[1:4], v68, off
	v_mov_b32_e32 v6, 0
	s_delay_alu instid0(VALU_DEP_1)
	v_mov_b32_e32 v7, v6
	v_mov_b32_e32 v8, v6
	;; [unrolled: 1-line block ×3, first 2 shown]
	scratch_store_b128 off, v[6:9], off offset:192
	s_waitcnt vmcnt(0)
	ds_store_b128 v5, v[1:4]
.LBB21_121:
	s_or_b32 exec_lo, exec_lo, s2
	s_waitcnt lgkmcnt(0)
	s_waitcnt_vscnt null, 0x0
	s_barrier
	buffer_gl0_inv
	s_clause 0x7
	scratch_load_b128 v[6:9], off, off offset:208
	scratch_load_b128 v[79:82], off, off offset:224
	;; [unrolled: 1-line block ×8, first 2 shown]
	v_mov_b32_e32 v1, 0
	scratch_load_b128 v[111:114], off, off offset:336
	s_mov_b32 s2, exec_lo
	ds_load_b128 v[107:110], v1 offset:560
	s_waitcnt vmcnt(8) lgkmcnt(0)
	v_mul_f64 v[2:3], v[109:110], v[8:9]
	v_mul_f64 v[115:116], v[107:108], v[8:9]
	ds_load_b128 v[8:11], v1 offset:576
	v_fma_f64 v[2:3], v[107:108], v[6:7], -v[2:3]
	v_fma_f64 v[6:7], v[109:110], v[6:7], v[115:116]
	ds_load_b128 v[107:110], v1 offset:592
	s_waitcnt vmcnt(7) lgkmcnt(1)
	v_mul_f64 v[117:118], v[8:9], v[81:82]
	v_mul_f64 v[81:82], v[10:11], v[81:82]
	s_waitcnt vmcnt(6) lgkmcnt(0)
	v_mul_f64 v[115:116], v[107:108], v[85:86]
	v_mul_f64 v[85:86], v[109:110], v[85:86]
	v_add_f64 v[2:3], v[2:3], 0
	v_add_f64 v[119:120], v[6:7], 0
	v_fma_f64 v[10:11], v[10:11], v[79:80], v[117:118]
	v_fma_f64 v[117:118], v[8:9], v[79:80], -v[81:82]
	ds_load_b128 v[6:9], v1 offset:608
	scratch_load_b128 v[79:82], off, off offset:192
	v_fma_f64 v[109:110], v[109:110], v[83:84], v[115:116]
	v_fma_f64 v[107:108], v[107:108], v[83:84], -v[85:86]
	ds_load_b128 v[83:86], v1 offset:624
	s_waitcnt vmcnt(6) lgkmcnt(1)
	v_mul_f64 v[121:122], v[6:7], v[89:90]
	v_mul_f64 v[89:90], v[8:9], v[89:90]
	v_add_f64 v[10:11], v[119:120], v[10:11]
	v_add_f64 v[2:3], v[2:3], v[117:118]
	s_waitcnt vmcnt(5) lgkmcnt(0)
	v_mul_f64 v[115:116], v[83:84], v[93:94]
	v_mul_f64 v[93:94], v[85:86], v[93:94]
	v_fma_f64 v[117:118], v[8:9], v[87:88], v[121:122]
	v_fma_f64 v[87:88], v[6:7], v[87:88], -v[89:90]
	ds_load_b128 v[6:9], v1 offset:640
	v_add_f64 v[10:11], v[10:11], v[109:110]
	v_add_f64 v[2:3], v[2:3], v[107:108]
	v_fma_f64 v[107:108], v[85:86], v[91:92], v[115:116]
	v_fma_f64 v[91:92], v[83:84], v[91:92], -v[93:94]
	ds_load_b128 v[83:86], v1 offset:656
	s_waitcnt vmcnt(4) lgkmcnt(1)
	v_mul_f64 v[89:90], v[6:7], v[97:98]
	v_mul_f64 v[97:98], v[8:9], v[97:98]
	s_waitcnt vmcnt(3) lgkmcnt(0)
	v_mul_f64 v[93:94], v[85:86], v[101:102]
	v_add_f64 v[10:11], v[10:11], v[117:118]
	v_add_f64 v[2:3], v[2:3], v[87:88]
	v_mul_f64 v[87:88], v[83:84], v[101:102]
	v_fma_f64 v[89:90], v[8:9], v[95:96], v[89:90]
	v_fma_f64 v[95:96], v[6:7], v[95:96], -v[97:98]
	ds_load_b128 v[6:9], v1 offset:672
	v_fma_f64 v[93:94], v[83:84], v[99:100], -v[93:94]
	v_add_f64 v[10:11], v[10:11], v[107:108]
	v_add_f64 v[2:3], v[2:3], v[91:92]
	v_fma_f64 v[87:88], v[85:86], v[99:100], v[87:88]
	ds_load_b128 v[83:86], v1 offset:688
	s_waitcnt vmcnt(2) lgkmcnt(1)
	v_mul_f64 v[91:92], v[6:7], v[105:106]
	v_mul_f64 v[97:98], v[8:9], v[105:106]
	v_add_f64 v[10:11], v[10:11], v[89:90]
	v_add_f64 v[2:3], v[2:3], v[95:96]
	s_waitcnt vmcnt(1) lgkmcnt(0)
	v_mul_f64 v[89:90], v[83:84], v[113:114]
	v_mul_f64 v[95:96], v[85:86], v[113:114]
	v_fma_f64 v[8:9], v[8:9], v[103:104], v[91:92]
	v_fma_f64 v[6:7], v[6:7], v[103:104], -v[97:98]
	v_add_f64 v[10:11], v[10:11], v[87:88]
	v_add_f64 v[2:3], v[2:3], v[93:94]
	v_fma_f64 v[85:86], v[85:86], v[111:112], v[89:90]
	v_fma_f64 v[83:84], v[83:84], v[111:112], -v[95:96]
	s_delay_alu instid0(VALU_DEP_3) | instskip(SKIP_1) | instid1(VALU_DEP_2)
	v_add_f64 v[2:3], v[2:3], v[6:7]
	v_add_f64 v[6:7], v[10:11], v[8:9]
	;; [unrolled: 1-line block ×3, first 2 shown]
	s_delay_alu instid0(VALU_DEP_2) | instskip(SKIP_1) | instid1(VALU_DEP_2)
	v_add_f64 v[8:9], v[6:7], v[85:86]
	s_waitcnt vmcnt(0)
	v_add_f64 v[6:7], v[79:80], -v[2:3]
	s_delay_alu instid0(VALU_DEP_2)
	v_add_f64 v[8:9], v[81:82], -v[8:9]
	scratch_store_b128 off, v[6:9], off offset:192
	v_cmpx_lt_u32_e32 11, v57
	s_cbranch_execz .LBB21_123
; %bb.122:
	scratch_load_b128 v[6:9], v70, off
	v_mov_b32_e32 v2, v1
	v_mov_b32_e32 v3, v1
	;; [unrolled: 1-line block ×3, first 2 shown]
	scratch_store_b128 off, v[1:4], off offset:176
	s_waitcnt vmcnt(0)
	ds_store_b128 v5, v[6:9]
.LBB21_123:
	s_or_b32 exec_lo, exec_lo, s2
	s_waitcnt lgkmcnt(0)
	s_waitcnt_vscnt null, 0x0
	s_barrier
	buffer_gl0_inv
	s_clause 0x8
	scratch_load_b128 v[6:9], off, off offset:192
	scratch_load_b128 v[79:82], off, off offset:208
	;; [unrolled: 1-line block ×9, first 2 shown]
	ds_load_b128 v[111:114], v1 offset:544
	ds_load_b128 v[115:118], v1 offset:560
	scratch_load_b128 v[119:122], off, off offset:176
	s_mov_b32 s2, exec_lo
	s_waitcnt vmcnt(9) lgkmcnt(1)
	v_mul_f64 v[2:3], v[113:114], v[8:9]
	v_mul_f64 v[123:124], v[111:112], v[8:9]
	scratch_load_b128 v[8:11], off, off offset:336
	s_waitcnt vmcnt(9) lgkmcnt(0)
	v_mul_f64 v[127:128], v[115:116], v[81:82]
	v_mul_f64 v[81:82], v[117:118], v[81:82]
	v_fma_f64 v[2:3], v[111:112], v[6:7], -v[2:3]
	v_fma_f64 v[6:7], v[113:114], v[6:7], v[123:124]
	ds_load_b128 v[111:114], v1 offset:576
	ds_load_b128 v[123:126], v1 offset:592
	v_fma_f64 v[117:118], v[117:118], v[79:80], v[127:128]
	v_fma_f64 v[79:80], v[115:116], v[79:80], -v[81:82]
	s_waitcnt vmcnt(8) lgkmcnt(1)
	v_mul_f64 v[129:130], v[111:112], v[85:86]
	v_mul_f64 v[85:86], v[113:114], v[85:86]
	s_waitcnt vmcnt(7) lgkmcnt(0)
	v_mul_f64 v[115:116], v[123:124], v[89:90]
	v_mul_f64 v[89:90], v[125:126], v[89:90]
	v_add_f64 v[2:3], v[2:3], 0
	v_add_f64 v[6:7], v[6:7], 0
	v_fma_f64 v[113:114], v[113:114], v[83:84], v[129:130]
	v_fma_f64 v[111:112], v[111:112], v[83:84], -v[85:86]
	v_fma_f64 v[115:116], v[125:126], v[87:88], v[115:116]
	v_fma_f64 v[87:88], v[123:124], v[87:88], -v[89:90]
	v_add_f64 v[2:3], v[2:3], v[79:80]
	v_add_f64 v[6:7], v[6:7], v[117:118]
	ds_load_b128 v[79:82], v1 offset:608
	ds_load_b128 v[83:86], v1 offset:624
	s_waitcnt vmcnt(6) lgkmcnt(1)
	v_mul_f64 v[117:118], v[79:80], v[93:94]
	v_mul_f64 v[93:94], v[81:82], v[93:94]
	v_add_f64 v[2:3], v[2:3], v[111:112]
	v_add_f64 v[6:7], v[6:7], v[113:114]
	s_waitcnt vmcnt(5) lgkmcnt(0)
	v_mul_f64 v[111:112], v[83:84], v[97:98]
	v_mul_f64 v[97:98], v[85:86], v[97:98]
	v_fma_f64 v[113:114], v[81:82], v[91:92], v[117:118]
	v_fma_f64 v[91:92], v[79:80], v[91:92], -v[93:94]
	v_add_f64 v[2:3], v[2:3], v[87:88]
	v_add_f64 v[6:7], v[6:7], v[115:116]
	ds_load_b128 v[79:82], v1 offset:640
	ds_load_b128 v[87:90], v1 offset:656
	v_fma_f64 v[85:86], v[85:86], v[95:96], v[111:112]
	v_fma_f64 v[83:84], v[83:84], v[95:96], -v[97:98]
	s_waitcnt vmcnt(4) lgkmcnt(1)
	v_mul_f64 v[93:94], v[79:80], v[101:102]
	v_mul_f64 v[101:102], v[81:82], v[101:102]
	s_waitcnt vmcnt(3) lgkmcnt(0)
	v_mul_f64 v[95:96], v[89:90], v[105:106]
	v_add_f64 v[2:3], v[2:3], v[91:92]
	v_add_f64 v[6:7], v[6:7], v[113:114]
	v_mul_f64 v[91:92], v[87:88], v[105:106]
	v_fma_f64 v[93:94], v[81:82], v[99:100], v[93:94]
	v_fma_f64 v[97:98], v[79:80], v[99:100], -v[101:102]
	v_fma_f64 v[87:88], v[87:88], v[103:104], -v[95:96]
	v_add_f64 v[83:84], v[2:3], v[83:84]
	v_add_f64 v[6:7], v[6:7], v[85:86]
	ds_load_b128 v[79:82], v1 offset:672
	ds_load_b128 v[1:4], v1 offset:688
	v_fma_f64 v[89:90], v[89:90], v[103:104], v[91:92]
	s_waitcnt vmcnt(2) lgkmcnt(1)
	v_mul_f64 v[85:86], v[79:80], v[109:110]
	v_mul_f64 v[99:100], v[81:82], v[109:110]
	v_add_f64 v[83:84], v[83:84], v[97:98]
	v_add_f64 v[6:7], v[6:7], v[93:94]
	s_waitcnt vmcnt(0) lgkmcnt(0)
	v_mul_f64 v[91:92], v[1:2], v[10:11]
	v_mul_f64 v[10:11], v[3:4], v[10:11]
	v_fma_f64 v[81:82], v[81:82], v[107:108], v[85:86]
	v_fma_f64 v[79:80], v[79:80], v[107:108], -v[99:100]
	v_add_f64 v[83:84], v[83:84], v[87:88]
	v_add_f64 v[6:7], v[6:7], v[89:90]
	v_fma_f64 v[3:4], v[3:4], v[8:9], v[91:92]
	v_fma_f64 v[1:2], v[1:2], v[8:9], -v[10:11]
	s_delay_alu instid0(VALU_DEP_4) | instskip(NEXT) | instid1(VALU_DEP_4)
	v_add_f64 v[8:9], v[83:84], v[79:80]
	v_add_f64 v[6:7], v[6:7], v[81:82]
	s_delay_alu instid0(VALU_DEP_2) | instskip(NEXT) | instid1(VALU_DEP_2)
	v_add_f64 v[1:2], v[8:9], v[1:2]
	v_add_f64 v[3:4], v[6:7], v[3:4]
	s_delay_alu instid0(VALU_DEP_2) | instskip(NEXT) | instid1(VALU_DEP_2)
	v_add_f64 v[1:2], v[119:120], -v[1:2]
	v_add_f64 v[3:4], v[121:122], -v[3:4]
	scratch_store_b128 off, v[1:4], off offset:176
	v_cmpx_lt_u32_e32 10, v57
	s_cbranch_execz .LBB21_125
; %bb.124:
	scratch_load_b128 v[1:4], v61, off
	v_mov_b32_e32 v6, 0
	s_delay_alu instid0(VALU_DEP_1)
	v_mov_b32_e32 v7, v6
	v_mov_b32_e32 v8, v6
	;; [unrolled: 1-line block ×3, first 2 shown]
	scratch_store_b128 off, v[6:9], off offset:160
	s_waitcnt vmcnt(0)
	ds_store_b128 v5, v[1:4]
.LBB21_125:
	s_or_b32 exec_lo, exec_lo, s2
	s_waitcnt lgkmcnt(0)
	s_waitcnt_vscnt null, 0x0
	s_barrier
	buffer_gl0_inv
	s_clause 0x7
	scratch_load_b128 v[6:9], off, off offset:176
	scratch_load_b128 v[79:82], off, off offset:192
	;; [unrolled: 1-line block ×8, first 2 shown]
	v_mov_b32_e32 v1, 0
	s_mov_b32 s2, exec_lo
	ds_load_b128 v[107:110], v1 offset:528
	s_clause 0x1
	scratch_load_b128 v[111:114], off, off offset:304
	scratch_load_b128 v[115:118], off, off offset:160
	ds_load_b128 v[119:122], v1 offset:544
	ds_load_b128 v[127:130], v1 offset:576
	s_waitcnt vmcnt(9) lgkmcnt(2)
	v_mul_f64 v[2:3], v[109:110], v[8:9]
	v_mul_f64 v[123:124], v[107:108], v[8:9]
	scratch_load_b128 v[8:11], off, off offset:320
	v_fma_f64 v[2:3], v[107:108], v[6:7], -v[2:3]
	v_fma_f64 v[6:7], v[109:110], v[6:7], v[123:124]
	scratch_load_b128 v[123:126], off, off offset:336
	ds_load_b128 v[107:110], v1 offset:560
	s_waitcnt vmcnt(10) lgkmcnt(2)
	v_mul_f64 v[131:132], v[119:120], v[81:82]
	v_mul_f64 v[81:82], v[121:122], v[81:82]
	s_waitcnt vmcnt(9) lgkmcnt(0)
	v_mul_f64 v[133:134], v[107:108], v[85:86]
	v_mul_f64 v[85:86], v[109:110], v[85:86]
	v_add_f64 v[2:3], v[2:3], 0
	v_add_f64 v[6:7], v[6:7], 0
	v_fma_f64 v[121:122], v[121:122], v[79:80], v[131:132]
	v_fma_f64 v[79:80], v[119:120], v[79:80], -v[81:82]
	s_waitcnt vmcnt(8)
	v_mul_f64 v[119:120], v[127:128], v[89:90]
	v_mul_f64 v[89:90], v[129:130], v[89:90]
	v_fma_f64 v[109:110], v[109:110], v[83:84], v[133:134]
	v_fma_f64 v[107:108], v[107:108], v[83:84], -v[85:86]
	v_add_f64 v[6:7], v[6:7], v[121:122]
	v_add_f64 v[2:3], v[2:3], v[79:80]
	ds_load_b128 v[79:82], v1 offset:592
	ds_load_b128 v[83:86], v1 offset:608
	v_fma_f64 v[119:120], v[129:130], v[87:88], v[119:120]
	v_fma_f64 v[87:88], v[127:128], v[87:88], -v[89:90]
	s_waitcnt vmcnt(7) lgkmcnt(1)
	v_mul_f64 v[121:122], v[79:80], v[93:94]
	v_mul_f64 v[93:94], v[81:82], v[93:94]
	v_add_f64 v[6:7], v[6:7], v[109:110]
	v_add_f64 v[2:3], v[2:3], v[107:108]
	s_waitcnt vmcnt(6) lgkmcnt(0)
	v_mul_f64 v[107:108], v[83:84], v[97:98]
	v_mul_f64 v[97:98], v[85:86], v[97:98]
	v_fma_f64 v[109:110], v[81:82], v[91:92], v[121:122]
	v_fma_f64 v[91:92], v[79:80], v[91:92], -v[93:94]
	v_add_f64 v[6:7], v[6:7], v[119:120]
	v_add_f64 v[2:3], v[2:3], v[87:88]
	ds_load_b128 v[79:82], v1 offset:624
	ds_load_b128 v[87:90], v1 offset:640
	v_fma_f64 v[85:86], v[85:86], v[95:96], v[107:108]
	v_fma_f64 v[83:84], v[83:84], v[95:96], -v[97:98]
	s_waitcnt vmcnt(5) lgkmcnt(1)
	v_mul_f64 v[93:94], v[79:80], v[101:102]
	v_mul_f64 v[101:102], v[81:82], v[101:102]
	s_waitcnt vmcnt(4) lgkmcnt(0)
	v_mul_f64 v[95:96], v[89:90], v[105:106]
	v_add_f64 v[6:7], v[6:7], v[109:110]
	v_add_f64 v[2:3], v[2:3], v[91:92]
	v_mul_f64 v[91:92], v[87:88], v[105:106]
	v_fma_f64 v[93:94], v[81:82], v[99:100], v[93:94]
	v_fma_f64 v[97:98], v[79:80], v[99:100], -v[101:102]
	v_fma_f64 v[87:88], v[87:88], v[103:104], -v[95:96]
	v_add_f64 v[6:7], v[6:7], v[85:86]
	v_add_f64 v[2:3], v[2:3], v[83:84]
	ds_load_b128 v[79:82], v1 offset:656
	ds_load_b128 v[83:86], v1 offset:672
	v_fma_f64 v[89:90], v[89:90], v[103:104], v[91:92]
	s_waitcnt vmcnt(3) lgkmcnt(1)
	v_mul_f64 v[99:100], v[79:80], v[113:114]
	v_mul_f64 v[101:102], v[81:82], v[113:114]
	v_add_f64 v[6:7], v[6:7], v[93:94]
	v_add_f64 v[2:3], v[2:3], v[97:98]
	s_waitcnt vmcnt(1) lgkmcnt(0)
	v_mul_f64 v[91:92], v[83:84], v[10:11]
	v_mul_f64 v[10:11], v[85:86], v[10:11]
	v_fma_f64 v[93:94], v[81:82], v[111:112], v[99:100]
	v_fma_f64 v[95:96], v[79:80], v[111:112], -v[101:102]
	ds_load_b128 v[79:82], v1 offset:688
	v_add_f64 v[6:7], v[6:7], v[89:90]
	v_add_f64 v[2:3], v[2:3], v[87:88]
	s_waitcnt vmcnt(0) lgkmcnt(0)
	v_mul_f64 v[87:88], v[79:80], v[125:126]
	v_mul_f64 v[89:90], v[81:82], v[125:126]
	v_fma_f64 v[85:86], v[85:86], v[8:9], v[91:92]
	v_fma_f64 v[8:9], v[83:84], v[8:9], -v[10:11]
	v_add_f64 v[6:7], v[6:7], v[93:94]
	v_add_f64 v[2:3], v[2:3], v[95:96]
	v_fma_f64 v[10:11], v[81:82], v[123:124], v[87:88]
	v_fma_f64 v[79:80], v[79:80], v[123:124], -v[89:90]
	s_delay_alu instid0(VALU_DEP_4) | instskip(NEXT) | instid1(VALU_DEP_4)
	v_add_f64 v[6:7], v[6:7], v[85:86]
	v_add_f64 v[2:3], v[2:3], v[8:9]
	s_delay_alu instid0(VALU_DEP_2) | instskip(NEXT) | instid1(VALU_DEP_2)
	v_add_f64 v[8:9], v[6:7], v[10:11]
	v_add_f64 v[2:3], v[2:3], v[79:80]
	s_delay_alu instid0(VALU_DEP_2) | instskip(NEXT) | instid1(VALU_DEP_2)
	v_add_f64 v[8:9], v[117:118], -v[8:9]
	v_add_f64 v[6:7], v[115:116], -v[2:3]
	scratch_store_b128 off, v[6:9], off offset:160
	v_cmpx_lt_u32_e32 9, v57
	s_cbranch_execz .LBB21_127
; %bb.126:
	scratch_load_b128 v[6:9], v66, off
	v_mov_b32_e32 v2, v1
	v_mov_b32_e32 v3, v1
	;; [unrolled: 1-line block ×3, first 2 shown]
	scratch_store_b128 off, v[1:4], off offset:144
	s_waitcnt vmcnt(0)
	ds_store_b128 v5, v[6:9]
.LBB21_127:
	s_or_b32 exec_lo, exec_lo, s2
	s_waitcnt lgkmcnt(0)
	s_waitcnt_vscnt null, 0x0
	s_barrier
	buffer_gl0_inv
	s_clause 0x8
	scratch_load_b128 v[6:9], off, off offset:160
	scratch_load_b128 v[79:82], off, off offset:176
	scratch_load_b128 v[83:86], off, off offset:192
	scratch_load_b128 v[87:90], off, off offset:208
	scratch_load_b128 v[91:94], off, off offset:224
	scratch_load_b128 v[95:98], off, off offset:240
	scratch_load_b128 v[99:102], off, off offset:256
	scratch_load_b128 v[103:106], off, off offset:272
	scratch_load_b128 v[107:110], off, off offset:288
	ds_load_b128 v[111:114], v1 offset:512
	ds_load_b128 v[115:118], v1 offset:528
	scratch_load_b128 v[119:122], off, off offset:144
	s_mov_b32 s2, exec_lo
	ds_load_b128 v[127:130], v1 offset:560
	s_waitcnt vmcnt(9) lgkmcnt(2)
	v_mul_f64 v[2:3], v[113:114], v[8:9]
	v_mul_f64 v[123:124], v[111:112], v[8:9]
	scratch_load_b128 v[8:11], off, off offset:304
	s_waitcnt vmcnt(9) lgkmcnt(1)
	v_mul_f64 v[131:132], v[115:116], v[81:82]
	v_mul_f64 v[81:82], v[117:118], v[81:82]
	v_fma_f64 v[2:3], v[111:112], v[6:7], -v[2:3]
	v_fma_f64 v[6:7], v[113:114], v[6:7], v[123:124]
	ds_load_b128 v[111:114], v1 offset:544
	scratch_load_b128 v[123:126], off, off offset:320
	v_fma_f64 v[117:118], v[117:118], v[79:80], v[131:132]
	v_fma_f64 v[115:116], v[115:116], v[79:80], -v[81:82]
	scratch_load_b128 v[79:82], off, off offset:336
	s_waitcnt vmcnt(9) lgkmcnt(1)
	v_mul_f64 v[131:132], v[127:128], v[89:90]
	v_mul_f64 v[89:90], v[129:130], v[89:90]
	s_waitcnt lgkmcnt(0)
	v_mul_f64 v[133:134], v[111:112], v[85:86]
	v_mul_f64 v[85:86], v[113:114], v[85:86]
	v_add_f64 v[2:3], v[2:3], 0
	v_add_f64 v[6:7], v[6:7], 0
	s_delay_alu instid0(VALU_DEP_4) | instskip(NEXT) | instid1(VALU_DEP_4)
	v_fma_f64 v[133:134], v[113:114], v[83:84], v[133:134]
	v_fma_f64 v[135:136], v[111:112], v[83:84], -v[85:86]
	ds_load_b128 v[83:86], v1 offset:576
	ds_load_b128 v[111:114], v1 offset:592
	v_add_f64 v[2:3], v[2:3], v[115:116]
	v_add_f64 v[6:7], v[6:7], v[117:118]
	v_fma_f64 v[117:118], v[129:130], v[87:88], v[131:132]
	v_fma_f64 v[87:88], v[127:128], v[87:88], -v[89:90]
	s_waitcnt vmcnt(8) lgkmcnt(1)
	v_mul_f64 v[115:116], v[83:84], v[93:94]
	v_mul_f64 v[93:94], v[85:86], v[93:94]
	s_waitcnt vmcnt(7) lgkmcnt(0)
	v_mul_f64 v[127:128], v[111:112], v[97:98]
	v_mul_f64 v[97:98], v[113:114], v[97:98]
	v_add_f64 v[2:3], v[2:3], v[135:136]
	v_add_f64 v[6:7], v[6:7], v[133:134]
	v_fma_f64 v[115:116], v[85:86], v[91:92], v[115:116]
	v_fma_f64 v[91:92], v[83:84], v[91:92], -v[93:94]
	v_fma_f64 v[113:114], v[113:114], v[95:96], v[127:128]
	v_fma_f64 v[95:96], v[111:112], v[95:96], -v[97:98]
	v_add_f64 v[2:3], v[2:3], v[87:88]
	v_add_f64 v[6:7], v[6:7], v[117:118]
	ds_load_b128 v[83:86], v1 offset:608
	ds_load_b128 v[87:90], v1 offset:624
	s_waitcnt vmcnt(6) lgkmcnt(1)
	v_mul_f64 v[93:94], v[83:84], v[101:102]
	v_mul_f64 v[101:102], v[85:86], v[101:102]
	s_waitcnt vmcnt(5) lgkmcnt(0)
	v_mul_f64 v[97:98], v[87:88], v[105:106]
	v_mul_f64 v[105:106], v[89:90], v[105:106]
	v_add_f64 v[2:3], v[2:3], v[91:92]
	v_add_f64 v[6:7], v[6:7], v[115:116]
	v_fma_f64 v[111:112], v[85:86], v[99:100], v[93:94]
	v_fma_f64 v[99:100], v[83:84], v[99:100], -v[101:102]
	ds_load_b128 v[83:86], v1 offset:640
	ds_load_b128 v[91:94], v1 offset:656
	v_fma_f64 v[89:90], v[89:90], v[103:104], v[97:98]
	v_fma_f64 v[87:88], v[87:88], v[103:104], -v[105:106]
	v_add_f64 v[2:3], v[2:3], v[95:96]
	v_add_f64 v[6:7], v[6:7], v[113:114]
	s_waitcnt vmcnt(4) lgkmcnt(1)
	v_mul_f64 v[95:96], v[83:84], v[109:110]
	v_mul_f64 v[101:102], v[85:86], v[109:110]
	s_delay_alu instid0(VALU_DEP_4) | instskip(NEXT) | instid1(VALU_DEP_4)
	v_add_f64 v[2:3], v[2:3], v[99:100]
	v_add_f64 v[6:7], v[6:7], v[111:112]
	s_delay_alu instid0(VALU_DEP_4) | instskip(NEXT) | instid1(VALU_DEP_4)
	v_fma_f64 v[95:96], v[85:86], v[107:108], v[95:96]
	v_fma_f64 v[99:100], v[83:84], v[107:108], -v[101:102]
	s_waitcnt vmcnt(2) lgkmcnt(0)
	v_mul_f64 v[97:98], v[91:92], v[10:11]
	v_mul_f64 v[10:11], v[93:94], v[10:11]
	v_add_f64 v[87:88], v[2:3], v[87:88]
	v_add_f64 v[6:7], v[6:7], v[89:90]
	ds_load_b128 v[83:86], v1 offset:672
	ds_load_b128 v[1:4], v1 offset:688
	v_fma_f64 v[93:94], v[93:94], v[8:9], v[97:98]
	v_fma_f64 v[8:9], v[91:92], v[8:9], -v[10:11]
	s_waitcnt vmcnt(1) lgkmcnt(1)
	v_mul_f64 v[89:90], v[83:84], v[125:126]
	v_mul_f64 v[101:102], v[85:86], v[125:126]
	v_add_f64 v[10:11], v[87:88], v[99:100]
	v_add_f64 v[6:7], v[6:7], v[95:96]
	s_waitcnt vmcnt(0) lgkmcnt(0)
	v_mul_f64 v[87:88], v[1:2], v[81:82]
	v_mul_f64 v[81:82], v[3:4], v[81:82]
	v_fma_f64 v[85:86], v[85:86], v[123:124], v[89:90]
	v_fma_f64 v[83:84], v[83:84], v[123:124], -v[101:102]
	v_add_f64 v[8:9], v[10:11], v[8:9]
	v_add_f64 v[6:7], v[6:7], v[93:94]
	v_fma_f64 v[3:4], v[3:4], v[79:80], v[87:88]
	v_fma_f64 v[1:2], v[1:2], v[79:80], -v[81:82]
	s_delay_alu instid0(VALU_DEP_4) | instskip(NEXT) | instid1(VALU_DEP_4)
	v_add_f64 v[8:9], v[8:9], v[83:84]
	v_add_f64 v[6:7], v[6:7], v[85:86]
	s_delay_alu instid0(VALU_DEP_2) | instskip(NEXT) | instid1(VALU_DEP_2)
	v_add_f64 v[1:2], v[8:9], v[1:2]
	v_add_f64 v[3:4], v[6:7], v[3:4]
	s_delay_alu instid0(VALU_DEP_2) | instskip(NEXT) | instid1(VALU_DEP_2)
	v_add_f64 v[1:2], v[119:120], -v[1:2]
	v_add_f64 v[3:4], v[121:122], -v[3:4]
	scratch_store_b128 off, v[1:4], off offset:144
	v_cmpx_lt_u32_e32 8, v57
	s_cbranch_execz .LBB21_129
; %bb.128:
	scratch_load_b128 v[1:4], v62, off
	v_mov_b32_e32 v6, 0
	s_delay_alu instid0(VALU_DEP_1)
	v_mov_b32_e32 v7, v6
	v_mov_b32_e32 v8, v6
	;; [unrolled: 1-line block ×3, first 2 shown]
	scratch_store_b128 off, v[6:9], off offset:128
	s_waitcnt vmcnt(0)
	ds_store_b128 v5, v[1:4]
.LBB21_129:
	s_or_b32 exec_lo, exec_lo, s2
	s_waitcnt lgkmcnt(0)
	s_waitcnt_vscnt null, 0x0
	s_barrier
	buffer_gl0_inv
	s_clause 0x7
	scratch_load_b128 v[6:9], off, off offset:144
	scratch_load_b128 v[79:82], off, off offset:160
	;; [unrolled: 1-line block ×8, first 2 shown]
	v_mov_b32_e32 v1, 0
	s_mov_b32 s2, exec_lo
	ds_load_b128 v[107:110], v1 offset:496
	s_clause 0x1
	scratch_load_b128 v[111:114], off, off offset:272
	scratch_load_b128 v[115:118], off, off offset:128
	ds_load_b128 v[119:122], v1 offset:512
	ds_load_b128 v[127:130], v1 offset:544
	s_waitcnt vmcnt(9) lgkmcnt(2)
	v_mul_f64 v[2:3], v[109:110], v[8:9]
	v_mul_f64 v[123:124], v[107:108], v[8:9]
	scratch_load_b128 v[8:11], off, off offset:288
	v_fma_f64 v[2:3], v[107:108], v[6:7], -v[2:3]
	v_fma_f64 v[6:7], v[109:110], v[6:7], v[123:124]
	scratch_load_b128 v[123:126], off, off offset:304
	ds_load_b128 v[107:110], v1 offset:528
	s_waitcnt vmcnt(10) lgkmcnt(2)
	v_mul_f64 v[131:132], v[119:120], v[81:82]
	v_mul_f64 v[81:82], v[121:122], v[81:82]
	s_waitcnt vmcnt(9) lgkmcnt(0)
	v_mul_f64 v[133:134], v[107:108], v[85:86]
	v_mul_f64 v[85:86], v[109:110], v[85:86]
	v_add_f64 v[2:3], v[2:3], 0
	v_add_f64 v[6:7], v[6:7], 0
	v_fma_f64 v[121:122], v[121:122], v[79:80], v[131:132]
	v_fma_f64 v[119:120], v[119:120], v[79:80], -v[81:82]
	scratch_load_b128 v[79:82], off, off offset:320
	v_fma_f64 v[133:134], v[109:110], v[83:84], v[133:134]
	v_fma_f64 v[135:136], v[107:108], v[83:84], -v[85:86]
	scratch_load_b128 v[107:110], off, off offset:336
	ds_load_b128 v[83:86], v1 offset:560
	s_waitcnt vmcnt(10)
	v_mul_f64 v[131:132], v[127:128], v[89:90]
	v_mul_f64 v[89:90], v[129:130], v[89:90]
	v_add_f64 v[6:7], v[6:7], v[121:122]
	v_add_f64 v[2:3], v[2:3], v[119:120]
	ds_load_b128 v[119:122], v1 offset:576
	s_waitcnt vmcnt(9) lgkmcnt(1)
	v_mul_f64 v[137:138], v[83:84], v[93:94]
	v_mul_f64 v[93:94], v[85:86], v[93:94]
	v_fma_f64 v[129:130], v[129:130], v[87:88], v[131:132]
	v_fma_f64 v[87:88], v[127:128], v[87:88], -v[89:90]
	s_waitcnt vmcnt(8) lgkmcnt(0)
	v_mul_f64 v[127:128], v[119:120], v[97:98]
	v_mul_f64 v[97:98], v[121:122], v[97:98]
	v_add_f64 v[6:7], v[6:7], v[133:134]
	v_add_f64 v[2:3], v[2:3], v[135:136]
	v_fma_f64 v[131:132], v[85:86], v[91:92], v[137:138]
	v_fma_f64 v[91:92], v[83:84], v[91:92], -v[93:94]
	v_fma_f64 v[121:122], v[121:122], v[95:96], v[127:128]
	v_fma_f64 v[95:96], v[119:120], v[95:96], -v[97:98]
	v_add_f64 v[6:7], v[6:7], v[129:130]
	v_add_f64 v[2:3], v[2:3], v[87:88]
	ds_load_b128 v[83:86], v1 offset:592
	ds_load_b128 v[87:90], v1 offset:608
	s_waitcnt vmcnt(7) lgkmcnt(1)
	v_mul_f64 v[93:94], v[83:84], v[101:102]
	v_mul_f64 v[101:102], v[85:86], v[101:102]
	s_waitcnt vmcnt(6) lgkmcnt(0)
	v_mul_f64 v[97:98], v[87:88], v[105:106]
	v_mul_f64 v[105:106], v[89:90], v[105:106]
	v_add_f64 v[6:7], v[6:7], v[131:132]
	v_add_f64 v[2:3], v[2:3], v[91:92]
	v_fma_f64 v[119:120], v[85:86], v[99:100], v[93:94]
	v_fma_f64 v[99:100], v[83:84], v[99:100], -v[101:102]
	ds_load_b128 v[83:86], v1 offset:624
	ds_load_b128 v[91:94], v1 offset:640
	v_fma_f64 v[89:90], v[89:90], v[103:104], v[97:98]
	v_fma_f64 v[87:88], v[87:88], v[103:104], -v[105:106]
	v_add_f64 v[6:7], v[6:7], v[121:122]
	v_add_f64 v[2:3], v[2:3], v[95:96]
	s_waitcnt vmcnt(5) lgkmcnt(1)
	v_mul_f64 v[95:96], v[83:84], v[113:114]
	v_mul_f64 v[101:102], v[85:86], v[113:114]
	s_delay_alu instid0(VALU_DEP_4) | instskip(NEXT) | instid1(VALU_DEP_4)
	v_add_f64 v[6:7], v[6:7], v[119:120]
	v_add_f64 v[2:3], v[2:3], v[99:100]
	s_delay_alu instid0(VALU_DEP_4) | instskip(NEXT) | instid1(VALU_DEP_4)
	v_fma_f64 v[95:96], v[85:86], v[111:112], v[95:96]
	v_fma_f64 v[99:100], v[83:84], v[111:112], -v[101:102]
	s_waitcnt vmcnt(3) lgkmcnt(0)
	v_mul_f64 v[97:98], v[91:92], v[10:11]
	v_mul_f64 v[10:11], v[93:94], v[10:11]
	v_add_f64 v[6:7], v[6:7], v[89:90]
	v_add_f64 v[2:3], v[2:3], v[87:88]
	ds_load_b128 v[83:86], v1 offset:656
	ds_load_b128 v[87:90], v1 offset:672
	v_fma_f64 v[93:94], v[93:94], v[8:9], v[97:98]
	v_fma_f64 v[8:9], v[91:92], v[8:9], -v[10:11]
	s_waitcnt vmcnt(2) lgkmcnt(1)
	v_mul_f64 v[101:102], v[83:84], v[125:126]
	v_mul_f64 v[103:104], v[85:86], v[125:126]
	v_add_f64 v[6:7], v[6:7], v[95:96]
	v_add_f64 v[2:3], v[2:3], v[99:100]
	s_waitcnt vmcnt(1) lgkmcnt(0)
	v_mul_f64 v[10:11], v[87:88], v[81:82]
	v_mul_f64 v[81:82], v[89:90], v[81:82]
	v_fma_f64 v[85:86], v[85:86], v[123:124], v[101:102]
	v_fma_f64 v[83:84], v[83:84], v[123:124], -v[103:104]
	v_add_f64 v[91:92], v[6:7], v[93:94]
	v_add_f64 v[2:3], v[2:3], v[8:9]
	ds_load_b128 v[6:9], v1 offset:688
	v_fma_f64 v[10:11], v[89:90], v[79:80], v[10:11]
	v_fma_f64 v[79:80], v[87:88], v[79:80], -v[81:82]
	s_waitcnt vmcnt(0) lgkmcnt(0)
	v_mul_f64 v[93:94], v[6:7], v[109:110]
	v_mul_f64 v[95:96], v[8:9], v[109:110]
	v_add_f64 v[81:82], v[91:92], v[85:86]
	v_add_f64 v[2:3], v[2:3], v[83:84]
	s_delay_alu instid0(VALU_DEP_4) | instskip(NEXT) | instid1(VALU_DEP_4)
	v_fma_f64 v[8:9], v[8:9], v[107:108], v[93:94]
	v_fma_f64 v[6:7], v[6:7], v[107:108], -v[95:96]
	s_delay_alu instid0(VALU_DEP_4) | instskip(NEXT) | instid1(VALU_DEP_4)
	v_add_f64 v[10:11], v[81:82], v[10:11]
	v_add_f64 v[2:3], v[2:3], v[79:80]
	s_delay_alu instid0(VALU_DEP_2) | instskip(NEXT) | instid1(VALU_DEP_2)
	v_add_f64 v[8:9], v[10:11], v[8:9]
	v_add_f64 v[2:3], v[2:3], v[6:7]
	s_delay_alu instid0(VALU_DEP_2) | instskip(NEXT) | instid1(VALU_DEP_2)
	v_add_f64 v[8:9], v[117:118], -v[8:9]
	v_add_f64 v[6:7], v[115:116], -v[2:3]
	scratch_store_b128 off, v[6:9], off offset:128
	v_cmpx_lt_u32_e32 7, v57
	s_cbranch_execz .LBB21_131
; %bb.130:
	scratch_load_b128 v[6:9], v67, off
	v_mov_b32_e32 v2, v1
	v_mov_b32_e32 v3, v1
	;; [unrolled: 1-line block ×3, first 2 shown]
	scratch_store_b128 off, v[1:4], off offset:112
	s_waitcnt vmcnt(0)
	ds_store_b128 v5, v[6:9]
.LBB21_131:
	s_or_b32 exec_lo, exec_lo, s2
	s_waitcnt lgkmcnt(0)
	s_waitcnt_vscnt null, 0x0
	s_barrier
	buffer_gl0_inv
	s_clause 0x8
	scratch_load_b128 v[6:9], off, off offset:128
	scratch_load_b128 v[79:82], off, off offset:144
	;; [unrolled: 1-line block ×9, first 2 shown]
	ds_load_b128 v[111:114], v1 offset:480
	ds_load_b128 v[115:118], v1 offset:496
	scratch_load_b128 v[119:122], off, off offset:112
	s_mov_b32 s2, exec_lo
	ds_load_b128 v[127:130], v1 offset:528
	s_waitcnt vmcnt(9) lgkmcnt(2)
	v_mul_f64 v[2:3], v[113:114], v[8:9]
	v_mul_f64 v[123:124], v[111:112], v[8:9]
	scratch_load_b128 v[8:11], off, off offset:272
	s_waitcnt vmcnt(9) lgkmcnt(1)
	v_mul_f64 v[131:132], v[115:116], v[81:82]
	v_mul_f64 v[81:82], v[117:118], v[81:82]
	v_fma_f64 v[2:3], v[111:112], v[6:7], -v[2:3]
	v_fma_f64 v[6:7], v[113:114], v[6:7], v[123:124]
	ds_load_b128 v[111:114], v1 offset:512
	scratch_load_b128 v[123:126], off, off offset:288
	v_fma_f64 v[117:118], v[117:118], v[79:80], v[131:132]
	v_fma_f64 v[115:116], v[115:116], v[79:80], -v[81:82]
	scratch_load_b128 v[79:82], off, off offset:304
	s_waitcnt vmcnt(9) lgkmcnt(1)
	v_mul_f64 v[131:132], v[127:128], v[89:90]
	v_mul_f64 v[89:90], v[129:130], v[89:90]
	s_waitcnt lgkmcnt(0)
	v_mul_f64 v[133:134], v[111:112], v[85:86]
	v_mul_f64 v[85:86], v[113:114], v[85:86]
	v_add_f64 v[2:3], v[2:3], 0
	v_add_f64 v[6:7], v[6:7], 0
	v_fma_f64 v[129:130], v[129:130], v[87:88], v[131:132]
	v_fma_f64 v[127:128], v[127:128], v[87:88], -v[89:90]
	scratch_load_b128 v[87:90], off, off offset:336
	v_fma_f64 v[133:134], v[113:114], v[83:84], v[133:134]
	v_fma_f64 v[135:136], v[111:112], v[83:84], -v[85:86]
	ds_load_b128 v[83:86], v1 offset:544
	scratch_load_b128 v[111:114], off, off offset:320
	v_add_f64 v[2:3], v[2:3], v[115:116]
	v_add_f64 v[6:7], v[6:7], v[117:118]
	ds_load_b128 v[115:118], v1 offset:560
	s_waitcnt vmcnt(10) lgkmcnt(1)
	v_mul_f64 v[137:138], v[83:84], v[93:94]
	v_mul_f64 v[93:94], v[85:86], v[93:94]
	s_waitcnt vmcnt(9) lgkmcnt(0)
	v_mul_f64 v[131:132], v[115:116], v[97:98]
	v_mul_f64 v[97:98], v[117:118], v[97:98]
	v_add_f64 v[2:3], v[2:3], v[135:136]
	v_add_f64 v[6:7], v[6:7], v[133:134]
	v_fma_f64 v[133:134], v[85:86], v[91:92], v[137:138]
	v_fma_f64 v[135:136], v[83:84], v[91:92], -v[93:94]
	ds_load_b128 v[83:86], v1 offset:576
	ds_load_b128 v[91:94], v1 offset:592
	v_fma_f64 v[117:118], v[117:118], v[95:96], v[131:132]
	v_fma_f64 v[95:96], v[115:116], v[95:96], -v[97:98]
	s_waitcnt vmcnt(7) lgkmcnt(0)
	v_mul_f64 v[115:116], v[91:92], v[105:106]
	v_mul_f64 v[105:106], v[93:94], v[105:106]
	v_add_f64 v[2:3], v[2:3], v[127:128]
	v_add_f64 v[6:7], v[6:7], v[129:130]
	v_mul_f64 v[127:128], v[83:84], v[101:102]
	v_mul_f64 v[101:102], v[85:86], v[101:102]
	v_fma_f64 v[93:94], v[93:94], v[103:104], v[115:116]
	v_fma_f64 v[91:92], v[91:92], v[103:104], -v[105:106]
	v_add_f64 v[2:3], v[2:3], v[135:136]
	v_add_f64 v[6:7], v[6:7], v[133:134]
	v_fma_f64 v[127:128], v[85:86], v[99:100], v[127:128]
	v_fma_f64 v[99:100], v[83:84], v[99:100], -v[101:102]
	s_delay_alu instid0(VALU_DEP_4) | instskip(NEXT) | instid1(VALU_DEP_4)
	v_add_f64 v[2:3], v[2:3], v[95:96]
	v_add_f64 v[6:7], v[6:7], v[117:118]
	ds_load_b128 v[83:86], v1 offset:608
	ds_load_b128 v[95:98], v1 offset:624
	s_waitcnt vmcnt(6) lgkmcnt(1)
	v_mul_f64 v[101:102], v[83:84], v[109:110]
	v_mul_f64 v[109:110], v[85:86], v[109:110]
	v_add_f64 v[2:3], v[2:3], v[99:100]
	v_add_f64 v[6:7], v[6:7], v[127:128]
	s_waitcnt vmcnt(4) lgkmcnt(0)
	v_mul_f64 v[99:100], v[95:96], v[10:11]
	v_mul_f64 v[10:11], v[97:98], v[10:11]
	v_fma_f64 v[101:102], v[85:86], v[107:108], v[101:102]
	v_fma_f64 v[103:104], v[83:84], v[107:108], -v[109:110]
	v_add_f64 v[2:3], v[2:3], v[91:92]
	v_add_f64 v[6:7], v[6:7], v[93:94]
	ds_load_b128 v[83:86], v1 offset:640
	ds_load_b128 v[91:94], v1 offset:656
	v_fma_f64 v[97:98], v[97:98], v[8:9], v[99:100]
	v_fma_f64 v[8:9], v[95:96], v[8:9], -v[10:11]
	s_waitcnt vmcnt(3) lgkmcnt(1)
	v_mul_f64 v[105:106], v[83:84], v[125:126]
	v_mul_f64 v[107:108], v[85:86], v[125:126]
	s_waitcnt vmcnt(2) lgkmcnt(0)
	v_mul_f64 v[10:11], v[91:92], v[81:82]
	v_mul_f64 v[81:82], v[93:94], v[81:82]
	v_add_f64 v[2:3], v[2:3], v[103:104]
	v_add_f64 v[6:7], v[6:7], v[101:102]
	v_fma_f64 v[85:86], v[85:86], v[123:124], v[105:106]
	v_fma_f64 v[83:84], v[83:84], v[123:124], -v[107:108]
	v_fma_f64 v[10:11], v[93:94], v[79:80], v[10:11]
	v_fma_f64 v[79:80], v[91:92], v[79:80], -v[81:82]
	v_add_f64 v[95:96], v[2:3], v[8:9]
	v_add_f64 v[97:98], v[6:7], v[97:98]
	ds_load_b128 v[6:9], v1 offset:672
	ds_load_b128 v[1:4], v1 offset:688
	s_waitcnt vmcnt(0) lgkmcnt(1)
	v_mul_f64 v[99:100], v[6:7], v[113:114]
	v_mul_f64 v[101:102], v[8:9], v[113:114]
	v_add_f64 v[81:82], v[95:96], v[83:84]
	v_add_f64 v[83:84], v[97:98], v[85:86]
	s_waitcnt lgkmcnt(0)
	v_mul_f64 v[85:86], v[1:2], v[89:90]
	v_mul_f64 v[89:90], v[3:4], v[89:90]
	v_fma_f64 v[8:9], v[8:9], v[111:112], v[99:100]
	v_fma_f64 v[6:7], v[6:7], v[111:112], -v[101:102]
	v_add_f64 v[79:80], v[81:82], v[79:80]
	v_add_f64 v[10:11], v[83:84], v[10:11]
	v_fma_f64 v[3:4], v[3:4], v[87:88], v[85:86]
	v_fma_f64 v[1:2], v[1:2], v[87:88], -v[89:90]
	s_delay_alu instid0(VALU_DEP_4) | instskip(NEXT) | instid1(VALU_DEP_4)
	v_add_f64 v[6:7], v[79:80], v[6:7]
	v_add_f64 v[8:9], v[10:11], v[8:9]
	s_delay_alu instid0(VALU_DEP_2) | instskip(NEXT) | instid1(VALU_DEP_2)
	v_add_f64 v[1:2], v[6:7], v[1:2]
	v_add_f64 v[3:4], v[8:9], v[3:4]
	s_delay_alu instid0(VALU_DEP_2) | instskip(NEXT) | instid1(VALU_DEP_2)
	v_add_f64 v[1:2], v[119:120], -v[1:2]
	v_add_f64 v[3:4], v[121:122], -v[3:4]
	scratch_store_b128 off, v[1:4], off offset:112
	v_cmpx_lt_u32_e32 6, v57
	s_cbranch_execz .LBB21_133
; %bb.132:
	scratch_load_b128 v[1:4], v58, off
	v_mov_b32_e32 v6, 0
	s_delay_alu instid0(VALU_DEP_1)
	v_mov_b32_e32 v7, v6
	v_mov_b32_e32 v8, v6
	v_mov_b32_e32 v9, v6
	scratch_store_b128 off, v[6:9], off offset:96
	s_waitcnt vmcnt(0)
	ds_store_b128 v5, v[1:4]
.LBB21_133:
	s_or_b32 exec_lo, exec_lo, s2
	s_waitcnt lgkmcnt(0)
	s_waitcnt_vscnt null, 0x0
	s_barrier
	buffer_gl0_inv
	s_clause 0x7
	scratch_load_b128 v[6:9], off, off offset:112
	scratch_load_b128 v[79:82], off, off offset:128
	;; [unrolled: 1-line block ×8, first 2 shown]
	v_mov_b32_e32 v1, 0
	s_mov_b32 s2, exec_lo
	ds_load_b128 v[107:110], v1 offset:464
	s_clause 0x1
	scratch_load_b128 v[111:114], off, off offset:240
	scratch_load_b128 v[115:118], off, off offset:96
	ds_load_b128 v[119:122], v1 offset:480
	ds_load_b128 v[127:130], v1 offset:512
	s_waitcnt vmcnt(9) lgkmcnt(2)
	v_mul_f64 v[2:3], v[109:110], v[8:9]
	v_mul_f64 v[123:124], v[107:108], v[8:9]
	scratch_load_b128 v[8:11], off, off offset:256
	v_fma_f64 v[2:3], v[107:108], v[6:7], -v[2:3]
	v_fma_f64 v[6:7], v[109:110], v[6:7], v[123:124]
	scratch_load_b128 v[123:126], off, off offset:272
	ds_load_b128 v[107:110], v1 offset:496
	s_waitcnt vmcnt(10) lgkmcnt(2)
	v_mul_f64 v[131:132], v[119:120], v[81:82]
	v_mul_f64 v[81:82], v[121:122], v[81:82]
	s_waitcnt vmcnt(9) lgkmcnt(0)
	v_mul_f64 v[133:134], v[107:108], v[85:86]
	v_mul_f64 v[85:86], v[109:110], v[85:86]
	v_add_f64 v[2:3], v[2:3], 0
	v_add_f64 v[6:7], v[6:7], 0
	v_fma_f64 v[121:122], v[121:122], v[79:80], v[131:132]
	v_fma_f64 v[119:120], v[119:120], v[79:80], -v[81:82]
	scratch_load_b128 v[79:82], off, off offset:288
	v_fma_f64 v[133:134], v[109:110], v[83:84], v[133:134]
	v_fma_f64 v[135:136], v[107:108], v[83:84], -v[85:86]
	scratch_load_b128 v[107:110], off, off offset:304
	ds_load_b128 v[83:86], v1 offset:528
	s_waitcnt vmcnt(10)
	v_mul_f64 v[131:132], v[127:128], v[89:90]
	v_mul_f64 v[89:90], v[129:130], v[89:90]
	v_add_f64 v[6:7], v[6:7], v[121:122]
	v_add_f64 v[2:3], v[2:3], v[119:120]
	ds_load_b128 v[119:122], v1 offset:544
	s_waitcnt vmcnt(9) lgkmcnt(1)
	v_mul_f64 v[137:138], v[83:84], v[93:94]
	v_mul_f64 v[93:94], v[85:86], v[93:94]
	v_fma_f64 v[129:130], v[129:130], v[87:88], v[131:132]
	v_fma_f64 v[127:128], v[127:128], v[87:88], -v[89:90]
	scratch_load_b128 v[87:90], off, off offset:320
	v_add_f64 v[6:7], v[6:7], v[133:134]
	v_add_f64 v[2:3], v[2:3], v[135:136]
	v_fma_f64 v[133:134], v[85:86], v[91:92], v[137:138]
	v_fma_f64 v[135:136], v[83:84], v[91:92], -v[93:94]
	scratch_load_b128 v[91:94], off, off offset:336
	ds_load_b128 v[83:86], v1 offset:560
	s_waitcnt vmcnt(10) lgkmcnt(1)
	v_mul_f64 v[131:132], v[119:120], v[97:98]
	v_mul_f64 v[97:98], v[121:122], v[97:98]
	s_waitcnt vmcnt(9) lgkmcnt(0)
	v_mul_f64 v[137:138], v[83:84], v[101:102]
	v_mul_f64 v[101:102], v[85:86], v[101:102]
	v_add_f64 v[6:7], v[6:7], v[129:130]
	v_add_f64 v[2:3], v[2:3], v[127:128]
	ds_load_b128 v[127:130], v1 offset:576
	v_fma_f64 v[121:122], v[121:122], v[95:96], v[131:132]
	v_fma_f64 v[95:96], v[119:120], v[95:96], -v[97:98]
	s_waitcnt vmcnt(8) lgkmcnt(0)
	v_mul_f64 v[119:120], v[127:128], v[105:106]
	v_mul_f64 v[105:106], v[129:130], v[105:106]
	v_fma_f64 v[131:132], v[85:86], v[99:100], v[137:138]
	v_fma_f64 v[99:100], v[83:84], v[99:100], -v[101:102]
	v_add_f64 v[6:7], v[6:7], v[133:134]
	v_add_f64 v[2:3], v[2:3], v[135:136]
	v_fma_f64 v[119:120], v[129:130], v[103:104], v[119:120]
	v_fma_f64 v[103:104], v[127:128], v[103:104], -v[105:106]
	s_delay_alu instid0(VALU_DEP_4) | instskip(NEXT) | instid1(VALU_DEP_4)
	v_add_f64 v[6:7], v[6:7], v[121:122]
	v_add_f64 v[2:3], v[2:3], v[95:96]
	ds_load_b128 v[83:86], v1 offset:592
	ds_load_b128 v[95:98], v1 offset:608
	s_waitcnt vmcnt(7) lgkmcnt(1)
	v_mul_f64 v[101:102], v[83:84], v[113:114]
	v_mul_f64 v[113:114], v[85:86], v[113:114]
	v_add_f64 v[6:7], v[6:7], v[131:132]
	v_add_f64 v[2:3], v[2:3], v[99:100]
	s_waitcnt vmcnt(5) lgkmcnt(0)
	v_mul_f64 v[105:106], v[95:96], v[10:11]
	v_mul_f64 v[10:11], v[97:98], v[10:11]
	v_fma_f64 v[121:122], v[85:86], v[111:112], v[101:102]
	v_fma_f64 v[111:112], v[83:84], v[111:112], -v[113:114]
	ds_load_b128 v[83:86], v1 offset:624
	ds_load_b128 v[99:102], v1 offset:640
	v_add_f64 v[6:7], v[6:7], v[119:120]
	v_add_f64 v[2:3], v[2:3], v[103:104]
	s_waitcnt vmcnt(4) lgkmcnt(1)
	v_mul_f64 v[103:104], v[83:84], v[125:126]
	v_mul_f64 v[113:114], v[85:86], v[125:126]
	v_fma_f64 v[97:98], v[97:98], v[8:9], v[105:106]
	v_fma_f64 v[8:9], v[95:96], v[8:9], -v[10:11]
	v_add_f64 v[6:7], v[6:7], v[121:122]
	v_add_f64 v[2:3], v[2:3], v[111:112]
	v_fma_f64 v[85:86], v[85:86], v[123:124], v[103:104]
	v_fma_f64 v[103:104], v[83:84], v[123:124], -v[113:114]
	s_waitcnt vmcnt(3) lgkmcnt(0)
	v_mul_f64 v[10:11], v[99:100], v[81:82]
	v_mul_f64 v[95:96], v[101:102], v[81:82]
	v_add_f64 v[97:98], v[6:7], v[97:98]
	v_add_f64 v[2:3], v[2:3], v[8:9]
	ds_load_b128 v[6:9], v1 offset:656
	ds_load_b128 v[81:84], v1 offset:672
	v_fma_f64 v[10:11], v[101:102], v[79:80], v[10:11]
	v_fma_f64 v[79:80], v[99:100], v[79:80], -v[95:96]
	s_waitcnt vmcnt(2) lgkmcnt(1)
	v_mul_f64 v[105:106], v[6:7], v[109:110]
	v_mul_f64 v[109:110], v[8:9], v[109:110]
	v_add_f64 v[85:86], v[97:98], v[85:86]
	v_add_f64 v[2:3], v[2:3], v[103:104]
	s_waitcnt vmcnt(1) lgkmcnt(0)
	v_mul_f64 v[95:96], v[81:82], v[89:90]
	v_mul_f64 v[89:90], v[83:84], v[89:90]
	v_fma_f64 v[97:98], v[8:9], v[107:108], v[105:106]
	v_fma_f64 v[99:100], v[6:7], v[107:108], -v[109:110]
	ds_load_b128 v[6:9], v1 offset:688
	v_add_f64 v[10:11], v[85:86], v[10:11]
	v_add_f64 v[2:3], v[2:3], v[79:80]
	v_fma_f64 v[83:84], v[83:84], v[87:88], v[95:96]
	v_fma_f64 v[81:82], v[81:82], v[87:88], -v[89:90]
	s_waitcnt vmcnt(0) lgkmcnt(0)
	v_mul_f64 v[79:80], v[6:7], v[93:94]
	v_mul_f64 v[85:86], v[8:9], v[93:94]
	v_add_f64 v[10:11], v[10:11], v[97:98]
	v_add_f64 v[2:3], v[2:3], v[99:100]
	s_delay_alu instid0(VALU_DEP_4) | instskip(NEXT) | instid1(VALU_DEP_4)
	v_fma_f64 v[8:9], v[8:9], v[91:92], v[79:80]
	v_fma_f64 v[6:7], v[6:7], v[91:92], -v[85:86]
	s_delay_alu instid0(VALU_DEP_4) | instskip(NEXT) | instid1(VALU_DEP_4)
	v_add_f64 v[10:11], v[10:11], v[83:84]
	v_add_f64 v[2:3], v[2:3], v[81:82]
	s_delay_alu instid0(VALU_DEP_2) | instskip(NEXT) | instid1(VALU_DEP_2)
	v_add_f64 v[8:9], v[10:11], v[8:9]
	v_add_f64 v[2:3], v[2:3], v[6:7]
	s_delay_alu instid0(VALU_DEP_2) | instskip(NEXT) | instid1(VALU_DEP_2)
	v_add_f64 v[8:9], v[117:118], -v[8:9]
	v_add_f64 v[6:7], v[115:116], -v[2:3]
	scratch_store_b128 off, v[6:9], off offset:96
	v_cmpx_lt_u32_e32 5, v57
	s_cbranch_execz .LBB21_135
; %bb.134:
	scratch_load_b128 v[6:9], v63, off
	v_mov_b32_e32 v2, v1
	v_mov_b32_e32 v3, v1
	;; [unrolled: 1-line block ×3, first 2 shown]
	scratch_store_b128 off, v[1:4], off offset:80
	s_waitcnt vmcnt(0)
	ds_store_b128 v5, v[6:9]
.LBB21_135:
	s_or_b32 exec_lo, exec_lo, s2
	s_waitcnt lgkmcnt(0)
	s_waitcnt_vscnt null, 0x0
	s_barrier
	buffer_gl0_inv
	s_clause 0x8
	scratch_load_b128 v[6:9], off, off offset:96
	scratch_load_b128 v[79:82], off, off offset:112
	;; [unrolled: 1-line block ×9, first 2 shown]
	ds_load_b128 v[111:114], v1 offset:448
	ds_load_b128 v[115:118], v1 offset:464
	scratch_load_b128 v[119:122], off, off offset:80
	s_mov_b32 s2, exec_lo
	ds_load_b128 v[127:130], v1 offset:496
	s_waitcnt vmcnt(9) lgkmcnt(2)
	v_mul_f64 v[2:3], v[113:114], v[8:9]
	v_mul_f64 v[123:124], v[111:112], v[8:9]
	scratch_load_b128 v[8:11], off, off offset:240
	s_waitcnt vmcnt(9) lgkmcnt(1)
	v_mul_f64 v[131:132], v[115:116], v[81:82]
	v_mul_f64 v[81:82], v[117:118], v[81:82]
	v_fma_f64 v[2:3], v[111:112], v[6:7], -v[2:3]
	v_fma_f64 v[6:7], v[113:114], v[6:7], v[123:124]
	ds_load_b128 v[111:114], v1 offset:480
	scratch_load_b128 v[123:126], off, off offset:256
	v_fma_f64 v[117:118], v[117:118], v[79:80], v[131:132]
	v_fma_f64 v[115:116], v[115:116], v[79:80], -v[81:82]
	scratch_load_b128 v[79:82], off, off offset:272
	s_waitcnt vmcnt(9) lgkmcnt(1)
	v_mul_f64 v[131:132], v[127:128], v[89:90]
	v_mul_f64 v[89:90], v[129:130], v[89:90]
	s_waitcnt lgkmcnt(0)
	v_mul_f64 v[133:134], v[111:112], v[85:86]
	v_mul_f64 v[85:86], v[113:114], v[85:86]
	v_add_f64 v[2:3], v[2:3], 0
	v_add_f64 v[6:7], v[6:7], 0
	v_fma_f64 v[129:130], v[129:130], v[87:88], v[131:132]
	v_fma_f64 v[127:128], v[127:128], v[87:88], -v[89:90]
	scratch_load_b128 v[87:90], off, off offset:304
	v_fma_f64 v[133:134], v[113:114], v[83:84], v[133:134]
	v_fma_f64 v[135:136], v[111:112], v[83:84], -v[85:86]
	ds_load_b128 v[83:86], v1 offset:512
	scratch_load_b128 v[111:114], off, off offset:288
	v_add_f64 v[2:3], v[2:3], v[115:116]
	v_add_f64 v[6:7], v[6:7], v[117:118]
	ds_load_b128 v[115:118], v1 offset:528
	s_waitcnt vmcnt(10) lgkmcnt(1)
	v_mul_f64 v[137:138], v[83:84], v[93:94]
	v_mul_f64 v[93:94], v[85:86], v[93:94]
	s_waitcnt vmcnt(9) lgkmcnt(0)
	v_mul_f64 v[131:132], v[115:116], v[97:98]
	v_mul_f64 v[97:98], v[117:118], v[97:98]
	v_add_f64 v[2:3], v[2:3], v[135:136]
	v_add_f64 v[6:7], v[6:7], v[133:134]
	v_fma_f64 v[133:134], v[85:86], v[91:92], v[137:138]
	v_fma_f64 v[135:136], v[83:84], v[91:92], -v[93:94]
	ds_load_b128 v[83:86], v1 offset:544
	scratch_load_b128 v[91:94], off, off offset:320
	v_fma_f64 v[117:118], v[117:118], v[95:96], v[131:132]
	v_fma_f64 v[115:116], v[115:116], v[95:96], -v[97:98]
	scratch_load_b128 v[95:98], off, off offset:336
	v_add_f64 v[2:3], v[2:3], v[127:128]
	v_add_f64 v[6:7], v[6:7], v[129:130]
	ds_load_b128 v[127:130], v1 offset:560
	s_waitcnt vmcnt(10) lgkmcnt(1)
	v_mul_f64 v[137:138], v[83:84], v[101:102]
	v_mul_f64 v[101:102], v[85:86], v[101:102]
	s_waitcnt vmcnt(9) lgkmcnt(0)
	v_mul_f64 v[131:132], v[127:128], v[105:106]
	v_mul_f64 v[105:106], v[129:130], v[105:106]
	v_add_f64 v[2:3], v[2:3], v[135:136]
	v_add_f64 v[6:7], v[6:7], v[133:134]
	v_fma_f64 v[133:134], v[85:86], v[99:100], v[137:138]
	v_fma_f64 v[135:136], v[83:84], v[99:100], -v[101:102]
	ds_load_b128 v[83:86], v1 offset:576
	ds_load_b128 v[99:102], v1 offset:592
	v_add_f64 v[2:3], v[2:3], v[115:116]
	v_add_f64 v[6:7], v[6:7], v[117:118]
	s_waitcnt vmcnt(8) lgkmcnt(1)
	v_mul_f64 v[115:116], v[83:84], v[109:110]
	v_mul_f64 v[109:110], v[85:86], v[109:110]
	v_fma_f64 v[117:118], v[129:130], v[103:104], v[131:132]
	v_fma_f64 v[103:104], v[127:128], v[103:104], -v[105:106]
	v_add_f64 v[2:3], v[2:3], v[135:136]
	v_add_f64 v[6:7], v[6:7], v[133:134]
	v_fma_f64 v[115:116], v[85:86], v[107:108], v[115:116]
	v_fma_f64 v[107:108], v[83:84], v[107:108], -v[109:110]
	s_waitcnt vmcnt(6) lgkmcnt(0)
	v_mul_f64 v[127:128], v[99:100], v[10:11]
	v_mul_f64 v[10:11], v[101:102], v[10:11]
	v_add_f64 v[2:3], v[2:3], v[103:104]
	v_add_f64 v[6:7], v[6:7], v[117:118]
	ds_load_b128 v[83:86], v1 offset:608
	ds_load_b128 v[103:106], v1 offset:624
	v_fma_f64 v[101:102], v[101:102], v[8:9], v[127:128]
	v_fma_f64 v[8:9], v[99:100], v[8:9], -v[10:11]
	s_waitcnt vmcnt(5) lgkmcnt(1)
	v_mul_f64 v[109:110], v[83:84], v[125:126]
	v_mul_f64 v[117:118], v[85:86], v[125:126]
	s_waitcnt vmcnt(4) lgkmcnt(0)
	v_mul_f64 v[10:11], v[103:104], v[81:82]
	v_mul_f64 v[99:100], v[105:106], v[81:82]
	v_add_f64 v[2:3], v[2:3], v[107:108]
	v_add_f64 v[6:7], v[6:7], v[115:116]
	v_fma_f64 v[85:86], v[85:86], v[123:124], v[109:110]
	v_fma_f64 v[107:108], v[83:84], v[123:124], -v[117:118]
	v_fma_f64 v[10:11], v[105:106], v[79:80], v[10:11]
	v_fma_f64 v[79:80], v[103:104], v[79:80], -v[99:100]
	v_add_f64 v[2:3], v[2:3], v[8:9]
	v_add_f64 v[101:102], v[6:7], v[101:102]
	ds_load_b128 v[6:9], v1 offset:640
	ds_load_b128 v[81:84], v1 offset:656
	s_waitcnt vmcnt(2) lgkmcnt(1)
	v_mul_f64 v[109:110], v[6:7], v[113:114]
	v_mul_f64 v[113:114], v[8:9], v[113:114]
	s_waitcnt lgkmcnt(0)
	v_mul_f64 v[99:100], v[81:82], v[89:90]
	v_mul_f64 v[89:90], v[83:84], v[89:90]
	v_add_f64 v[2:3], v[2:3], v[107:108]
	v_add_f64 v[85:86], v[101:102], v[85:86]
	v_fma_f64 v[101:102], v[8:9], v[111:112], v[109:110]
	v_fma_f64 v[103:104], v[6:7], v[111:112], -v[113:114]
	v_fma_f64 v[83:84], v[83:84], v[87:88], v[99:100]
	v_fma_f64 v[81:82], v[81:82], v[87:88], -v[89:90]
	v_add_f64 v[79:80], v[2:3], v[79:80]
	v_add_f64 v[10:11], v[85:86], v[10:11]
	ds_load_b128 v[6:9], v1 offset:672
	ds_load_b128 v[1:4], v1 offset:688
	s_waitcnt vmcnt(1) lgkmcnt(1)
	v_mul_f64 v[85:86], v[6:7], v[93:94]
	v_mul_f64 v[93:94], v[8:9], v[93:94]
	s_waitcnt vmcnt(0) lgkmcnt(0)
	v_mul_f64 v[87:88], v[1:2], v[97:98]
	v_mul_f64 v[89:90], v[3:4], v[97:98]
	v_add_f64 v[79:80], v[79:80], v[103:104]
	v_add_f64 v[10:11], v[10:11], v[101:102]
	v_fma_f64 v[8:9], v[8:9], v[91:92], v[85:86]
	v_fma_f64 v[6:7], v[6:7], v[91:92], -v[93:94]
	v_fma_f64 v[3:4], v[3:4], v[95:96], v[87:88]
	v_fma_f64 v[1:2], v[1:2], v[95:96], -v[89:90]
	v_add_f64 v[79:80], v[79:80], v[81:82]
	v_add_f64 v[10:11], v[10:11], v[83:84]
	s_delay_alu instid0(VALU_DEP_2) | instskip(NEXT) | instid1(VALU_DEP_2)
	v_add_f64 v[6:7], v[79:80], v[6:7]
	v_add_f64 v[8:9], v[10:11], v[8:9]
	s_delay_alu instid0(VALU_DEP_2) | instskip(NEXT) | instid1(VALU_DEP_2)
	;; [unrolled: 3-line block ×3, first 2 shown]
	v_add_f64 v[1:2], v[119:120], -v[1:2]
	v_add_f64 v[3:4], v[121:122], -v[3:4]
	scratch_store_b128 off, v[1:4], off offset:80
	v_cmpx_lt_u32_e32 4, v57
	s_cbranch_execz .LBB21_137
; %bb.136:
	scratch_load_b128 v[1:4], v59, off
	v_mov_b32_e32 v6, 0
	s_delay_alu instid0(VALU_DEP_1)
	v_mov_b32_e32 v7, v6
	v_mov_b32_e32 v8, v6
	v_mov_b32_e32 v9, v6
	scratch_store_b128 off, v[6:9], off offset:64
	s_waitcnt vmcnt(0)
	ds_store_b128 v5, v[1:4]
.LBB21_137:
	s_or_b32 exec_lo, exec_lo, s2
	s_waitcnt lgkmcnt(0)
	s_waitcnt_vscnt null, 0x0
	s_barrier
	buffer_gl0_inv
	s_clause 0x7
	scratch_load_b128 v[6:9], off, off offset:80
	scratch_load_b128 v[79:82], off, off offset:96
	;; [unrolled: 1-line block ×8, first 2 shown]
	v_mov_b32_e32 v1, 0
	s_mov_b32 s2, exec_lo
	ds_load_b128 v[107:110], v1 offset:432
	s_clause 0x1
	scratch_load_b128 v[111:114], off, off offset:208
	scratch_load_b128 v[115:118], off, off offset:64
	ds_load_b128 v[119:122], v1 offset:448
	ds_load_b128 v[127:130], v1 offset:480
	s_waitcnt vmcnt(9) lgkmcnt(2)
	v_mul_f64 v[2:3], v[109:110], v[8:9]
	v_mul_f64 v[123:124], v[107:108], v[8:9]
	scratch_load_b128 v[8:11], off, off offset:224
	v_fma_f64 v[2:3], v[107:108], v[6:7], -v[2:3]
	v_fma_f64 v[6:7], v[109:110], v[6:7], v[123:124]
	scratch_load_b128 v[123:126], off, off offset:240
	ds_load_b128 v[107:110], v1 offset:464
	s_waitcnt vmcnt(10) lgkmcnt(2)
	v_mul_f64 v[131:132], v[119:120], v[81:82]
	v_mul_f64 v[81:82], v[121:122], v[81:82]
	s_waitcnt vmcnt(9) lgkmcnt(0)
	v_mul_f64 v[133:134], v[107:108], v[85:86]
	v_mul_f64 v[85:86], v[109:110], v[85:86]
	v_add_f64 v[2:3], v[2:3], 0
	v_add_f64 v[6:7], v[6:7], 0
	v_fma_f64 v[121:122], v[121:122], v[79:80], v[131:132]
	v_fma_f64 v[119:120], v[119:120], v[79:80], -v[81:82]
	scratch_load_b128 v[79:82], off, off offset:256
	v_fma_f64 v[133:134], v[109:110], v[83:84], v[133:134]
	v_fma_f64 v[135:136], v[107:108], v[83:84], -v[85:86]
	scratch_load_b128 v[107:110], off, off offset:272
	ds_load_b128 v[83:86], v1 offset:496
	s_waitcnt vmcnt(10)
	v_mul_f64 v[131:132], v[127:128], v[89:90]
	v_mul_f64 v[89:90], v[129:130], v[89:90]
	v_add_f64 v[6:7], v[6:7], v[121:122]
	v_add_f64 v[2:3], v[2:3], v[119:120]
	ds_load_b128 v[119:122], v1 offset:512
	s_waitcnt vmcnt(9) lgkmcnt(1)
	v_mul_f64 v[137:138], v[83:84], v[93:94]
	v_mul_f64 v[93:94], v[85:86], v[93:94]
	v_fma_f64 v[129:130], v[129:130], v[87:88], v[131:132]
	v_fma_f64 v[127:128], v[127:128], v[87:88], -v[89:90]
	scratch_load_b128 v[87:90], off, off offset:288
	v_add_f64 v[6:7], v[6:7], v[133:134]
	v_add_f64 v[2:3], v[2:3], v[135:136]
	v_fma_f64 v[133:134], v[85:86], v[91:92], v[137:138]
	v_fma_f64 v[135:136], v[83:84], v[91:92], -v[93:94]
	scratch_load_b128 v[91:94], off, off offset:304
	ds_load_b128 v[83:86], v1 offset:528
	s_waitcnt vmcnt(10) lgkmcnt(1)
	v_mul_f64 v[131:132], v[119:120], v[97:98]
	v_mul_f64 v[97:98], v[121:122], v[97:98]
	s_waitcnt vmcnt(9) lgkmcnt(0)
	v_mul_f64 v[137:138], v[83:84], v[101:102]
	v_mul_f64 v[101:102], v[85:86], v[101:102]
	v_add_f64 v[6:7], v[6:7], v[129:130]
	v_add_f64 v[2:3], v[2:3], v[127:128]
	ds_load_b128 v[127:130], v1 offset:544
	v_fma_f64 v[121:122], v[121:122], v[95:96], v[131:132]
	v_fma_f64 v[119:120], v[119:120], v[95:96], -v[97:98]
	scratch_load_b128 v[95:98], off, off offset:320
	v_add_f64 v[6:7], v[6:7], v[133:134]
	v_add_f64 v[2:3], v[2:3], v[135:136]
	v_fma_f64 v[133:134], v[85:86], v[99:100], v[137:138]
	v_fma_f64 v[135:136], v[83:84], v[99:100], -v[101:102]
	scratch_load_b128 v[99:102], off, off offset:336
	ds_load_b128 v[83:86], v1 offset:560
	s_waitcnt vmcnt(10) lgkmcnt(1)
	v_mul_f64 v[131:132], v[127:128], v[105:106]
	v_mul_f64 v[105:106], v[129:130], v[105:106]
	s_waitcnt vmcnt(9) lgkmcnt(0)
	v_mul_f64 v[137:138], v[83:84], v[113:114]
	v_mul_f64 v[113:114], v[85:86], v[113:114]
	v_add_f64 v[6:7], v[6:7], v[121:122]
	v_add_f64 v[2:3], v[2:3], v[119:120]
	ds_load_b128 v[119:122], v1 offset:576
	v_fma_f64 v[129:130], v[129:130], v[103:104], v[131:132]
	v_fma_f64 v[103:104], v[127:128], v[103:104], -v[105:106]
	v_fma_f64 v[131:132], v[85:86], v[111:112], v[137:138]
	v_fma_f64 v[111:112], v[83:84], v[111:112], -v[113:114]
	v_add_f64 v[6:7], v[6:7], v[133:134]
	v_add_f64 v[2:3], v[2:3], v[135:136]
	s_waitcnt vmcnt(7) lgkmcnt(0)
	v_mul_f64 v[127:128], v[119:120], v[10:11]
	v_mul_f64 v[10:11], v[121:122], v[10:11]
	s_delay_alu instid0(VALU_DEP_4) | instskip(NEXT) | instid1(VALU_DEP_4)
	v_add_f64 v[6:7], v[6:7], v[129:130]
	v_add_f64 v[2:3], v[2:3], v[103:104]
	ds_load_b128 v[83:86], v1 offset:592
	ds_load_b128 v[103:106], v1 offset:608
	v_fma_f64 v[121:122], v[121:122], v[8:9], v[127:128]
	v_fma_f64 v[8:9], v[119:120], v[8:9], -v[10:11]
	s_waitcnt vmcnt(6) lgkmcnt(1)
	v_mul_f64 v[113:114], v[83:84], v[125:126]
	v_mul_f64 v[125:126], v[85:86], v[125:126]
	v_add_f64 v[6:7], v[6:7], v[131:132]
	v_add_f64 v[2:3], v[2:3], v[111:112]
	s_waitcnt vmcnt(5) lgkmcnt(0)
	v_mul_f64 v[10:11], v[103:104], v[81:82]
	v_mul_f64 v[111:112], v[105:106], v[81:82]
	v_fma_f64 v[85:86], v[85:86], v[123:124], v[113:114]
	v_fma_f64 v[113:114], v[83:84], v[123:124], -v[125:126]
	v_add_f64 v[119:120], v[6:7], v[121:122]
	v_add_f64 v[2:3], v[2:3], v[8:9]
	ds_load_b128 v[6:9], v1 offset:624
	ds_load_b128 v[81:84], v1 offset:640
	v_fma_f64 v[10:11], v[105:106], v[79:80], v[10:11]
	v_fma_f64 v[79:80], v[103:104], v[79:80], -v[111:112]
	s_waitcnt vmcnt(4) lgkmcnt(1)
	v_mul_f64 v[121:122], v[6:7], v[109:110]
	v_mul_f64 v[109:110], v[8:9], v[109:110]
	v_add_f64 v[85:86], v[119:120], v[85:86]
	v_add_f64 v[2:3], v[2:3], v[113:114]
	s_waitcnt vmcnt(3) lgkmcnt(0)
	v_mul_f64 v[111:112], v[81:82], v[89:90]
	v_mul_f64 v[89:90], v[83:84], v[89:90]
	v_fma_f64 v[113:114], v[8:9], v[107:108], v[121:122]
	v_fma_f64 v[107:108], v[6:7], v[107:108], -v[109:110]
	ds_load_b128 v[6:9], v1 offset:656
	ds_load_b128 v[103:106], v1 offset:672
	v_add_f64 v[10:11], v[85:86], v[10:11]
	v_add_f64 v[2:3], v[2:3], v[79:80]
	v_fma_f64 v[83:84], v[83:84], v[87:88], v[111:112]
	s_waitcnt vmcnt(2) lgkmcnt(1)
	v_mul_f64 v[79:80], v[6:7], v[93:94]
	v_mul_f64 v[85:86], v[8:9], v[93:94]
	v_fma_f64 v[81:82], v[81:82], v[87:88], -v[89:90]
	s_waitcnt vmcnt(1) lgkmcnt(0)
	v_mul_f64 v[87:88], v[103:104], v[97:98]
	v_mul_f64 v[89:90], v[105:106], v[97:98]
	v_add_f64 v[10:11], v[10:11], v[113:114]
	v_add_f64 v[2:3], v[2:3], v[107:108]
	v_fma_f64 v[79:80], v[8:9], v[91:92], v[79:80]
	v_fma_f64 v[85:86], v[6:7], v[91:92], -v[85:86]
	ds_load_b128 v[6:9], v1 offset:688
	v_fma_f64 v[87:88], v[105:106], v[95:96], v[87:88]
	v_fma_f64 v[89:90], v[103:104], v[95:96], -v[89:90]
	v_add_f64 v[10:11], v[10:11], v[83:84]
	v_add_f64 v[2:3], v[2:3], v[81:82]
	s_waitcnt vmcnt(0) lgkmcnt(0)
	v_mul_f64 v[81:82], v[6:7], v[101:102]
	v_mul_f64 v[83:84], v[8:9], v[101:102]
	s_delay_alu instid0(VALU_DEP_4) | instskip(NEXT) | instid1(VALU_DEP_4)
	v_add_f64 v[10:11], v[10:11], v[79:80]
	v_add_f64 v[2:3], v[2:3], v[85:86]
	s_delay_alu instid0(VALU_DEP_4) | instskip(NEXT) | instid1(VALU_DEP_4)
	v_fma_f64 v[8:9], v[8:9], v[99:100], v[81:82]
	v_fma_f64 v[6:7], v[6:7], v[99:100], -v[83:84]
	s_delay_alu instid0(VALU_DEP_4) | instskip(NEXT) | instid1(VALU_DEP_4)
	v_add_f64 v[10:11], v[10:11], v[87:88]
	v_add_f64 v[2:3], v[2:3], v[89:90]
	s_delay_alu instid0(VALU_DEP_2) | instskip(NEXT) | instid1(VALU_DEP_2)
	v_add_f64 v[8:9], v[10:11], v[8:9]
	v_add_f64 v[2:3], v[2:3], v[6:7]
	s_delay_alu instid0(VALU_DEP_2) | instskip(NEXT) | instid1(VALU_DEP_2)
	v_add_f64 v[8:9], v[117:118], -v[8:9]
	v_add_f64 v[6:7], v[115:116], -v[2:3]
	scratch_store_b128 off, v[6:9], off offset:64
	v_cmpx_lt_u32_e32 3, v57
	s_cbranch_execz .LBB21_139
; %bb.138:
	scratch_load_b128 v[6:9], v64, off
	v_mov_b32_e32 v2, v1
	v_mov_b32_e32 v3, v1
	;; [unrolled: 1-line block ×3, first 2 shown]
	scratch_store_b128 off, v[1:4], off offset:48
	s_waitcnt vmcnt(0)
	ds_store_b128 v5, v[6:9]
.LBB21_139:
	s_or_b32 exec_lo, exec_lo, s2
	s_waitcnt lgkmcnt(0)
	s_waitcnt_vscnt null, 0x0
	s_barrier
	buffer_gl0_inv
	s_clause 0x8
	scratch_load_b128 v[6:9], off, off offset:64
	scratch_load_b128 v[79:82], off, off offset:80
	;; [unrolled: 1-line block ×9, first 2 shown]
	ds_load_b128 v[111:114], v1 offset:416
	ds_load_b128 v[115:118], v1 offset:432
	scratch_load_b128 v[119:122], off, off offset:48
	s_mov_b32 s2, exec_lo
	ds_load_b128 v[127:130], v1 offset:464
	s_waitcnt vmcnt(9) lgkmcnt(2)
	v_mul_f64 v[2:3], v[113:114], v[8:9]
	v_mul_f64 v[123:124], v[111:112], v[8:9]
	scratch_load_b128 v[8:11], off, off offset:208
	s_waitcnt vmcnt(9) lgkmcnt(1)
	v_mul_f64 v[131:132], v[115:116], v[81:82]
	v_mul_f64 v[81:82], v[117:118], v[81:82]
	v_fma_f64 v[2:3], v[111:112], v[6:7], -v[2:3]
	v_fma_f64 v[6:7], v[113:114], v[6:7], v[123:124]
	ds_load_b128 v[111:114], v1 offset:448
	scratch_load_b128 v[123:126], off, off offset:224
	v_fma_f64 v[117:118], v[117:118], v[79:80], v[131:132]
	v_fma_f64 v[115:116], v[115:116], v[79:80], -v[81:82]
	scratch_load_b128 v[79:82], off, off offset:240
	s_waitcnt vmcnt(9) lgkmcnt(1)
	v_mul_f64 v[131:132], v[127:128], v[89:90]
	v_mul_f64 v[89:90], v[129:130], v[89:90]
	s_waitcnt lgkmcnt(0)
	v_mul_f64 v[133:134], v[111:112], v[85:86]
	v_mul_f64 v[85:86], v[113:114], v[85:86]
	v_add_f64 v[2:3], v[2:3], 0
	v_add_f64 v[6:7], v[6:7], 0
	v_fma_f64 v[129:130], v[129:130], v[87:88], v[131:132]
	v_fma_f64 v[127:128], v[127:128], v[87:88], -v[89:90]
	scratch_load_b128 v[87:90], off, off offset:272
	v_fma_f64 v[133:134], v[113:114], v[83:84], v[133:134]
	v_fma_f64 v[135:136], v[111:112], v[83:84], -v[85:86]
	ds_load_b128 v[83:86], v1 offset:480
	scratch_load_b128 v[111:114], off, off offset:256
	v_add_f64 v[2:3], v[2:3], v[115:116]
	v_add_f64 v[6:7], v[6:7], v[117:118]
	ds_load_b128 v[115:118], v1 offset:496
	s_waitcnt vmcnt(10) lgkmcnt(1)
	v_mul_f64 v[137:138], v[83:84], v[93:94]
	v_mul_f64 v[93:94], v[85:86], v[93:94]
	s_waitcnt vmcnt(9) lgkmcnt(0)
	v_mul_f64 v[131:132], v[115:116], v[97:98]
	v_mul_f64 v[97:98], v[117:118], v[97:98]
	v_add_f64 v[2:3], v[2:3], v[135:136]
	v_add_f64 v[6:7], v[6:7], v[133:134]
	v_fma_f64 v[133:134], v[85:86], v[91:92], v[137:138]
	v_fma_f64 v[135:136], v[83:84], v[91:92], -v[93:94]
	ds_load_b128 v[83:86], v1 offset:512
	scratch_load_b128 v[91:94], off, off offset:288
	v_fma_f64 v[117:118], v[117:118], v[95:96], v[131:132]
	v_fma_f64 v[115:116], v[115:116], v[95:96], -v[97:98]
	scratch_load_b128 v[95:98], off, off offset:304
	v_add_f64 v[2:3], v[2:3], v[127:128]
	v_add_f64 v[6:7], v[6:7], v[129:130]
	ds_load_b128 v[127:130], v1 offset:528
	s_waitcnt vmcnt(10) lgkmcnt(1)
	v_mul_f64 v[137:138], v[83:84], v[101:102]
	v_mul_f64 v[101:102], v[85:86], v[101:102]
	s_waitcnt vmcnt(9) lgkmcnt(0)
	v_mul_f64 v[131:132], v[127:128], v[105:106]
	v_mul_f64 v[105:106], v[129:130], v[105:106]
	v_add_f64 v[2:3], v[2:3], v[135:136]
	v_add_f64 v[6:7], v[6:7], v[133:134]
	v_fma_f64 v[133:134], v[85:86], v[99:100], v[137:138]
	v_fma_f64 v[135:136], v[83:84], v[99:100], -v[101:102]
	ds_load_b128 v[83:86], v1 offset:544
	scratch_load_b128 v[99:102], off, off offset:320
	v_fma_f64 v[129:130], v[129:130], v[103:104], v[131:132]
	v_fma_f64 v[127:128], v[127:128], v[103:104], -v[105:106]
	scratch_load_b128 v[103:106], off, off offset:336
	v_add_f64 v[2:3], v[2:3], v[115:116]
	v_add_f64 v[6:7], v[6:7], v[117:118]
	ds_load_b128 v[115:118], v1 offset:560
	s_waitcnt vmcnt(10) lgkmcnt(1)
	v_mul_f64 v[137:138], v[83:84], v[109:110]
	v_mul_f64 v[109:110], v[85:86], v[109:110]
	v_add_f64 v[2:3], v[2:3], v[135:136]
	v_add_f64 v[6:7], v[6:7], v[133:134]
	s_delay_alu instid0(VALU_DEP_4) | instskip(NEXT) | instid1(VALU_DEP_4)
	v_fma_f64 v[133:134], v[85:86], v[107:108], v[137:138]
	v_fma_f64 v[135:136], v[83:84], v[107:108], -v[109:110]
	ds_load_b128 v[83:86], v1 offset:576
	ds_load_b128 v[107:110], v1 offset:592
	s_waitcnt vmcnt(8) lgkmcnt(2)
	v_mul_f64 v[131:132], v[115:116], v[10:11]
	v_mul_f64 v[10:11], v[117:118], v[10:11]
	v_add_f64 v[2:3], v[2:3], v[127:128]
	v_add_f64 v[6:7], v[6:7], v[129:130]
	s_delay_alu instid0(VALU_DEP_4)
	v_fma_f64 v[117:118], v[117:118], v[8:9], v[131:132]
	s_waitcnt vmcnt(7) lgkmcnt(1)
	v_mul_f64 v[127:128], v[83:84], v[125:126]
	v_mul_f64 v[125:126], v[85:86], v[125:126]
	v_fma_f64 v[8:9], v[115:116], v[8:9], -v[10:11]
	s_waitcnt vmcnt(6) lgkmcnt(0)
	v_mul_f64 v[10:11], v[107:108], v[81:82]
	v_mul_f64 v[115:116], v[109:110], v[81:82]
	v_add_f64 v[2:3], v[2:3], v[135:136]
	v_add_f64 v[6:7], v[6:7], v[133:134]
	v_fma_f64 v[85:86], v[85:86], v[123:124], v[127:128]
	v_fma_f64 v[123:124], v[83:84], v[123:124], -v[125:126]
	v_fma_f64 v[10:11], v[109:110], v[79:80], v[10:11]
	v_fma_f64 v[79:80], v[107:108], v[79:80], -v[115:116]
	v_add_f64 v[2:3], v[2:3], v[8:9]
	v_add_f64 v[117:118], v[6:7], v[117:118]
	ds_load_b128 v[6:9], v1 offset:608
	ds_load_b128 v[81:84], v1 offset:624
	s_waitcnt vmcnt(4) lgkmcnt(1)
	v_mul_f64 v[125:126], v[6:7], v[113:114]
	v_mul_f64 v[113:114], v[8:9], v[113:114]
	s_waitcnt lgkmcnt(0)
	v_mul_f64 v[115:116], v[81:82], v[89:90]
	v_mul_f64 v[89:90], v[83:84], v[89:90]
	v_add_f64 v[2:3], v[2:3], v[123:124]
	v_add_f64 v[85:86], v[117:118], v[85:86]
	v_fma_f64 v[117:118], v[8:9], v[111:112], v[125:126]
	v_fma_f64 v[111:112], v[6:7], v[111:112], -v[113:114]
	ds_load_b128 v[6:9], v1 offset:640
	ds_load_b128 v[107:110], v1 offset:656
	v_fma_f64 v[83:84], v[83:84], v[87:88], v[115:116]
	v_fma_f64 v[81:82], v[81:82], v[87:88], -v[89:90]
	v_add_f64 v[2:3], v[2:3], v[79:80]
	v_add_f64 v[10:11], v[85:86], v[10:11]
	s_waitcnt vmcnt(3) lgkmcnt(1)
	v_mul_f64 v[79:80], v[6:7], v[93:94]
	v_mul_f64 v[85:86], v[8:9], v[93:94]
	s_waitcnt vmcnt(2) lgkmcnt(0)
	v_mul_f64 v[87:88], v[107:108], v[97:98]
	v_mul_f64 v[89:90], v[109:110], v[97:98]
	v_add_f64 v[2:3], v[2:3], v[111:112]
	v_add_f64 v[10:11], v[10:11], v[117:118]
	v_fma_f64 v[79:80], v[8:9], v[91:92], v[79:80]
	v_fma_f64 v[85:86], v[6:7], v[91:92], -v[85:86]
	v_fma_f64 v[87:88], v[109:110], v[95:96], v[87:88]
	v_fma_f64 v[89:90], v[107:108], v[95:96], -v[89:90]
	v_add_f64 v[81:82], v[2:3], v[81:82]
	v_add_f64 v[10:11], v[10:11], v[83:84]
	ds_load_b128 v[6:9], v1 offset:672
	ds_load_b128 v[1:4], v1 offset:688
	s_waitcnt vmcnt(1) lgkmcnt(1)
	v_mul_f64 v[83:84], v[6:7], v[101:102]
	v_mul_f64 v[91:92], v[8:9], v[101:102]
	v_add_f64 v[81:82], v[81:82], v[85:86]
	v_add_f64 v[10:11], v[10:11], v[79:80]
	s_waitcnt vmcnt(0) lgkmcnt(0)
	v_mul_f64 v[79:80], v[1:2], v[105:106]
	v_mul_f64 v[85:86], v[3:4], v[105:106]
	v_fma_f64 v[8:9], v[8:9], v[99:100], v[83:84]
	v_fma_f64 v[6:7], v[6:7], v[99:100], -v[91:92]
	v_add_f64 v[81:82], v[81:82], v[89:90]
	v_add_f64 v[10:11], v[10:11], v[87:88]
	v_fma_f64 v[3:4], v[3:4], v[103:104], v[79:80]
	v_fma_f64 v[1:2], v[1:2], v[103:104], -v[85:86]
	s_delay_alu instid0(VALU_DEP_4) | instskip(NEXT) | instid1(VALU_DEP_4)
	v_add_f64 v[6:7], v[81:82], v[6:7]
	v_add_f64 v[8:9], v[10:11], v[8:9]
	s_delay_alu instid0(VALU_DEP_2) | instskip(NEXT) | instid1(VALU_DEP_2)
	v_add_f64 v[1:2], v[6:7], v[1:2]
	v_add_f64 v[3:4], v[8:9], v[3:4]
	s_delay_alu instid0(VALU_DEP_2) | instskip(NEXT) | instid1(VALU_DEP_2)
	v_add_f64 v[1:2], v[119:120], -v[1:2]
	v_add_f64 v[3:4], v[121:122], -v[3:4]
	scratch_store_b128 off, v[1:4], off offset:48
	v_cmpx_lt_u32_e32 2, v57
	s_cbranch_execz .LBB21_141
; %bb.140:
	scratch_load_b128 v[1:4], v60, off
	v_mov_b32_e32 v6, 0
	s_delay_alu instid0(VALU_DEP_1)
	v_mov_b32_e32 v7, v6
	v_mov_b32_e32 v8, v6
	;; [unrolled: 1-line block ×3, first 2 shown]
	scratch_store_b128 off, v[6:9], off offset:32
	s_waitcnt vmcnt(0)
	ds_store_b128 v5, v[1:4]
.LBB21_141:
	s_or_b32 exec_lo, exec_lo, s2
	s_waitcnt lgkmcnt(0)
	s_waitcnt_vscnt null, 0x0
	s_barrier
	buffer_gl0_inv
	s_clause 0x7
	scratch_load_b128 v[6:9], off, off offset:48
	scratch_load_b128 v[79:82], off, off offset:64
	;; [unrolled: 1-line block ×8, first 2 shown]
	v_mov_b32_e32 v1, 0
	s_mov_b32 s2, exec_lo
	ds_load_b128 v[107:110], v1 offset:400
	s_clause 0x1
	scratch_load_b128 v[111:114], off, off offset:176
	scratch_load_b128 v[115:118], off, off offset:32
	ds_load_b128 v[119:122], v1 offset:416
	ds_load_b128 v[127:130], v1 offset:448
	s_waitcnt vmcnt(9) lgkmcnt(2)
	v_mul_f64 v[2:3], v[109:110], v[8:9]
	v_mul_f64 v[123:124], v[107:108], v[8:9]
	scratch_load_b128 v[8:11], off, off offset:192
	v_fma_f64 v[2:3], v[107:108], v[6:7], -v[2:3]
	v_fma_f64 v[6:7], v[109:110], v[6:7], v[123:124]
	scratch_load_b128 v[123:126], off, off offset:208
	ds_load_b128 v[107:110], v1 offset:432
	s_waitcnt vmcnt(10) lgkmcnt(2)
	v_mul_f64 v[131:132], v[119:120], v[81:82]
	v_mul_f64 v[81:82], v[121:122], v[81:82]
	s_waitcnt vmcnt(9) lgkmcnt(0)
	v_mul_f64 v[133:134], v[107:108], v[85:86]
	v_mul_f64 v[85:86], v[109:110], v[85:86]
	v_add_f64 v[2:3], v[2:3], 0
	v_add_f64 v[6:7], v[6:7], 0
	v_fma_f64 v[121:122], v[121:122], v[79:80], v[131:132]
	v_fma_f64 v[119:120], v[119:120], v[79:80], -v[81:82]
	scratch_load_b128 v[79:82], off, off offset:224
	v_fma_f64 v[133:134], v[109:110], v[83:84], v[133:134]
	v_fma_f64 v[135:136], v[107:108], v[83:84], -v[85:86]
	scratch_load_b128 v[107:110], off, off offset:240
	ds_load_b128 v[83:86], v1 offset:464
	s_waitcnt vmcnt(10)
	v_mul_f64 v[131:132], v[127:128], v[89:90]
	v_mul_f64 v[89:90], v[129:130], v[89:90]
	v_add_f64 v[6:7], v[6:7], v[121:122]
	v_add_f64 v[2:3], v[2:3], v[119:120]
	ds_load_b128 v[119:122], v1 offset:480
	s_waitcnt vmcnt(9) lgkmcnt(1)
	v_mul_f64 v[137:138], v[83:84], v[93:94]
	v_mul_f64 v[93:94], v[85:86], v[93:94]
	v_fma_f64 v[129:130], v[129:130], v[87:88], v[131:132]
	v_fma_f64 v[127:128], v[127:128], v[87:88], -v[89:90]
	scratch_load_b128 v[87:90], off, off offset:256
	v_add_f64 v[6:7], v[6:7], v[133:134]
	v_add_f64 v[2:3], v[2:3], v[135:136]
	v_fma_f64 v[133:134], v[85:86], v[91:92], v[137:138]
	v_fma_f64 v[135:136], v[83:84], v[91:92], -v[93:94]
	scratch_load_b128 v[91:94], off, off offset:272
	ds_load_b128 v[83:86], v1 offset:496
	s_waitcnt vmcnt(10) lgkmcnt(1)
	v_mul_f64 v[131:132], v[119:120], v[97:98]
	v_mul_f64 v[97:98], v[121:122], v[97:98]
	s_waitcnt vmcnt(9) lgkmcnt(0)
	v_mul_f64 v[137:138], v[83:84], v[101:102]
	v_mul_f64 v[101:102], v[85:86], v[101:102]
	v_add_f64 v[6:7], v[6:7], v[129:130]
	v_add_f64 v[2:3], v[2:3], v[127:128]
	ds_load_b128 v[127:130], v1 offset:512
	v_fma_f64 v[121:122], v[121:122], v[95:96], v[131:132]
	v_fma_f64 v[119:120], v[119:120], v[95:96], -v[97:98]
	scratch_load_b128 v[95:98], off, off offset:288
	v_add_f64 v[6:7], v[6:7], v[133:134]
	v_add_f64 v[2:3], v[2:3], v[135:136]
	v_fma_f64 v[133:134], v[85:86], v[99:100], v[137:138]
	v_fma_f64 v[135:136], v[83:84], v[99:100], -v[101:102]
	scratch_load_b128 v[99:102], off, off offset:304
	ds_load_b128 v[83:86], v1 offset:528
	s_waitcnt vmcnt(10) lgkmcnt(1)
	v_mul_f64 v[131:132], v[127:128], v[105:106]
	v_mul_f64 v[105:106], v[129:130], v[105:106]
	s_waitcnt vmcnt(9) lgkmcnt(0)
	v_mul_f64 v[137:138], v[83:84], v[113:114]
	v_mul_f64 v[113:114], v[85:86], v[113:114]
	v_add_f64 v[6:7], v[6:7], v[121:122]
	v_add_f64 v[2:3], v[2:3], v[119:120]
	ds_load_b128 v[119:122], v1 offset:544
	v_fma_f64 v[129:130], v[129:130], v[103:104], v[131:132]
	v_fma_f64 v[127:128], v[127:128], v[103:104], -v[105:106]
	scratch_load_b128 v[103:106], off, off offset:320
	v_add_f64 v[6:7], v[6:7], v[133:134]
	v_add_f64 v[2:3], v[2:3], v[135:136]
	v_fma_f64 v[133:134], v[85:86], v[111:112], v[137:138]
	v_fma_f64 v[135:136], v[83:84], v[111:112], -v[113:114]
	scratch_load_b128 v[111:114], off, off offset:336
	ds_load_b128 v[83:86], v1 offset:560
	s_waitcnt vmcnt(9) lgkmcnt(1)
	v_mul_f64 v[131:132], v[119:120], v[10:11]
	v_mul_f64 v[10:11], v[121:122], v[10:11]
	v_add_f64 v[6:7], v[6:7], v[129:130]
	v_add_f64 v[2:3], v[2:3], v[127:128]
	ds_load_b128 v[127:130], v1 offset:576
	s_waitcnt vmcnt(8) lgkmcnt(1)
	v_mul_f64 v[137:138], v[83:84], v[125:126]
	v_mul_f64 v[125:126], v[85:86], v[125:126]
	v_fma_f64 v[121:122], v[121:122], v[8:9], v[131:132]
	v_fma_f64 v[8:9], v[119:120], v[8:9], -v[10:11]
	v_add_f64 v[6:7], v[6:7], v[133:134]
	v_add_f64 v[2:3], v[2:3], v[135:136]
	v_fma_f64 v[85:86], v[85:86], v[123:124], v[137:138]
	v_fma_f64 v[123:124], v[83:84], v[123:124], -v[125:126]
	s_waitcnt vmcnt(7) lgkmcnt(0)
	v_mul_f64 v[10:11], v[127:128], v[81:82]
	v_mul_f64 v[119:120], v[129:130], v[81:82]
	v_add_f64 v[121:122], v[6:7], v[121:122]
	v_add_f64 v[2:3], v[2:3], v[8:9]
	ds_load_b128 v[6:9], v1 offset:592
	ds_load_b128 v[81:84], v1 offset:608
	v_fma_f64 v[10:11], v[129:130], v[79:80], v[10:11]
	v_fma_f64 v[79:80], v[127:128], v[79:80], -v[119:120]
	s_waitcnt vmcnt(6) lgkmcnt(1)
	v_mul_f64 v[125:126], v[6:7], v[109:110]
	v_mul_f64 v[109:110], v[8:9], v[109:110]
	v_add_f64 v[85:86], v[121:122], v[85:86]
	v_add_f64 v[2:3], v[2:3], v[123:124]
	s_waitcnt vmcnt(5) lgkmcnt(0)
	v_mul_f64 v[119:120], v[81:82], v[89:90]
	v_mul_f64 v[89:90], v[83:84], v[89:90]
	v_fma_f64 v[121:122], v[8:9], v[107:108], v[125:126]
	v_fma_f64 v[123:124], v[6:7], v[107:108], -v[109:110]
	ds_load_b128 v[6:9], v1 offset:624
	ds_load_b128 v[107:110], v1 offset:640
	v_add_f64 v[10:11], v[85:86], v[10:11]
	v_add_f64 v[2:3], v[2:3], v[79:80]
	v_fma_f64 v[83:84], v[83:84], v[87:88], v[119:120]
	s_waitcnt vmcnt(4) lgkmcnt(1)
	v_mul_f64 v[79:80], v[6:7], v[93:94]
	v_mul_f64 v[85:86], v[8:9], v[93:94]
	v_fma_f64 v[81:82], v[81:82], v[87:88], -v[89:90]
	s_waitcnt vmcnt(3) lgkmcnt(0)
	v_mul_f64 v[87:88], v[107:108], v[97:98]
	v_mul_f64 v[89:90], v[109:110], v[97:98]
	v_add_f64 v[10:11], v[10:11], v[121:122]
	v_add_f64 v[2:3], v[2:3], v[123:124]
	v_fma_f64 v[93:94], v[8:9], v[91:92], v[79:80]
	v_fma_f64 v[85:86], v[6:7], v[91:92], -v[85:86]
	v_fma_f64 v[87:88], v[109:110], v[95:96], v[87:88]
	v_fma_f64 v[89:90], v[107:108], v[95:96], -v[89:90]
	v_add_f64 v[10:11], v[10:11], v[83:84]
	v_add_f64 v[2:3], v[2:3], v[81:82]
	ds_load_b128 v[6:9], v1 offset:656
	ds_load_b128 v[79:82], v1 offset:672
	s_waitcnt vmcnt(2) lgkmcnt(1)
	v_mul_f64 v[83:84], v[6:7], v[101:102]
	v_mul_f64 v[91:92], v[8:9], v[101:102]
	v_add_f64 v[10:11], v[10:11], v[93:94]
	v_add_f64 v[2:3], v[2:3], v[85:86]
	s_waitcnt vmcnt(1) lgkmcnt(0)
	v_mul_f64 v[85:86], v[79:80], v[105:106]
	v_mul_f64 v[93:94], v[81:82], v[105:106]
	v_fma_f64 v[83:84], v[8:9], v[99:100], v[83:84]
	v_fma_f64 v[91:92], v[6:7], v[99:100], -v[91:92]
	ds_load_b128 v[6:9], v1 offset:688
	v_add_f64 v[10:11], v[10:11], v[87:88]
	v_add_f64 v[2:3], v[2:3], v[89:90]
	v_fma_f64 v[81:82], v[81:82], v[103:104], v[85:86]
	v_fma_f64 v[79:80], v[79:80], v[103:104], -v[93:94]
	s_waitcnt vmcnt(0) lgkmcnt(0)
	v_mul_f64 v[87:88], v[6:7], v[113:114]
	v_mul_f64 v[89:90], v[8:9], v[113:114]
	v_add_f64 v[10:11], v[10:11], v[83:84]
	v_add_f64 v[2:3], v[2:3], v[91:92]
	s_delay_alu instid0(VALU_DEP_4) | instskip(NEXT) | instid1(VALU_DEP_4)
	v_fma_f64 v[8:9], v[8:9], v[111:112], v[87:88]
	v_fma_f64 v[6:7], v[6:7], v[111:112], -v[89:90]
	s_delay_alu instid0(VALU_DEP_4) | instskip(NEXT) | instid1(VALU_DEP_4)
	v_add_f64 v[10:11], v[10:11], v[81:82]
	v_add_f64 v[2:3], v[2:3], v[79:80]
	s_delay_alu instid0(VALU_DEP_2) | instskip(NEXT) | instid1(VALU_DEP_2)
	v_add_f64 v[8:9], v[10:11], v[8:9]
	v_add_f64 v[2:3], v[2:3], v[6:7]
	s_delay_alu instid0(VALU_DEP_2) | instskip(NEXT) | instid1(VALU_DEP_2)
	v_add_f64 v[8:9], v[117:118], -v[8:9]
	v_add_f64 v[6:7], v[115:116], -v[2:3]
	scratch_store_b128 off, v[6:9], off offset:32
	v_cmpx_lt_u32_e32 1, v57
	s_cbranch_execz .LBB21_143
; %bb.142:
	scratch_load_b128 v[6:9], v65, off
	v_mov_b32_e32 v2, v1
	v_mov_b32_e32 v3, v1
	;; [unrolled: 1-line block ×3, first 2 shown]
	scratch_store_b128 off, v[1:4], off offset:16
	s_waitcnt vmcnt(0)
	ds_store_b128 v5, v[6:9]
.LBB21_143:
	s_or_b32 exec_lo, exec_lo, s2
	s_waitcnt lgkmcnt(0)
	s_waitcnt_vscnt null, 0x0
	s_barrier
	buffer_gl0_inv
	s_clause 0x8
	scratch_load_b128 v[6:9], off, off offset:32
	scratch_load_b128 v[79:82], off, off offset:48
	scratch_load_b128 v[83:86], off, off offset:64
	scratch_load_b128 v[87:90], off, off offset:80
	scratch_load_b128 v[91:94], off, off offset:96
	scratch_load_b128 v[95:98], off, off offset:112
	scratch_load_b128 v[99:102], off, off offset:128
	scratch_load_b128 v[103:106], off, off offset:144
	scratch_load_b128 v[107:110], off, off offset:160
	ds_load_b128 v[111:114], v1 offset:384
	ds_load_b128 v[115:118], v1 offset:400
	scratch_load_b128 v[119:122], off, off offset:16
	s_mov_b32 s2, exec_lo
	ds_load_b128 v[127:130], v1 offset:432
	s_waitcnt vmcnt(9) lgkmcnt(2)
	v_mul_f64 v[2:3], v[113:114], v[8:9]
	v_mul_f64 v[123:124], v[111:112], v[8:9]
	scratch_load_b128 v[8:11], off, off offset:176
	s_waitcnt vmcnt(9) lgkmcnt(1)
	v_mul_f64 v[131:132], v[115:116], v[81:82]
	v_mul_f64 v[81:82], v[117:118], v[81:82]
	v_fma_f64 v[2:3], v[111:112], v[6:7], -v[2:3]
	v_fma_f64 v[6:7], v[113:114], v[6:7], v[123:124]
	ds_load_b128 v[111:114], v1 offset:416
	scratch_load_b128 v[123:126], off, off offset:192
	v_fma_f64 v[117:118], v[117:118], v[79:80], v[131:132]
	v_fma_f64 v[115:116], v[115:116], v[79:80], -v[81:82]
	scratch_load_b128 v[79:82], off, off offset:208
	s_waitcnt vmcnt(9) lgkmcnt(1)
	v_mul_f64 v[131:132], v[127:128], v[89:90]
	v_mul_f64 v[89:90], v[129:130], v[89:90]
	s_waitcnt lgkmcnt(0)
	v_mul_f64 v[133:134], v[111:112], v[85:86]
	v_mul_f64 v[85:86], v[113:114], v[85:86]
	v_add_f64 v[2:3], v[2:3], 0
	v_add_f64 v[6:7], v[6:7], 0
	v_fma_f64 v[129:130], v[129:130], v[87:88], v[131:132]
	v_fma_f64 v[127:128], v[127:128], v[87:88], -v[89:90]
	scratch_load_b128 v[87:90], off, off offset:240
	v_fma_f64 v[133:134], v[113:114], v[83:84], v[133:134]
	v_fma_f64 v[135:136], v[111:112], v[83:84], -v[85:86]
	ds_load_b128 v[83:86], v1 offset:448
	scratch_load_b128 v[111:114], off, off offset:224
	v_add_f64 v[2:3], v[2:3], v[115:116]
	v_add_f64 v[6:7], v[6:7], v[117:118]
	ds_load_b128 v[115:118], v1 offset:464
	s_waitcnt vmcnt(10) lgkmcnt(1)
	v_mul_f64 v[137:138], v[83:84], v[93:94]
	v_mul_f64 v[93:94], v[85:86], v[93:94]
	s_waitcnt vmcnt(9) lgkmcnt(0)
	v_mul_f64 v[131:132], v[115:116], v[97:98]
	v_mul_f64 v[97:98], v[117:118], v[97:98]
	v_add_f64 v[2:3], v[2:3], v[135:136]
	v_add_f64 v[6:7], v[6:7], v[133:134]
	v_fma_f64 v[133:134], v[85:86], v[91:92], v[137:138]
	v_fma_f64 v[135:136], v[83:84], v[91:92], -v[93:94]
	ds_load_b128 v[83:86], v1 offset:480
	scratch_load_b128 v[91:94], off, off offset:256
	v_fma_f64 v[117:118], v[117:118], v[95:96], v[131:132]
	v_fma_f64 v[115:116], v[115:116], v[95:96], -v[97:98]
	scratch_load_b128 v[95:98], off, off offset:272
	v_add_f64 v[2:3], v[2:3], v[127:128]
	v_add_f64 v[6:7], v[6:7], v[129:130]
	ds_load_b128 v[127:130], v1 offset:496
	s_waitcnt vmcnt(10) lgkmcnt(1)
	v_mul_f64 v[137:138], v[83:84], v[101:102]
	v_mul_f64 v[101:102], v[85:86], v[101:102]
	s_waitcnt vmcnt(9) lgkmcnt(0)
	v_mul_f64 v[131:132], v[127:128], v[105:106]
	v_mul_f64 v[105:106], v[129:130], v[105:106]
	v_add_f64 v[2:3], v[2:3], v[135:136]
	v_add_f64 v[6:7], v[6:7], v[133:134]
	v_fma_f64 v[133:134], v[85:86], v[99:100], v[137:138]
	v_fma_f64 v[135:136], v[83:84], v[99:100], -v[101:102]
	ds_load_b128 v[83:86], v1 offset:512
	scratch_load_b128 v[99:102], off, off offset:288
	v_fma_f64 v[129:130], v[129:130], v[103:104], v[131:132]
	v_fma_f64 v[127:128], v[127:128], v[103:104], -v[105:106]
	scratch_load_b128 v[103:106], off, off offset:304
	v_add_f64 v[2:3], v[2:3], v[115:116]
	v_add_f64 v[6:7], v[6:7], v[117:118]
	ds_load_b128 v[115:118], v1 offset:528
	s_waitcnt vmcnt(10) lgkmcnt(1)
	v_mul_f64 v[137:138], v[83:84], v[109:110]
	v_mul_f64 v[109:110], v[85:86], v[109:110]
	v_add_f64 v[2:3], v[2:3], v[135:136]
	v_add_f64 v[6:7], v[6:7], v[133:134]
	s_delay_alu instid0(VALU_DEP_4) | instskip(NEXT) | instid1(VALU_DEP_4)
	v_fma_f64 v[133:134], v[85:86], v[107:108], v[137:138]
	v_fma_f64 v[135:136], v[83:84], v[107:108], -v[109:110]
	ds_load_b128 v[83:86], v1 offset:544
	scratch_load_b128 v[107:110], off, off offset:320
	s_waitcnt vmcnt(9) lgkmcnt(1)
	v_mul_f64 v[131:132], v[115:116], v[10:11]
	v_mul_f64 v[10:11], v[117:118], v[10:11]
	v_add_f64 v[2:3], v[2:3], v[127:128]
	v_add_f64 v[6:7], v[6:7], v[129:130]
	ds_load_b128 v[127:130], v1 offset:560
	v_fma_f64 v[117:118], v[117:118], v[8:9], v[131:132]
	s_waitcnt vmcnt(8) lgkmcnt(1)
	v_mul_f64 v[137:138], v[83:84], v[125:126]
	v_mul_f64 v[125:126], v[85:86], v[125:126]
	v_fma_f64 v[10:11], v[115:116], v[8:9], -v[10:11]
	s_waitcnt vmcnt(7) lgkmcnt(0)
	v_mul_f64 v[131:132], v[127:128], v[81:82]
	v_add_f64 v[2:3], v[2:3], v[135:136]
	v_add_f64 v[115:116], v[6:7], v[133:134]
	scratch_load_b128 v[6:9], off, off offset:336
	v_mul_f64 v[133:134], v[129:130], v[81:82]
	v_fma_f64 v[85:86], v[85:86], v[123:124], v[137:138]
	v_fma_f64 v[123:124], v[83:84], v[123:124], -v[125:126]
	v_fma_f64 v[129:130], v[129:130], v[79:80], v[131:132]
	v_add_f64 v[2:3], v[2:3], v[10:11]
	v_add_f64 v[10:11], v[115:116], v[117:118]
	ds_load_b128 v[81:84], v1 offset:576
	ds_load_b128 v[115:118], v1 offset:592
	v_fma_f64 v[79:80], v[127:128], v[79:80], -v[133:134]
	s_waitcnt vmcnt(6) lgkmcnt(1)
	v_mul_f64 v[125:126], v[81:82], v[113:114]
	v_mul_f64 v[113:114], v[83:84], v[113:114]
	v_add_f64 v[2:3], v[2:3], v[123:124]
	v_add_f64 v[10:11], v[10:11], v[85:86]
	s_waitcnt lgkmcnt(0)
	v_mul_f64 v[123:124], v[115:116], v[89:90]
	v_mul_f64 v[89:90], v[117:118], v[89:90]
	v_fma_f64 v[125:126], v[83:84], v[111:112], v[125:126]
	v_fma_f64 v[111:112], v[81:82], v[111:112], -v[113:114]
	v_add_f64 v[2:3], v[2:3], v[79:80]
	v_add_f64 v[10:11], v[10:11], v[129:130]
	ds_load_b128 v[79:82], v1 offset:608
	ds_load_b128 v[83:86], v1 offset:624
	v_fma_f64 v[117:118], v[117:118], v[87:88], v[123:124]
	v_fma_f64 v[87:88], v[115:116], v[87:88], -v[89:90]
	s_waitcnt vmcnt(5) lgkmcnt(1)
	v_mul_f64 v[113:114], v[79:80], v[93:94]
	v_mul_f64 v[93:94], v[81:82], v[93:94]
	v_add_f64 v[2:3], v[2:3], v[111:112]
	v_add_f64 v[10:11], v[10:11], v[125:126]
	s_waitcnt vmcnt(4) lgkmcnt(0)
	v_mul_f64 v[111:112], v[83:84], v[97:98]
	v_mul_f64 v[97:98], v[85:86], v[97:98]
	v_fma_f64 v[113:114], v[81:82], v[91:92], v[113:114]
	v_fma_f64 v[91:92], v[79:80], v[91:92], -v[93:94]
	v_add_f64 v[2:3], v[2:3], v[87:88]
	v_add_f64 v[10:11], v[10:11], v[117:118]
	ds_load_b128 v[79:82], v1 offset:640
	ds_load_b128 v[87:90], v1 offset:656
	v_fma_f64 v[85:86], v[85:86], v[95:96], v[111:112]
	v_fma_f64 v[83:84], v[83:84], v[95:96], -v[97:98]
	s_waitcnt vmcnt(3) lgkmcnt(1)
	v_mul_f64 v[93:94], v[79:80], v[101:102]
	v_mul_f64 v[101:102], v[81:82], v[101:102]
	s_waitcnt vmcnt(2) lgkmcnt(0)
	v_mul_f64 v[95:96], v[89:90], v[105:106]
	v_add_f64 v[2:3], v[2:3], v[91:92]
	v_add_f64 v[10:11], v[10:11], v[113:114]
	v_mul_f64 v[91:92], v[87:88], v[105:106]
	v_fma_f64 v[93:94], v[81:82], v[99:100], v[93:94]
	v_fma_f64 v[97:98], v[79:80], v[99:100], -v[101:102]
	v_fma_f64 v[87:88], v[87:88], v[103:104], -v[95:96]
	v_add_f64 v[83:84], v[2:3], v[83:84]
	v_add_f64 v[10:11], v[10:11], v[85:86]
	ds_load_b128 v[79:82], v1 offset:672
	ds_load_b128 v[1:4], v1 offset:688
	v_fma_f64 v[89:90], v[89:90], v[103:104], v[91:92]
	s_waitcnt vmcnt(1) lgkmcnt(1)
	v_mul_f64 v[85:86], v[79:80], v[109:110]
	v_mul_f64 v[99:100], v[81:82], v[109:110]
	v_add_f64 v[83:84], v[83:84], v[97:98]
	v_add_f64 v[10:11], v[10:11], v[93:94]
	s_waitcnt vmcnt(0) lgkmcnt(0)
	v_mul_f64 v[91:92], v[1:2], v[8:9]
	v_mul_f64 v[8:9], v[3:4], v[8:9]
	v_fma_f64 v[81:82], v[81:82], v[107:108], v[85:86]
	v_fma_f64 v[79:80], v[79:80], v[107:108], -v[99:100]
	v_add_f64 v[83:84], v[83:84], v[87:88]
	v_add_f64 v[10:11], v[10:11], v[89:90]
	v_fma_f64 v[3:4], v[3:4], v[6:7], v[91:92]
	v_fma_f64 v[1:2], v[1:2], v[6:7], -v[8:9]
	s_delay_alu instid0(VALU_DEP_4) | instskip(NEXT) | instid1(VALU_DEP_4)
	v_add_f64 v[6:7], v[83:84], v[79:80]
	v_add_f64 v[8:9], v[10:11], v[81:82]
	s_delay_alu instid0(VALU_DEP_2) | instskip(NEXT) | instid1(VALU_DEP_2)
	v_add_f64 v[1:2], v[6:7], v[1:2]
	v_add_f64 v[3:4], v[8:9], v[3:4]
	s_delay_alu instid0(VALU_DEP_2) | instskip(NEXT) | instid1(VALU_DEP_2)
	v_add_f64 v[1:2], v[119:120], -v[1:2]
	v_add_f64 v[3:4], v[121:122], -v[3:4]
	scratch_store_b128 off, v[1:4], off offset:16
	v_cmpx_ne_u32_e32 0, v57
	s_cbranch_execz .LBB21_145
; %bb.144:
	scratch_load_b128 v[1:4], off, off
	v_mov_b32_e32 v6, 0
	s_delay_alu instid0(VALU_DEP_1)
	v_mov_b32_e32 v7, v6
	v_mov_b32_e32 v8, v6
	;; [unrolled: 1-line block ×3, first 2 shown]
	scratch_store_b128 off, v[6:9], off
	s_waitcnt vmcnt(0)
	ds_store_b128 v5, v[1:4]
.LBB21_145:
	s_or_b32 exec_lo, exec_lo, s2
	s_waitcnt lgkmcnt(0)
	s_waitcnt_vscnt null, 0x0
	s_barrier
	buffer_gl0_inv
	s_clause 0x7
	scratch_load_b128 v[1:4], off, off offset:16
	scratch_load_b128 v[5:8], off, off offset:32
	;; [unrolled: 1-line block ×8, first 2 shown]
	v_mov_b32_e32 v135, 0
	s_and_b32 vcc_lo, exec_lo, s20
	ds_load_b128 v[99:102], v135 offset:368
	s_clause 0x1
	scratch_load_b128 v[103:106], off, off offset:144
	scratch_load_b128 v[107:110], off, off
	ds_load_b128 v[111:114], v135 offset:384
	scratch_load_b128 v[115:118], off, off offset:160
	s_waitcnt vmcnt(10) lgkmcnt(1)
	v_mul_f64 v[119:120], v[101:102], v[3:4]
	v_mul_f64 v[3:4], v[99:100], v[3:4]
	s_delay_alu instid0(VALU_DEP_2) | instskip(NEXT) | instid1(VALU_DEP_2)
	v_fma_f64 v[125:126], v[99:100], v[1:2], -v[119:120]
	v_fma_f64 v[127:128], v[101:102], v[1:2], v[3:4]
	scratch_load_b128 v[99:102], off, off offset:176
	ds_load_b128 v[1:4], v135 offset:400
	s_waitcnt vmcnt(10) lgkmcnt(1)
	v_mul_f64 v[123:124], v[111:112], v[7:8]
	v_mul_f64 v[7:8], v[113:114], v[7:8]
	ds_load_b128 v[119:122], v135 offset:416
	s_waitcnt vmcnt(9) lgkmcnt(1)
	v_mul_f64 v[129:130], v[1:2], v[11:12]
	v_mul_f64 v[11:12], v[3:4], v[11:12]
	v_fma_f64 v[113:114], v[113:114], v[5:6], v[123:124]
	v_fma_f64 v[111:112], v[111:112], v[5:6], -v[7:8]
	v_add_f64 v[123:124], v[125:126], 0
	v_add_f64 v[125:126], v[127:128], 0
	scratch_load_b128 v[5:8], off, off offset:192
	v_fma_f64 v[129:130], v[3:4], v[9:10], v[129:130]
	v_fma_f64 v[131:132], v[1:2], v[9:10], -v[11:12]
	scratch_load_b128 v[9:12], off, off offset:208
	ds_load_b128 v[1:4], v135 offset:432
	s_waitcnt vmcnt(10) lgkmcnt(1)
	v_mul_f64 v[127:128], v[119:120], v[81:82]
	v_mul_f64 v[81:82], v[121:122], v[81:82]
	v_add_f64 v[123:124], v[123:124], v[111:112]
	v_add_f64 v[125:126], v[125:126], v[113:114]
	s_waitcnt vmcnt(9) lgkmcnt(0)
	v_mul_f64 v[133:134], v[1:2], v[85:86]
	v_mul_f64 v[85:86], v[3:4], v[85:86]
	ds_load_b128 v[111:114], v135 offset:448
	v_fma_f64 v[121:122], v[121:122], v[79:80], v[127:128]
	v_fma_f64 v[119:120], v[119:120], v[79:80], -v[81:82]
	scratch_load_b128 v[79:82], off, off offset:224
	v_add_f64 v[123:124], v[123:124], v[131:132]
	v_add_f64 v[125:126], v[125:126], v[129:130]
	v_fma_f64 v[129:130], v[3:4], v[83:84], v[133:134]
	v_fma_f64 v[131:132], v[1:2], v[83:84], -v[85:86]
	scratch_load_b128 v[83:86], off, off offset:240
	ds_load_b128 v[1:4], v135 offset:464
	s_waitcnt vmcnt(10) lgkmcnt(1)
	v_mul_f64 v[127:128], v[111:112], v[89:90]
	v_mul_f64 v[89:90], v[113:114], v[89:90]
	s_waitcnt vmcnt(9) lgkmcnt(0)
	v_mul_f64 v[133:134], v[1:2], v[93:94]
	v_mul_f64 v[93:94], v[3:4], v[93:94]
	v_add_f64 v[123:124], v[123:124], v[119:120]
	v_add_f64 v[125:126], v[125:126], v[121:122]
	ds_load_b128 v[119:122], v135 offset:480
	v_fma_f64 v[113:114], v[113:114], v[87:88], v[127:128]
	v_fma_f64 v[111:112], v[111:112], v[87:88], -v[89:90]
	scratch_load_b128 v[87:90], off, off offset:256
	v_add_f64 v[123:124], v[123:124], v[131:132]
	v_add_f64 v[125:126], v[125:126], v[129:130]
	v_fma_f64 v[129:130], v[3:4], v[91:92], v[133:134]
	v_fma_f64 v[131:132], v[1:2], v[91:92], -v[93:94]
	scratch_load_b128 v[91:94], off, off offset:272
	ds_load_b128 v[1:4], v135 offset:496
	s_waitcnt vmcnt(10) lgkmcnt(1)
	v_mul_f64 v[127:128], v[119:120], v[97:98]
	v_mul_f64 v[97:98], v[121:122], v[97:98]
	s_waitcnt vmcnt(9) lgkmcnt(0)
	v_mul_f64 v[133:134], v[1:2], v[105:106]
	v_mul_f64 v[105:106], v[3:4], v[105:106]
	v_add_f64 v[123:124], v[123:124], v[111:112]
	v_add_f64 v[125:126], v[125:126], v[113:114]
	ds_load_b128 v[111:114], v135 offset:512
	v_fma_f64 v[121:122], v[121:122], v[95:96], v[127:128]
	v_fma_f64 v[119:120], v[119:120], v[95:96], -v[97:98]
	scratch_load_b128 v[95:98], off, off offset:288
	v_add_f64 v[123:124], v[123:124], v[131:132]
	v_add_f64 v[125:126], v[125:126], v[129:130]
	v_fma_f64 v[131:132], v[3:4], v[103:104], v[133:134]
	v_fma_f64 v[133:134], v[1:2], v[103:104], -v[105:106]
	scratch_load_b128 v[103:106], off, off offset:304
	ds_load_b128 v[1:4], v135 offset:528
	s_waitcnt vmcnt(9) lgkmcnt(1)
	v_mul_f64 v[127:128], v[111:112], v[117:118]
	v_mul_f64 v[129:130], v[113:114], v[117:118]
	v_add_f64 v[123:124], v[123:124], v[119:120]
	v_add_f64 v[121:122], v[125:126], v[121:122]
	ds_load_b128 v[117:120], v135 offset:544
	v_fma_f64 v[127:128], v[113:114], v[115:116], v[127:128]
	v_fma_f64 v[115:116], v[111:112], v[115:116], -v[129:130]
	scratch_load_b128 v[111:114], off, off offset:320
	s_waitcnt vmcnt(9) lgkmcnt(1)
	v_mul_f64 v[125:126], v[1:2], v[101:102]
	v_mul_f64 v[101:102], v[3:4], v[101:102]
	v_add_f64 v[123:124], v[123:124], v[133:134]
	v_add_f64 v[121:122], v[121:122], v[131:132]
	s_delay_alu instid0(VALU_DEP_4) | instskip(NEXT) | instid1(VALU_DEP_4)
	v_fma_f64 v[125:126], v[3:4], v[99:100], v[125:126]
	v_fma_f64 v[131:132], v[1:2], v[99:100], -v[101:102]
	scratch_load_b128 v[99:102], off, off offset:336
	ds_load_b128 v[1:4], v135 offset:560
	s_waitcnt vmcnt(9) lgkmcnt(1)
	v_mul_f64 v[129:130], v[117:118], v[7:8]
	v_mul_f64 v[7:8], v[119:120], v[7:8]
	s_waitcnt vmcnt(8) lgkmcnt(0)
	v_mul_f64 v[133:134], v[1:2], v[11:12]
	v_mul_f64 v[11:12], v[3:4], v[11:12]
	v_add_f64 v[115:116], v[123:124], v[115:116]
	v_add_f64 v[127:128], v[121:122], v[127:128]
	ds_load_b128 v[121:124], v135 offset:576
	v_fma_f64 v[119:120], v[119:120], v[5:6], v[129:130]
	v_fma_f64 v[5:6], v[117:118], v[5:6], -v[7:8]
	v_add_f64 v[7:8], v[115:116], v[131:132]
	v_add_f64 v[115:116], v[127:128], v[125:126]
	s_waitcnt vmcnt(7) lgkmcnt(0)
	v_mul_f64 v[117:118], v[121:122], v[81:82]
	v_mul_f64 v[81:82], v[123:124], v[81:82]
	v_fma_f64 v[125:126], v[3:4], v[9:10], v[133:134]
	v_fma_f64 v[9:10], v[1:2], v[9:10], -v[11:12]
	v_add_f64 v[11:12], v[7:8], v[5:6]
	v_add_f64 v[115:116], v[115:116], v[119:120]
	ds_load_b128 v[1:4], v135 offset:592
	ds_load_b128 v[5:8], v135 offset:608
	v_fma_f64 v[117:118], v[123:124], v[79:80], v[117:118]
	v_fma_f64 v[79:80], v[121:122], v[79:80], -v[81:82]
	s_waitcnt vmcnt(6) lgkmcnt(1)
	v_mul_f64 v[119:120], v[1:2], v[85:86]
	v_mul_f64 v[85:86], v[3:4], v[85:86]
	s_waitcnt vmcnt(5) lgkmcnt(0)
	v_mul_f64 v[81:82], v[5:6], v[89:90]
	v_mul_f64 v[89:90], v[7:8], v[89:90]
	v_add_f64 v[9:10], v[11:12], v[9:10]
	v_add_f64 v[11:12], v[115:116], v[125:126]
	v_fma_f64 v[115:116], v[3:4], v[83:84], v[119:120]
	v_fma_f64 v[83:84], v[1:2], v[83:84], -v[85:86]
	v_fma_f64 v[7:8], v[7:8], v[87:88], v[81:82]
	v_fma_f64 v[5:6], v[5:6], v[87:88], -v[89:90]
	v_add_f64 v[79:80], v[9:10], v[79:80]
	v_add_f64 v[85:86], v[11:12], v[117:118]
	ds_load_b128 v[1:4], v135 offset:624
	ds_load_b128 v[9:12], v135 offset:640
	s_waitcnt vmcnt(4) lgkmcnt(1)
	v_mul_f64 v[117:118], v[1:2], v[93:94]
	v_mul_f64 v[93:94], v[3:4], v[93:94]
	v_add_f64 v[79:80], v[79:80], v[83:84]
	v_add_f64 v[81:82], v[85:86], v[115:116]
	s_waitcnt vmcnt(3) lgkmcnt(0)
	v_mul_f64 v[83:84], v[9:10], v[97:98]
	v_mul_f64 v[85:86], v[11:12], v[97:98]
	v_fma_f64 v[87:88], v[3:4], v[91:92], v[117:118]
	v_fma_f64 v[89:90], v[1:2], v[91:92], -v[93:94]
	v_add_f64 v[79:80], v[79:80], v[5:6]
	v_add_f64 v[81:82], v[81:82], v[7:8]
	ds_load_b128 v[1:4], v135 offset:656
	ds_load_b128 v[5:8], v135 offset:672
	v_fma_f64 v[11:12], v[11:12], v[95:96], v[83:84]
	v_fma_f64 v[9:10], v[9:10], v[95:96], -v[85:86]
	s_waitcnt vmcnt(2) lgkmcnt(1)
	v_mul_f64 v[91:92], v[1:2], v[105:106]
	v_mul_f64 v[93:94], v[3:4], v[105:106]
	s_waitcnt vmcnt(1) lgkmcnt(0)
	v_mul_f64 v[83:84], v[5:6], v[113:114]
	v_mul_f64 v[85:86], v[7:8], v[113:114]
	v_add_f64 v[79:80], v[79:80], v[89:90]
	v_add_f64 v[81:82], v[81:82], v[87:88]
	v_fma_f64 v[87:88], v[3:4], v[103:104], v[91:92]
	v_fma_f64 v[89:90], v[1:2], v[103:104], -v[93:94]
	ds_load_b128 v[1:4], v135 offset:688
	v_fma_f64 v[7:8], v[7:8], v[111:112], v[83:84]
	v_fma_f64 v[5:6], v[5:6], v[111:112], -v[85:86]
	v_add_f64 v[9:10], v[79:80], v[9:10]
	v_add_f64 v[11:12], v[81:82], v[11:12]
	s_waitcnt vmcnt(0) lgkmcnt(0)
	v_mul_f64 v[79:80], v[1:2], v[101:102]
	v_mul_f64 v[81:82], v[3:4], v[101:102]
	s_delay_alu instid0(VALU_DEP_4) | instskip(NEXT) | instid1(VALU_DEP_4)
	v_add_f64 v[9:10], v[9:10], v[89:90]
	v_add_f64 v[11:12], v[11:12], v[87:88]
	s_delay_alu instid0(VALU_DEP_4) | instskip(NEXT) | instid1(VALU_DEP_4)
	v_fma_f64 v[3:4], v[3:4], v[99:100], v[79:80]
	v_fma_f64 v[1:2], v[1:2], v[99:100], -v[81:82]
	s_delay_alu instid0(VALU_DEP_4) | instskip(NEXT) | instid1(VALU_DEP_4)
	v_add_f64 v[5:6], v[9:10], v[5:6]
	v_add_f64 v[7:8], v[11:12], v[7:8]
	s_delay_alu instid0(VALU_DEP_2) | instskip(NEXT) | instid1(VALU_DEP_2)
	v_add_f64 v[1:2], v[5:6], v[1:2]
	v_add_f64 v[3:4], v[7:8], v[3:4]
	s_delay_alu instid0(VALU_DEP_2) | instskip(NEXT) | instid1(VALU_DEP_2)
	v_add_f64 v[1:2], v[107:108], -v[1:2]
	v_add_f64 v[3:4], v[109:110], -v[3:4]
	scratch_store_b128 off, v[1:4], off
	s_cbranch_vccz .LBB21_189
; %bb.146:
	v_dual_mov_b32 v1, s16 :: v_dual_mov_b32 v2, s17
	s_load_b64 s[0:1], s[0:1], 0x4
	flat_load_b32 v1, v[1:2] offset:80
	v_bfe_u32 v2, v0, 10, 10
	v_bfe_u32 v0, v0, 20, 10
	s_waitcnt lgkmcnt(0)
	s_lshr_b32 s0, s0, 16
	s_delay_alu instid0(VALU_DEP_2) | instskip(SKIP_1) | instid1(SALU_CYCLE_1)
	v_mul_u32_u24_e32 v2, s1, v2
	s_mul_i32 s0, s0, s1
	v_mul_u32_u24_e32 v3, s0, v57
	s_mov_b32 s0, exec_lo
	s_delay_alu instid0(VALU_DEP_1) | instskip(NEXT) | instid1(VALU_DEP_1)
	v_add3_u32 v0, v3, v2, v0
	v_lshl_add_u32 v0, v0, 4, 0x2c8
	s_waitcnt vmcnt(0)
	v_cmpx_ne_u32_e32 21, v1
	s_cbranch_execz .LBB21_148
; %bb.147:
	v_lshl_add_u32 v9, v1, 4, 0
	s_clause 0x1
	scratch_load_b128 v[1:4], v78, off
	scratch_load_b128 v[5:8], v9, off offset:-16
	s_waitcnt vmcnt(1)
	ds_store_2addr_b64 v0, v[1:2], v[3:4] offset1:1
	s_waitcnt vmcnt(0)
	s_clause 0x1
	scratch_store_b128 v78, v[5:8], off
	scratch_store_b128 v9, v[1:4], off offset:-16
.LBB21_148:
	s_or_b32 exec_lo, exec_lo, s0
	v_dual_mov_b32 v1, s16 :: v_dual_mov_b32 v2, s17
	s_mov_b32 s0, exec_lo
	flat_load_b32 v1, v[1:2] offset:76
	s_waitcnt vmcnt(0) lgkmcnt(0)
	v_cmpx_ne_u32_e32 20, v1
	s_cbranch_execz .LBB21_150
; %bb.149:
	v_lshl_add_u32 v9, v1, 4, 0
	s_clause 0x1
	scratch_load_b128 v[1:4], v75, off
	scratch_load_b128 v[5:8], v9, off offset:-16
	s_waitcnt vmcnt(1)
	ds_store_2addr_b64 v0, v[1:2], v[3:4] offset1:1
	s_waitcnt vmcnt(0)
	s_clause 0x1
	scratch_store_b128 v75, v[5:8], off
	scratch_store_b128 v9, v[1:4], off offset:-16
.LBB21_150:
	s_or_b32 exec_lo, exec_lo, s0
	v_dual_mov_b32 v1, s16 :: v_dual_mov_b32 v2, s17
	s_mov_b32 s0, exec_lo
	flat_load_b32 v1, v[1:2] offset:72
	s_waitcnt vmcnt(0) lgkmcnt(0)
	;; [unrolled: 19-line block ×19, first 2 shown]
	v_cmpx_ne_u32_e32 2, v1
	s_cbranch_execz .LBB21_186
; %bb.185:
	v_lshl_add_u32 v9, v1, 4, 0
	s_clause 0x1
	scratch_load_b128 v[1:4], v65, off
	scratch_load_b128 v[5:8], v9, off offset:-16
	s_waitcnt vmcnt(1)
	ds_store_2addr_b64 v0, v[1:2], v[3:4] offset1:1
	s_waitcnt vmcnt(0)
	s_clause 0x1
	scratch_store_b128 v65, v[5:8], off
	scratch_store_b128 v9, v[1:4], off offset:-16
.LBB21_186:
	s_or_b32 exec_lo, exec_lo, s0
	v_dual_mov_b32 v1, s16 :: v_dual_mov_b32 v2, s17
	s_mov_b32 s0, exec_lo
	flat_load_b32 v1, v[1:2]
	s_waitcnt vmcnt(0) lgkmcnt(0)
	v_cmpx_ne_u32_e32 1, v1
	s_cbranch_execz .LBB21_188
; %bb.187:
	v_lshl_add_u32 v9, v1, 4, 0
	scratch_load_b128 v[1:4], off, off
	scratch_load_b128 v[5:8], v9, off offset:-16
	s_waitcnt vmcnt(1)
	ds_store_2addr_b64 v0, v[1:2], v[3:4] offset1:1
	s_waitcnt vmcnt(0)
	scratch_store_b128 off, v[5:8], off
	scratch_store_b128 v9, v[1:4], off offset:-16
.LBB21_188:
	s_or_b32 exec_lo, exec_lo, s0
.LBB21_189:
	scratch_load_b128 v[0:3], off, off
	s_clause 0x14
	scratch_load_b128 v[4:7], v65, off
	scratch_load_b128 v[8:11], v60, off
	;; [unrolled: 1-line block ×21, first 2 shown]
	s_waitcnt vmcnt(21)
	global_store_b128 v[13:14], v[0:3], off
	s_waitcnt vmcnt(20)
	global_store_b128 v[15:16], v[4:7], off
	;; [unrolled: 2-line block ×22, first 2 shown]
	s_endpgm
	.section	.rodata,"a",@progbits
	.p2align	6, 0x0
	.amdhsa_kernel _ZN9rocsolver6v33100L18getri_kernel_smallILi22E19rocblas_complex_numIdEPS3_EEvT1_iilPiilS6_bb
		.amdhsa_group_segment_fixed_size 1736
		.amdhsa_private_segment_fixed_size 368
		.amdhsa_kernarg_size 60
		.amdhsa_user_sgpr_count 15
		.amdhsa_user_sgpr_dispatch_ptr 1
		.amdhsa_user_sgpr_queue_ptr 0
		.amdhsa_user_sgpr_kernarg_segment_ptr 1
		.amdhsa_user_sgpr_dispatch_id 0
		.amdhsa_user_sgpr_private_segment_size 0
		.amdhsa_wavefront_size32 1
		.amdhsa_uses_dynamic_stack 0
		.amdhsa_enable_private_segment 1
		.amdhsa_system_sgpr_workgroup_id_x 1
		.amdhsa_system_sgpr_workgroup_id_y 0
		.amdhsa_system_sgpr_workgroup_id_z 0
		.amdhsa_system_sgpr_workgroup_info 0
		.amdhsa_system_vgpr_workitem_id 2
		.amdhsa_next_free_vgpr 139
		.amdhsa_next_free_sgpr 22
		.amdhsa_reserve_vcc 1
		.amdhsa_float_round_mode_32 0
		.amdhsa_float_round_mode_16_64 0
		.amdhsa_float_denorm_mode_32 3
		.amdhsa_float_denorm_mode_16_64 3
		.amdhsa_dx10_clamp 1
		.amdhsa_ieee_mode 1
		.amdhsa_fp16_overflow 0
		.amdhsa_workgroup_processor_mode 1
		.amdhsa_memory_ordered 1
		.amdhsa_forward_progress 0
		.amdhsa_shared_vgpr_count 0
		.amdhsa_exception_fp_ieee_invalid_op 0
		.amdhsa_exception_fp_denorm_src 0
		.amdhsa_exception_fp_ieee_div_zero 0
		.amdhsa_exception_fp_ieee_overflow 0
		.amdhsa_exception_fp_ieee_underflow 0
		.amdhsa_exception_fp_ieee_inexact 0
		.amdhsa_exception_int_div_zero 0
	.end_amdhsa_kernel
	.section	.text._ZN9rocsolver6v33100L18getri_kernel_smallILi22E19rocblas_complex_numIdEPS3_EEvT1_iilPiilS6_bb,"axG",@progbits,_ZN9rocsolver6v33100L18getri_kernel_smallILi22E19rocblas_complex_numIdEPS3_EEvT1_iilPiilS6_bb,comdat
.Lfunc_end21:
	.size	_ZN9rocsolver6v33100L18getri_kernel_smallILi22E19rocblas_complex_numIdEPS3_EEvT1_iilPiilS6_bb, .Lfunc_end21-_ZN9rocsolver6v33100L18getri_kernel_smallILi22E19rocblas_complex_numIdEPS3_EEvT1_iilPiilS6_bb
                                        ; -- End function
	.section	.AMDGPU.csdata,"",@progbits
; Kernel info:
; codeLenInByte = 29636
; NumSgprs: 24
; NumVgprs: 139
; ScratchSize: 368
; MemoryBound: 0
; FloatMode: 240
; IeeeMode: 1
; LDSByteSize: 1736 bytes/workgroup (compile time only)
; SGPRBlocks: 2
; VGPRBlocks: 17
; NumSGPRsForWavesPerEU: 24
; NumVGPRsForWavesPerEU: 139
; Occupancy: 10
; WaveLimiterHint : 1
; COMPUTE_PGM_RSRC2:SCRATCH_EN: 1
; COMPUTE_PGM_RSRC2:USER_SGPR: 15
; COMPUTE_PGM_RSRC2:TRAP_HANDLER: 0
; COMPUTE_PGM_RSRC2:TGID_X_EN: 1
; COMPUTE_PGM_RSRC2:TGID_Y_EN: 0
; COMPUTE_PGM_RSRC2:TGID_Z_EN: 0
; COMPUTE_PGM_RSRC2:TIDIG_COMP_CNT: 2
	.section	.text._ZN9rocsolver6v33100L18getri_kernel_smallILi23E19rocblas_complex_numIdEPS3_EEvT1_iilPiilS6_bb,"axG",@progbits,_ZN9rocsolver6v33100L18getri_kernel_smallILi23E19rocblas_complex_numIdEPS3_EEvT1_iilPiilS6_bb,comdat
	.globl	_ZN9rocsolver6v33100L18getri_kernel_smallILi23E19rocblas_complex_numIdEPS3_EEvT1_iilPiilS6_bb ; -- Begin function _ZN9rocsolver6v33100L18getri_kernel_smallILi23E19rocblas_complex_numIdEPS3_EEvT1_iilPiilS6_bb
	.p2align	8
	.type	_ZN9rocsolver6v33100L18getri_kernel_smallILi23E19rocblas_complex_numIdEPS3_EEvT1_iilPiilS6_bb,@function
_ZN9rocsolver6v33100L18getri_kernel_smallILi23E19rocblas_complex_numIdEPS3_EEvT1_iilPiilS6_bb: ; @_ZN9rocsolver6v33100L18getri_kernel_smallILi23E19rocblas_complex_numIdEPS3_EEvT1_iilPiilS6_bb
; %bb.0:
	v_and_b32_e32 v59, 0x3ff, v0
	s_mov_b32 s4, exec_lo
	s_delay_alu instid0(VALU_DEP_1)
	v_cmpx_gt_u32_e32 23, v59
	s_cbranch_execz .LBB22_106
; %bb.1:
	s_mov_b32 s18, s15
	s_clause 0x2
	s_load_b32 s21, s[2:3], 0x38
	s_load_b128 s[12:15], s[2:3], 0x10
	s_load_b128 s[4:7], s[2:3], 0x28
                                        ; implicit-def: $sgpr16_sgpr17
	s_waitcnt lgkmcnt(0)
	s_bitcmp1_b32 s21, 8
	s_cselect_b32 s20, -1, 0
	s_bfe_u32 s8, s21, 0x10008
	s_ashr_i32 s19, s18, 31
	s_cmp_eq_u32 s8, 0
	s_cbranch_scc1 .LBB22_3
; %bb.2:
	s_load_b32 s8, s[2:3], 0x20
	s_mul_i32 s5, s18, s5
	s_mul_hi_u32 s9, s18, s4
	s_mul_i32 s10, s19, s4
	s_add_i32 s5, s9, s5
	s_mul_i32 s4, s18, s4
	s_add_i32 s5, s5, s10
	s_delay_alu instid0(SALU_CYCLE_1)
	s_lshl_b64 s[4:5], s[4:5], 2
	s_waitcnt lgkmcnt(0)
	s_ashr_i32 s9, s8, 31
	s_add_u32 s10, s14, s4
	s_addc_u32 s11, s15, s5
	s_lshl_b64 s[4:5], s[8:9], 2
	s_delay_alu instid0(SALU_CYCLE_1)
	s_add_u32 s16, s10, s4
	s_addc_u32 s17, s11, s5
.LBB22_3:
	s_load_b128 s[8:11], s[2:3], 0x0
	s_mul_i32 s2, s18, s13
	s_mul_hi_u32 s3, s18, s12
	s_mul_i32 s4, s19, s12
	s_add_i32 s3, s3, s2
	s_mul_i32 s2, s18, s12
	s_add_i32 s3, s3, s4
	v_lshlrev_b32_e32 v82, 4, v59
	s_lshl_b64 s[2:3], s[2:3], 4
	s_waitcnt lgkmcnt(0)
	v_add3_u32 v5, s11, s11, v59
	s_ashr_i32 s5, s10, 31
	s_mov_b32 s4, s10
	s_add_u32 s8, s8, s2
	s_addc_u32 s9, s9, s3
	v_add_nc_u32_e32 v7, s11, v5
	s_lshl_b64 s[2:3], s[4:5], 4
	v_ashrrev_i32_e32 v6, 31, v5
	s_add_u32 s2, s8, s2
	s_addc_u32 s3, s9, s3
	v_add_nc_u32_e32 v9, s11, v7
	v_add_co_u32 v13, s8, s2, v82
	v_ashrrev_i32_e32 v8, 31, v7
	s_mov_b32 s4, s11
	s_delay_alu instid0(VALU_DEP_3)
	v_add_nc_u32_e32 v21, s11, v9
	s_ashr_i32 s5, s11, 31
	v_add_co_ci_u32_e64 v14, null, s3, 0, s8
	v_lshlrev_b64 v[5:6], 4, v[5:6]
	s_lshl_b64 s[4:5], s[4:5], 4
	v_ashrrev_i32_e32 v10, 31, v9
	v_add_nc_u32_e32 v25, s11, v21
	v_add_co_u32 v15, vcc_lo, v13, s4
	v_lshlrev_b64 v[19:20], 4, v[7:8]
	v_ashrrev_i32_e32 v22, 31, v21
	v_add_co_ci_u32_e32 v16, vcc_lo, s5, v14, vcc_lo
	v_add_co_u32 v17, vcc_lo, s2, v5
	v_lshlrev_b64 v[23:24], 4, v[9:10]
	v_add_nc_u32_e32 v29, s11, v25
	v_add_co_ci_u32_e32 v18, vcc_lo, s3, v6, vcc_lo
	v_add_co_u32 v19, vcc_lo, s2, v19
	v_lshlrev_b64 v[27:28], 4, v[21:22]
	v_add_co_ci_u32_e32 v20, vcc_lo, s3, v20, vcc_lo
	v_add_co_u32 v21, vcc_lo, s2, v23
	v_ashrrev_i32_e32 v30, 31, v29
	v_add_nc_u32_e32 v31, s11, v29
	v_add_co_ci_u32_e32 v22, vcc_lo, s3, v24, vcc_lo
	v_ashrrev_i32_e32 v26, 31, v25
	v_add_co_u32 v23, vcc_lo, s2, v27
	v_add_co_ci_u32_e32 v24, vcc_lo, s3, v28, vcc_lo
	v_lshlrev_b64 v[27:28], 4, v[29:30]
	v_add_nc_u32_e32 v29, s11, v31
	v_lshlrev_b64 v[25:26], 4, v[25:26]
	v_ashrrev_i32_e32 v32, 31, v31
	s_clause 0x2
	global_load_b128 v[1:4], v82, s[2:3]
	global_load_b128 v[5:8], v[15:16], off
	global_load_b128 v[9:12], v[17:18], off
	v_add_nc_u32_e32 v33, s11, v29
	v_ashrrev_i32_e32 v30, 31, v29
	v_add_co_u32 v25, vcc_lo, s2, v25
	v_lshlrev_b64 v[31:32], 4, v[31:32]
	s_delay_alu instid0(VALU_DEP_4)
	v_add_nc_u32_e32 v37, s11, v33
	v_add_co_ci_u32_e32 v26, vcc_lo, s3, v26, vcc_lo
	v_add_co_u32 v27, vcc_lo, s2, v27
	v_lshlrev_b64 v[35:36], 4, v[29:30]
	v_add_co_ci_u32_e32 v28, vcc_lo, s3, v28, vcc_lo
	v_add_co_u32 v29, vcc_lo, s2, v31
	v_ashrrev_i32_e32 v38, 31, v37
	v_add_nc_u32_e32 v39, s11, v37
	v_add_co_ci_u32_e32 v30, vcc_lo, s3, v32, vcc_lo
	v_ashrrev_i32_e32 v34, 31, v33
	v_add_co_u32 v31, vcc_lo, s2, v35
	v_add_co_ci_u32_e32 v32, vcc_lo, s3, v36, vcc_lo
	v_lshlrev_b64 v[35:36], 4, v[37:38]
	v_add_nc_u32_e32 v37, s11, v39
	v_lshlrev_b64 v[33:34], 4, v[33:34]
	v_ashrrev_i32_e32 v40, 31, v39
	s_clause 0x3
	global_load_b128 v[60:63], v[19:20], off
	global_load_b128 v[64:67], v[21:22], off
	;; [unrolled: 1-line block ×4, first 2 shown]
	v_add_nc_u32_e32 v41, s11, v37
	v_ashrrev_i32_e32 v38, 31, v37
	v_add_co_u32 v33, vcc_lo, s2, v33
	v_lshlrev_b64 v[39:40], 4, v[39:40]
	s_delay_alu instid0(VALU_DEP_4)
	v_add_nc_u32_e32 v45, s11, v41
	v_add_co_ci_u32_e32 v34, vcc_lo, s3, v34, vcc_lo
	v_add_co_u32 v35, vcc_lo, s2, v35
	v_lshlrev_b64 v[43:44], 4, v[37:38]
	v_add_co_ci_u32_e32 v36, vcc_lo, s3, v36, vcc_lo
	v_add_co_u32 v37, vcc_lo, s2, v39
	v_ashrrev_i32_e32 v46, 31, v45
	v_add_nc_u32_e32 v47, s11, v45
	v_add_co_ci_u32_e32 v38, vcc_lo, s3, v40, vcc_lo
	v_ashrrev_i32_e32 v42, 31, v41
	v_add_co_u32 v39, vcc_lo, s2, v43
	v_add_co_ci_u32_e32 v40, vcc_lo, s3, v44, vcc_lo
	v_lshlrev_b64 v[43:44], 4, v[45:46]
	v_add_nc_u32_e32 v45, s11, v47
	v_lshlrev_b64 v[41:42], 4, v[41:42]
	v_ashrrev_i32_e32 v48, 31, v47
	s_clause 0x4
	global_load_b128 v[76:79], v[27:28], off
	global_load_b128 v[83:86], v[29:30], off
	;; [unrolled: 1-line block ×5, first 2 shown]
	v_add_nc_u32_e32 v49, s11, v45
	v_ashrrev_i32_e32 v46, 31, v45
	v_add_co_u32 v41, vcc_lo, s2, v41
	v_lshlrev_b64 v[47:48], 4, v[47:48]
	s_delay_alu instid0(VALU_DEP_4)
	v_add_nc_u32_e32 v53, s11, v49
	v_add_co_ci_u32_e32 v42, vcc_lo, s3, v42, vcc_lo
	v_add_co_u32 v43, vcc_lo, s2, v43
	v_lshlrev_b64 v[51:52], 4, v[45:46]
	v_add_co_ci_u32_e32 v44, vcc_lo, s3, v44, vcc_lo
	v_add_co_u32 v45, vcc_lo, s2, v47
	v_ashrrev_i32_e32 v54, 31, v53
	v_add_nc_u32_e32 v55, s11, v53
	v_add_co_ci_u32_e32 v46, vcc_lo, s3, v48, vcc_lo
	v_ashrrev_i32_e32 v50, 31, v49
	v_add_co_u32 v47, vcc_lo, s2, v51
	v_add_co_ci_u32_e32 v48, vcc_lo, s3, v52, vcc_lo
	v_lshlrev_b64 v[51:52], 4, v[53:54]
	v_add_nc_u32_e32 v53, s11, v55
	v_lshlrev_b64 v[49:50], 4, v[49:50]
	v_ashrrev_i32_e32 v56, 31, v55
	s_clause 0x3
	global_load_b128 v[99:102], v[37:38], off
	global_load_b128 v[103:106], v[39:40], off
	;; [unrolled: 1-line block ×4, first 2 shown]
	v_add_nc_u32_e32 v57, s11, v53
	v_ashrrev_i32_e32 v54, 31, v53
	v_add_co_u32 v49, vcc_lo, s2, v49
	v_lshlrev_b64 v[55:56], 4, v[55:56]
	s_delay_alu instid0(VALU_DEP_4)
	v_ashrrev_i32_e32 v58, 31, v57
	v_add_co_ci_u32_e32 v50, vcc_lo, s3, v50, vcc_lo
	v_add_co_u32 v51, vcc_lo, s2, v51
	v_lshlrev_b64 v[80:81], 4, v[53:54]
	v_add_co_ci_u32_e32 v52, vcc_lo, s3, v52, vcc_lo
	v_add_co_u32 v53, vcc_lo, s2, v55
	v_lshlrev_b64 v[57:58], 4, v[57:58]
	v_add_co_ci_u32_e32 v54, vcc_lo, s3, v56, vcc_lo
	v_add_co_u32 v55, vcc_lo, s2, v80
	v_add_co_ci_u32_e32 v56, vcc_lo, s3, v81, vcc_lo
	s_delay_alu instid0(VALU_DEP_4)
	v_add_co_u32 v57, vcc_lo, s2, v57
	v_add_co_ci_u32_e32 v58, vcc_lo, s3, v58, vcc_lo
	s_clause 0x6
	global_load_b128 v[115:118], v[45:46], off
	global_load_b128 v[119:122], v[47:48], off
	;; [unrolled: 1-line block ×7, first 2 shown]
	s_movk_i32 s2, 0x50
	s_movk_i32 s3, 0x60
	s_bitcmp0_b32 s21, 0
	s_waitcnt vmcnt(22)
	scratch_store_b128 off, v[1:4], off
	s_waitcnt vmcnt(21)
	scratch_store_b128 off, v[5:8], off offset:16
	s_waitcnt vmcnt(20)
	scratch_store_b128 off, v[9:12], off offset:32
	;; [unrolled: 2-line block ×11, first 2 shown]
	v_add_nc_u32_e64 v68, s2, 0
	s_movk_i32 s2, 0x70
	v_add_nc_u32_e64 v63, s3, 0
	v_add_nc_u32_e64 v67, s2, 0
	s_movk_i32 s2, 0x90
	s_movk_i32 s3, 0x80
	v_add_nc_u32_e64 v71, s2, 0
	s_movk_i32 s2, 0xb0
	v_add_nc_u32_e64 v62, s3, 0
	;; [unrolled: 2-line block ×12, first 2 shown]
	v_add_nc_u32_e64 v80, s2, 0
	s_movk_i32 s2, 0x150
	s_movk_i32 s3, 0x160
	v_add_nc_u32_e64 v69, 0, 16
	v_add_nc_u32_e64 v64, 0, 32
	;; [unrolled: 1-line block ×6, first 2 shown]
	s_mov_b32 s3, -1
	s_waitcnt vmcnt(10)
	scratch_store_b128 off, v[99:102], off offset:192
	s_waitcnt vmcnt(9)
	scratch_store_b128 off, v[103:106], off offset:208
	;; [unrolled: 2-line block ×11, first 2 shown]
	s_cbranch_scc1 .LBB22_104
; %bb.4:
	v_cmp_eq_u32_e64 s2, 0, v59
	s_delay_alu instid0(VALU_DEP_1)
	s_and_saveexec_b32 s3, s2
	s_cbranch_execz .LBB22_6
; %bb.5:
	v_mov_b32_e32 v1, 0
	ds_store_b32 v1, v1 offset:736
.LBB22_6:
	s_or_b32 exec_lo, exec_lo, s3
	s_waitcnt lgkmcnt(0)
	s_waitcnt_vscnt null, 0x0
	s_barrier
	buffer_gl0_inv
	scratch_load_b128 v[1:4], v82, off
	s_waitcnt vmcnt(0)
	v_cmp_eq_f64_e32 vcc_lo, 0, v[1:2]
	v_cmp_eq_f64_e64 s3, 0, v[3:4]
	s_delay_alu instid0(VALU_DEP_1) | instskip(NEXT) | instid1(SALU_CYCLE_1)
	s_and_b32 s3, vcc_lo, s3
	s_and_saveexec_b32 s4, s3
	s_cbranch_execz .LBB22_10
; %bb.7:
	v_mov_b32_e32 v1, 0
	s_mov_b32 s5, 0
	ds_load_b32 v2, v1 offset:736
	s_waitcnt lgkmcnt(0)
	v_readfirstlane_b32 s3, v2
	v_add_nc_u32_e32 v2, 1, v59
	s_delay_alu instid0(VALU_DEP_2) | instskip(NEXT) | instid1(VALU_DEP_1)
	s_cmp_eq_u32 s3, 0
	v_cmp_gt_i32_e32 vcc_lo, s3, v2
	s_cselect_b32 s8, -1, 0
	s_delay_alu instid0(SALU_CYCLE_1) | instskip(NEXT) | instid1(SALU_CYCLE_1)
	s_or_b32 s8, s8, vcc_lo
	s_and_b32 exec_lo, exec_lo, s8
	s_cbranch_execz .LBB22_10
; %bb.8:
	v_mov_b32_e32 v3, s3
.LBB22_9:                               ; =>This Inner Loop Header: Depth=1
	ds_cmpstore_rtn_b32 v3, v1, v2, v3 offset:736
	s_waitcnt lgkmcnt(0)
	v_cmp_ne_u32_e32 vcc_lo, 0, v3
	v_cmp_le_i32_e64 s3, v3, v2
	s_delay_alu instid0(VALU_DEP_1) | instskip(NEXT) | instid1(SALU_CYCLE_1)
	s_and_b32 s3, vcc_lo, s3
	s_and_b32 s3, exec_lo, s3
	s_delay_alu instid0(SALU_CYCLE_1) | instskip(NEXT) | instid1(SALU_CYCLE_1)
	s_or_b32 s5, s3, s5
	s_and_not1_b32 exec_lo, exec_lo, s5
	s_cbranch_execnz .LBB22_9
.LBB22_10:
	s_or_b32 exec_lo, exec_lo, s4
	v_mov_b32_e32 v1, 0
	s_barrier
	buffer_gl0_inv
	ds_load_b32 v2, v1 offset:736
	s_and_saveexec_b32 s3, s2
	s_cbranch_execz .LBB22_12
; %bb.11:
	s_lshl_b64 s[4:5], s[18:19], 2
	s_delay_alu instid0(SALU_CYCLE_1)
	s_add_u32 s4, s6, s4
	s_addc_u32 s5, s7, s5
	s_waitcnt lgkmcnt(0)
	global_store_b32 v1, v2, s[4:5]
.LBB22_12:
	s_or_b32 exec_lo, exec_lo, s3
	s_waitcnt lgkmcnt(0)
	v_cmp_ne_u32_e32 vcc_lo, 0, v2
	s_mov_b32 s3, 0
	s_cbranch_vccnz .LBB22_104
; %bb.13:
	v_add_nc_u32_e32 v83, 0, v82
                                        ; implicit-def: $vgpr9_vgpr10
	scratch_load_b128 v[1:4], v83, off
	s_waitcnt vmcnt(0)
	v_cmp_gt_f64_e32 vcc_lo, 0, v[1:2]
	v_xor_b32_e32 v6, 0x80000000, v2
	v_mov_b32_e32 v5, v1
	v_xor_b32_e32 v7, 0x80000000, v4
	s_delay_alu instid0(VALU_DEP_3) | instskip(SKIP_1) | instid1(VALU_DEP_3)
	v_cndmask_b32_e32 v6, v2, v6, vcc_lo
	v_cmp_gt_f64_e32 vcc_lo, 0, v[3:4]
	v_dual_cndmask_b32 v8, v4, v7 :: v_dual_mov_b32 v7, v3
	s_delay_alu instid0(VALU_DEP_1) | instskip(SKIP_1) | instid1(SALU_CYCLE_1)
	v_cmp_ngt_f64_e32 vcc_lo, v[5:6], v[7:8]
                                        ; implicit-def: $vgpr5_vgpr6
	s_and_saveexec_b32 s3, vcc_lo
	s_xor_b32 s3, exec_lo, s3
	s_cbranch_execz .LBB22_15
; %bb.14:
	v_div_scale_f64 v[5:6], null, v[3:4], v[3:4], v[1:2]
	v_div_scale_f64 v[11:12], vcc_lo, v[1:2], v[3:4], v[1:2]
	s_delay_alu instid0(VALU_DEP_2) | instskip(SKIP_2) | instid1(VALU_DEP_1)
	v_rcp_f64_e32 v[7:8], v[5:6]
	s_waitcnt_depctr 0xfff
	v_fma_f64 v[9:10], -v[5:6], v[7:8], 1.0
	v_fma_f64 v[7:8], v[7:8], v[9:10], v[7:8]
	s_delay_alu instid0(VALU_DEP_1) | instskip(NEXT) | instid1(VALU_DEP_1)
	v_fma_f64 v[9:10], -v[5:6], v[7:8], 1.0
	v_fma_f64 v[7:8], v[7:8], v[9:10], v[7:8]
	s_delay_alu instid0(VALU_DEP_1) | instskip(NEXT) | instid1(VALU_DEP_1)
	v_mul_f64 v[9:10], v[11:12], v[7:8]
	v_fma_f64 v[5:6], -v[5:6], v[9:10], v[11:12]
	s_delay_alu instid0(VALU_DEP_1) | instskip(NEXT) | instid1(VALU_DEP_1)
	v_div_fmas_f64 v[5:6], v[5:6], v[7:8], v[9:10]
	v_div_fixup_f64 v[5:6], v[5:6], v[3:4], v[1:2]
	s_delay_alu instid0(VALU_DEP_1) | instskip(NEXT) | instid1(VALU_DEP_1)
	v_fma_f64 v[1:2], v[1:2], v[5:6], v[3:4]
	v_div_scale_f64 v[3:4], null, v[1:2], v[1:2], 1.0
	v_div_scale_f64 v[11:12], vcc_lo, 1.0, v[1:2], 1.0
	s_delay_alu instid0(VALU_DEP_2) | instskip(SKIP_2) | instid1(VALU_DEP_1)
	v_rcp_f64_e32 v[7:8], v[3:4]
	s_waitcnt_depctr 0xfff
	v_fma_f64 v[9:10], -v[3:4], v[7:8], 1.0
	v_fma_f64 v[7:8], v[7:8], v[9:10], v[7:8]
	s_delay_alu instid0(VALU_DEP_1) | instskip(NEXT) | instid1(VALU_DEP_1)
	v_fma_f64 v[9:10], -v[3:4], v[7:8], 1.0
	v_fma_f64 v[7:8], v[7:8], v[9:10], v[7:8]
	s_delay_alu instid0(VALU_DEP_1) | instskip(NEXT) | instid1(VALU_DEP_1)
	v_mul_f64 v[9:10], v[11:12], v[7:8]
	v_fma_f64 v[3:4], -v[3:4], v[9:10], v[11:12]
	s_delay_alu instid0(VALU_DEP_1) | instskip(NEXT) | instid1(VALU_DEP_1)
	v_div_fmas_f64 v[3:4], v[3:4], v[7:8], v[9:10]
	v_div_fixup_f64 v[7:8], v[3:4], v[1:2], 1.0
                                        ; implicit-def: $vgpr1_vgpr2
	s_delay_alu instid0(VALU_DEP_1) | instskip(SKIP_1) | instid1(VALU_DEP_2)
	v_mul_f64 v[5:6], v[5:6], v[7:8]
	v_xor_b32_e32 v8, 0x80000000, v8
	v_xor_b32_e32 v10, 0x80000000, v6
	s_delay_alu instid0(VALU_DEP_3)
	v_mov_b32_e32 v9, v5
.LBB22_15:
	s_and_not1_saveexec_b32 s3, s3
	s_cbranch_execz .LBB22_17
; %bb.16:
	v_div_scale_f64 v[5:6], null, v[1:2], v[1:2], v[3:4]
	v_div_scale_f64 v[11:12], vcc_lo, v[3:4], v[1:2], v[3:4]
	s_delay_alu instid0(VALU_DEP_2) | instskip(SKIP_2) | instid1(VALU_DEP_1)
	v_rcp_f64_e32 v[7:8], v[5:6]
	s_waitcnt_depctr 0xfff
	v_fma_f64 v[9:10], -v[5:6], v[7:8], 1.0
	v_fma_f64 v[7:8], v[7:8], v[9:10], v[7:8]
	s_delay_alu instid0(VALU_DEP_1) | instskip(NEXT) | instid1(VALU_DEP_1)
	v_fma_f64 v[9:10], -v[5:6], v[7:8], 1.0
	v_fma_f64 v[7:8], v[7:8], v[9:10], v[7:8]
	s_delay_alu instid0(VALU_DEP_1) | instskip(NEXT) | instid1(VALU_DEP_1)
	v_mul_f64 v[9:10], v[11:12], v[7:8]
	v_fma_f64 v[5:6], -v[5:6], v[9:10], v[11:12]
	s_delay_alu instid0(VALU_DEP_1) | instskip(NEXT) | instid1(VALU_DEP_1)
	v_div_fmas_f64 v[5:6], v[5:6], v[7:8], v[9:10]
	v_div_fixup_f64 v[7:8], v[5:6], v[1:2], v[3:4]
	s_delay_alu instid0(VALU_DEP_1) | instskip(NEXT) | instid1(VALU_DEP_1)
	v_fma_f64 v[1:2], v[3:4], v[7:8], v[1:2]
	v_div_scale_f64 v[3:4], null, v[1:2], v[1:2], 1.0
	s_delay_alu instid0(VALU_DEP_1) | instskip(SKIP_2) | instid1(VALU_DEP_1)
	v_rcp_f64_e32 v[5:6], v[3:4]
	s_waitcnt_depctr 0xfff
	v_fma_f64 v[9:10], -v[3:4], v[5:6], 1.0
	v_fma_f64 v[5:6], v[5:6], v[9:10], v[5:6]
	s_delay_alu instid0(VALU_DEP_1) | instskip(NEXT) | instid1(VALU_DEP_1)
	v_fma_f64 v[9:10], -v[3:4], v[5:6], 1.0
	v_fma_f64 v[5:6], v[5:6], v[9:10], v[5:6]
	v_div_scale_f64 v[9:10], vcc_lo, 1.0, v[1:2], 1.0
	s_delay_alu instid0(VALU_DEP_1) | instskip(NEXT) | instid1(VALU_DEP_1)
	v_mul_f64 v[11:12], v[9:10], v[5:6]
	v_fma_f64 v[3:4], -v[3:4], v[11:12], v[9:10]
	s_delay_alu instid0(VALU_DEP_1) | instskip(NEXT) | instid1(VALU_DEP_1)
	v_div_fmas_f64 v[3:4], v[3:4], v[5:6], v[11:12]
	v_div_fixup_f64 v[5:6], v[3:4], v[1:2], 1.0
	s_delay_alu instid0(VALU_DEP_1)
	v_mul_f64 v[7:8], v[7:8], -v[5:6]
	v_xor_b32_e32 v10, 0x80000000, v6
	v_mov_b32_e32 v9, v5
.LBB22_17:
	s_or_b32 exec_lo, exec_lo, s3
	scratch_store_b128 v83, v[5:8], off
	scratch_load_b128 v[1:4], v69, off
	v_xor_b32_e32 v12, 0x80000000, v8
	v_mov_b32_e32 v11, v7
	v_add_nc_u32_e32 v5, 0x170, v82
	ds_store_b128 v82, v[9:12]
	s_waitcnt vmcnt(0)
	ds_store_b128 v82, v[1:4] offset:368
	s_waitcnt lgkmcnt(0)
	s_waitcnt_vscnt null, 0x0
	s_barrier
	buffer_gl0_inv
	s_and_saveexec_b32 s3, s2
	s_cbranch_execz .LBB22_19
; %bb.18:
	scratch_load_b128 v[1:4], v83, off
	ds_load_b128 v[6:9], v5
	v_mov_b32_e32 v10, 0
	ds_load_b128 v[84:87], v10 offset:16
	s_waitcnt vmcnt(0) lgkmcnt(1)
	v_mul_f64 v[10:11], v[6:7], v[3:4]
	v_mul_f64 v[3:4], v[8:9], v[3:4]
	s_delay_alu instid0(VALU_DEP_2) | instskip(NEXT) | instid1(VALU_DEP_2)
	v_fma_f64 v[8:9], v[8:9], v[1:2], v[10:11]
	v_fma_f64 v[1:2], v[6:7], v[1:2], -v[3:4]
	s_delay_alu instid0(VALU_DEP_2) | instskip(NEXT) | instid1(VALU_DEP_2)
	v_add_f64 v[3:4], v[8:9], 0
	v_add_f64 v[1:2], v[1:2], 0
	s_waitcnt lgkmcnt(0)
	s_delay_alu instid0(VALU_DEP_2) | instskip(NEXT) | instid1(VALU_DEP_2)
	v_mul_f64 v[6:7], v[3:4], v[86:87]
	v_mul_f64 v[8:9], v[1:2], v[86:87]
	s_delay_alu instid0(VALU_DEP_2) | instskip(NEXT) | instid1(VALU_DEP_2)
	v_fma_f64 v[1:2], v[1:2], v[84:85], -v[6:7]
	v_fma_f64 v[3:4], v[3:4], v[84:85], v[8:9]
	scratch_store_b128 off, v[1:4], off offset:16
.LBB22_19:
	s_or_b32 exec_lo, exec_lo, s3
	s_waitcnt_vscnt null, 0x0
	s_barrier
	buffer_gl0_inv
	scratch_load_b128 v[1:4], v64, off
	s_mov_b32 s3, exec_lo
	s_waitcnt vmcnt(0)
	ds_store_b128 v5, v[1:4]
	s_waitcnt lgkmcnt(0)
	s_barrier
	buffer_gl0_inv
	v_cmpx_gt_u32_e32 2, v59
	s_cbranch_execz .LBB22_23
; %bb.20:
	scratch_load_b128 v[1:4], v83, off
	ds_load_b128 v[6:9], v5
	s_waitcnt vmcnt(0) lgkmcnt(0)
	v_mul_f64 v[10:11], v[8:9], v[3:4]
	v_mul_f64 v[3:4], v[6:7], v[3:4]
	s_delay_alu instid0(VALU_DEP_2) | instskip(NEXT) | instid1(VALU_DEP_2)
	v_fma_f64 v[6:7], v[6:7], v[1:2], -v[10:11]
	v_fma_f64 v[3:4], v[8:9], v[1:2], v[3:4]
	s_delay_alu instid0(VALU_DEP_2) | instskip(NEXT) | instid1(VALU_DEP_2)
	v_add_f64 v[1:2], v[6:7], 0
	v_add_f64 v[3:4], v[3:4], 0
	s_and_saveexec_b32 s4, s2
	s_cbranch_execz .LBB22_22
; %bb.21:
	scratch_load_b128 v[6:9], off, off offset:16
	v_mov_b32_e32 v10, 0
	ds_load_b128 v[84:87], v10 offset:384
	s_waitcnt vmcnt(0) lgkmcnt(0)
	v_mul_f64 v[10:11], v[84:85], v[8:9]
	v_mul_f64 v[8:9], v[86:87], v[8:9]
	s_delay_alu instid0(VALU_DEP_2) | instskip(NEXT) | instid1(VALU_DEP_2)
	v_fma_f64 v[10:11], v[86:87], v[6:7], v[10:11]
	v_fma_f64 v[6:7], v[84:85], v[6:7], -v[8:9]
	s_delay_alu instid0(VALU_DEP_2) | instskip(NEXT) | instid1(VALU_DEP_2)
	v_add_f64 v[3:4], v[3:4], v[10:11]
	v_add_f64 v[1:2], v[1:2], v[6:7]
.LBB22_22:
	s_or_b32 exec_lo, exec_lo, s4
	v_mov_b32_e32 v6, 0
	ds_load_b128 v[6:9], v6 offset:32
	s_waitcnt lgkmcnt(0)
	v_mul_f64 v[10:11], v[3:4], v[8:9]
	v_mul_f64 v[8:9], v[1:2], v[8:9]
	s_delay_alu instid0(VALU_DEP_2) | instskip(NEXT) | instid1(VALU_DEP_2)
	v_fma_f64 v[1:2], v[1:2], v[6:7], -v[10:11]
	v_fma_f64 v[3:4], v[3:4], v[6:7], v[8:9]
	scratch_store_b128 off, v[1:4], off offset:32
.LBB22_23:
	s_or_b32 exec_lo, exec_lo, s3
	s_waitcnt_vscnt null, 0x0
	s_barrier
	buffer_gl0_inv
	scratch_load_b128 v[1:4], v61, off
	v_add_nc_u32_e32 v6, -1, v59
	s_mov_b32 s2, exec_lo
	s_waitcnt vmcnt(0)
	ds_store_b128 v5, v[1:4]
	s_waitcnt lgkmcnt(0)
	s_barrier
	buffer_gl0_inv
	v_cmpx_gt_u32_e32 3, v59
	s_cbranch_execz .LBB22_27
; %bb.24:
	v_dual_mov_b32 v1, 0 :: v_dual_add_nc_u32 v8, 0x170, v82
	v_dual_mov_b32 v2, 0 :: v_dual_add_nc_u32 v7, -1, v59
	v_or_b32_e32 v9, 8, v83
	s_mov_b32 s3, 0
	s_delay_alu instid0(VALU_DEP_2)
	v_dual_mov_b32 v4, v2 :: v_dual_mov_b32 v3, v1
	.p2align	6
.LBB22_25:                              ; =>This Inner Loop Header: Depth=1
	scratch_load_b128 v[84:87], v9, off offset:-8
	ds_load_b128 v[88:91], v8
	v_add_nc_u32_e32 v7, 1, v7
	v_add_nc_u32_e32 v8, 16, v8
	;; [unrolled: 1-line block ×3, first 2 shown]
	s_delay_alu instid0(VALU_DEP_3) | instskip(SKIP_4) | instid1(VALU_DEP_2)
	v_cmp_lt_u32_e32 vcc_lo, 1, v7
	s_or_b32 s3, vcc_lo, s3
	s_waitcnt vmcnt(0) lgkmcnt(0)
	v_mul_f64 v[10:11], v[90:91], v[86:87]
	v_mul_f64 v[86:87], v[88:89], v[86:87]
	v_fma_f64 v[10:11], v[88:89], v[84:85], -v[10:11]
	s_delay_alu instid0(VALU_DEP_2) | instskip(NEXT) | instid1(VALU_DEP_2)
	v_fma_f64 v[84:85], v[90:91], v[84:85], v[86:87]
	v_add_f64 v[3:4], v[3:4], v[10:11]
	s_delay_alu instid0(VALU_DEP_2)
	v_add_f64 v[1:2], v[1:2], v[84:85]
	s_and_not1_b32 exec_lo, exec_lo, s3
	s_cbranch_execnz .LBB22_25
; %bb.26:
	s_or_b32 exec_lo, exec_lo, s3
	v_mov_b32_e32 v7, 0
	ds_load_b128 v[7:10], v7 offset:48
	s_waitcnt lgkmcnt(0)
	v_mul_f64 v[11:12], v[1:2], v[9:10]
	v_mul_f64 v[84:85], v[3:4], v[9:10]
	s_delay_alu instid0(VALU_DEP_2) | instskip(NEXT) | instid1(VALU_DEP_2)
	v_fma_f64 v[9:10], v[3:4], v[7:8], -v[11:12]
	v_fma_f64 v[11:12], v[1:2], v[7:8], v[84:85]
	scratch_store_b128 off, v[9:12], off offset:48
.LBB22_27:
	s_or_b32 exec_lo, exec_lo, s2
	s_waitcnt_vscnt null, 0x0
	s_barrier
	buffer_gl0_inv
	scratch_load_b128 v[1:4], v60, off
	s_mov_b32 s2, exec_lo
	s_waitcnt vmcnt(0)
	ds_store_b128 v5, v[1:4]
	s_waitcnt lgkmcnt(0)
	s_barrier
	buffer_gl0_inv
	v_cmpx_gt_u32_e32 4, v59
	s_cbranch_execz .LBB22_31
; %bb.28:
	v_dual_mov_b32 v1, 0 :: v_dual_add_nc_u32 v8, 0x170, v82
	v_dual_mov_b32 v2, 0 :: v_dual_add_nc_u32 v7, -1, v59
	v_or_b32_e32 v9, 8, v83
	s_mov_b32 s3, 0
	s_delay_alu instid0(VALU_DEP_2)
	v_dual_mov_b32 v4, v2 :: v_dual_mov_b32 v3, v1
	.p2align	6
.LBB22_29:                              ; =>This Inner Loop Header: Depth=1
	scratch_load_b128 v[84:87], v9, off offset:-8
	ds_load_b128 v[88:91], v8
	v_add_nc_u32_e32 v7, 1, v7
	v_add_nc_u32_e32 v8, 16, v8
	;; [unrolled: 1-line block ×3, first 2 shown]
	s_delay_alu instid0(VALU_DEP_3) | instskip(SKIP_4) | instid1(VALU_DEP_2)
	v_cmp_lt_u32_e32 vcc_lo, 2, v7
	s_or_b32 s3, vcc_lo, s3
	s_waitcnt vmcnt(0) lgkmcnt(0)
	v_mul_f64 v[10:11], v[90:91], v[86:87]
	v_mul_f64 v[86:87], v[88:89], v[86:87]
	v_fma_f64 v[10:11], v[88:89], v[84:85], -v[10:11]
	s_delay_alu instid0(VALU_DEP_2) | instskip(NEXT) | instid1(VALU_DEP_2)
	v_fma_f64 v[84:85], v[90:91], v[84:85], v[86:87]
	v_add_f64 v[3:4], v[3:4], v[10:11]
	s_delay_alu instid0(VALU_DEP_2)
	v_add_f64 v[1:2], v[1:2], v[84:85]
	s_and_not1_b32 exec_lo, exec_lo, s3
	s_cbranch_execnz .LBB22_29
; %bb.30:
	s_or_b32 exec_lo, exec_lo, s3
	v_mov_b32_e32 v7, 0
	ds_load_b128 v[7:10], v7 offset:64
	s_waitcnt lgkmcnt(0)
	v_mul_f64 v[11:12], v[1:2], v[9:10]
	v_mul_f64 v[84:85], v[3:4], v[9:10]
	s_delay_alu instid0(VALU_DEP_2) | instskip(NEXT) | instid1(VALU_DEP_2)
	v_fma_f64 v[9:10], v[3:4], v[7:8], -v[11:12]
	v_fma_f64 v[11:12], v[1:2], v[7:8], v[84:85]
	scratch_store_b128 off, v[9:12], off offset:64
.LBB22_31:
	s_or_b32 exec_lo, exec_lo, s2
	s_waitcnt_vscnt null, 0x0
	s_barrier
	buffer_gl0_inv
	scratch_load_b128 v[1:4], v68, off
	s_mov_b32 s2, exec_lo
	s_waitcnt vmcnt(0)
	ds_store_b128 v5, v[1:4]
	s_waitcnt lgkmcnt(0)
	s_barrier
	buffer_gl0_inv
	v_cmpx_gt_u32_e32 5, v59
	s_cbranch_execz .LBB22_35
; %bb.32:
	v_dual_mov_b32 v1, 0 :: v_dual_add_nc_u32 v8, 0x170, v82
	v_dual_mov_b32 v2, 0 :: v_dual_add_nc_u32 v7, -1, v59
	v_or_b32_e32 v9, 8, v83
	s_mov_b32 s3, 0
	s_delay_alu instid0(VALU_DEP_2)
	v_dual_mov_b32 v4, v2 :: v_dual_mov_b32 v3, v1
	.p2align	6
.LBB22_33:                              ; =>This Inner Loop Header: Depth=1
	scratch_load_b128 v[84:87], v9, off offset:-8
	ds_load_b128 v[88:91], v8
	v_add_nc_u32_e32 v7, 1, v7
	v_add_nc_u32_e32 v8, 16, v8
	;; [unrolled: 1-line block ×3, first 2 shown]
	s_delay_alu instid0(VALU_DEP_3) | instskip(SKIP_4) | instid1(VALU_DEP_2)
	v_cmp_lt_u32_e32 vcc_lo, 3, v7
	s_or_b32 s3, vcc_lo, s3
	s_waitcnt vmcnt(0) lgkmcnt(0)
	v_mul_f64 v[10:11], v[90:91], v[86:87]
	v_mul_f64 v[86:87], v[88:89], v[86:87]
	v_fma_f64 v[10:11], v[88:89], v[84:85], -v[10:11]
	s_delay_alu instid0(VALU_DEP_2) | instskip(NEXT) | instid1(VALU_DEP_2)
	v_fma_f64 v[84:85], v[90:91], v[84:85], v[86:87]
	v_add_f64 v[3:4], v[3:4], v[10:11]
	s_delay_alu instid0(VALU_DEP_2)
	v_add_f64 v[1:2], v[1:2], v[84:85]
	s_and_not1_b32 exec_lo, exec_lo, s3
	s_cbranch_execnz .LBB22_33
; %bb.34:
	s_or_b32 exec_lo, exec_lo, s3
	v_mov_b32_e32 v7, 0
	ds_load_b128 v[7:10], v7 offset:80
	s_waitcnt lgkmcnt(0)
	v_mul_f64 v[11:12], v[1:2], v[9:10]
	v_mul_f64 v[84:85], v[3:4], v[9:10]
	s_delay_alu instid0(VALU_DEP_2) | instskip(NEXT) | instid1(VALU_DEP_2)
	v_fma_f64 v[9:10], v[3:4], v[7:8], -v[11:12]
	v_fma_f64 v[11:12], v[1:2], v[7:8], v[84:85]
	scratch_store_b128 off, v[9:12], off offset:80
.LBB22_35:
	s_or_b32 exec_lo, exec_lo, s2
	s_waitcnt_vscnt null, 0x0
	s_barrier
	buffer_gl0_inv
	scratch_load_b128 v[1:4], v63, off
	s_mov_b32 s2, exec_lo
	s_waitcnt vmcnt(0)
	ds_store_b128 v5, v[1:4]
	s_waitcnt lgkmcnt(0)
	s_barrier
	buffer_gl0_inv
	v_cmpx_gt_u32_e32 6, v59
	s_cbranch_execz .LBB22_39
; %bb.36:
	v_dual_mov_b32 v1, 0 :: v_dual_add_nc_u32 v8, 0x170, v82
	v_dual_mov_b32 v2, 0 :: v_dual_add_nc_u32 v7, -1, v59
	v_or_b32_e32 v9, 8, v83
	s_mov_b32 s3, 0
	s_delay_alu instid0(VALU_DEP_2)
	v_dual_mov_b32 v4, v2 :: v_dual_mov_b32 v3, v1
	.p2align	6
.LBB22_37:                              ; =>This Inner Loop Header: Depth=1
	scratch_load_b128 v[84:87], v9, off offset:-8
	ds_load_b128 v[88:91], v8
	v_add_nc_u32_e32 v7, 1, v7
	v_add_nc_u32_e32 v8, 16, v8
	;; [unrolled: 1-line block ×3, first 2 shown]
	s_delay_alu instid0(VALU_DEP_3) | instskip(SKIP_4) | instid1(VALU_DEP_2)
	v_cmp_lt_u32_e32 vcc_lo, 4, v7
	s_or_b32 s3, vcc_lo, s3
	s_waitcnt vmcnt(0) lgkmcnt(0)
	v_mul_f64 v[10:11], v[90:91], v[86:87]
	v_mul_f64 v[86:87], v[88:89], v[86:87]
	v_fma_f64 v[10:11], v[88:89], v[84:85], -v[10:11]
	s_delay_alu instid0(VALU_DEP_2) | instskip(NEXT) | instid1(VALU_DEP_2)
	v_fma_f64 v[84:85], v[90:91], v[84:85], v[86:87]
	v_add_f64 v[3:4], v[3:4], v[10:11]
	s_delay_alu instid0(VALU_DEP_2)
	v_add_f64 v[1:2], v[1:2], v[84:85]
	s_and_not1_b32 exec_lo, exec_lo, s3
	s_cbranch_execnz .LBB22_37
; %bb.38:
	s_or_b32 exec_lo, exec_lo, s3
	v_mov_b32_e32 v7, 0
	ds_load_b128 v[7:10], v7 offset:96
	s_waitcnt lgkmcnt(0)
	v_mul_f64 v[11:12], v[1:2], v[9:10]
	v_mul_f64 v[84:85], v[3:4], v[9:10]
	s_delay_alu instid0(VALU_DEP_2) | instskip(NEXT) | instid1(VALU_DEP_2)
	v_fma_f64 v[9:10], v[3:4], v[7:8], -v[11:12]
	v_fma_f64 v[11:12], v[1:2], v[7:8], v[84:85]
	scratch_store_b128 off, v[9:12], off offset:96
.LBB22_39:
	s_or_b32 exec_lo, exec_lo, s2
	s_waitcnt_vscnt null, 0x0
	s_barrier
	buffer_gl0_inv
	scratch_load_b128 v[1:4], v67, off
	s_mov_b32 s2, exec_lo
	s_waitcnt vmcnt(0)
	ds_store_b128 v5, v[1:4]
	s_waitcnt lgkmcnt(0)
	s_barrier
	buffer_gl0_inv
	v_cmpx_gt_u32_e32 7, v59
	s_cbranch_execz .LBB22_43
; %bb.40:
	v_dual_mov_b32 v1, 0 :: v_dual_add_nc_u32 v8, 0x170, v82
	v_dual_mov_b32 v2, 0 :: v_dual_add_nc_u32 v7, -1, v59
	v_or_b32_e32 v9, 8, v83
	s_mov_b32 s3, 0
	s_delay_alu instid0(VALU_DEP_2)
	v_dual_mov_b32 v4, v2 :: v_dual_mov_b32 v3, v1
	.p2align	6
.LBB22_41:                              ; =>This Inner Loop Header: Depth=1
	scratch_load_b128 v[84:87], v9, off offset:-8
	ds_load_b128 v[88:91], v8
	v_add_nc_u32_e32 v7, 1, v7
	v_add_nc_u32_e32 v8, 16, v8
	;; [unrolled: 1-line block ×3, first 2 shown]
	s_delay_alu instid0(VALU_DEP_3) | instskip(SKIP_4) | instid1(VALU_DEP_2)
	v_cmp_lt_u32_e32 vcc_lo, 5, v7
	s_or_b32 s3, vcc_lo, s3
	s_waitcnt vmcnt(0) lgkmcnt(0)
	v_mul_f64 v[10:11], v[90:91], v[86:87]
	v_mul_f64 v[86:87], v[88:89], v[86:87]
	v_fma_f64 v[10:11], v[88:89], v[84:85], -v[10:11]
	s_delay_alu instid0(VALU_DEP_2) | instskip(NEXT) | instid1(VALU_DEP_2)
	v_fma_f64 v[84:85], v[90:91], v[84:85], v[86:87]
	v_add_f64 v[3:4], v[3:4], v[10:11]
	s_delay_alu instid0(VALU_DEP_2)
	v_add_f64 v[1:2], v[1:2], v[84:85]
	s_and_not1_b32 exec_lo, exec_lo, s3
	s_cbranch_execnz .LBB22_41
; %bb.42:
	s_or_b32 exec_lo, exec_lo, s3
	v_mov_b32_e32 v7, 0
	ds_load_b128 v[7:10], v7 offset:112
	s_waitcnt lgkmcnt(0)
	v_mul_f64 v[11:12], v[1:2], v[9:10]
	v_mul_f64 v[84:85], v[3:4], v[9:10]
	s_delay_alu instid0(VALU_DEP_2) | instskip(NEXT) | instid1(VALU_DEP_2)
	v_fma_f64 v[9:10], v[3:4], v[7:8], -v[11:12]
	v_fma_f64 v[11:12], v[1:2], v[7:8], v[84:85]
	scratch_store_b128 off, v[9:12], off offset:112
.LBB22_43:
	s_or_b32 exec_lo, exec_lo, s2
	s_waitcnt_vscnt null, 0x0
	s_barrier
	buffer_gl0_inv
	scratch_load_b128 v[1:4], v62, off
	s_mov_b32 s2, exec_lo
	s_waitcnt vmcnt(0)
	ds_store_b128 v5, v[1:4]
	s_waitcnt lgkmcnt(0)
	s_barrier
	buffer_gl0_inv
	v_cmpx_gt_u32_e32 8, v59
	s_cbranch_execz .LBB22_47
; %bb.44:
	v_dual_mov_b32 v1, 0 :: v_dual_add_nc_u32 v8, 0x170, v82
	v_dual_mov_b32 v2, 0 :: v_dual_add_nc_u32 v7, -1, v59
	v_or_b32_e32 v9, 8, v83
	s_mov_b32 s3, 0
	s_delay_alu instid0(VALU_DEP_2)
	v_dual_mov_b32 v4, v2 :: v_dual_mov_b32 v3, v1
	.p2align	6
.LBB22_45:                              ; =>This Inner Loop Header: Depth=1
	scratch_load_b128 v[84:87], v9, off offset:-8
	ds_load_b128 v[88:91], v8
	v_add_nc_u32_e32 v7, 1, v7
	v_add_nc_u32_e32 v8, 16, v8
	v_add_nc_u32_e32 v9, 16, v9
	s_delay_alu instid0(VALU_DEP_3) | instskip(SKIP_4) | instid1(VALU_DEP_2)
	v_cmp_lt_u32_e32 vcc_lo, 6, v7
	s_or_b32 s3, vcc_lo, s3
	s_waitcnt vmcnt(0) lgkmcnt(0)
	v_mul_f64 v[10:11], v[90:91], v[86:87]
	v_mul_f64 v[86:87], v[88:89], v[86:87]
	v_fma_f64 v[10:11], v[88:89], v[84:85], -v[10:11]
	s_delay_alu instid0(VALU_DEP_2) | instskip(NEXT) | instid1(VALU_DEP_2)
	v_fma_f64 v[84:85], v[90:91], v[84:85], v[86:87]
	v_add_f64 v[3:4], v[3:4], v[10:11]
	s_delay_alu instid0(VALU_DEP_2)
	v_add_f64 v[1:2], v[1:2], v[84:85]
	s_and_not1_b32 exec_lo, exec_lo, s3
	s_cbranch_execnz .LBB22_45
; %bb.46:
	s_or_b32 exec_lo, exec_lo, s3
	v_mov_b32_e32 v7, 0
	ds_load_b128 v[7:10], v7 offset:128
	s_waitcnt lgkmcnt(0)
	v_mul_f64 v[11:12], v[1:2], v[9:10]
	v_mul_f64 v[84:85], v[3:4], v[9:10]
	s_delay_alu instid0(VALU_DEP_2) | instskip(NEXT) | instid1(VALU_DEP_2)
	v_fma_f64 v[9:10], v[3:4], v[7:8], -v[11:12]
	v_fma_f64 v[11:12], v[1:2], v[7:8], v[84:85]
	scratch_store_b128 off, v[9:12], off offset:128
.LBB22_47:
	s_or_b32 exec_lo, exec_lo, s2
	s_waitcnt_vscnt null, 0x0
	s_barrier
	buffer_gl0_inv
	scratch_load_b128 v[1:4], v71, off
	s_mov_b32 s2, exec_lo
	s_waitcnt vmcnt(0)
	ds_store_b128 v5, v[1:4]
	s_waitcnt lgkmcnt(0)
	s_barrier
	buffer_gl0_inv
	v_cmpx_gt_u32_e32 9, v59
	s_cbranch_execz .LBB22_51
; %bb.48:
	v_dual_mov_b32 v1, 0 :: v_dual_add_nc_u32 v8, 0x170, v82
	v_dual_mov_b32 v2, 0 :: v_dual_add_nc_u32 v7, -1, v59
	v_or_b32_e32 v9, 8, v83
	s_mov_b32 s3, 0
	s_delay_alu instid0(VALU_DEP_2)
	v_dual_mov_b32 v4, v2 :: v_dual_mov_b32 v3, v1
	.p2align	6
.LBB22_49:                              ; =>This Inner Loop Header: Depth=1
	scratch_load_b128 v[84:87], v9, off offset:-8
	ds_load_b128 v[88:91], v8
	v_add_nc_u32_e32 v7, 1, v7
	v_add_nc_u32_e32 v8, 16, v8
	;; [unrolled: 1-line block ×3, first 2 shown]
	s_delay_alu instid0(VALU_DEP_3) | instskip(SKIP_4) | instid1(VALU_DEP_2)
	v_cmp_lt_u32_e32 vcc_lo, 7, v7
	s_or_b32 s3, vcc_lo, s3
	s_waitcnt vmcnt(0) lgkmcnt(0)
	v_mul_f64 v[10:11], v[90:91], v[86:87]
	v_mul_f64 v[86:87], v[88:89], v[86:87]
	v_fma_f64 v[10:11], v[88:89], v[84:85], -v[10:11]
	s_delay_alu instid0(VALU_DEP_2) | instskip(NEXT) | instid1(VALU_DEP_2)
	v_fma_f64 v[84:85], v[90:91], v[84:85], v[86:87]
	v_add_f64 v[3:4], v[3:4], v[10:11]
	s_delay_alu instid0(VALU_DEP_2)
	v_add_f64 v[1:2], v[1:2], v[84:85]
	s_and_not1_b32 exec_lo, exec_lo, s3
	s_cbranch_execnz .LBB22_49
; %bb.50:
	s_or_b32 exec_lo, exec_lo, s3
	v_mov_b32_e32 v7, 0
	ds_load_b128 v[7:10], v7 offset:144
	s_waitcnt lgkmcnt(0)
	v_mul_f64 v[11:12], v[1:2], v[9:10]
	v_mul_f64 v[84:85], v[3:4], v[9:10]
	s_delay_alu instid0(VALU_DEP_2) | instskip(NEXT) | instid1(VALU_DEP_2)
	v_fma_f64 v[9:10], v[3:4], v[7:8], -v[11:12]
	v_fma_f64 v[11:12], v[1:2], v[7:8], v[84:85]
	scratch_store_b128 off, v[9:12], off offset:144
.LBB22_51:
	s_or_b32 exec_lo, exec_lo, s2
	s_waitcnt_vscnt null, 0x0
	s_barrier
	buffer_gl0_inv
	scratch_load_b128 v[1:4], v66, off
	s_mov_b32 s2, exec_lo
	s_waitcnt vmcnt(0)
	ds_store_b128 v5, v[1:4]
	s_waitcnt lgkmcnt(0)
	s_barrier
	buffer_gl0_inv
	v_cmpx_gt_u32_e32 10, v59
	s_cbranch_execz .LBB22_55
; %bb.52:
	v_dual_mov_b32 v1, 0 :: v_dual_add_nc_u32 v8, 0x170, v82
	v_dual_mov_b32 v2, 0 :: v_dual_add_nc_u32 v7, -1, v59
	v_or_b32_e32 v9, 8, v83
	s_mov_b32 s3, 0
	s_delay_alu instid0(VALU_DEP_2)
	v_dual_mov_b32 v4, v2 :: v_dual_mov_b32 v3, v1
	.p2align	6
.LBB22_53:                              ; =>This Inner Loop Header: Depth=1
	scratch_load_b128 v[84:87], v9, off offset:-8
	ds_load_b128 v[88:91], v8
	v_add_nc_u32_e32 v7, 1, v7
	v_add_nc_u32_e32 v8, 16, v8
	;; [unrolled: 1-line block ×3, first 2 shown]
	s_delay_alu instid0(VALU_DEP_3) | instskip(SKIP_4) | instid1(VALU_DEP_2)
	v_cmp_lt_u32_e32 vcc_lo, 8, v7
	s_or_b32 s3, vcc_lo, s3
	s_waitcnt vmcnt(0) lgkmcnt(0)
	v_mul_f64 v[10:11], v[90:91], v[86:87]
	v_mul_f64 v[86:87], v[88:89], v[86:87]
	v_fma_f64 v[10:11], v[88:89], v[84:85], -v[10:11]
	s_delay_alu instid0(VALU_DEP_2) | instskip(NEXT) | instid1(VALU_DEP_2)
	v_fma_f64 v[84:85], v[90:91], v[84:85], v[86:87]
	v_add_f64 v[3:4], v[3:4], v[10:11]
	s_delay_alu instid0(VALU_DEP_2)
	v_add_f64 v[1:2], v[1:2], v[84:85]
	s_and_not1_b32 exec_lo, exec_lo, s3
	s_cbranch_execnz .LBB22_53
; %bb.54:
	s_or_b32 exec_lo, exec_lo, s3
	v_mov_b32_e32 v7, 0
	ds_load_b128 v[7:10], v7 offset:160
	s_waitcnt lgkmcnt(0)
	v_mul_f64 v[11:12], v[1:2], v[9:10]
	v_mul_f64 v[84:85], v[3:4], v[9:10]
	s_delay_alu instid0(VALU_DEP_2) | instskip(NEXT) | instid1(VALU_DEP_2)
	v_fma_f64 v[9:10], v[3:4], v[7:8], -v[11:12]
	v_fma_f64 v[11:12], v[1:2], v[7:8], v[84:85]
	scratch_store_b128 off, v[9:12], off offset:160
.LBB22_55:
	s_or_b32 exec_lo, exec_lo, s2
	s_waitcnt_vscnt null, 0x0
	s_barrier
	buffer_gl0_inv
	scratch_load_b128 v[1:4], v70, off
	s_mov_b32 s2, exec_lo
	s_waitcnt vmcnt(0)
	ds_store_b128 v5, v[1:4]
	s_waitcnt lgkmcnt(0)
	s_barrier
	buffer_gl0_inv
	v_cmpx_gt_u32_e32 11, v59
	s_cbranch_execz .LBB22_59
; %bb.56:
	v_dual_mov_b32 v1, 0 :: v_dual_add_nc_u32 v8, 0x170, v82
	v_dual_mov_b32 v2, 0 :: v_dual_add_nc_u32 v7, -1, v59
	v_or_b32_e32 v9, 8, v83
	s_mov_b32 s3, 0
	s_delay_alu instid0(VALU_DEP_2)
	v_dual_mov_b32 v4, v2 :: v_dual_mov_b32 v3, v1
	.p2align	6
.LBB22_57:                              ; =>This Inner Loop Header: Depth=1
	scratch_load_b128 v[84:87], v9, off offset:-8
	ds_load_b128 v[88:91], v8
	v_add_nc_u32_e32 v7, 1, v7
	v_add_nc_u32_e32 v8, 16, v8
	;; [unrolled: 1-line block ×3, first 2 shown]
	s_delay_alu instid0(VALU_DEP_3) | instskip(SKIP_4) | instid1(VALU_DEP_2)
	v_cmp_lt_u32_e32 vcc_lo, 9, v7
	s_or_b32 s3, vcc_lo, s3
	s_waitcnt vmcnt(0) lgkmcnt(0)
	v_mul_f64 v[10:11], v[90:91], v[86:87]
	v_mul_f64 v[86:87], v[88:89], v[86:87]
	v_fma_f64 v[10:11], v[88:89], v[84:85], -v[10:11]
	s_delay_alu instid0(VALU_DEP_2) | instskip(NEXT) | instid1(VALU_DEP_2)
	v_fma_f64 v[84:85], v[90:91], v[84:85], v[86:87]
	v_add_f64 v[3:4], v[3:4], v[10:11]
	s_delay_alu instid0(VALU_DEP_2)
	v_add_f64 v[1:2], v[1:2], v[84:85]
	s_and_not1_b32 exec_lo, exec_lo, s3
	s_cbranch_execnz .LBB22_57
; %bb.58:
	s_or_b32 exec_lo, exec_lo, s3
	v_mov_b32_e32 v7, 0
	ds_load_b128 v[7:10], v7 offset:176
	s_waitcnt lgkmcnt(0)
	v_mul_f64 v[11:12], v[1:2], v[9:10]
	v_mul_f64 v[84:85], v[3:4], v[9:10]
	s_delay_alu instid0(VALU_DEP_2) | instskip(NEXT) | instid1(VALU_DEP_2)
	v_fma_f64 v[9:10], v[3:4], v[7:8], -v[11:12]
	v_fma_f64 v[11:12], v[1:2], v[7:8], v[84:85]
	scratch_store_b128 off, v[9:12], off offset:176
.LBB22_59:
	s_or_b32 exec_lo, exec_lo, s2
	s_waitcnt_vscnt null, 0x0
	s_barrier
	buffer_gl0_inv
	scratch_load_b128 v[1:4], v65, off
	s_mov_b32 s2, exec_lo
	s_waitcnt vmcnt(0)
	ds_store_b128 v5, v[1:4]
	s_waitcnt lgkmcnt(0)
	s_barrier
	buffer_gl0_inv
	v_cmpx_gt_u32_e32 12, v59
	s_cbranch_execz .LBB22_63
; %bb.60:
	v_dual_mov_b32 v1, 0 :: v_dual_add_nc_u32 v8, 0x170, v82
	v_dual_mov_b32 v2, 0 :: v_dual_add_nc_u32 v7, -1, v59
	v_or_b32_e32 v9, 8, v83
	s_mov_b32 s3, 0
	s_delay_alu instid0(VALU_DEP_2)
	v_dual_mov_b32 v4, v2 :: v_dual_mov_b32 v3, v1
	.p2align	6
.LBB22_61:                              ; =>This Inner Loop Header: Depth=1
	scratch_load_b128 v[84:87], v9, off offset:-8
	ds_load_b128 v[88:91], v8
	v_add_nc_u32_e32 v7, 1, v7
	v_add_nc_u32_e32 v8, 16, v8
	;; [unrolled: 1-line block ×3, first 2 shown]
	s_delay_alu instid0(VALU_DEP_3) | instskip(SKIP_4) | instid1(VALU_DEP_2)
	v_cmp_lt_u32_e32 vcc_lo, 10, v7
	s_or_b32 s3, vcc_lo, s3
	s_waitcnt vmcnt(0) lgkmcnt(0)
	v_mul_f64 v[10:11], v[90:91], v[86:87]
	v_mul_f64 v[86:87], v[88:89], v[86:87]
	v_fma_f64 v[10:11], v[88:89], v[84:85], -v[10:11]
	s_delay_alu instid0(VALU_DEP_2) | instskip(NEXT) | instid1(VALU_DEP_2)
	v_fma_f64 v[84:85], v[90:91], v[84:85], v[86:87]
	v_add_f64 v[3:4], v[3:4], v[10:11]
	s_delay_alu instid0(VALU_DEP_2)
	v_add_f64 v[1:2], v[1:2], v[84:85]
	s_and_not1_b32 exec_lo, exec_lo, s3
	s_cbranch_execnz .LBB22_61
; %bb.62:
	s_or_b32 exec_lo, exec_lo, s3
	v_mov_b32_e32 v7, 0
	ds_load_b128 v[7:10], v7 offset:192
	s_waitcnt lgkmcnt(0)
	v_mul_f64 v[11:12], v[1:2], v[9:10]
	v_mul_f64 v[84:85], v[3:4], v[9:10]
	s_delay_alu instid0(VALU_DEP_2) | instskip(NEXT) | instid1(VALU_DEP_2)
	v_fma_f64 v[9:10], v[3:4], v[7:8], -v[11:12]
	v_fma_f64 v[11:12], v[1:2], v[7:8], v[84:85]
	scratch_store_b128 off, v[9:12], off offset:192
.LBB22_63:
	s_or_b32 exec_lo, exec_lo, s2
	s_waitcnt_vscnt null, 0x0
	s_barrier
	buffer_gl0_inv
	scratch_load_b128 v[1:4], v74, off
	s_mov_b32 s2, exec_lo
	s_waitcnt vmcnt(0)
	ds_store_b128 v5, v[1:4]
	s_waitcnt lgkmcnt(0)
	s_barrier
	buffer_gl0_inv
	v_cmpx_gt_u32_e32 13, v59
	s_cbranch_execz .LBB22_67
; %bb.64:
	v_dual_mov_b32 v1, 0 :: v_dual_add_nc_u32 v8, 0x170, v82
	v_dual_mov_b32 v2, 0 :: v_dual_add_nc_u32 v7, -1, v59
	v_or_b32_e32 v9, 8, v83
	s_mov_b32 s3, 0
	s_delay_alu instid0(VALU_DEP_2)
	v_dual_mov_b32 v4, v2 :: v_dual_mov_b32 v3, v1
	.p2align	6
.LBB22_65:                              ; =>This Inner Loop Header: Depth=1
	scratch_load_b128 v[84:87], v9, off offset:-8
	ds_load_b128 v[88:91], v8
	v_add_nc_u32_e32 v7, 1, v7
	v_add_nc_u32_e32 v8, 16, v8
	;; [unrolled: 1-line block ×3, first 2 shown]
	s_delay_alu instid0(VALU_DEP_3) | instskip(SKIP_4) | instid1(VALU_DEP_2)
	v_cmp_lt_u32_e32 vcc_lo, 11, v7
	s_or_b32 s3, vcc_lo, s3
	s_waitcnt vmcnt(0) lgkmcnt(0)
	v_mul_f64 v[10:11], v[90:91], v[86:87]
	v_mul_f64 v[86:87], v[88:89], v[86:87]
	v_fma_f64 v[10:11], v[88:89], v[84:85], -v[10:11]
	s_delay_alu instid0(VALU_DEP_2) | instskip(NEXT) | instid1(VALU_DEP_2)
	v_fma_f64 v[84:85], v[90:91], v[84:85], v[86:87]
	v_add_f64 v[3:4], v[3:4], v[10:11]
	s_delay_alu instid0(VALU_DEP_2)
	v_add_f64 v[1:2], v[1:2], v[84:85]
	s_and_not1_b32 exec_lo, exec_lo, s3
	s_cbranch_execnz .LBB22_65
; %bb.66:
	s_or_b32 exec_lo, exec_lo, s3
	v_mov_b32_e32 v7, 0
	ds_load_b128 v[7:10], v7 offset:208
	s_waitcnt lgkmcnt(0)
	v_mul_f64 v[11:12], v[1:2], v[9:10]
	v_mul_f64 v[84:85], v[3:4], v[9:10]
	s_delay_alu instid0(VALU_DEP_2) | instskip(NEXT) | instid1(VALU_DEP_2)
	v_fma_f64 v[9:10], v[3:4], v[7:8], -v[11:12]
	v_fma_f64 v[11:12], v[1:2], v[7:8], v[84:85]
	scratch_store_b128 off, v[9:12], off offset:208
.LBB22_67:
	s_or_b32 exec_lo, exec_lo, s2
	s_waitcnt_vscnt null, 0x0
	s_barrier
	buffer_gl0_inv
	scratch_load_b128 v[1:4], v72, off
	s_mov_b32 s2, exec_lo
	s_waitcnt vmcnt(0)
	ds_store_b128 v5, v[1:4]
	s_waitcnt lgkmcnt(0)
	s_barrier
	buffer_gl0_inv
	v_cmpx_gt_u32_e32 14, v59
	s_cbranch_execz .LBB22_71
; %bb.68:
	v_dual_mov_b32 v1, 0 :: v_dual_add_nc_u32 v8, 0x170, v82
	v_dual_mov_b32 v2, 0 :: v_dual_add_nc_u32 v7, -1, v59
	v_or_b32_e32 v9, 8, v83
	s_mov_b32 s3, 0
	s_delay_alu instid0(VALU_DEP_2)
	v_dual_mov_b32 v4, v2 :: v_dual_mov_b32 v3, v1
	.p2align	6
.LBB22_69:                              ; =>This Inner Loop Header: Depth=1
	scratch_load_b128 v[84:87], v9, off offset:-8
	ds_load_b128 v[88:91], v8
	v_add_nc_u32_e32 v7, 1, v7
	v_add_nc_u32_e32 v8, 16, v8
	;; [unrolled: 1-line block ×3, first 2 shown]
	s_delay_alu instid0(VALU_DEP_3) | instskip(SKIP_4) | instid1(VALU_DEP_2)
	v_cmp_lt_u32_e32 vcc_lo, 12, v7
	s_or_b32 s3, vcc_lo, s3
	s_waitcnt vmcnt(0) lgkmcnt(0)
	v_mul_f64 v[10:11], v[90:91], v[86:87]
	v_mul_f64 v[86:87], v[88:89], v[86:87]
	v_fma_f64 v[10:11], v[88:89], v[84:85], -v[10:11]
	s_delay_alu instid0(VALU_DEP_2) | instskip(NEXT) | instid1(VALU_DEP_2)
	v_fma_f64 v[84:85], v[90:91], v[84:85], v[86:87]
	v_add_f64 v[3:4], v[3:4], v[10:11]
	s_delay_alu instid0(VALU_DEP_2)
	v_add_f64 v[1:2], v[1:2], v[84:85]
	s_and_not1_b32 exec_lo, exec_lo, s3
	s_cbranch_execnz .LBB22_69
; %bb.70:
	s_or_b32 exec_lo, exec_lo, s3
	v_mov_b32_e32 v7, 0
	ds_load_b128 v[7:10], v7 offset:224
	s_waitcnt lgkmcnt(0)
	v_mul_f64 v[11:12], v[1:2], v[9:10]
	v_mul_f64 v[84:85], v[3:4], v[9:10]
	s_delay_alu instid0(VALU_DEP_2) | instskip(NEXT) | instid1(VALU_DEP_2)
	v_fma_f64 v[9:10], v[3:4], v[7:8], -v[11:12]
	v_fma_f64 v[11:12], v[1:2], v[7:8], v[84:85]
	scratch_store_b128 off, v[9:12], off offset:224
.LBB22_71:
	s_or_b32 exec_lo, exec_lo, s2
	s_waitcnt_vscnt null, 0x0
	s_barrier
	buffer_gl0_inv
	scratch_load_b128 v[1:4], v73, off
	s_mov_b32 s2, exec_lo
	s_waitcnt vmcnt(0)
	ds_store_b128 v5, v[1:4]
	s_waitcnt lgkmcnt(0)
	s_barrier
	buffer_gl0_inv
	v_cmpx_gt_u32_e32 15, v59
	s_cbranch_execz .LBB22_75
; %bb.72:
	v_dual_mov_b32 v1, 0 :: v_dual_add_nc_u32 v8, 0x170, v82
	v_dual_mov_b32 v2, 0 :: v_dual_add_nc_u32 v7, -1, v59
	v_or_b32_e32 v9, 8, v83
	s_mov_b32 s3, 0
	s_delay_alu instid0(VALU_DEP_2)
	v_dual_mov_b32 v4, v2 :: v_dual_mov_b32 v3, v1
	.p2align	6
.LBB22_73:                              ; =>This Inner Loop Header: Depth=1
	scratch_load_b128 v[84:87], v9, off offset:-8
	ds_load_b128 v[88:91], v8
	v_add_nc_u32_e32 v7, 1, v7
	v_add_nc_u32_e32 v8, 16, v8
	v_add_nc_u32_e32 v9, 16, v9
	s_delay_alu instid0(VALU_DEP_3) | instskip(SKIP_4) | instid1(VALU_DEP_2)
	v_cmp_lt_u32_e32 vcc_lo, 13, v7
	s_or_b32 s3, vcc_lo, s3
	s_waitcnt vmcnt(0) lgkmcnt(0)
	v_mul_f64 v[10:11], v[90:91], v[86:87]
	v_mul_f64 v[86:87], v[88:89], v[86:87]
	v_fma_f64 v[10:11], v[88:89], v[84:85], -v[10:11]
	s_delay_alu instid0(VALU_DEP_2) | instskip(NEXT) | instid1(VALU_DEP_2)
	v_fma_f64 v[84:85], v[90:91], v[84:85], v[86:87]
	v_add_f64 v[3:4], v[3:4], v[10:11]
	s_delay_alu instid0(VALU_DEP_2)
	v_add_f64 v[1:2], v[1:2], v[84:85]
	s_and_not1_b32 exec_lo, exec_lo, s3
	s_cbranch_execnz .LBB22_73
; %bb.74:
	s_or_b32 exec_lo, exec_lo, s3
	v_mov_b32_e32 v7, 0
	ds_load_b128 v[7:10], v7 offset:240
	s_waitcnt lgkmcnt(0)
	v_mul_f64 v[11:12], v[1:2], v[9:10]
	v_mul_f64 v[84:85], v[3:4], v[9:10]
	s_delay_alu instid0(VALU_DEP_2) | instskip(NEXT) | instid1(VALU_DEP_2)
	v_fma_f64 v[9:10], v[3:4], v[7:8], -v[11:12]
	v_fma_f64 v[11:12], v[1:2], v[7:8], v[84:85]
	scratch_store_b128 off, v[9:12], off offset:240
.LBB22_75:
	s_or_b32 exec_lo, exec_lo, s2
	s_waitcnt_vscnt null, 0x0
	s_barrier
	buffer_gl0_inv
	scratch_load_b128 v[1:4], v76, off
	s_mov_b32 s2, exec_lo
	s_waitcnt vmcnt(0)
	ds_store_b128 v5, v[1:4]
	s_waitcnt lgkmcnt(0)
	s_barrier
	buffer_gl0_inv
	v_cmpx_gt_u32_e32 16, v59
	s_cbranch_execz .LBB22_79
; %bb.76:
	v_dual_mov_b32 v1, 0 :: v_dual_add_nc_u32 v8, 0x170, v82
	v_dual_mov_b32 v2, 0 :: v_dual_add_nc_u32 v7, -1, v59
	v_or_b32_e32 v9, 8, v83
	s_mov_b32 s3, 0
	s_delay_alu instid0(VALU_DEP_2)
	v_dual_mov_b32 v4, v2 :: v_dual_mov_b32 v3, v1
	.p2align	6
.LBB22_77:                              ; =>This Inner Loop Header: Depth=1
	scratch_load_b128 v[84:87], v9, off offset:-8
	ds_load_b128 v[88:91], v8
	v_add_nc_u32_e32 v7, 1, v7
	v_add_nc_u32_e32 v8, 16, v8
	;; [unrolled: 1-line block ×3, first 2 shown]
	s_delay_alu instid0(VALU_DEP_3) | instskip(SKIP_4) | instid1(VALU_DEP_2)
	v_cmp_lt_u32_e32 vcc_lo, 14, v7
	s_or_b32 s3, vcc_lo, s3
	s_waitcnt vmcnt(0) lgkmcnt(0)
	v_mul_f64 v[10:11], v[90:91], v[86:87]
	v_mul_f64 v[86:87], v[88:89], v[86:87]
	v_fma_f64 v[10:11], v[88:89], v[84:85], -v[10:11]
	s_delay_alu instid0(VALU_DEP_2) | instskip(NEXT) | instid1(VALU_DEP_2)
	v_fma_f64 v[84:85], v[90:91], v[84:85], v[86:87]
	v_add_f64 v[3:4], v[3:4], v[10:11]
	s_delay_alu instid0(VALU_DEP_2)
	v_add_f64 v[1:2], v[1:2], v[84:85]
	s_and_not1_b32 exec_lo, exec_lo, s3
	s_cbranch_execnz .LBB22_77
; %bb.78:
	s_or_b32 exec_lo, exec_lo, s3
	v_mov_b32_e32 v7, 0
	ds_load_b128 v[7:10], v7 offset:256
	s_waitcnt lgkmcnt(0)
	v_mul_f64 v[11:12], v[1:2], v[9:10]
	v_mul_f64 v[84:85], v[3:4], v[9:10]
	s_delay_alu instid0(VALU_DEP_2) | instskip(NEXT) | instid1(VALU_DEP_2)
	v_fma_f64 v[9:10], v[3:4], v[7:8], -v[11:12]
	v_fma_f64 v[11:12], v[1:2], v[7:8], v[84:85]
	scratch_store_b128 off, v[9:12], off offset:256
.LBB22_79:
	s_or_b32 exec_lo, exec_lo, s2
	s_waitcnt_vscnt null, 0x0
	s_barrier
	buffer_gl0_inv
	scratch_load_b128 v[1:4], v75, off
	s_mov_b32 s2, exec_lo
	s_waitcnt vmcnt(0)
	ds_store_b128 v5, v[1:4]
	s_waitcnt lgkmcnt(0)
	s_barrier
	buffer_gl0_inv
	v_cmpx_gt_u32_e32 17, v59
	s_cbranch_execz .LBB22_83
; %bb.80:
	v_dual_mov_b32 v1, 0 :: v_dual_add_nc_u32 v8, 0x170, v82
	v_dual_mov_b32 v2, 0 :: v_dual_add_nc_u32 v7, -1, v59
	v_or_b32_e32 v9, 8, v83
	s_mov_b32 s3, 0
	s_delay_alu instid0(VALU_DEP_2)
	v_dual_mov_b32 v4, v2 :: v_dual_mov_b32 v3, v1
	.p2align	6
.LBB22_81:                              ; =>This Inner Loop Header: Depth=1
	scratch_load_b128 v[84:87], v9, off offset:-8
	ds_load_b128 v[88:91], v8
	v_add_nc_u32_e32 v7, 1, v7
	v_add_nc_u32_e32 v8, 16, v8
	v_add_nc_u32_e32 v9, 16, v9
	s_delay_alu instid0(VALU_DEP_3) | instskip(SKIP_4) | instid1(VALU_DEP_2)
	v_cmp_lt_u32_e32 vcc_lo, 15, v7
	s_or_b32 s3, vcc_lo, s3
	s_waitcnt vmcnt(0) lgkmcnt(0)
	v_mul_f64 v[10:11], v[90:91], v[86:87]
	v_mul_f64 v[86:87], v[88:89], v[86:87]
	v_fma_f64 v[10:11], v[88:89], v[84:85], -v[10:11]
	s_delay_alu instid0(VALU_DEP_2) | instskip(NEXT) | instid1(VALU_DEP_2)
	v_fma_f64 v[84:85], v[90:91], v[84:85], v[86:87]
	v_add_f64 v[3:4], v[3:4], v[10:11]
	s_delay_alu instid0(VALU_DEP_2)
	v_add_f64 v[1:2], v[1:2], v[84:85]
	s_and_not1_b32 exec_lo, exec_lo, s3
	s_cbranch_execnz .LBB22_81
; %bb.82:
	s_or_b32 exec_lo, exec_lo, s3
	v_mov_b32_e32 v7, 0
	ds_load_b128 v[7:10], v7 offset:272
	s_waitcnt lgkmcnt(0)
	v_mul_f64 v[11:12], v[1:2], v[9:10]
	v_mul_f64 v[84:85], v[3:4], v[9:10]
	s_delay_alu instid0(VALU_DEP_2) | instskip(NEXT) | instid1(VALU_DEP_2)
	v_fma_f64 v[9:10], v[3:4], v[7:8], -v[11:12]
	v_fma_f64 v[11:12], v[1:2], v[7:8], v[84:85]
	scratch_store_b128 off, v[9:12], off offset:272
.LBB22_83:
	s_or_b32 exec_lo, exec_lo, s2
	s_waitcnt_vscnt null, 0x0
	s_barrier
	buffer_gl0_inv
	scratch_load_b128 v[1:4], v78, off
	s_mov_b32 s2, exec_lo
	s_waitcnt vmcnt(0)
	ds_store_b128 v5, v[1:4]
	s_waitcnt lgkmcnt(0)
	s_barrier
	buffer_gl0_inv
	v_cmpx_gt_u32_e32 18, v59
	s_cbranch_execz .LBB22_87
; %bb.84:
	v_dual_mov_b32 v1, 0 :: v_dual_add_nc_u32 v8, 0x170, v82
	v_dual_mov_b32 v2, 0 :: v_dual_add_nc_u32 v7, -1, v59
	v_or_b32_e32 v9, 8, v83
	s_mov_b32 s3, 0
	s_delay_alu instid0(VALU_DEP_2)
	v_dual_mov_b32 v4, v2 :: v_dual_mov_b32 v3, v1
	.p2align	6
.LBB22_85:                              ; =>This Inner Loop Header: Depth=1
	scratch_load_b128 v[84:87], v9, off offset:-8
	ds_load_b128 v[88:91], v8
	v_add_nc_u32_e32 v7, 1, v7
	v_add_nc_u32_e32 v8, 16, v8
	;; [unrolled: 1-line block ×3, first 2 shown]
	s_delay_alu instid0(VALU_DEP_3) | instskip(SKIP_4) | instid1(VALU_DEP_2)
	v_cmp_lt_u32_e32 vcc_lo, 16, v7
	s_or_b32 s3, vcc_lo, s3
	s_waitcnt vmcnt(0) lgkmcnt(0)
	v_mul_f64 v[10:11], v[90:91], v[86:87]
	v_mul_f64 v[86:87], v[88:89], v[86:87]
	v_fma_f64 v[10:11], v[88:89], v[84:85], -v[10:11]
	s_delay_alu instid0(VALU_DEP_2) | instskip(NEXT) | instid1(VALU_DEP_2)
	v_fma_f64 v[84:85], v[90:91], v[84:85], v[86:87]
	v_add_f64 v[3:4], v[3:4], v[10:11]
	s_delay_alu instid0(VALU_DEP_2)
	v_add_f64 v[1:2], v[1:2], v[84:85]
	s_and_not1_b32 exec_lo, exec_lo, s3
	s_cbranch_execnz .LBB22_85
; %bb.86:
	s_or_b32 exec_lo, exec_lo, s3
	v_mov_b32_e32 v7, 0
	ds_load_b128 v[7:10], v7 offset:288
	s_waitcnt lgkmcnt(0)
	v_mul_f64 v[11:12], v[1:2], v[9:10]
	v_mul_f64 v[84:85], v[3:4], v[9:10]
	s_delay_alu instid0(VALU_DEP_2) | instskip(NEXT) | instid1(VALU_DEP_2)
	v_fma_f64 v[9:10], v[3:4], v[7:8], -v[11:12]
	v_fma_f64 v[11:12], v[1:2], v[7:8], v[84:85]
	scratch_store_b128 off, v[9:12], off offset:288
.LBB22_87:
	s_or_b32 exec_lo, exec_lo, s2
	s_waitcnt_vscnt null, 0x0
	s_barrier
	buffer_gl0_inv
	scratch_load_b128 v[1:4], v77, off
	s_mov_b32 s2, exec_lo
	s_waitcnt vmcnt(0)
	ds_store_b128 v5, v[1:4]
	s_waitcnt lgkmcnt(0)
	s_barrier
	buffer_gl0_inv
	v_cmpx_gt_u32_e32 19, v59
	s_cbranch_execz .LBB22_91
; %bb.88:
	v_dual_mov_b32 v1, 0 :: v_dual_add_nc_u32 v8, 0x170, v82
	v_dual_mov_b32 v2, 0 :: v_dual_add_nc_u32 v7, -1, v59
	v_or_b32_e32 v9, 8, v83
	s_mov_b32 s3, 0
	s_delay_alu instid0(VALU_DEP_2)
	v_dual_mov_b32 v4, v2 :: v_dual_mov_b32 v3, v1
	.p2align	6
.LBB22_89:                              ; =>This Inner Loop Header: Depth=1
	scratch_load_b128 v[84:87], v9, off offset:-8
	ds_load_b128 v[88:91], v8
	v_add_nc_u32_e32 v7, 1, v7
	v_add_nc_u32_e32 v8, 16, v8
	v_add_nc_u32_e32 v9, 16, v9
	s_delay_alu instid0(VALU_DEP_3) | instskip(SKIP_4) | instid1(VALU_DEP_2)
	v_cmp_lt_u32_e32 vcc_lo, 17, v7
	s_or_b32 s3, vcc_lo, s3
	s_waitcnt vmcnt(0) lgkmcnt(0)
	v_mul_f64 v[10:11], v[90:91], v[86:87]
	v_mul_f64 v[86:87], v[88:89], v[86:87]
	v_fma_f64 v[10:11], v[88:89], v[84:85], -v[10:11]
	s_delay_alu instid0(VALU_DEP_2) | instskip(NEXT) | instid1(VALU_DEP_2)
	v_fma_f64 v[84:85], v[90:91], v[84:85], v[86:87]
	v_add_f64 v[3:4], v[3:4], v[10:11]
	s_delay_alu instid0(VALU_DEP_2)
	v_add_f64 v[1:2], v[1:2], v[84:85]
	s_and_not1_b32 exec_lo, exec_lo, s3
	s_cbranch_execnz .LBB22_89
; %bb.90:
	s_or_b32 exec_lo, exec_lo, s3
	v_mov_b32_e32 v7, 0
	ds_load_b128 v[7:10], v7 offset:304
	s_waitcnt lgkmcnt(0)
	v_mul_f64 v[11:12], v[1:2], v[9:10]
	v_mul_f64 v[84:85], v[3:4], v[9:10]
	s_delay_alu instid0(VALU_DEP_2) | instskip(NEXT) | instid1(VALU_DEP_2)
	v_fma_f64 v[9:10], v[3:4], v[7:8], -v[11:12]
	v_fma_f64 v[11:12], v[1:2], v[7:8], v[84:85]
	scratch_store_b128 off, v[9:12], off offset:304
.LBB22_91:
	s_or_b32 exec_lo, exec_lo, s2
	s_waitcnt_vscnt null, 0x0
	s_barrier
	buffer_gl0_inv
	scratch_load_b128 v[1:4], v80, off
	s_mov_b32 s2, exec_lo
	s_waitcnt vmcnt(0)
	ds_store_b128 v5, v[1:4]
	s_waitcnt lgkmcnt(0)
	s_barrier
	buffer_gl0_inv
	v_cmpx_gt_u32_e32 20, v59
	s_cbranch_execz .LBB22_95
; %bb.92:
	v_dual_mov_b32 v1, 0 :: v_dual_add_nc_u32 v8, 0x170, v82
	v_dual_mov_b32 v2, 0 :: v_dual_add_nc_u32 v7, -1, v59
	v_or_b32_e32 v9, 8, v83
	s_mov_b32 s3, 0
	s_delay_alu instid0(VALU_DEP_2)
	v_dual_mov_b32 v4, v2 :: v_dual_mov_b32 v3, v1
	.p2align	6
.LBB22_93:                              ; =>This Inner Loop Header: Depth=1
	scratch_load_b128 v[84:87], v9, off offset:-8
	ds_load_b128 v[88:91], v8
	v_add_nc_u32_e32 v7, 1, v7
	v_add_nc_u32_e32 v8, 16, v8
	;; [unrolled: 1-line block ×3, first 2 shown]
	s_delay_alu instid0(VALU_DEP_3) | instskip(SKIP_4) | instid1(VALU_DEP_2)
	v_cmp_lt_u32_e32 vcc_lo, 18, v7
	s_or_b32 s3, vcc_lo, s3
	s_waitcnt vmcnt(0) lgkmcnt(0)
	v_mul_f64 v[10:11], v[90:91], v[86:87]
	v_mul_f64 v[86:87], v[88:89], v[86:87]
	v_fma_f64 v[10:11], v[88:89], v[84:85], -v[10:11]
	s_delay_alu instid0(VALU_DEP_2) | instskip(NEXT) | instid1(VALU_DEP_2)
	v_fma_f64 v[84:85], v[90:91], v[84:85], v[86:87]
	v_add_f64 v[3:4], v[3:4], v[10:11]
	s_delay_alu instid0(VALU_DEP_2)
	v_add_f64 v[1:2], v[1:2], v[84:85]
	s_and_not1_b32 exec_lo, exec_lo, s3
	s_cbranch_execnz .LBB22_93
; %bb.94:
	s_or_b32 exec_lo, exec_lo, s3
	v_mov_b32_e32 v7, 0
	ds_load_b128 v[7:10], v7 offset:320
	s_waitcnt lgkmcnt(0)
	v_mul_f64 v[11:12], v[1:2], v[9:10]
	v_mul_f64 v[84:85], v[3:4], v[9:10]
	s_delay_alu instid0(VALU_DEP_2) | instskip(NEXT) | instid1(VALU_DEP_2)
	v_fma_f64 v[9:10], v[3:4], v[7:8], -v[11:12]
	v_fma_f64 v[11:12], v[1:2], v[7:8], v[84:85]
	scratch_store_b128 off, v[9:12], off offset:320
.LBB22_95:
	s_or_b32 exec_lo, exec_lo, s2
	s_waitcnt_vscnt null, 0x0
	s_barrier
	buffer_gl0_inv
	scratch_load_b128 v[1:4], v81, off
	s_mov_b32 s2, exec_lo
	s_waitcnt vmcnt(0)
	ds_store_b128 v5, v[1:4]
	s_waitcnt lgkmcnt(0)
	s_barrier
	buffer_gl0_inv
	v_cmpx_gt_u32_e32 21, v59
	s_cbranch_execz .LBB22_99
; %bb.96:
	v_dual_mov_b32 v1, 0 :: v_dual_add_nc_u32 v8, 0x170, v82
	v_dual_mov_b32 v2, 0 :: v_dual_add_nc_u32 v7, -1, v59
	v_or_b32_e32 v9, 8, v83
	s_mov_b32 s3, 0
	s_delay_alu instid0(VALU_DEP_2)
	v_dual_mov_b32 v4, v2 :: v_dual_mov_b32 v3, v1
	.p2align	6
.LBB22_97:                              ; =>This Inner Loop Header: Depth=1
	scratch_load_b128 v[84:87], v9, off offset:-8
	ds_load_b128 v[88:91], v8
	v_add_nc_u32_e32 v7, 1, v7
	v_add_nc_u32_e32 v8, 16, v8
	;; [unrolled: 1-line block ×3, first 2 shown]
	s_delay_alu instid0(VALU_DEP_3) | instskip(SKIP_4) | instid1(VALU_DEP_2)
	v_cmp_lt_u32_e32 vcc_lo, 19, v7
	s_or_b32 s3, vcc_lo, s3
	s_waitcnt vmcnt(0) lgkmcnt(0)
	v_mul_f64 v[10:11], v[90:91], v[86:87]
	v_mul_f64 v[86:87], v[88:89], v[86:87]
	v_fma_f64 v[10:11], v[88:89], v[84:85], -v[10:11]
	s_delay_alu instid0(VALU_DEP_2) | instskip(NEXT) | instid1(VALU_DEP_2)
	v_fma_f64 v[84:85], v[90:91], v[84:85], v[86:87]
	v_add_f64 v[3:4], v[3:4], v[10:11]
	s_delay_alu instid0(VALU_DEP_2)
	v_add_f64 v[1:2], v[1:2], v[84:85]
	s_and_not1_b32 exec_lo, exec_lo, s3
	s_cbranch_execnz .LBB22_97
; %bb.98:
	s_or_b32 exec_lo, exec_lo, s3
	v_mov_b32_e32 v7, 0
	ds_load_b128 v[7:10], v7 offset:336
	s_waitcnt lgkmcnt(0)
	v_mul_f64 v[11:12], v[1:2], v[9:10]
	v_mul_f64 v[84:85], v[3:4], v[9:10]
	s_delay_alu instid0(VALU_DEP_2) | instskip(NEXT) | instid1(VALU_DEP_2)
	v_fma_f64 v[9:10], v[3:4], v[7:8], -v[11:12]
	v_fma_f64 v[11:12], v[1:2], v[7:8], v[84:85]
	scratch_store_b128 off, v[9:12], off offset:336
.LBB22_99:
	s_or_b32 exec_lo, exec_lo, s2
	s_waitcnt_vscnt null, 0x0
	s_barrier
	buffer_gl0_inv
	scratch_load_b128 v[1:4], v79, off
	s_mov_b32 s2, exec_lo
	s_waitcnt vmcnt(0)
	ds_store_b128 v5, v[1:4]
	s_waitcnt lgkmcnt(0)
	s_barrier
	buffer_gl0_inv
	v_cmpx_ne_u32_e32 22, v59
	s_cbranch_execz .LBB22_103
; %bb.100:
	v_mov_b32_e32 v1, 0
	v_mov_b32_e32 v2, 0
	v_or_b32_e32 v7, 8, v83
	s_mov_b32 s3, 0
	s_delay_alu instid0(VALU_DEP_2)
	v_dual_mov_b32 v4, v2 :: v_dual_mov_b32 v3, v1
	.p2align	6
.LBB22_101:                             ; =>This Inner Loop Header: Depth=1
	scratch_load_b128 v[8:11], v7, off offset:-8
	ds_load_b128 v[82:85], v5
	v_add_nc_u32_e32 v6, 1, v6
	v_add_nc_u32_e32 v5, 16, v5
	;; [unrolled: 1-line block ×3, first 2 shown]
	s_delay_alu instid0(VALU_DEP_3) | instskip(SKIP_4) | instid1(VALU_DEP_2)
	v_cmp_lt_u32_e32 vcc_lo, 20, v6
	s_or_b32 s3, vcc_lo, s3
	s_waitcnt vmcnt(0) lgkmcnt(0)
	v_mul_f64 v[86:87], v[84:85], v[10:11]
	v_mul_f64 v[10:11], v[82:83], v[10:11]
	v_fma_f64 v[82:83], v[82:83], v[8:9], -v[86:87]
	s_delay_alu instid0(VALU_DEP_2) | instskip(NEXT) | instid1(VALU_DEP_2)
	v_fma_f64 v[8:9], v[84:85], v[8:9], v[10:11]
	v_add_f64 v[3:4], v[3:4], v[82:83]
	s_delay_alu instid0(VALU_DEP_2)
	v_add_f64 v[1:2], v[1:2], v[8:9]
	s_and_not1_b32 exec_lo, exec_lo, s3
	s_cbranch_execnz .LBB22_101
; %bb.102:
	s_or_b32 exec_lo, exec_lo, s3
	v_mov_b32_e32 v5, 0
	ds_load_b128 v[5:8], v5 offset:352
	s_waitcnt lgkmcnt(0)
	v_mul_f64 v[9:10], v[1:2], v[7:8]
	v_mul_f64 v[7:8], v[3:4], v[7:8]
	s_delay_alu instid0(VALU_DEP_2) | instskip(NEXT) | instid1(VALU_DEP_2)
	v_fma_f64 v[3:4], v[3:4], v[5:6], -v[9:10]
	v_fma_f64 v[5:6], v[1:2], v[5:6], v[7:8]
	scratch_store_b128 off, v[3:6], off offset:352
.LBB22_103:
	s_or_b32 exec_lo, exec_lo, s2
	s_mov_b32 s3, -1
	s_waitcnt_vscnt null, 0x0
	s_barrier
	buffer_gl0_inv
.LBB22_104:
	s_and_b32 vcc_lo, exec_lo, s3
	s_cbranch_vccz .LBB22_106
; %bb.105:
	s_lshl_b64 s[2:3], s[18:19], 2
	v_mov_b32_e32 v1, 0
	s_add_u32 s2, s6, s2
	s_addc_u32 s3, s7, s3
	global_load_b32 v1, v1, s[2:3]
	s_waitcnt vmcnt(0)
	v_cmp_ne_u32_e32 vcc_lo, 0, v1
	s_cbranch_vccz .LBB22_107
.LBB22_106:
	s_endpgm
.LBB22_107:
	v_lshl_add_u32 v5, v59, 4, 0x170
	s_mov_b32 s2, exec_lo
	v_cmpx_eq_u32_e32 22, v59
	s_cbranch_execz .LBB22_109
; %bb.108:
	scratch_load_b128 v[1:4], v81, off
	v_mov_b32_e32 v6, 0
	s_delay_alu instid0(VALU_DEP_1)
	v_mov_b32_e32 v7, v6
	v_mov_b32_e32 v8, v6
	;; [unrolled: 1-line block ×3, first 2 shown]
	scratch_store_b128 off, v[6:9], off offset:336
	s_waitcnt vmcnt(0)
	ds_store_b128 v5, v[1:4]
.LBB22_109:
	s_or_b32 exec_lo, exec_lo, s2
	s_waitcnt lgkmcnt(0)
	s_waitcnt_vscnt null, 0x0
	s_barrier
	buffer_gl0_inv
	s_clause 0x1
	scratch_load_b128 v[6:9], off, off offset:352
	scratch_load_b128 v[82:85], off, off offset:336
	v_mov_b32_e32 v1, 0
	s_mov_b32 s2, exec_lo
	ds_load_b128 v[86:89], v1 offset:720
	s_waitcnt vmcnt(1) lgkmcnt(0)
	v_mul_f64 v[2:3], v[88:89], v[8:9]
	v_mul_f64 v[8:9], v[86:87], v[8:9]
	s_delay_alu instid0(VALU_DEP_2) | instskip(NEXT) | instid1(VALU_DEP_2)
	v_fma_f64 v[2:3], v[86:87], v[6:7], -v[2:3]
	v_fma_f64 v[6:7], v[88:89], v[6:7], v[8:9]
	s_delay_alu instid0(VALU_DEP_2) | instskip(NEXT) | instid1(VALU_DEP_2)
	v_add_f64 v[2:3], v[2:3], 0
	v_add_f64 v[8:9], v[6:7], 0
	s_waitcnt vmcnt(0)
	s_delay_alu instid0(VALU_DEP_2) | instskip(NEXT) | instid1(VALU_DEP_2)
	v_add_f64 v[6:7], v[82:83], -v[2:3]
	v_add_f64 v[8:9], v[84:85], -v[8:9]
	scratch_store_b128 off, v[6:9], off offset:336
	v_cmpx_lt_u32_e32 20, v59
	s_cbranch_execz .LBB22_111
; %bb.110:
	scratch_load_b128 v[6:9], v80, off
	v_mov_b32_e32 v2, v1
	v_mov_b32_e32 v3, v1
	;; [unrolled: 1-line block ×3, first 2 shown]
	scratch_store_b128 off, v[1:4], off offset:320
	s_waitcnt vmcnt(0)
	ds_store_b128 v5, v[6:9]
.LBB22_111:
	s_or_b32 exec_lo, exec_lo, s2
	s_waitcnt lgkmcnt(0)
	s_waitcnt_vscnt null, 0x0
	s_barrier
	buffer_gl0_inv
	s_clause 0x2
	scratch_load_b128 v[6:9], off, off offset:336
	scratch_load_b128 v[82:85], off, off offset:352
	;; [unrolled: 1-line block ×3, first 2 shown]
	ds_load_b128 v[90:93], v1 offset:704
	ds_load_b128 v[1:4], v1 offset:720
	s_mov_b32 s2, exec_lo
	s_waitcnt vmcnt(2) lgkmcnt(1)
	v_mul_f64 v[10:11], v[92:93], v[8:9]
	v_mul_f64 v[8:9], v[90:91], v[8:9]
	s_waitcnt vmcnt(1) lgkmcnt(0)
	v_mul_f64 v[94:95], v[1:2], v[84:85]
	v_mul_f64 v[84:85], v[3:4], v[84:85]
	s_delay_alu instid0(VALU_DEP_4) | instskip(NEXT) | instid1(VALU_DEP_4)
	v_fma_f64 v[10:11], v[90:91], v[6:7], -v[10:11]
	v_fma_f64 v[6:7], v[92:93], v[6:7], v[8:9]
	s_delay_alu instid0(VALU_DEP_4) | instskip(NEXT) | instid1(VALU_DEP_4)
	v_fma_f64 v[3:4], v[3:4], v[82:83], v[94:95]
	v_fma_f64 v[1:2], v[1:2], v[82:83], -v[84:85]
	s_delay_alu instid0(VALU_DEP_4) | instskip(NEXT) | instid1(VALU_DEP_4)
	v_add_f64 v[8:9], v[10:11], 0
	v_add_f64 v[6:7], v[6:7], 0
	s_delay_alu instid0(VALU_DEP_2) | instskip(NEXT) | instid1(VALU_DEP_2)
	v_add_f64 v[1:2], v[8:9], v[1:2]
	v_add_f64 v[3:4], v[6:7], v[3:4]
	s_waitcnt vmcnt(0)
	s_delay_alu instid0(VALU_DEP_2) | instskip(NEXT) | instid1(VALU_DEP_2)
	v_add_f64 v[1:2], v[86:87], -v[1:2]
	v_add_f64 v[3:4], v[88:89], -v[3:4]
	scratch_store_b128 off, v[1:4], off offset:320
	v_cmpx_lt_u32_e32 19, v59
	s_cbranch_execz .LBB22_113
; %bb.112:
	scratch_load_b128 v[1:4], v77, off
	v_mov_b32_e32 v6, 0
	s_delay_alu instid0(VALU_DEP_1)
	v_mov_b32_e32 v7, v6
	v_mov_b32_e32 v8, v6
	;; [unrolled: 1-line block ×3, first 2 shown]
	scratch_store_b128 off, v[6:9], off offset:304
	s_waitcnt vmcnt(0)
	ds_store_b128 v5, v[1:4]
.LBB22_113:
	s_or_b32 exec_lo, exec_lo, s2
	s_waitcnt lgkmcnt(0)
	s_waitcnt_vscnt null, 0x0
	s_barrier
	buffer_gl0_inv
	s_clause 0x3
	scratch_load_b128 v[6:9], off, off offset:320
	scratch_load_b128 v[82:85], off, off offset:336
	;; [unrolled: 1-line block ×4, first 2 shown]
	v_mov_b32_e32 v1, 0
	ds_load_b128 v[94:97], v1 offset:688
	ds_load_b128 v[98:101], v1 offset:704
	s_mov_b32 s2, exec_lo
	s_waitcnt vmcnt(3) lgkmcnt(1)
	v_mul_f64 v[2:3], v[96:97], v[8:9]
	v_mul_f64 v[8:9], v[94:95], v[8:9]
	s_waitcnt vmcnt(2) lgkmcnt(0)
	v_mul_f64 v[10:11], v[98:99], v[84:85]
	v_mul_f64 v[84:85], v[100:101], v[84:85]
	s_delay_alu instid0(VALU_DEP_4) | instskip(NEXT) | instid1(VALU_DEP_4)
	v_fma_f64 v[2:3], v[94:95], v[6:7], -v[2:3]
	v_fma_f64 v[94:95], v[96:97], v[6:7], v[8:9]
	ds_load_b128 v[6:9], v1 offset:720
	v_fma_f64 v[10:11], v[100:101], v[82:83], v[10:11]
	v_fma_f64 v[82:83], v[98:99], v[82:83], -v[84:85]
	s_waitcnt vmcnt(1) lgkmcnt(0)
	v_mul_f64 v[96:97], v[6:7], v[88:89]
	v_mul_f64 v[88:89], v[8:9], v[88:89]
	v_add_f64 v[2:3], v[2:3], 0
	v_add_f64 v[84:85], v[94:95], 0
	s_delay_alu instid0(VALU_DEP_4) | instskip(NEXT) | instid1(VALU_DEP_4)
	v_fma_f64 v[8:9], v[8:9], v[86:87], v[96:97]
	v_fma_f64 v[6:7], v[6:7], v[86:87], -v[88:89]
	s_delay_alu instid0(VALU_DEP_4) | instskip(NEXT) | instid1(VALU_DEP_4)
	v_add_f64 v[2:3], v[2:3], v[82:83]
	v_add_f64 v[10:11], v[84:85], v[10:11]
	s_delay_alu instid0(VALU_DEP_2) | instskip(NEXT) | instid1(VALU_DEP_2)
	v_add_f64 v[2:3], v[2:3], v[6:7]
	v_add_f64 v[8:9], v[10:11], v[8:9]
	s_waitcnt vmcnt(0)
	s_delay_alu instid0(VALU_DEP_2) | instskip(NEXT) | instid1(VALU_DEP_2)
	v_add_f64 v[6:7], v[90:91], -v[2:3]
	v_add_f64 v[8:9], v[92:93], -v[8:9]
	scratch_store_b128 off, v[6:9], off offset:304
	v_cmpx_lt_u32_e32 18, v59
	s_cbranch_execz .LBB22_115
; %bb.114:
	scratch_load_b128 v[6:9], v78, off
	v_mov_b32_e32 v2, v1
	v_mov_b32_e32 v3, v1
	;; [unrolled: 1-line block ×3, first 2 shown]
	scratch_store_b128 off, v[1:4], off offset:288
	s_waitcnt vmcnt(0)
	ds_store_b128 v5, v[6:9]
.LBB22_115:
	s_or_b32 exec_lo, exec_lo, s2
	s_waitcnt lgkmcnt(0)
	s_waitcnt_vscnt null, 0x0
	s_barrier
	buffer_gl0_inv
	s_clause 0x4
	scratch_load_b128 v[6:9], off, off offset:304
	scratch_load_b128 v[82:85], off, off offset:320
	;; [unrolled: 1-line block ×5, first 2 shown]
	ds_load_b128 v[98:101], v1 offset:672
	ds_load_b128 v[102:105], v1 offset:688
	s_mov_b32 s2, exec_lo
	s_waitcnt vmcnt(4) lgkmcnt(1)
	v_mul_f64 v[2:3], v[100:101], v[8:9]
	v_mul_f64 v[8:9], v[98:99], v[8:9]
	s_waitcnt vmcnt(3) lgkmcnt(0)
	v_mul_f64 v[10:11], v[102:103], v[84:85]
	v_mul_f64 v[84:85], v[104:105], v[84:85]
	s_delay_alu instid0(VALU_DEP_4) | instskip(NEXT) | instid1(VALU_DEP_4)
	v_fma_f64 v[98:99], v[98:99], v[6:7], -v[2:3]
	v_fma_f64 v[100:101], v[100:101], v[6:7], v[8:9]
	ds_load_b128 v[6:9], v1 offset:704
	ds_load_b128 v[1:4], v1 offset:720
	v_fma_f64 v[10:11], v[104:105], v[82:83], v[10:11]
	v_fma_f64 v[82:83], v[102:103], v[82:83], -v[84:85]
	s_waitcnt vmcnt(2) lgkmcnt(1)
	v_mul_f64 v[106:107], v[6:7], v[88:89]
	v_mul_f64 v[88:89], v[8:9], v[88:89]
	v_add_f64 v[84:85], v[98:99], 0
	v_add_f64 v[98:99], v[100:101], 0
	s_waitcnt vmcnt(1) lgkmcnt(0)
	v_mul_f64 v[100:101], v[1:2], v[92:93]
	v_mul_f64 v[92:93], v[3:4], v[92:93]
	v_fma_f64 v[8:9], v[8:9], v[86:87], v[106:107]
	v_fma_f64 v[6:7], v[6:7], v[86:87], -v[88:89]
	v_add_f64 v[82:83], v[84:85], v[82:83]
	v_add_f64 v[10:11], v[98:99], v[10:11]
	v_fma_f64 v[3:4], v[3:4], v[90:91], v[100:101]
	v_fma_f64 v[1:2], v[1:2], v[90:91], -v[92:93]
	s_delay_alu instid0(VALU_DEP_4) | instskip(NEXT) | instid1(VALU_DEP_4)
	v_add_f64 v[6:7], v[82:83], v[6:7]
	v_add_f64 v[8:9], v[10:11], v[8:9]
	s_delay_alu instid0(VALU_DEP_2) | instskip(NEXT) | instid1(VALU_DEP_2)
	v_add_f64 v[1:2], v[6:7], v[1:2]
	v_add_f64 v[3:4], v[8:9], v[3:4]
	s_waitcnt vmcnt(0)
	s_delay_alu instid0(VALU_DEP_2) | instskip(NEXT) | instid1(VALU_DEP_2)
	v_add_f64 v[1:2], v[94:95], -v[1:2]
	v_add_f64 v[3:4], v[96:97], -v[3:4]
	scratch_store_b128 off, v[1:4], off offset:288
	v_cmpx_lt_u32_e32 17, v59
	s_cbranch_execz .LBB22_117
; %bb.116:
	scratch_load_b128 v[1:4], v75, off
	v_mov_b32_e32 v6, 0
	s_delay_alu instid0(VALU_DEP_1)
	v_mov_b32_e32 v7, v6
	v_mov_b32_e32 v8, v6
	;; [unrolled: 1-line block ×3, first 2 shown]
	scratch_store_b128 off, v[6:9], off offset:272
	s_waitcnt vmcnt(0)
	ds_store_b128 v5, v[1:4]
.LBB22_117:
	s_or_b32 exec_lo, exec_lo, s2
	s_waitcnt lgkmcnt(0)
	s_waitcnt_vscnt null, 0x0
	s_barrier
	buffer_gl0_inv
	s_clause 0x5
	scratch_load_b128 v[6:9], off, off offset:288
	scratch_load_b128 v[82:85], off, off offset:304
	;; [unrolled: 1-line block ×6, first 2 shown]
	v_mov_b32_e32 v1, 0
	ds_load_b128 v[102:105], v1 offset:656
	ds_load_b128 v[106:109], v1 offset:672
	s_mov_b32 s2, exec_lo
	s_waitcnt vmcnt(5) lgkmcnt(1)
	v_mul_f64 v[2:3], v[104:105], v[8:9]
	v_mul_f64 v[8:9], v[102:103], v[8:9]
	s_waitcnt vmcnt(4) lgkmcnt(0)
	v_mul_f64 v[10:11], v[106:107], v[84:85]
	v_mul_f64 v[84:85], v[108:109], v[84:85]
	s_delay_alu instid0(VALU_DEP_4) | instskip(NEXT) | instid1(VALU_DEP_4)
	v_fma_f64 v[2:3], v[102:103], v[6:7], -v[2:3]
	v_fma_f64 v[110:111], v[104:105], v[6:7], v[8:9]
	ds_load_b128 v[6:9], v1 offset:688
	ds_load_b128 v[102:105], v1 offset:704
	v_fma_f64 v[10:11], v[108:109], v[82:83], v[10:11]
	v_fma_f64 v[82:83], v[106:107], v[82:83], -v[84:85]
	s_waitcnt vmcnt(3) lgkmcnt(1)
	v_mul_f64 v[112:113], v[6:7], v[88:89]
	v_mul_f64 v[88:89], v[8:9], v[88:89]
	s_waitcnt vmcnt(2) lgkmcnt(0)
	v_mul_f64 v[106:107], v[102:103], v[92:93]
	v_mul_f64 v[92:93], v[104:105], v[92:93]
	v_add_f64 v[2:3], v[2:3], 0
	v_add_f64 v[84:85], v[110:111], 0
	v_fma_f64 v[108:109], v[8:9], v[86:87], v[112:113]
	v_fma_f64 v[86:87], v[6:7], v[86:87], -v[88:89]
	ds_load_b128 v[6:9], v1 offset:720
	v_fma_f64 v[88:89], v[104:105], v[90:91], v[106:107]
	v_fma_f64 v[90:91], v[102:103], v[90:91], -v[92:93]
	v_add_f64 v[2:3], v[2:3], v[82:83]
	v_add_f64 v[10:11], v[84:85], v[10:11]
	s_waitcnt vmcnt(1) lgkmcnt(0)
	v_mul_f64 v[82:83], v[6:7], v[96:97]
	v_mul_f64 v[84:85], v[8:9], v[96:97]
	s_delay_alu instid0(VALU_DEP_4) | instskip(NEXT) | instid1(VALU_DEP_4)
	v_add_f64 v[2:3], v[2:3], v[86:87]
	v_add_f64 v[10:11], v[10:11], v[108:109]
	s_delay_alu instid0(VALU_DEP_4) | instskip(NEXT) | instid1(VALU_DEP_4)
	v_fma_f64 v[8:9], v[8:9], v[94:95], v[82:83]
	v_fma_f64 v[6:7], v[6:7], v[94:95], -v[84:85]
	s_delay_alu instid0(VALU_DEP_4) | instskip(NEXT) | instid1(VALU_DEP_4)
	v_add_f64 v[2:3], v[2:3], v[90:91]
	v_add_f64 v[10:11], v[10:11], v[88:89]
	s_delay_alu instid0(VALU_DEP_2) | instskip(NEXT) | instid1(VALU_DEP_2)
	v_add_f64 v[2:3], v[2:3], v[6:7]
	v_add_f64 v[8:9], v[10:11], v[8:9]
	s_waitcnt vmcnt(0)
	s_delay_alu instid0(VALU_DEP_2) | instskip(NEXT) | instid1(VALU_DEP_2)
	v_add_f64 v[6:7], v[98:99], -v[2:3]
	v_add_f64 v[8:9], v[100:101], -v[8:9]
	scratch_store_b128 off, v[6:9], off offset:272
	v_cmpx_lt_u32_e32 16, v59
	s_cbranch_execz .LBB22_119
; %bb.118:
	scratch_load_b128 v[6:9], v76, off
	v_mov_b32_e32 v2, v1
	v_mov_b32_e32 v3, v1
	;; [unrolled: 1-line block ×3, first 2 shown]
	scratch_store_b128 off, v[1:4], off offset:256
	s_waitcnt vmcnt(0)
	ds_store_b128 v5, v[6:9]
.LBB22_119:
	s_or_b32 exec_lo, exec_lo, s2
	s_waitcnt lgkmcnt(0)
	s_waitcnt_vscnt null, 0x0
	s_barrier
	buffer_gl0_inv
	s_clause 0x5
	scratch_load_b128 v[6:9], off, off offset:272
	scratch_load_b128 v[82:85], off, off offset:288
	;; [unrolled: 1-line block ×6, first 2 shown]
	ds_load_b128 v[102:105], v1 offset:640
	ds_load_b128 v[110:113], v1 offset:656
	scratch_load_b128 v[106:109], off, off offset:256
	s_mov_b32 s2, exec_lo
	s_waitcnt vmcnt(6) lgkmcnt(1)
	v_mul_f64 v[2:3], v[104:105], v[8:9]
	v_mul_f64 v[8:9], v[102:103], v[8:9]
	s_waitcnt vmcnt(5) lgkmcnt(0)
	v_mul_f64 v[10:11], v[110:111], v[84:85]
	v_mul_f64 v[84:85], v[112:113], v[84:85]
	s_delay_alu instid0(VALU_DEP_4) | instskip(NEXT) | instid1(VALU_DEP_4)
	v_fma_f64 v[2:3], v[102:103], v[6:7], -v[2:3]
	v_fma_f64 v[114:115], v[104:105], v[6:7], v[8:9]
	ds_load_b128 v[6:9], v1 offset:672
	ds_load_b128 v[102:105], v1 offset:688
	v_fma_f64 v[10:11], v[112:113], v[82:83], v[10:11]
	v_fma_f64 v[82:83], v[110:111], v[82:83], -v[84:85]
	s_waitcnt vmcnt(4) lgkmcnt(1)
	v_mul_f64 v[116:117], v[6:7], v[88:89]
	v_mul_f64 v[88:89], v[8:9], v[88:89]
	s_waitcnt vmcnt(3) lgkmcnt(0)
	v_mul_f64 v[110:111], v[102:103], v[92:93]
	v_mul_f64 v[92:93], v[104:105], v[92:93]
	v_add_f64 v[2:3], v[2:3], 0
	v_add_f64 v[84:85], v[114:115], 0
	v_fma_f64 v[112:113], v[8:9], v[86:87], v[116:117]
	v_fma_f64 v[86:87], v[6:7], v[86:87], -v[88:89]
	s_delay_alu instid0(VALU_DEP_4) | instskip(NEXT) | instid1(VALU_DEP_4)
	v_add_f64 v[82:83], v[2:3], v[82:83]
	v_add_f64 v[10:11], v[84:85], v[10:11]
	ds_load_b128 v[6:9], v1 offset:704
	ds_load_b128 v[1:4], v1 offset:720
	s_waitcnt vmcnt(2) lgkmcnt(1)
	v_mul_f64 v[84:85], v[6:7], v[96:97]
	v_mul_f64 v[88:89], v[8:9], v[96:97]
	v_fma_f64 v[96:97], v[104:105], v[90:91], v[110:111]
	v_fma_f64 v[90:91], v[102:103], v[90:91], -v[92:93]
	s_waitcnt vmcnt(1) lgkmcnt(0)
	v_mul_f64 v[92:93], v[3:4], v[100:101]
	v_add_f64 v[82:83], v[82:83], v[86:87]
	v_add_f64 v[10:11], v[10:11], v[112:113]
	v_mul_f64 v[86:87], v[1:2], v[100:101]
	v_fma_f64 v[8:9], v[8:9], v[94:95], v[84:85]
	v_fma_f64 v[6:7], v[6:7], v[94:95], -v[88:89]
	v_fma_f64 v[1:2], v[1:2], v[98:99], -v[92:93]
	v_add_f64 v[82:83], v[82:83], v[90:91]
	v_add_f64 v[10:11], v[10:11], v[96:97]
	v_fma_f64 v[3:4], v[3:4], v[98:99], v[86:87]
	s_delay_alu instid0(VALU_DEP_3) | instskip(NEXT) | instid1(VALU_DEP_3)
	v_add_f64 v[6:7], v[82:83], v[6:7]
	v_add_f64 v[8:9], v[10:11], v[8:9]
	s_delay_alu instid0(VALU_DEP_2) | instskip(NEXT) | instid1(VALU_DEP_2)
	v_add_f64 v[1:2], v[6:7], v[1:2]
	v_add_f64 v[3:4], v[8:9], v[3:4]
	s_waitcnt vmcnt(0)
	s_delay_alu instid0(VALU_DEP_2) | instskip(NEXT) | instid1(VALU_DEP_2)
	v_add_f64 v[1:2], v[106:107], -v[1:2]
	v_add_f64 v[3:4], v[108:109], -v[3:4]
	scratch_store_b128 off, v[1:4], off offset:256
	v_cmpx_lt_u32_e32 15, v59
	s_cbranch_execz .LBB22_121
; %bb.120:
	scratch_load_b128 v[1:4], v73, off
	v_mov_b32_e32 v6, 0
	s_delay_alu instid0(VALU_DEP_1)
	v_mov_b32_e32 v7, v6
	v_mov_b32_e32 v8, v6
	;; [unrolled: 1-line block ×3, first 2 shown]
	scratch_store_b128 off, v[6:9], off offset:240
	s_waitcnt vmcnt(0)
	ds_store_b128 v5, v[1:4]
.LBB22_121:
	s_or_b32 exec_lo, exec_lo, s2
	s_waitcnt lgkmcnt(0)
	s_waitcnt_vscnt null, 0x0
	s_barrier
	buffer_gl0_inv
	s_clause 0x6
	scratch_load_b128 v[6:9], off, off offset:256
	scratch_load_b128 v[82:85], off, off offset:272
	;; [unrolled: 1-line block ×7, first 2 shown]
	v_mov_b32_e32 v1, 0
	scratch_load_b128 v[110:113], off, off offset:240
	s_mov_b32 s2, exec_lo
	ds_load_b128 v[106:109], v1 offset:624
	s_waitcnt vmcnt(7) lgkmcnt(0)
	v_mul_f64 v[2:3], v[108:109], v[8:9]
	v_mul_f64 v[114:115], v[106:107], v[8:9]
	ds_load_b128 v[8:11], v1 offset:640
	v_fma_f64 v[2:3], v[106:107], v[6:7], -v[2:3]
	v_fma_f64 v[6:7], v[108:109], v[6:7], v[114:115]
	ds_load_b128 v[106:109], v1 offset:656
	s_waitcnt vmcnt(6) lgkmcnt(1)
	v_mul_f64 v[116:117], v[8:9], v[84:85]
	v_mul_f64 v[84:85], v[10:11], v[84:85]
	s_waitcnt vmcnt(5) lgkmcnt(0)
	v_mul_f64 v[114:115], v[106:107], v[88:89]
	v_mul_f64 v[88:89], v[108:109], v[88:89]
	v_add_f64 v[2:3], v[2:3], 0
	v_fma_f64 v[10:11], v[10:11], v[82:83], v[116:117]
	v_fma_f64 v[82:83], v[8:9], v[82:83], -v[84:85]
	v_add_f64 v[84:85], v[6:7], 0
	ds_load_b128 v[6:9], v1 offset:672
	v_fma_f64 v[108:109], v[108:109], v[86:87], v[114:115]
	v_fma_f64 v[86:87], v[106:107], v[86:87], -v[88:89]
	v_add_f64 v[2:3], v[2:3], v[82:83]
	v_add_f64 v[10:11], v[84:85], v[10:11]
	ds_load_b128 v[82:85], v1 offset:688
	s_waitcnt vmcnt(4) lgkmcnt(1)
	v_mul_f64 v[116:117], v[6:7], v[92:93]
	v_mul_f64 v[92:93], v[8:9], v[92:93]
	s_waitcnt vmcnt(3) lgkmcnt(0)
	v_mul_f64 v[88:89], v[82:83], v[96:97]
	v_mul_f64 v[96:97], v[84:85], v[96:97]
	v_add_f64 v[2:3], v[2:3], v[86:87]
	v_add_f64 v[10:11], v[10:11], v[108:109]
	v_fma_f64 v[106:107], v[8:9], v[90:91], v[116:117]
	v_fma_f64 v[90:91], v[6:7], v[90:91], -v[92:93]
	ds_load_b128 v[6:9], v1 offset:704
	v_fma_f64 v[88:89], v[84:85], v[94:95], v[88:89]
	v_fma_f64 v[94:95], v[82:83], v[94:95], -v[96:97]
	ds_load_b128 v[82:85], v1 offset:720
	s_waitcnt vmcnt(2) lgkmcnt(1)
	v_mul_f64 v[86:87], v[6:7], v[100:101]
	v_mul_f64 v[92:93], v[8:9], v[100:101]
	v_add_f64 v[10:11], v[10:11], v[106:107]
	v_add_f64 v[2:3], v[2:3], v[90:91]
	s_waitcnt vmcnt(1) lgkmcnt(0)
	v_mul_f64 v[90:91], v[82:83], v[104:105]
	v_mul_f64 v[96:97], v[84:85], v[104:105]
	v_fma_f64 v[8:9], v[8:9], v[98:99], v[86:87]
	v_fma_f64 v[6:7], v[6:7], v[98:99], -v[92:93]
	v_add_f64 v[10:11], v[10:11], v[88:89]
	v_add_f64 v[2:3], v[2:3], v[94:95]
	v_fma_f64 v[84:85], v[84:85], v[102:103], v[90:91]
	v_fma_f64 v[82:83], v[82:83], v[102:103], -v[96:97]
	s_delay_alu instid0(VALU_DEP_3) | instskip(SKIP_1) | instid1(VALU_DEP_2)
	v_add_f64 v[2:3], v[2:3], v[6:7]
	v_add_f64 v[6:7], v[10:11], v[8:9]
	;; [unrolled: 1-line block ×3, first 2 shown]
	s_delay_alu instid0(VALU_DEP_2) | instskip(SKIP_1) | instid1(VALU_DEP_2)
	v_add_f64 v[8:9], v[6:7], v[84:85]
	s_waitcnt vmcnt(0)
	v_add_f64 v[6:7], v[110:111], -v[2:3]
	s_delay_alu instid0(VALU_DEP_2)
	v_add_f64 v[8:9], v[112:113], -v[8:9]
	scratch_store_b128 off, v[6:9], off offset:240
	v_cmpx_lt_u32_e32 14, v59
	s_cbranch_execz .LBB22_123
; %bb.122:
	scratch_load_b128 v[6:9], v72, off
	v_mov_b32_e32 v2, v1
	v_mov_b32_e32 v3, v1
	;; [unrolled: 1-line block ×3, first 2 shown]
	scratch_store_b128 off, v[1:4], off offset:224
	s_waitcnt vmcnt(0)
	ds_store_b128 v5, v[6:9]
.LBB22_123:
	s_or_b32 exec_lo, exec_lo, s2
	s_waitcnt lgkmcnt(0)
	s_waitcnt_vscnt null, 0x0
	s_barrier
	buffer_gl0_inv
	s_clause 0x7
	scratch_load_b128 v[6:9], off, off offset:240
	scratch_load_b128 v[82:85], off, off offset:256
	;; [unrolled: 1-line block ×8, first 2 shown]
	ds_load_b128 v[110:113], v1 offset:608
	s_mov_b32 s2, exec_lo
	s_waitcnt vmcnt(7) lgkmcnt(0)
	v_mul_f64 v[2:3], v[112:113], v[8:9]
	v_mul_f64 v[114:115], v[110:111], v[8:9]
	ds_load_b128 v[8:11], v1 offset:624
	v_fma_f64 v[2:3], v[110:111], v[6:7], -v[2:3]
	v_fma_f64 v[6:7], v[112:113], v[6:7], v[114:115]
	ds_load_b128 v[110:113], v1 offset:640
	s_waitcnt vmcnt(6) lgkmcnt(1)
	v_mul_f64 v[118:119], v[8:9], v[84:85]
	v_mul_f64 v[84:85], v[10:11], v[84:85]
	scratch_load_b128 v[114:117], off, off offset:224
	s_waitcnt vmcnt(6) lgkmcnt(0)
	v_mul_f64 v[120:121], v[110:111], v[88:89]
	v_mul_f64 v[88:89], v[112:113], v[88:89]
	v_add_f64 v[2:3], v[2:3], 0
	v_fma_f64 v[10:11], v[10:11], v[82:83], v[118:119]
	v_fma_f64 v[82:83], v[8:9], v[82:83], -v[84:85]
	v_add_f64 v[84:85], v[6:7], 0
	ds_load_b128 v[6:9], v1 offset:656
	v_fma_f64 v[112:113], v[112:113], v[86:87], v[120:121]
	v_fma_f64 v[86:87], v[110:111], v[86:87], -v[88:89]
	v_add_f64 v[2:3], v[2:3], v[82:83]
	v_add_f64 v[10:11], v[84:85], v[10:11]
	ds_load_b128 v[82:85], v1 offset:672
	s_waitcnt vmcnt(5) lgkmcnt(1)
	v_mul_f64 v[118:119], v[6:7], v[92:93]
	v_mul_f64 v[92:93], v[8:9], v[92:93]
	s_waitcnt vmcnt(4) lgkmcnt(0)
	v_mul_f64 v[88:89], v[82:83], v[96:97]
	v_mul_f64 v[96:97], v[84:85], v[96:97]
	v_add_f64 v[2:3], v[2:3], v[86:87]
	v_add_f64 v[10:11], v[10:11], v[112:113]
	v_fma_f64 v[110:111], v[8:9], v[90:91], v[118:119]
	v_fma_f64 v[90:91], v[6:7], v[90:91], -v[92:93]
	ds_load_b128 v[6:9], v1 offset:688
	v_fma_f64 v[88:89], v[84:85], v[94:95], v[88:89]
	v_fma_f64 v[94:95], v[82:83], v[94:95], -v[96:97]
	ds_load_b128 v[82:85], v1 offset:704
	s_waitcnt vmcnt(3) lgkmcnt(1)
	v_mul_f64 v[86:87], v[6:7], v[100:101]
	v_mul_f64 v[92:93], v[8:9], v[100:101]
	v_add_f64 v[10:11], v[10:11], v[110:111]
	v_add_f64 v[2:3], v[2:3], v[90:91]
	s_waitcnt vmcnt(2) lgkmcnt(0)
	v_mul_f64 v[90:91], v[82:83], v[104:105]
	v_mul_f64 v[96:97], v[84:85], v[104:105]
	v_fma_f64 v[8:9], v[8:9], v[98:99], v[86:87]
	v_fma_f64 v[6:7], v[6:7], v[98:99], -v[92:93]
	v_add_f64 v[10:11], v[10:11], v[88:89]
	v_add_f64 v[86:87], v[2:3], v[94:95]
	ds_load_b128 v[1:4], v1 offset:720
	v_fma_f64 v[84:85], v[84:85], v[102:103], v[90:91]
	v_fma_f64 v[82:83], v[82:83], v[102:103], -v[96:97]
	s_waitcnt vmcnt(1) lgkmcnt(0)
	v_mul_f64 v[88:89], v[1:2], v[108:109]
	v_mul_f64 v[92:93], v[3:4], v[108:109]
	v_add_f64 v[8:9], v[10:11], v[8:9]
	v_add_f64 v[6:7], v[86:87], v[6:7]
	s_delay_alu instid0(VALU_DEP_4) | instskip(NEXT) | instid1(VALU_DEP_4)
	v_fma_f64 v[3:4], v[3:4], v[106:107], v[88:89]
	v_fma_f64 v[1:2], v[1:2], v[106:107], -v[92:93]
	s_delay_alu instid0(VALU_DEP_4) | instskip(NEXT) | instid1(VALU_DEP_4)
	v_add_f64 v[8:9], v[8:9], v[84:85]
	v_add_f64 v[6:7], v[6:7], v[82:83]
	s_delay_alu instid0(VALU_DEP_2) | instskip(NEXT) | instid1(VALU_DEP_2)
	v_add_f64 v[3:4], v[8:9], v[3:4]
	v_add_f64 v[1:2], v[6:7], v[1:2]
	s_waitcnt vmcnt(0)
	s_delay_alu instid0(VALU_DEP_2) | instskip(NEXT) | instid1(VALU_DEP_2)
	v_add_f64 v[3:4], v[116:117], -v[3:4]
	v_add_f64 v[1:2], v[114:115], -v[1:2]
	scratch_store_b128 off, v[1:4], off offset:224
	v_cmpx_lt_u32_e32 13, v59
	s_cbranch_execz .LBB22_125
; %bb.124:
	scratch_load_b128 v[1:4], v74, off
	v_mov_b32_e32 v6, 0
	s_delay_alu instid0(VALU_DEP_1)
	v_mov_b32_e32 v7, v6
	v_mov_b32_e32 v8, v6
	;; [unrolled: 1-line block ×3, first 2 shown]
	scratch_store_b128 off, v[6:9], off offset:208
	s_waitcnt vmcnt(0)
	ds_store_b128 v5, v[1:4]
.LBB22_125:
	s_or_b32 exec_lo, exec_lo, s2
	s_waitcnt lgkmcnt(0)
	s_waitcnt_vscnt null, 0x0
	s_barrier
	buffer_gl0_inv
	s_clause 0x7
	scratch_load_b128 v[6:9], off, off offset:224
	scratch_load_b128 v[82:85], off, off offset:240
	;; [unrolled: 1-line block ×8, first 2 shown]
	v_mov_b32_e32 v1, 0
	s_mov_b32 s2, exec_lo
	ds_load_b128 v[110:113], v1 offset:592
	s_clause 0x1
	scratch_load_b128 v[114:117], off, off offset:352
	scratch_load_b128 v[118:121], off, off offset:208
	ds_load_b128 v[122:125], v1 offset:608
	s_waitcnt vmcnt(9) lgkmcnt(1)
	v_mul_f64 v[2:3], v[112:113], v[8:9]
	v_mul_f64 v[8:9], v[110:111], v[8:9]
	s_waitcnt vmcnt(8) lgkmcnt(0)
	v_mul_f64 v[10:11], v[122:123], v[84:85]
	v_mul_f64 v[84:85], v[124:125], v[84:85]
	s_delay_alu instid0(VALU_DEP_4) | instskip(NEXT) | instid1(VALU_DEP_4)
	v_fma_f64 v[2:3], v[110:111], v[6:7], -v[2:3]
	v_fma_f64 v[126:127], v[112:113], v[6:7], v[8:9]
	ds_load_b128 v[6:9], v1 offset:624
	ds_load_b128 v[110:113], v1 offset:640
	v_fma_f64 v[10:11], v[124:125], v[82:83], v[10:11]
	v_fma_f64 v[82:83], v[122:123], v[82:83], -v[84:85]
	s_waitcnt vmcnt(7) lgkmcnt(1)
	v_mul_f64 v[128:129], v[6:7], v[88:89]
	v_mul_f64 v[88:89], v[8:9], v[88:89]
	s_waitcnt vmcnt(6) lgkmcnt(0)
	v_mul_f64 v[122:123], v[110:111], v[92:93]
	v_mul_f64 v[92:93], v[112:113], v[92:93]
	v_add_f64 v[2:3], v[2:3], 0
	v_add_f64 v[84:85], v[126:127], 0
	v_fma_f64 v[124:125], v[8:9], v[86:87], v[128:129]
	v_fma_f64 v[86:87], v[6:7], v[86:87], -v[88:89]
	v_fma_f64 v[112:113], v[112:113], v[90:91], v[122:123]
	v_fma_f64 v[90:91], v[110:111], v[90:91], -v[92:93]
	v_add_f64 v[2:3], v[2:3], v[82:83]
	v_add_f64 v[10:11], v[84:85], v[10:11]
	ds_load_b128 v[6:9], v1 offset:656
	ds_load_b128 v[82:85], v1 offset:672
	s_waitcnt vmcnt(5) lgkmcnt(1)
	v_mul_f64 v[88:89], v[6:7], v[96:97]
	v_mul_f64 v[96:97], v[8:9], v[96:97]
	s_waitcnt vmcnt(4) lgkmcnt(0)
	v_mul_f64 v[92:93], v[82:83], v[100:101]
	v_mul_f64 v[100:101], v[84:85], v[100:101]
	v_add_f64 v[2:3], v[2:3], v[86:87]
	v_add_f64 v[10:11], v[10:11], v[124:125]
	v_fma_f64 v[110:111], v[8:9], v[94:95], v[88:89]
	v_fma_f64 v[94:95], v[6:7], v[94:95], -v[96:97]
	ds_load_b128 v[6:9], v1 offset:688
	ds_load_b128 v[86:89], v1 offset:704
	v_fma_f64 v[84:85], v[84:85], v[98:99], v[92:93]
	v_fma_f64 v[82:83], v[82:83], v[98:99], -v[100:101]
	v_add_f64 v[2:3], v[2:3], v[90:91]
	v_add_f64 v[10:11], v[10:11], v[112:113]
	s_waitcnt vmcnt(3) lgkmcnt(1)
	v_mul_f64 v[90:91], v[6:7], v[104:105]
	v_mul_f64 v[96:97], v[8:9], v[104:105]
	s_waitcnt vmcnt(2) lgkmcnt(0)
	v_mul_f64 v[92:93], v[86:87], v[108:109]
	v_add_f64 v[2:3], v[2:3], v[94:95]
	v_add_f64 v[10:11], v[10:11], v[110:111]
	v_mul_f64 v[94:95], v[88:89], v[108:109]
	v_fma_f64 v[90:91], v[8:9], v[102:103], v[90:91]
	v_fma_f64 v[96:97], v[6:7], v[102:103], -v[96:97]
	ds_load_b128 v[6:9], v1 offset:720
	v_fma_f64 v[88:89], v[88:89], v[106:107], v[92:93]
	v_add_f64 v[2:3], v[2:3], v[82:83]
	v_add_f64 v[10:11], v[10:11], v[84:85]
	s_waitcnt vmcnt(1) lgkmcnt(0)
	v_mul_f64 v[82:83], v[6:7], v[116:117]
	v_mul_f64 v[84:85], v[8:9], v[116:117]
	v_fma_f64 v[86:87], v[86:87], v[106:107], -v[94:95]
	v_add_f64 v[2:3], v[2:3], v[96:97]
	v_add_f64 v[10:11], v[10:11], v[90:91]
	v_fma_f64 v[8:9], v[8:9], v[114:115], v[82:83]
	v_fma_f64 v[6:7], v[6:7], v[114:115], -v[84:85]
	s_delay_alu instid0(VALU_DEP_4) | instskip(NEXT) | instid1(VALU_DEP_4)
	v_add_f64 v[2:3], v[2:3], v[86:87]
	v_add_f64 v[10:11], v[10:11], v[88:89]
	s_delay_alu instid0(VALU_DEP_2) | instskip(NEXT) | instid1(VALU_DEP_2)
	v_add_f64 v[2:3], v[2:3], v[6:7]
	v_add_f64 v[8:9], v[10:11], v[8:9]
	s_waitcnt vmcnt(0)
	s_delay_alu instid0(VALU_DEP_2) | instskip(NEXT) | instid1(VALU_DEP_2)
	v_add_f64 v[6:7], v[118:119], -v[2:3]
	v_add_f64 v[8:9], v[120:121], -v[8:9]
	scratch_store_b128 off, v[6:9], off offset:208
	v_cmpx_lt_u32_e32 12, v59
	s_cbranch_execz .LBB22_127
; %bb.126:
	scratch_load_b128 v[6:9], v65, off
	v_mov_b32_e32 v2, v1
	v_mov_b32_e32 v3, v1
	;; [unrolled: 1-line block ×3, first 2 shown]
	scratch_store_b128 off, v[1:4], off offset:192
	s_waitcnt vmcnt(0)
	ds_store_b128 v5, v[6:9]
.LBB22_127:
	s_or_b32 exec_lo, exec_lo, s2
	s_waitcnt lgkmcnt(0)
	s_waitcnt_vscnt null, 0x0
	s_barrier
	buffer_gl0_inv
	s_clause 0x8
	scratch_load_b128 v[6:9], off, off offset:208
	scratch_load_b128 v[82:85], off, off offset:224
	;; [unrolled: 1-line block ×9, first 2 shown]
	ds_load_b128 v[114:117], v1 offset:576
	ds_load_b128 v[118:121], v1 offset:592
	scratch_load_b128 v[122:125], off, off offset:192
	s_mov_b32 s2, exec_lo
	s_waitcnt vmcnt(9) lgkmcnt(1)
	v_mul_f64 v[2:3], v[116:117], v[8:9]
	v_mul_f64 v[126:127], v[114:115], v[8:9]
	scratch_load_b128 v[8:11], off, off offset:352
	s_waitcnt vmcnt(9) lgkmcnt(0)
	v_mul_f64 v[130:131], v[118:119], v[84:85]
	v_mul_f64 v[84:85], v[120:121], v[84:85]
	v_fma_f64 v[2:3], v[114:115], v[6:7], -v[2:3]
	v_fma_f64 v[6:7], v[116:117], v[6:7], v[126:127]
	ds_load_b128 v[114:117], v1 offset:608
	ds_load_b128 v[126:129], v1 offset:624
	v_fma_f64 v[120:121], v[120:121], v[82:83], v[130:131]
	v_fma_f64 v[82:83], v[118:119], v[82:83], -v[84:85]
	s_waitcnt vmcnt(8) lgkmcnt(1)
	v_mul_f64 v[132:133], v[114:115], v[88:89]
	v_mul_f64 v[88:89], v[116:117], v[88:89]
	s_waitcnt vmcnt(7) lgkmcnt(0)
	v_mul_f64 v[118:119], v[126:127], v[92:93]
	v_mul_f64 v[92:93], v[128:129], v[92:93]
	v_add_f64 v[2:3], v[2:3], 0
	v_add_f64 v[6:7], v[6:7], 0
	v_fma_f64 v[116:117], v[116:117], v[86:87], v[132:133]
	v_fma_f64 v[114:115], v[114:115], v[86:87], -v[88:89]
	v_fma_f64 v[118:119], v[128:129], v[90:91], v[118:119]
	v_fma_f64 v[90:91], v[126:127], v[90:91], -v[92:93]
	v_add_f64 v[2:3], v[2:3], v[82:83]
	v_add_f64 v[6:7], v[6:7], v[120:121]
	ds_load_b128 v[82:85], v1 offset:640
	ds_load_b128 v[86:89], v1 offset:656
	s_waitcnt vmcnt(6) lgkmcnt(1)
	v_mul_f64 v[120:121], v[82:83], v[96:97]
	v_mul_f64 v[96:97], v[84:85], v[96:97]
	v_add_f64 v[2:3], v[2:3], v[114:115]
	v_add_f64 v[6:7], v[6:7], v[116:117]
	s_waitcnt vmcnt(5) lgkmcnt(0)
	v_mul_f64 v[114:115], v[86:87], v[100:101]
	v_mul_f64 v[100:101], v[88:89], v[100:101]
	v_fma_f64 v[116:117], v[84:85], v[94:95], v[120:121]
	v_fma_f64 v[94:95], v[82:83], v[94:95], -v[96:97]
	v_add_f64 v[2:3], v[2:3], v[90:91]
	v_add_f64 v[6:7], v[6:7], v[118:119]
	ds_load_b128 v[82:85], v1 offset:672
	ds_load_b128 v[90:93], v1 offset:688
	v_fma_f64 v[88:89], v[88:89], v[98:99], v[114:115]
	v_fma_f64 v[86:87], v[86:87], v[98:99], -v[100:101]
	s_waitcnt vmcnt(4) lgkmcnt(1)
	v_mul_f64 v[96:97], v[82:83], v[104:105]
	v_mul_f64 v[104:105], v[84:85], v[104:105]
	s_waitcnt vmcnt(3) lgkmcnt(0)
	v_mul_f64 v[98:99], v[92:93], v[108:109]
	v_add_f64 v[2:3], v[2:3], v[94:95]
	v_add_f64 v[6:7], v[6:7], v[116:117]
	v_mul_f64 v[94:95], v[90:91], v[108:109]
	v_fma_f64 v[96:97], v[84:85], v[102:103], v[96:97]
	v_fma_f64 v[100:101], v[82:83], v[102:103], -v[104:105]
	v_fma_f64 v[90:91], v[90:91], v[106:107], -v[98:99]
	v_add_f64 v[86:87], v[2:3], v[86:87]
	v_add_f64 v[6:7], v[6:7], v[88:89]
	ds_load_b128 v[82:85], v1 offset:704
	ds_load_b128 v[1:4], v1 offset:720
	v_fma_f64 v[92:93], v[92:93], v[106:107], v[94:95]
	s_waitcnt vmcnt(2) lgkmcnt(1)
	v_mul_f64 v[88:89], v[82:83], v[112:113]
	v_mul_f64 v[102:103], v[84:85], v[112:113]
	v_add_f64 v[86:87], v[86:87], v[100:101]
	v_add_f64 v[6:7], v[6:7], v[96:97]
	s_waitcnt vmcnt(0) lgkmcnt(0)
	v_mul_f64 v[94:95], v[1:2], v[10:11]
	v_mul_f64 v[10:11], v[3:4], v[10:11]
	v_fma_f64 v[84:85], v[84:85], v[110:111], v[88:89]
	v_fma_f64 v[82:83], v[82:83], v[110:111], -v[102:103]
	v_add_f64 v[86:87], v[86:87], v[90:91]
	v_add_f64 v[6:7], v[6:7], v[92:93]
	v_fma_f64 v[3:4], v[3:4], v[8:9], v[94:95]
	v_fma_f64 v[1:2], v[1:2], v[8:9], -v[10:11]
	s_delay_alu instid0(VALU_DEP_4) | instskip(NEXT) | instid1(VALU_DEP_4)
	v_add_f64 v[8:9], v[86:87], v[82:83]
	v_add_f64 v[6:7], v[6:7], v[84:85]
	s_delay_alu instid0(VALU_DEP_2) | instskip(NEXT) | instid1(VALU_DEP_2)
	v_add_f64 v[1:2], v[8:9], v[1:2]
	v_add_f64 v[3:4], v[6:7], v[3:4]
	s_delay_alu instid0(VALU_DEP_2) | instskip(NEXT) | instid1(VALU_DEP_2)
	v_add_f64 v[1:2], v[122:123], -v[1:2]
	v_add_f64 v[3:4], v[124:125], -v[3:4]
	scratch_store_b128 off, v[1:4], off offset:192
	v_cmpx_lt_u32_e32 11, v59
	s_cbranch_execz .LBB22_129
; %bb.128:
	scratch_load_b128 v[1:4], v70, off
	v_mov_b32_e32 v6, 0
	s_delay_alu instid0(VALU_DEP_1)
	v_mov_b32_e32 v7, v6
	v_mov_b32_e32 v8, v6
	;; [unrolled: 1-line block ×3, first 2 shown]
	scratch_store_b128 off, v[6:9], off offset:176
	s_waitcnt vmcnt(0)
	ds_store_b128 v5, v[1:4]
.LBB22_129:
	s_or_b32 exec_lo, exec_lo, s2
	s_waitcnt lgkmcnt(0)
	s_waitcnt_vscnt null, 0x0
	s_barrier
	buffer_gl0_inv
	s_clause 0x7
	scratch_load_b128 v[6:9], off, off offset:192
	scratch_load_b128 v[82:85], off, off offset:208
	;; [unrolled: 1-line block ×8, first 2 shown]
	v_mov_b32_e32 v1, 0
	s_mov_b32 s2, exec_lo
	ds_load_b128 v[110:113], v1 offset:560
	s_clause 0x1
	scratch_load_b128 v[114:117], off, off offset:320
	scratch_load_b128 v[118:121], off, off offset:176
	ds_load_b128 v[122:125], v1 offset:576
	ds_load_b128 v[130:133], v1 offset:608
	s_waitcnt vmcnt(9) lgkmcnt(2)
	v_mul_f64 v[2:3], v[112:113], v[8:9]
	v_mul_f64 v[126:127], v[110:111], v[8:9]
	scratch_load_b128 v[8:11], off, off offset:336
	v_fma_f64 v[2:3], v[110:111], v[6:7], -v[2:3]
	v_fma_f64 v[6:7], v[112:113], v[6:7], v[126:127]
	scratch_load_b128 v[126:129], off, off offset:352
	ds_load_b128 v[110:113], v1 offset:592
	s_waitcnt vmcnt(10) lgkmcnt(2)
	v_mul_f64 v[134:135], v[122:123], v[84:85]
	v_mul_f64 v[84:85], v[124:125], v[84:85]
	s_waitcnt vmcnt(9) lgkmcnt(0)
	v_mul_f64 v[136:137], v[110:111], v[88:89]
	v_mul_f64 v[88:89], v[112:113], v[88:89]
	v_add_f64 v[2:3], v[2:3], 0
	v_add_f64 v[6:7], v[6:7], 0
	v_fma_f64 v[124:125], v[124:125], v[82:83], v[134:135]
	v_fma_f64 v[82:83], v[122:123], v[82:83], -v[84:85]
	s_waitcnt vmcnt(8)
	v_mul_f64 v[122:123], v[130:131], v[92:93]
	v_mul_f64 v[92:93], v[132:133], v[92:93]
	v_fma_f64 v[112:113], v[112:113], v[86:87], v[136:137]
	v_fma_f64 v[110:111], v[110:111], v[86:87], -v[88:89]
	v_add_f64 v[6:7], v[6:7], v[124:125]
	v_add_f64 v[2:3], v[2:3], v[82:83]
	ds_load_b128 v[82:85], v1 offset:624
	ds_load_b128 v[86:89], v1 offset:640
	v_fma_f64 v[122:123], v[132:133], v[90:91], v[122:123]
	v_fma_f64 v[90:91], v[130:131], v[90:91], -v[92:93]
	s_waitcnt vmcnt(7) lgkmcnt(1)
	v_mul_f64 v[124:125], v[82:83], v[96:97]
	v_mul_f64 v[96:97], v[84:85], v[96:97]
	v_add_f64 v[6:7], v[6:7], v[112:113]
	v_add_f64 v[2:3], v[2:3], v[110:111]
	s_waitcnt vmcnt(6) lgkmcnt(0)
	v_mul_f64 v[110:111], v[86:87], v[100:101]
	v_mul_f64 v[100:101], v[88:89], v[100:101]
	v_fma_f64 v[112:113], v[84:85], v[94:95], v[124:125]
	v_fma_f64 v[94:95], v[82:83], v[94:95], -v[96:97]
	v_add_f64 v[6:7], v[6:7], v[122:123]
	v_add_f64 v[2:3], v[2:3], v[90:91]
	ds_load_b128 v[82:85], v1 offset:656
	ds_load_b128 v[90:93], v1 offset:672
	v_fma_f64 v[88:89], v[88:89], v[98:99], v[110:111]
	v_fma_f64 v[86:87], v[86:87], v[98:99], -v[100:101]
	s_waitcnt vmcnt(5) lgkmcnt(1)
	v_mul_f64 v[96:97], v[82:83], v[104:105]
	v_mul_f64 v[104:105], v[84:85], v[104:105]
	s_waitcnt vmcnt(4) lgkmcnt(0)
	v_mul_f64 v[98:99], v[92:93], v[108:109]
	v_add_f64 v[6:7], v[6:7], v[112:113]
	v_add_f64 v[2:3], v[2:3], v[94:95]
	v_mul_f64 v[94:95], v[90:91], v[108:109]
	v_fma_f64 v[96:97], v[84:85], v[102:103], v[96:97]
	v_fma_f64 v[100:101], v[82:83], v[102:103], -v[104:105]
	v_fma_f64 v[90:91], v[90:91], v[106:107], -v[98:99]
	v_add_f64 v[6:7], v[6:7], v[88:89]
	v_add_f64 v[2:3], v[2:3], v[86:87]
	ds_load_b128 v[82:85], v1 offset:688
	ds_load_b128 v[86:89], v1 offset:704
	v_fma_f64 v[92:93], v[92:93], v[106:107], v[94:95]
	s_waitcnt vmcnt(3) lgkmcnt(1)
	v_mul_f64 v[102:103], v[82:83], v[116:117]
	v_mul_f64 v[104:105], v[84:85], v[116:117]
	v_add_f64 v[6:7], v[6:7], v[96:97]
	v_add_f64 v[2:3], v[2:3], v[100:101]
	s_waitcnt vmcnt(1) lgkmcnt(0)
	v_mul_f64 v[94:95], v[86:87], v[10:11]
	v_mul_f64 v[10:11], v[88:89], v[10:11]
	v_fma_f64 v[96:97], v[84:85], v[114:115], v[102:103]
	v_fma_f64 v[98:99], v[82:83], v[114:115], -v[104:105]
	ds_load_b128 v[82:85], v1 offset:720
	v_add_f64 v[6:7], v[6:7], v[92:93]
	v_add_f64 v[2:3], v[2:3], v[90:91]
	s_waitcnt vmcnt(0) lgkmcnt(0)
	v_mul_f64 v[90:91], v[82:83], v[128:129]
	v_mul_f64 v[92:93], v[84:85], v[128:129]
	v_fma_f64 v[88:89], v[88:89], v[8:9], v[94:95]
	v_fma_f64 v[8:9], v[86:87], v[8:9], -v[10:11]
	v_add_f64 v[6:7], v[6:7], v[96:97]
	v_add_f64 v[2:3], v[2:3], v[98:99]
	v_fma_f64 v[10:11], v[84:85], v[126:127], v[90:91]
	v_fma_f64 v[82:83], v[82:83], v[126:127], -v[92:93]
	s_delay_alu instid0(VALU_DEP_4) | instskip(NEXT) | instid1(VALU_DEP_4)
	v_add_f64 v[6:7], v[6:7], v[88:89]
	v_add_f64 v[2:3], v[2:3], v[8:9]
	s_delay_alu instid0(VALU_DEP_2) | instskip(NEXT) | instid1(VALU_DEP_2)
	v_add_f64 v[8:9], v[6:7], v[10:11]
	v_add_f64 v[2:3], v[2:3], v[82:83]
	s_delay_alu instid0(VALU_DEP_2) | instskip(NEXT) | instid1(VALU_DEP_2)
	v_add_f64 v[8:9], v[120:121], -v[8:9]
	v_add_f64 v[6:7], v[118:119], -v[2:3]
	scratch_store_b128 off, v[6:9], off offset:176
	v_cmpx_lt_u32_e32 10, v59
	s_cbranch_execz .LBB22_131
; %bb.130:
	scratch_load_b128 v[6:9], v66, off
	v_mov_b32_e32 v2, v1
	v_mov_b32_e32 v3, v1
	;; [unrolled: 1-line block ×3, first 2 shown]
	scratch_store_b128 off, v[1:4], off offset:160
	s_waitcnt vmcnt(0)
	ds_store_b128 v5, v[6:9]
.LBB22_131:
	s_or_b32 exec_lo, exec_lo, s2
	s_waitcnt lgkmcnt(0)
	s_waitcnt_vscnt null, 0x0
	s_barrier
	buffer_gl0_inv
	s_clause 0x8
	scratch_load_b128 v[6:9], off, off offset:176
	scratch_load_b128 v[82:85], off, off offset:192
	;; [unrolled: 1-line block ×9, first 2 shown]
	ds_load_b128 v[114:117], v1 offset:544
	ds_load_b128 v[118:121], v1 offset:560
	scratch_load_b128 v[122:125], off, off offset:160
	s_mov_b32 s2, exec_lo
	ds_load_b128 v[130:133], v1 offset:592
	s_waitcnt vmcnt(9) lgkmcnt(2)
	v_mul_f64 v[2:3], v[116:117], v[8:9]
	v_mul_f64 v[126:127], v[114:115], v[8:9]
	scratch_load_b128 v[8:11], off, off offset:320
	s_waitcnt vmcnt(9) lgkmcnt(1)
	v_mul_f64 v[134:135], v[118:119], v[84:85]
	v_mul_f64 v[84:85], v[120:121], v[84:85]
	v_fma_f64 v[2:3], v[114:115], v[6:7], -v[2:3]
	v_fma_f64 v[6:7], v[116:117], v[6:7], v[126:127]
	ds_load_b128 v[114:117], v1 offset:576
	scratch_load_b128 v[126:129], off, off offset:336
	v_fma_f64 v[120:121], v[120:121], v[82:83], v[134:135]
	v_fma_f64 v[118:119], v[118:119], v[82:83], -v[84:85]
	scratch_load_b128 v[82:85], off, off offset:352
	s_waitcnt vmcnt(9) lgkmcnt(1)
	v_mul_f64 v[134:135], v[130:131], v[92:93]
	v_mul_f64 v[92:93], v[132:133], v[92:93]
	s_waitcnt lgkmcnt(0)
	v_mul_f64 v[136:137], v[114:115], v[88:89]
	v_mul_f64 v[88:89], v[116:117], v[88:89]
	v_add_f64 v[2:3], v[2:3], 0
	v_add_f64 v[6:7], v[6:7], 0
	s_delay_alu instid0(VALU_DEP_4) | instskip(NEXT) | instid1(VALU_DEP_4)
	v_fma_f64 v[136:137], v[116:117], v[86:87], v[136:137]
	v_fma_f64 v[138:139], v[114:115], v[86:87], -v[88:89]
	ds_load_b128 v[86:89], v1 offset:608
	ds_load_b128 v[114:117], v1 offset:624
	v_add_f64 v[2:3], v[2:3], v[118:119]
	v_add_f64 v[6:7], v[6:7], v[120:121]
	v_fma_f64 v[120:121], v[132:133], v[90:91], v[134:135]
	v_fma_f64 v[90:91], v[130:131], v[90:91], -v[92:93]
	s_waitcnt vmcnt(8) lgkmcnt(1)
	v_mul_f64 v[118:119], v[86:87], v[96:97]
	v_mul_f64 v[96:97], v[88:89], v[96:97]
	s_waitcnt vmcnt(7) lgkmcnt(0)
	v_mul_f64 v[130:131], v[114:115], v[100:101]
	v_mul_f64 v[100:101], v[116:117], v[100:101]
	v_add_f64 v[2:3], v[2:3], v[138:139]
	v_add_f64 v[6:7], v[6:7], v[136:137]
	v_fma_f64 v[118:119], v[88:89], v[94:95], v[118:119]
	v_fma_f64 v[94:95], v[86:87], v[94:95], -v[96:97]
	v_fma_f64 v[116:117], v[116:117], v[98:99], v[130:131]
	v_fma_f64 v[98:99], v[114:115], v[98:99], -v[100:101]
	v_add_f64 v[2:3], v[2:3], v[90:91]
	v_add_f64 v[6:7], v[6:7], v[120:121]
	ds_load_b128 v[86:89], v1 offset:640
	ds_load_b128 v[90:93], v1 offset:656
	s_waitcnt vmcnt(6) lgkmcnt(1)
	v_mul_f64 v[96:97], v[86:87], v[104:105]
	v_mul_f64 v[104:105], v[88:89], v[104:105]
	s_waitcnt vmcnt(5) lgkmcnt(0)
	v_mul_f64 v[100:101], v[90:91], v[108:109]
	v_mul_f64 v[108:109], v[92:93], v[108:109]
	v_add_f64 v[2:3], v[2:3], v[94:95]
	v_add_f64 v[6:7], v[6:7], v[118:119]
	v_fma_f64 v[114:115], v[88:89], v[102:103], v[96:97]
	v_fma_f64 v[102:103], v[86:87], v[102:103], -v[104:105]
	ds_load_b128 v[86:89], v1 offset:672
	ds_load_b128 v[94:97], v1 offset:688
	v_fma_f64 v[92:93], v[92:93], v[106:107], v[100:101]
	v_fma_f64 v[90:91], v[90:91], v[106:107], -v[108:109]
	v_add_f64 v[2:3], v[2:3], v[98:99]
	v_add_f64 v[6:7], v[6:7], v[116:117]
	s_waitcnt vmcnt(4) lgkmcnt(1)
	v_mul_f64 v[98:99], v[86:87], v[112:113]
	v_mul_f64 v[104:105], v[88:89], v[112:113]
	s_delay_alu instid0(VALU_DEP_4) | instskip(NEXT) | instid1(VALU_DEP_4)
	v_add_f64 v[2:3], v[2:3], v[102:103]
	v_add_f64 v[6:7], v[6:7], v[114:115]
	s_delay_alu instid0(VALU_DEP_4) | instskip(NEXT) | instid1(VALU_DEP_4)
	v_fma_f64 v[98:99], v[88:89], v[110:111], v[98:99]
	v_fma_f64 v[102:103], v[86:87], v[110:111], -v[104:105]
	s_waitcnt vmcnt(2) lgkmcnt(0)
	v_mul_f64 v[100:101], v[94:95], v[10:11]
	v_mul_f64 v[10:11], v[96:97], v[10:11]
	v_add_f64 v[90:91], v[2:3], v[90:91]
	v_add_f64 v[6:7], v[6:7], v[92:93]
	ds_load_b128 v[86:89], v1 offset:704
	ds_load_b128 v[1:4], v1 offset:720
	v_fma_f64 v[96:97], v[96:97], v[8:9], v[100:101]
	v_fma_f64 v[8:9], v[94:95], v[8:9], -v[10:11]
	s_waitcnt vmcnt(1) lgkmcnt(1)
	v_mul_f64 v[92:93], v[86:87], v[128:129]
	v_mul_f64 v[104:105], v[88:89], v[128:129]
	v_add_f64 v[10:11], v[90:91], v[102:103]
	v_add_f64 v[6:7], v[6:7], v[98:99]
	s_waitcnt vmcnt(0) lgkmcnt(0)
	v_mul_f64 v[90:91], v[1:2], v[84:85]
	v_mul_f64 v[84:85], v[3:4], v[84:85]
	v_fma_f64 v[88:89], v[88:89], v[126:127], v[92:93]
	v_fma_f64 v[86:87], v[86:87], v[126:127], -v[104:105]
	v_add_f64 v[8:9], v[10:11], v[8:9]
	v_add_f64 v[6:7], v[6:7], v[96:97]
	v_fma_f64 v[3:4], v[3:4], v[82:83], v[90:91]
	v_fma_f64 v[1:2], v[1:2], v[82:83], -v[84:85]
	s_delay_alu instid0(VALU_DEP_4) | instskip(NEXT) | instid1(VALU_DEP_4)
	v_add_f64 v[8:9], v[8:9], v[86:87]
	v_add_f64 v[6:7], v[6:7], v[88:89]
	s_delay_alu instid0(VALU_DEP_2) | instskip(NEXT) | instid1(VALU_DEP_2)
	v_add_f64 v[1:2], v[8:9], v[1:2]
	v_add_f64 v[3:4], v[6:7], v[3:4]
	s_delay_alu instid0(VALU_DEP_2) | instskip(NEXT) | instid1(VALU_DEP_2)
	v_add_f64 v[1:2], v[122:123], -v[1:2]
	v_add_f64 v[3:4], v[124:125], -v[3:4]
	scratch_store_b128 off, v[1:4], off offset:160
	v_cmpx_lt_u32_e32 9, v59
	s_cbranch_execz .LBB22_133
; %bb.132:
	scratch_load_b128 v[1:4], v71, off
	v_mov_b32_e32 v6, 0
	s_delay_alu instid0(VALU_DEP_1)
	v_mov_b32_e32 v7, v6
	v_mov_b32_e32 v8, v6
	;; [unrolled: 1-line block ×3, first 2 shown]
	scratch_store_b128 off, v[6:9], off offset:144
	s_waitcnt vmcnt(0)
	ds_store_b128 v5, v[1:4]
.LBB22_133:
	s_or_b32 exec_lo, exec_lo, s2
	s_waitcnt lgkmcnt(0)
	s_waitcnt_vscnt null, 0x0
	s_barrier
	buffer_gl0_inv
	s_clause 0x7
	scratch_load_b128 v[6:9], off, off offset:160
	scratch_load_b128 v[82:85], off, off offset:176
	;; [unrolled: 1-line block ×8, first 2 shown]
	v_mov_b32_e32 v1, 0
	s_mov_b32 s2, exec_lo
	ds_load_b128 v[110:113], v1 offset:528
	s_clause 0x1
	scratch_load_b128 v[114:117], off, off offset:288
	scratch_load_b128 v[118:121], off, off offset:144
	ds_load_b128 v[122:125], v1 offset:544
	ds_load_b128 v[130:133], v1 offset:576
	s_waitcnt vmcnt(9) lgkmcnt(2)
	v_mul_f64 v[2:3], v[112:113], v[8:9]
	v_mul_f64 v[126:127], v[110:111], v[8:9]
	scratch_load_b128 v[8:11], off, off offset:304
	v_fma_f64 v[2:3], v[110:111], v[6:7], -v[2:3]
	v_fma_f64 v[6:7], v[112:113], v[6:7], v[126:127]
	scratch_load_b128 v[126:129], off, off offset:320
	ds_load_b128 v[110:113], v1 offset:560
	s_waitcnt vmcnt(10) lgkmcnt(2)
	v_mul_f64 v[134:135], v[122:123], v[84:85]
	v_mul_f64 v[84:85], v[124:125], v[84:85]
	s_waitcnt vmcnt(9) lgkmcnt(0)
	v_mul_f64 v[136:137], v[110:111], v[88:89]
	v_mul_f64 v[88:89], v[112:113], v[88:89]
	v_add_f64 v[2:3], v[2:3], 0
	v_add_f64 v[6:7], v[6:7], 0
	v_fma_f64 v[124:125], v[124:125], v[82:83], v[134:135]
	v_fma_f64 v[122:123], v[122:123], v[82:83], -v[84:85]
	scratch_load_b128 v[82:85], off, off offset:336
	v_fma_f64 v[136:137], v[112:113], v[86:87], v[136:137]
	v_fma_f64 v[138:139], v[110:111], v[86:87], -v[88:89]
	scratch_load_b128 v[110:113], off, off offset:352
	ds_load_b128 v[86:89], v1 offset:592
	s_waitcnt vmcnt(10)
	v_mul_f64 v[134:135], v[130:131], v[92:93]
	v_mul_f64 v[92:93], v[132:133], v[92:93]
	v_add_f64 v[6:7], v[6:7], v[124:125]
	v_add_f64 v[2:3], v[2:3], v[122:123]
	ds_load_b128 v[122:125], v1 offset:608
	s_waitcnt vmcnt(9) lgkmcnt(1)
	v_mul_f64 v[140:141], v[86:87], v[96:97]
	v_mul_f64 v[96:97], v[88:89], v[96:97]
	v_fma_f64 v[132:133], v[132:133], v[90:91], v[134:135]
	v_fma_f64 v[90:91], v[130:131], v[90:91], -v[92:93]
	s_waitcnt vmcnt(8) lgkmcnt(0)
	v_mul_f64 v[130:131], v[122:123], v[100:101]
	v_mul_f64 v[100:101], v[124:125], v[100:101]
	v_add_f64 v[6:7], v[6:7], v[136:137]
	v_add_f64 v[2:3], v[2:3], v[138:139]
	v_fma_f64 v[134:135], v[88:89], v[94:95], v[140:141]
	v_fma_f64 v[94:95], v[86:87], v[94:95], -v[96:97]
	v_fma_f64 v[124:125], v[124:125], v[98:99], v[130:131]
	v_fma_f64 v[98:99], v[122:123], v[98:99], -v[100:101]
	v_add_f64 v[6:7], v[6:7], v[132:133]
	v_add_f64 v[2:3], v[2:3], v[90:91]
	ds_load_b128 v[86:89], v1 offset:624
	ds_load_b128 v[90:93], v1 offset:640
	s_waitcnt vmcnt(7) lgkmcnt(1)
	v_mul_f64 v[96:97], v[86:87], v[104:105]
	v_mul_f64 v[104:105], v[88:89], v[104:105]
	s_waitcnt vmcnt(6) lgkmcnt(0)
	v_mul_f64 v[100:101], v[90:91], v[108:109]
	v_mul_f64 v[108:109], v[92:93], v[108:109]
	v_add_f64 v[6:7], v[6:7], v[134:135]
	v_add_f64 v[2:3], v[2:3], v[94:95]
	v_fma_f64 v[122:123], v[88:89], v[102:103], v[96:97]
	v_fma_f64 v[102:103], v[86:87], v[102:103], -v[104:105]
	ds_load_b128 v[86:89], v1 offset:656
	ds_load_b128 v[94:97], v1 offset:672
	v_fma_f64 v[92:93], v[92:93], v[106:107], v[100:101]
	v_fma_f64 v[90:91], v[90:91], v[106:107], -v[108:109]
	v_add_f64 v[6:7], v[6:7], v[124:125]
	v_add_f64 v[2:3], v[2:3], v[98:99]
	s_waitcnt vmcnt(5) lgkmcnt(1)
	v_mul_f64 v[98:99], v[86:87], v[116:117]
	v_mul_f64 v[104:105], v[88:89], v[116:117]
	s_delay_alu instid0(VALU_DEP_4) | instskip(NEXT) | instid1(VALU_DEP_4)
	v_add_f64 v[6:7], v[6:7], v[122:123]
	v_add_f64 v[2:3], v[2:3], v[102:103]
	s_delay_alu instid0(VALU_DEP_4) | instskip(NEXT) | instid1(VALU_DEP_4)
	v_fma_f64 v[98:99], v[88:89], v[114:115], v[98:99]
	v_fma_f64 v[102:103], v[86:87], v[114:115], -v[104:105]
	s_waitcnt vmcnt(3) lgkmcnt(0)
	v_mul_f64 v[100:101], v[94:95], v[10:11]
	v_mul_f64 v[10:11], v[96:97], v[10:11]
	v_add_f64 v[6:7], v[6:7], v[92:93]
	v_add_f64 v[2:3], v[2:3], v[90:91]
	ds_load_b128 v[86:89], v1 offset:688
	ds_load_b128 v[90:93], v1 offset:704
	v_fma_f64 v[96:97], v[96:97], v[8:9], v[100:101]
	v_fma_f64 v[8:9], v[94:95], v[8:9], -v[10:11]
	s_waitcnt vmcnt(2) lgkmcnt(1)
	v_mul_f64 v[104:105], v[86:87], v[128:129]
	v_mul_f64 v[106:107], v[88:89], v[128:129]
	v_add_f64 v[6:7], v[6:7], v[98:99]
	v_add_f64 v[2:3], v[2:3], v[102:103]
	s_waitcnt vmcnt(1) lgkmcnt(0)
	v_mul_f64 v[10:11], v[90:91], v[84:85]
	v_mul_f64 v[84:85], v[92:93], v[84:85]
	v_fma_f64 v[88:89], v[88:89], v[126:127], v[104:105]
	v_fma_f64 v[86:87], v[86:87], v[126:127], -v[106:107]
	v_add_f64 v[94:95], v[6:7], v[96:97]
	v_add_f64 v[2:3], v[2:3], v[8:9]
	ds_load_b128 v[6:9], v1 offset:720
	v_fma_f64 v[10:11], v[92:93], v[82:83], v[10:11]
	v_fma_f64 v[82:83], v[90:91], v[82:83], -v[84:85]
	s_waitcnt vmcnt(0) lgkmcnt(0)
	v_mul_f64 v[96:97], v[6:7], v[112:113]
	v_mul_f64 v[98:99], v[8:9], v[112:113]
	v_add_f64 v[84:85], v[94:95], v[88:89]
	v_add_f64 v[2:3], v[2:3], v[86:87]
	s_delay_alu instid0(VALU_DEP_4) | instskip(NEXT) | instid1(VALU_DEP_4)
	v_fma_f64 v[8:9], v[8:9], v[110:111], v[96:97]
	v_fma_f64 v[6:7], v[6:7], v[110:111], -v[98:99]
	s_delay_alu instid0(VALU_DEP_4) | instskip(NEXT) | instid1(VALU_DEP_4)
	v_add_f64 v[10:11], v[84:85], v[10:11]
	v_add_f64 v[2:3], v[2:3], v[82:83]
	s_delay_alu instid0(VALU_DEP_2) | instskip(NEXT) | instid1(VALU_DEP_2)
	v_add_f64 v[8:9], v[10:11], v[8:9]
	v_add_f64 v[2:3], v[2:3], v[6:7]
	s_delay_alu instid0(VALU_DEP_2) | instskip(NEXT) | instid1(VALU_DEP_2)
	v_add_f64 v[8:9], v[120:121], -v[8:9]
	v_add_f64 v[6:7], v[118:119], -v[2:3]
	scratch_store_b128 off, v[6:9], off offset:144
	v_cmpx_lt_u32_e32 8, v59
	s_cbranch_execz .LBB22_135
; %bb.134:
	scratch_load_b128 v[6:9], v62, off
	v_mov_b32_e32 v2, v1
	v_mov_b32_e32 v3, v1
	;; [unrolled: 1-line block ×3, first 2 shown]
	scratch_store_b128 off, v[1:4], off offset:128
	s_waitcnt vmcnt(0)
	ds_store_b128 v5, v[6:9]
.LBB22_135:
	s_or_b32 exec_lo, exec_lo, s2
	s_waitcnt lgkmcnt(0)
	s_waitcnt_vscnt null, 0x0
	s_barrier
	buffer_gl0_inv
	s_clause 0x8
	scratch_load_b128 v[6:9], off, off offset:144
	scratch_load_b128 v[82:85], off, off offset:160
	;; [unrolled: 1-line block ×9, first 2 shown]
	ds_load_b128 v[114:117], v1 offset:512
	ds_load_b128 v[118:121], v1 offset:528
	scratch_load_b128 v[122:125], off, off offset:128
	s_mov_b32 s2, exec_lo
	ds_load_b128 v[130:133], v1 offset:560
	s_waitcnt vmcnt(9) lgkmcnt(2)
	v_mul_f64 v[2:3], v[116:117], v[8:9]
	v_mul_f64 v[126:127], v[114:115], v[8:9]
	scratch_load_b128 v[8:11], off, off offset:288
	s_waitcnt vmcnt(9) lgkmcnt(1)
	v_mul_f64 v[134:135], v[118:119], v[84:85]
	v_mul_f64 v[84:85], v[120:121], v[84:85]
	v_fma_f64 v[2:3], v[114:115], v[6:7], -v[2:3]
	v_fma_f64 v[6:7], v[116:117], v[6:7], v[126:127]
	ds_load_b128 v[114:117], v1 offset:544
	scratch_load_b128 v[126:129], off, off offset:304
	v_fma_f64 v[120:121], v[120:121], v[82:83], v[134:135]
	v_fma_f64 v[118:119], v[118:119], v[82:83], -v[84:85]
	scratch_load_b128 v[82:85], off, off offset:320
	s_waitcnt vmcnt(9) lgkmcnt(1)
	v_mul_f64 v[134:135], v[130:131], v[92:93]
	v_mul_f64 v[92:93], v[132:133], v[92:93]
	s_waitcnt lgkmcnt(0)
	v_mul_f64 v[136:137], v[114:115], v[88:89]
	v_mul_f64 v[88:89], v[116:117], v[88:89]
	v_add_f64 v[2:3], v[2:3], 0
	v_add_f64 v[6:7], v[6:7], 0
	v_fma_f64 v[132:133], v[132:133], v[90:91], v[134:135]
	v_fma_f64 v[130:131], v[130:131], v[90:91], -v[92:93]
	scratch_load_b128 v[90:93], off, off offset:352
	v_fma_f64 v[136:137], v[116:117], v[86:87], v[136:137]
	v_fma_f64 v[138:139], v[114:115], v[86:87], -v[88:89]
	ds_load_b128 v[86:89], v1 offset:576
	scratch_load_b128 v[114:117], off, off offset:336
	v_add_f64 v[2:3], v[2:3], v[118:119]
	v_add_f64 v[6:7], v[6:7], v[120:121]
	ds_load_b128 v[118:121], v1 offset:592
	s_waitcnt vmcnt(10) lgkmcnt(1)
	v_mul_f64 v[140:141], v[86:87], v[96:97]
	v_mul_f64 v[96:97], v[88:89], v[96:97]
	s_waitcnt vmcnt(9) lgkmcnt(0)
	v_mul_f64 v[134:135], v[118:119], v[100:101]
	v_mul_f64 v[100:101], v[120:121], v[100:101]
	v_add_f64 v[2:3], v[2:3], v[138:139]
	v_add_f64 v[6:7], v[6:7], v[136:137]
	v_fma_f64 v[136:137], v[88:89], v[94:95], v[140:141]
	v_fma_f64 v[138:139], v[86:87], v[94:95], -v[96:97]
	ds_load_b128 v[86:89], v1 offset:608
	ds_load_b128 v[94:97], v1 offset:624
	v_fma_f64 v[120:121], v[120:121], v[98:99], v[134:135]
	v_fma_f64 v[98:99], v[118:119], v[98:99], -v[100:101]
	s_waitcnt vmcnt(7) lgkmcnt(0)
	v_mul_f64 v[118:119], v[94:95], v[108:109]
	v_mul_f64 v[108:109], v[96:97], v[108:109]
	v_add_f64 v[2:3], v[2:3], v[130:131]
	v_add_f64 v[6:7], v[6:7], v[132:133]
	v_mul_f64 v[130:131], v[86:87], v[104:105]
	v_mul_f64 v[104:105], v[88:89], v[104:105]
	v_fma_f64 v[96:97], v[96:97], v[106:107], v[118:119]
	v_fma_f64 v[94:95], v[94:95], v[106:107], -v[108:109]
	v_add_f64 v[2:3], v[2:3], v[138:139]
	v_add_f64 v[6:7], v[6:7], v[136:137]
	v_fma_f64 v[130:131], v[88:89], v[102:103], v[130:131]
	v_fma_f64 v[102:103], v[86:87], v[102:103], -v[104:105]
	s_delay_alu instid0(VALU_DEP_4) | instskip(NEXT) | instid1(VALU_DEP_4)
	v_add_f64 v[2:3], v[2:3], v[98:99]
	v_add_f64 v[6:7], v[6:7], v[120:121]
	ds_load_b128 v[86:89], v1 offset:640
	ds_load_b128 v[98:101], v1 offset:656
	s_waitcnt vmcnt(6) lgkmcnt(1)
	v_mul_f64 v[104:105], v[86:87], v[112:113]
	v_mul_f64 v[112:113], v[88:89], v[112:113]
	v_add_f64 v[2:3], v[2:3], v[102:103]
	v_add_f64 v[6:7], v[6:7], v[130:131]
	s_waitcnt vmcnt(4) lgkmcnt(0)
	v_mul_f64 v[102:103], v[98:99], v[10:11]
	v_mul_f64 v[10:11], v[100:101], v[10:11]
	v_fma_f64 v[104:105], v[88:89], v[110:111], v[104:105]
	v_fma_f64 v[106:107], v[86:87], v[110:111], -v[112:113]
	v_add_f64 v[2:3], v[2:3], v[94:95]
	v_add_f64 v[6:7], v[6:7], v[96:97]
	ds_load_b128 v[86:89], v1 offset:672
	ds_load_b128 v[94:97], v1 offset:688
	v_fma_f64 v[100:101], v[100:101], v[8:9], v[102:103]
	v_fma_f64 v[8:9], v[98:99], v[8:9], -v[10:11]
	s_waitcnt vmcnt(3) lgkmcnt(1)
	v_mul_f64 v[108:109], v[86:87], v[128:129]
	v_mul_f64 v[110:111], v[88:89], v[128:129]
	s_waitcnt vmcnt(2) lgkmcnt(0)
	v_mul_f64 v[10:11], v[94:95], v[84:85]
	v_mul_f64 v[84:85], v[96:97], v[84:85]
	v_add_f64 v[2:3], v[2:3], v[106:107]
	v_add_f64 v[6:7], v[6:7], v[104:105]
	v_fma_f64 v[88:89], v[88:89], v[126:127], v[108:109]
	v_fma_f64 v[86:87], v[86:87], v[126:127], -v[110:111]
	v_fma_f64 v[10:11], v[96:97], v[82:83], v[10:11]
	v_fma_f64 v[82:83], v[94:95], v[82:83], -v[84:85]
	v_add_f64 v[98:99], v[2:3], v[8:9]
	v_add_f64 v[100:101], v[6:7], v[100:101]
	ds_load_b128 v[6:9], v1 offset:704
	ds_load_b128 v[1:4], v1 offset:720
	s_waitcnt vmcnt(0) lgkmcnt(1)
	v_mul_f64 v[102:103], v[6:7], v[116:117]
	v_mul_f64 v[104:105], v[8:9], v[116:117]
	v_add_f64 v[84:85], v[98:99], v[86:87]
	v_add_f64 v[86:87], v[100:101], v[88:89]
	s_waitcnt lgkmcnt(0)
	v_mul_f64 v[88:89], v[1:2], v[92:93]
	v_mul_f64 v[92:93], v[3:4], v[92:93]
	v_fma_f64 v[8:9], v[8:9], v[114:115], v[102:103]
	v_fma_f64 v[6:7], v[6:7], v[114:115], -v[104:105]
	v_add_f64 v[82:83], v[84:85], v[82:83]
	v_add_f64 v[10:11], v[86:87], v[10:11]
	v_fma_f64 v[3:4], v[3:4], v[90:91], v[88:89]
	v_fma_f64 v[1:2], v[1:2], v[90:91], -v[92:93]
	s_delay_alu instid0(VALU_DEP_4) | instskip(NEXT) | instid1(VALU_DEP_4)
	v_add_f64 v[6:7], v[82:83], v[6:7]
	v_add_f64 v[8:9], v[10:11], v[8:9]
	s_delay_alu instid0(VALU_DEP_2) | instskip(NEXT) | instid1(VALU_DEP_2)
	v_add_f64 v[1:2], v[6:7], v[1:2]
	v_add_f64 v[3:4], v[8:9], v[3:4]
	s_delay_alu instid0(VALU_DEP_2) | instskip(NEXT) | instid1(VALU_DEP_2)
	v_add_f64 v[1:2], v[122:123], -v[1:2]
	v_add_f64 v[3:4], v[124:125], -v[3:4]
	scratch_store_b128 off, v[1:4], off offset:128
	v_cmpx_lt_u32_e32 7, v59
	s_cbranch_execz .LBB22_137
; %bb.136:
	scratch_load_b128 v[1:4], v67, off
	v_mov_b32_e32 v6, 0
	s_delay_alu instid0(VALU_DEP_1)
	v_mov_b32_e32 v7, v6
	v_mov_b32_e32 v8, v6
	;; [unrolled: 1-line block ×3, first 2 shown]
	scratch_store_b128 off, v[6:9], off offset:112
	s_waitcnt vmcnt(0)
	ds_store_b128 v5, v[1:4]
.LBB22_137:
	s_or_b32 exec_lo, exec_lo, s2
	s_waitcnt lgkmcnt(0)
	s_waitcnt_vscnt null, 0x0
	s_barrier
	buffer_gl0_inv
	s_clause 0x7
	scratch_load_b128 v[6:9], off, off offset:128
	scratch_load_b128 v[82:85], off, off offset:144
	;; [unrolled: 1-line block ×8, first 2 shown]
	v_mov_b32_e32 v1, 0
	s_mov_b32 s2, exec_lo
	ds_load_b128 v[110:113], v1 offset:496
	s_clause 0x1
	scratch_load_b128 v[114:117], off, off offset:256
	scratch_load_b128 v[118:121], off, off offset:112
	ds_load_b128 v[122:125], v1 offset:512
	ds_load_b128 v[130:133], v1 offset:544
	s_waitcnt vmcnt(9) lgkmcnt(2)
	v_mul_f64 v[2:3], v[112:113], v[8:9]
	v_mul_f64 v[126:127], v[110:111], v[8:9]
	scratch_load_b128 v[8:11], off, off offset:272
	v_fma_f64 v[2:3], v[110:111], v[6:7], -v[2:3]
	v_fma_f64 v[6:7], v[112:113], v[6:7], v[126:127]
	scratch_load_b128 v[126:129], off, off offset:288
	ds_load_b128 v[110:113], v1 offset:528
	s_waitcnt vmcnt(10) lgkmcnt(2)
	v_mul_f64 v[134:135], v[122:123], v[84:85]
	v_mul_f64 v[84:85], v[124:125], v[84:85]
	s_waitcnt vmcnt(9) lgkmcnt(0)
	v_mul_f64 v[136:137], v[110:111], v[88:89]
	v_mul_f64 v[88:89], v[112:113], v[88:89]
	v_add_f64 v[2:3], v[2:3], 0
	v_add_f64 v[6:7], v[6:7], 0
	v_fma_f64 v[124:125], v[124:125], v[82:83], v[134:135]
	v_fma_f64 v[122:123], v[122:123], v[82:83], -v[84:85]
	scratch_load_b128 v[82:85], off, off offset:304
	v_fma_f64 v[136:137], v[112:113], v[86:87], v[136:137]
	v_fma_f64 v[138:139], v[110:111], v[86:87], -v[88:89]
	scratch_load_b128 v[110:113], off, off offset:320
	ds_load_b128 v[86:89], v1 offset:560
	s_waitcnt vmcnt(10)
	v_mul_f64 v[134:135], v[130:131], v[92:93]
	v_mul_f64 v[92:93], v[132:133], v[92:93]
	v_add_f64 v[6:7], v[6:7], v[124:125]
	v_add_f64 v[2:3], v[2:3], v[122:123]
	ds_load_b128 v[122:125], v1 offset:576
	s_waitcnt vmcnt(9) lgkmcnt(1)
	v_mul_f64 v[140:141], v[86:87], v[96:97]
	v_mul_f64 v[96:97], v[88:89], v[96:97]
	v_fma_f64 v[132:133], v[132:133], v[90:91], v[134:135]
	v_fma_f64 v[130:131], v[130:131], v[90:91], -v[92:93]
	scratch_load_b128 v[90:93], off, off offset:336
	v_add_f64 v[6:7], v[6:7], v[136:137]
	v_add_f64 v[2:3], v[2:3], v[138:139]
	v_fma_f64 v[136:137], v[88:89], v[94:95], v[140:141]
	v_fma_f64 v[138:139], v[86:87], v[94:95], -v[96:97]
	scratch_load_b128 v[94:97], off, off offset:352
	ds_load_b128 v[86:89], v1 offset:592
	s_waitcnt vmcnt(10) lgkmcnt(1)
	v_mul_f64 v[134:135], v[122:123], v[100:101]
	v_mul_f64 v[100:101], v[124:125], v[100:101]
	s_waitcnt vmcnt(9) lgkmcnt(0)
	v_mul_f64 v[140:141], v[86:87], v[104:105]
	v_mul_f64 v[104:105], v[88:89], v[104:105]
	v_add_f64 v[6:7], v[6:7], v[132:133]
	v_add_f64 v[2:3], v[2:3], v[130:131]
	ds_load_b128 v[130:133], v1 offset:608
	v_fma_f64 v[124:125], v[124:125], v[98:99], v[134:135]
	v_fma_f64 v[98:99], v[122:123], v[98:99], -v[100:101]
	s_waitcnt vmcnt(8) lgkmcnt(0)
	v_mul_f64 v[122:123], v[130:131], v[108:109]
	v_mul_f64 v[108:109], v[132:133], v[108:109]
	v_fma_f64 v[134:135], v[88:89], v[102:103], v[140:141]
	v_fma_f64 v[102:103], v[86:87], v[102:103], -v[104:105]
	v_add_f64 v[6:7], v[6:7], v[136:137]
	v_add_f64 v[2:3], v[2:3], v[138:139]
	v_fma_f64 v[122:123], v[132:133], v[106:107], v[122:123]
	v_fma_f64 v[106:107], v[130:131], v[106:107], -v[108:109]
	s_delay_alu instid0(VALU_DEP_4) | instskip(NEXT) | instid1(VALU_DEP_4)
	v_add_f64 v[6:7], v[6:7], v[124:125]
	v_add_f64 v[2:3], v[2:3], v[98:99]
	ds_load_b128 v[86:89], v1 offset:624
	ds_load_b128 v[98:101], v1 offset:640
	s_waitcnt vmcnt(7) lgkmcnt(1)
	v_mul_f64 v[104:105], v[86:87], v[116:117]
	v_mul_f64 v[116:117], v[88:89], v[116:117]
	v_add_f64 v[6:7], v[6:7], v[134:135]
	v_add_f64 v[2:3], v[2:3], v[102:103]
	s_waitcnt vmcnt(5) lgkmcnt(0)
	v_mul_f64 v[108:109], v[98:99], v[10:11]
	v_mul_f64 v[10:11], v[100:101], v[10:11]
	v_fma_f64 v[124:125], v[88:89], v[114:115], v[104:105]
	v_fma_f64 v[114:115], v[86:87], v[114:115], -v[116:117]
	ds_load_b128 v[86:89], v1 offset:656
	ds_load_b128 v[102:105], v1 offset:672
	v_add_f64 v[6:7], v[6:7], v[122:123]
	v_add_f64 v[2:3], v[2:3], v[106:107]
	s_waitcnt vmcnt(4) lgkmcnt(1)
	v_mul_f64 v[106:107], v[86:87], v[128:129]
	v_mul_f64 v[116:117], v[88:89], v[128:129]
	v_fma_f64 v[100:101], v[100:101], v[8:9], v[108:109]
	v_fma_f64 v[8:9], v[98:99], v[8:9], -v[10:11]
	v_add_f64 v[6:7], v[6:7], v[124:125]
	v_add_f64 v[2:3], v[2:3], v[114:115]
	v_fma_f64 v[88:89], v[88:89], v[126:127], v[106:107]
	v_fma_f64 v[106:107], v[86:87], v[126:127], -v[116:117]
	s_waitcnt vmcnt(3) lgkmcnt(0)
	v_mul_f64 v[10:11], v[102:103], v[84:85]
	v_mul_f64 v[98:99], v[104:105], v[84:85]
	v_add_f64 v[100:101], v[6:7], v[100:101]
	v_add_f64 v[2:3], v[2:3], v[8:9]
	ds_load_b128 v[6:9], v1 offset:688
	ds_load_b128 v[84:87], v1 offset:704
	v_fma_f64 v[10:11], v[104:105], v[82:83], v[10:11]
	v_fma_f64 v[82:83], v[102:103], v[82:83], -v[98:99]
	s_waitcnt vmcnt(2) lgkmcnt(1)
	v_mul_f64 v[108:109], v[6:7], v[112:113]
	v_mul_f64 v[112:113], v[8:9], v[112:113]
	v_add_f64 v[88:89], v[100:101], v[88:89]
	v_add_f64 v[2:3], v[2:3], v[106:107]
	s_waitcnt vmcnt(1) lgkmcnt(0)
	v_mul_f64 v[98:99], v[84:85], v[92:93]
	v_mul_f64 v[92:93], v[86:87], v[92:93]
	v_fma_f64 v[100:101], v[8:9], v[110:111], v[108:109]
	v_fma_f64 v[102:103], v[6:7], v[110:111], -v[112:113]
	ds_load_b128 v[6:9], v1 offset:720
	v_add_f64 v[10:11], v[88:89], v[10:11]
	v_add_f64 v[2:3], v[2:3], v[82:83]
	v_fma_f64 v[86:87], v[86:87], v[90:91], v[98:99]
	v_fma_f64 v[84:85], v[84:85], v[90:91], -v[92:93]
	s_waitcnt vmcnt(0) lgkmcnt(0)
	v_mul_f64 v[82:83], v[6:7], v[96:97]
	v_mul_f64 v[88:89], v[8:9], v[96:97]
	v_add_f64 v[10:11], v[10:11], v[100:101]
	v_add_f64 v[2:3], v[2:3], v[102:103]
	s_delay_alu instid0(VALU_DEP_4) | instskip(NEXT) | instid1(VALU_DEP_4)
	v_fma_f64 v[8:9], v[8:9], v[94:95], v[82:83]
	v_fma_f64 v[6:7], v[6:7], v[94:95], -v[88:89]
	s_delay_alu instid0(VALU_DEP_4) | instskip(NEXT) | instid1(VALU_DEP_4)
	v_add_f64 v[10:11], v[10:11], v[86:87]
	v_add_f64 v[2:3], v[2:3], v[84:85]
	s_delay_alu instid0(VALU_DEP_2) | instskip(NEXT) | instid1(VALU_DEP_2)
	v_add_f64 v[8:9], v[10:11], v[8:9]
	v_add_f64 v[2:3], v[2:3], v[6:7]
	s_delay_alu instid0(VALU_DEP_2) | instskip(NEXT) | instid1(VALU_DEP_2)
	v_add_f64 v[8:9], v[120:121], -v[8:9]
	v_add_f64 v[6:7], v[118:119], -v[2:3]
	scratch_store_b128 off, v[6:9], off offset:112
	v_cmpx_lt_u32_e32 6, v59
	s_cbranch_execz .LBB22_139
; %bb.138:
	scratch_load_b128 v[6:9], v63, off
	v_mov_b32_e32 v2, v1
	v_mov_b32_e32 v3, v1
	;; [unrolled: 1-line block ×3, first 2 shown]
	scratch_store_b128 off, v[1:4], off offset:96
	s_waitcnt vmcnt(0)
	ds_store_b128 v5, v[6:9]
.LBB22_139:
	s_or_b32 exec_lo, exec_lo, s2
	s_waitcnt lgkmcnt(0)
	s_waitcnt_vscnt null, 0x0
	s_barrier
	buffer_gl0_inv
	s_clause 0x8
	scratch_load_b128 v[6:9], off, off offset:112
	scratch_load_b128 v[82:85], off, off offset:128
	;; [unrolled: 1-line block ×9, first 2 shown]
	ds_load_b128 v[114:117], v1 offset:480
	ds_load_b128 v[118:121], v1 offset:496
	scratch_load_b128 v[122:125], off, off offset:96
	s_mov_b32 s2, exec_lo
	ds_load_b128 v[130:133], v1 offset:528
	s_waitcnt vmcnt(9) lgkmcnt(2)
	v_mul_f64 v[2:3], v[116:117], v[8:9]
	v_mul_f64 v[126:127], v[114:115], v[8:9]
	scratch_load_b128 v[8:11], off, off offset:256
	s_waitcnt vmcnt(9) lgkmcnt(1)
	v_mul_f64 v[134:135], v[118:119], v[84:85]
	v_mul_f64 v[84:85], v[120:121], v[84:85]
	v_fma_f64 v[2:3], v[114:115], v[6:7], -v[2:3]
	v_fma_f64 v[6:7], v[116:117], v[6:7], v[126:127]
	ds_load_b128 v[114:117], v1 offset:512
	scratch_load_b128 v[126:129], off, off offset:272
	v_fma_f64 v[120:121], v[120:121], v[82:83], v[134:135]
	v_fma_f64 v[118:119], v[118:119], v[82:83], -v[84:85]
	scratch_load_b128 v[82:85], off, off offset:288
	s_waitcnt vmcnt(9) lgkmcnt(1)
	v_mul_f64 v[134:135], v[130:131], v[92:93]
	v_mul_f64 v[92:93], v[132:133], v[92:93]
	s_waitcnt lgkmcnt(0)
	v_mul_f64 v[136:137], v[114:115], v[88:89]
	v_mul_f64 v[88:89], v[116:117], v[88:89]
	v_add_f64 v[2:3], v[2:3], 0
	v_add_f64 v[6:7], v[6:7], 0
	v_fma_f64 v[132:133], v[132:133], v[90:91], v[134:135]
	v_fma_f64 v[130:131], v[130:131], v[90:91], -v[92:93]
	scratch_load_b128 v[90:93], off, off offset:320
	v_fma_f64 v[136:137], v[116:117], v[86:87], v[136:137]
	v_fma_f64 v[138:139], v[114:115], v[86:87], -v[88:89]
	ds_load_b128 v[86:89], v1 offset:544
	scratch_load_b128 v[114:117], off, off offset:304
	v_add_f64 v[2:3], v[2:3], v[118:119]
	v_add_f64 v[6:7], v[6:7], v[120:121]
	ds_load_b128 v[118:121], v1 offset:560
	s_waitcnt vmcnt(10) lgkmcnt(1)
	v_mul_f64 v[140:141], v[86:87], v[96:97]
	v_mul_f64 v[96:97], v[88:89], v[96:97]
	s_waitcnt vmcnt(9) lgkmcnt(0)
	v_mul_f64 v[134:135], v[118:119], v[100:101]
	v_mul_f64 v[100:101], v[120:121], v[100:101]
	v_add_f64 v[2:3], v[2:3], v[138:139]
	v_add_f64 v[6:7], v[6:7], v[136:137]
	v_fma_f64 v[136:137], v[88:89], v[94:95], v[140:141]
	v_fma_f64 v[138:139], v[86:87], v[94:95], -v[96:97]
	ds_load_b128 v[86:89], v1 offset:576
	scratch_load_b128 v[94:97], off, off offset:336
	v_fma_f64 v[120:121], v[120:121], v[98:99], v[134:135]
	v_fma_f64 v[118:119], v[118:119], v[98:99], -v[100:101]
	scratch_load_b128 v[98:101], off, off offset:352
	v_add_f64 v[2:3], v[2:3], v[130:131]
	v_add_f64 v[6:7], v[6:7], v[132:133]
	ds_load_b128 v[130:133], v1 offset:592
	s_waitcnt vmcnt(10) lgkmcnt(1)
	v_mul_f64 v[140:141], v[86:87], v[104:105]
	v_mul_f64 v[104:105], v[88:89], v[104:105]
	s_waitcnt vmcnt(9) lgkmcnt(0)
	v_mul_f64 v[134:135], v[130:131], v[108:109]
	v_mul_f64 v[108:109], v[132:133], v[108:109]
	v_add_f64 v[2:3], v[2:3], v[138:139]
	v_add_f64 v[6:7], v[6:7], v[136:137]
	v_fma_f64 v[136:137], v[88:89], v[102:103], v[140:141]
	v_fma_f64 v[138:139], v[86:87], v[102:103], -v[104:105]
	ds_load_b128 v[86:89], v1 offset:608
	ds_load_b128 v[102:105], v1 offset:624
	v_add_f64 v[2:3], v[2:3], v[118:119]
	v_add_f64 v[6:7], v[6:7], v[120:121]
	s_waitcnt vmcnt(8) lgkmcnt(1)
	v_mul_f64 v[118:119], v[86:87], v[112:113]
	v_mul_f64 v[112:113], v[88:89], v[112:113]
	v_fma_f64 v[120:121], v[132:133], v[106:107], v[134:135]
	v_fma_f64 v[106:107], v[130:131], v[106:107], -v[108:109]
	v_add_f64 v[2:3], v[2:3], v[138:139]
	v_add_f64 v[6:7], v[6:7], v[136:137]
	v_fma_f64 v[118:119], v[88:89], v[110:111], v[118:119]
	v_fma_f64 v[110:111], v[86:87], v[110:111], -v[112:113]
	s_waitcnt vmcnt(6) lgkmcnt(0)
	v_mul_f64 v[130:131], v[102:103], v[10:11]
	v_mul_f64 v[10:11], v[104:105], v[10:11]
	v_add_f64 v[2:3], v[2:3], v[106:107]
	v_add_f64 v[6:7], v[6:7], v[120:121]
	ds_load_b128 v[86:89], v1 offset:640
	ds_load_b128 v[106:109], v1 offset:656
	v_fma_f64 v[104:105], v[104:105], v[8:9], v[130:131]
	v_fma_f64 v[8:9], v[102:103], v[8:9], -v[10:11]
	s_waitcnt vmcnt(5) lgkmcnt(1)
	v_mul_f64 v[112:113], v[86:87], v[128:129]
	v_mul_f64 v[120:121], v[88:89], v[128:129]
	s_waitcnt vmcnt(4) lgkmcnt(0)
	v_mul_f64 v[10:11], v[106:107], v[84:85]
	v_mul_f64 v[102:103], v[108:109], v[84:85]
	v_add_f64 v[2:3], v[2:3], v[110:111]
	v_add_f64 v[6:7], v[6:7], v[118:119]
	v_fma_f64 v[88:89], v[88:89], v[126:127], v[112:113]
	v_fma_f64 v[110:111], v[86:87], v[126:127], -v[120:121]
	v_fma_f64 v[10:11], v[108:109], v[82:83], v[10:11]
	v_fma_f64 v[82:83], v[106:107], v[82:83], -v[102:103]
	v_add_f64 v[2:3], v[2:3], v[8:9]
	v_add_f64 v[104:105], v[6:7], v[104:105]
	ds_load_b128 v[6:9], v1 offset:672
	ds_load_b128 v[84:87], v1 offset:688
	s_waitcnt vmcnt(2) lgkmcnt(1)
	v_mul_f64 v[112:113], v[6:7], v[116:117]
	v_mul_f64 v[116:117], v[8:9], v[116:117]
	s_waitcnt lgkmcnt(0)
	v_mul_f64 v[102:103], v[84:85], v[92:93]
	v_mul_f64 v[92:93], v[86:87], v[92:93]
	v_add_f64 v[2:3], v[2:3], v[110:111]
	v_add_f64 v[88:89], v[104:105], v[88:89]
	v_fma_f64 v[104:105], v[8:9], v[114:115], v[112:113]
	v_fma_f64 v[106:107], v[6:7], v[114:115], -v[116:117]
	v_fma_f64 v[86:87], v[86:87], v[90:91], v[102:103]
	v_fma_f64 v[84:85], v[84:85], v[90:91], -v[92:93]
	v_add_f64 v[82:83], v[2:3], v[82:83]
	v_add_f64 v[10:11], v[88:89], v[10:11]
	ds_load_b128 v[6:9], v1 offset:704
	ds_load_b128 v[1:4], v1 offset:720
	s_waitcnt vmcnt(1) lgkmcnt(1)
	v_mul_f64 v[88:89], v[6:7], v[96:97]
	v_mul_f64 v[96:97], v[8:9], v[96:97]
	s_waitcnt vmcnt(0) lgkmcnt(0)
	v_mul_f64 v[90:91], v[1:2], v[100:101]
	v_mul_f64 v[92:93], v[3:4], v[100:101]
	v_add_f64 v[82:83], v[82:83], v[106:107]
	v_add_f64 v[10:11], v[10:11], v[104:105]
	v_fma_f64 v[8:9], v[8:9], v[94:95], v[88:89]
	v_fma_f64 v[6:7], v[6:7], v[94:95], -v[96:97]
	v_fma_f64 v[3:4], v[3:4], v[98:99], v[90:91]
	v_fma_f64 v[1:2], v[1:2], v[98:99], -v[92:93]
	v_add_f64 v[82:83], v[82:83], v[84:85]
	v_add_f64 v[10:11], v[10:11], v[86:87]
	s_delay_alu instid0(VALU_DEP_2) | instskip(NEXT) | instid1(VALU_DEP_2)
	v_add_f64 v[6:7], v[82:83], v[6:7]
	v_add_f64 v[8:9], v[10:11], v[8:9]
	s_delay_alu instid0(VALU_DEP_2) | instskip(NEXT) | instid1(VALU_DEP_2)
	;; [unrolled: 3-line block ×3, first 2 shown]
	v_add_f64 v[1:2], v[122:123], -v[1:2]
	v_add_f64 v[3:4], v[124:125], -v[3:4]
	scratch_store_b128 off, v[1:4], off offset:96
	v_cmpx_lt_u32_e32 5, v59
	s_cbranch_execz .LBB22_141
; %bb.140:
	scratch_load_b128 v[1:4], v68, off
	v_mov_b32_e32 v6, 0
	s_delay_alu instid0(VALU_DEP_1)
	v_mov_b32_e32 v7, v6
	v_mov_b32_e32 v8, v6
	;; [unrolled: 1-line block ×3, first 2 shown]
	scratch_store_b128 off, v[6:9], off offset:80
	s_waitcnt vmcnt(0)
	ds_store_b128 v5, v[1:4]
.LBB22_141:
	s_or_b32 exec_lo, exec_lo, s2
	s_waitcnt lgkmcnt(0)
	s_waitcnt_vscnt null, 0x0
	s_barrier
	buffer_gl0_inv
	s_clause 0x7
	scratch_load_b128 v[6:9], off, off offset:96
	scratch_load_b128 v[82:85], off, off offset:112
	;; [unrolled: 1-line block ×8, first 2 shown]
	v_mov_b32_e32 v1, 0
	s_mov_b32 s2, exec_lo
	ds_load_b128 v[110:113], v1 offset:464
	s_clause 0x1
	scratch_load_b128 v[114:117], off, off offset:224
	scratch_load_b128 v[118:121], off, off offset:80
	ds_load_b128 v[122:125], v1 offset:480
	ds_load_b128 v[130:133], v1 offset:512
	s_waitcnt vmcnt(9) lgkmcnt(2)
	v_mul_f64 v[2:3], v[112:113], v[8:9]
	v_mul_f64 v[126:127], v[110:111], v[8:9]
	scratch_load_b128 v[8:11], off, off offset:240
	v_fma_f64 v[2:3], v[110:111], v[6:7], -v[2:3]
	v_fma_f64 v[6:7], v[112:113], v[6:7], v[126:127]
	scratch_load_b128 v[126:129], off, off offset:256
	ds_load_b128 v[110:113], v1 offset:496
	s_waitcnt vmcnt(10) lgkmcnt(2)
	v_mul_f64 v[134:135], v[122:123], v[84:85]
	v_mul_f64 v[84:85], v[124:125], v[84:85]
	s_waitcnt vmcnt(9) lgkmcnt(0)
	v_mul_f64 v[136:137], v[110:111], v[88:89]
	v_mul_f64 v[88:89], v[112:113], v[88:89]
	v_add_f64 v[2:3], v[2:3], 0
	v_add_f64 v[6:7], v[6:7], 0
	v_fma_f64 v[124:125], v[124:125], v[82:83], v[134:135]
	v_fma_f64 v[122:123], v[122:123], v[82:83], -v[84:85]
	scratch_load_b128 v[82:85], off, off offset:272
	v_fma_f64 v[136:137], v[112:113], v[86:87], v[136:137]
	v_fma_f64 v[138:139], v[110:111], v[86:87], -v[88:89]
	scratch_load_b128 v[110:113], off, off offset:288
	ds_load_b128 v[86:89], v1 offset:528
	s_waitcnt vmcnt(10)
	v_mul_f64 v[134:135], v[130:131], v[92:93]
	v_mul_f64 v[92:93], v[132:133], v[92:93]
	v_add_f64 v[6:7], v[6:7], v[124:125]
	v_add_f64 v[2:3], v[2:3], v[122:123]
	ds_load_b128 v[122:125], v1 offset:544
	s_waitcnt vmcnt(9) lgkmcnt(1)
	v_mul_f64 v[140:141], v[86:87], v[96:97]
	v_mul_f64 v[96:97], v[88:89], v[96:97]
	v_fma_f64 v[132:133], v[132:133], v[90:91], v[134:135]
	v_fma_f64 v[130:131], v[130:131], v[90:91], -v[92:93]
	scratch_load_b128 v[90:93], off, off offset:304
	v_add_f64 v[6:7], v[6:7], v[136:137]
	v_add_f64 v[2:3], v[2:3], v[138:139]
	v_fma_f64 v[136:137], v[88:89], v[94:95], v[140:141]
	v_fma_f64 v[138:139], v[86:87], v[94:95], -v[96:97]
	scratch_load_b128 v[94:97], off, off offset:320
	ds_load_b128 v[86:89], v1 offset:560
	s_waitcnt vmcnt(10) lgkmcnt(1)
	v_mul_f64 v[134:135], v[122:123], v[100:101]
	v_mul_f64 v[100:101], v[124:125], v[100:101]
	s_waitcnt vmcnt(9) lgkmcnt(0)
	v_mul_f64 v[140:141], v[86:87], v[104:105]
	v_mul_f64 v[104:105], v[88:89], v[104:105]
	v_add_f64 v[6:7], v[6:7], v[132:133]
	v_add_f64 v[2:3], v[2:3], v[130:131]
	ds_load_b128 v[130:133], v1 offset:576
	v_fma_f64 v[124:125], v[124:125], v[98:99], v[134:135]
	v_fma_f64 v[122:123], v[122:123], v[98:99], -v[100:101]
	scratch_load_b128 v[98:101], off, off offset:336
	v_add_f64 v[6:7], v[6:7], v[136:137]
	v_add_f64 v[2:3], v[2:3], v[138:139]
	v_fma_f64 v[136:137], v[88:89], v[102:103], v[140:141]
	v_fma_f64 v[138:139], v[86:87], v[102:103], -v[104:105]
	scratch_load_b128 v[102:105], off, off offset:352
	ds_load_b128 v[86:89], v1 offset:592
	s_waitcnt vmcnt(10) lgkmcnt(1)
	v_mul_f64 v[134:135], v[130:131], v[108:109]
	v_mul_f64 v[108:109], v[132:133], v[108:109]
	s_waitcnt vmcnt(9) lgkmcnt(0)
	v_mul_f64 v[140:141], v[86:87], v[116:117]
	v_mul_f64 v[116:117], v[88:89], v[116:117]
	v_add_f64 v[6:7], v[6:7], v[124:125]
	v_add_f64 v[2:3], v[2:3], v[122:123]
	ds_load_b128 v[122:125], v1 offset:608
	v_fma_f64 v[132:133], v[132:133], v[106:107], v[134:135]
	v_fma_f64 v[106:107], v[130:131], v[106:107], -v[108:109]
	v_fma_f64 v[134:135], v[88:89], v[114:115], v[140:141]
	v_fma_f64 v[114:115], v[86:87], v[114:115], -v[116:117]
	v_add_f64 v[6:7], v[6:7], v[136:137]
	v_add_f64 v[2:3], v[2:3], v[138:139]
	s_waitcnt vmcnt(7) lgkmcnt(0)
	v_mul_f64 v[130:131], v[122:123], v[10:11]
	v_mul_f64 v[10:11], v[124:125], v[10:11]
	s_delay_alu instid0(VALU_DEP_4) | instskip(NEXT) | instid1(VALU_DEP_4)
	v_add_f64 v[6:7], v[6:7], v[132:133]
	v_add_f64 v[2:3], v[2:3], v[106:107]
	ds_load_b128 v[86:89], v1 offset:624
	ds_load_b128 v[106:109], v1 offset:640
	v_fma_f64 v[124:125], v[124:125], v[8:9], v[130:131]
	v_fma_f64 v[8:9], v[122:123], v[8:9], -v[10:11]
	s_waitcnt vmcnt(6) lgkmcnt(1)
	v_mul_f64 v[116:117], v[86:87], v[128:129]
	v_mul_f64 v[128:129], v[88:89], v[128:129]
	v_add_f64 v[6:7], v[6:7], v[134:135]
	v_add_f64 v[2:3], v[2:3], v[114:115]
	s_waitcnt vmcnt(5) lgkmcnt(0)
	v_mul_f64 v[10:11], v[106:107], v[84:85]
	v_mul_f64 v[114:115], v[108:109], v[84:85]
	v_fma_f64 v[88:89], v[88:89], v[126:127], v[116:117]
	v_fma_f64 v[116:117], v[86:87], v[126:127], -v[128:129]
	v_add_f64 v[122:123], v[6:7], v[124:125]
	v_add_f64 v[2:3], v[2:3], v[8:9]
	ds_load_b128 v[6:9], v1 offset:656
	ds_load_b128 v[84:87], v1 offset:672
	v_fma_f64 v[10:11], v[108:109], v[82:83], v[10:11]
	v_fma_f64 v[82:83], v[106:107], v[82:83], -v[114:115]
	s_waitcnt vmcnt(4) lgkmcnt(1)
	v_mul_f64 v[124:125], v[6:7], v[112:113]
	v_mul_f64 v[112:113], v[8:9], v[112:113]
	v_add_f64 v[88:89], v[122:123], v[88:89]
	v_add_f64 v[2:3], v[2:3], v[116:117]
	s_waitcnt vmcnt(3) lgkmcnt(0)
	v_mul_f64 v[114:115], v[84:85], v[92:93]
	v_mul_f64 v[92:93], v[86:87], v[92:93]
	v_fma_f64 v[116:117], v[8:9], v[110:111], v[124:125]
	v_fma_f64 v[110:111], v[6:7], v[110:111], -v[112:113]
	ds_load_b128 v[6:9], v1 offset:688
	ds_load_b128 v[106:109], v1 offset:704
	v_add_f64 v[10:11], v[88:89], v[10:11]
	v_add_f64 v[2:3], v[2:3], v[82:83]
	v_fma_f64 v[86:87], v[86:87], v[90:91], v[114:115]
	s_waitcnt vmcnt(2) lgkmcnt(1)
	v_mul_f64 v[82:83], v[6:7], v[96:97]
	v_mul_f64 v[88:89], v[8:9], v[96:97]
	v_fma_f64 v[84:85], v[84:85], v[90:91], -v[92:93]
	s_waitcnt vmcnt(1) lgkmcnt(0)
	v_mul_f64 v[90:91], v[106:107], v[100:101]
	v_mul_f64 v[92:93], v[108:109], v[100:101]
	v_add_f64 v[10:11], v[10:11], v[116:117]
	v_add_f64 v[2:3], v[2:3], v[110:111]
	v_fma_f64 v[82:83], v[8:9], v[94:95], v[82:83]
	v_fma_f64 v[88:89], v[6:7], v[94:95], -v[88:89]
	ds_load_b128 v[6:9], v1 offset:720
	v_fma_f64 v[90:91], v[108:109], v[98:99], v[90:91]
	v_fma_f64 v[92:93], v[106:107], v[98:99], -v[92:93]
	v_add_f64 v[10:11], v[10:11], v[86:87]
	v_add_f64 v[2:3], v[2:3], v[84:85]
	s_waitcnt vmcnt(0) lgkmcnt(0)
	v_mul_f64 v[84:85], v[6:7], v[104:105]
	v_mul_f64 v[86:87], v[8:9], v[104:105]
	s_delay_alu instid0(VALU_DEP_4) | instskip(NEXT) | instid1(VALU_DEP_4)
	v_add_f64 v[10:11], v[10:11], v[82:83]
	v_add_f64 v[2:3], v[2:3], v[88:89]
	s_delay_alu instid0(VALU_DEP_4) | instskip(NEXT) | instid1(VALU_DEP_4)
	v_fma_f64 v[8:9], v[8:9], v[102:103], v[84:85]
	v_fma_f64 v[6:7], v[6:7], v[102:103], -v[86:87]
	s_delay_alu instid0(VALU_DEP_4) | instskip(NEXT) | instid1(VALU_DEP_4)
	v_add_f64 v[10:11], v[10:11], v[90:91]
	v_add_f64 v[2:3], v[2:3], v[92:93]
	s_delay_alu instid0(VALU_DEP_2) | instskip(NEXT) | instid1(VALU_DEP_2)
	v_add_f64 v[8:9], v[10:11], v[8:9]
	v_add_f64 v[2:3], v[2:3], v[6:7]
	s_delay_alu instid0(VALU_DEP_2) | instskip(NEXT) | instid1(VALU_DEP_2)
	v_add_f64 v[8:9], v[120:121], -v[8:9]
	v_add_f64 v[6:7], v[118:119], -v[2:3]
	scratch_store_b128 off, v[6:9], off offset:80
	v_cmpx_lt_u32_e32 4, v59
	s_cbranch_execz .LBB22_143
; %bb.142:
	scratch_load_b128 v[6:9], v60, off
	v_mov_b32_e32 v2, v1
	v_mov_b32_e32 v3, v1
	;; [unrolled: 1-line block ×3, first 2 shown]
	scratch_store_b128 off, v[1:4], off offset:64
	s_waitcnt vmcnt(0)
	ds_store_b128 v5, v[6:9]
.LBB22_143:
	s_or_b32 exec_lo, exec_lo, s2
	s_waitcnt lgkmcnt(0)
	s_waitcnt_vscnt null, 0x0
	s_barrier
	buffer_gl0_inv
	s_clause 0x8
	scratch_load_b128 v[6:9], off, off offset:80
	scratch_load_b128 v[82:85], off, off offset:96
	;; [unrolled: 1-line block ×9, first 2 shown]
	ds_load_b128 v[114:117], v1 offset:448
	ds_load_b128 v[118:121], v1 offset:464
	scratch_load_b128 v[122:125], off, off offset:64
	s_mov_b32 s2, exec_lo
	ds_load_b128 v[130:133], v1 offset:496
	s_waitcnt vmcnt(9) lgkmcnt(2)
	v_mul_f64 v[2:3], v[116:117], v[8:9]
	v_mul_f64 v[126:127], v[114:115], v[8:9]
	scratch_load_b128 v[8:11], off, off offset:224
	s_waitcnt vmcnt(9) lgkmcnt(1)
	v_mul_f64 v[134:135], v[118:119], v[84:85]
	v_mul_f64 v[84:85], v[120:121], v[84:85]
	v_fma_f64 v[2:3], v[114:115], v[6:7], -v[2:3]
	v_fma_f64 v[6:7], v[116:117], v[6:7], v[126:127]
	ds_load_b128 v[114:117], v1 offset:480
	scratch_load_b128 v[126:129], off, off offset:240
	v_fma_f64 v[120:121], v[120:121], v[82:83], v[134:135]
	v_fma_f64 v[118:119], v[118:119], v[82:83], -v[84:85]
	scratch_load_b128 v[82:85], off, off offset:256
	s_waitcnt vmcnt(9) lgkmcnt(1)
	v_mul_f64 v[134:135], v[130:131], v[92:93]
	v_mul_f64 v[92:93], v[132:133], v[92:93]
	s_waitcnt lgkmcnt(0)
	v_mul_f64 v[136:137], v[114:115], v[88:89]
	v_mul_f64 v[88:89], v[116:117], v[88:89]
	v_add_f64 v[2:3], v[2:3], 0
	v_add_f64 v[6:7], v[6:7], 0
	v_fma_f64 v[132:133], v[132:133], v[90:91], v[134:135]
	v_fma_f64 v[130:131], v[130:131], v[90:91], -v[92:93]
	scratch_load_b128 v[90:93], off, off offset:288
	v_fma_f64 v[136:137], v[116:117], v[86:87], v[136:137]
	v_fma_f64 v[138:139], v[114:115], v[86:87], -v[88:89]
	ds_load_b128 v[86:89], v1 offset:512
	scratch_load_b128 v[114:117], off, off offset:272
	v_add_f64 v[2:3], v[2:3], v[118:119]
	v_add_f64 v[6:7], v[6:7], v[120:121]
	ds_load_b128 v[118:121], v1 offset:528
	s_waitcnt vmcnt(10) lgkmcnt(1)
	v_mul_f64 v[140:141], v[86:87], v[96:97]
	v_mul_f64 v[96:97], v[88:89], v[96:97]
	s_waitcnt vmcnt(9) lgkmcnt(0)
	v_mul_f64 v[134:135], v[118:119], v[100:101]
	v_mul_f64 v[100:101], v[120:121], v[100:101]
	v_add_f64 v[2:3], v[2:3], v[138:139]
	v_add_f64 v[6:7], v[6:7], v[136:137]
	v_fma_f64 v[136:137], v[88:89], v[94:95], v[140:141]
	v_fma_f64 v[138:139], v[86:87], v[94:95], -v[96:97]
	ds_load_b128 v[86:89], v1 offset:544
	scratch_load_b128 v[94:97], off, off offset:304
	v_fma_f64 v[120:121], v[120:121], v[98:99], v[134:135]
	v_fma_f64 v[118:119], v[118:119], v[98:99], -v[100:101]
	scratch_load_b128 v[98:101], off, off offset:320
	v_add_f64 v[2:3], v[2:3], v[130:131]
	v_add_f64 v[6:7], v[6:7], v[132:133]
	ds_load_b128 v[130:133], v1 offset:560
	s_waitcnt vmcnt(10) lgkmcnt(1)
	v_mul_f64 v[140:141], v[86:87], v[104:105]
	v_mul_f64 v[104:105], v[88:89], v[104:105]
	s_waitcnt vmcnt(9) lgkmcnt(0)
	v_mul_f64 v[134:135], v[130:131], v[108:109]
	v_mul_f64 v[108:109], v[132:133], v[108:109]
	v_add_f64 v[2:3], v[2:3], v[138:139]
	v_add_f64 v[6:7], v[6:7], v[136:137]
	v_fma_f64 v[136:137], v[88:89], v[102:103], v[140:141]
	v_fma_f64 v[138:139], v[86:87], v[102:103], -v[104:105]
	ds_load_b128 v[86:89], v1 offset:576
	scratch_load_b128 v[102:105], off, off offset:336
	v_fma_f64 v[132:133], v[132:133], v[106:107], v[134:135]
	v_fma_f64 v[130:131], v[130:131], v[106:107], -v[108:109]
	scratch_load_b128 v[106:109], off, off offset:352
	v_add_f64 v[2:3], v[2:3], v[118:119]
	v_add_f64 v[6:7], v[6:7], v[120:121]
	ds_load_b128 v[118:121], v1 offset:592
	s_waitcnt vmcnt(10) lgkmcnt(1)
	v_mul_f64 v[140:141], v[86:87], v[112:113]
	v_mul_f64 v[112:113], v[88:89], v[112:113]
	v_add_f64 v[2:3], v[2:3], v[138:139]
	v_add_f64 v[6:7], v[6:7], v[136:137]
	s_delay_alu instid0(VALU_DEP_4) | instskip(NEXT) | instid1(VALU_DEP_4)
	v_fma_f64 v[136:137], v[88:89], v[110:111], v[140:141]
	v_fma_f64 v[138:139], v[86:87], v[110:111], -v[112:113]
	ds_load_b128 v[86:89], v1 offset:608
	ds_load_b128 v[110:113], v1 offset:624
	s_waitcnt vmcnt(8) lgkmcnt(2)
	v_mul_f64 v[134:135], v[118:119], v[10:11]
	v_mul_f64 v[10:11], v[120:121], v[10:11]
	v_add_f64 v[2:3], v[2:3], v[130:131]
	v_add_f64 v[6:7], v[6:7], v[132:133]
	s_delay_alu instid0(VALU_DEP_4)
	v_fma_f64 v[120:121], v[120:121], v[8:9], v[134:135]
	s_waitcnt vmcnt(7) lgkmcnt(1)
	v_mul_f64 v[130:131], v[86:87], v[128:129]
	v_mul_f64 v[128:129], v[88:89], v[128:129]
	v_fma_f64 v[8:9], v[118:119], v[8:9], -v[10:11]
	s_waitcnt vmcnt(6) lgkmcnt(0)
	v_mul_f64 v[10:11], v[110:111], v[84:85]
	v_mul_f64 v[118:119], v[112:113], v[84:85]
	v_add_f64 v[2:3], v[2:3], v[138:139]
	v_add_f64 v[6:7], v[6:7], v[136:137]
	v_fma_f64 v[88:89], v[88:89], v[126:127], v[130:131]
	v_fma_f64 v[126:127], v[86:87], v[126:127], -v[128:129]
	v_fma_f64 v[10:11], v[112:113], v[82:83], v[10:11]
	v_fma_f64 v[82:83], v[110:111], v[82:83], -v[118:119]
	v_add_f64 v[2:3], v[2:3], v[8:9]
	v_add_f64 v[120:121], v[6:7], v[120:121]
	ds_load_b128 v[6:9], v1 offset:640
	ds_load_b128 v[84:87], v1 offset:656
	s_waitcnt vmcnt(4) lgkmcnt(1)
	v_mul_f64 v[128:129], v[6:7], v[116:117]
	v_mul_f64 v[116:117], v[8:9], v[116:117]
	s_waitcnt lgkmcnt(0)
	v_mul_f64 v[118:119], v[84:85], v[92:93]
	v_mul_f64 v[92:93], v[86:87], v[92:93]
	v_add_f64 v[2:3], v[2:3], v[126:127]
	v_add_f64 v[88:89], v[120:121], v[88:89]
	v_fma_f64 v[120:121], v[8:9], v[114:115], v[128:129]
	v_fma_f64 v[114:115], v[6:7], v[114:115], -v[116:117]
	ds_load_b128 v[6:9], v1 offset:672
	ds_load_b128 v[110:113], v1 offset:688
	v_fma_f64 v[86:87], v[86:87], v[90:91], v[118:119]
	v_fma_f64 v[84:85], v[84:85], v[90:91], -v[92:93]
	v_add_f64 v[2:3], v[2:3], v[82:83]
	v_add_f64 v[10:11], v[88:89], v[10:11]
	s_waitcnt vmcnt(3) lgkmcnt(1)
	v_mul_f64 v[82:83], v[6:7], v[96:97]
	v_mul_f64 v[88:89], v[8:9], v[96:97]
	s_waitcnt vmcnt(2) lgkmcnt(0)
	v_mul_f64 v[90:91], v[110:111], v[100:101]
	v_mul_f64 v[92:93], v[112:113], v[100:101]
	v_add_f64 v[2:3], v[2:3], v[114:115]
	v_add_f64 v[10:11], v[10:11], v[120:121]
	v_fma_f64 v[82:83], v[8:9], v[94:95], v[82:83]
	v_fma_f64 v[88:89], v[6:7], v[94:95], -v[88:89]
	v_fma_f64 v[90:91], v[112:113], v[98:99], v[90:91]
	v_fma_f64 v[92:93], v[110:111], v[98:99], -v[92:93]
	v_add_f64 v[84:85], v[2:3], v[84:85]
	v_add_f64 v[10:11], v[10:11], v[86:87]
	ds_load_b128 v[6:9], v1 offset:704
	ds_load_b128 v[1:4], v1 offset:720
	s_waitcnt vmcnt(1) lgkmcnt(1)
	v_mul_f64 v[86:87], v[6:7], v[104:105]
	v_mul_f64 v[94:95], v[8:9], v[104:105]
	v_add_f64 v[84:85], v[84:85], v[88:89]
	v_add_f64 v[10:11], v[10:11], v[82:83]
	s_waitcnt vmcnt(0) lgkmcnt(0)
	v_mul_f64 v[82:83], v[1:2], v[108:109]
	v_mul_f64 v[88:89], v[3:4], v[108:109]
	v_fma_f64 v[8:9], v[8:9], v[102:103], v[86:87]
	v_fma_f64 v[6:7], v[6:7], v[102:103], -v[94:95]
	v_add_f64 v[84:85], v[84:85], v[92:93]
	v_add_f64 v[10:11], v[10:11], v[90:91]
	v_fma_f64 v[3:4], v[3:4], v[106:107], v[82:83]
	v_fma_f64 v[1:2], v[1:2], v[106:107], -v[88:89]
	s_delay_alu instid0(VALU_DEP_4) | instskip(NEXT) | instid1(VALU_DEP_4)
	v_add_f64 v[6:7], v[84:85], v[6:7]
	v_add_f64 v[8:9], v[10:11], v[8:9]
	s_delay_alu instid0(VALU_DEP_2) | instskip(NEXT) | instid1(VALU_DEP_2)
	v_add_f64 v[1:2], v[6:7], v[1:2]
	v_add_f64 v[3:4], v[8:9], v[3:4]
	s_delay_alu instid0(VALU_DEP_2) | instskip(NEXT) | instid1(VALU_DEP_2)
	v_add_f64 v[1:2], v[122:123], -v[1:2]
	v_add_f64 v[3:4], v[124:125], -v[3:4]
	scratch_store_b128 off, v[1:4], off offset:64
	v_cmpx_lt_u32_e32 3, v59
	s_cbranch_execz .LBB22_145
; %bb.144:
	scratch_load_b128 v[1:4], v61, off
	v_mov_b32_e32 v6, 0
	s_delay_alu instid0(VALU_DEP_1)
	v_mov_b32_e32 v7, v6
	v_mov_b32_e32 v8, v6
	;; [unrolled: 1-line block ×3, first 2 shown]
	scratch_store_b128 off, v[6:9], off offset:48
	s_waitcnt vmcnt(0)
	ds_store_b128 v5, v[1:4]
.LBB22_145:
	s_or_b32 exec_lo, exec_lo, s2
	s_waitcnt lgkmcnt(0)
	s_waitcnt_vscnt null, 0x0
	s_barrier
	buffer_gl0_inv
	s_clause 0x7
	scratch_load_b128 v[6:9], off, off offset:64
	scratch_load_b128 v[82:85], off, off offset:80
	;; [unrolled: 1-line block ×8, first 2 shown]
	v_mov_b32_e32 v1, 0
	s_mov_b32 s2, exec_lo
	ds_load_b128 v[110:113], v1 offset:432
	s_clause 0x1
	scratch_load_b128 v[114:117], off, off offset:192
	scratch_load_b128 v[118:121], off, off offset:48
	ds_load_b128 v[122:125], v1 offset:448
	ds_load_b128 v[130:133], v1 offset:480
	s_waitcnt vmcnt(9) lgkmcnt(2)
	v_mul_f64 v[2:3], v[112:113], v[8:9]
	v_mul_f64 v[126:127], v[110:111], v[8:9]
	scratch_load_b128 v[8:11], off, off offset:208
	v_fma_f64 v[2:3], v[110:111], v[6:7], -v[2:3]
	v_fma_f64 v[6:7], v[112:113], v[6:7], v[126:127]
	scratch_load_b128 v[126:129], off, off offset:224
	ds_load_b128 v[110:113], v1 offset:464
	s_waitcnt vmcnt(10) lgkmcnt(2)
	v_mul_f64 v[134:135], v[122:123], v[84:85]
	v_mul_f64 v[84:85], v[124:125], v[84:85]
	s_waitcnt vmcnt(9) lgkmcnt(0)
	v_mul_f64 v[136:137], v[110:111], v[88:89]
	v_mul_f64 v[88:89], v[112:113], v[88:89]
	v_add_f64 v[2:3], v[2:3], 0
	v_add_f64 v[6:7], v[6:7], 0
	v_fma_f64 v[124:125], v[124:125], v[82:83], v[134:135]
	v_fma_f64 v[122:123], v[122:123], v[82:83], -v[84:85]
	scratch_load_b128 v[82:85], off, off offset:240
	v_fma_f64 v[136:137], v[112:113], v[86:87], v[136:137]
	v_fma_f64 v[138:139], v[110:111], v[86:87], -v[88:89]
	scratch_load_b128 v[110:113], off, off offset:256
	ds_load_b128 v[86:89], v1 offset:496
	s_waitcnt vmcnt(10)
	v_mul_f64 v[134:135], v[130:131], v[92:93]
	v_mul_f64 v[92:93], v[132:133], v[92:93]
	v_add_f64 v[6:7], v[6:7], v[124:125]
	v_add_f64 v[2:3], v[2:3], v[122:123]
	ds_load_b128 v[122:125], v1 offset:512
	s_waitcnt vmcnt(9) lgkmcnt(1)
	v_mul_f64 v[140:141], v[86:87], v[96:97]
	v_mul_f64 v[96:97], v[88:89], v[96:97]
	v_fma_f64 v[132:133], v[132:133], v[90:91], v[134:135]
	v_fma_f64 v[130:131], v[130:131], v[90:91], -v[92:93]
	scratch_load_b128 v[90:93], off, off offset:272
	v_add_f64 v[6:7], v[6:7], v[136:137]
	v_add_f64 v[2:3], v[2:3], v[138:139]
	v_fma_f64 v[136:137], v[88:89], v[94:95], v[140:141]
	v_fma_f64 v[138:139], v[86:87], v[94:95], -v[96:97]
	scratch_load_b128 v[94:97], off, off offset:288
	ds_load_b128 v[86:89], v1 offset:528
	s_waitcnt vmcnt(10) lgkmcnt(1)
	v_mul_f64 v[134:135], v[122:123], v[100:101]
	v_mul_f64 v[100:101], v[124:125], v[100:101]
	s_waitcnt vmcnt(9) lgkmcnt(0)
	v_mul_f64 v[140:141], v[86:87], v[104:105]
	v_mul_f64 v[104:105], v[88:89], v[104:105]
	v_add_f64 v[6:7], v[6:7], v[132:133]
	v_add_f64 v[2:3], v[2:3], v[130:131]
	ds_load_b128 v[130:133], v1 offset:544
	v_fma_f64 v[124:125], v[124:125], v[98:99], v[134:135]
	v_fma_f64 v[122:123], v[122:123], v[98:99], -v[100:101]
	scratch_load_b128 v[98:101], off, off offset:304
	v_add_f64 v[6:7], v[6:7], v[136:137]
	v_add_f64 v[2:3], v[2:3], v[138:139]
	v_fma_f64 v[136:137], v[88:89], v[102:103], v[140:141]
	v_fma_f64 v[138:139], v[86:87], v[102:103], -v[104:105]
	scratch_load_b128 v[102:105], off, off offset:320
	ds_load_b128 v[86:89], v1 offset:560
	s_waitcnt vmcnt(10) lgkmcnt(1)
	v_mul_f64 v[134:135], v[130:131], v[108:109]
	v_mul_f64 v[108:109], v[132:133], v[108:109]
	s_waitcnt vmcnt(9) lgkmcnt(0)
	v_mul_f64 v[140:141], v[86:87], v[116:117]
	v_mul_f64 v[116:117], v[88:89], v[116:117]
	v_add_f64 v[6:7], v[6:7], v[124:125]
	v_add_f64 v[2:3], v[2:3], v[122:123]
	ds_load_b128 v[122:125], v1 offset:576
	v_fma_f64 v[132:133], v[132:133], v[106:107], v[134:135]
	v_fma_f64 v[130:131], v[130:131], v[106:107], -v[108:109]
	scratch_load_b128 v[106:109], off, off offset:336
	v_add_f64 v[6:7], v[6:7], v[136:137]
	v_add_f64 v[2:3], v[2:3], v[138:139]
	v_fma_f64 v[136:137], v[88:89], v[114:115], v[140:141]
	v_fma_f64 v[138:139], v[86:87], v[114:115], -v[116:117]
	scratch_load_b128 v[114:117], off, off offset:352
	ds_load_b128 v[86:89], v1 offset:592
	s_waitcnt vmcnt(9) lgkmcnt(1)
	v_mul_f64 v[134:135], v[122:123], v[10:11]
	v_mul_f64 v[10:11], v[124:125], v[10:11]
	v_add_f64 v[6:7], v[6:7], v[132:133]
	v_add_f64 v[2:3], v[2:3], v[130:131]
	ds_load_b128 v[130:133], v1 offset:608
	s_waitcnt vmcnt(8) lgkmcnt(1)
	v_mul_f64 v[140:141], v[86:87], v[128:129]
	v_mul_f64 v[128:129], v[88:89], v[128:129]
	v_fma_f64 v[124:125], v[124:125], v[8:9], v[134:135]
	v_fma_f64 v[8:9], v[122:123], v[8:9], -v[10:11]
	v_add_f64 v[6:7], v[6:7], v[136:137]
	v_add_f64 v[2:3], v[2:3], v[138:139]
	v_fma_f64 v[88:89], v[88:89], v[126:127], v[140:141]
	v_fma_f64 v[126:127], v[86:87], v[126:127], -v[128:129]
	s_waitcnt vmcnt(7) lgkmcnt(0)
	v_mul_f64 v[10:11], v[130:131], v[84:85]
	v_mul_f64 v[122:123], v[132:133], v[84:85]
	v_add_f64 v[124:125], v[6:7], v[124:125]
	v_add_f64 v[2:3], v[2:3], v[8:9]
	ds_load_b128 v[6:9], v1 offset:624
	ds_load_b128 v[84:87], v1 offset:640
	v_fma_f64 v[10:11], v[132:133], v[82:83], v[10:11]
	v_fma_f64 v[82:83], v[130:131], v[82:83], -v[122:123]
	s_waitcnt vmcnt(6) lgkmcnt(1)
	v_mul_f64 v[128:129], v[6:7], v[112:113]
	v_mul_f64 v[112:113], v[8:9], v[112:113]
	v_add_f64 v[88:89], v[124:125], v[88:89]
	v_add_f64 v[2:3], v[2:3], v[126:127]
	s_waitcnt vmcnt(5) lgkmcnt(0)
	v_mul_f64 v[122:123], v[84:85], v[92:93]
	v_mul_f64 v[92:93], v[86:87], v[92:93]
	v_fma_f64 v[124:125], v[8:9], v[110:111], v[128:129]
	v_fma_f64 v[126:127], v[6:7], v[110:111], -v[112:113]
	ds_load_b128 v[6:9], v1 offset:656
	ds_load_b128 v[110:113], v1 offset:672
	v_add_f64 v[10:11], v[88:89], v[10:11]
	v_add_f64 v[2:3], v[2:3], v[82:83]
	v_fma_f64 v[86:87], v[86:87], v[90:91], v[122:123]
	s_waitcnt vmcnt(4) lgkmcnt(1)
	v_mul_f64 v[82:83], v[6:7], v[96:97]
	v_mul_f64 v[88:89], v[8:9], v[96:97]
	v_fma_f64 v[84:85], v[84:85], v[90:91], -v[92:93]
	s_waitcnt vmcnt(3) lgkmcnt(0)
	v_mul_f64 v[90:91], v[110:111], v[100:101]
	v_mul_f64 v[92:93], v[112:113], v[100:101]
	v_add_f64 v[10:11], v[10:11], v[124:125]
	v_add_f64 v[2:3], v[2:3], v[126:127]
	v_fma_f64 v[96:97], v[8:9], v[94:95], v[82:83]
	v_fma_f64 v[88:89], v[6:7], v[94:95], -v[88:89]
	v_fma_f64 v[90:91], v[112:113], v[98:99], v[90:91]
	v_fma_f64 v[92:93], v[110:111], v[98:99], -v[92:93]
	v_add_f64 v[10:11], v[10:11], v[86:87]
	v_add_f64 v[2:3], v[2:3], v[84:85]
	ds_load_b128 v[6:9], v1 offset:688
	ds_load_b128 v[82:85], v1 offset:704
	s_waitcnt vmcnt(2) lgkmcnt(1)
	v_mul_f64 v[86:87], v[6:7], v[104:105]
	v_mul_f64 v[94:95], v[8:9], v[104:105]
	v_add_f64 v[10:11], v[10:11], v[96:97]
	v_add_f64 v[2:3], v[2:3], v[88:89]
	s_waitcnt vmcnt(1) lgkmcnt(0)
	v_mul_f64 v[88:89], v[82:83], v[108:109]
	v_mul_f64 v[96:97], v[84:85], v[108:109]
	v_fma_f64 v[86:87], v[8:9], v[102:103], v[86:87]
	v_fma_f64 v[94:95], v[6:7], v[102:103], -v[94:95]
	ds_load_b128 v[6:9], v1 offset:720
	v_add_f64 v[10:11], v[10:11], v[90:91]
	v_add_f64 v[2:3], v[2:3], v[92:93]
	v_fma_f64 v[84:85], v[84:85], v[106:107], v[88:89]
	v_fma_f64 v[82:83], v[82:83], v[106:107], -v[96:97]
	s_waitcnt vmcnt(0) lgkmcnt(0)
	v_mul_f64 v[90:91], v[6:7], v[116:117]
	v_mul_f64 v[92:93], v[8:9], v[116:117]
	v_add_f64 v[10:11], v[10:11], v[86:87]
	v_add_f64 v[2:3], v[2:3], v[94:95]
	s_delay_alu instid0(VALU_DEP_4) | instskip(NEXT) | instid1(VALU_DEP_4)
	v_fma_f64 v[8:9], v[8:9], v[114:115], v[90:91]
	v_fma_f64 v[6:7], v[6:7], v[114:115], -v[92:93]
	s_delay_alu instid0(VALU_DEP_4) | instskip(NEXT) | instid1(VALU_DEP_4)
	v_add_f64 v[10:11], v[10:11], v[84:85]
	v_add_f64 v[2:3], v[2:3], v[82:83]
	s_delay_alu instid0(VALU_DEP_2) | instskip(NEXT) | instid1(VALU_DEP_2)
	v_add_f64 v[8:9], v[10:11], v[8:9]
	v_add_f64 v[2:3], v[2:3], v[6:7]
	s_delay_alu instid0(VALU_DEP_2) | instskip(NEXT) | instid1(VALU_DEP_2)
	v_add_f64 v[8:9], v[120:121], -v[8:9]
	v_add_f64 v[6:7], v[118:119], -v[2:3]
	scratch_store_b128 off, v[6:9], off offset:48
	v_cmpx_lt_u32_e32 2, v59
	s_cbranch_execz .LBB22_147
; %bb.146:
	scratch_load_b128 v[6:9], v64, off
	v_mov_b32_e32 v2, v1
	v_mov_b32_e32 v3, v1
	;; [unrolled: 1-line block ×3, first 2 shown]
	scratch_store_b128 off, v[1:4], off offset:32
	s_waitcnt vmcnt(0)
	ds_store_b128 v5, v[6:9]
.LBB22_147:
	s_or_b32 exec_lo, exec_lo, s2
	s_waitcnt lgkmcnt(0)
	s_waitcnt_vscnt null, 0x0
	s_barrier
	buffer_gl0_inv
	s_clause 0x8
	scratch_load_b128 v[6:9], off, off offset:48
	scratch_load_b128 v[82:85], off, off offset:64
	;; [unrolled: 1-line block ×9, first 2 shown]
	ds_load_b128 v[114:117], v1 offset:416
	ds_load_b128 v[118:121], v1 offset:432
	scratch_load_b128 v[122:125], off, off offset:32
	s_mov_b32 s2, exec_lo
	ds_load_b128 v[130:133], v1 offset:464
	s_waitcnt vmcnt(9) lgkmcnt(2)
	v_mul_f64 v[2:3], v[116:117], v[8:9]
	v_mul_f64 v[126:127], v[114:115], v[8:9]
	scratch_load_b128 v[8:11], off, off offset:192
	s_waitcnt vmcnt(9) lgkmcnt(1)
	v_mul_f64 v[134:135], v[118:119], v[84:85]
	v_mul_f64 v[84:85], v[120:121], v[84:85]
	v_fma_f64 v[2:3], v[114:115], v[6:7], -v[2:3]
	v_fma_f64 v[6:7], v[116:117], v[6:7], v[126:127]
	ds_load_b128 v[114:117], v1 offset:448
	scratch_load_b128 v[126:129], off, off offset:208
	v_fma_f64 v[120:121], v[120:121], v[82:83], v[134:135]
	v_fma_f64 v[118:119], v[118:119], v[82:83], -v[84:85]
	scratch_load_b128 v[82:85], off, off offset:224
	s_waitcnt vmcnt(9) lgkmcnt(1)
	v_mul_f64 v[134:135], v[130:131], v[92:93]
	v_mul_f64 v[92:93], v[132:133], v[92:93]
	s_waitcnt lgkmcnt(0)
	v_mul_f64 v[136:137], v[114:115], v[88:89]
	v_mul_f64 v[88:89], v[116:117], v[88:89]
	v_add_f64 v[2:3], v[2:3], 0
	v_add_f64 v[6:7], v[6:7], 0
	v_fma_f64 v[132:133], v[132:133], v[90:91], v[134:135]
	v_fma_f64 v[130:131], v[130:131], v[90:91], -v[92:93]
	scratch_load_b128 v[90:93], off, off offset:256
	v_fma_f64 v[136:137], v[116:117], v[86:87], v[136:137]
	v_fma_f64 v[138:139], v[114:115], v[86:87], -v[88:89]
	ds_load_b128 v[86:89], v1 offset:480
	scratch_load_b128 v[114:117], off, off offset:240
	v_add_f64 v[2:3], v[2:3], v[118:119]
	v_add_f64 v[6:7], v[6:7], v[120:121]
	ds_load_b128 v[118:121], v1 offset:496
	s_waitcnt vmcnt(10) lgkmcnt(1)
	v_mul_f64 v[140:141], v[86:87], v[96:97]
	v_mul_f64 v[96:97], v[88:89], v[96:97]
	s_waitcnt vmcnt(9) lgkmcnt(0)
	v_mul_f64 v[134:135], v[118:119], v[100:101]
	v_mul_f64 v[100:101], v[120:121], v[100:101]
	v_add_f64 v[2:3], v[2:3], v[138:139]
	v_add_f64 v[6:7], v[6:7], v[136:137]
	v_fma_f64 v[136:137], v[88:89], v[94:95], v[140:141]
	v_fma_f64 v[138:139], v[86:87], v[94:95], -v[96:97]
	ds_load_b128 v[86:89], v1 offset:512
	scratch_load_b128 v[94:97], off, off offset:272
	v_fma_f64 v[120:121], v[120:121], v[98:99], v[134:135]
	v_fma_f64 v[118:119], v[118:119], v[98:99], -v[100:101]
	scratch_load_b128 v[98:101], off, off offset:288
	v_add_f64 v[2:3], v[2:3], v[130:131]
	v_add_f64 v[6:7], v[6:7], v[132:133]
	ds_load_b128 v[130:133], v1 offset:528
	s_waitcnt vmcnt(10) lgkmcnt(1)
	v_mul_f64 v[140:141], v[86:87], v[104:105]
	v_mul_f64 v[104:105], v[88:89], v[104:105]
	s_waitcnt vmcnt(9) lgkmcnt(0)
	v_mul_f64 v[134:135], v[130:131], v[108:109]
	v_mul_f64 v[108:109], v[132:133], v[108:109]
	v_add_f64 v[2:3], v[2:3], v[138:139]
	v_add_f64 v[6:7], v[6:7], v[136:137]
	v_fma_f64 v[136:137], v[88:89], v[102:103], v[140:141]
	v_fma_f64 v[138:139], v[86:87], v[102:103], -v[104:105]
	ds_load_b128 v[86:89], v1 offset:544
	scratch_load_b128 v[102:105], off, off offset:304
	v_fma_f64 v[132:133], v[132:133], v[106:107], v[134:135]
	v_fma_f64 v[130:131], v[130:131], v[106:107], -v[108:109]
	scratch_load_b128 v[106:109], off, off offset:320
	v_add_f64 v[2:3], v[2:3], v[118:119]
	v_add_f64 v[6:7], v[6:7], v[120:121]
	ds_load_b128 v[118:121], v1 offset:560
	s_waitcnt vmcnt(10) lgkmcnt(1)
	v_mul_f64 v[140:141], v[86:87], v[112:113]
	v_mul_f64 v[112:113], v[88:89], v[112:113]
	v_add_f64 v[2:3], v[2:3], v[138:139]
	v_add_f64 v[6:7], v[6:7], v[136:137]
	s_delay_alu instid0(VALU_DEP_4) | instskip(NEXT) | instid1(VALU_DEP_4)
	v_fma_f64 v[136:137], v[88:89], v[110:111], v[140:141]
	v_fma_f64 v[138:139], v[86:87], v[110:111], -v[112:113]
	ds_load_b128 v[86:89], v1 offset:576
	scratch_load_b128 v[110:113], off, off offset:336
	s_waitcnt vmcnt(9) lgkmcnt(1)
	v_mul_f64 v[134:135], v[118:119], v[10:11]
	v_mul_f64 v[10:11], v[120:121], v[10:11]
	v_add_f64 v[2:3], v[2:3], v[130:131]
	v_add_f64 v[6:7], v[6:7], v[132:133]
	ds_load_b128 v[130:133], v1 offset:592
	v_fma_f64 v[120:121], v[120:121], v[8:9], v[134:135]
	s_waitcnt vmcnt(8) lgkmcnt(1)
	v_mul_f64 v[140:141], v[86:87], v[128:129]
	v_mul_f64 v[128:129], v[88:89], v[128:129]
	v_fma_f64 v[10:11], v[118:119], v[8:9], -v[10:11]
	s_waitcnt vmcnt(7) lgkmcnt(0)
	v_mul_f64 v[134:135], v[130:131], v[84:85]
	v_add_f64 v[2:3], v[2:3], v[138:139]
	v_add_f64 v[118:119], v[6:7], v[136:137]
	scratch_load_b128 v[6:9], off, off offset:352
	v_mul_f64 v[136:137], v[132:133], v[84:85]
	v_fma_f64 v[88:89], v[88:89], v[126:127], v[140:141]
	v_fma_f64 v[126:127], v[86:87], v[126:127], -v[128:129]
	v_fma_f64 v[132:133], v[132:133], v[82:83], v[134:135]
	v_add_f64 v[2:3], v[2:3], v[10:11]
	v_add_f64 v[10:11], v[118:119], v[120:121]
	ds_load_b128 v[84:87], v1 offset:608
	ds_load_b128 v[118:121], v1 offset:624
	v_fma_f64 v[82:83], v[130:131], v[82:83], -v[136:137]
	s_waitcnt vmcnt(6) lgkmcnt(1)
	v_mul_f64 v[128:129], v[84:85], v[116:117]
	v_mul_f64 v[116:117], v[86:87], v[116:117]
	v_add_f64 v[2:3], v[2:3], v[126:127]
	v_add_f64 v[10:11], v[10:11], v[88:89]
	s_waitcnt lgkmcnt(0)
	v_mul_f64 v[126:127], v[118:119], v[92:93]
	v_mul_f64 v[92:93], v[120:121], v[92:93]
	v_fma_f64 v[128:129], v[86:87], v[114:115], v[128:129]
	v_fma_f64 v[114:115], v[84:85], v[114:115], -v[116:117]
	v_add_f64 v[2:3], v[2:3], v[82:83]
	v_add_f64 v[10:11], v[10:11], v[132:133]
	ds_load_b128 v[82:85], v1 offset:640
	ds_load_b128 v[86:89], v1 offset:656
	v_fma_f64 v[120:121], v[120:121], v[90:91], v[126:127]
	v_fma_f64 v[90:91], v[118:119], v[90:91], -v[92:93]
	s_waitcnt vmcnt(5) lgkmcnt(1)
	v_mul_f64 v[116:117], v[82:83], v[96:97]
	v_mul_f64 v[96:97], v[84:85], v[96:97]
	v_add_f64 v[2:3], v[2:3], v[114:115]
	v_add_f64 v[10:11], v[10:11], v[128:129]
	s_waitcnt vmcnt(4) lgkmcnt(0)
	v_mul_f64 v[114:115], v[86:87], v[100:101]
	v_mul_f64 v[100:101], v[88:89], v[100:101]
	v_fma_f64 v[116:117], v[84:85], v[94:95], v[116:117]
	v_fma_f64 v[94:95], v[82:83], v[94:95], -v[96:97]
	v_add_f64 v[2:3], v[2:3], v[90:91]
	v_add_f64 v[10:11], v[10:11], v[120:121]
	ds_load_b128 v[82:85], v1 offset:672
	ds_load_b128 v[90:93], v1 offset:688
	v_fma_f64 v[88:89], v[88:89], v[98:99], v[114:115]
	v_fma_f64 v[86:87], v[86:87], v[98:99], -v[100:101]
	s_waitcnt vmcnt(3) lgkmcnt(1)
	v_mul_f64 v[96:97], v[82:83], v[104:105]
	v_mul_f64 v[104:105], v[84:85], v[104:105]
	s_waitcnt vmcnt(2) lgkmcnt(0)
	v_mul_f64 v[98:99], v[92:93], v[108:109]
	v_add_f64 v[2:3], v[2:3], v[94:95]
	v_add_f64 v[10:11], v[10:11], v[116:117]
	v_mul_f64 v[94:95], v[90:91], v[108:109]
	v_fma_f64 v[96:97], v[84:85], v[102:103], v[96:97]
	v_fma_f64 v[100:101], v[82:83], v[102:103], -v[104:105]
	v_fma_f64 v[90:91], v[90:91], v[106:107], -v[98:99]
	v_add_f64 v[86:87], v[2:3], v[86:87]
	v_add_f64 v[10:11], v[10:11], v[88:89]
	ds_load_b128 v[82:85], v1 offset:704
	ds_load_b128 v[1:4], v1 offset:720
	v_fma_f64 v[92:93], v[92:93], v[106:107], v[94:95]
	s_waitcnt vmcnt(1) lgkmcnt(1)
	v_mul_f64 v[88:89], v[82:83], v[112:113]
	v_mul_f64 v[102:103], v[84:85], v[112:113]
	v_add_f64 v[86:87], v[86:87], v[100:101]
	v_add_f64 v[10:11], v[10:11], v[96:97]
	s_waitcnt vmcnt(0) lgkmcnt(0)
	v_mul_f64 v[94:95], v[1:2], v[8:9]
	v_mul_f64 v[8:9], v[3:4], v[8:9]
	v_fma_f64 v[84:85], v[84:85], v[110:111], v[88:89]
	v_fma_f64 v[82:83], v[82:83], v[110:111], -v[102:103]
	v_add_f64 v[86:87], v[86:87], v[90:91]
	v_add_f64 v[10:11], v[10:11], v[92:93]
	v_fma_f64 v[3:4], v[3:4], v[6:7], v[94:95]
	v_fma_f64 v[1:2], v[1:2], v[6:7], -v[8:9]
	s_delay_alu instid0(VALU_DEP_4) | instskip(NEXT) | instid1(VALU_DEP_4)
	v_add_f64 v[6:7], v[86:87], v[82:83]
	v_add_f64 v[8:9], v[10:11], v[84:85]
	s_delay_alu instid0(VALU_DEP_2) | instskip(NEXT) | instid1(VALU_DEP_2)
	v_add_f64 v[1:2], v[6:7], v[1:2]
	v_add_f64 v[3:4], v[8:9], v[3:4]
	s_delay_alu instid0(VALU_DEP_2) | instskip(NEXT) | instid1(VALU_DEP_2)
	v_add_f64 v[1:2], v[122:123], -v[1:2]
	v_add_f64 v[3:4], v[124:125], -v[3:4]
	scratch_store_b128 off, v[1:4], off offset:32
	v_cmpx_lt_u32_e32 1, v59
	s_cbranch_execz .LBB22_149
; %bb.148:
	scratch_load_b128 v[1:4], v69, off
	v_mov_b32_e32 v6, 0
	s_delay_alu instid0(VALU_DEP_1)
	v_mov_b32_e32 v7, v6
	v_mov_b32_e32 v8, v6
	;; [unrolled: 1-line block ×3, first 2 shown]
	scratch_store_b128 off, v[6:9], off offset:16
	s_waitcnt vmcnt(0)
	ds_store_b128 v5, v[1:4]
.LBB22_149:
	s_or_b32 exec_lo, exec_lo, s2
	s_waitcnt lgkmcnt(0)
	s_waitcnt_vscnt null, 0x0
	s_barrier
	buffer_gl0_inv
	s_clause 0x7
	scratch_load_b128 v[6:9], off, off offset:32
	scratch_load_b128 v[82:85], off, off offset:48
	;; [unrolled: 1-line block ×8, first 2 shown]
	v_mov_b32_e32 v1, 0
	s_mov_b32 s2, exec_lo
	ds_load_b128 v[110:113], v1 offset:400
	s_clause 0x1
	scratch_load_b128 v[114:117], off, off offset:160
	scratch_load_b128 v[118:121], off, off offset:16
	ds_load_b128 v[122:125], v1 offset:416
	ds_load_b128 v[130:133], v1 offset:448
	s_waitcnt vmcnt(9) lgkmcnt(2)
	v_mul_f64 v[2:3], v[112:113], v[8:9]
	v_mul_f64 v[126:127], v[110:111], v[8:9]
	scratch_load_b128 v[8:11], off, off offset:176
	v_fma_f64 v[2:3], v[110:111], v[6:7], -v[2:3]
	v_fma_f64 v[6:7], v[112:113], v[6:7], v[126:127]
	scratch_load_b128 v[126:129], off, off offset:192
	ds_load_b128 v[110:113], v1 offset:432
	s_waitcnt vmcnt(10) lgkmcnt(2)
	v_mul_f64 v[134:135], v[122:123], v[84:85]
	v_mul_f64 v[84:85], v[124:125], v[84:85]
	s_waitcnt vmcnt(9) lgkmcnt(0)
	v_mul_f64 v[136:137], v[110:111], v[88:89]
	v_mul_f64 v[88:89], v[112:113], v[88:89]
	v_add_f64 v[2:3], v[2:3], 0
	v_add_f64 v[6:7], v[6:7], 0
	v_fma_f64 v[124:125], v[124:125], v[82:83], v[134:135]
	v_fma_f64 v[122:123], v[122:123], v[82:83], -v[84:85]
	scratch_load_b128 v[82:85], off, off offset:208
	v_fma_f64 v[136:137], v[112:113], v[86:87], v[136:137]
	v_fma_f64 v[138:139], v[110:111], v[86:87], -v[88:89]
	scratch_load_b128 v[110:113], off, off offset:224
	ds_load_b128 v[86:89], v1 offset:464
	s_waitcnt vmcnt(10)
	v_mul_f64 v[134:135], v[130:131], v[92:93]
	v_mul_f64 v[92:93], v[132:133], v[92:93]
	v_add_f64 v[6:7], v[6:7], v[124:125]
	v_add_f64 v[2:3], v[2:3], v[122:123]
	ds_load_b128 v[122:125], v1 offset:480
	s_waitcnt vmcnt(9) lgkmcnt(1)
	v_mul_f64 v[140:141], v[86:87], v[96:97]
	v_mul_f64 v[96:97], v[88:89], v[96:97]
	v_fma_f64 v[132:133], v[132:133], v[90:91], v[134:135]
	v_fma_f64 v[130:131], v[130:131], v[90:91], -v[92:93]
	scratch_load_b128 v[90:93], off, off offset:240
	v_add_f64 v[6:7], v[6:7], v[136:137]
	v_add_f64 v[2:3], v[2:3], v[138:139]
	v_fma_f64 v[136:137], v[88:89], v[94:95], v[140:141]
	v_fma_f64 v[138:139], v[86:87], v[94:95], -v[96:97]
	scratch_load_b128 v[94:97], off, off offset:256
	ds_load_b128 v[86:89], v1 offset:496
	s_waitcnt vmcnt(10) lgkmcnt(1)
	v_mul_f64 v[134:135], v[122:123], v[100:101]
	v_mul_f64 v[100:101], v[124:125], v[100:101]
	s_waitcnt vmcnt(9) lgkmcnt(0)
	v_mul_f64 v[140:141], v[86:87], v[104:105]
	v_mul_f64 v[104:105], v[88:89], v[104:105]
	v_add_f64 v[6:7], v[6:7], v[132:133]
	v_add_f64 v[2:3], v[2:3], v[130:131]
	ds_load_b128 v[130:133], v1 offset:512
	v_fma_f64 v[124:125], v[124:125], v[98:99], v[134:135]
	v_fma_f64 v[122:123], v[122:123], v[98:99], -v[100:101]
	scratch_load_b128 v[98:101], off, off offset:272
	v_add_f64 v[6:7], v[6:7], v[136:137]
	v_add_f64 v[2:3], v[2:3], v[138:139]
	v_fma_f64 v[136:137], v[88:89], v[102:103], v[140:141]
	v_fma_f64 v[138:139], v[86:87], v[102:103], -v[104:105]
	scratch_load_b128 v[102:105], off, off offset:288
	ds_load_b128 v[86:89], v1 offset:528
	s_waitcnt vmcnt(10) lgkmcnt(1)
	v_mul_f64 v[134:135], v[130:131], v[108:109]
	v_mul_f64 v[108:109], v[132:133], v[108:109]
	s_waitcnt vmcnt(9) lgkmcnt(0)
	v_mul_f64 v[140:141], v[86:87], v[116:117]
	v_mul_f64 v[116:117], v[88:89], v[116:117]
	v_add_f64 v[6:7], v[6:7], v[124:125]
	v_add_f64 v[2:3], v[2:3], v[122:123]
	ds_load_b128 v[122:125], v1 offset:544
	v_fma_f64 v[132:133], v[132:133], v[106:107], v[134:135]
	v_fma_f64 v[130:131], v[130:131], v[106:107], -v[108:109]
	scratch_load_b128 v[106:109], off, off offset:304
	v_add_f64 v[6:7], v[6:7], v[136:137]
	v_add_f64 v[2:3], v[2:3], v[138:139]
	v_fma_f64 v[136:137], v[88:89], v[114:115], v[140:141]
	v_fma_f64 v[138:139], v[86:87], v[114:115], -v[116:117]
	scratch_load_b128 v[114:117], off, off offset:320
	ds_load_b128 v[86:89], v1 offset:560
	s_waitcnt vmcnt(9) lgkmcnt(1)
	v_mul_f64 v[134:135], v[122:123], v[10:11]
	v_mul_f64 v[10:11], v[124:125], v[10:11]
	v_add_f64 v[6:7], v[6:7], v[132:133]
	v_add_f64 v[2:3], v[2:3], v[130:131]
	ds_load_b128 v[130:133], v1 offset:576
	s_waitcnt vmcnt(8) lgkmcnt(1)
	v_mul_f64 v[140:141], v[86:87], v[128:129]
	v_mul_f64 v[128:129], v[88:89], v[128:129]
	v_fma_f64 v[124:125], v[124:125], v[8:9], v[134:135]
	v_fma_f64 v[10:11], v[122:123], v[8:9], -v[10:11]
	v_add_f64 v[122:123], v[6:7], v[136:137]
	v_add_f64 v[2:3], v[2:3], v[138:139]
	scratch_load_b128 v[6:9], off, off offset:336
	v_fma_f64 v[88:89], v[88:89], v[126:127], v[140:141]
	v_fma_f64 v[138:139], v[86:87], v[126:127], -v[128:129]
	ds_load_b128 v[126:129], v1 offset:608
	s_waitcnt vmcnt(8) lgkmcnt(1)
	v_mul_f64 v[134:135], v[130:131], v[84:85]
	v_mul_f64 v[136:137], v[132:133], v[84:85]
	ds_load_b128 v[84:87], v1 offset:592
	v_add_f64 v[2:3], v[2:3], v[10:11]
	v_add_f64 v[10:11], v[122:123], v[124:125]
	scratch_load_b128 v[122:125], off, off offset:352
	s_waitcnt vmcnt(8) lgkmcnt(0)
	v_mul_f64 v[140:141], v[84:85], v[112:113]
	v_mul_f64 v[112:113], v[86:87], v[112:113]
	v_fma_f64 v[132:133], v[132:133], v[82:83], v[134:135]
	v_fma_f64 v[82:83], v[130:131], v[82:83], -v[136:137]
	v_add_f64 v[2:3], v[2:3], v[138:139]
	v_add_f64 v[10:11], v[10:11], v[88:89]
	s_waitcnt vmcnt(7)
	v_mul_f64 v[130:131], v[126:127], v[92:93]
	v_mul_f64 v[92:93], v[128:129], v[92:93]
	v_fma_f64 v[134:135], v[86:87], v[110:111], v[140:141]
	v_fma_f64 v[110:111], v[84:85], v[110:111], -v[112:113]
	v_add_f64 v[2:3], v[2:3], v[82:83]
	v_add_f64 v[10:11], v[10:11], v[132:133]
	ds_load_b128 v[82:85], v1 offset:624
	ds_load_b128 v[86:89], v1 offset:640
	v_fma_f64 v[128:129], v[128:129], v[90:91], v[130:131]
	v_fma_f64 v[90:91], v[126:127], v[90:91], -v[92:93]
	s_waitcnt vmcnt(6) lgkmcnt(1)
	v_mul_f64 v[112:113], v[82:83], v[96:97]
	v_mul_f64 v[96:97], v[84:85], v[96:97]
	v_add_f64 v[2:3], v[2:3], v[110:111]
	v_add_f64 v[10:11], v[10:11], v[134:135]
	s_waitcnt vmcnt(5) lgkmcnt(0)
	v_mul_f64 v[110:111], v[86:87], v[100:101]
	v_mul_f64 v[100:101], v[88:89], v[100:101]
	v_fma_f64 v[112:113], v[84:85], v[94:95], v[112:113]
	v_fma_f64 v[94:95], v[82:83], v[94:95], -v[96:97]
	v_add_f64 v[2:3], v[2:3], v[90:91]
	v_add_f64 v[10:11], v[10:11], v[128:129]
	ds_load_b128 v[82:85], v1 offset:656
	ds_load_b128 v[90:93], v1 offset:672
	v_fma_f64 v[88:89], v[88:89], v[98:99], v[110:111]
	v_fma_f64 v[86:87], v[86:87], v[98:99], -v[100:101]
	s_waitcnt vmcnt(4) lgkmcnt(1)
	v_mul_f64 v[96:97], v[82:83], v[104:105]
	v_mul_f64 v[104:105], v[84:85], v[104:105]
	s_waitcnt vmcnt(3) lgkmcnt(0)
	v_mul_f64 v[98:99], v[92:93], v[108:109]
	v_add_f64 v[2:3], v[2:3], v[94:95]
	v_add_f64 v[10:11], v[10:11], v[112:113]
	v_mul_f64 v[94:95], v[90:91], v[108:109]
	v_fma_f64 v[96:97], v[84:85], v[102:103], v[96:97]
	v_fma_f64 v[100:101], v[82:83], v[102:103], -v[104:105]
	v_fma_f64 v[90:91], v[90:91], v[106:107], -v[98:99]
	v_add_f64 v[2:3], v[2:3], v[86:87]
	v_add_f64 v[10:11], v[10:11], v[88:89]
	ds_load_b128 v[82:85], v1 offset:688
	ds_load_b128 v[86:89], v1 offset:704
	v_fma_f64 v[92:93], v[92:93], v[106:107], v[94:95]
	s_waitcnt vmcnt(2) lgkmcnt(1)
	v_mul_f64 v[102:103], v[82:83], v[116:117]
	v_mul_f64 v[104:105], v[84:85], v[116:117]
	v_add_f64 v[2:3], v[2:3], v[100:101]
	v_add_f64 v[10:11], v[10:11], v[96:97]
	s_waitcnt vmcnt(1) lgkmcnt(0)
	v_mul_f64 v[94:95], v[86:87], v[8:9]
	v_mul_f64 v[96:97], v[88:89], v[8:9]
	v_fma_f64 v[84:85], v[84:85], v[114:115], v[102:103]
	v_fma_f64 v[82:83], v[82:83], v[114:115], -v[104:105]
	v_add_f64 v[2:3], v[2:3], v[90:91]
	v_add_f64 v[90:91], v[10:11], v[92:93]
	ds_load_b128 v[8:11], v1 offset:720
	v_fma_f64 v[88:89], v[88:89], v[6:7], v[94:95]
	v_fma_f64 v[6:7], v[86:87], v[6:7], -v[96:97]
	s_waitcnt vmcnt(0) lgkmcnt(0)
	v_mul_f64 v[92:93], v[8:9], v[124:125]
	v_mul_f64 v[98:99], v[10:11], v[124:125]
	v_add_f64 v[2:3], v[2:3], v[82:83]
	v_add_f64 v[82:83], v[90:91], v[84:85]
	s_delay_alu instid0(VALU_DEP_4) | instskip(NEXT) | instid1(VALU_DEP_4)
	v_fma_f64 v[10:11], v[10:11], v[122:123], v[92:93]
	v_fma_f64 v[8:9], v[8:9], v[122:123], -v[98:99]
	s_delay_alu instid0(VALU_DEP_4) | instskip(NEXT) | instid1(VALU_DEP_4)
	v_add_f64 v[2:3], v[2:3], v[6:7]
	v_add_f64 v[6:7], v[82:83], v[88:89]
	s_delay_alu instid0(VALU_DEP_2) | instskip(NEXT) | instid1(VALU_DEP_2)
	v_add_f64 v[2:3], v[2:3], v[8:9]
	v_add_f64 v[8:9], v[6:7], v[10:11]
	s_delay_alu instid0(VALU_DEP_2) | instskip(NEXT) | instid1(VALU_DEP_2)
	v_add_f64 v[6:7], v[118:119], -v[2:3]
	v_add_f64 v[8:9], v[120:121], -v[8:9]
	scratch_store_b128 off, v[6:9], off offset:16
	v_cmpx_ne_u32_e32 0, v59
	s_cbranch_execz .LBB22_151
; %bb.150:
	scratch_load_b128 v[6:9], off, off
	v_mov_b32_e32 v2, v1
	v_mov_b32_e32 v3, v1
	;; [unrolled: 1-line block ×3, first 2 shown]
	scratch_store_b128 off, v[1:4], off
	s_waitcnt vmcnt(0)
	ds_store_b128 v5, v[6:9]
.LBB22_151:
	s_or_b32 exec_lo, exec_lo, s2
	s_waitcnt lgkmcnt(0)
	s_waitcnt_vscnt null, 0x0
	s_barrier
	buffer_gl0_inv
	s_clause 0x8
	scratch_load_b128 v[2:5], off, off offset:16
	scratch_load_b128 v[6:9], off, off offset:32
	;; [unrolled: 1-line block ×9, first 2 shown]
	ds_load_b128 v[110:113], v1 offset:384
	ds_load_b128 v[114:117], v1 offset:400
	s_clause 0x1
	scratch_load_b128 v[118:121], off, off
	scratch_load_b128 v[122:125], off, off offset:160
	s_and_b32 vcc_lo, exec_lo, s20
	s_waitcnt vmcnt(10) lgkmcnt(1)
	v_mul_f64 v[10:11], v[112:113], v[4:5]
	v_mul_f64 v[4:5], v[110:111], v[4:5]
	s_waitcnt vmcnt(9) lgkmcnt(0)
	v_mul_f64 v[126:127], v[114:115], v[8:9]
	v_mul_f64 v[128:129], v[116:117], v[8:9]
	s_delay_alu instid0(VALU_DEP_4) | instskip(NEXT) | instid1(VALU_DEP_4)
	v_fma_f64 v[130:131], v[110:111], v[2:3], -v[10:11]
	v_fma_f64 v[132:133], v[112:113], v[2:3], v[4:5]
	ds_load_b128 v[2:5], v1 offset:416
	ds_load_b128 v[110:113], v1 offset:432
	scratch_load_b128 v[8:11], off, off offset:176
	v_fma_f64 v[126:127], v[116:117], v[6:7], v[126:127]
	v_fma_f64 v[6:7], v[114:115], v[6:7], -v[128:129]
	scratch_load_b128 v[114:117], off, off offset:192
	s_waitcnt vmcnt(10) lgkmcnt(1)
	v_mul_f64 v[134:135], v[2:3], v[84:85]
	v_mul_f64 v[84:85], v[4:5], v[84:85]
	v_add_f64 v[128:129], v[130:131], 0
	v_add_f64 v[130:131], v[132:133], 0
	s_waitcnt vmcnt(9) lgkmcnt(0)
	v_mul_f64 v[132:133], v[110:111], v[88:89]
	v_mul_f64 v[88:89], v[112:113], v[88:89]
	v_fma_f64 v[134:135], v[4:5], v[82:83], v[134:135]
	v_fma_f64 v[136:137], v[2:3], v[82:83], -v[84:85]
	ds_load_b128 v[2:5], v1 offset:448
	scratch_load_b128 v[82:85], off, off offset:208
	v_add_f64 v[6:7], v[128:129], v[6:7]
	v_add_f64 v[130:131], v[130:131], v[126:127]
	ds_load_b128 v[126:129], v1 offset:464
	v_fma_f64 v[112:113], v[112:113], v[86:87], v[132:133]
	v_fma_f64 v[110:111], v[110:111], v[86:87], -v[88:89]
	scratch_load_b128 v[86:89], off, off offset:224
	s_waitcnt vmcnt(10) lgkmcnt(1)
	v_mul_f64 v[138:139], v[2:3], v[92:93]
	v_mul_f64 v[92:93], v[4:5], v[92:93]
	s_waitcnt vmcnt(9) lgkmcnt(0)
	v_mul_f64 v[132:133], v[126:127], v[96:97]
	v_mul_f64 v[96:97], v[128:129], v[96:97]
	v_add_f64 v[6:7], v[6:7], v[136:137]
	v_add_f64 v[130:131], v[130:131], v[134:135]
	v_fma_f64 v[134:135], v[4:5], v[90:91], v[138:139]
	v_fma_f64 v[136:137], v[2:3], v[90:91], -v[92:93]
	ds_load_b128 v[2:5], v1 offset:480
	scratch_load_b128 v[90:93], off, off offset:240
	v_fma_f64 v[128:129], v[128:129], v[94:95], v[132:133]
	v_fma_f64 v[126:127], v[126:127], v[94:95], -v[96:97]
	scratch_load_b128 v[94:97], off, off offset:256
	v_add_f64 v[6:7], v[6:7], v[110:111]
	v_add_f64 v[130:131], v[130:131], v[112:113]
	ds_load_b128 v[110:113], v1 offset:496
	s_waitcnt vmcnt(10) lgkmcnt(1)
	v_mul_f64 v[138:139], v[2:3], v[100:101]
	v_mul_f64 v[100:101], v[4:5], v[100:101]
	s_waitcnt vmcnt(9) lgkmcnt(0)
	v_mul_f64 v[132:133], v[110:111], v[104:105]
	v_mul_f64 v[104:105], v[112:113], v[104:105]
	v_add_f64 v[6:7], v[6:7], v[136:137]
	v_add_f64 v[130:131], v[130:131], v[134:135]
	v_fma_f64 v[134:135], v[4:5], v[98:99], v[138:139]
	v_fma_f64 v[136:137], v[2:3], v[98:99], -v[100:101]
	ds_load_b128 v[2:5], v1 offset:512
	scratch_load_b128 v[98:101], off, off offset:272
	v_fma_f64 v[112:113], v[112:113], v[102:103], v[132:133]
	v_fma_f64 v[110:111], v[110:111], v[102:103], -v[104:105]
	scratch_load_b128 v[102:105], off, off offset:288
	v_add_f64 v[6:7], v[6:7], v[126:127]
	v_add_f64 v[130:131], v[130:131], v[128:129]
	ds_load_b128 v[126:129], v1 offset:528
	;; [unrolled: 18-line block ×3, first 2 shown]
	s_waitcnt vmcnt(9) lgkmcnt(1)
	v_mul_f64 v[138:139], v[2:3], v[10:11]
	v_mul_f64 v[10:11], v[4:5], v[10:11]
	s_waitcnt vmcnt(8) lgkmcnt(0)
	v_mul_f64 v[132:133], v[110:111], v[116:117]
	v_mul_f64 v[116:117], v[112:113], v[116:117]
	v_add_f64 v[6:7], v[6:7], v[136:137]
	v_add_f64 v[130:131], v[130:131], v[134:135]
	v_fma_f64 v[134:135], v[4:5], v[8:9], v[138:139]
	v_fma_f64 v[10:11], v[2:3], v[8:9], -v[10:11]
	ds_load_b128 v[2:5], v1 offset:576
	v_fma_f64 v[132:133], v[112:113], v[114:115], v[132:133]
	v_fma_f64 v[114:115], v[110:111], v[114:115], -v[116:117]
	scratch_load_b128 v[110:113], off, off offset:352
	v_add_f64 v[136:137], v[6:7], v[126:127]
	v_add_f64 v[130:131], v[130:131], v[128:129]
	ds_load_b128 v[126:129], v1 offset:592
	scratch_load_b128 v[6:9], off, off offset:336
	s_waitcnt vmcnt(9) lgkmcnt(1)
	v_mul_f64 v[138:139], v[2:3], v[84:85]
	v_mul_f64 v[84:85], v[4:5], v[84:85]
	v_add_f64 v[10:11], v[136:137], v[10:11]
	v_add_f64 v[116:117], v[130:131], v[134:135]
	s_waitcnt vmcnt(8) lgkmcnt(0)
	v_mul_f64 v[130:131], v[126:127], v[88:89]
	v_mul_f64 v[88:89], v[128:129], v[88:89]
	v_fma_f64 v[134:135], v[4:5], v[82:83], v[138:139]
	v_fma_f64 v[136:137], v[2:3], v[82:83], -v[84:85]
	ds_load_b128 v[2:5], v1 offset:608
	ds_load_b128 v[82:85], v1 offset:624
	v_add_f64 v[10:11], v[10:11], v[114:115]
	v_add_f64 v[114:115], v[116:117], v[132:133]
	s_waitcnt vmcnt(7) lgkmcnt(1)
	v_mul_f64 v[116:117], v[2:3], v[92:93]
	v_mul_f64 v[92:93], v[4:5], v[92:93]
	v_fma_f64 v[128:129], v[128:129], v[86:87], v[130:131]
	v_fma_f64 v[86:87], v[126:127], v[86:87], -v[88:89]
	v_add_f64 v[10:11], v[10:11], v[136:137]
	v_add_f64 v[88:89], v[114:115], v[134:135]
	s_waitcnt vmcnt(6) lgkmcnt(0)
	v_mul_f64 v[114:115], v[82:83], v[96:97]
	v_mul_f64 v[96:97], v[84:85], v[96:97]
	v_fma_f64 v[116:117], v[4:5], v[90:91], v[116:117]
	v_fma_f64 v[90:91], v[2:3], v[90:91], -v[92:93]
	v_add_f64 v[10:11], v[10:11], v[86:87]
	v_add_f64 v[92:93], v[88:89], v[128:129]
	ds_load_b128 v[2:5], v1 offset:640
	ds_load_b128 v[86:89], v1 offset:656
	v_fma_f64 v[84:85], v[84:85], v[94:95], v[114:115]
	v_fma_f64 v[82:83], v[82:83], v[94:95], -v[96:97]
	s_waitcnt vmcnt(5) lgkmcnt(1)
	v_mul_f64 v[126:127], v[2:3], v[100:101]
	v_mul_f64 v[100:101], v[4:5], v[100:101]
	s_waitcnt vmcnt(4) lgkmcnt(0)
	v_mul_f64 v[94:95], v[88:89], v[104:105]
	v_add_f64 v[10:11], v[10:11], v[90:91]
	v_add_f64 v[90:91], v[92:93], v[116:117]
	v_mul_f64 v[92:93], v[86:87], v[104:105]
	v_fma_f64 v[96:97], v[4:5], v[98:99], v[126:127]
	v_fma_f64 v[98:99], v[2:3], v[98:99], -v[100:101]
	v_fma_f64 v[86:87], v[86:87], v[102:103], -v[94:95]
	v_add_f64 v[10:11], v[10:11], v[82:83]
	v_add_f64 v[90:91], v[90:91], v[84:85]
	ds_load_b128 v[2:5], v1 offset:672
	ds_load_b128 v[82:85], v1 offset:688
	v_fma_f64 v[88:89], v[88:89], v[102:103], v[92:93]
	s_waitcnt vmcnt(3) lgkmcnt(1)
	v_mul_f64 v[100:101], v[2:3], v[108:109]
	v_mul_f64 v[104:105], v[4:5], v[108:109]
	s_waitcnt vmcnt(2) lgkmcnt(0)
	v_mul_f64 v[92:93], v[82:83], v[124:125]
	v_mul_f64 v[94:95], v[84:85], v[124:125]
	v_add_f64 v[10:11], v[10:11], v[98:99]
	v_add_f64 v[90:91], v[90:91], v[96:97]
	v_fma_f64 v[96:97], v[4:5], v[106:107], v[100:101]
	v_fma_f64 v[98:99], v[2:3], v[106:107], -v[104:105]
	v_fma_f64 v[84:85], v[84:85], v[122:123], v[92:93]
	v_fma_f64 v[82:83], v[82:83], v[122:123], -v[94:95]
	v_add_f64 v[10:11], v[10:11], v[86:87]
	v_add_f64 v[90:91], v[90:91], v[88:89]
	ds_load_b128 v[2:5], v1 offset:704
	ds_load_b128 v[86:89], v1 offset:720
	s_waitcnt vmcnt(0) lgkmcnt(1)
	v_mul_f64 v[100:101], v[2:3], v[8:9]
	v_mul_f64 v[8:9], v[4:5], v[8:9]
	s_waitcnt lgkmcnt(0)
	v_mul_f64 v[92:93], v[86:87], v[112:113]
	v_mul_f64 v[94:95], v[88:89], v[112:113]
	v_add_f64 v[10:11], v[10:11], v[98:99]
	v_add_f64 v[90:91], v[90:91], v[96:97]
	v_fma_f64 v[4:5], v[4:5], v[6:7], v[100:101]
	v_fma_f64 v[1:2], v[2:3], v[6:7], -v[8:9]
	s_delay_alu instid0(VALU_DEP_4) | instskip(NEXT) | instid1(VALU_DEP_4)
	v_add_f64 v[6:7], v[10:11], v[82:83]
	v_add_f64 v[8:9], v[90:91], v[84:85]
	v_fma_f64 v[10:11], v[88:89], v[110:111], v[92:93]
	v_fma_f64 v[82:83], v[86:87], v[110:111], -v[94:95]
	s_delay_alu instid0(VALU_DEP_4) | instskip(NEXT) | instid1(VALU_DEP_4)
	v_add_f64 v[1:2], v[6:7], v[1:2]
	v_add_f64 v[3:4], v[8:9], v[4:5]
	s_delay_alu instid0(VALU_DEP_2) | instskip(NEXT) | instid1(VALU_DEP_2)
	v_add_f64 v[1:2], v[1:2], v[82:83]
	v_add_f64 v[3:4], v[3:4], v[10:11]
	s_delay_alu instid0(VALU_DEP_2) | instskip(NEXT) | instid1(VALU_DEP_2)
	v_add_f64 v[1:2], v[118:119], -v[1:2]
	v_add_f64 v[3:4], v[120:121], -v[3:4]
	scratch_store_b128 off, v[1:4], off
	s_cbranch_vccz .LBB22_197
; %bb.152:
	v_dual_mov_b32 v1, s16 :: v_dual_mov_b32 v2, s17
	s_load_b64 s[0:1], s[0:1], 0x4
	flat_load_b32 v1, v[1:2] offset:84
	v_bfe_u32 v2, v0, 10, 10
	v_bfe_u32 v0, v0, 20, 10
	s_waitcnt lgkmcnt(0)
	s_lshr_b32 s0, s0, 16
	s_delay_alu instid0(VALU_DEP_2) | instskip(SKIP_1) | instid1(SALU_CYCLE_1)
	v_mul_u32_u24_e32 v2, s1, v2
	s_mul_i32 s0, s0, s1
	v_mul_u32_u24_e32 v3, s0, v59
	s_mov_b32 s0, exec_lo
	s_delay_alu instid0(VALU_DEP_1) | instskip(NEXT) | instid1(VALU_DEP_1)
	v_add3_u32 v0, v3, v2, v0
	v_lshl_add_u32 v0, v0, 4, 0x2e8
	s_waitcnt vmcnt(0)
	v_cmpx_ne_u32_e32 22, v1
	s_cbranch_execz .LBB22_154
; %bb.153:
	v_lshl_add_u32 v9, v1, 4, 0
	s_clause 0x1
	scratch_load_b128 v[1:4], v81, off
	scratch_load_b128 v[5:8], v9, off offset:-16
	s_waitcnt vmcnt(1)
	ds_store_2addr_b64 v0, v[1:2], v[3:4] offset1:1
	s_waitcnt vmcnt(0)
	s_clause 0x1
	scratch_store_b128 v81, v[5:8], off
	scratch_store_b128 v9, v[1:4], off offset:-16
.LBB22_154:
	s_or_b32 exec_lo, exec_lo, s0
	v_dual_mov_b32 v1, s16 :: v_dual_mov_b32 v2, s17
	s_mov_b32 s0, exec_lo
	flat_load_b32 v1, v[1:2] offset:80
	s_waitcnt vmcnt(0) lgkmcnt(0)
	v_cmpx_ne_u32_e32 21, v1
	s_cbranch_execz .LBB22_156
; %bb.155:
	v_lshl_add_u32 v9, v1, 4, 0
	s_clause 0x1
	scratch_load_b128 v[1:4], v80, off
	scratch_load_b128 v[5:8], v9, off offset:-16
	s_waitcnt vmcnt(1)
	ds_store_2addr_b64 v0, v[1:2], v[3:4] offset1:1
	s_waitcnt vmcnt(0)
	s_clause 0x1
	scratch_store_b128 v80, v[5:8], off
	scratch_store_b128 v9, v[1:4], off offset:-16
.LBB22_156:
	s_or_b32 exec_lo, exec_lo, s0
	v_dual_mov_b32 v1, s16 :: v_dual_mov_b32 v2, s17
	s_mov_b32 s0, exec_lo
	flat_load_b32 v1, v[1:2] offset:76
	s_waitcnt vmcnt(0) lgkmcnt(0)
	;; [unrolled: 19-line block ×20, first 2 shown]
	v_cmpx_ne_u32_e32 2, v1
	s_cbranch_execz .LBB22_194
; %bb.193:
	v_lshl_add_u32 v9, v1, 4, 0
	s_clause 0x1
	scratch_load_b128 v[1:4], v69, off
	scratch_load_b128 v[5:8], v9, off offset:-16
	s_waitcnt vmcnt(1)
	ds_store_2addr_b64 v0, v[1:2], v[3:4] offset1:1
	s_waitcnt vmcnt(0)
	s_clause 0x1
	scratch_store_b128 v69, v[5:8], off
	scratch_store_b128 v9, v[1:4], off offset:-16
.LBB22_194:
	s_or_b32 exec_lo, exec_lo, s0
	v_dual_mov_b32 v1, s16 :: v_dual_mov_b32 v2, s17
	s_mov_b32 s0, exec_lo
	flat_load_b32 v1, v[1:2]
	s_waitcnt vmcnt(0) lgkmcnt(0)
	v_cmpx_ne_u32_e32 1, v1
	s_cbranch_execz .LBB22_196
; %bb.195:
	v_lshl_add_u32 v9, v1, 4, 0
	scratch_load_b128 v[1:4], off, off
	scratch_load_b128 v[5:8], v9, off offset:-16
	s_waitcnt vmcnt(1)
	ds_store_2addr_b64 v0, v[1:2], v[3:4] offset1:1
	s_waitcnt vmcnt(0)
	scratch_store_b128 off, v[5:8], off
	scratch_store_b128 v9, v[1:4], off offset:-16
.LBB22_196:
	s_or_b32 exec_lo, exec_lo, s0
.LBB22_197:
	scratch_load_b128 v[0:3], off, off
	s_clause 0x15
	scratch_load_b128 v[4:7], v69, off
	scratch_load_b128 v[8:11], v64, off
	;; [unrolled: 1-line block ×22, first 2 shown]
	s_waitcnt vmcnt(22)
	global_store_b128 v[13:14], v[0:3], off
	s_waitcnt vmcnt(21)
	global_store_b128 v[15:16], v[4:7], off
	s_waitcnt vmcnt(20)
	global_store_b128 v[17:18], v[8:11], off
	s_waitcnt vmcnt(19)
	global_store_b128 v[19:20], v[82:85], off
	s_waitcnt vmcnt(18)
	global_store_b128 v[21:22], v[86:89], off
	s_waitcnt vmcnt(17)
	global_store_b128 v[23:24], v[90:93], off
	s_waitcnt vmcnt(16)
	global_store_b128 v[25:26], v[94:97], off
	s_waitcnt vmcnt(15)
	global_store_b128 v[27:28], v[98:101], off
	s_waitcnt vmcnt(14)
	global_store_b128 v[29:30], v[59:62], off
	s_waitcnt vmcnt(13)
	global_store_b128 v[31:32], v[102:105], off
	s_waitcnt vmcnt(12)
	global_store_b128 v[33:34], v[66:69], off
	s_waitcnt vmcnt(11)
	global_store_b128 v[35:36], v[106:109], off
	s_waitcnt vmcnt(10)
	global_store_b128 v[37:38], v[110:113], off
	s_waitcnt vmcnt(9)
	global_store_b128 v[39:40], v[114:117], off
	s_waitcnt vmcnt(8)
	global_store_b128 v[41:42], v[118:121], off
	s_waitcnt vmcnt(7)
	global_store_b128 v[43:44], v[70:73], off
	s_waitcnt vmcnt(6)
	global_store_b128 v[45:46], v[122:125], off
	s_waitcnt vmcnt(5)
	global_store_b128 v[47:48], v[126:129], off
	s_waitcnt vmcnt(4)
	global_store_b128 v[49:50], v[130:133], off
	s_waitcnt vmcnt(3)
	global_store_b128 v[51:52], v[74:77], off
	s_waitcnt vmcnt(2)
	global_store_b128 v[53:54], v[134:137], off
	s_waitcnt vmcnt(1)
	global_store_b128 v[55:56], v[138:141], off
	s_waitcnt vmcnt(0)
	global_store_b128 v[57:58], v[78:81], off
	s_endpgm
	.section	.rodata,"a",@progbits
	.p2align	6, 0x0
	.amdhsa_kernel _ZN9rocsolver6v33100L18getri_kernel_smallILi23E19rocblas_complex_numIdEPS3_EEvT1_iilPiilS6_bb
		.amdhsa_group_segment_fixed_size 1768
		.amdhsa_private_segment_fixed_size 384
		.amdhsa_kernarg_size 60
		.amdhsa_user_sgpr_count 15
		.amdhsa_user_sgpr_dispatch_ptr 1
		.amdhsa_user_sgpr_queue_ptr 0
		.amdhsa_user_sgpr_kernarg_segment_ptr 1
		.amdhsa_user_sgpr_dispatch_id 0
		.amdhsa_user_sgpr_private_segment_size 0
		.amdhsa_wavefront_size32 1
		.amdhsa_uses_dynamic_stack 0
		.amdhsa_enable_private_segment 1
		.amdhsa_system_sgpr_workgroup_id_x 1
		.amdhsa_system_sgpr_workgroup_id_y 0
		.amdhsa_system_sgpr_workgroup_id_z 0
		.amdhsa_system_sgpr_workgroup_info 0
		.amdhsa_system_vgpr_workitem_id 2
		.amdhsa_next_free_vgpr 143
		.amdhsa_next_free_sgpr 22
		.amdhsa_reserve_vcc 1
		.amdhsa_float_round_mode_32 0
		.amdhsa_float_round_mode_16_64 0
		.amdhsa_float_denorm_mode_32 3
		.amdhsa_float_denorm_mode_16_64 3
		.amdhsa_dx10_clamp 1
		.amdhsa_ieee_mode 1
		.amdhsa_fp16_overflow 0
		.amdhsa_workgroup_processor_mode 1
		.amdhsa_memory_ordered 1
		.amdhsa_forward_progress 0
		.amdhsa_shared_vgpr_count 0
		.amdhsa_exception_fp_ieee_invalid_op 0
		.amdhsa_exception_fp_denorm_src 0
		.amdhsa_exception_fp_ieee_div_zero 0
		.amdhsa_exception_fp_ieee_overflow 0
		.amdhsa_exception_fp_ieee_underflow 0
		.amdhsa_exception_fp_ieee_inexact 0
		.amdhsa_exception_int_div_zero 0
	.end_amdhsa_kernel
	.section	.text._ZN9rocsolver6v33100L18getri_kernel_smallILi23E19rocblas_complex_numIdEPS3_EEvT1_iilPiilS6_bb,"axG",@progbits,_ZN9rocsolver6v33100L18getri_kernel_smallILi23E19rocblas_complex_numIdEPS3_EEvT1_iilPiilS6_bb,comdat
.Lfunc_end22:
	.size	_ZN9rocsolver6v33100L18getri_kernel_smallILi23E19rocblas_complex_numIdEPS3_EEvT1_iilPiilS6_bb, .Lfunc_end22-_ZN9rocsolver6v33100L18getri_kernel_smallILi23E19rocblas_complex_numIdEPS3_EEvT1_iilPiilS6_bb
                                        ; -- End function
	.section	.AMDGPU.csdata,"",@progbits
; Kernel info:
; codeLenInByte = 31704
; NumSgprs: 24
; NumVgprs: 143
; ScratchSize: 384
; MemoryBound: 0
; FloatMode: 240
; IeeeMode: 1
; LDSByteSize: 1768 bytes/workgroup (compile time only)
; SGPRBlocks: 2
; VGPRBlocks: 17
; NumSGPRsForWavesPerEU: 24
; NumVGPRsForWavesPerEU: 143
; Occupancy: 10
; WaveLimiterHint : 1
; COMPUTE_PGM_RSRC2:SCRATCH_EN: 1
; COMPUTE_PGM_RSRC2:USER_SGPR: 15
; COMPUTE_PGM_RSRC2:TRAP_HANDLER: 0
; COMPUTE_PGM_RSRC2:TGID_X_EN: 1
; COMPUTE_PGM_RSRC2:TGID_Y_EN: 0
; COMPUTE_PGM_RSRC2:TGID_Z_EN: 0
; COMPUTE_PGM_RSRC2:TIDIG_COMP_CNT: 2
	.section	.text._ZN9rocsolver6v33100L18getri_kernel_smallILi24E19rocblas_complex_numIdEPS3_EEvT1_iilPiilS6_bb,"axG",@progbits,_ZN9rocsolver6v33100L18getri_kernel_smallILi24E19rocblas_complex_numIdEPS3_EEvT1_iilPiilS6_bb,comdat
	.globl	_ZN9rocsolver6v33100L18getri_kernel_smallILi24E19rocblas_complex_numIdEPS3_EEvT1_iilPiilS6_bb ; -- Begin function _ZN9rocsolver6v33100L18getri_kernel_smallILi24E19rocblas_complex_numIdEPS3_EEvT1_iilPiilS6_bb
	.p2align	8
	.type	_ZN9rocsolver6v33100L18getri_kernel_smallILi24E19rocblas_complex_numIdEPS3_EEvT1_iilPiilS6_bb,@function
_ZN9rocsolver6v33100L18getri_kernel_smallILi24E19rocblas_complex_numIdEPS3_EEvT1_iilPiilS6_bb: ; @_ZN9rocsolver6v33100L18getri_kernel_smallILi24E19rocblas_complex_numIdEPS3_EEvT1_iilPiilS6_bb
; %bb.0:
	v_and_b32_e32 v65, 0x3ff, v0
	s_mov_b32 s4, exec_lo
	s_delay_alu instid0(VALU_DEP_1)
	v_cmpx_gt_u32_e32 24, v65
	s_cbranch_execz .LBB23_110
; %bb.1:
	s_mov_b32 s18, s15
	s_clause 0x2
	s_load_b32 s21, s[2:3], 0x38
	s_load_b128 s[12:15], s[2:3], 0x10
	s_load_b128 s[4:7], s[2:3], 0x28
                                        ; implicit-def: $sgpr16_sgpr17
	s_waitcnt lgkmcnt(0)
	s_bitcmp1_b32 s21, 8
	s_cselect_b32 s20, -1, 0
	s_bfe_u32 s8, s21, 0x10008
	s_ashr_i32 s19, s18, 31
	s_cmp_eq_u32 s8, 0
	s_cbranch_scc1 .LBB23_3
; %bb.2:
	s_load_b32 s8, s[2:3], 0x20
	s_mul_i32 s5, s18, s5
	s_mul_hi_u32 s9, s18, s4
	s_mul_i32 s10, s19, s4
	s_add_i32 s5, s9, s5
	s_mul_i32 s4, s18, s4
	s_add_i32 s5, s5, s10
	s_delay_alu instid0(SALU_CYCLE_1)
	s_lshl_b64 s[4:5], s[4:5], 2
	s_waitcnt lgkmcnt(0)
	s_ashr_i32 s9, s8, 31
	s_add_u32 s10, s14, s4
	s_addc_u32 s11, s15, s5
	s_lshl_b64 s[4:5], s[8:9], 2
	s_delay_alu instid0(SALU_CYCLE_1)
	s_add_u32 s16, s10, s4
	s_addc_u32 s17, s11, s5
.LBB23_3:
	s_load_b128 s[8:11], s[2:3], 0x0
	s_mul_i32 s2, s18, s13
	s_mul_hi_u32 s3, s18, s12
	s_mul_i32 s4, s19, s12
	s_add_i32 s3, s3, s2
	s_mul_i32 s2, s18, s12
	s_add_i32 s3, s3, s4
	v_lshlrev_b32_e32 v13, 4, v65
	s_lshl_b64 s[2:3], s[2:3], 4
	v_add_nc_u32_e64 v69, 0, 16
	v_add_nc_u32_e64 v67, 0, 32
	;; [unrolled: 1-line block ×4, first 2 shown]
	s_waitcnt lgkmcnt(0)
	s_ashr_i32 s5, s10, 31
	s_mov_b32 s4, s10
	s_add_u32 s8, s8, s2
	s_addc_u32 s9, s9, s3
	s_lshl_b64 s[2:3], s[4:5], 4
	s_mov_b32 s4, s11
	s_add_u32 s2, s8, s2
	s_addc_u32 s3, s9, s3
	v_add_co_u32 v17, s8, s2, v13
	s_ashr_i32 s5, s11, 31
	v_add_co_ci_u32_e64 v18, null, s3, 0, s8
	s_lshl_b64 s[4:5], s[4:5], 4
	global_load_b128 v[1:4], v13, s[2:3]
	v_add_co_u32 v19, vcc_lo, v17, s4
	v_add_co_ci_u32_e32 v20, vcc_lo, s5, v18, vcc_lo
	v_add3_u32 v9, s11, s11, v65
	s_movk_i32 s4, 0x70
	s_movk_i32 s5, 0x80
	global_load_b128 v[5:8], v[19:20], off
	v_add_nc_u32_e64 v71, s4, 0
	v_add_nc_u32_e32 v11, s11, v9
	v_ashrrev_i32_e32 v10, 31, v9
	s_bitcmp0_b32 s21, 0
	s_delay_alu instid0(VALU_DEP_2) | instskip(SKIP_1) | instid1(VALU_DEP_3)
	v_add_nc_u32_e32 v14, s11, v11
	v_ashrrev_i32_e32 v12, 31, v11
	v_lshlrev_b64 v[9:10], 4, v[9:10]
	s_delay_alu instid0(VALU_DEP_3) | instskip(SKIP_1) | instid1(VALU_DEP_4)
	v_add_nc_u32_e32 v25, s11, v14
	v_ashrrev_i32_e32 v15, 31, v14
	v_lshlrev_b64 v[11:12], 4, v[11:12]
	s_delay_alu instid0(VALU_DEP_4) | instskip(NEXT) | instid1(VALU_DEP_4)
	v_add_co_u32 v21, vcc_lo, s2, v9
	v_add_nc_u32_e32 v27, s11, v25
	s_delay_alu instid0(VALU_DEP_4) | instskip(SKIP_2) | instid1(VALU_DEP_4)
	v_lshlrev_b64 v[14:15], 4, v[14:15]
	v_ashrrev_i32_e32 v26, 31, v25
	v_add_co_ci_u32_e32 v22, vcc_lo, s3, v10, vcc_lo
	v_add_nc_u32_e32 v29, s11, v27
	v_add_co_u32 v23, vcc_lo, s2, v11
	v_add_co_ci_u32_e32 v24, vcc_lo, s3, v12, vcc_lo
	v_lshlrev_b64 v[31:32], 4, v[25:26]
	v_add_co_u32 v25, vcc_lo, s2, v14
	v_add_nc_u32_e32 v14, s11, v29
	v_ashrrev_i32_e32 v28, 31, v27
	v_ashrrev_i32_e32 v30, 31, v29
	v_add_co_ci_u32_e32 v26, vcc_lo, s3, v15, vcc_lo
	s_delay_alu instid0(VALU_DEP_4) | instskip(NEXT) | instid1(VALU_DEP_4)
	v_add_nc_u32_e32 v35, s11, v14
	v_lshlrev_b64 v[33:34], 4, v[27:28]
	v_add_co_u32 v27, vcc_lo, s2, v31
	v_ashrrev_i32_e32 v15, 31, v14
	s_delay_alu instid0(VALU_DEP_4)
	v_add_nc_u32_e32 v37, s11, v35
	v_add_co_ci_u32_e32 v28, vcc_lo, s3, v32, vcc_lo
	v_lshlrev_b64 v[31:32], 4, v[29:30]
	v_add_co_u32 v29, vcc_lo, s2, v33
	v_lshlrev_b64 v[14:15], 4, v[14:15]
	v_add_nc_u32_e32 v39, s11, v37
	v_add_co_ci_u32_e32 v30, vcc_lo, s3, v34, vcc_lo
	v_add_co_u32 v31, vcc_lo, s2, v31
	v_add_co_ci_u32_e32 v32, vcc_lo, s3, v32, vcc_lo
	v_ashrrev_i32_e32 v36, 31, v35
	v_add_co_u32 v33, vcc_lo, s2, v14
	v_add_nc_u32_e32 v14, s11, v39
	v_ashrrev_i32_e32 v38, 31, v37
	s_delay_alu instid0(VALU_DEP_4)
	v_lshlrev_b64 v[35:36], 4, v[35:36]
	v_ashrrev_i32_e32 v40, 31, v39
	v_add_co_ci_u32_e32 v34, vcc_lo, s3, v15, vcc_lo
	v_add_nc_u32_e32 v41, s11, v14
	v_lshlrev_b64 v[37:38], 4, v[37:38]
	v_ashrrev_i32_e32 v15, 31, v14
	v_add_co_u32 v35, vcc_lo, s2, v35
	s_delay_alu instid0(VALU_DEP_4)
	v_add_nc_u32_e32 v43, s11, v41
	v_lshlrev_b64 v[39:40], 4, v[39:40]
	v_add_co_ci_u32_e32 v36, vcc_lo, s3, v36, vcc_lo
	v_add_co_u32 v37, vcc_lo, s2, v37
	v_lshlrev_b64 v[14:15], 4, v[14:15]
	v_ashrrev_i32_e32 v42, 31, v41
	v_add_nc_u32_e32 v45, s11, v43
	v_add_co_ci_u32_e32 v38, vcc_lo, s3, v38, vcc_lo
	v_add_co_u32 v39, vcc_lo, s2, v39
	v_add_co_ci_u32_e32 v40, vcc_lo, s3, v40, vcc_lo
	v_lshlrev_b64 v[47:48], 4, v[41:42]
	v_add_co_u32 v41, vcc_lo, s2, v14
	v_add_nc_u32_e32 v14, s11, v45
	v_ashrrev_i32_e32 v44, 31, v43
	v_ashrrev_i32_e32 v46, 31, v45
	v_add_co_ci_u32_e32 v42, vcc_lo, s3, v15, vcc_lo
	s_delay_alu instid0(VALU_DEP_4) | instskip(NEXT) | instid1(VALU_DEP_4)
	v_add_nc_u32_e32 v51, s11, v14
	v_lshlrev_b64 v[49:50], 4, v[43:44]
	v_add_co_u32 v43, vcc_lo, s2, v47
	v_ashrrev_i32_e32 v15, 31, v14
	s_delay_alu instid0(VALU_DEP_4)
	v_add_nc_u32_e32 v53, s11, v51
	v_add_co_ci_u32_e32 v44, vcc_lo, s3, v48, vcc_lo
	v_lshlrev_b64 v[47:48], 4, v[45:46]
	v_add_co_u32 v45, vcc_lo, s2, v49
	v_lshlrev_b64 v[14:15], 4, v[14:15]
	v_add_nc_u32_e32 v55, s11, v53
	v_add_co_ci_u32_e32 v46, vcc_lo, s3, v50, vcc_lo
	v_add_co_u32 v47, vcc_lo, s2, v47
	v_add_co_ci_u32_e32 v48, vcc_lo, s3, v48, vcc_lo
	v_add_co_u32 v49, vcc_lo, s2, v14
	v_add_nc_u32_e32 v14, s11, v55
	v_ashrrev_i32_e32 v52, 31, v51
	v_ashrrev_i32_e32 v54, 31, v53
	;; [unrolled: 1-line block ×3, first 2 shown]
	v_add_co_ci_u32_e32 v50, vcc_lo, s3, v15, vcc_lo
	v_add_nc_u32_e32 v57, s11, v14
	v_lshlrev_b64 v[51:52], 4, v[51:52]
	v_lshlrev_b64 v[53:54], 4, v[53:54]
	v_ashrrev_i32_e32 v15, 31, v14
	v_lshlrev_b64 v[55:56], 4, v[55:56]
	v_add_nc_u32_e32 v59, s11, v57
	v_ashrrev_i32_e32 v58, 31, v57
	v_add_co_u32 v51, vcc_lo, s2, v51
	v_add_co_ci_u32_e32 v52, vcc_lo, s3, v52, vcc_lo
	s_delay_alu instid0(VALU_DEP_4) | instskip(SKIP_3) | instid1(VALU_DEP_4)
	v_add_nc_u32_e32 v61, s11, v59
	v_add_co_u32 v53, vcc_lo, s2, v53
	v_lshlrev_b64 v[14:15], 4, v[14:15]
	v_add_co_ci_u32_e32 v54, vcc_lo, s3, v54, vcc_lo
	v_ashrrev_i32_e32 v62, 31, v61
	s_clause 0xc
	global_load_b128 v[9:12], v[21:22], off
	global_load_b128 v[73:76], v[23:24], off
	;; [unrolled: 1-line block ×13, first 2 shown]
	v_add_co_u32 v55, vcc_lo, s2, v55
	v_lshlrev_b64 v[61:62], 4, v[61:62]
	s_clause 0x1
	global_load_b128 v[121:124], v[47:48], off
	global_load_b128 v[125:128], v[49:50], off
	v_ashrrev_i32_e32 v60, 31, v59
	v_add_co_ci_u32_e32 v56, vcc_lo, s3, v56, vcc_lo
	v_lshlrev_b64 v[63:64], 4, v[57:58]
	v_add_co_u32 v57, vcc_lo, s2, v14
	v_add_co_ci_u32_e32 v58, vcc_lo, s3, v15, vcc_lo
	v_lshlrev_b64 v[14:15], 4, v[59:60]
	v_add_co_u32 v59, vcc_lo, s2, v61
	v_add_co_ci_u32_e32 v60, vcc_lo, s3, v62, vcc_lo
	v_add_co_u32 v61, vcc_lo, s2, v63
	v_add_co_ci_u32_e32 v62, vcc_lo, s3, v64, vcc_lo
	;; [unrolled: 2-line block ×3, first 2 shown]
	s_clause 0x4
	global_load_b128 v[129:132], v[51:52], off
	global_load_b128 v[133:136], v[53:54], off
	;; [unrolled: 1-line block ×5, first 2 shown]
	s_movk_i32 s2, 0x50
	s_movk_i32 s3, 0x60
	v_add_nc_u32_e64 v72, s2, 0
	s_movk_i32 s2, 0x90
	v_add_nc_u32_e64 v70, s3, 0
	s_movk_i32 s3, 0xa0
	s_waitcnt vmcnt(21)
	scratch_store_b128 off, v[1:4], off
	global_load_b128 v[1:4], v[61:62], off
	s_waitcnt vmcnt(21)
	scratch_store_b128 off, v[5:8], off offset:16
	global_load_b128 v[5:8], v[63:64], off
	s_waitcnt vmcnt(21)
	scratch_store_b128 off, v[9:12], off offset:32
	s_waitcnt vmcnt(20)
	scratch_store_b128 off, v[73:76], off offset:48
	;; [unrolled: 2-line block ×14, first 2 shown]
	v_add_nc_u32_e64 v79, s2, 0
	s_movk_i32 s2, 0xb0
	v_add_nc_u32_e64 v75, s3, 0
	s_movk_i32 s3, 0xc0
	;; [unrolled: 2-line block ×9, first 2 shown]
	v_add_nc_u32_e64 v88, s3, 0
	v_add_nc_u32_e64 v87, s2, 0
	s_movk_i32 s2, 0x140
	s_movk_i32 s3, 0x150
	v_add_nc_u32_e64 v74, s2, 0
	v_add_nc_u32_e64 v73, s3, 0
	s_movk_i32 s2, 0x160
	s_movk_i32 s3, 0x170
	v_add_nc_u32_e64 v76, s5, 0
	v_add_nc_u32_e64 v81, s2, 0
	;; [unrolled: 1-line block ×3, first 2 shown]
	s_mov_b32 s3, -1
	s_waitcnt vmcnt(7)
	scratch_store_b128 off, v[125:128], off offset:256
	s_waitcnt vmcnt(6)
	scratch_store_b128 off, v[129:132], off offset:272
	;; [unrolled: 2-line block ×6, first 2 shown]
	s_waitcnt vmcnt(0)
	s_clause 0x1
	scratch_store_b128 off, v[5:8], off offset:352
	scratch_store_b128 off, v[145:148], off offset:368
	s_cbranch_scc1 .LBB23_108
; %bb.4:
	v_cmp_eq_u32_e64 s2, 0, v65
	s_delay_alu instid0(VALU_DEP_1)
	s_and_saveexec_b32 s3, s2
	s_cbranch_execz .LBB23_6
; %bb.5:
	v_mov_b32_e32 v1, 0
	ds_store_b32 v1, v1 offset:768
.LBB23_6:
	s_or_b32 exec_lo, exec_lo, s3
	s_waitcnt lgkmcnt(0)
	s_waitcnt_vscnt null, 0x0
	s_barrier
	buffer_gl0_inv
	scratch_load_b128 v[1:4], v13, off
	s_waitcnt vmcnt(0)
	v_cmp_eq_f64_e32 vcc_lo, 0, v[1:2]
	v_cmp_eq_f64_e64 s3, 0, v[3:4]
	s_delay_alu instid0(VALU_DEP_1) | instskip(NEXT) | instid1(SALU_CYCLE_1)
	s_and_b32 s3, vcc_lo, s3
	s_and_saveexec_b32 s4, s3
	s_cbranch_execz .LBB23_10
; %bb.7:
	v_mov_b32_e32 v1, 0
	s_mov_b32 s5, 0
	ds_load_b32 v2, v1 offset:768
	s_waitcnt lgkmcnt(0)
	v_readfirstlane_b32 s3, v2
	v_add_nc_u32_e32 v2, 1, v65
	s_delay_alu instid0(VALU_DEP_2) | instskip(NEXT) | instid1(VALU_DEP_1)
	s_cmp_eq_u32 s3, 0
	v_cmp_gt_i32_e32 vcc_lo, s3, v2
	s_cselect_b32 s8, -1, 0
	s_delay_alu instid0(SALU_CYCLE_1) | instskip(NEXT) | instid1(SALU_CYCLE_1)
	s_or_b32 s8, s8, vcc_lo
	s_and_b32 exec_lo, exec_lo, s8
	s_cbranch_execz .LBB23_10
; %bb.8:
	v_mov_b32_e32 v3, s3
.LBB23_9:                               ; =>This Inner Loop Header: Depth=1
	ds_cmpstore_rtn_b32 v3, v1, v2, v3 offset:768
	s_waitcnt lgkmcnt(0)
	v_cmp_ne_u32_e32 vcc_lo, 0, v3
	v_cmp_le_i32_e64 s3, v3, v2
	s_delay_alu instid0(VALU_DEP_1) | instskip(NEXT) | instid1(SALU_CYCLE_1)
	s_and_b32 s3, vcc_lo, s3
	s_and_b32 s3, exec_lo, s3
	s_delay_alu instid0(SALU_CYCLE_1) | instskip(NEXT) | instid1(SALU_CYCLE_1)
	s_or_b32 s5, s3, s5
	s_and_not1_b32 exec_lo, exec_lo, s5
	s_cbranch_execnz .LBB23_9
.LBB23_10:
	s_or_b32 exec_lo, exec_lo, s4
	v_mov_b32_e32 v1, 0
	s_barrier
	buffer_gl0_inv
	ds_load_b32 v2, v1 offset:768
	s_and_saveexec_b32 s3, s2
	s_cbranch_execz .LBB23_12
; %bb.11:
	s_lshl_b64 s[4:5], s[18:19], 2
	s_delay_alu instid0(SALU_CYCLE_1)
	s_add_u32 s4, s6, s4
	s_addc_u32 s5, s7, s5
	s_waitcnt lgkmcnt(0)
	global_store_b32 v1, v2, s[4:5]
.LBB23_12:
	s_or_b32 exec_lo, exec_lo, s3
	s_waitcnt lgkmcnt(0)
	v_cmp_ne_u32_e32 vcc_lo, 0, v2
	s_mov_b32 s3, 0
	s_cbranch_vccnz .LBB23_108
; %bb.13:
	v_add_nc_u32_e32 v14, 0, v13
                                        ; implicit-def: $vgpr9_vgpr10
	scratch_load_b128 v[1:4], v14, off
	s_waitcnt vmcnt(0)
	v_mov_b32_e32 v5, v1
	v_cmp_gt_f64_e32 vcc_lo, 0, v[1:2]
	v_xor_b32_e32 v6, 0x80000000, v2
	v_xor_b32_e32 v7, 0x80000000, v4
	s_delay_alu instid0(VALU_DEP_2) | instskip(SKIP_1) | instid1(VALU_DEP_3)
	v_cndmask_b32_e32 v6, v2, v6, vcc_lo
	v_cmp_gt_f64_e32 vcc_lo, 0, v[3:4]
	v_dual_cndmask_b32 v8, v4, v7 :: v_dual_mov_b32 v7, v3
	s_delay_alu instid0(VALU_DEP_1) | instskip(SKIP_1) | instid1(SALU_CYCLE_1)
	v_cmp_ngt_f64_e32 vcc_lo, v[5:6], v[7:8]
                                        ; implicit-def: $vgpr5_vgpr6
	s_and_saveexec_b32 s3, vcc_lo
	s_xor_b32 s3, exec_lo, s3
	s_cbranch_execz .LBB23_15
; %bb.14:
	v_div_scale_f64 v[5:6], null, v[3:4], v[3:4], v[1:2]
	v_div_scale_f64 v[11:12], vcc_lo, v[1:2], v[3:4], v[1:2]
	s_delay_alu instid0(VALU_DEP_2) | instskip(SKIP_2) | instid1(VALU_DEP_1)
	v_rcp_f64_e32 v[7:8], v[5:6]
	s_waitcnt_depctr 0xfff
	v_fma_f64 v[9:10], -v[5:6], v[7:8], 1.0
	v_fma_f64 v[7:8], v[7:8], v[9:10], v[7:8]
	s_delay_alu instid0(VALU_DEP_1) | instskip(NEXT) | instid1(VALU_DEP_1)
	v_fma_f64 v[9:10], -v[5:6], v[7:8], 1.0
	v_fma_f64 v[7:8], v[7:8], v[9:10], v[7:8]
	s_delay_alu instid0(VALU_DEP_1) | instskip(NEXT) | instid1(VALU_DEP_1)
	v_mul_f64 v[9:10], v[11:12], v[7:8]
	v_fma_f64 v[5:6], -v[5:6], v[9:10], v[11:12]
	s_delay_alu instid0(VALU_DEP_1) | instskip(NEXT) | instid1(VALU_DEP_1)
	v_div_fmas_f64 v[5:6], v[5:6], v[7:8], v[9:10]
	v_div_fixup_f64 v[5:6], v[5:6], v[3:4], v[1:2]
	s_delay_alu instid0(VALU_DEP_1) | instskip(NEXT) | instid1(VALU_DEP_1)
	v_fma_f64 v[1:2], v[1:2], v[5:6], v[3:4]
	v_div_scale_f64 v[3:4], null, v[1:2], v[1:2], 1.0
	v_div_scale_f64 v[11:12], vcc_lo, 1.0, v[1:2], 1.0
	s_delay_alu instid0(VALU_DEP_2) | instskip(SKIP_2) | instid1(VALU_DEP_1)
	v_rcp_f64_e32 v[7:8], v[3:4]
	s_waitcnt_depctr 0xfff
	v_fma_f64 v[9:10], -v[3:4], v[7:8], 1.0
	v_fma_f64 v[7:8], v[7:8], v[9:10], v[7:8]
	s_delay_alu instid0(VALU_DEP_1) | instskip(NEXT) | instid1(VALU_DEP_1)
	v_fma_f64 v[9:10], -v[3:4], v[7:8], 1.0
	v_fma_f64 v[7:8], v[7:8], v[9:10], v[7:8]
	s_delay_alu instid0(VALU_DEP_1) | instskip(NEXT) | instid1(VALU_DEP_1)
	v_mul_f64 v[9:10], v[11:12], v[7:8]
	v_fma_f64 v[3:4], -v[3:4], v[9:10], v[11:12]
	s_delay_alu instid0(VALU_DEP_1) | instskip(NEXT) | instid1(VALU_DEP_1)
	v_div_fmas_f64 v[3:4], v[3:4], v[7:8], v[9:10]
	v_div_fixup_f64 v[7:8], v[3:4], v[1:2], 1.0
                                        ; implicit-def: $vgpr1_vgpr2
	s_delay_alu instid0(VALU_DEP_1) | instskip(SKIP_1) | instid1(VALU_DEP_2)
	v_mul_f64 v[5:6], v[5:6], v[7:8]
	v_xor_b32_e32 v8, 0x80000000, v8
	v_xor_b32_e32 v10, 0x80000000, v6
	s_delay_alu instid0(VALU_DEP_3)
	v_mov_b32_e32 v9, v5
.LBB23_15:
	s_and_not1_saveexec_b32 s3, s3
	s_cbranch_execz .LBB23_17
; %bb.16:
	v_div_scale_f64 v[5:6], null, v[1:2], v[1:2], v[3:4]
	v_div_scale_f64 v[11:12], vcc_lo, v[3:4], v[1:2], v[3:4]
	s_delay_alu instid0(VALU_DEP_2) | instskip(SKIP_2) | instid1(VALU_DEP_1)
	v_rcp_f64_e32 v[7:8], v[5:6]
	s_waitcnt_depctr 0xfff
	v_fma_f64 v[9:10], -v[5:6], v[7:8], 1.0
	v_fma_f64 v[7:8], v[7:8], v[9:10], v[7:8]
	s_delay_alu instid0(VALU_DEP_1) | instskip(NEXT) | instid1(VALU_DEP_1)
	v_fma_f64 v[9:10], -v[5:6], v[7:8], 1.0
	v_fma_f64 v[7:8], v[7:8], v[9:10], v[7:8]
	s_delay_alu instid0(VALU_DEP_1) | instskip(NEXT) | instid1(VALU_DEP_1)
	v_mul_f64 v[9:10], v[11:12], v[7:8]
	v_fma_f64 v[5:6], -v[5:6], v[9:10], v[11:12]
	s_delay_alu instid0(VALU_DEP_1) | instskip(NEXT) | instid1(VALU_DEP_1)
	v_div_fmas_f64 v[5:6], v[5:6], v[7:8], v[9:10]
	v_div_fixup_f64 v[7:8], v[5:6], v[1:2], v[3:4]
	s_delay_alu instid0(VALU_DEP_1) | instskip(NEXT) | instid1(VALU_DEP_1)
	v_fma_f64 v[1:2], v[3:4], v[7:8], v[1:2]
	v_div_scale_f64 v[3:4], null, v[1:2], v[1:2], 1.0
	s_delay_alu instid0(VALU_DEP_1) | instskip(SKIP_2) | instid1(VALU_DEP_1)
	v_rcp_f64_e32 v[5:6], v[3:4]
	s_waitcnt_depctr 0xfff
	v_fma_f64 v[9:10], -v[3:4], v[5:6], 1.0
	v_fma_f64 v[5:6], v[5:6], v[9:10], v[5:6]
	s_delay_alu instid0(VALU_DEP_1) | instskip(NEXT) | instid1(VALU_DEP_1)
	v_fma_f64 v[9:10], -v[3:4], v[5:6], 1.0
	v_fma_f64 v[5:6], v[5:6], v[9:10], v[5:6]
	v_div_scale_f64 v[9:10], vcc_lo, 1.0, v[1:2], 1.0
	s_delay_alu instid0(VALU_DEP_1) | instskip(NEXT) | instid1(VALU_DEP_1)
	v_mul_f64 v[11:12], v[9:10], v[5:6]
	v_fma_f64 v[3:4], -v[3:4], v[11:12], v[9:10]
	s_delay_alu instid0(VALU_DEP_1) | instskip(NEXT) | instid1(VALU_DEP_1)
	v_div_fmas_f64 v[3:4], v[3:4], v[5:6], v[11:12]
	v_div_fixup_f64 v[5:6], v[3:4], v[1:2], 1.0
	s_delay_alu instid0(VALU_DEP_1)
	v_mul_f64 v[7:8], v[7:8], -v[5:6]
	v_xor_b32_e32 v10, 0x80000000, v6
	v_mov_b32_e32 v9, v5
.LBB23_17:
	s_or_b32 exec_lo, exec_lo, s3
	scratch_store_b128 v14, v[5:8], off
	scratch_load_b128 v[1:4], v69, off
	v_xor_b32_e32 v12, 0x80000000, v8
	v_mov_b32_e32 v11, v7
	v_add_nc_u32_e32 v5, 0x180, v13
	ds_store_b128 v13, v[9:12]
	s_waitcnt vmcnt(0)
	ds_store_b128 v13, v[1:4] offset:384
	s_waitcnt lgkmcnt(0)
	s_waitcnt_vscnt null, 0x0
	s_barrier
	buffer_gl0_inv
	s_and_saveexec_b32 s3, s2
	s_cbranch_execz .LBB23_19
; %bb.18:
	scratch_load_b128 v[1:4], v14, off
	ds_load_b128 v[6:9], v5
	v_mov_b32_e32 v10, 0
	ds_load_b128 v[89:92], v10 offset:16
	s_waitcnt vmcnt(0) lgkmcnt(1)
	v_mul_f64 v[10:11], v[6:7], v[3:4]
	v_mul_f64 v[3:4], v[8:9], v[3:4]
	s_delay_alu instid0(VALU_DEP_2) | instskip(NEXT) | instid1(VALU_DEP_2)
	v_fma_f64 v[8:9], v[8:9], v[1:2], v[10:11]
	v_fma_f64 v[1:2], v[6:7], v[1:2], -v[3:4]
	s_delay_alu instid0(VALU_DEP_2) | instskip(NEXT) | instid1(VALU_DEP_2)
	v_add_f64 v[3:4], v[8:9], 0
	v_add_f64 v[1:2], v[1:2], 0
	s_waitcnt lgkmcnt(0)
	s_delay_alu instid0(VALU_DEP_2) | instskip(NEXT) | instid1(VALU_DEP_2)
	v_mul_f64 v[6:7], v[3:4], v[91:92]
	v_mul_f64 v[8:9], v[1:2], v[91:92]
	s_delay_alu instid0(VALU_DEP_2) | instskip(NEXT) | instid1(VALU_DEP_2)
	v_fma_f64 v[1:2], v[1:2], v[89:90], -v[6:7]
	v_fma_f64 v[3:4], v[3:4], v[89:90], v[8:9]
	scratch_store_b128 off, v[1:4], off offset:16
.LBB23_19:
	s_or_b32 exec_lo, exec_lo, s3
	s_waitcnt_vscnt null, 0x0
	s_barrier
	buffer_gl0_inv
	scratch_load_b128 v[1:4], v67, off
	s_mov_b32 s3, exec_lo
	s_waitcnt vmcnt(0)
	ds_store_b128 v5, v[1:4]
	s_waitcnt lgkmcnt(0)
	s_barrier
	buffer_gl0_inv
	v_cmpx_gt_u32_e32 2, v65
	s_cbranch_execz .LBB23_23
; %bb.20:
	scratch_load_b128 v[1:4], v14, off
	ds_load_b128 v[6:9], v5
	s_waitcnt vmcnt(0) lgkmcnt(0)
	v_mul_f64 v[10:11], v[8:9], v[3:4]
	v_mul_f64 v[3:4], v[6:7], v[3:4]
	s_delay_alu instid0(VALU_DEP_2) | instskip(NEXT) | instid1(VALU_DEP_2)
	v_fma_f64 v[6:7], v[6:7], v[1:2], -v[10:11]
	v_fma_f64 v[3:4], v[8:9], v[1:2], v[3:4]
	s_delay_alu instid0(VALU_DEP_2) | instskip(NEXT) | instid1(VALU_DEP_2)
	v_add_f64 v[1:2], v[6:7], 0
	v_add_f64 v[3:4], v[3:4], 0
	s_and_saveexec_b32 s4, s2
	s_cbranch_execz .LBB23_22
; %bb.21:
	scratch_load_b128 v[6:9], off, off offset:16
	v_mov_b32_e32 v10, 0
	ds_load_b128 v[89:92], v10 offset:400
	s_waitcnt vmcnt(0) lgkmcnt(0)
	v_mul_f64 v[10:11], v[89:90], v[8:9]
	v_mul_f64 v[8:9], v[91:92], v[8:9]
	s_delay_alu instid0(VALU_DEP_2) | instskip(NEXT) | instid1(VALU_DEP_2)
	v_fma_f64 v[10:11], v[91:92], v[6:7], v[10:11]
	v_fma_f64 v[6:7], v[89:90], v[6:7], -v[8:9]
	s_delay_alu instid0(VALU_DEP_2) | instskip(NEXT) | instid1(VALU_DEP_2)
	v_add_f64 v[3:4], v[3:4], v[10:11]
	v_add_f64 v[1:2], v[1:2], v[6:7]
.LBB23_22:
	s_or_b32 exec_lo, exec_lo, s4
	v_mov_b32_e32 v6, 0
	ds_load_b128 v[6:9], v6 offset:32
	s_waitcnt lgkmcnt(0)
	v_mul_f64 v[10:11], v[3:4], v[8:9]
	v_mul_f64 v[8:9], v[1:2], v[8:9]
	s_delay_alu instid0(VALU_DEP_2) | instskip(NEXT) | instid1(VALU_DEP_2)
	v_fma_f64 v[1:2], v[1:2], v[6:7], -v[10:11]
	v_fma_f64 v[3:4], v[3:4], v[6:7], v[8:9]
	scratch_store_b128 off, v[1:4], off offset:32
.LBB23_23:
	s_or_b32 exec_lo, exec_lo, s3
	s_waitcnt_vscnt null, 0x0
	s_barrier
	buffer_gl0_inv
	scratch_load_b128 v[1:4], v68, off
	v_add_nc_u32_e32 v6, -1, v65
	s_mov_b32 s2, exec_lo
	s_waitcnt vmcnt(0)
	ds_store_b128 v5, v[1:4]
	s_waitcnt lgkmcnt(0)
	s_barrier
	buffer_gl0_inv
	v_cmpx_gt_u32_e32 3, v65
	s_cbranch_execz .LBB23_27
; %bb.24:
	v_dual_mov_b32 v1, 0 :: v_dual_add_nc_u32 v8, 0x180, v13
	v_dual_mov_b32 v2, 0 :: v_dual_add_nc_u32 v7, -1, v65
	v_or_b32_e32 v9, 8, v14
	s_mov_b32 s3, 0
	s_delay_alu instid0(VALU_DEP_2)
	v_dual_mov_b32 v4, v2 :: v_dual_mov_b32 v3, v1
	.p2align	6
.LBB23_25:                              ; =>This Inner Loop Header: Depth=1
	scratch_load_b128 v[89:92], v9, off offset:-8
	ds_load_b128 v[93:96], v8
	v_add_nc_u32_e32 v7, 1, v7
	v_add_nc_u32_e32 v8, 16, v8
	;; [unrolled: 1-line block ×3, first 2 shown]
	s_delay_alu instid0(VALU_DEP_3) | instskip(SKIP_4) | instid1(VALU_DEP_2)
	v_cmp_lt_u32_e32 vcc_lo, 1, v7
	s_or_b32 s3, vcc_lo, s3
	s_waitcnt vmcnt(0) lgkmcnt(0)
	v_mul_f64 v[10:11], v[95:96], v[91:92]
	v_mul_f64 v[15:16], v[93:94], v[91:92]
	v_fma_f64 v[10:11], v[93:94], v[89:90], -v[10:11]
	s_delay_alu instid0(VALU_DEP_2) | instskip(NEXT) | instid1(VALU_DEP_2)
	v_fma_f64 v[15:16], v[95:96], v[89:90], v[15:16]
	v_add_f64 v[3:4], v[3:4], v[10:11]
	s_delay_alu instid0(VALU_DEP_2)
	v_add_f64 v[1:2], v[1:2], v[15:16]
	s_and_not1_b32 exec_lo, exec_lo, s3
	s_cbranch_execnz .LBB23_25
; %bb.26:
	s_or_b32 exec_lo, exec_lo, s3
	v_mov_b32_e32 v7, 0
	ds_load_b128 v[7:10], v7 offset:48
	s_waitcnt lgkmcnt(0)
	v_mul_f64 v[11:12], v[1:2], v[9:10]
	v_mul_f64 v[15:16], v[3:4], v[9:10]
	s_delay_alu instid0(VALU_DEP_2) | instskip(NEXT) | instid1(VALU_DEP_2)
	v_fma_f64 v[9:10], v[3:4], v[7:8], -v[11:12]
	v_fma_f64 v[11:12], v[1:2], v[7:8], v[15:16]
	scratch_store_b128 off, v[9:12], off offset:48
.LBB23_27:
	s_or_b32 exec_lo, exec_lo, s2
	s_waitcnt_vscnt null, 0x0
	s_barrier
	buffer_gl0_inv
	scratch_load_b128 v[1:4], v66, off
	s_mov_b32 s2, exec_lo
	s_waitcnt vmcnt(0)
	ds_store_b128 v5, v[1:4]
	s_waitcnt lgkmcnt(0)
	s_barrier
	buffer_gl0_inv
	v_cmpx_gt_u32_e32 4, v65
	s_cbranch_execz .LBB23_31
; %bb.28:
	v_dual_mov_b32 v1, 0 :: v_dual_add_nc_u32 v8, 0x180, v13
	v_dual_mov_b32 v2, 0 :: v_dual_add_nc_u32 v7, -1, v65
	v_or_b32_e32 v9, 8, v14
	s_mov_b32 s3, 0
	s_delay_alu instid0(VALU_DEP_2)
	v_dual_mov_b32 v4, v2 :: v_dual_mov_b32 v3, v1
	.p2align	6
.LBB23_29:                              ; =>This Inner Loop Header: Depth=1
	scratch_load_b128 v[89:92], v9, off offset:-8
	ds_load_b128 v[93:96], v8
	v_add_nc_u32_e32 v7, 1, v7
	v_add_nc_u32_e32 v8, 16, v8
	;; [unrolled: 1-line block ×3, first 2 shown]
	s_delay_alu instid0(VALU_DEP_3) | instskip(SKIP_4) | instid1(VALU_DEP_2)
	v_cmp_lt_u32_e32 vcc_lo, 2, v7
	s_or_b32 s3, vcc_lo, s3
	s_waitcnt vmcnt(0) lgkmcnt(0)
	v_mul_f64 v[10:11], v[95:96], v[91:92]
	v_mul_f64 v[15:16], v[93:94], v[91:92]
	v_fma_f64 v[10:11], v[93:94], v[89:90], -v[10:11]
	s_delay_alu instid0(VALU_DEP_2) | instskip(NEXT) | instid1(VALU_DEP_2)
	v_fma_f64 v[15:16], v[95:96], v[89:90], v[15:16]
	v_add_f64 v[3:4], v[3:4], v[10:11]
	s_delay_alu instid0(VALU_DEP_2)
	v_add_f64 v[1:2], v[1:2], v[15:16]
	s_and_not1_b32 exec_lo, exec_lo, s3
	s_cbranch_execnz .LBB23_29
; %bb.30:
	s_or_b32 exec_lo, exec_lo, s3
	v_mov_b32_e32 v7, 0
	ds_load_b128 v[7:10], v7 offset:64
	s_waitcnt lgkmcnt(0)
	v_mul_f64 v[11:12], v[1:2], v[9:10]
	v_mul_f64 v[15:16], v[3:4], v[9:10]
	s_delay_alu instid0(VALU_DEP_2) | instskip(NEXT) | instid1(VALU_DEP_2)
	v_fma_f64 v[9:10], v[3:4], v[7:8], -v[11:12]
	v_fma_f64 v[11:12], v[1:2], v[7:8], v[15:16]
	scratch_store_b128 off, v[9:12], off offset:64
.LBB23_31:
	s_or_b32 exec_lo, exec_lo, s2
	s_waitcnt_vscnt null, 0x0
	s_barrier
	buffer_gl0_inv
	scratch_load_b128 v[1:4], v72, off
	s_mov_b32 s2, exec_lo
	s_waitcnt vmcnt(0)
	ds_store_b128 v5, v[1:4]
	s_waitcnt lgkmcnt(0)
	s_barrier
	buffer_gl0_inv
	v_cmpx_gt_u32_e32 5, v65
	s_cbranch_execz .LBB23_35
; %bb.32:
	v_dual_mov_b32 v1, 0 :: v_dual_add_nc_u32 v8, 0x180, v13
	v_dual_mov_b32 v2, 0 :: v_dual_add_nc_u32 v7, -1, v65
	v_or_b32_e32 v9, 8, v14
	s_mov_b32 s3, 0
	s_delay_alu instid0(VALU_DEP_2)
	v_dual_mov_b32 v4, v2 :: v_dual_mov_b32 v3, v1
	.p2align	6
.LBB23_33:                              ; =>This Inner Loop Header: Depth=1
	scratch_load_b128 v[89:92], v9, off offset:-8
	ds_load_b128 v[93:96], v8
	v_add_nc_u32_e32 v7, 1, v7
	v_add_nc_u32_e32 v8, 16, v8
	v_add_nc_u32_e32 v9, 16, v9
	s_delay_alu instid0(VALU_DEP_3) | instskip(SKIP_4) | instid1(VALU_DEP_2)
	v_cmp_lt_u32_e32 vcc_lo, 3, v7
	s_or_b32 s3, vcc_lo, s3
	s_waitcnt vmcnt(0) lgkmcnt(0)
	v_mul_f64 v[10:11], v[95:96], v[91:92]
	v_mul_f64 v[15:16], v[93:94], v[91:92]
	v_fma_f64 v[10:11], v[93:94], v[89:90], -v[10:11]
	s_delay_alu instid0(VALU_DEP_2) | instskip(NEXT) | instid1(VALU_DEP_2)
	v_fma_f64 v[15:16], v[95:96], v[89:90], v[15:16]
	v_add_f64 v[3:4], v[3:4], v[10:11]
	s_delay_alu instid0(VALU_DEP_2)
	v_add_f64 v[1:2], v[1:2], v[15:16]
	s_and_not1_b32 exec_lo, exec_lo, s3
	s_cbranch_execnz .LBB23_33
; %bb.34:
	s_or_b32 exec_lo, exec_lo, s3
	v_mov_b32_e32 v7, 0
	ds_load_b128 v[7:10], v7 offset:80
	s_waitcnt lgkmcnt(0)
	v_mul_f64 v[11:12], v[1:2], v[9:10]
	v_mul_f64 v[15:16], v[3:4], v[9:10]
	s_delay_alu instid0(VALU_DEP_2) | instskip(NEXT) | instid1(VALU_DEP_2)
	v_fma_f64 v[9:10], v[3:4], v[7:8], -v[11:12]
	v_fma_f64 v[11:12], v[1:2], v[7:8], v[15:16]
	scratch_store_b128 off, v[9:12], off offset:80
.LBB23_35:
	s_or_b32 exec_lo, exec_lo, s2
	s_waitcnt_vscnt null, 0x0
	s_barrier
	buffer_gl0_inv
	scratch_load_b128 v[1:4], v70, off
	s_mov_b32 s2, exec_lo
	s_waitcnt vmcnt(0)
	ds_store_b128 v5, v[1:4]
	s_waitcnt lgkmcnt(0)
	s_barrier
	buffer_gl0_inv
	v_cmpx_gt_u32_e32 6, v65
	s_cbranch_execz .LBB23_39
; %bb.36:
	v_dual_mov_b32 v1, 0 :: v_dual_add_nc_u32 v8, 0x180, v13
	v_dual_mov_b32 v2, 0 :: v_dual_add_nc_u32 v7, -1, v65
	v_or_b32_e32 v9, 8, v14
	s_mov_b32 s3, 0
	s_delay_alu instid0(VALU_DEP_2)
	v_dual_mov_b32 v4, v2 :: v_dual_mov_b32 v3, v1
	.p2align	6
.LBB23_37:                              ; =>This Inner Loop Header: Depth=1
	scratch_load_b128 v[89:92], v9, off offset:-8
	ds_load_b128 v[93:96], v8
	v_add_nc_u32_e32 v7, 1, v7
	v_add_nc_u32_e32 v8, 16, v8
	;; [unrolled: 1-line block ×3, first 2 shown]
	s_delay_alu instid0(VALU_DEP_3) | instskip(SKIP_4) | instid1(VALU_DEP_2)
	v_cmp_lt_u32_e32 vcc_lo, 4, v7
	s_or_b32 s3, vcc_lo, s3
	s_waitcnt vmcnt(0) lgkmcnt(0)
	v_mul_f64 v[10:11], v[95:96], v[91:92]
	v_mul_f64 v[15:16], v[93:94], v[91:92]
	v_fma_f64 v[10:11], v[93:94], v[89:90], -v[10:11]
	s_delay_alu instid0(VALU_DEP_2) | instskip(NEXT) | instid1(VALU_DEP_2)
	v_fma_f64 v[15:16], v[95:96], v[89:90], v[15:16]
	v_add_f64 v[3:4], v[3:4], v[10:11]
	s_delay_alu instid0(VALU_DEP_2)
	v_add_f64 v[1:2], v[1:2], v[15:16]
	s_and_not1_b32 exec_lo, exec_lo, s3
	s_cbranch_execnz .LBB23_37
; %bb.38:
	s_or_b32 exec_lo, exec_lo, s3
	v_mov_b32_e32 v7, 0
	ds_load_b128 v[7:10], v7 offset:96
	s_waitcnt lgkmcnt(0)
	v_mul_f64 v[11:12], v[1:2], v[9:10]
	v_mul_f64 v[15:16], v[3:4], v[9:10]
	s_delay_alu instid0(VALU_DEP_2) | instskip(NEXT) | instid1(VALU_DEP_2)
	v_fma_f64 v[9:10], v[3:4], v[7:8], -v[11:12]
	v_fma_f64 v[11:12], v[1:2], v[7:8], v[15:16]
	scratch_store_b128 off, v[9:12], off offset:96
.LBB23_39:
	s_or_b32 exec_lo, exec_lo, s2
	s_waitcnt_vscnt null, 0x0
	s_barrier
	buffer_gl0_inv
	scratch_load_b128 v[1:4], v71, off
	s_mov_b32 s2, exec_lo
	s_waitcnt vmcnt(0)
	ds_store_b128 v5, v[1:4]
	s_waitcnt lgkmcnt(0)
	s_barrier
	buffer_gl0_inv
	v_cmpx_gt_u32_e32 7, v65
	s_cbranch_execz .LBB23_43
; %bb.40:
	v_dual_mov_b32 v1, 0 :: v_dual_add_nc_u32 v8, 0x180, v13
	v_dual_mov_b32 v2, 0 :: v_dual_add_nc_u32 v7, -1, v65
	v_or_b32_e32 v9, 8, v14
	s_mov_b32 s3, 0
	s_delay_alu instid0(VALU_DEP_2)
	v_dual_mov_b32 v4, v2 :: v_dual_mov_b32 v3, v1
	.p2align	6
.LBB23_41:                              ; =>This Inner Loop Header: Depth=1
	scratch_load_b128 v[89:92], v9, off offset:-8
	ds_load_b128 v[93:96], v8
	v_add_nc_u32_e32 v7, 1, v7
	v_add_nc_u32_e32 v8, 16, v8
	;; [unrolled: 1-line block ×3, first 2 shown]
	s_delay_alu instid0(VALU_DEP_3) | instskip(SKIP_4) | instid1(VALU_DEP_2)
	v_cmp_lt_u32_e32 vcc_lo, 5, v7
	s_or_b32 s3, vcc_lo, s3
	s_waitcnt vmcnt(0) lgkmcnt(0)
	v_mul_f64 v[10:11], v[95:96], v[91:92]
	v_mul_f64 v[15:16], v[93:94], v[91:92]
	v_fma_f64 v[10:11], v[93:94], v[89:90], -v[10:11]
	s_delay_alu instid0(VALU_DEP_2) | instskip(NEXT) | instid1(VALU_DEP_2)
	v_fma_f64 v[15:16], v[95:96], v[89:90], v[15:16]
	v_add_f64 v[3:4], v[3:4], v[10:11]
	s_delay_alu instid0(VALU_DEP_2)
	v_add_f64 v[1:2], v[1:2], v[15:16]
	s_and_not1_b32 exec_lo, exec_lo, s3
	s_cbranch_execnz .LBB23_41
; %bb.42:
	s_or_b32 exec_lo, exec_lo, s3
	v_mov_b32_e32 v7, 0
	ds_load_b128 v[7:10], v7 offset:112
	s_waitcnt lgkmcnt(0)
	v_mul_f64 v[11:12], v[1:2], v[9:10]
	v_mul_f64 v[15:16], v[3:4], v[9:10]
	s_delay_alu instid0(VALU_DEP_2) | instskip(NEXT) | instid1(VALU_DEP_2)
	v_fma_f64 v[9:10], v[3:4], v[7:8], -v[11:12]
	v_fma_f64 v[11:12], v[1:2], v[7:8], v[15:16]
	scratch_store_b128 off, v[9:12], off offset:112
.LBB23_43:
	s_or_b32 exec_lo, exec_lo, s2
	s_waitcnt_vscnt null, 0x0
	s_barrier
	buffer_gl0_inv
	scratch_load_b128 v[1:4], v76, off
	s_mov_b32 s2, exec_lo
	s_waitcnt vmcnt(0)
	ds_store_b128 v5, v[1:4]
	s_waitcnt lgkmcnt(0)
	s_barrier
	buffer_gl0_inv
	v_cmpx_gt_u32_e32 8, v65
	s_cbranch_execz .LBB23_47
; %bb.44:
	v_dual_mov_b32 v1, 0 :: v_dual_add_nc_u32 v8, 0x180, v13
	v_dual_mov_b32 v2, 0 :: v_dual_add_nc_u32 v7, -1, v65
	v_or_b32_e32 v9, 8, v14
	s_mov_b32 s3, 0
	s_delay_alu instid0(VALU_DEP_2)
	v_dual_mov_b32 v4, v2 :: v_dual_mov_b32 v3, v1
	.p2align	6
.LBB23_45:                              ; =>This Inner Loop Header: Depth=1
	scratch_load_b128 v[89:92], v9, off offset:-8
	ds_load_b128 v[93:96], v8
	v_add_nc_u32_e32 v7, 1, v7
	v_add_nc_u32_e32 v8, 16, v8
	;; [unrolled: 1-line block ×3, first 2 shown]
	s_delay_alu instid0(VALU_DEP_3) | instskip(SKIP_4) | instid1(VALU_DEP_2)
	v_cmp_lt_u32_e32 vcc_lo, 6, v7
	s_or_b32 s3, vcc_lo, s3
	s_waitcnt vmcnt(0) lgkmcnt(0)
	v_mul_f64 v[10:11], v[95:96], v[91:92]
	v_mul_f64 v[15:16], v[93:94], v[91:92]
	v_fma_f64 v[10:11], v[93:94], v[89:90], -v[10:11]
	s_delay_alu instid0(VALU_DEP_2) | instskip(NEXT) | instid1(VALU_DEP_2)
	v_fma_f64 v[15:16], v[95:96], v[89:90], v[15:16]
	v_add_f64 v[3:4], v[3:4], v[10:11]
	s_delay_alu instid0(VALU_DEP_2)
	v_add_f64 v[1:2], v[1:2], v[15:16]
	s_and_not1_b32 exec_lo, exec_lo, s3
	s_cbranch_execnz .LBB23_45
; %bb.46:
	s_or_b32 exec_lo, exec_lo, s3
	v_mov_b32_e32 v7, 0
	ds_load_b128 v[7:10], v7 offset:128
	s_waitcnt lgkmcnt(0)
	v_mul_f64 v[11:12], v[1:2], v[9:10]
	v_mul_f64 v[15:16], v[3:4], v[9:10]
	s_delay_alu instid0(VALU_DEP_2) | instskip(NEXT) | instid1(VALU_DEP_2)
	v_fma_f64 v[9:10], v[3:4], v[7:8], -v[11:12]
	v_fma_f64 v[11:12], v[1:2], v[7:8], v[15:16]
	scratch_store_b128 off, v[9:12], off offset:128
.LBB23_47:
	s_or_b32 exec_lo, exec_lo, s2
	s_waitcnt_vscnt null, 0x0
	s_barrier
	buffer_gl0_inv
	scratch_load_b128 v[1:4], v79, off
	s_mov_b32 s2, exec_lo
	s_waitcnt vmcnt(0)
	ds_store_b128 v5, v[1:4]
	s_waitcnt lgkmcnt(0)
	s_barrier
	buffer_gl0_inv
	v_cmpx_gt_u32_e32 9, v65
	s_cbranch_execz .LBB23_51
; %bb.48:
	v_dual_mov_b32 v1, 0 :: v_dual_add_nc_u32 v8, 0x180, v13
	v_dual_mov_b32 v2, 0 :: v_dual_add_nc_u32 v7, -1, v65
	v_or_b32_e32 v9, 8, v14
	s_mov_b32 s3, 0
	s_delay_alu instid0(VALU_DEP_2)
	v_dual_mov_b32 v4, v2 :: v_dual_mov_b32 v3, v1
	.p2align	6
.LBB23_49:                              ; =>This Inner Loop Header: Depth=1
	scratch_load_b128 v[89:92], v9, off offset:-8
	ds_load_b128 v[93:96], v8
	v_add_nc_u32_e32 v7, 1, v7
	v_add_nc_u32_e32 v8, 16, v8
	v_add_nc_u32_e32 v9, 16, v9
	s_delay_alu instid0(VALU_DEP_3) | instskip(SKIP_4) | instid1(VALU_DEP_2)
	v_cmp_lt_u32_e32 vcc_lo, 7, v7
	s_or_b32 s3, vcc_lo, s3
	s_waitcnt vmcnt(0) lgkmcnt(0)
	v_mul_f64 v[10:11], v[95:96], v[91:92]
	v_mul_f64 v[15:16], v[93:94], v[91:92]
	v_fma_f64 v[10:11], v[93:94], v[89:90], -v[10:11]
	s_delay_alu instid0(VALU_DEP_2) | instskip(NEXT) | instid1(VALU_DEP_2)
	v_fma_f64 v[15:16], v[95:96], v[89:90], v[15:16]
	v_add_f64 v[3:4], v[3:4], v[10:11]
	s_delay_alu instid0(VALU_DEP_2)
	v_add_f64 v[1:2], v[1:2], v[15:16]
	s_and_not1_b32 exec_lo, exec_lo, s3
	s_cbranch_execnz .LBB23_49
; %bb.50:
	s_or_b32 exec_lo, exec_lo, s3
	v_mov_b32_e32 v7, 0
	ds_load_b128 v[7:10], v7 offset:144
	s_waitcnt lgkmcnt(0)
	v_mul_f64 v[11:12], v[1:2], v[9:10]
	v_mul_f64 v[15:16], v[3:4], v[9:10]
	s_delay_alu instid0(VALU_DEP_2) | instskip(NEXT) | instid1(VALU_DEP_2)
	v_fma_f64 v[9:10], v[3:4], v[7:8], -v[11:12]
	v_fma_f64 v[11:12], v[1:2], v[7:8], v[15:16]
	scratch_store_b128 off, v[9:12], off offset:144
.LBB23_51:
	s_or_b32 exec_lo, exec_lo, s2
	s_waitcnt_vscnt null, 0x0
	s_barrier
	buffer_gl0_inv
	scratch_load_b128 v[1:4], v75, off
	s_mov_b32 s2, exec_lo
	s_waitcnt vmcnt(0)
	ds_store_b128 v5, v[1:4]
	s_waitcnt lgkmcnt(0)
	s_barrier
	buffer_gl0_inv
	v_cmpx_gt_u32_e32 10, v65
	s_cbranch_execz .LBB23_55
; %bb.52:
	v_dual_mov_b32 v1, 0 :: v_dual_add_nc_u32 v8, 0x180, v13
	v_dual_mov_b32 v2, 0 :: v_dual_add_nc_u32 v7, -1, v65
	v_or_b32_e32 v9, 8, v14
	s_mov_b32 s3, 0
	s_delay_alu instid0(VALU_DEP_2)
	v_dual_mov_b32 v4, v2 :: v_dual_mov_b32 v3, v1
	.p2align	6
.LBB23_53:                              ; =>This Inner Loop Header: Depth=1
	scratch_load_b128 v[89:92], v9, off offset:-8
	ds_load_b128 v[93:96], v8
	v_add_nc_u32_e32 v7, 1, v7
	v_add_nc_u32_e32 v8, 16, v8
	;; [unrolled: 1-line block ×3, first 2 shown]
	s_delay_alu instid0(VALU_DEP_3) | instskip(SKIP_4) | instid1(VALU_DEP_2)
	v_cmp_lt_u32_e32 vcc_lo, 8, v7
	s_or_b32 s3, vcc_lo, s3
	s_waitcnt vmcnt(0) lgkmcnt(0)
	v_mul_f64 v[10:11], v[95:96], v[91:92]
	v_mul_f64 v[15:16], v[93:94], v[91:92]
	v_fma_f64 v[10:11], v[93:94], v[89:90], -v[10:11]
	s_delay_alu instid0(VALU_DEP_2) | instskip(NEXT) | instid1(VALU_DEP_2)
	v_fma_f64 v[15:16], v[95:96], v[89:90], v[15:16]
	v_add_f64 v[3:4], v[3:4], v[10:11]
	s_delay_alu instid0(VALU_DEP_2)
	v_add_f64 v[1:2], v[1:2], v[15:16]
	s_and_not1_b32 exec_lo, exec_lo, s3
	s_cbranch_execnz .LBB23_53
; %bb.54:
	s_or_b32 exec_lo, exec_lo, s3
	v_mov_b32_e32 v7, 0
	ds_load_b128 v[7:10], v7 offset:160
	s_waitcnt lgkmcnt(0)
	v_mul_f64 v[11:12], v[1:2], v[9:10]
	v_mul_f64 v[15:16], v[3:4], v[9:10]
	s_delay_alu instid0(VALU_DEP_2) | instskip(NEXT) | instid1(VALU_DEP_2)
	v_fma_f64 v[9:10], v[3:4], v[7:8], -v[11:12]
	v_fma_f64 v[11:12], v[1:2], v[7:8], v[15:16]
	scratch_store_b128 off, v[9:12], off offset:160
.LBB23_55:
	s_or_b32 exec_lo, exec_lo, s2
	s_waitcnt_vscnt null, 0x0
	s_barrier
	buffer_gl0_inv
	scratch_load_b128 v[1:4], v83, off
	s_mov_b32 s2, exec_lo
	s_waitcnt vmcnt(0)
	ds_store_b128 v5, v[1:4]
	s_waitcnt lgkmcnt(0)
	s_barrier
	buffer_gl0_inv
	v_cmpx_gt_u32_e32 11, v65
	s_cbranch_execz .LBB23_59
; %bb.56:
	v_dual_mov_b32 v1, 0 :: v_dual_add_nc_u32 v8, 0x180, v13
	v_dual_mov_b32 v2, 0 :: v_dual_add_nc_u32 v7, -1, v65
	v_or_b32_e32 v9, 8, v14
	s_mov_b32 s3, 0
	s_delay_alu instid0(VALU_DEP_2)
	v_dual_mov_b32 v4, v2 :: v_dual_mov_b32 v3, v1
	.p2align	6
.LBB23_57:                              ; =>This Inner Loop Header: Depth=1
	scratch_load_b128 v[89:92], v9, off offset:-8
	ds_load_b128 v[93:96], v8
	v_add_nc_u32_e32 v7, 1, v7
	v_add_nc_u32_e32 v8, 16, v8
	;; [unrolled: 1-line block ×3, first 2 shown]
	s_delay_alu instid0(VALU_DEP_3) | instskip(SKIP_4) | instid1(VALU_DEP_2)
	v_cmp_lt_u32_e32 vcc_lo, 9, v7
	s_or_b32 s3, vcc_lo, s3
	s_waitcnt vmcnt(0) lgkmcnt(0)
	v_mul_f64 v[10:11], v[95:96], v[91:92]
	v_mul_f64 v[15:16], v[93:94], v[91:92]
	v_fma_f64 v[10:11], v[93:94], v[89:90], -v[10:11]
	s_delay_alu instid0(VALU_DEP_2) | instskip(NEXT) | instid1(VALU_DEP_2)
	v_fma_f64 v[15:16], v[95:96], v[89:90], v[15:16]
	v_add_f64 v[3:4], v[3:4], v[10:11]
	s_delay_alu instid0(VALU_DEP_2)
	v_add_f64 v[1:2], v[1:2], v[15:16]
	s_and_not1_b32 exec_lo, exec_lo, s3
	s_cbranch_execnz .LBB23_57
; %bb.58:
	s_or_b32 exec_lo, exec_lo, s3
	v_mov_b32_e32 v7, 0
	ds_load_b128 v[7:10], v7 offset:176
	s_waitcnt lgkmcnt(0)
	v_mul_f64 v[11:12], v[1:2], v[9:10]
	v_mul_f64 v[15:16], v[3:4], v[9:10]
	s_delay_alu instid0(VALU_DEP_2) | instskip(NEXT) | instid1(VALU_DEP_2)
	v_fma_f64 v[9:10], v[3:4], v[7:8], -v[11:12]
	v_fma_f64 v[11:12], v[1:2], v[7:8], v[15:16]
	scratch_store_b128 off, v[9:12], off offset:176
.LBB23_59:
	s_or_b32 exec_lo, exec_lo, s2
	s_waitcnt_vscnt null, 0x0
	s_barrier
	buffer_gl0_inv
	scratch_load_b128 v[1:4], v78, off
	s_mov_b32 s2, exec_lo
	s_waitcnt vmcnt(0)
	ds_store_b128 v5, v[1:4]
	s_waitcnt lgkmcnt(0)
	s_barrier
	buffer_gl0_inv
	v_cmpx_gt_u32_e32 12, v65
	s_cbranch_execz .LBB23_63
; %bb.60:
	v_dual_mov_b32 v1, 0 :: v_dual_add_nc_u32 v8, 0x180, v13
	v_dual_mov_b32 v2, 0 :: v_dual_add_nc_u32 v7, -1, v65
	v_or_b32_e32 v9, 8, v14
	s_mov_b32 s3, 0
	s_delay_alu instid0(VALU_DEP_2)
	v_dual_mov_b32 v4, v2 :: v_dual_mov_b32 v3, v1
	.p2align	6
.LBB23_61:                              ; =>This Inner Loop Header: Depth=1
	scratch_load_b128 v[89:92], v9, off offset:-8
	ds_load_b128 v[93:96], v8
	v_add_nc_u32_e32 v7, 1, v7
	v_add_nc_u32_e32 v8, 16, v8
	v_add_nc_u32_e32 v9, 16, v9
	s_delay_alu instid0(VALU_DEP_3) | instskip(SKIP_4) | instid1(VALU_DEP_2)
	v_cmp_lt_u32_e32 vcc_lo, 10, v7
	s_or_b32 s3, vcc_lo, s3
	s_waitcnt vmcnt(0) lgkmcnt(0)
	v_mul_f64 v[10:11], v[95:96], v[91:92]
	v_mul_f64 v[15:16], v[93:94], v[91:92]
	v_fma_f64 v[10:11], v[93:94], v[89:90], -v[10:11]
	s_delay_alu instid0(VALU_DEP_2) | instskip(NEXT) | instid1(VALU_DEP_2)
	v_fma_f64 v[15:16], v[95:96], v[89:90], v[15:16]
	v_add_f64 v[3:4], v[3:4], v[10:11]
	s_delay_alu instid0(VALU_DEP_2)
	v_add_f64 v[1:2], v[1:2], v[15:16]
	s_and_not1_b32 exec_lo, exec_lo, s3
	s_cbranch_execnz .LBB23_61
; %bb.62:
	s_or_b32 exec_lo, exec_lo, s3
	v_mov_b32_e32 v7, 0
	ds_load_b128 v[7:10], v7 offset:192
	s_waitcnt lgkmcnt(0)
	v_mul_f64 v[11:12], v[1:2], v[9:10]
	v_mul_f64 v[15:16], v[3:4], v[9:10]
	s_delay_alu instid0(VALU_DEP_2) | instskip(NEXT) | instid1(VALU_DEP_2)
	v_fma_f64 v[9:10], v[3:4], v[7:8], -v[11:12]
	v_fma_f64 v[11:12], v[1:2], v[7:8], v[15:16]
	scratch_store_b128 off, v[9:12], off offset:192
.LBB23_63:
	s_or_b32 exec_lo, exec_lo, s2
	s_waitcnt_vscnt null, 0x0
	s_barrier
	buffer_gl0_inv
	scratch_load_b128 v[1:4], v82, off
	s_mov_b32 s2, exec_lo
	s_waitcnt vmcnt(0)
	ds_store_b128 v5, v[1:4]
	s_waitcnt lgkmcnt(0)
	s_barrier
	buffer_gl0_inv
	v_cmpx_gt_u32_e32 13, v65
	s_cbranch_execz .LBB23_67
; %bb.64:
	v_dual_mov_b32 v1, 0 :: v_dual_add_nc_u32 v8, 0x180, v13
	v_dual_mov_b32 v2, 0 :: v_dual_add_nc_u32 v7, -1, v65
	v_or_b32_e32 v9, 8, v14
	s_mov_b32 s3, 0
	s_delay_alu instid0(VALU_DEP_2)
	v_dual_mov_b32 v4, v2 :: v_dual_mov_b32 v3, v1
	.p2align	6
.LBB23_65:                              ; =>This Inner Loop Header: Depth=1
	scratch_load_b128 v[89:92], v9, off offset:-8
	ds_load_b128 v[93:96], v8
	v_add_nc_u32_e32 v7, 1, v7
	v_add_nc_u32_e32 v8, 16, v8
	;; [unrolled: 1-line block ×3, first 2 shown]
	s_delay_alu instid0(VALU_DEP_3) | instskip(SKIP_4) | instid1(VALU_DEP_2)
	v_cmp_lt_u32_e32 vcc_lo, 11, v7
	s_or_b32 s3, vcc_lo, s3
	s_waitcnt vmcnt(0) lgkmcnt(0)
	v_mul_f64 v[10:11], v[95:96], v[91:92]
	v_mul_f64 v[15:16], v[93:94], v[91:92]
	v_fma_f64 v[10:11], v[93:94], v[89:90], -v[10:11]
	s_delay_alu instid0(VALU_DEP_2) | instskip(NEXT) | instid1(VALU_DEP_2)
	v_fma_f64 v[15:16], v[95:96], v[89:90], v[15:16]
	v_add_f64 v[3:4], v[3:4], v[10:11]
	s_delay_alu instid0(VALU_DEP_2)
	v_add_f64 v[1:2], v[1:2], v[15:16]
	s_and_not1_b32 exec_lo, exec_lo, s3
	s_cbranch_execnz .LBB23_65
; %bb.66:
	s_or_b32 exec_lo, exec_lo, s3
	v_mov_b32_e32 v7, 0
	ds_load_b128 v[7:10], v7 offset:208
	s_waitcnt lgkmcnt(0)
	v_mul_f64 v[11:12], v[1:2], v[9:10]
	v_mul_f64 v[15:16], v[3:4], v[9:10]
	s_delay_alu instid0(VALU_DEP_2) | instskip(NEXT) | instid1(VALU_DEP_2)
	v_fma_f64 v[9:10], v[3:4], v[7:8], -v[11:12]
	v_fma_f64 v[11:12], v[1:2], v[7:8], v[15:16]
	scratch_store_b128 off, v[9:12], off offset:208
.LBB23_67:
	s_or_b32 exec_lo, exec_lo, s2
	s_waitcnt_vscnt null, 0x0
	s_barrier
	buffer_gl0_inv
	scratch_load_b128 v[1:4], v77, off
	s_mov_b32 s2, exec_lo
	s_waitcnt vmcnt(0)
	ds_store_b128 v5, v[1:4]
	s_waitcnt lgkmcnt(0)
	s_barrier
	buffer_gl0_inv
	v_cmpx_gt_u32_e32 14, v65
	s_cbranch_execz .LBB23_71
; %bb.68:
	v_dual_mov_b32 v1, 0 :: v_dual_add_nc_u32 v8, 0x180, v13
	v_dual_mov_b32 v2, 0 :: v_dual_add_nc_u32 v7, -1, v65
	v_or_b32_e32 v9, 8, v14
	s_mov_b32 s3, 0
	s_delay_alu instid0(VALU_DEP_2)
	v_dual_mov_b32 v4, v2 :: v_dual_mov_b32 v3, v1
	.p2align	6
.LBB23_69:                              ; =>This Inner Loop Header: Depth=1
	scratch_load_b128 v[89:92], v9, off offset:-8
	ds_load_b128 v[93:96], v8
	v_add_nc_u32_e32 v7, 1, v7
	v_add_nc_u32_e32 v8, 16, v8
	;; [unrolled: 1-line block ×3, first 2 shown]
	s_delay_alu instid0(VALU_DEP_3) | instskip(SKIP_4) | instid1(VALU_DEP_2)
	v_cmp_lt_u32_e32 vcc_lo, 12, v7
	s_or_b32 s3, vcc_lo, s3
	s_waitcnt vmcnt(0) lgkmcnt(0)
	v_mul_f64 v[10:11], v[95:96], v[91:92]
	v_mul_f64 v[15:16], v[93:94], v[91:92]
	v_fma_f64 v[10:11], v[93:94], v[89:90], -v[10:11]
	s_delay_alu instid0(VALU_DEP_2) | instskip(NEXT) | instid1(VALU_DEP_2)
	v_fma_f64 v[15:16], v[95:96], v[89:90], v[15:16]
	v_add_f64 v[3:4], v[3:4], v[10:11]
	s_delay_alu instid0(VALU_DEP_2)
	v_add_f64 v[1:2], v[1:2], v[15:16]
	s_and_not1_b32 exec_lo, exec_lo, s3
	s_cbranch_execnz .LBB23_69
; %bb.70:
	s_or_b32 exec_lo, exec_lo, s3
	v_mov_b32_e32 v7, 0
	ds_load_b128 v[7:10], v7 offset:224
	s_waitcnt lgkmcnt(0)
	v_mul_f64 v[11:12], v[1:2], v[9:10]
	v_mul_f64 v[15:16], v[3:4], v[9:10]
	s_delay_alu instid0(VALU_DEP_2) | instskip(NEXT) | instid1(VALU_DEP_2)
	v_fma_f64 v[9:10], v[3:4], v[7:8], -v[11:12]
	v_fma_f64 v[11:12], v[1:2], v[7:8], v[15:16]
	scratch_store_b128 off, v[9:12], off offset:224
.LBB23_71:
	s_or_b32 exec_lo, exec_lo, s2
	s_waitcnt_vscnt null, 0x0
	s_barrier
	buffer_gl0_inv
	scratch_load_b128 v[1:4], v86, off
	s_mov_b32 s2, exec_lo
	s_waitcnt vmcnt(0)
	ds_store_b128 v5, v[1:4]
	s_waitcnt lgkmcnt(0)
	s_barrier
	buffer_gl0_inv
	v_cmpx_gt_u32_e32 15, v65
	s_cbranch_execz .LBB23_75
; %bb.72:
	v_dual_mov_b32 v1, 0 :: v_dual_add_nc_u32 v8, 0x180, v13
	v_dual_mov_b32 v2, 0 :: v_dual_add_nc_u32 v7, -1, v65
	v_or_b32_e32 v9, 8, v14
	s_mov_b32 s3, 0
	s_delay_alu instid0(VALU_DEP_2)
	v_dual_mov_b32 v4, v2 :: v_dual_mov_b32 v3, v1
	.p2align	6
.LBB23_73:                              ; =>This Inner Loop Header: Depth=1
	scratch_load_b128 v[89:92], v9, off offset:-8
	ds_load_b128 v[93:96], v8
	v_add_nc_u32_e32 v7, 1, v7
	v_add_nc_u32_e32 v8, 16, v8
	;; [unrolled: 1-line block ×3, first 2 shown]
	s_delay_alu instid0(VALU_DEP_3) | instskip(SKIP_4) | instid1(VALU_DEP_2)
	v_cmp_lt_u32_e32 vcc_lo, 13, v7
	s_or_b32 s3, vcc_lo, s3
	s_waitcnt vmcnt(0) lgkmcnt(0)
	v_mul_f64 v[10:11], v[95:96], v[91:92]
	v_mul_f64 v[15:16], v[93:94], v[91:92]
	v_fma_f64 v[10:11], v[93:94], v[89:90], -v[10:11]
	s_delay_alu instid0(VALU_DEP_2) | instskip(NEXT) | instid1(VALU_DEP_2)
	v_fma_f64 v[15:16], v[95:96], v[89:90], v[15:16]
	v_add_f64 v[3:4], v[3:4], v[10:11]
	s_delay_alu instid0(VALU_DEP_2)
	v_add_f64 v[1:2], v[1:2], v[15:16]
	s_and_not1_b32 exec_lo, exec_lo, s3
	s_cbranch_execnz .LBB23_73
; %bb.74:
	s_or_b32 exec_lo, exec_lo, s3
	v_mov_b32_e32 v7, 0
	ds_load_b128 v[7:10], v7 offset:240
	s_waitcnt lgkmcnt(0)
	v_mul_f64 v[11:12], v[1:2], v[9:10]
	v_mul_f64 v[15:16], v[3:4], v[9:10]
	s_delay_alu instid0(VALU_DEP_2) | instskip(NEXT) | instid1(VALU_DEP_2)
	v_fma_f64 v[9:10], v[3:4], v[7:8], -v[11:12]
	v_fma_f64 v[11:12], v[1:2], v[7:8], v[15:16]
	scratch_store_b128 off, v[9:12], off offset:240
.LBB23_75:
	s_or_b32 exec_lo, exec_lo, s2
	s_waitcnt_vscnt null, 0x0
	s_barrier
	buffer_gl0_inv
	scratch_load_b128 v[1:4], v84, off
	s_mov_b32 s2, exec_lo
	s_waitcnt vmcnt(0)
	ds_store_b128 v5, v[1:4]
	s_waitcnt lgkmcnt(0)
	s_barrier
	buffer_gl0_inv
	v_cmpx_gt_u32_e32 16, v65
	s_cbranch_execz .LBB23_79
; %bb.76:
	v_dual_mov_b32 v1, 0 :: v_dual_add_nc_u32 v8, 0x180, v13
	v_dual_mov_b32 v2, 0 :: v_dual_add_nc_u32 v7, -1, v65
	v_or_b32_e32 v9, 8, v14
	s_mov_b32 s3, 0
	s_delay_alu instid0(VALU_DEP_2)
	v_dual_mov_b32 v4, v2 :: v_dual_mov_b32 v3, v1
	.p2align	6
.LBB23_77:                              ; =>This Inner Loop Header: Depth=1
	scratch_load_b128 v[89:92], v9, off offset:-8
	ds_load_b128 v[93:96], v8
	v_add_nc_u32_e32 v7, 1, v7
	v_add_nc_u32_e32 v8, 16, v8
	;; [unrolled: 1-line block ×3, first 2 shown]
	s_delay_alu instid0(VALU_DEP_3) | instskip(SKIP_4) | instid1(VALU_DEP_2)
	v_cmp_lt_u32_e32 vcc_lo, 14, v7
	s_or_b32 s3, vcc_lo, s3
	s_waitcnt vmcnt(0) lgkmcnt(0)
	v_mul_f64 v[10:11], v[95:96], v[91:92]
	v_mul_f64 v[15:16], v[93:94], v[91:92]
	v_fma_f64 v[10:11], v[93:94], v[89:90], -v[10:11]
	s_delay_alu instid0(VALU_DEP_2) | instskip(NEXT) | instid1(VALU_DEP_2)
	v_fma_f64 v[15:16], v[95:96], v[89:90], v[15:16]
	v_add_f64 v[3:4], v[3:4], v[10:11]
	s_delay_alu instid0(VALU_DEP_2)
	v_add_f64 v[1:2], v[1:2], v[15:16]
	s_and_not1_b32 exec_lo, exec_lo, s3
	s_cbranch_execnz .LBB23_77
; %bb.78:
	s_or_b32 exec_lo, exec_lo, s3
	v_mov_b32_e32 v7, 0
	ds_load_b128 v[7:10], v7 offset:256
	s_waitcnt lgkmcnt(0)
	v_mul_f64 v[11:12], v[1:2], v[9:10]
	v_mul_f64 v[15:16], v[3:4], v[9:10]
	s_delay_alu instid0(VALU_DEP_2) | instskip(NEXT) | instid1(VALU_DEP_2)
	v_fma_f64 v[9:10], v[3:4], v[7:8], -v[11:12]
	v_fma_f64 v[11:12], v[1:2], v[7:8], v[15:16]
	scratch_store_b128 off, v[9:12], off offset:256
.LBB23_79:
	s_or_b32 exec_lo, exec_lo, s2
	s_waitcnt_vscnt null, 0x0
	s_barrier
	buffer_gl0_inv
	scratch_load_b128 v[1:4], v85, off
	s_mov_b32 s2, exec_lo
	s_waitcnt vmcnt(0)
	ds_store_b128 v5, v[1:4]
	s_waitcnt lgkmcnt(0)
	s_barrier
	buffer_gl0_inv
	v_cmpx_gt_u32_e32 17, v65
	s_cbranch_execz .LBB23_83
; %bb.80:
	v_dual_mov_b32 v1, 0 :: v_dual_add_nc_u32 v8, 0x180, v13
	v_dual_mov_b32 v2, 0 :: v_dual_add_nc_u32 v7, -1, v65
	v_or_b32_e32 v9, 8, v14
	s_mov_b32 s3, 0
	s_delay_alu instid0(VALU_DEP_2)
	v_dual_mov_b32 v4, v2 :: v_dual_mov_b32 v3, v1
	.p2align	6
.LBB23_81:                              ; =>This Inner Loop Header: Depth=1
	scratch_load_b128 v[89:92], v9, off offset:-8
	ds_load_b128 v[93:96], v8
	v_add_nc_u32_e32 v7, 1, v7
	v_add_nc_u32_e32 v8, 16, v8
	;; [unrolled: 1-line block ×3, first 2 shown]
	s_delay_alu instid0(VALU_DEP_3) | instskip(SKIP_4) | instid1(VALU_DEP_2)
	v_cmp_lt_u32_e32 vcc_lo, 15, v7
	s_or_b32 s3, vcc_lo, s3
	s_waitcnt vmcnt(0) lgkmcnt(0)
	v_mul_f64 v[10:11], v[95:96], v[91:92]
	v_mul_f64 v[15:16], v[93:94], v[91:92]
	v_fma_f64 v[10:11], v[93:94], v[89:90], -v[10:11]
	s_delay_alu instid0(VALU_DEP_2) | instskip(NEXT) | instid1(VALU_DEP_2)
	v_fma_f64 v[15:16], v[95:96], v[89:90], v[15:16]
	v_add_f64 v[3:4], v[3:4], v[10:11]
	s_delay_alu instid0(VALU_DEP_2)
	v_add_f64 v[1:2], v[1:2], v[15:16]
	s_and_not1_b32 exec_lo, exec_lo, s3
	s_cbranch_execnz .LBB23_81
; %bb.82:
	s_or_b32 exec_lo, exec_lo, s3
	v_mov_b32_e32 v7, 0
	ds_load_b128 v[7:10], v7 offset:272
	s_waitcnt lgkmcnt(0)
	v_mul_f64 v[11:12], v[1:2], v[9:10]
	v_mul_f64 v[15:16], v[3:4], v[9:10]
	s_delay_alu instid0(VALU_DEP_2) | instskip(NEXT) | instid1(VALU_DEP_2)
	v_fma_f64 v[9:10], v[3:4], v[7:8], -v[11:12]
	v_fma_f64 v[11:12], v[1:2], v[7:8], v[15:16]
	scratch_store_b128 off, v[9:12], off offset:272
.LBB23_83:
	s_or_b32 exec_lo, exec_lo, s2
	s_waitcnt_vscnt null, 0x0
	s_barrier
	buffer_gl0_inv
	scratch_load_b128 v[1:4], v88, off
	s_mov_b32 s2, exec_lo
	s_waitcnt vmcnt(0)
	ds_store_b128 v5, v[1:4]
	s_waitcnt lgkmcnt(0)
	s_barrier
	buffer_gl0_inv
	v_cmpx_gt_u32_e32 18, v65
	s_cbranch_execz .LBB23_87
; %bb.84:
	v_dual_mov_b32 v1, 0 :: v_dual_add_nc_u32 v8, 0x180, v13
	v_dual_mov_b32 v2, 0 :: v_dual_add_nc_u32 v7, -1, v65
	v_or_b32_e32 v9, 8, v14
	s_mov_b32 s3, 0
	s_delay_alu instid0(VALU_DEP_2)
	v_dual_mov_b32 v4, v2 :: v_dual_mov_b32 v3, v1
	.p2align	6
.LBB23_85:                              ; =>This Inner Loop Header: Depth=1
	scratch_load_b128 v[89:92], v9, off offset:-8
	ds_load_b128 v[93:96], v8
	v_add_nc_u32_e32 v7, 1, v7
	v_add_nc_u32_e32 v8, 16, v8
	;; [unrolled: 1-line block ×3, first 2 shown]
	s_delay_alu instid0(VALU_DEP_3) | instskip(SKIP_4) | instid1(VALU_DEP_2)
	v_cmp_lt_u32_e32 vcc_lo, 16, v7
	s_or_b32 s3, vcc_lo, s3
	s_waitcnt vmcnt(0) lgkmcnt(0)
	v_mul_f64 v[10:11], v[95:96], v[91:92]
	v_mul_f64 v[15:16], v[93:94], v[91:92]
	v_fma_f64 v[10:11], v[93:94], v[89:90], -v[10:11]
	s_delay_alu instid0(VALU_DEP_2) | instskip(NEXT) | instid1(VALU_DEP_2)
	v_fma_f64 v[15:16], v[95:96], v[89:90], v[15:16]
	v_add_f64 v[3:4], v[3:4], v[10:11]
	s_delay_alu instid0(VALU_DEP_2)
	v_add_f64 v[1:2], v[1:2], v[15:16]
	s_and_not1_b32 exec_lo, exec_lo, s3
	s_cbranch_execnz .LBB23_85
; %bb.86:
	s_or_b32 exec_lo, exec_lo, s3
	v_mov_b32_e32 v7, 0
	ds_load_b128 v[7:10], v7 offset:288
	s_waitcnt lgkmcnt(0)
	v_mul_f64 v[11:12], v[1:2], v[9:10]
	v_mul_f64 v[15:16], v[3:4], v[9:10]
	s_delay_alu instid0(VALU_DEP_2) | instskip(NEXT) | instid1(VALU_DEP_2)
	v_fma_f64 v[9:10], v[3:4], v[7:8], -v[11:12]
	v_fma_f64 v[11:12], v[1:2], v[7:8], v[15:16]
	scratch_store_b128 off, v[9:12], off offset:288
.LBB23_87:
	s_or_b32 exec_lo, exec_lo, s2
	s_waitcnt_vscnt null, 0x0
	s_barrier
	buffer_gl0_inv
	scratch_load_b128 v[1:4], v87, off
	s_mov_b32 s2, exec_lo
	s_waitcnt vmcnt(0)
	ds_store_b128 v5, v[1:4]
	s_waitcnt lgkmcnt(0)
	s_barrier
	buffer_gl0_inv
	v_cmpx_gt_u32_e32 19, v65
	s_cbranch_execz .LBB23_91
; %bb.88:
	v_dual_mov_b32 v1, 0 :: v_dual_add_nc_u32 v8, 0x180, v13
	v_dual_mov_b32 v2, 0 :: v_dual_add_nc_u32 v7, -1, v65
	v_or_b32_e32 v9, 8, v14
	s_mov_b32 s3, 0
	s_delay_alu instid0(VALU_DEP_2)
	v_dual_mov_b32 v4, v2 :: v_dual_mov_b32 v3, v1
	.p2align	6
.LBB23_89:                              ; =>This Inner Loop Header: Depth=1
	scratch_load_b128 v[89:92], v9, off offset:-8
	ds_load_b128 v[93:96], v8
	v_add_nc_u32_e32 v7, 1, v7
	v_add_nc_u32_e32 v8, 16, v8
	;; [unrolled: 1-line block ×3, first 2 shown]
	s_delay_alu instid0(VALU_DEP_3) | instskip(SKIP_4) | instid1(VALU_DEP_2)
	v_cmp_lt_u32_e32 vcc_lo, 17, v7
	s_or_b32 s3, vcc_lo, s3
	s_waitcnt vmcnt(0) lgkmcnt(0)
	v_mul_f64 v[10:11], v[95:96], v[91:92]
	v_mul_f64 v[15:16], v[93:94], v[91:92]
	v_fma_f64 v[10:11], v[93:94], v[89:90], -v[10:11]
	s_delay_alu instid0(VALU_DEP_2) | instskip(NEXT) | instid1(VALU_DEP_2)
	v_fma_f64 v[15:16], v[95:96], v[89:90], v[15:16]
	v_add_f64 v[3:4], v[3:4], v[10:11]
	s_delay_alu instid0(VALU_DEP_2)
	v_add_f64 v[1:2], v[1:2], v[15:16]
	s_and_not1_b32 exec_lo, exec_lo, s3
	s_cbranch_execnz .LBB23_89
; %bb.90:
	s_or_b32 exec_lo, exec_lo, s3
	v_mov_b32_e32 v7, 0
	ds_load_b128 v[7:10], v7 offset:304
	s_waitcnt lgkmcnt(0)
	v_mul_f64 v[11:12], v[1:2], v[9:10]
	v_mul_f64 v[15:16], v[3:4], v[9:10]
	s_delay_alu instid0(VALU_DEP_2) | instskip(NEXT) | instid1(VALU_DEP_2)
	v_fma_f64 v[9:10], v[3:4], v[7:8], -v[11:12]
	v_fma_f64 v[11:12], v[1:2], v[7:8], v[15:16]
	scratch_store_b128 off, v[9:12], off offset:304
.LBB23_91:
	s_or_b32 exec_lo, exec_lo, s2
	s_waitcnt_vscnt null, 0x0
	s_barrier
	buffer_gl0_inv
	scratch_load_b128 v[1:4], v74, off
	s_mov_b32 s2, exec_lo
	s_waitcnt vmcnt(0)
	ds_store_b128 v5, v[1:4]
	s_waitcnt lgkmcnt(0)
	s_barrier
	buffer_gl0_inv
	v_cmpx_gt_u32_e32 20, v65
	s_cbranch_execz .LBB23_95
; %bb.92:
	v_dual_mov_b32 v1, 0 :: v_dual_add_nc_u32 v8, 0x180, v13
	v_dual_mov_b32 v2, 0 :: v_dual_add_nc_u32 v7, -1, v65
	v_or_b32_e32 v9, 8, v14
	s_mov_b32 s3, 0
	s_delay_alu instid0(VALU_DEP_2)
	v_dual_mov_b32 v4, v2 :: v_dual_mov_b32 v3, v1
	.p2align	6
.LBB23_93:                              ; =>This Inner Loop Header: Depth=1
	scratch_load_b128 v[89:92], v9, off offset:-8
	ds_load_b128 v[93:96], v8
	v_add_nc_u32_e32 v7, 1, v7
	v_add_nc_u32_e32 v8, 16, v8
	;; [unrolled: 1-line block ×3, first 2 shown]
	s_delay_alu instid0(VALU_DEP_3) | instskip(SKIP_4) | instid1(VALU_DEP_2)
	v_cmp_lt_u32_e32 vcc_lo, 18, v7
	s_or_b32 s3, vcc_lo, s3
	s_waitcnt vmcnt(0) lgkmcnt(0)
	v_mul_f64 v[10:11], v[95:96], v[91:92]
	v_mul_f64 v[15:16], v[93:94], v[91:92]
	v_fma_f64 v[10:11], v[93:94], v[89:90], -v[10:11]
	s_delay_alu instid0(VALU_DEP_2) | instskip(NEXT) | instid1(VALU_DEP_2)
	v_fma_f64 v[15:16], v[95:96], v[89:90], v[15:16]
	v_add_f64 v[3:4], v[3:4], v[10:11]
	s_delay_alu instid0(VALU_DEP_2)
	v_add_f64 v[1:2], v[1:2], v[15:16]
	s_and_not1_b32 exec_lo, exec_lo, s3
	s_cbranch_execnz .LBB23_93
; %bb.94:
	s_or_b32 exec_lo, exec_lo, s3
	v_mov_b32_e32 v7, 0
	ds_load_b128 v[7:10], v7 offset:320
	s_waitcnt lgkmcnt(0)
	v_mul_f64 v[11:12], v[1:2], v[9:10]
	v_mul_f64 v[15:16], v[3:4], v[9:10]
	s_delay_alu instid0(VALU_DEP_2) | instskip(NEXT) | instid1(VALU_DEP_2)
	v_fma_f64 v[9:10], v[3:4], v[7:8], -v[11:12]
	v_fma_f64 v[11:12], v[1:2], v[7:8], v[15:16]
	scratch_store_b128 off, v[9:12], off offset:320
.LBB23_95:
	s_or_b32 exec_lo, exec_lo, s2
	s_waitcnt_vscnt null, 0x0
	s_barrier
	buffer_gl0_inv
	scratch_load_b128 v[1:4], v73, off
	s_mov_b32 s2, exec_lo
	s_waitcnt vmcnt(0)
	ds_store_b128 v5, v[1:4]
	s_waitcnt lgkmcnt(0)
	s_barrier
	buffer_gl0_inv
	v_cmpx_gt_u32_e32 21, v65
	s_cbranch_execz .LBB23_99
; %bb.96:
	v_dual_mov_b32 v1, 0 :: v_dual_add_nc_u32 v8, 0x180, v13
	v_dual_mov_b32 v2, 0 :: v_dual_add_nc_u32 v7, -1, v65
	v_or_b32_e32 v9, 8, v14
	s_mov_b32 s3, 0
	s_delay_alu instid0(VALU_DEP_2)
	v_dual_mov_b32 v4, v2 :: v_dual_mov_b32 v3, v1
	.p2align	6
.LBB23_97:                              ; =>This Inner Loop Header: Depth=1
	scratch_load_b128 v[89:92], v9, off offset:-8
	ds_load_b128 v[93:96], v8
	v_add_nc_u32_e32 v7, 1, v7
	v_add_nc_u32_e32 v8, 16, v8
	;; [unrolled: 1-line block ×3, first 2 shown]
	s_delay_alu instid0(VALU_DEP_3) | instskip(SKIP_4) | instid1(VALU_DEP_2)
	v_cmp_lt_u32_e32 vcc_lo, 19, v7
	s_or_b32 s3, vcc_lo, s3
	s_waitcnt vmcnt(0) lgkmcnt(0)
	v_mul_f64 v[10:11], v[95:96], v[91:92]
	v_mul_f64 v[15:16], v[93:94], v[91:92]
	v_fma_f64 v[10:11], v[93:94], v[89:90], -v[10:11]
	s_delay_alu instid0(VALU_DEP_2) | instskip(NEXT) | instid1(VALU_DEP_2)
	v_fma_f64 v[15:16], v[95:96], v[89:90], v[15:16]
	v_add_f64 v[3:4], v[3:4], v[10:11]
	s_delay_alu instid0(VALU_DEP_2)
	v_add_f64 v[1:2], v[1:2], v[15:16]
	s_and_not1_b32 exec_lo, exec_lo, s3
	s_cbranch_execnz .LBB23_97
; %bb.98:
	s_or_b32 exec_lo, exec_lo, s3
	v_mov_b32_e32 v7, 0
	ds_load_b128 v[7:10], v7 offset:336
	s_waitcnt lgkmcnt(0)
	v_mul_f64 v[11:12], v[1:2], v[9:10]
	v_mul_f64 v[15:16], v[3:4], v[9:10]
	s_delay_alu instid0(VALU_DEP_2) | instskip(NEXT) | instid1(VALU_DEP_2)
	v_fma_f64 v[9:10], v[3:4], v[7:8], -v[11:12]
	v_fma_f64 v[11:12], v[1:2], v[7:8], v[15:16]
	scratch_store_b128 off, v[9:12], off offset:336
.LBB23_99:
	s_or_b32 exec_lo, exec_lo, s2
	s_waitcnt_vscnt null, 0x0
	s_barrier
	buffer_gl0_inv
	scratch_load_b128 v[1:4], v81, off
	s_mov_b32 s2, exec_lo
	s_waitcnt vmcnt(0)
	ds_store_b128 v5, v[1:4]
	s_waitcnt lgkmcnt(0)
	s_barrier
	buffer_gl0_inv
	v_cmpx_gt_u32_e32 22, v65
	s_cbranch_execz .LBB23_103
; %bb.100:
	v_dual_mov_b32 v1, 0 :: v_dual_add_nc_u32 v8, 0x180, v13
	v_dual_mov_b32 v2, 0 :: v_dual_add_nc_u32 v7, -1, v65
	v_or_b32_e32 v9, 8, v14
	s_mov_b32 s3, 0
	s_delay_alu instid0(VALU_DEP_2)
	v_dual_mov_b32 v4, v2 :: v_dual_mov_b32 v3, v1
	.p2align	6
.LBB23_101:                             ; =>This Inner Loop Header: Depth=1
	scratch_load_b128 v[10:13], v9, off offset:-8
	ds_load_b128 v[89:92], v8
	v_add_nc_u32_e32 v7, 1, v7
	v_add_nc_u32_e32 v8, 16, v8
	;; [unrolled: 1-line block ×3, first 2 shown]
	s_delay_alu instid0(VALU_DEP_3) | instskip(SKIP_4) | instid1(VALU_DEP_2)
	v_cmp_lt_u32_e32 vcc_lo, 20, v7
	s_or_b32 s3, vcc_lo, s3
	s_waitcnt vmcnt(0) lgkmcnt(0)
	v_mul_f64 v[15:16], v[91:92], v[12:13]
	v_mul_f64 v[12:13], v[89:90], v[12:13]
	v_fma_f64 v[15:16], v[89:90], v[10:11], -v[15:16]
	s_delay_alu instid0(VALU_DEP_2) | instskip(NEXT) | instid1(VALU_DEP_2)
	v_fma_f64 v[10:11], v[91:92], v[10:11], v[12:13]
	v_add_f64 v[3:4], v[3:4], v[15:16]
	s_delay_alu instid0(VALU_DEP_2)
	v_add_f64 v[1:2], v[1:2], v[10:11]
	s_and_not1_b32 exec_lo, exec_lo, s3
	s_cbranch_execnz .LBB23_101
; %bb.102:
	s_or_b32 exec_lo, exec_lo, s3
	v_mov_b32_e32 v7, 0
	ds_load_b128 v[7:10], v7 offset:352
	s_waitcnt lgkmcnt(0)
	v_mul_f64 v[11:12], v[1:2], v[9:10]
	v_mul_f64 v[15:16], v[3:4], v[9:10]
	s_delay_alu instid0(VALU_DEP_2) | instskip(NEXT) | instid1(VALU_DEP_2)
	v_fma_f64 v[9:10], v[3:4], v[7:8], -v[11:12]
	v_fma_f64 v[11:12], v[1:2], v[7:8], v[15:16]
	scratch_store_b128 off, v[9:12], off offset:352
.LBB23_103:
	s_or_b32 exec_lo, exec_lo, s2
	s_waitcnt_vscnt null, 0x0
	s_barrier
	buffer_gl0_inv
	scratch_load_b128 v[1:4], v80, off
	s_mov_b32 s2, exec_lo
	s_waitcnt vmcnt(0)
	ds_store_b128 v5, v[1:4]
	s_waitcnt lgkmcnt(0)
	s_barrier
	buffer_gl0_inv
	v_cmpx_ne_u32_e32 23, v65
	s_cbranch_execz .LBB23_107
; %bb.104:
	v_mov_b32_e32 v1, 0
	v_mov_b32_e32 v2, 0
	v_or_b32_e32 v7, 8, v14
	s_mov_b32 s3, 0
	s_delay_alu instid0(VALU_DEP_2)
	v_dual_mov_b32 v4, v2 :: v_dual_mov_b32 v3, v1
	.p2align	6
.LBB23_105:                             ; =>This Inner Loop Header: Depth=1
	scratch_load_b128 v[8:11], v7, off offset:-8
	ds_load_b128 v[12:15], v5
	v_add_nc_u32_e32 v6, 1, v6
	v_add_nc_u32_e32 v5, 16, v5
	v_add_nc_u32_e32 v7, 16, v7
	s_delay_alu instid0(VALU_DEP_3) | instskip(SKIP_4) | instid1(VALU_DEP_2)
	v_cmp_lt_u32_e32 vcc_lo, 21, v6
	s_or_b32 s3, vcc_lo, s3
	s_waitcnt vmcnt(0) lgkmcnt(0)
	v_mul_f64 v[89:90], v[14:15], v[10:11]
	v_mul_f64 v[10:11], v[12:13], v[10:11]
	v_fma_f64 v[12:13], v[12:13], v[8:9], -v[89:90]
	s_delay_alu instid0(VALU_DEP_2) | instskip(NEXT) | instid1(VALU_DEP_2)
	v_fma_f64 v[8:9], v[14:15], v[8:9], v[10:11]
	v_add_f64 v[3:4], v[3:4], v[12:13]
	s_delay_alu instid0(VALU_DEP_2)
	v_add_f64 v[1:2], v[1:2], v[8:9]
	s_and_not1_b32 exec_lo, exec_lo, s3
	s_cbranch_execnz .LBB23_105
; %bb.106:
	s_or_b32 exec_lo, exec_lo, s3
	v_mov_b32_e32 v5, 0
	ds_load_b128 v[5:8], v5 offset:368
	s_waitcnt lgkmcnt(0)
	v_mul_f64 v[9:10], v[1:2], v[7:8]
	v_mul_f64 v[7:8], v[3:4], v[7:8]
	s_delay_alu instid0(VALU_DEP_2) | instskip(NEXT) | instid1(VALU_DEP_2)
	v_fma_f64 v[3:4], v[3:4], v[5:6], -v[9:10]
	v_fma_f64 v[5:6], v[1:2], v[5:6], v[7:8]
	scratch_store_b128 off, v[3:6], off offset:368
.LBB23_107:
	s_or_b32 exec_lo, exec_lo, s2
	s_mov_b32 s3, -1
	s_waitcnt_vscnt null, 0x0
	s_barrier
	buffer_gl0_inv
.LBB23_108:
	s_and_b32 vcc_lo, exec_lo, s3
	s_cbranch_vccz .LBB23_110
; %bb.109:
	s_lshl_b64 s[2:3], s[18:19], 2
	v_mov_b32_e32 v1, 0
	s_add_u32 s2, s6, s2
	s_addc_u32 s3, s7, s3
	global_load_b32 v1, v1, s[2:3]
	s_waitcnt vmcnt(0)
	v_cmp_ne_u32_e32 vcc_lo, 0, v1
	s_cbranch_vccz .LBB23_111
.LBB23_110:
	s_endpgm
.LBB23_111:
	v_lshl_add_u32 v10, v65, 4, 0x180
	s_mov_b32 s2, exec_lo
	v_cmpx_eq_u32_e32 23, v65
	s_cbranch_execz .LBB23_113
; %bb.112:
	scratch_load_b128 v[1:4], v81, off
	v_mov_b32_e32 v5, 0
	s_delay_alu instid0(VALU_DEP_1)
	v_mov_b32_e32 v6, v5
	v_mov_b32_e32 v7, v5
	;; [unrolled: 1-line block ×3, first 2 shown]
	scratch_store_b128 off, v[5:8], off offset:352
	s_waitcnt vmcnt(0)
	ds_store_b128 v10, v[1:4]
.LBB23_113:
	s_or_b32 exec_lo, exec_lo, s2
	s_waitcnt lgkmcnt(0)
	s_waitcnt_vscnt null, 0x0
	s_barrier
	buffer_gl0_inv
	s_clause 0x1
	scratch_load_b128 v[2:5], off, off offset:368
	scratch_load_b128 v[6:9], off, off offset:352
	v_mov_b32_e32 v1, 0
	s_mov_b32 s2, exec_lo
	ds_load_b128 v[11:14], v1 offset:752
	s_waitcnt vmcnt(1) lgkmcnt(0)
	v_mul_f64 v[15:16], v[13:14], v[4:5]
	v_mul_f64 v[4:5], v[11:12], v[4:5]
	s_delay_alu instid0(VALU_DEP_2) | instskip(NEXT) | instid1(VALU_DEP_2)
	v_fma_f64 v[11:12], v[11:12], v[2:3], -v[15:16]
	v_fma_f64 v[2:3], v[13:14], v[2:3], v[4:5]
	s_delay_alu instid0(VALU_DEP_2) | instskip(NEXT) | instid1(VALU_DEP_2)
	v_add_f64 v[4:5], v[11:12], 0
	v_add_f64 v[11:12], v[2:3], 0
	s_waitcnt vmcnt(0)
	s_delay_alu instid0(VALU_DEP_2) | instskip(NEXT) | instid1(VALU_DEP_2)
	v_add_f64 v[2:3], v[6:7], -v[4:5]
	v_add_f64 v[4:5], v[8:9], -v[11:12]
	scratch_store_b128 off, v[2:5], off offset:352
	v_cmpx_lt_u32_e32 21, v65
	s_cbranch_execz .LBB23_115
; %bb.114:
	scratch_load_b128 v[5:8], v73, off
	v_mov_b32_e32 v2, v1
	v_mov_b32_e32 v3, v1
	;; [unrolled: 1-line block ×3, first 2 shown]
	scratch_store_b128 off, v[1:4], off offset:336
	s_waitcnt vmcnt(0)
	ds_store_b128 v10, v[5:8]
.LBB23_115:
	s_or_b32 exec_lo, exec_lo, s2
	s_waitcnt lgkmcnt(0)
	s_waitcnt_vscnt null, 0x0
	s_barrier
	buffer_gl0_inv
	s_clause 0x2
	scratch_load_b128 v[2:5], off, off offset:352
	scratch_load_b128 v[6:9], off, off offset:368
	;; [unrolled: 1-line block ×3, first 2 shown]
	ds_load_b128 v[89:92], v1 offset:736
	ds_load_b128 v[93:96], v1 offset:752
	s_mov_b32 s2, exec_lo
	s_waitcnt vmcnt(2) lgkmcnt(1)
	v_mul_f64 v[15:16], v[91:92], v[4:5]
	v_mul_f64 v[4:5], v[89:90], v[4:5]
	s_waitcnt vmcnt(1) lgkmcnt(0)
	v_mul_f64 v[97:98], v[93:94], v[8:9]
	v_mul_f64 v[8:9], v[95:96], v[8:9]
	s_delay_alu instid0(VALU_DEP_4) | instskip(NEXT) | instid1(VALU_DEP_4)
	v_fma_f64 v[15:16], v[89:90], v[2:3], -v[15:16]
	v_fma_f64 v[1:2], v[91:92], v[2:3], v[4:5]
	s_delay_alu instid0(VALU_DEP_4) | instskip(NEXT) | instid1(VALU_DEP_4)
	v_fma_f64 v[3:4], v[95:96], v[6:7], v[97:98]
	v_fma_f64 v[5:6], v[93:94], v[6:7], -v[8:9]
	s_delay_alu instid0(VALU_DEP_4) | instskip(NEXT) | instid1(VALU_DEP_4)
	v_add_f64 v[7:8], v[15:16], 0
	v_add_f64 v[1:2], v[1:2], 0
	s_delay_alu instid0(VALU_DEP_2) | instskip(NEXT) | instid1(VALU_DEP_2)
	v_add_f64 v[5:6], v[7:8], v[5:6]
	v_add_f64 v[3:4], v[1:2], v[3:4]
	s_waitcnt vmcnt(0)
	s_delay_alu instid0(VALU_DEP_2) | instskip(NEXT) | instid1(VALU_DEP_2)
	v_add_f64 v[1:2], v[11:12], -v[5:6]
	v_add_f64 v[3:4], v[13:14], -v[3:4]
	scratch_store_b128 off, v[1:4], off offset:336
	v_cmpx_lt_u32_e32 20, v65
	s_cbranch_execz .LBB23_117
; %bb.116:
	scratch_load_b128 v[1:4], v74, off
	v_mov_b32_e32 v5, 0
	s_delay_alu instid0(VALU_DEP_1)
	v_mov_b32_e32 v6, v5
	v_mov_b32_e32 v7, v5
	;; [unrolled: 1-line block ×3, first 2 shown]
	scratch_store_b128 off, v[5:8], off offset:320
	s_waitcnt vmcnt(0)
	ds_store_b128 v10, v[1:4]
.LBB23_117:
	s_or_b32 exec_lo, exec_lo, s2
	s_waitcnt lgkmcnt(0)
	s_waitcnt_vscnt null, 0x0
	s_barrier
	buffer_gl0_inv
	s_clause 0x3
	scratch_load_b128 v[2:5], off, off offset:336
	scratch_load_b128 v[6:9], off, off offset:352
	;; [unrolled: 1-line block ×4, first 2 shown]
	v_mov_b32_e32 v1, 0
	ds_load_b128 v[93:96], v1 offset:720
	ds_load_b128 v[97:100], v1 offset:736
	s_mov_b32 s2, exec_lo
	s_waitcnt vmcnt(3) lgkmcnt(1)
	v_mul_f64 v[15:16], v[95:96], v[4:5]
	v_mul_f64 v[4:5], v[93:94], v[4:5]
	s_waitcnt vmcnt(2) lgkmcnt(0)
	v_mul_f64 v[101:102], v[97:98], v[8:9]
	v_mul_f64 v[8:9], v[99:100], v[8:9]
	s_delay_alu instid0(VALU_DEP_4) | instskip(NEXT) | instid1(VALU_DEP_4)
	v_fma_f64 v[15:16], v[93:94], v[2:3], -v[15:16]
	v_fma_f64 v[93:94], v[95:96], v[2:3], v[4:5]
	ds_load_b128 v[2:5], v1 offset:752
	v_fma_f64 v[99:100], v[99:100], v[6:7], v[101:102]
	v_fma_f64 v[6:7], v[97:98], v[6:7], -v[8:9]
	s_waitcnt vmcnt(1) lgkmcnt(0)
	v_mul_f64 v[95:96], v[2:3], v[13:14]
	v_mul_f64 v[13:14], v[4:5], v[13:14]
	v_add_f64 v[8:9], v[15:16], 0
	v_add_f64 v[15:16], v[93:94], 0
	s_delay_alu instid0(VALU_DEP_4) | instskip(NEXT) | instid1(VALU_DEP_4)
	v_fma_f64 v[4:5], v[4:5], v[11:12], v[95:96]
	v_fma_f64 v[2:3], v[2:3], v[11:12], -v[13:14]
	s_delay_alu instid0(VALU_DEP_4) | instskip(NEXT) | instid1(VALU_DEP_4)
	v_add_f64 v[6:7], v[8:9], v[6:7]
	v_add_f64 v[8:9], v[15:16], v[99:100]
	s_delay_alu instid0(VALU_DEP_2) | instskip(NEXT) | instid1(VALU_DEP_2)
	v_add_f64 v[2:3], v[6:7], v[2:3]
	v_add_f64 v[4:5], v[8:9], v[4:5]
	s_waitcnt vmcnt(0)
	s_delay_alu instid0(VALU_DEP_2) | instskip(NEXT) | instid1(VALU_DEP_2)
	v_add_f64 v[2:3], v[89:90], -v[2:3]
	v_add_f64 v[4:5], v[91:92], -v[4:5]
	scratch_store_b128 off, v[2:5], off offset:320
	v_cmpx_lt_u32_e32 19, v65
	s_cbranch_execz .LBB23_119
; %bb.118:
	scratch_load_b128 v[5:8], v87, off
	v_mov_b32_e32 v2, v1
	v_mov_b32_e32 v3, v1
	v_mov_b32_e32 v4, v1
	scratch_store_b128 off, v[1:4], off offset:304
	s_waitcnt vmcnt(0)
	ds_store_b128 v10, v[5:8]
.LBB23_119:
	s_or_b32 exec_lo, exec_lo, s2
	s_waitcnt lgkmcnt(0)
	s_waitcnt_vscnt null, 0x0
	s_barrier
	buffer_gl0_inv
	s_clause 0x4
	scratch_load_b128 v[2:5], off, off offset:320
	scratch_load_b128 v[6:9], off, off offset:336
	;; [unrolled: 1-line block ×5, first 2 shown]
	ds_load_b128 v[97:100], v1 offset:704
	ds_load_b128 v[101:104], v1 offset:720
	s_mov_b32 s2, exec_lo
	s_waitcnt vmcnt(4) lgkmcnt(1)
	v_mul_f64 v[15:16], v[99:100], v[4:5]
	v_mul_f64 v[4:5], v[97:98], v[4:5]
	s_waitcnt vmcnt(3) lgkmcnt(0)
	v_mul_f64 v[105:106], v[101:102], v[8:9]
	v_mul_f64 v[8:9], v[103:104], v[8:9]
	s_delay_alu instid0(VALU_DEP_4) | instskip(NEXT) | instid1(VALU_DEP_4)
	v_fma_f64 v[15:16], v[97:98], v[2:3], -v[15:16]
	v_fma_f64 v[107:108], v[99:100], v[2:3], v[4:5]
	ds_load_b128 v[2:5], v1 offset:736
	ds_load_b128 v[97:100], v1 offset:752
	v_fma_f64 v[103:104], v[103:104], v[6:7], v[105:106]
	v_fma_f64 v[6:7], v[101:102], v[6:7], -v[8:9]
	s_waitcnt vmcnt(2) lgkmcnt(1)
	v_mul_f64 v[109:110], v[2:3], v[13:14]
	v_mul_f64 v[13:14], v[4:5], v[13:14]
	s_waitcnt vmcnt(1) lgkmcnt(0)
	v_mul_f64 v[101:102], v[97:98], v[91:92]
	v_mul_f64 v[91:92], v[99:100], v[91:92]
	v_add_f64 v[8:9], v[15:16], 0
	v_add_f64 v[15:16], v[107:108], 0
	v_fma_f64 v[4:5], v[4:5], v[11:12], v[109:110]
	v_fma_f64 v[1:2], v[2:3], v[11:12], -v[13:14]
	v_fma_f64 v[11:12], v[99:100], v[89:90], v[101:102]
	v_fma_f64 v[13:14], v[97:98], v[89:90], -v[91:92]
	v_add_f64 v[6:7], v[8:9], v[6:7]
	v_add_f64 v[8:9], v[15:16], v[103:104]
	s_delay_alu instid0(VALU_DEP_2) | instskip(NEXT) | instid1(VALU_DEP_2)
	v_add_f64 v[1:2], v[6:7], v[1:2]
	v_add_f64 v[3:4], v[8:9], v[4:5]
	s_delay_alu instid0(VALU_DEP_2) | instskip(NEXT) | instid1(VALU_DEP_2)
	v_add_f64 v[1:2], v[1:2], v[13:14]
	v_add_f64 v[3:4], v[3:4], v[11:12]
	s_waitcnt vmcnt(0)
	s_delay_alu instid0(VALU_DEP_2) | instskip(NEXT) | instid1(VALU_DEP_2)
	v_add_f64 v[1:2], v[93:94], -v[1:2]
	v_add_f64 v[3:4], v[95:96], -v[3:4]
	scratch_store_b128 off, v[1:4], off offset:304
	v_cmpx_lt_u32_e32 18, v65
	s_cbranch_execz .LBB23_121
; %bb.120:
	scratch_load_b128 v[1:4], v88, off
	v_mov_b32_e32 v5, 0
	s_delay_alu instid0(VALU_DEP_1)
	v_mov_b32_e32 v6, v5
	v_mov_b32_e32 v7, v5
	;; [unrolled: 1-line block ×3, first 2 shown]
	scratch_store_b128 off, v[5:8], off offset:288
	s_waitcnt vmcnt(0)
	ds_store_b128 v10, v[1:4]
.LBB23_121:
	s_or_b32 exec_lo, exec_lo, s2
	s_waitcnt lgkmcnt(0)
	s_waitcnt_vscnt null, 0x0
	s_barrier
	buffer_gl0_inv
	s_clause 0x5
	scratch_load_b128 v[2:5], off, off offset:304
	scratch_load_b128 v[6:9], off, off offset:320
	;; [unrolled: 1-line block ×6, first 2 shown]
	v_mov_b32_e32 v1, 0
	ds_load_b128 v[101:104], v1 offset:688
	ds_load_b128 v[105:108], v1 offset:704
	s_mov_b32 s2, exec_lo
	s_waitcnt vmcnt(5) lgkmcnt(1)
	v_mul_f64 v[15:16], v[103:104], v[4:5]
	v_mul_f64 v[4:5], v[101:102], v[4:5]
	s_waitcnt vmcnt(4) lgkmcnt(0)
	v_mul_f64 v[109:110], v[105:106], v[8:9]
	v_mul_f64 v[8:9], v[107:108], v[8:9]
	s_delay_alu instid0(VALU_DEP_4) | instskip(NEXT) | instid1(VALU_DEP_4)
	v_fma_f64 v[15:16], v[101:102], v[2:3], -v[15:16]
	v_fma_f64 v[111:112], v[103:104], v[2:3], v[4:5]
	ds_load_b128 v[2:5], v1 offset:720
	ds_load_b128 v[101:104], v1 offset:736
	v_fma_f64 v[107:108], v[107:108], v[6:7], v[109:110]
	v_fma_f64 v[6:7], v[105:106], v[6:7], -v[8:9]
	s_waitcnt vmcnt(3) lgkmcnt(1)
	v_mul_f64 v[113:114], v[2:3], v[13:14]
	v_mul_f64 v[13:14], v[4:5], v[13:14]
	s_waitcnt vmcnt(2) lgkmcnt(0)
	v_mul_f64 v[105:106], v[101:102], v[91:92]
	v_mul_f64 v[91:92], v[103:104], v[91:92]
	v_add_f64 v[8:9], v[15:16], 0
	v_add_f64 v[15:16], v[111:112], 0
	v_fma_f64 v[109:110], v[4:5], v[11:12], v[113:114]
	v_fma_f64 v[11:12], v[2:3], v[11:12], -v[13:14]
	ds_load_b128 v[2:5], v1 offset:752
	v_add_f64 v[6:7], v[8:9], v[6:7]
	v_add_f64 v[8:9], v[15:16], v[107:108]
	s_waitcnt vmcnt(1) lgkmcnt(0)
	v_mul_f64 v[13:14], v[2:3], v[95:96]
	v_mul_f64 v[15:16], v[4:5], v[95:96]
	v_fma_f64 v[95:96], v[103:104], v[89:90], v[105:106]
	v_fma_f64 v[89:90], v[101:102], v[89:90], -v[91:92]
	v_add_f64 v[6:7], v[6:7], v[11:12]
	v_add_f64 v[8:9], v[8:9], v[109:110]
	v_fma_f64 v[4:5], v[4:5], v[93:94], v[13:14]
	v_fma_f64 v[2:3], v[2:3], v[93:94], -v[15:16]
	s_delay_alu instid0(VALU_DEP_4) | instskip(NEXT) | instid1(VALU_DEP_4)
	v_add_f64 v[6:7], v[6:7], v[89:90]
	v_add_f64 v[8:9], v[8:9], v[95:96]
	s_delay_alu instid0(VALU_DEP_2) | instskip(NEXT) | instid1(VALU_DEP_2)
	v_add_f64 v[2:3], v[6:7], v[2:3]
	v_add_f64 v[4:5], v[8:9], v[4:5]
	s_waitcnt vmcnt(0)
	s_delay_alu instid0(VALU_DEP_2) | instskip(NEXT) | instid1(VALU_DEP_2)
	v_add_f64 v[2:3], v[97:98], -v[2:3]
	v_add_f64 v[4:5], v[99:100], -v[4:5]
	scratch_store_b128 off, v[2:5], off offset:288
	v_cmpx_lt_u32_e32 17, v65
	s_cbranch_execz .LBB23_123
; %bb.122:
	scratch_load_b128 v[5:8], v85, off
	v_mov_b32_e32 v2, v1
	v_mov_b32_e32 v3, v1
	;; [unrolled: 1-line block ×3, first 2 shown]
	scratch_store_b128 off, v[1:4], off offset:272
	s_waitcnt vmcnt(0)
	ds_store_b128 v10, v[5:8]
.LBB23_123:
	s_or_b32 exec_lo, exec_lo, s2
	s_waitcnt lgkmcnt(0)
	s_waitcnt_vscnt null, 0x0
	s_barrier
	buffer_gl0_inv
	s_clause 0x5
	scratch_load_b128 v[2:5], off, off offset:288
	scratch_load_b128 v[6:9], off, off offset:304
	;; [unrolled: 1-line block ×6, first 2 shown]
	ds_load_b128 v[101:104], v1 offset:672
	ds_load_b128 v[109:112], v1 offset:688
	scratch_load_b128 v[105:108], off, off offset:272
	s_mov_b32 s2, exec_lo
	s_waitcnt vmcnt(6) lgkmcnt(1)
	v_mul_f64 v[15:16], v[103:104], v[4:5]
	v_mul_f64 v[4:5], v[101:102], v[4:5]
	s_waitcnt vmcnt(5) lgkmcnt(0)
	v_mul_f64 v[113:114], v[109:110], v[8:9]
	v_mul_f64 v[8:9], v[111:112], v[8:9]
	s_delay_alu instid0(VALU_DEP_4) | instskip(NEXT) | instid1(VALU_DEP_4)
	v_fma_f64 v[15:16], v[101:102], v[2:3], -v[15:16]
	v_fma_f64 v[115:116], v[103:104], v[2:3], v[4:5]
	ds_load_b128 v[2:5], v1 offset:704
	ds_load_b128 v[101:104], v1 offset:720
	v_fma_f64 v[111:112], v[111:112], v[6:7], v[113:114]
	v_fma_f64 v[6:7], v[109:110], v[6:7], -v[8:9]
	s_waitcnt vmcnt(4) lgkmcnt(1)
	v_mul_f64 v[117:118], v[2:3], v[13:14]
	v_mul_f64 v[13:14], v[4:5], v[13:14]
	s_waitcnt vmcnt(3) lgkmcnt(0)
	v_mul_f64 v[109:110], v[101:102], v[91:92]
	v_mul_f64 v[91:92], v[103:104], v[91:92]
	v_add_f64 v[8:9], v[15:16], 0
	v_add_f64 v[15:16], v[115:116], 0
	v_fma_f64 v[113:114], v[4:5], v[11:12], v[117:118]
	v_fma_f64 v[11:12], v[2:3], v[11:12], -v[13:14]
	v_fma_f64 v[103:104], v[103:104], v[89:90], v[109:110]
	v_fma_f64 v[89:90], v[101:102], v[89:90], -v[91:92]
	v_add_f64 v[13:14], v[8:9], v[6:7]
	v_add_f64 v[15:16], v[15:16], v[111:112]
	ds_load_b128 v[2:5], v1 offset:736
	ds_load_b128 v[6:9], v1 offset:752
	s_waitcnt vmcnt(2) lgkmcnt(1)
	v_mul_f64 v[111:112], v[2:3], v[95:96]
	v_mul_f64 v[95:96], v[4:5], v[95:96]
	s_waitcnt vmcnt(1) lgkmcnt(0)
	v_mul_f64 v[91:92], v[8:9], v[99:100]
	v_add_f64 v[11:12], v[13:14], v[11:12]
	v_add_f64 v[13:14], v[15:16], v[113:114]
	v_mul_f64 v[15:16], v[6:7], v[99:100]
	v_fma_f64 v[4:5], v[4:5], v[93:94], v[111:112]
	v_fma_f64 v[1:2], v[2:3], v[93:94], -v[95:96]
	v_fma_f64 v[6:7], v[6:7], v[97:98], -v[91:92]
	v_add_f64 v[11:12], v[11:12], v[89:90]
	v_add_f64 v[13:14], v[13:14], v[103:104]
	v_fma_f64 v[8:9], v[8:9], v[97:98], v[15:16]
	s_delay_alu instid0(VALU_DEP_3) | instskip(NEXT) | instid1(VALU_DEP_3)
	v_add_f64 v[1:2], v[11:12], v[1:2]
	v_add_f64 v[3:4], v[13:14], v[4:5]
	s_delay_alu instid0(VALU_DEP_2) | instskip(NEXT) | instid1(VALU_DEP_2)
	v_add_f64 v[1:2], v[1:2], v[6:7]
	v_add_f64 v[3:4], v[3:4], v[8:9]
	s_waitcnt vmcnt(0)
	s_delay_alu instid0(VALU_DEP_2) | instskip(NEXT) | instid1(VALU_DEP_2)
	v_add_f64 v[1:2], v[105:106], -v[1:2]
	v_add_f64 v[3:4], v[107:108], -v[3:4]
	scratch_store_b128 off, v[1:4], off offset:272
	v_cmpx_lt_u32_e32 16, v65
	s_cbranch_execz .LBB23_125
; %bb.124:
	scratch_load_b128 v[1:4], v84, off
	v_mov_b32_e32 v5, 0
	s_delay_alu instid0(VALU_DEP_1)
	v_mov_b32_e32 v6, v5
	v_mov_b32_e32 v7, v5
	v_mov_b32_e32 v8, v5
	scratch_store_b128 off, v[5:8], off offset:256
	s_waitcnt vmcnt(0)
	ds_store_b128 v10, v[1:4]
.LBB23_125:
	s_or_b32 exec_lo, exec_lo, s2
	s_waitcnt lgkmcnt(0)
	s_waitcnt_vscnt null, 0x0
	s_barrier
	buffer_gl0_inv
	s_clause 0x6
	scratch_load_b128 v[2:5], off, off offset:272
	scratch_load_b128 v[6:9], off, off offset:288
	;; [unrolled: 1-line block ×7, first 2 shown]
	v_mov_b32_e32 v1, 0
	scratch_load_b128 v[109:112], off, off offset:256
	s_mov_b32 s2, exec_lo
	ds_load_b128 v[105:108], v1 offset:656
	ds_load_b128 v[113:116], v1 offset:672
	s_waitcnt vmcnt(7) lgkmcnt(1)
	v_mul_f64 v[15:16], v[107:108], v[4:5]
	v_mul_f64 v[4:5], v[105:106], v[4:5]
	s_waitcnt vmcnt(6) lgkmcnt(0)
	v_mul_f64 v[117:118], v[113:114], v[8:9]
	v_mul_f64 v[8:9], v[115:116], v[8:9]
	s_delay_alu instid0(VALU_DEP_4) | instskip(NEXT) | instid1(VALU_DEP_4)
	v_fma_f64 v[15:16], v[105:106], v[2:3], -v[15:16]
	v_fma_f64 v[119:120], v[107:108], v[2:3], v[4:5]
	ds_load_b128 v[2:5], v1 offset:688
	ds_load_b128 v[105:108], v1 offset:704
	v_fma_f64 v[115:116], v[115:116], v[6:7], v[117:118]
	v_fma_f64 v[6:7], v[113:114], v[6:7], -v[8:9]
	s_waitcnt vmcnt(5) lgkmcnt(1)
	v_mul_f64 v[121:122], v[2:3], v[13:14]
	v_mul_f64 v[13:14], v[4:5], v[13:14]
	s_waitcnt vmcnt(4) lgkmcnt(0)
	v_mul_f64 v[113:114], v[105:106], v[91:92]
	v_mul_f64 v[91:92], v[107:108], v[91:92]
	v_add_f64 v[8:9], v[15:16], 0
	v_add_f64 v[15:16], v[119:120], 0
	v_fma_f64 v[117:118], v[4:5], v[11:12], v[121:122]
	v_fma_f64 v[11:12], v[2:3], v[11:12], -v[13:14]
	v_fma_f64 v[107:108], v[107:108], v[89:90], v[113:114]
	v_fma_f64 v[89:90], v[105:106], v[89:90], -v[91:92]
	v_add_f64 v[13:14], v[8:9], v[6:7]
	v_add_f64 v[15:16], v[15:16], v[115:116]
	ds_load_b128 v[2:5], v1 offset:720
	ds_load_b128 v[6:9], v1 offset:736
	s_waitcnt vmcnt(3) lgkmcnt(1)
	v_mul_f64 v[115:116], v[2:3], v[95:96]
	v_mul_f64 v[95:96], v[4:5], v[95:96]
	s_waitcnt vmcnt(2) lgkmcnt(0)
	v_mul_f64 v[91:92], v[8:9], v[99:100]
	v_add_f64 v[11:12], v[13:14], v[11:12]
	v_add_f64 v[13:14], v[15:16], v[117:118]
	v_mul_f64 v[15:16], v[6:7], v[99:100]
	v_fma_f64 v[99:100], v[4:5], v[93:94], v[115:116]
	v_fma_f64 v[93:94], v[2:3], v[93:94], -v[95:96]
	ds_load_b128 v[2:5], v1 offset:752
	v_fma_f64 v[6:7], v[6:7], v[97:98], -v[91:92]
	v_add_f64 v[11:12], v[11:12], v[89:90]
	v_add_f64 v[13:14], v[13:14], v[107:108]
	v_fma_f64 v[8:9], v[8:9], v[97:98], v[15:16]
	s_waitcnt vmcnt(1) lgkmcnt(0)
	v_mul_f64 v[89:90], v[2:3], v[103:104]
	v_mul_f64 v[95:96], v[4:5], v[103:104]
	v_add_f64 v[11:12], v[11:12], v[93:94]
	v_add_f64 v[13:14], v[13:14], v[99:100]
	s_delay_alu instid0(VALU_DEP_4) | instskip(NEXT) | instid1(VALU_DEP_4)
	v_fma_f64 v[4:5], v[4:5], v[101:102], v[89:90]
	v_fma_f64 v[2:3], v[2:3], v[101:102], -v[95:96]
	s_delay_alu instid0(VALU_DEP_4) | instskip(NEXT) | instid1(VALU_DEP_4)
	v_add_f64 v[6:7], v[11:12], v[6:7]
	v_add_f64 v[8:9], v[13:14], v[8:9]
	s_delay_alu instid0(VALU_DEP_2) | instskip(NEXT) | instid1(VALU_DEP_2)
	v_add_f64 v[2:3], v[6:7], v[2:3]
	v_add_f64 v[4:5], v[8:9], v[4:5]
	s_waitcnt vmcnt(0)
	s_delay_alu instid0(VALU_DEP_2) | instskip(NEXT) | instid1(VALU_DEP_2)
	v_add_f64 v[2:3], v[109:110], -v[2:3]
	v_add_f64 v[4:5], v[111:112], -v[4:5]
	scratch_store_b128 off, v[2:5], off offset:256
	v_cmpx_lt_u32_e32 15, v65
	s_cbranch_execz .LBB23_127
; %bb.126:
	scratch_load_b128 v[5:8], v86, off
	v_mov_b32_e32 v2, v1
	v_mov_b32_e32 v3, v1
	;; [unrolled: 1-line block ×3, first 2 shown]
	scratch_store_b128 off, v[1:4], off offset:240
	s_waitcnt vmcnt(0)
	ds_store_b128 v10, v[5:8]
.LBB23_127:
	s_or_b32 exec_lo, exec_lo, s2
	s_waitcnt lgkmcnt(0)
	s_waitcnt_vscnt null, 0x0
	s_barrier
	buffer_gl0_inv
	s_clause 0x7
	scratch_load_b128 v[2:5], off, off offset:256
	scratch_load_b128 v[6:9], off, off offset:272
	;; [unrolled: 1-line block ×8, first 2 shown]
	ds_load_b128 v[109:112], v1 offset:640
	ds_load_b128 v[113:116], v1 offset:656
	scratch_load_b128 v[117:120], off, off offset:240
	s_mov_b32 s2, exec_lo
	s_waitcnt vmcnt(8) lgkmcnt(1)
	v_mul_f64 v[15:16], v[111:112], v[4:5]
	v_mul_f64 v[4:5], v[109:110], v[4:5]
	s_waitcnt vmcnt(7) lgkmcnt(0)
	v_mul_f64 v[121:122], v[113:114], v[8:9]
	v_mul_f64 v[8:9], v[115:116], v[8:9]
	s_delay_alu instid0(VALU_DEP_4) | instskip(NEXT) | instid1(VALU_DEP_4)
	v_fma_f64 v[15:16], v[109:110], v[2:3], -v[15:16]
	v_fma_f64 v[123:124], v[111:112], v[2:3], v[4:5]
	ds_load_b128 v[2:5], v1 offset:672
	ds_load_b128 v[109:112], v1 offset:688
	v_fma_f64 v[115:116], v[115:116], v[6:7], v[121:122]
	v_fma_f64 v[6:7], v[113:114], v[6:7], -v[8:9]
	s_waitcnt vmcnt(6) lgkmcnt(1)
	v_mul_f64 v[125:126], v[2:3], v[13:14]
	v_mul_f64 v[13:14], v[4:5], v[13:14]
	s_waitcnt vmcnt(5) lgkmcnt(0)
	v_mul_f64 v[113:114], v[109:110], v[91:92]
	v_mul_f64 v[91:92], v[111:112], v[91:92]
	v_add_f64 v[8:9], v[15:16], 0
	v_add_f64 v[15:16], v[123:124], 0
	v_fma_f64 v[121:122], v[4:5], v[11:12], v[125:126]
	v_fma_f64 v[11:12], v[2:3], v[11:12], -v[13:14]
	v_fma_f64 v[111:112], v[111:112], v[89:90], v[113:114]
	v_fma_f64 v[89:90], v[109:110], v[89:90], -v[91:92]
	v_add_f64 v[13:14], v[8:9], v[6:7]
	v_add_f64 v[15:16], v[15:16], v[115:116]
	ds_load_b128 v[2:5], v1 offset:704
	ds_load_b128 v[6:9], v1 offset:720
	s_waitcnt vmcnt(4) lgkmcnt(1)
	v_mul_f64 v[115:116], v[2:3], v[95:96]
	v_mul_f64 v[95:96], v[4:5], v[95:96]
	s_waitcnt vmcnt(3) lgkmcnt(0)
	v_mul_f64 v[91:92], v[8:9], v[99:100]
	v_add_f64 v[11:12], v[13:14], v[11:12]
	v_add_f64 v[13:14], v[15:16], v[121:122]
	v_mul_f64 v[15:16], v[6:7], v[99:100]
	v_fma_f64 v[99:100], v[4:5], v[93:94], v[115:116]
	v_fma_f64 v[93:94], v[2:3], v[93:94], -v[95:96]
	v_fma_f64 v[6:7], v[6:7], v[97:98], -v[91:92]
	v_add_f64 v[89:90], v[11:12], v[89:90]
	v_add_f64 v[95:96], v[13:14], v[111:112]
	ds_load_b128 v[2:5], v1 offset:736
	ds_load_b128 v[11:14], v1 offset:752
	v_fma_f64 v[8:9], v[8:9], v[97:98], v[15:16]
	s_waitcnt vmcnt(2) lgkmcnt(1)
	v_mul_f64 v[109:110], v[2:3], v[103:104]
	v_mul_f64 v[103:104], v[4:5], v[103:104]
	s_waitcnt vmcnt(1) lgkmcnt(0)
	v_mul_f64 v[91:92], v[11:12], v[107:108]
	v_add_f64 v[15:16], v[89:90], v[93:94]
	v_add_f64 v[89:90], v[95:96], v[99:100]
	v_mul_f64 v[93:94], v[13:14], v[107:108]
	v_fma_f64 v[4:5], v[4:5], v[101:102], v[109:110]
	v_fma_f64 v[1:2], v[2:3], v[101:102], -v[103:104]
	v_fma_f64 v[13:14], v[13:14], v[105:106], v[91:92]
	v_add_f64 v[6:7], v[15:16], v[6:7]
	v_add_f64 v[8:9], v[89:90], v[8:9]
	v_fma_f64 v[11:12], v[11:12], v[105:106], -v[93:94]
	s_delay_alu instid0(VALU_DEP_3) | instskip(NEXT) | instid1(VALU_DEP_3)
	v_add_f64 v[1:2], v[6:7], v[1:2]
	v_add_f64 v[3:4], v[8:9], v[4:5]
	s_delay_alu instid0(VALU_DEP_2) | instskip(NEXT) | instid1(VALU_DEP_2)
	v_add_f64 v[1:2], v[1:2], v[11:12]
	v_add_f64 v[3:4], v[3:4], v[13:14]
	s_waitcnt vmcnt(0)
	s_delay_alu instid0(VALU_DEP_2) | instskip(NEXT) | instid1(VALU_DEP_2)
	v_add_f64 v[1:2], v[117:118], -v[1:2]
	v_add_f64 v[3:4], v[119:120], -v[3:4]
	scratch_store_b128 off, v[1:4], off offset:240
	v_cmpx_lt_u32_e32 14, v65
	s_cbranch_execz .LBB23_129
; %bb.128:
	scratch_load_b128 v[1:4], v77, off
	v_mov_b32_e32 v5, 0
	s_delay_alu instid0(VALU_DEP_1)
	v_mov_b32_e32 v6, v5
	v_mov_b32_e32 v7, v5
	;; [unrolled: 1-line block ×3, first 2 shown]
	scratch_store_b128 off, v[5:8], off offset:224
	s_waitcnt vmcnt(0)
	ds_store_b128 v10, v[1:4]
.LBB23_129:
	s_or_b32 exec_lo, exec_lo, s2
	s_waitcnt lgkmcnt(0)
	s_waitcnt_vscnt null, 0x0
	s_barrier
	buffer_gl0_inv
	s_clause 0x7
	scratch_load_b128 v[2:5], off, off offset:240
	scratch_load_b128 v[6:9], off, off offset:256
	;; [unrolled: 1-line block ×8, first 2 shown]
	v_mov_b32_e32 v1, 0
	s_mov_b32 s2, exec_lo
	ds_load_b128 v[109:112], v1 offset:624
	s_clause 0x1
	scratch_load_b128 v[113:116], off, off offset:368
	scratch_load_b128 v[117:120], off, off offset:224
	ds_load_b128 v[121:124], v1 offset:640
	s_waitcnt vmcnt(9) lgkmcnt(1)
	v_mul_f64 v[15:16], v[111:112], v[4:5]
	v_mul_f64 v[4:5], v[109:110], v[4:5]
	s_waitcnt vmcnt(8) lgkmcnt(0)
	v_mul_f64 v[125:126], v[121:122], v[8:9]
	v_mul_f64 v[8:9], v[123:124], v[8:9]
	s_delay_alu instid0(VALU_DEP_4) | instskip(NEXT) | instid1(VALU_DEP_4)
	v_fma_f64 v[15:16], v[109:110], v[2:3], -v[15:16]
	v_fma_f64 v[127:128], v[111:112], v[2:3], v[4:5]
	ds_load_b128 v[2:5], v1 offset:656
	ds_load_b128 v[109:112], v1 offset:672
	v_fma_f64 v[123:124], v[123:124], v[6:7], v[125:126]
	v_fma_f64 v[6:7], v[121:122], v[6:7], -v[8:9]
	s_waitcnt vmcnt(7) lgkmcnt(1)
	v_mul_f64 v[129:130], v[2:3], v[13:14]
	v_mul_f64 v[13:14], v[4:5], v[13:14]
	s_waitcnt vmcnt(6) lgkmcnt(0)
	v_mul_f64 v[121:122], v[109:110], v[91:92]
	v_mul_f64 v[91:92], v[111:112], v[91:92]
	v_add_f64 v[8:9], v[15:16], 0
	v_add_f64 v[15:16], v[127:128], 0
	v_fma_f64 v[125:126], v[4:5], v[11:12], v[129:130]
	v_fma_f64 v[11:12], v[2:3], v[11:12], -v[13:14]
	v_fma_f64 v[111:112], v[111:112], v[89:90], v[121:122]
	v_fma_f64 v[89:90], v[109:110], v[89:90], -v[91:92]
	v_add_f64 v[13:14], v[8:9], v[6:7]
	v_add_f64 v[15:16], v[15:16], v[123:124]
	ds_load_b128 v[2:5], v1 offset:688
	ds_load_b128 v[6:9], v1 offset:704
	s_waitcnt vmcnt(5) lgkmcnt(1)
	v_mul_f64 v[123:124], v[2:3], v[95:96]
	v_mul_f64 v[95:96], v[4:5], v[95:96]
	s_waitcnt vmcnt(4) lgkmcnt(0)
	v_mul_f64 v[91:92], v[8:9], v[99:100]
	v_add_f64 v[11:12], v[13:14], v[11:12]
	v_add_f64 v[13:14], v[15:16], v[125:126]
	v_mul_f64 v[15:16], v[6:7], v[99:100]
	v_fma_f64 v[99:100], v[4:5], v[93:94], v[123:124]
	v_fma_f64 v[93:94], v[2:3], v[93:94], -v[95:96]
	v_fma_f64 v[6:7], v[6:7], v[97:98], -v[91:92]
	v_add_f64 v[89:90], v[11:12], v[89:90]
	v_add_f64 v[95:96], v[13:14], v[111:112]
	ds_load_b128 v[2:5], v1 offset:720
	ds_load_b128 v[11:14], v1 offset:736
	v_fma_f64 v[8:9], v[8:9], v[97:98], v[15:16]
	s_waitcnt vmcnt(3) lgkmcnt(1)
	v_mul_f64 v[109:110], v[2:3], v[103:104]
	v_mul_f64 v[103:104], v[4:5], v[103:104]
	s_waitcnt vmcnt(2) lgkmcnt(0)
	v_mul_f64 v[91:92], v[11:12], v[107:108]
	v_add_f64 v[15:16], v[89:90], v[93:94]
	v_add_f64 v[89:90], v[95:96], v[99:100]
	v_mul_f64 v[93:94], v[13:14], v[107:108]
	v_fma_f64 v[95:96], v[4:5], v[101:102], v[109:110]
	v_fma_f64 v[97:98], v[2:3], v[101:102], -v[103:104]
	ds_load_b128 v[2:5], v1 offset:752
	v_fma_f64 v[13:14], v[13:14], v[105:106], v[91:92]
	v_add_f64 v[6:7], v[15:16], v[6:7]
	v_add_f64 v[8:9], v[89:90], v[8:9]
	v_fma_f64 v[11:12], v[11:12], v[105:106], -v[93:94]
	s_waitcnt vmcnt(1) lgkmcnt(0)
	v_mul_f64 v[15:16], v[2:3], v[115:116]
	v_mul_f64 v[89:90], v[4:5], v[115:116]
	v_add_f64 v[6:7], v[6:7], v[97:98]
	v_add_f64 v[8:9], v[8:9], v[95:96]
	s_delay_alu instid0(VALU_DEP_4) | instskip(NEXT) | instid1(VALU_DEP_4)
	v_fma_f64 v[4:5], v[4:5], v[113:114], v[15:16]
	v_fma_f64 v[2:3], v[2:3], v[113:114], -v[89:90]
	s_delay_alu instid0(VALU_DEP_4) | instskip(NEXT) | instid1(VALU_DEP_4)
	v_add_f64 v[6:7], v[6:7], v[11:12]
	v_add_f64 v[8:9], v[8:9], v[13:14]
	s_delay_alu instid0(VALU_DEP_2) | instskip(NEXT) | instid1(VALU_DEP_2)
	v_add_f64 v[2:3], v[6:7], v[2:3]
	v_add_f64 v[4:5], v[8:9], v[4:5]
	s_waitcnt vmcnt(0)
	s_delay_alu instid0(VALU_DEP_2) | instskip(NEXT) | instid1(VALU_DEP_2)
	v_add_f64 v[2:3], v[117:118], -v[2:3]
	v_add_f64 v[4:5], v[119:120], -v[4:5]
	scratch_store_b128 off, v[2:5], off offset:224
	v_cmpx_lt_u32_e32 13, v65
	s_cbranch_execz .LBB23_131
; %bb.130:
	scratch_load_b128 v[5:8], v82, off
	v_mov_b32_e32 v2, v1
	v_mov_b32_e32 v3, v1
	;; [unrolled: 1-line block ×3, first 2 shown]
	scratch_store_b128 off, v[1:4], off offset:208
	s_waitcnt vmcnt(0)
	ds_store_b128 v10, v[5:8]
.LBB23_131:
	s_or_b32 exec_lo, exec_lo, s2
	s_waitcnt lgkmcnt(0)
	s_waitcnt_vscnt null, 0x0
	s_barrier
	buffer_gl0_inv
	s_clause 0x8
	scratch_load_b128 v[2:5], off, off offset:224
	scratch_load_b128 v[6:9], off, off offset:240
	;; [unrolled: 1-line block ×9, first 2 shown]
	ds_load_b128 v[113:116], v1 offset:608
	ds_load_b128 v[117:120], v1 offset:624
	s_clause 0x1
	scratch_load_b128 v[121:124], off, off offset:208
	scratch_load_b128 v[125:128], off, off offset:368
	s_mov_b32 s2, exec_lo
	s_waitcnt vmcnt(10) lgkmcnt(1)
	v_mul_f64 v[15:16], v[115:116], v[4:5]
	v_mul_f64 v[4:5], v[113:114], v[4:5]
	s_waitcnt vmcnt(9) lgkmcnt(0)
	v_mul_f64 v[129:130], v[117:118], v[8:9]
	v_mul_f64 v[8:9], v[119:120], v[8:9]
	s_delay_alu instid0(VALU_DEP_4) | instskip(NEXT) | instid1(VALU_DEP_4)
	v_fma_f64 v[15:16], v[113:114], v[2:3], -v[15:16]
	v_fma_f64 v[131:132], v[115:116], v[2:3], v[4:5]
	ds_load_b128 v[2:5], v1 offset:640
	ds_load_b128 v[113:116], v1 offset:656
	v_fma_f64 v[119:120], v[119:120], v[6:7], v[129:130]
	v_fma_f64 v[6:7], v[117:118], v[6:7], -v[8:9]
	s_waitcnt vmcnt(8) lgkmcnt(1)
	v_mul_f64 v[133:134], v[2:3], v[13:14]
	v_mul_f64 v[13:14], v[4:5], v[13:14]
	s_waitcnt vmcnt(7) lgkmcnt(0)
	v_mul_f64 v[117:118], v[113:114], v[91:92]
	v_mul_f64 v[91:92], v[115:116], v[91:92]
	v_add_f64 v[8:9], v[15:16], 0
	v_add_f64 v[15:16], v[131:132], 0
	v_fma_f64 v[129:130], v[4:5], v[11:12], v[133:134]
	v_fma_f64 v[11:12], v[2:3], v[11:12], -v[13:14]
	v_fma_f64 v[115:116], v[115:116], v[89:90], v[117:118]
	v_fma_f64 v[89:90], v[113:114], v[89:90], -v[91:92]
	v_add_f64 v[13:14], v[8:9], v[6:7]
	v_add_f64 v[15:16], v[15:16], v[119:120]
	ds_load_b128 v[2:5], v1 offset:672
	ds_load_b128 v[6:9], v1 offset:688
	s_waitcnt vmcnt(6) lgkmcnt(1)
	v_mul_f64 v[119:120], v[2:3], v[95:96]
	v_mul_f64 v[95:96], v[4:5], v[95:96]
	s_waitcnt vmcnt(5) lgkmcnt(0)
	v_mul_f64 v[91:92], v[8:9], v[99:100]
	v_add_f64 v[11:12], v[13:14], v[11:12]
	v_add_f64 v[13:14], v[15:16], v[129:130]
	v_mul_f64 v[15:16], v[6:7], v[99:100]
	v_fma_f64 v[99:100], v[4:5], v[93:94], v[119:120]
	v_fma_f64 v[93:94], v[2:3], v[93:94], -v[95:96]
	v_fma_f64 v[6:7], v[6:7], v[97:98], -v[91:92]
	v_add_f64 v[89:90], v[11:12], v[89:90]
	v_add_f64 v[95:96], v[13:14], v[115:116]
	ds_load_b128 v[2:5], v1 offset:704
	ds_load_b128 v[11:14], v1 offset:720
	v_fma_f64 v[8:9], v[8:9], v[97:98], v[15:16]
	s_waitcnt vmcnt(4) lgkmcnt(1)
	v_mul_f64 v[113:114], v[2:3], v[103:104]
	v_mul_f64 v[103:104], v[4:5], v[103:104]
	s_waitcnt vmcnt(3) lgkmcnt(0)
	v_mul_f64 v[91:92], v[11:12], v[107:108]
	v_add_f64 v[15:16], v[89:90], v[93:94]
	v_add_f64 v[89:90], v[95:96], v[99:100]
	v_mul_f64 v[93:94], v[13:14], v[107:108]
	v_fma_f64 v[95:96], v[4:5], v[101:102], v[113:114]
	v_fma_f64 v[97:98], v[2:3], v[101:102], -v[103:104]
	v_fma_f64 v[13:14], v[13:14], v[105:106], v[91:92]
	v_add_f64 v[15:16], v[15:16], v[6:7]
	v_add_f64 v[89:90], v[89:90], v[8:9]
	ds_load_b128 v[2:5], v1 offset:736
	ds_load_b128 v[6:9], v1 offset:752
	v_fma_f64 v[11:12], v[11:12], v[105:106], -v[93:94]
	s_waitcnt vmcnt(2) lgkmcnt(1)
	v_mul_f64 v[99:100], v[2:3], v[111:112]
	v_mul_f64 v[101:102], v[4:5], v[111:112]
	s_waitcnt vmcnt(0) lgkmcnt(0)
	v_mul_f64 v[91:92], v[6:7], v[127:128]
	v_mul_f64 v[93:94], v[8:9], v[127:128]
	v_add_f64 v[15:16], v[15:16], v[97:98]
	v_add_f64 v[89:90], v[89:90], v[95:96]
	v_fma_f64 v[4:5], v[4:5], v[109:110], v[99:100]
	v_fma_f64 v[1:2], v[2:3], v[109:110], -v[101:102]
	v_fma_f64 v[8:9], v[8:9], v[125:126], v[91:92]
	v_fma_f64 v[6:7], v[6:7], v[125:126], -v[93:94]
	v_add_f64 v[11:12], v[15:16], v[11:12]
	v_add_f64 v[13:14], v[89:90], v[13:14]
	s_delay_alu instid0(VALU_DEP_2) | instskip(NEXT) | instid1(VALU_DEP_2)
	v_add_f64 v[1:2], v[11:12], v[1:2]
	v_add_f64 v[3:4], v[13:14], v[4:5]
	s_delay_alu instid0(VALU_DEP_2) | instskip(NEXT) | instid1(VALU_DEP_2)
	;; [unrolled: 3-line block ×3, first 2 shown]
	v_add_f64 v[1:2], v[121:122], -v[1:2]
	v_add_f64 v[3:4], v[123:124], -v[3:4]
	scratch_store_b128 off, v[1:4], off offset:208
	v_cmpx_lt_u32_e32 12, v65
	s_cbranch_execz .LBB23_133
; %bb.132:
	scratch_load_b128 v[1:4], v78, off
	v_mov_b32_e32 v5, 0
	s_delay_alu instid0(VALU_DEP_1)
	v_mov_b32_e32 v6, v5
	v_mov_b32_e32 v7, v5
	;; [unrolled: 1-line block ×3, first 2 shown]
	scratch_store_b128 off, v[5:8], off offset:192
	s_waitcnt vmcnt(0)
	ds_store_b128 v10, v[1:4]
.LBB23_133:
	s_or_b32 exec_lo, exec_lo, s2
	s_waitcnt lgkmcnt(0)
	s_waitcnt_vscnt null, 0x0
	s_barrier
	buffer_gl0_inv
	s_clause 0x7
	scratch_load_b128 v[2:5], off, off offset:208
	scratch_load_b128 v[6:9], off, off offset:224
	;; [unrolled: 1-line block ×8, first 2 shown]
	v_mov_b32_e32 v1, 0
	s_mov_b32 s2, exec_lo
	ds_load_b128 v[109:112], v1 offset:592
	s_clause 0x1
	scratch_load_b128 v[113:116], off, off offset:336
	scratch_load_b128 v[117:120], off, off offset:192
	ds_load_b128 v[121:124], v1 offset:608
	scratch_load_b128 v[125:128], off, off offset:352
	ds_load_b128 v[129:132], v1 offset:640
	s_waitcnt vmcnt(10) lgkmcnt(2)
	v_mul_f64 v[15:16], v[111:112], v[4:5]
	v_mul_f64 v[4:5], v[109:110], v[4:5]
	s_delay_alu instid0(VALU_DEP_2) | instskip(NEXT) | instid1(VALU_DEP_2)
	v_fma_f64 v[15:16], v[109:110], v[2:3], -v[15:16]
	v_fma_f64 v[135:136], v[111:112], v[2:3], v[4:5]
	scratch_load_b128 v[109:112], off, off offset:368
	ds_load_b128 v[2:5], v1 offset:624
	s_waitcnt vmcnt(10) lgkmcnt(2)
	v_mul_f64 v[133:134], v[121:122], v[8:9]
	v_mul_f64 v[8:9], v[123:124], v[8:9]
	s_waitcnt vmcnt(9) lgkmcnt(0)
	v_mul_f64 v[137:138], v[2:3], v[13:14]
	v_mul_f64 v[13:14], v[4:5], v[13:14]
	s_delay_alu instid0(VALU_DEP_4) | instskip(NEXT) | instid1(VALU_DEP_4)
	v_fma_f64 v[123:124], v[123:124], v[6:7], v[133:134]
	v_fma_f64 v[6:7], v[121:122], v[6:7], -v[8:9]
	v_add_f64 v[8:9], v[15:16], 0
	v_add_f64 v[15:16], v[135:136], 0
	s_waitcnt vmcnt(8)
	v_mul_f64 v[121:122], v[129:130], v[91:92]
	v_mul_f64 v[91:92], v[131:132], v[91:92]
	v_fma_f64 v[133:134], v[4:5], v[11:12], v[137:138]
	v_fma_f64 v[11:12], v[2:3], v[11:12], -v[13:14]
	v_add_f64 v[13:14], v[8:9], v[6:7]
	v_add_f64 v[15:16], v[15:16], v[123:124]
	ds_load_b128 v[2:5], v1 offset:656
	ds_load_b128 v[6:9], v1 offset:672
	v_fma_f64 v[121:122], v[131:132], v[89:90], v[121:122]
	v_fma_f64 v[89:90], v[129:130], v[89:90], -v[91:92]
	s_waitcnt vmcnt(7) lgkmcnt(1)
	v_mul_f64 v[123:124], v[2:3], v[95:96]
	v_mul_f64 v[95:96], v[4:5], v[95:96]
	s_waitcnt vmcnt(6) lgkmcnt(0)
	v_mul_f64 v[91:92], v[8:9], v[99:100]
	v_add_f64 v[11:12], v[13:14], v[11:12]
	v_add_f64 v[13:14], v[15:16], v[133:134]
	v_mul_f64 v[15:16], v[6:7], v[99:100]
	v_fma_f64 v[99:100], v[4:5], v[93:94], v[123:124]
	v_fma_f64 v[93:94], v[2:3], v[93:94], -v[95:96]
	v_fma_f64 v[6:7], v[6:7], v[97:98], -v[91:92]
	v_add_f64 v[89:90], v[11:12], v[89:90]
	v_add_f64 v[95:96], v[13:14], v[121:122]
	ds_load_b128 v[2:5], v1 offset:688
	ds_load_b128 v[11:14], v1 offset:704
	v_fma_f64 v[8:9], v[8:9], v[97:98], v[15:16]
	s_waitcnt vmcnt(5) lgkmcnt(1)
	v_mul_f64 v[121:122], v[2:3], v[103:104]
	v_mul_f64 v[103:104], v[4:5], v[103:104]
	s_waitcnt vmcnt(4) lgkmcnt(0)
	v_mul_f64 v[91:92], v[11:12], v[107:108]
	v_add_f64 v[15:16], v[89:90], v[93:94]
	v_add_f64 v[89:90], v[95:96], v[99:100]
	v_mul_f64 v[93:94], v[13:14], v[107:108]
	v_fma_f64 v[95:96], v[4:5], v[101:102], v[121:122]
	v_fma_f64 v[97:98], v[2:3], v[101:102], -v[103:104]
	v_fma_f64 v[13:14], v[13:14], v[105:106], v[91:92]
	v_add_f64 v[15:16], v[15:16], v[6:7]
	v_add_f64 v[89:90], v[89:90], v[8:9]
	ds_load_b128 v[2:5], v1 offset:720
	ds_load_b128 v[6:9], v1 offset:736
	v_fma_f64 v[11:12], v[11:12], v[105:106], -v[93:94]
	s_waitcnt vmcnt(3) lgkmcnt(1)
	v_mul_f64 v[99:100], v[2:3], v[115:116]
	v_mul_f64 v[101:102], v[4:5], v[115:116]
	s_waitcnt vmcnt(1) lgkmcnt(0)
	v_mul_f64 v[91:92], v[6:7], v[127:128]
	v_mul_f64 v[93:94], v[8:9], v[127:128]
	v_add_f64 v[15:16], v[15:16], v[97:98]
	v_add_f64 v[89:90], v[89:90], v[95:96]
	v_fma_f64 v[95:96], v[4:5], v[113:114], v[99:100]
	v_fma_f64 v[97:98], v[2:3], v[113:114], -v[101:102]
	ds_load_b128 v[2:5], v1 offset:752
	v_fma_f64 v[8:9], v[8:9], v[125:126], v[91:92]
	v_fma_f64 v[6:7], v[6:7], v[125:126], -v[93:94]
	v_add_f64 v[11:12], v[15:16], v[11:12]
	v_add_f64 v[13:14], v[89:90], v[13:14]
	s_waitcnt vmcnt(0) lgkmcnt(0)
	v_mul_f64 v[15:16], v[2:3], v[111:112]
	v_mul_f64 v[89:90], v[4:5], v[111:112]
	s_delay_alu instid0(VALU_DEP_4) | instskip(NEXT) | instid1(VALU_DEP_4)
	v_add_f64 v[11:12], v[11:12], v[97:98]
	v_add_f64 v[13:14], v[13:14], v[95:96]
	s_delay_alu instid0(VALU_DEP_4) | instskip(NEXT) | instid1(VALU_DEP_4)
	v_fma_f64 v[4:5], v[4:5], v[109:110], v[15:16]
	v_fma_f64 v[2:3], v[2:3], v[109:110], -v[89:90]
	s_delay_alu instid0(VALU_DEP_4) | instskip(NEXT) | instid1(VALU_DEP_4)
	v_add_f64 v[6:7], v[11:12], v[6:7]
	v_add_f64 v[8:9], v[13:14], v[8:9]
	s_delay_alu instid0(VALU_DEP_2) | instskip(NEXT) | instid1(VALU_DEP_2)
	v_add_f64 v[2:3], v[6:7], v[2:3]
	v_add_f64 v[4:5], v[8:9], v[4:5]
	s_delay_alu instid0(VALU_DEP_2) | instskip(NEXT) | instid1(VALU_DEP_2)
	v_add_f64 v[2:3], v[117:118], -v[2:3]
	v_add_f64 v[4:5], v[119:120], -v[4:5]
	scratch_store_b128 off, v[2:5], off offset:192
	v_cmpx_lt_u32_e32 11, v65
	s_cbranch_execz .LBB23_135
; %bb.134:
	scratch_load_b128 v[5:8], v83, off
	v_mov_b32_e32 v2, v1
	v_mov_b32_e32 v3, v1
	;; [unrolled: 1-line block ×3, first 2 shown]
	scratch_store_b128 off, v[1:4], off offset:176
	s_waitcnt vmcnt(0)
	ds_store_b128 v10, v[5:8]
.LBB23_135:
	s_or_b32 exec_lo, exec_lo, s2
	s_waitcnt lgkmcnt(0)
	s_waitcnt_vscnt null, 0x0
	s_barrier
	buffer_gl0_inv
	s_clause 0x8
	scratch_load_b128 v[2:5], off, off offset:192
	scratch_load_b128 v[6:9], off, off offset:208
	;; [unrolled: 1-line block ×9, first 2 shown]
	ds_load_b128 v[113:116], v1 offset:576
	ds_load_b128 v[117:120], v1 offset:592
	s_clause 0x1
	scratch_load_b128 v[121:124], off, off offset:176
	scratch_load_b128 v[125:128], off, off offset:336
	s_mov_b32 s2, exec_lo
	ds_load_b128 v[129:132], v1 offset:624
	s_waitcnt vmcnt(10) lgkmcnt(2)
	v_mul_f64 v[15:16], v[115:116], v[4:5]
	v_mul_f64 v[4:5], v[113:114], v[4:5]
	s_waitcnt vmcnt(9) lgkmcnt(1)
	v_mul_f64 v[133:134], v[117:118], v[8:9]
	v_mul_f64 v[8:9], v[119:120], v[8:9]
	s_delay_alu instid0(VALU_DEP_4) | instskip(NEXT) | instid1(VALU_DEP_4)
	v_fma_f64 v[15:16], v[113:114], v[2:3], -v[15:16]
	v_fma_f64 v[135:136], v[115:116], v[2:3], v[4:5]
	ds_load_b128 v[2:5], v1 offset:608
	scratch_load_b128 v[113:116], off, off offset:352
	v_fma_f64 v[119:120], v[119:120], v[6:7], v[133:134]
	v_fma_f64 v[117:118], v[117:118], v[6:7], -v[8:9]
	scratch_load_b128 v[6:9], off, off offset:368
	s_waitcnt vmcnt(10) lgkmcnt(0)
	v_mul_f64 v[137:138], v[2:3], v[13:14]
	v_mul_f64 v[13:14], v[4:5], v[13:14]
	v_add_f64 v[15:16], v[15:16], 0
	v_add_f64 v[133:134], v[135:136], 0
	s_waitcnt vmcnt(9)
	v_mul_f64 v[135:136], v[129:130], v[91:92]
	v_mul_f64 v[91:92], v[131:132], v[91:92]
	v_fma_f64 v[137:138], v[4:5], v[11:12], v[137:138]
	v_fma_f64 v[139:140], v[2:3], v[11:12], -v[13:14]
	ds_load_b128 v[2:5], v1 offset:640
	ds_load_b128 v[11:14], v1 offset:656
	v_add_f64 v[15:16], v[15:16], v[117:118]
	v_add_f64 v[117:118], v[133:134], v[119:120]
	v_fma_f64 v[131:132], v[131:132], v[89:90], v[135:136]
	v_fma_f64 v[89:90], v[129:130], v[89:90], -v[91:92]
	s_waitcnt vmcnt(8) lgkmcnt(1)
	v_mul_f64 v[119:120], v[2:3], v[95:96]
	v_mul_f64 v[95:96], v[4:5], v[95:96]
	v_add_f64 v[15:16], v[15:16], v[139:140]
	v_add_f64 v[91:92], v[117:118], v[137:138]
	s_waitcnt vmcnt(7) lgkmcnt(0)
	v_mul_f64 v[117:118], v[11:12], v[99:100]
	v_mul_f64 v[99:100], v[13:14], v[99:100]
	v_fma_f64 v[119:120], v[4:5], v[93:94], v[119:120]
	v_fma_f64 v[93:94], v[2:3], v[93:94], -v[95:96]
	v_add_f64 v[15:16], v[15:16], v[89:90]
	v_add_f64 v[95:96], v[91:92], v[131:132]
	ds_load_b128 v[2:5], v1 offset:672
	ds_load_b128 v[89:92], v1 offset:688
	v_fma_f64 v[13:14], v[13:14], v[97:98], v[117:118]
	v_fma_f64 v[11:12], v[11:12], v[97:98], -v[99:100]
	s_waitcnt vmcnt(6) lgkmcnt(1)
	v_mul_f64 v[129:130], v[2:3], v[103:104]
	v_mul_f64 v[103:104], v[4:5], v[103:104]
	s_waitcnt vmcnt(5) lgkmcnt(0)
	v_mul_f64 v[97:98], v[91:92], v[107:108]
	v_add_f64 v[15:16], v[15:16], v[93:94]
	v_add_f64 v[93:94], v[95:96], v[119:120]
	v_mul_f64 v[95:96], v[89:90], v[107:108]
	v_fma_f64 v[99:100], v[4:5], v[101:102], v[129:130]
	v_fma_f64 v[101:102], v[2:3], v[101:102], -v[103:104]
	v_fma_f64 v[89:90], v[89:90], v[105:106], -v[97:98]
	v_add_f64 v[15:16], v[15:16], v[11:12]
	v_add_f64 v[93:94], v[93:94], v[13:14]
	ds_load_b128 v[2:5], v1 offset:704
	ds_load_b128 v[11:14], v1 offset:720
	v_fma_f64 v[91:92], v[91:92], v[105:106], v[95:96]
	s_waitcnt vmcnt(4) lgkmcnt(1)
	v_mul_f64 v[103:104], v[2:3], v[111:112]
	v_mul_f64 v[107:108], v[4:5], v[111:112]
	s_waitcnt vmcnt(2) lgkmcnt(0)
	v_mul_f64 v[95:96], v[11:12], v[127:128]
	v_mul_f64 v[97:98], v[13:14], v[127:128]
	v_add_f64 v[15:16], v[15:16], v[101:102]
	v_add_f64 v[93:94], v[93:94], v[99:100]
	v_fma_f64 v[99:100], v[4:5], v[109:110], v[103:104]
	v_fma_f64 v[101:102], v[2:3], v[109:110], -v[107:108]
	v_fma_f64 v[13:14], v[13:14], v[125:126], v[95:96]
	v_fma_f64 v[11:12], v[11:12], v[125:126], -v[97:98]
	v_add_f64 v[15:16], v[15:16], v[89:90]
	v_add_f64 v[93:94], v[93:94], v[91:92]
	ds_load_b128 v[2:5], v1 offset:736
	ds_load_b128 v[89:92], v1 offset:752
	s_waitcnt vmcnt(1) lgkmcnt(1)
	v_mul_f64 v[103:104], v[2:3], v[115:116]
	v_mul_f64 v[105:106], v[4:5], v[115:116]
	s_waitcnt vmcnt(0) lgkmcnt(0)
	v_mul_f64 v[95:96], v[89:90], v[8:9]
	v_mul_f64 v[8:9], v[91:92], v[8:9]
	v_add_f64 v[15:16], v[15:16], v[101:102]
	v_add_f64 v[93:94], v[93:94], v[99:100]
	v_fma_f64 v[4:5], v[4:5], v[113:114], v[103:104]
	v_fma_f64 v[1:2], v[2:3], v[113:114], -v[105:106]
	s_delay_alu instid0(VALU_DEP_4) | instskip(NEXT) | instid1(VALU_DEP_4)
	v_add_f64 v[11:12], v[15:16], v[11:12]
	v_add_f64 v[13:14], v[93:94], v[13:14]
	v_fma_f64 v[15:16], v[91:92], v[6:7], v[95:96]
	v_fma_f64 v[6:7], v[89:90], v[6:7], -v[8:9]
	s_delay_alu instid0(VALU_DEP_4) | instskip(NEXT) | instid1(VALU_DEP_4)
	v_add_f64 v[1:2], v[11:12], v[1:2]
	v_add_f64 v[3:4], v[13:14], v[4:5]
	s_delay_alu instid0(VALU_DEP_2) | instskip(NEXT) | instid1(VALU_DEP_2)
	v_add_f64 v[1:2], v[1:2], v[6:7]
	v_add_f64 v[3:4], v[3:4], v[15:16]
	s_delay_alu instid0(VALU_DEP_2) | instskip(NEXT) | instid1(VALU_DEP_2)
	v_add_f64 v[1:2], v[121:122], -v[1:2]
	v_add_f64 v[3:4], v[123:124], -v[3:4]
	scratch_store_b128 off, v[1:4], off offset:176
	v_cmpx_lt_u32_e32 10, v65
	s_cbranch_execz .LBB23_137
; %bb.136:
	scratch_load_b128 v[1:4], v75, off
	v_mov_b32_e32 v5, 0
	s_delay_alu instid0(VALU_DEP_1)
	v_mov_b32_e32 v6, v5
	v_mov_b32_e32 v7, v5
	;; [unrolled: 1-line block ×3, first 2 shown]
	scratch_store_b128 off, v[5:8], off offset:160
	s_waitcnt vmcnt(0)
	ds_store_b128 v10, v[1:4]
.LBB23_137:
	s_or_b32 exec_lo, exec_lo, s2
	s_waitcnt lgkmcnt(0)
	s_waitcnt_vscnt null, 0x0
	s_barrier
	buffer_gl0_inv
	s_clause 0x7
	scratch_load_b128 v[2:5], off, off offset:176
	scratch_load_b128 v[6:9], off, off offset:192
	;; [unrolled: 1-line block ×8, first 2 shown]
	v_mov_b32_e32 v1, 0
	s_clause 0x1
	scratch_load_b128 v[113:116], off, off offset:304
	scratch_load_b128 v[121:124], off, off offset:320
	s_mov_b32 s2, exec_lo
	ds_load_b128 v[109:112], v1 offset:560
	ds_load_b128 v[117:120], v1 offset:576
	s_waitcnt vmcnt(9) lgkmcnt(1)
	v_mul_f64 v[15:16], v[111:112], v[4:5]
	v_mul_f64 v[4:5], v[109:110], v[4:5]
	s_waitcnt vmcnt(8) lgkmcnt(0)
	v_mul_f64 v[125:126], v[117:118], v[8:9]
	v_mul_f64 v[8:9], v[119:120], v[8:9]
	s_delay_alu instid0(VALU_DEP_4) | instskip(NEXT) | instid1(VALU_DEP_4)
	v_fma_f64 v[15:16], v[109:110], v[2:3], -v[15:16]
	v_fma_f64 v[127:128], v[111:112], v[2:3], v[4:5]
	ds_load_b128 v[2:5], v1 offset:592
	scratch_load_b128 v[109:112], off, off offset:336
	v_fma_f64 v[119:120], v[119:120], v[6:7], v[125:126]
	v_fma_f64 v[117:118], v[117:118], v[6:7], -v[8:9]
	ds_load_b128 v[6:9], v1 offset:608
	s_waitcnt vmcnt(8) lgkmcnt(1)
	v_mul_f64 v[129:130], v[2:3], v[13:14]
	v_mul_f64 v[131:132], v[4:5], v[13:14]
	s_waitcnt vmcnt(7) lgkmcnt(0)
	v_mul_f64 v[133:134], v[6:7], v[91:92]
	v_mul_f64 v[91:92], v[8:9], v[91:92]
	v_add_f64 v[125:126], v[15:16], 0
	v_add_f64 v[127:128], v[127:128], 0
	scratch_load_b128 v[13:16], off, off offset:352
	v_fma_f64 v[129:130], v[4:5], v[11:12], v[129:130]
	v_fma_f64 v[11:12], v[2:3], v[11:12], -v[131:132]
	ds_load_b128 v[2:5], v1 offset:624
	v_fma_f64 v[133:134], v[8:9], v[89:90], v[133:134]
	v_fma_f64 v[89:90], v[6:7], v[89:90], -v[91:92]
	ds_load_b128 v[6:9], v1 offset:640
	v_add_f64 v[125:126], v[125:126], v[117:118]
	v_add_f64 v[127:128], v[127:128], v[119:120]
	scratch_load_b128 v[117:120], off, off offset:368
	s_waitcnt vmcnt(8) lgkmcnt(1)
	v_mul_f64 v[131:132], v[2:3], v[95:96]
	v_mul_f64 v[95:96], v[4:5], v[95:96]
	v_add_f64 v[11:12], v[125:126], v[11:12]
	v_add_f64 v[91:92], v[127:128], v[129:130]
	s_waitcnt vmcnt(7) lgkmcnt(0)
	v_mul_f64 v[125:126], v[6:7], v[99:100]
	v_mul_f64 v[99:100], v[8:9], v[99:100]
	v_fma_f64 v[127:128], v[4:5], v[93:94], v[131:132]
	v_fma_f64 v[93:94], v[2:3], v[93:94], -v[95:96]
	ds_load_b128 v[2:5], v1 offset:656
	v_add_f64 v[11:12], v[11:12], v[89:90]
	v_add_f64 v[89:90], v[91:92], v[133:134]
	v_fma_f64 v[125:126], v[8:9], v[97:98], v[125:126]
	v_fma_f64 v[97:98], v[6:7], v[97:98], -v[99:100]
	ds_load_b128 v[6:9], v1 offset:672
	s_waitcnt vmcnt(6) lgkmcnt(1)
	v_mul_f64 v[95:96], v[2:3], v[103:104]
	v_mul_f64 v[103:104], v[4:5], v[103:104]
	s_waitcnt vmcnt(5) lgkmcnt(0)
	v_mul_f64 v[99:100], v[6:7], v[107:108]
	v_mul_f64 v[107:108], v[8:9], v[107:108]
	v_add_f64 v[11:12], v[11:12], v[93:94]
	v_add_f64 v[93:94], v[89:90], v[127:128]
	scratch_load_b128 v[89:92], off, off offset:160
	v_fma_f64 v[95:96], v[4:5], v[101:102], v[95:96]
	v_fma_f64 v[101:102], v[2:3], v[101:102], -v[103:104]
	ds_load_b128 v[2:5], v1 offset:688
	v_fma_f64 v[99:100], v[8:9], v[105:106], v[99:100]
	v_fma_f64 v[105:106], v[6:7], v[105:106], -v[107:108]
	ds_load_b128 v[6:9], v1 offset:704
	s_waitcnt vmcnt(5) lgkmcnt(1)
	v_mul_f64 v[103:104], v[4:5], v[115:116]
	v_add_f64 v[11:12], v[11:12], v[97:98]
	v_add_f64 v[93:94], v[93:94], v[125:126]
	v_mul_f64 v[97:98], v[2:3], v[115:116]
	s_delay_alu instid0(VALU_DEP_4) | instskip(NEXT) | instid1(VALU_DEP_4)
	v_fma_f64 v[103:104], v[2:3], v[113:114], -v[103:104]
	v_add_f64 v[11:12], v[11:12], v[101:102]
	s_delay_alu instid0(VALU_DEP_4)
	v_add_f64 v[93:94], v[93:94], v[95:96]
	s_waitcnt vmcnt(4) lgkmcnt(0)
	v_mul_f64 v[95:96], v[6:7], v[123:124]
	v_mul_f64 v[101:102], v[8:9], v[123:124]
	v_fma_f64 v[97:98], v[4:5], v[113:114], v[97:98]
	ds_load_b128 v[2:5], v1 offset:720
	v_add_f64 v[11:12], v[11:12], v[105:106]
	v_add_f64 v[93:94], v[93:94], v[99:100]
	v_fma_f64 v[95:96], v[8:9], v[121:122], v[95:96]
	v_fma_f64 v[101:102], v[6:7], v[121:122], -v[101:102]
	ds_load_b128 v[6:9], v1 offset:736
	s_waitcnt vmcnt(3) lgkmcnt(1)
	v_mul_f64 v[99:100], v[2:3], v[111:112]
	v_mul_f64 v[105:106], v[4:5], v[111:112]
	v_add_f64 v[11:12], v[11:12], v[103:104]
	v_add_f64 v[93:94], v[93:94], v[97:98]
	s_waitcnt vmcnt(2) lgkmcnt(0)
	v_mul_f64 v[97:98], v[6:7], v[15:16]
	v_mul_f64 v[15:16], v[8:9], v[15:16]
	v_fma_f64 v[99:100], v[4:5], v[109:110], v[99:100]
	v_fma_f64 v[103:104], v[2:3], v[109:110], -v[105:106]
	ds_load_b128 v[2:5], v1 offset:752
	v_add_f64 v[11:12], v[11:12], v[101:102]
	v_add_f64 v[93:94], v[93:94], v[95:96]
	s_waitcnt vmcnt(1) lgkmcnt(0)
	v_mul_f64 v[95:96], v[2:3], v[119:120]
	v_mul_f64 v[101:102], v[4:5], v[119:120]
	v_fma_f64 v[8:9], v[8:9], v[13:14], v[97:98]
	v_fma_f64 v[6:7], v[6:7], v[13:14], -v[15:16]
	v_add_f64 v[11:12], v[11:12], v[103:104]
	v_add_f64 v[13:14], v[93:94], v[99:100]
	v_fma_f64 v[4:5], v[4:5], v[117:118], v[95:96]
	v_fma_f64 v[2:3], v[2:3], v[117:118], -v[101:102]
	s_delay_alu instid0(VALU_DEP_4) | instskip(NEXT) | instid1(VALU_DEP_4)
	v_add_f64 v[6:7], v[11:12], v[6:7]
	v_add_f64 v[8:9], v[13:14], v[8:9]
	s_delay_alu instid0(VALU_DEP_2) | instskip(NEXT) | instid1(VALU_DEP_2)
	v_add_f64 v[2:3], v[6:7], v[2:3]
	v_add_f64 v[4:5], v[8:9], v[4:5]
	s_waitcnt vmcnt(0)
	s_delay_alu instid0(VALU_DEP_2) | instskip(NEXT) | instid1(VALU_DEP_2)
	v_add_f64 v[2:3], v[89:90], -v[2:3]
	v_add_f64 v[4:5], v[91:92], -v[4:5]
	scratch_store_b128 off, v[2:5], off offset:160
	v_cmpx_lt_u32_e32 9, v65
	s_cbranch_execz .LBB23_139
; %bb.138:
	scratch_load_b128 v[5:8], v79, off
	v_mov_b32_e32 v2, v1
	v_mov_b32_e32 v3, v1
	;; [unrolled: 1-line block ×3, first 2 shown]
	scratch_store_b128 off, v[1:4], off offset:144
	s_waitcnt vmcnt(0)
	ds_store_b128 v10, v[5:8]
.LBB23_139:
	s_or_b32 exec_lo, exec_lo, s2
	s_waitcnt lgkmcnt(0)
	s_waitcnt_vscnt null, 0x0
	s_barrier
	buffer_gl0_inv
	s_clause 0x7
	scratch_load_b128 v[2:5], off, off offset:160
	scratch_load_b128 v[6:9], off, off offset:176
	;; [unrolled: 1-line block ×8, first 2 shown]
	ds_load_b128 v[109:112], v1 offset:544
	ds_load_b128 v[117:120], v1 offset:560
	s_clause 0x1
	scratch_load_b128 v[113:116], off, off offset:288
	scratch_load_b128 v[121:124], off, off offset:304
	s_mov_b32 s2, exec_lo
	s_waitcnt vmcnt(9) lgkmcnt(1)
	v_mul_f64 v[15:16], v[111:112], v[4:5]
	v_mul_f64 v[4:5], v[109:110], v[4:5]
	s_waitcnt vmcnt(8) lgkmcnt(0)
	v_mul_f64 v[125:126], v[117:118], v[8:9]
	v_mul_f64 v[8:9], v[119:120], v[8:9]
	s_delay_alu instid0(VALU_DEP_4) | instskip(NEXT) | instid1(VALU_DEP_4)
	v_fma_f64 v[15:16], v[109:110], v[2:3], -v[15:16]
	v_fma_f64 v[127:128], v[111:112], v[2:3], v[4:5]
	scratch_load_b128 v[109:112], off, off offset:320
	ds_load_b128 v[2:5], v1 offset:576
	v_fma_f64 v[119:120], v[119:120], v[6:7], v[125:126]
	v_fma_f64 v[117:118], v[117:118], v[6:7], -v[8:9]
	ds_load_b128 v[6:9], v1 offset:592
	s_waitcnt vmcnt(8) lgkmcnt(1)
	v_mul_f64 v[129:130], v[2:3], v[13:14]
	v_mul_f64 v[131:132], v[4:5], v[13:14]
	s_waitcnt vmcnt(7) lgkmcnt(0)
	v_mul_f64 v[133:134], v[6:7], v[91:92]
	v_mul_f64 v[91:92], v[8:9], v[91:92]
	v_add_f64 v[125:126], v[15:16], 0
	v_add_f64 v[127:128], v[127:128], 0
	scratch_load_b128 v[13:16], off, off offset:336
	v_fma_f64 v[129:130], v[4:5], v[11:12], v[129:130]
	v_fma_f64 v[11:12], v[2:3], v[11:12], -v[131:132]
	ds_load_b128 v[2:5], v1 offset:608
	v_fma_f64 v[133:134], v[8:9], v[89:90], v[133:134]
	v_fma_f64 v[135:136], v[6:7], v[89:90], -v[91:92]
	ds_load_b128 v[6:9], v1 offset:624
	scratch_load_b128 v[89:92], off, off offset:368
	v_add_f64 v[125:126], v[125:126], v[117:118]
	v_add_f64 v[127:128], v[127:128], v[119:120]
	scratch_load_b128 v[117:120], off, off offset:352
	s_waitcnt vmcnt(9) lgkmcnt(1)
	v_mul_f64 v[131:132], v[2:3], v[95:96]
	v_mul_f64 v[95:96], v[4:5], v[95:96]
	v_add_f64 v[11:12], v[125:126], v[11:12]
	v_add_f64 v[125:126], v[127:128], v[129:130]
	s_waitcnt vmcnt(8) lgkmcnt(0)
	v_mul_f64 v[127:128], v[6:7], v[99:100]
	v_mul_f64 v[99:100], v[8:9], v[99:100]
	v_fma_f64 v[129:130], v[4:5], v[93:94], v[131:132]
	v_fma_f64 v[93:94], v[2:3], v[93:94], -v[95:96]
	ds_load_b128 v[2:5], v1 offset:640
	v_add_f64 v[11:12], v[11:12], v[135:136]
	v_add_f64 v[95:96], v[125:126], v[133:134]
	v_fma_f64 v[127:128], v[8:9], v[97:98], v[127:128]
	v_fma_f64 v[97:98], v[6:7], v[97:98], -v[99:100]
	ds_load_b128 v[6:9], v1 offset:656
	s_waitcnt vmcnt(7) lgkmcnt(1)
	v_mul_f64 v[125:126], v[2:3], v[103:104]
	v_mul_f64 v[103:104], v[4:5], v[103:104]
	s_waitcnt vmcnt(6) lgkmcnt(0)
	v_mul_f64 v[99:100], v[6:7], v[107:108]
	v_mul_f64 v[107:108], v[8:9], v[107:108]
	v_add_f64 v[11:12], v[11:12], v[93:94]
	v_add_f64 v[93:94], v[95:96], v[129:130]
	v_fma_f64 v[125:126], v[4:5], v[101:102], v[125:126]
	v_fma_f64 v[101:102], v[2:3], v[101:102], -v[103:104]
	ds_load_b128 v[2:5], v1 offset:672
	v_fma_f64 v[99:100], v[8:9], v[105:106], v[99:100]
	v_fma_f64 v[105:106], v[6:7], v[105:106], -v[107:108]
	ds_load_b128 v[6:9], v1 offset:688
	v_add_f64 v[11:12], v[11:12], v[97:98]
	v_add_f64 v[97:98], v[93:94], v[127:128]
	scratch_load_b128 v[93:96], off, off offset:144
	s_waitcnt vmcnt(6) lgkmcnt(1)
	v_mul_f64 v[103:104], v[2:3], v[115:116]
	v_mul_f64 v[115:116], v[4:5], v[115:116]
	s_waitcnt vmcnt(5) lgkmcnt(0)
	v_mul_f64 v[107:108], v[8:9], v[123:124]
	v_add_f64 v[11:12], v[11:12], v[101:102]
	v_add_f64 v[97:98], v[97:98], v[125:126]
	v_mul_f64 v[101:102], v[6:7], v[123:124]
	v_fma_f64 v[103:104], v[4:5], v[113:114], v[103:104]
	v_fma_f64 v[113:114], v[2:3], v[113:114], -v[115:116]
	ds_load_b128 v[2:5], v1 offset:704
	v_fma_f64 v[107:108], v[6:7], v[121:122], -v[107:108]
	v_add_f64 v[11:12], v[11:12], v[105:106]
	v_add_f64 v[97:98], v[97:98], v[99:100]
	v_fma_f64 v[101:102], v[8:9], v[121:122], v[101:102]
	ds_load_b128 v[6:9], v1 offset:720
	s_waitcnt vmcnt(4) lgkmcnt(1)
	v_mul_f64 v[99:100], v[2:3], v[111:112]
	v_mul_f64 v[105:106], v[4:5], v[111:112]
	v_add_f64 v[11:12], v[11:12], v[113:114]
	v_add_f64 v[97:98], v[97:98], v[103:104]
	s_waitcnt vmcnt(3) lgkmcnt(0)
	v_mul_f64 v[103:104], v[6:7], v[15:16]
	v_mul_f64 v[15:16], v[8:9], v[15:16]
	v_fma_f64 v[99:100], v[4:5], v[109:110], v[99:100]
	v_fma_f64 v[105:106], v[2:3], v[109:110], -v[105:106]
	ds_load_b128 v[2:5], v1 offset:736
	v_add_f64 v[11:12], v[11:12], v[107:108]
	v_add_f64 v[97:98], v[97:98], v[101:102]
	v_fma_f64 v[103:104], v[8:9], v[13:14], v[103:104]
	v_fma_f64 v[13:14], v[6:7], v[13:14], -v[15:16]
	ds_load_b128 v[6:9], v1 offset:752
	s_waitcnt vmcnt(1) lgkmcnt(1)
	v_mul_f64 v[101:102], v[2:3], v[119:120]
	v_mul_f64 v[107:108], v[4:5], v[119:120]
	v_add_f64 v[11:12], v[11:12], v[105:106]
	v_add_f64 v[15:16], v[97:98], v[99:100]
	s_waitcnt lgkmcnt(0)
	v_mul_f64 v[97:98], v[6:7], v[91:92]
	v_mul_f64 v[91:92], v[8:9], v[91:92]
	v_fma_f64 v[4:5], v[4:5], v[117:118], v[101:102]
	v_fma_f64 v[1:2], v[2:3], v[117:118], -v[107:108]
	v_add_f64 v[11:12], v[11:12], v[13:14]
	v_add_f64 v[13:14], v[15:16], v[103:104]
	v_fma_f64 v[8:9], v[8:9], v[89:90], v[97:98]
	v_fma_f64 v[6:7], v[6:7], v[89:90], -v[91:92]
	s_delay_alu instid0(VALU_DEP_4) | instskip(NEXT) | instid1(VALU_DEP_4)
	v_add_f64 v[1:2], v[11:12], v[1:2]
	v_add_f64 v[3:4], v[13:14], v[4:5]
	s_delay_alu instid0(VALU_DEP_2) | instskip(NEXT) | instid1(VALU_DEP_2)
	v_add_f64 v[1:2], v[1:2], v[6:7]
	v_add_f64 v[3:4], v[3:4], v[8:9]
	s_waitcnt vmcnt(0)
	s_delay_alu instid0(VALU_DEP_2) | instskip(NEXT) | instid1(VALU_DEP_2)
	v_add_f64 v[1:2], v[93:94], -v[1:2]
	v_add_f64 v[3:4], v[95:96], -v[3:4]
	scratch_store_b128 off, v[1:4], off offset:144
	v_cmpx_lt_u32_e32 8, v65
	s_cbranch_execz .LBB23_141
; %bb.140:
	scratch_load_b128 v[1:4], v76, off
	v_mov_b32_e32 v5, 0
	s_delay_alu instid0(VALU_DEP_1)
	v_mov_b32_e32 v6, v5
	v_mov_b32_e32 v7, v5
	;; [unrolled: 1-line block ×3, first 2 shown]
	scratch_store_b128 off, v[5:8], off offset:128
	s_waitcnt vmcnt(0)
	ds_store_b128 v10, v[1:4]
.LBB23_141:
	s_or_b32 exec_lo, exec_lo, s2
	s_waitcnt lgkmcnt(0)
	s_waitcnt_vscnt null, 0x0
	s_barrier
	buffer_gl0_inv
	s_clause 0x7
	scratch_load_b128 v[2:5], off, off offset:144
	scratch_load_b128 v[6:9], off, off offset:160
	;; [unrolled: 1-line block ×8, first 2 shown]
	v_mov_b32_e32 v1, 0
	s_clause 0x1
	scratch_load_b128 v[113:116], off, off offset:272
	scratch_load_b128 v[121:124], off, off offset:288
	s_mov_b32 s2, exec_lo
	ds_load_b128 v[109:112], v1 offset:528
	ds_load_b128 v[117:120], v1 offset:544
	s_waitcnt vmcnt(9) lgkmcnt(1)
	v_mul_f64 v[15:16], v[111:112], v[4:5]
	v_mul_f64 v[4:5], v[109:110], v[4:5]
	s_waitcnt vmcnt(8) lgkmcnt(0)
	v_mul_f64 v[125:126], v[117:118], v[8:9]
	v_mul_f64 v[8:9], v[119:120], v[8:9]
	s_delay_alu instid0(VALU_DEP_4) | instskip(NEXT) | instid1(VALU_DEP_4)
	v_fma_f64 v[15:16], v[109:110], v[2:3], -v[15:16]
	v_fma_f64 v[127:128], v[111:112], v[2:3], v[4:5]
	ds_load_b128 v[2:5], v1 offset:560
	scratch_load_b128 v[109:112], off, off offset:304
	v_fma_f64 v[119:120], v[119:120], v[6:7], v[125:126]
	v_fma_f64 v[117:118], v[117:118], v[6:7], -v[8:9]
	ds_load_b128 v[6:9], v1 offset:576
	s_waitcnt vmcnt(8) lgkmcnt(1)
	v_mul_f64 v[129:130], v[2:3], v[13:14]
	v_mul_f64 v[131:132], v[4:5], v[13:14]
	s_waitcnt vmcnt(7) lgkmcnt(0)
	v_mul_f64 v[133:134], v[6:7], v[91:92]
	v_mul_f64 v[91:92], v[8:9], v[91:92]
	v_add_f64 v[125:126], v[15:16], 0
	v_add_f64 v[127:128], v[127:128], 0
	scratch_load_b128 v[13:16], off, off offset:320
	v_fma_f64 v[129:130], v[4:5], v[11:12], v[129:130]
	v_fma_f64 v[11:12], v[2:3], v[11:12], -v[131:132]
	ds_load_b128 v[2:5], v1 offset:592
	v_fma_f64 v[133:134], v[8:9], v[89:90], v[133:134]
	v_fma_f64 v[135:136], v[6:7], v[89:90], -v[91:92]
	ds_load_b128 v[6:9], v1 offset:608
	scratch_load_b128 v[89:92], off, off offset:352
	v_add_f64 v[125:126], v[125:126], v[117:118]
	v_add_f64 v[127:128], v[127:128], v[119:120]
	scratch_load_b128 v[117:120], off, off offset:336
	s_waitcnt vmcnt(9) lgkmcnt(1)
	v_mul_f64 v[131:132], v[2:3], v[95:96]
	v_mul_f64 v[95:96], v[4:5], v[95:96]
	v_add_f64 v[11:12], v[125:126], v[11:12]
	v_add_f64 v[125:126], v[127:128], v[129:130]
	s_waitcnt vmcnt(8) lgkmcnt(0)
	v_mul_f64 v[127:128], v[6:7], v[99:100]
	v_mul_f64 v[99:100], v[8:9], v[99:100]
	v_fma_f64 v[129:130], v[4:5], v[93:94], v[131:132]
	v_fma_f64 v[131:132], v[2:3], v[93:94], -v[95:96]
	scratch_load_b128 v[93:96], off, off offset:368
	ds_load_b128 v[2:5], v1 offset:624
	v_add_f64 v[11:12], v[11:12], v[135:136]
	v_add_f64 v[125:126], v[125:126], v[133:134]
	v_fma_f64 v[127:128], v[8:9], v[97:98], v[127:128]
	v_fma_f64 v[97:98], v[6:7], v[97:98], -v[99:100]
	ds_load_b128 v[6:9], v1 offset:640
	s_waitcnt vmcnt(8) lgkmcnt(1)
	v_mul_f64 v[133:134], v[2:3], v[103:104]
	v_mul_f64 v[103:104], v[4:5], v[103:104]
	v_add_f64 v[11:12], v[11:12], v[131:132]
	v_add_f64 v[99:100], v[125:126], v[129:130]
	s_waitcnt vmcnt(7) lgkmcnt(0)
	v_mul_f64 v[125:126], v[6:7], v[107:108]
	v_mul_f64 v[107:108], v[8:9], v[107:108]
	v_fma_f64 v[129:130], v[4:5], v[101:102], v[133:134]
	v_fma_f64 v[101:102], v[2:3], v[101:102], -v[103:104]
	ds_load_b128 v[2:5], v1 offset:656
	v_add_f64 v[11:12], v[11:12], v[97:98]
	v_add_f64 v[97:98], v[99:100], v[127:128]
	v_fma_f64 v[125:126], v[8:9], v[105:106], v[125:126]
	v_fma_f64 v[105:106], v[6:7], v[105:106], -v[107:108]
	ds_load_b128 v[6:9], v1 offset:672
	s_waitcnt vmcnt(5) lgkmcnt(0)
	v_mul_f64 v[107:108], v[6:7], v[123:124]
	v_mul_f64 v[123:124], v[8:9], v[123:124]
	v_add_f64 v[11:12], v[11:12], v[101:102]
	v_add_f64 v[101:102], v[97:98], v[129:130]
	scratch_load_b128 v[97:100], off, off offset:128
	v_mul_f64 v[103:104], v[2:3], v[115:116]
	v_mul_f64 v[115:116], v[4:5], v[115:116]
	v_fma_f64 v[107:108], v[8:9], v[121:122], v[107:108]
	v_add_f64 v[11:12], v[11:12], v[105:106]
	v_add_f64 v[101:102], v[101:102], v[125:126]
	v_fma_f64 v[103:104], v[4:5], v[113:114], v[103:104]
	v_fma_f64 v[113:114], v[2:3], v[113:114], -v[115:116]
	ds_load_b128 v[2:5], v1 offset:688
	v_fma_f64 v[115:116], v[6:7], v[121:122], -v[123:124]
	ds_load_b128 v[6:9], v1 offset:704
	s_waitcnt vmcnt(5) lgkmcnt(1)
	v_mul_f64 v[105:106], v[2:3], v[111:112]
	v_mul_f64 v[111:112], v[4:5], v[111:112]
	v_add_f64 v[101:102], v[101:102], v[103:104]
	v_add_f64 v[11:12], v[11:12], v[113:114]
	s_waitcnt vmcnt(4) lgkmcnt(0)
	v_mul_f64 v[103:104], v[6:7], v[15:16]
	v_mul_f64 v[15:16], v[8:9], v[15:16]
	v_fma_f64 v[105:106], v[4:5], v[109:110], v[105:106]
	v_fma_f64 v[109:110], v[2:3], v[109:110], -v[111:112]
	ds_load_b128 v[2:5], v1 offset:720
	v_add_f64 v[101:102], v[101:102], v[107:108]
	v_add_f64 v[11:12], v[11:12], v[115:116]
	v_fma_f64 v[103:104], v[8:9], v[13:14], v[103:104]
	v_fma_f64 v[13:14], v[6:7], v[13:14], -v[15:16]
	ds_load_b128 v[6:9], v1 offset:736
	s_waitcnt vmcnt(2) lgkmcnt(1)
	v_mul_f64 v[107:108], v[2:3], v[119:120]
	v_mul_f64 v[111:112], v[4:5], v[119:120]
	v_add_f64 v[15:16], v[101:102], v[105:106]
	v_add_f64 v[11:12], v[11:12], v[109:110]
	s_waitcnt lgkmcnt(0)
	v_mul_f64 v[101:102], v[6:7], v[91:92]
	v_mul_f64 v[91:92], v[8:9], v[91:92]
	v_fma_f64 v[105:106], v[4:5], v[117:118], v[107:108]
	v_fma_f64 v[107:108], v[2:3], v[117:118], -v[111:112]
	ds_load_b128 v[2:5], v1 offset:752
	v_add_f64 v[11:12], v[11:12], v[13:14]
	v_add_f64 v[13:14], v[15:16], v[103:104]
	s_waitcnt vmcnt(1) lgkmcnt(0)
	v_mul_f64 v[15:16], v[2:3], v[95:96]
	v_mul_f64 v[95:96], v[4:5], v[95:96]
	v_fma_f64 v[8:9], v[8:9], v[89:90], v[101:102]
	v_fma_f64 v[6:7], v[6:7], v[89:90], -v[91:92]
	v_add_f64 v[11:12], v[11:12], v[107:108]
	v_add_f64 v[13:14], v[13:14], v[105:106]
	v_fma_f64 v[4:5], v[4:5], v[93:94], v[15:16]
	v_fma_f64 v[2:3], v[2:3], v[93:94], -v[95:96]
	s_delay_alu instid0(VALU_DEP_4) | instskip(NEXT) | instid1(VALU_DEP_4)
	v_add_f64 v[6:7], v[11:12], v[6:7]
	v_add_f64 v[8:9], v[13:14], v[8:9]
	s_delay_alu instid0(VALU_DEP_2) | instskip(NEXT) | instid1(VALU_DEP_2)
	v_add_f64 v[2:3], v[6:7], v[2:3]
	v_add_f64 v[4:5], v[8:9], v[4:5]
	s_waitcnt vmcnt(0)
	s_delay_alu instid0(VALU_DEP_2) | instskip(NEXT) | instid1(VALU_DEP_2)
	v_add_f64 v[2:3], v[97:98], -v[2:3]
	v_add_f64 v[4:5], v[99:100], -v[4:5]
	scratch_store_b128 off, v[2:5], off offset:128
	v_cmpx_lt_u32_e32 7, v65
	s_cbranch_execz .LBB23_143
; %bb.142:
	scratch_load_b128 v[5:8], v71, off
	v_mov_b32_e32 v2, v1
	v_mov_b32_e32 v3, v1
	;; [unrolled: 1-line block ×3, first 2 shown]
	scratch_store_b128 off, v[1:4], off offset:112
	s_waitcnt vmcnt(0)
	ds_store_b128 v10, v[5:8]
.LBB23_143:
	s_or_b32 exec_lo, exec_lo, s2
	s_waitcnt lgkmcnt(0)
	s_waitcnt_vscnt null, 0x0
	s_barrier
	buffer_gl0_inv
	s_clause 0x7
	scratch_load_b128 v[2:5], off, off offset:128
	scratch_load_b128 v[6:9], off, off offset:144
	;; [unrolled: 1-line block ×8, first 2 shown]
	ds_load_b128 v[109:112], v1 offset:512
	ds_load_b128 v[117:120], v1 offset:528
	s_clause 0x1
	scratch_load_b128 v[113:116], off, off offset:256
	scratch_load_b128 v[121:124], off, off offset:272
	s_mov_b32 s2, exec_lo
	s_waitcnt vmcnt(9) lgkmcnt(1)
	v_mul_f64 v[15:16], v[111:112], v[4:5]
	v_mul_f64 v[4:5], v[109:110], v[4:5]
	s_waitcnt vmcnt(8) lgkmcnt(0)
	v_mul_f64 v[125:126], v[117:118], v[8:9]
	v_mul_f64 v[8:9], v[119:120], v[8:9]
	s_delay_alu instid0(VALU_DEP_4) | instskip(NEXT) | instid1(VALU_DEP_4)
	v_fma_f64 v[15:16], v[109:110], v[2:3], -v[15:16]
	v_fma_f64 v[127:128], v[111:112], v[2:3], v[4:5]
	scratch_load_b128 v[109:112], off, off offset:288
	ds_load_b128 v[2:5], v1 offset:544
	v_fma_f64 v[119:120], v[119:120], v[6:7], v[125:126]
	v_fma_f64 v[117:118], v[117:118], v[6:7], -v[8:9]
	ds_load_b128 v[6:9], v1 offset:560
	s_waitcnt vmcnt(8) lgkmcnt(1)
	v_mul_f64 v[129:130], v[2:3], v[13:14]
	v_mul_f64 v[131:132], v[4:5], v[13:14]
	s_waitcnt vmcnt(7) lgkmcnt(0)
	v_mul_f64 v[133:134], v[6:7], v[91:92]
	v_mul_f64 v[91:92], v[8:9], v[91:92]
	v_add_f64 v[125:126], v[15:16], 0
	v_add_f64 v[127:128], v[127:128], 0
	scratch_load_b128 v[13:16], off, off offset:304
	v_fma_f64 v[129:130], v[4:5], v[11:12], v[129:130]
	v_fma_f64 v[11:12], v[2:3], v[11:12], -v[131:132]
	ds_load_b128 v[2:5], v1 offset:576
	v_fma_f64 v[133:134], v[8:9], v[89:90], v[133:134]
	v_fma_f64 v[135:136], v[6:7], v[89:90], -v[91:92]
	ds_load_b128 v[6:9], v1 offset:592
	scratch_load_b128 v[89:92], off, off offset:336
	v_add_f64 v[125:126], v[125:126], v[117:118]
	v_add_f64 v[127:128], v[127:128], v[119:120]
	scratch_load_b128 v[117:120], off, off offset:320
	s_waitcnt vmcnt(9) lgkmcnt(1)
	v_mul_f64 v[131:132], v[2:3], v[95:96]
	v_mul_f64 v[95:96], v[4:5], v[95:96]
	v_add_f64 v[11:12], v[125:126], v[11:12]
	v_add_f64 v[125:126], v[127:128], v[129:130]
	s_waitcnt vmcnt(8) lgkmcnt(0)
	v_mul_f64 v[127:128], v[6:7], v[99:100]
	v_mul_f64 v[99:100], v[8:9], v[99:100]
	v_fma_f64 v[129:130], v[4:5], v[93:94], v[131:132]
	v_fma_f64 v[131:132], v[2:3], v[93:94], -v[95:96]
	scratch_load_b128 v[93:96], off, off offset:352
	ds_load_b128 v[2:5], v1 offset:608
	v_add_f64 v[11:12], v[11:12], v[135:136]
	v_add_f64 v[125:126], v[125:126], v[133:134]
	v_fma_f64 v[127:128], v[8:9], v[97:98], v[127:128]
	v_fma_f64 v[135:136], v[6:7], v[97:98], -v[99:100]
	ds_load_b128 v[6:9], v1 offset:624
	s_waitcnt vmcnt(8) lgkmcnt(1)
	v_mul_f64 v[133:134], v[2:3], v[103:104]
	v_mul_f64 v[103:104], v[4:5], v[103:104]
	scratch_load_b128 v[97:100], off, off offset:368
	v_add_f64 v[11:12], v[11:12], v[131:132]
	v_add_f64 v[125:126], v[125:126], v[129:130]
	s_waitcnt vmcnt(8) lgkmcnt(0)
	v_mul_f64 v[129:130], v[6:7], v[107:108]
	v_mul_f64 v[107:108], v[8:9], v[107:108]
	v_fma_f64 v[131:132], v[4:5], v[101:102], v[133:134]
	v_fma_f64 v[101:102], v[2:3], v[101:102], -v[103:104]
	ds_load_b128 v[2:5], v1 offset:640
	v_add_f64 v[11:12], v[11:12], v[135:136]
	v_add_f64 v[103:104], v[125:126], v[127:128]
	v_fma_f64 v[127:128], v[8:9], v[105:106], v[129:130]
	v_fma_f64 v[105:106], v[6:7], v[105:106], -v[107:108]
	ds_load_b128 v[6:9], v1 offset:656
	s_waitcnt vmcnt(6) lgkmcnt(0)
	v_mul_f64 v[107:108], v[6:7], v[123:124]
	v_mul_f64 v[123:124], v[8:9], v[123:124]
	v_add_f64 v[11:12], v[11:12], v[101:102]
	v_add_f64 v[101:102], v[103:104], v[131:132]
	s_delay_alu instid0(VALU_DEP_4) | instskip(NEXT) | instid1(VALU_DEP_4)
	v_fma_f64 v[107:108], v[8:9], v[121:122], v[107:108]
	v_fma_f64 v[121:122], v[6:7], v[121:122], -v[123:124]
	ds_load_b128 v[6:9], v1 offset:688
	v_add_f64 v[11:12], v[11:12], v[105:106]
	v_add_f64 v[105:106], v[101:102], v[127:128]
	scratch_load_b128 v[101:104], off, off offset:112
	v_mul_f64 v[125:126], v[2:3], v[115:116]
	v_mul_f64 v[115:116], v[4:5], v[115:116]
	s_delay_alu instid0(VALU_DEP_2) | instskip(NEXT) | instid1(VALU_DEP_2)
	v_fma_f64 v[125:126], v[4:5], v[113:114], v[125:126]
	v_fma_f64 v[113:114], v[2:3], v[113:114], -v[115:116]
	ds_load_b128 v[2:5], v1 offset:672
	s_waitcnt vmcnt(6) lgkmcnt(0)
	v_mul_f64 v[115:116], v[2:3], v[111:112]
	v_mul_f64 v[111:112], v[4:5], v[111:112]
	v_add_f64 v[105:106], v[105:106], v[125:126]
	v_add_f64 v[11:12], v[11:12], v[113:114]
	s_waitcnt vmcnt(5)
	v_mul_f64 v[113:114], v[6:7], v[15:16]
	v_mul_f64 v[15:16], v[8:9], v[15:16]
	v_fma_f64 v[115:116], v[4:5], v[109:110], v[115:116]
	v_fma_f64 v[109:110], v[2:3], v[109:110], -v[111:112]
	ds_load_b128 v[2:5], v1 offset:704
	v_add_f64 v[105:106], v[105:106], v[107:108]
	v_add_f64 v[11:12], v[11:12], v[121:122]
	v_fma_f64 v[113:114], v[8:9], v[13:14], v[113:114]
	v_fma_f64 v[13:14], v[6:7], v[13:14], -v[15:16]
	ds_load_b128 v[6:9], v1 offset:720
	s_waitcnt vmcnt(3) lgkmcnt(1)
	v_mul_f64 v[107:108], v[2:3], v[119:120]
	v_mul_f64 v[111:112], v[4:5], v[119:120]
	v_add_f64 v[15:16], v[105:106], v[115:116]
	v_add_f64 v[11:12], v[11:12], v[109:110]
	s_waitcnt lgkmcnt(0)
	v_mul_f64 v[105:106], v[6:7], v[91:92]
	v_mul_f64 v[91:92], v[8:9], v[91:92]
	v_fma_f64 v[107:108], v[4:5], v[117:118], v[107:108]
	v_fma_f64 v[109:110], v[2:3], v[117:118], -v[111:112]
	ds_load_b128 v[2:5], v1 offset:736
	v_add_f64 v[11:12], v[11:12], v[13:14]
	v_add_f64 v[13:14], v[15:16], v[113:114]
	v_fma_f64 v[105:106], v[8:9], v[89:90], v[105:106]
	v_fma_f64 v[89:90], v[6:7], v[89:90], -v[91:92]
	ds_load_b128 v[6:9], v1 offset:752
	s_waitcnt vmcnt(2) lgkmcnt(1)
	v_mul_f64 v[15:16], v[2:3], v[95:96]
	v_mul_f64 v[95:96], v[4:5], v[95:96]
	s_waitcnt vmcnt(1) lgkmcnt(0)
	v_mul_f64 v[91:92], v[6:7], v[99:100]
	v_mul_f64 v[99:100], v[8:9], v[99:100]
	v_add_f64 v[11:12], v[11:12], v[109:110]
	v_add_f64 v[13:14], v[13:14], v[107:108]
	v_fma_f64 v[4:5], v[4:5], v[93:94], v[15:16]
	v_fma_f64 v[1:2], v[2:3], v[93:94], -v[95:96]
	v_fma_f64 v[8:9], v[8:9], v[97:98], v[91:92]
	v_fma_f64 v[6:7], v[6:7], v[97:98], -v[99:100]
	v_add_f64 v[11:12], v[11:12], v[89:90]
	v_add_f64 v[13:14], v[13:14], v[105:106]
	s_delay_alu instid0(VALU_DEP_2) | instskip(NEXT) | instid1(VALU_DEP_2)
	v_add_f64 v[1:2], v[11:12], v[1:2]
	v_add_f64 v[3:4], v[13:14], v[4:5]
	s_delay_alu instid0(VALU_DEP_2) | instskip(NEXT) | instid1(VALU_DEP_2)
	v_add_f64 v[1:2], v[1:2], v[6:7]
	v_add_f64 v[3:4], v[3:4], v[8:9]
	s_waitcnt vmcnt(0)
	s_delay_alu instid0(VALU_DEP_2) | instskip(NEXT) | instid1(VALU_DEP_2)
	v_add_f64 v[1:2], v[101:102], -v[1:2]
	v_add_f64 v[3:4], v[103:104], -v[3:4]
	scratch_store_b128 off, v[1:4], off offset:112
	v_cmpx_lt_u32_e32 6, v65
	s_cbranch_execz .LBB23_145
; %bb.144:
	scratch_load_b128 v[1:4], v70, off
	v_mov_b32_e32 v5, 0
	s_delay_alu instid0(VALU_DEP_1)
	v_mov_b32_e32 v6, v5
	v_mov_b32_e32 v7, v5
	;; [unrolled: 1-line block ×3, first 2 shown]
	scratch_store_b128 off, v[5:8], off offset:96
	s_waitcnt vmcnt(0)
	ds_store_b128 v10, v[1:4]
.LBB23_145:
	s_or_b32 exec_lo, exec_lo, s2
	s_waitcnt lgkmcnt(0)
	s_waitcnt_vscnt null, 0x0
	s_barrier
	buffer_gl0_inv
	s_clause 0x7
	scratch_load_b128 v[2:5], off, off offset:112
	scratch_load_b128 v[6:9], off, off offset:128
	scratch_load_b128 v[11:14], off, off offset:144
	scratch_load_b128 v[89:92], off, off offset:160
	scratch_load_b128 v[93:96], off, off offset:176
	scratch_load_b128 v[97:100], off, off offset:192
	scratch_load_b128 v[101:104], off, off offset:208
	scratch_load_b128 v[105:108], off, off offset:224
	v_mov_b32_e32 v1, 0
	s_clause 0x1
	scratch_load_b128 v[113:116], off, off offset:240
	scratch_load_b128 v[121:124], off, off offset:256
	s_mov_b32 s2, exec_lo
	ds_load_b128 v[109:112], v1 offset:496
	ds_load_b128 v[117:120], v1 offset:512
	s_waitcnt vmcnt(9) lgkmcnt(1)
	v_mul_f64 v[15:16], v[111:112], v[4:5]
	v_mul_f64 v[4:5], v[109:110], v[4:5]
	s_waitcnt vmcnt(8) lgkmcnt(0)
	v_mul_f64 v[125:126], v[117:118], v[8:9]
	v_mul_f64 v[8:9], v[119:120], v[8:9]
	s_delay_alu instid0(VALU_DEP_4) | instskip(NEXT) | instid1(VALU_DEP_4)
	v_fma_f64 v[15:16], v[109:110], v[2:3], -v[15:16]
	v_fma_f64 v[127:128], v[111:112], v[2:3], v[4:5]
	ds_load_b128 v[2:5], v1 offset:528
	v_fma_f64 v[119:120], v[119:120], v[6:7], v[125:126]
	v_fma_f64 v[117:118], v[117:118], v[6:7], -v[8:9]
	ds_load_b128 v[6:9], v1 offset:544
	scratch_load_b128 v[109:112], off, off offset:272
	s_waitcnt vmcnt(8) lgkmcnt(1)
	v_mul_f64 v[129:130], v[2:3], v[13:14]
	v_mul_f64 v[131:132], v[4:5], v[13:14]
	s_waitcnt vmcnt(7) lgkmcnt(0)
	v_mul_f64 v[133:134], v[6:7], v[91:92]
	v_mul_f64 v[91:92], v[8:9], v[91:92]
	v_add_f64 v[125:126], v[15:16], 0
	v_add_f64 v[127:128], v[127:128], 0
	scratch_load_b128 v[13:16], off, off offset:288
	v_fma_f64 v[129:130], v[4:5], v[11:12], v[129:130]
	v_fma_f64 v[11:12], v[2:3], v[11:12], -v[131:132]
	ds_load_b128 v[2:5], v1 offset:560
	v_fma_f64 v[133:134], v[8:9], v[89:90], v[133:134]
	v_fma_f64 v[135:136], v[6:7], v[89:90], -v[91:92]
	ds_load_b128 v[6:9], v1 offset:576
	scratch_load_b128 v[89:92], off, off offset:320
	v_add_f64 v[125:126], v[125:126], v[117:118]
	v_add_f64 v[127:128], v[127:128], v[119:120]
	scratch_load_b128 v[117:120], off, off offset:304
	s_waitcnt vmcnt(9) lgkmcnt(1)
	v_mul_f64 v[131:132], v[2:3], v[95:96]
	v_mul_f64 v[95:96], v[4:5], v[95:96]
	v_add_f64 v[11:12], v[125:126], v[11:12]
	v_add_f64 v[125:126], v[127:128], v[129:130]
	s_waitcnt vmcnt(8) lgkmcnt(0)
	v_mul_f64 v[127:128], v[6:7], v[99:100]
	v_mul_f64 v[99:100], v[8:9], v[99:100]
	v_fma_f64 v[129:130], v[4:5], v[93:94], v[131:132]
	v_fma_f64 v[131:132], v[2:3], v[93:94], -v[95:96]
	scratch_load_b128 v[93:96], off, off offset:336
	ds_load_b128 v[2:5], v1 offset:592
	v_add_f64 v[11:12], v[11:12], v[135:136]
	v_add_f64 v[125:126], v[125:126], v[133:134]
	v_fma_f64 v[127:128], v[8:9], v[97:98], v[127:128]
	v_fma_f64 v[135:136], v[6:7], v[97:98], -v[99:100]
	ds_load_b128 v[6:9], v1 offset:608
	s_waitcnt vmcnt(8) lgkmcnt(1)
	v_mul_f64 v[133:134], v[2:3], v[103:104]
	v_mul_f64 v[103:104], v[4:5], v[103:104]
	scratch_load_b128 v[97:100], off, off offset:352
	v_add_f64 v[11:12], v[11:12], v[131:132]
	v_add_f64 v[125:126], v[125:126], v[129:130]
	s_waitcnt vmcnt(8) lgkmcnt(0)
	v_mul_f64 v[129:130], v[6:7], v[107:108]
	v_mul_f64 v[107:108], v[8:9], v[107:108]
	v_fma_f64 v[131:132], v[4:5], v[101:102], v[133:134]
	v_fma_f64 v[133:134], v[2:3], v[101:102], -v[103:104]
	scratch_load_b128 v[101:104], off, off offset:368
	ds_load_b128 v[2:5], v1 offset:624
	v_add_f64 v[11:12], v[11:12], v[135:136]
	v_add_f64 v[125:126], v[125:126], v[127:128]
	v_fma_f64 v[129:130], v[8:9], v[105:106], v[129:130]
	v_fma_f64 v[105:106], v[6:7], v[105:106], -v[107:108]
	ds_load_b128 v[6:9], v1 offset:640
	s_waitcnt vmcnt(8) lgkmcnt(1)
	v_mul_f64 v[127:128], v[2:3], v[115:116]
	v_mul_f64 v[115:116], v[4:5], v[115:116]
	v_add_f64 v[11:12], v[11:12], v[133:134]
	v_add_f64 v[107:108], v[125:126], v[131:132]
	s_delay_alu instid0(VALU_DEP_4) | instskip(NEXT) | instid1(VALU_DEP_4)
	v_fma_f64 v[127:128], v[4:5], v[113:114], v[127:128]
	v_fma_f64 v[113:114], v[2:3], v[113:114], -v[115:116]
	ds_load_b128 v[2:5], v1 offset:656
	v_add_f64 v[11:12], v[11:12], v[105:106]
	v_add_f64 v[105:106], v[107:108], v[129:130]
	s_delay_alu instid0(VALU_DEP_2) | instskip(NEXT) | instid1(VALU_DEP_2)
	v_add_f64 v[11:12], v[11:12], v[113:114]
	v_add_f64 v[113:114], v[105:106], v[127:128]
	scratch_load_b128 v[105:108], off, off offset:96
	s_waitcnt vmcnt(8) lgkmcnt(1)
	v_mul_f64 v[125:126], v[6:7], v[123:124]
	v_mul_f64 v[123:124], v[8:9], v[123:124]
	s_delay_alu instid0(VALU_DEP_2) | instskip(NEXT) | instid1(VALU_DEP_2)
	v_fma_f64 v[125:126], v[8:9], v[121:122], v[125:126]
	v_fma_f64 v[121:122], v[6:7], v[121:122], -v[123:124]
	ds_load_b128 v[6:9], v1 offset:672
	s_waitcnt vmcnt(7) lgkmcnt(1)
	v_mul_f64 v[115:116], v[2:3], v[111:112]
	v_mul_f64 v[111:112], v[4:5], v[111:112]
	s_waitcnt vmcnt(6) lgkmcnt(0)
	v_mul_f64 v[123:124], v[6:7], v[15:16]
	v_mul_f64 v[15:16], v[8:9], v[15:16]
	v_add_f64 v[11:12], v[11:12], v[121:122]
	v_fma_f64 v[115:116], v[4:5], v[109:110], v[115:116]
	v_fma_f64 v[109:110], v[2:3], v[109:110], -v[111:112]
	v_add_f64 v[111:112], v[113:114], v[125:126]
	ds_load_b128 v[2:5], v1 offset:688
	v_fma_f64 v[121:122], v[8:9], v[13:14], v[123:124]
	v_fma_f64 v[13:14], v[6:7], v[13:14], -v[15:16]
	ds_load_b128 v[6:9], v1 offset:704
	s_waitcnt vmcnt(4) lgkmcnt(1)
	v_mul_f64 v[113:114], v[2:3], v[119:120]
	v_mul_f64 v[119:120], v[4:5], v[119:120]
	v_add_f64 v[11:12], v[11:12], v[109:110]
	v_add_f64 v[15:16], v[111:112], v[115:116]
	s_waitcnt lgkmcnt(0)
	v_mul_f64 v[109:110], v[6:7], v[91:92]
	v_mul_f64 v[91:92], v[8:9], v[91:92]
	v_fma_f64 v[111:112], v[4:5], v[117:118], v[113:114]
	v_fma_f64 v[113:114], v[2:3], v[117:118], -v[119:120]
	ds_load_b128 v[2:5], v1 offset:720
	v_add_f64 v[11:12], v[11:12], v[13:14]
	v_add_f64 v[13:14], v[15:16], v[121:122]
	v_fma_f64 v[109:110], v[8:9], v[89:90], v[109:110]
	v_fma_f64 v[89:90], v[6:7], v[89:90], -v[91:92]
	ds_load_b128 v[6:9], v1 offset:736
	s_waitcnt vmcnt(3) lgkmcnt(1)
	v_mul_f64 v[15:16], v[2:3], v[95:96]
	v_mul_f64 v[95:96], v[4:5], v[95:96]
	s_waitcnt vmcnt(2) lgkmcnt(0)
	v_mul_f64 v[91:92], v[6:7], v[99:100]
	v_mul_f64 v[99:100], v[8:9], v[99:100]
	v_add_f64 v[11:12], v[11:12], v[113:114]
	v_add_f64 v[13:14], v[13:14], v[111:112]
	v_fma_f64 v[15:16], v[4:5], v[93:94], v[15:16]
	v_fma_f64 v[93:94], v[2:3], v[93:94], -v[95:96]
	ds_load_b128 v[2:5], v1 offset:752
	v_fma_f64 v[8:9], v[8:9], v[97:98], v[91:92]
	v_fma_f64 v[6:7], v[6:7], v[97:98], -v[99:100]
	s_waitcnt vmcnt(1) lgkmcnt(0)
	v_mul_f64 v[95:96], v[4:5], v[103:104]
	v_add_f64 v[11:12], v[11:12], v[89:90]
	v_add_f64 v[13:14], v[13:14], v[109:110]
	v_mul_f64 v[89:90], v[2:3], v[103:104]
	s_delay_alu instid0(VALU_DEP_4) | instskip(NEXT) | instid1(VALU_DEP_4)
	v_fma_f64 v[2:3], v[2:3], v[101:102], -v[95:96]
	v_add_f64 v[11:12], v[11:12], v[93:94]
	s_delay_alu instid0(VALU_DEP_4) | instskip(NEXT) | instid1(VALU_DEP_4)
	v_add_f64 v[13:14], v[13:14], v[15:16]
	v_fma_f64 v[4:5], v[4:5], v[101:102], v[89:90]
	s_delay_alu instid0(VALU_DEP_3) | instskip(NEXT) | instid1(VALU_DEP_3)
	v_add_f64 v[6:7], v[11:12], v[6:7]
	v_add_f64 v[8:9], v[13:14], v[8:9]
	s_delay_alu instid0(VALU_DEP_2) | instskip(NEXT) | instid1(VALU_DEP_2)
	v_add_f64 v[2:3], v[6:7], v[2:3]
	v_add_f64 v[4:5], v[8:9], v[4:5]
	s_waitcnt vmcnt(0)
	s_delay_alu instid0(VALU_DEP_2) | instskip(NEXT) | instid1(VALU_DEP_2)
	v_add_f64 v[2:3], v[105:106], -v[2:3]
	v_add_f64 v[4:5], v[107:108], -v[4:5]
	scratch_store_b128 off, v[2:5], off offset:96
	v_cmpx_lt_u32_e32 5, v65
	s_cbranch_execz .LBB23_147
; %bb.146:
	scratch_load_b128 v[5:8], v72, off
	v_mov_b32_e32 v2, v1
	v_mov_b32_e32 v3, v1
	;; [unrolled: 1-line block ×3, first 2 shown]
	scratch_store_b128 off, v[1:4], off offset:80
	s_waitcnt vmcnt(0)
	ds_store_b128 v10, v[5:8]
.LBB23_147:
	s_or_b32 exec_lo, exec_lo, s2
	s_waitcnt lgkmcnt(0)
	s_waitcnt_vscnt null, 0x0
	s_barrier
	buffer_gl0_inv
	s_clause 0x7
	scratch_load_b128 v[2:5], off, off offset:96
	scratch_load_b128 v[6:9], off, off offset:112
	scratch_load_b128 v[11:14], off, off offset:128
	scratch_load_b128 v[89:92], off, off offset:144
	scratch_load_b128 v[93:96], off, off offset:160
	scratch_load_b128 v[97:100], off, off offset:176
	scratch_load_b128 v[101:104], off, off offset:192
	scratch_load_b128 v[105:108], off, off offset:208
	ds_load_b128 v[109:112], v1 offset:480
	ds_load_b128 v[117:120], v1 offset:496
	s_clause 0x1
	scratch_load_b128 v[113:116], off, off offset:224
	scratch_load_b128 v[121:124], off, off offset:240
	s_mov_b32 s2, exec_lo
	s_waitcnt vmcnt(9) lgkmcnt(1)
	v_mul_f64 v[15:16], v[111:112], v[4:5]
	v_mul_f64 v[4:5], v[109:110], v[4:5]
	s_waitcnt vmcnt(8) lgkmcnt(0)
	v_mul_f64 v[125:126], v[117:118], v[8:9]
	v_mul_f64 v[8:9], v[119:120], v[8:9]
	s_delay_alu instid0(VALU_DEP_4) | instskip(NEXT) | instid1(VALU_DEP_4)
	v_fma_f64 v[15:16], v[109:110], v[2:3], -v[15:16]
	v_fma_f64 v[127:128], v[111:112], v[2:3], v[4:5]
	ds_load_b128 v[2:5], v1 offset:512
	scratch_load_b128 v[109:112], off, off offset:256
	v_fma_f64 v[119:120], v[119:120], v[6:7], v[125:126]
	v_fma_f64 v[117:118], v[117:118], v[6:7], -v[8:9]
	ds_load_b128 v[6:9], v1 offset:528
	s_waitcnt vmcnt(8) lgkmcnt(1)
	v_mul_f64 v[129:130], v[2:3], v[13:14]
	v_mul_f64 v[131:132], v[4:5], v[13:14]
	s_waitcnt vmcnt(7) lgkmcnt(0)
	v_mul_f64 v[133:134], v[6:7], v[91:92]
	v_mul_f64 v[91:92], v[8:9], v[91:92]
	v_add_f64 v[125:126], v[15:16], 0
	v_add_f64 v[127:128], v[127:128], 0
	scratch_load_b128 v[13:16], off, off offset:272
	v_fma_f64 v[129:130], v[4:5], v[11:12], v[129:130]
	v_fma_f64 v[11:12], v[2:3], v[11:12], -v[131:132]
	ds_load_b128 v[2:5], v1 offset:544
	v_fma_f64 v[133:134], v[8:9], v[89:90], v[133:134]
	v_fma_f64 v[135:136], v[6:7], v[89:90], -v[91:92]
	ds_load_b128 v[6:9], v1 offset:560
	scratch_load_b128 v[89:92], off, off offset:304
	v_add_f64 v[125:126], v[125:126], v[117:118]
	v_add_f64 v[127:128], v[127:128], v[119:120]
	scratch_load_b128 v[117:120], off, off offset:288
	s_waitcnt vmcnt(9) lgkmcnt(1)
	v_mul_f64 v[131:132], v[2:3], v[95:96]
	v_mul_f64 v[95:96], v[4:5], v[95:96]
	v_add_f64 v[11:12], v[125:126], v[11:12]
	v_add_f64 v[125:126], v[127:128], v[129:130]
	s_waitcnt vmcnt(8) lgkmcnt(0)
	v_mul_f64 v[127:128], v[6:7], v[99:100]
	v_mul_f64 v[99:100], v[8:9], v[99:100]
	v_fma_f64 v[129:130], v[4:5], v[93:94], v[131:132]
	v_fma_f64 v[131:132], v[2:3], v[93:94], -v[95:96]
	scratch_load_b128 v[93:96], off, off offset:320
	ds_load_b128 v[2:5], v1 offset:576
	v_add_f64 v[11:12], v[11:12], v[135:136]
	v_add_f64 v[125:126], v[125:126], v[133:134]
	v_fma_f64 v[127:128], v[8:9], v[97:98], v[127:128]
	v_fma_f64 v[135:136], v[6:7], v[97:98], -v[99:100]
	ds_load_b128 v[6:9], v1 offset:592
	s_waitcnt vmcnt(8) lgkmcnt(1)
	v_mul_f64 v[133:134], v[2:3], v[103:104]
	v_mul_f64 v[103:104], v[4:5], v[103:104]
	scratch_load_b128 v[97:100], off, off offset:336
	v_add_f64 v[11:12], v[11:12], v[131:132]
	v_add_f64 v[125:126], v[125:126], v[129:130]
	s_waitcnt vmcnt(8) lgkmcnt(0)
	v_mul_f64 v[129:130], v[6:7], v[107:108]
	v_mul_f64 v[107:108], v[8:9], v[107:108]
	v_fma_f64 v[131:132], v[4:5], v[101:102], v[133:134]
	v_fma_f64 v[133:134], v[2:3], v[101:102], -v[103:104]
	scratch_load_b128 v[101:104], off, off offset:352
	ds_load_b128 v[2:5], v1 offset:608
	v_add_f64 v[11:12], v[11:12], v[135:136]
	v_add_f64 v[125:126], v[125:126], v[127:128]
	v_fma_f64 v[129:130], v[8:9], v[105:106], v[129:130]
	v_fma_f64 v[135:136], v[6:7], v[105:106], -v[107:108]
	ds_load_b128 v[6:9], v1 offset:624
	s_waitcnt vmcnt(8) lgkmcnt(1)
	v_mul_f64 v[127:128], v[2:3], v[115:116]
	v_mul_f64 v[115:116], v[4:5], v[115:116]
	scratch_load_b128 v[105:108], off, off offset:368
	v_add_f64 v[11:12], v[11:12], v[133:134]
	v_add_f64 v[125:126], v[125:126], v[131:132]
	s_waitcnt vmcnt(8) lgkmcnt(0)
	v_mul_f64 v[131:132], v[6:7], v[123:124]
	v_mul_f64 v[123:124], v[8:9], v[123:124]
	v_fma_f64 v[127:128], v[4:5], v[113:114], v[127:128]
	v_fma_f64 v[113:114], v[2:3], v[113:114], -v[115:116]
	ds_load_b128 v[2:5], v1 offset:640
	v_add_f64 v[11:12], v[11:12], v[135:136]
	v_add_f64 v[115:116], v[125:126], v[129:130]
	v_fma_f64 v[129:130], v[8:9], v[121:122], v[131:132]
	v_fma_f64 v[121:122], v[6:7], v[121:122], -v[123:124]
	ds_load_b128 v[6:9], v1 offset:656
	s_waitcnt vmcnt(7) lgkmcnt(1)
	v_mul_f64 v[125:126], v[2:3], v[111:112]
	v_mul_f64 v[111:112], v[4:5], v[111:112]
	v_add_f64 v[11:12], v[11:12], v[113:114]
	v_add_f64 v[113:114], v[115:116], v[127:128]
	s_delay_alu instid0(VALU_DEP_4) | instskip(NEXT) | instid1(VALU_DEP_4)
	v_fma_f64 v[123:124], v[4:5], v[109:110], v[125:126]
	v_fma_f64 v[125:126], v[2:3], v[109:110], -v[111:112]
	scratch_load_b128 v[109:112], off, off offset:80
	s_waitcnt vmcnt(7) lgkmcnt(0)
	v_mul_f64 v[115:116], v[6:7], v[15:16]
	v_mul_f64 v[15:16], v[8:9], v[15:16]
	ds_load_b128 v[2:5], v1 offset:672
	v_add_f64 v[11:12], v[11:12], v[121:122]
	v_add_f64 v[113:114], v[113:114], v[129:130]
	v_fma_f64 v[115:116], v[8:9], v[13:14], v[115:116]
	v_fma_f64 v[13:14], v[6:7], v[13:14], -v[15:16]
	ds_load_b128 v[6:9], v1 offset:688
	s_waitcnt vmcnt(5) lgkmcnt(1)
	v_mul_f64 v[121:122], v[2:3], v[119:120]
	v_mul_f64 v[119:120], v[4:5], v[119:120]
	v_add_f64 v[11:12], v[11:12], v[125:126]
	v_add_f64 v[15:16], v[113:114], v[123:124]
	s_waitcnt lgkmcnt(0)
	v_mul_f64 v[113:114], v[6:7], v[91:92]
	v_mul_f64 v[91:92], v[8:9], v[91:92]
	v_fma_f64 v[121:122], v[4:5], v[117:118], v[121:122]
	v_fma_f64 v[117:118], v[2:3], v[117:118], -v[119:120]
	ds_load_b128 v[2:5], v1 offset:704
	v_add_f64 v[11:12], v[11:12], v[13:14]
	v_add_f64 v[13:14], v[15:16], v[115:116]
	v_fma_f64 v[113:114], v[8:9], v[89:90], v[113:114]
	v_fma_f64 v[89:90], v[6:7], v[89:90], -v[91:92]
	ds_load_b128 v[6:9], v1 offset:720
	s_waitcnt vmcnt(4) lgkmcnt(1)
	v_mul_f64 v[15:16], v[2:3], v[95:96]
	v_mul_f64 v[95:96], v[4:5], v[95:96]
	s_waitcnt vmcnt(3) lgkmcnt(0)
	v_mul_f64 v[91:92], v[6:7], v[99:100]
	v_mul_f64 v[99:100], v[8:9], v[99:100]
	v_add_f64 v[11:12], v[11:12], v[117:118]
	v_add_f64 v[13:14], v[13:14], v[121:122]
	v_fma_f64 v[15:16], v[4:5], v[93:94], v[15:16]
	v_fma_f64 v[93:94], v[2:3], v[93:94], -v[95:96]
	ds_load_b128 v[2:5], v1 offset:736
	v_fma_f64 v[91:92], v[8:9], v[97:98], v[91:92]
	v_fma_f64 v[97:98], v[6:7], v[97:98], -v[99:100]
	ds_load_b128 v[6:9], v1 offset:752
	s_waitcnt vmcnt(2) lgkmcnt(1)
	v_mul_f64 v[95:96], v[4:5], v[103:104]
	v_add_f64 v[11:12], v[11:12], v[89:90]
	v_add_f64 v[13:14], v[13:14], v[113:114]
	v_mul_f64 v[89:90], v[2:3], v[103:104]
	s_delay_alu instid0(VALU_DEP_4) | instskip(NEXT) | instid1(VALU_DEP_4)
	v_fma_f64 v[1:2], v[2:3], v[101:102], -v[95:96]
	v_add_f64 v[11:12], v[11:12], v[93:94]
	s_delay_alu instid0(VALU_DEP_4)
	v_add_f64 v[13:14], v[13:14], v[15:16]
	s_waitcnt vmcnt(1) lgkmcnt(0)
	v_mul_f64 v[15:16], v[6:7], v[107:108]
	v_mul_f64 v[93:94], v[8:9], v[107:108]
	v_fma_f64 v[4:5], v[4:5], v[101:102], v[89:90]
	v_add_f64 v[11:12], v[11:12], v[97:98]
	v_add_f64 v[13:14], v[13:14], v[91:92]
	v_fma_f64 v[8:9], v[8:9], v[105:106], v[15:16]
	v_fma_f64 v[6:7], v[6:7], v[105:106], -v[93:94]
	s_delay_alu instid0(VALU_DEP_4) | instskip(NEXT) | instid1(VALU_DEP_4)
	v_add_f64 v[1:2], v[11:12], v[1:2]
	v_add_f64 v[3:4], v[13:14], v[4:5]
	s_delay_alu instid0(VALU_DEP_2) | instskip(NEXT) | instid1(VALU_DEP_2)
	v_add_f64 v[1:2], v[1:2], v[6:7]
	v_add_f64 v[3:4], v[3:4], v[8:9]
	s_waitcnt vmcnt(0)
	s_delay_alu instid0(VALU_DEP_2) | instskip(NEXT) | instid1(VALU_DEP_2)
	v_add_f64 v[1:2], v[109:110], -v[1:2]
	v_add_f64 v[3:4], v[111:112], -v[3:4]
	scratch_store_b128 off, v[1:4], off offset:80
	v_cmpx_lt_u32_e32 4, v65
	s_cbranch_execz .LBB23_149
; %bb.148:
	scratch_load_b128 v[1:4], v66, off
	v_mov_b32_e32 v5, 0
	s_delay_alu instid0(VALU_DEP_1)
	v_mov_b32_e32 v6, v5
	v_mov_b32_e32 v7, v5
	;; [unrolled: 1-line block ×3, first 2 shown]
	scratch_store_b128 off, v[5:8], off offset:64
	s_waitcnt vmcnt(0)
	ds_store_b128 v10, v[1:4]
.LBB23_149:
	s_or_b32 exec_lo, exec_lo, s2
	s_waitcnt lgkmcnt(0)
	s_waitcnt_vscnt null, 0x0
	s_barrier
	buffer_gl0_inv
	s_clause 0x7
	scratch_load_b128 v[2:5], off, off offset:80
	scratch_load_b128 v[6:9], off, off offset:96
	scratch_load_b128 v[11:14], off, off offset:112
	scratch_load_b128 v[89:92], off, off offset:128
	scratch_load_b128 v[93:96], off, off offset:144
	scratch_load_b128 v[97:100], off, off offset:160
	scratch_load_b128 v[101:104], off, off offset:176
	scratch_load_b128 v[105:108], off, off offset:192
	v_mov_b32_e32 v1, 0
	s_clause 0x1
	scratch_load_b128 v[113:116], off, off offset:208
	scratch_load_b128 v[121:124], off, off offset:224
	s_mov_b32 s2, exec_lo
	ds_load_b128 v[109:112], v1 offset:464
	ds_load_b128 v[117:120], v1 offset:480
	s_waitcnt vmcnt(9) lgkmcnt(1)
	v_mul_f64 v[15:16], v[111:112], v[4:5]
	v_mul_f64 v[4:5], v[109:110], v[4:5]
	s_waitcnt vmcnt(8) lgkmcnt(0)
	v_mul_f64 v[125:126], v[117:118], v[8:9]
	v_mul_f64 v[8:9], v[119:120], v[8:9]
	s_delay_alu instid0(VALU_DEP_4) | instskip(NEXT) | instid1(VALU_DEP_4)
	v_fma_f64 v[15:16], v[109:110], v[2:3], -v[15:16]
	v_fma_f64 v[127:128], v[111:112], v[2:3], v[4:5]
	ds_load_b128 v[2:5], v1 offset:496
	scratch_load_b128 v[109:112], off, off offset:240
	v_fma_f64 v[119:120], v[119:120], v[6:7], v[125:126]
	v_fma_f64 v[117:118], v[117:118], v[6:7], -v[8:9]
	ds_load_b128 v[6:9], v1 offset:512
	s_waitcnt vmcnt(8) lgkmcnt(1)
	v_mul_f64 v[129:130], v[2:3], v[13:14]
	v_mul_f64 v[131:132], v[4:5], v[13:14]
	s_waitcnt vmcnt(7) lgkmcnt(0)
	v_mul_f64 v[133:134], v[6:7], v[91:92]
	v_mul_f64 v[91:92], v[8:9], v[91:92]
	v_add_f64 v[125:126], v[15:16], 0
	scratch_load_b128 v[13:16], off, off offset:256
	v_add_f64 v[127:128], v[127:128], 0
	v_fma_f64 v[129:130], v[4:5], v[11:12], v[129:130]
	v_fma_f64 v[11:12], v[2:3], v[11:12], -v[131:132]
	ds_load_b128 v[2:5], v1 offset:528
	v_fma_f64 v[133:134], v[8:9], v[89:90], v[133:134]
	v_fma_f64 v[135:136], v[6:7], v[89:90], -v[91:92]
	ds_load_b128 v[6:9], v1 offset:544
	scratch_load_b128 v[89:92], off, off offset:288
	v_add_f64 v[125:126], v[125:126], v[117:118]
	v_add_f64 v[127:128], v[127:128], v[119:120]
	scratch_load_b128 v[117:120], off, off offset:272
	s_waitcnt vmcnt(9) lgkmcnt(1)
	v_mul_f64 v[131:132], v[2:3], v[95:96]
	v_mul_f64 v[95:96], v[4:5], v[95:96]
	v_add_f64 v[11:12], v[125:126], v[11:12]
	v_add_f64 v[125:126], v[127:128], v[129:130]
	s_waitcnt vmcnt(8) lgkmcnt(0)
	v_mul_f64 v[127:128], v[6:7], v[99:100]
	v_mul_f64 v[99:100], v[8:9], v[99:100]
	v_fma_f64 v[129:130], v[4:5], v[93:94], v[131:132]
	v_fma_f64 v[131:132], v[2:3], v[93:94], -v[95:96]
	ds_load_b128 v[2:5], v1 offset:560
	scratch_load_b128 v[93:96], off, off offset:304
	v_add_f64 v[11:12], v[11:12], v[135:136]
	v_add_f64 v[125:126], v[125:126], v[133:134]
	v_fma_f64 v[127:128], v[8:9], v[97:98], v[127:128]
	v_fma_f64 v[135:136], v[6:7], v[97:98], -v[99:100]
	ds_load_b128 v[6:9], v1 offset:576
	s_waitcnt vmcnt(8) lgkmcnt(1)
	v_mul_f64 v[133:134], v[2:3], v[103:104]
	v_mul_f64 v[103:104], v[4:5], v[103:104]
	scratch_load_b128 v[97:100], off, off offset:320
	v_add_f64 v[11:12], v[11:12], v[131:132]
	v_add_f64 v[125:126], v[125:126], v[129:130]
	s_waitcnt vmcnt(8) lgkmcnt(0)
	v_mul_f64 v[129:130], v[6:7], v[107:108]
	v_mul_f64 v[107:108], v[8:9], v[107:108]
	v_fma_f64 v[131:132], v[4:5], v[101:102], v[133:134]
	v_fma_f64 v[133:134], v[2:3], v[101:102], -v[103:104]
	scratch_load_b128 v[101:104], off, off offset:336
	ds_load_b128 v[2:5], v1 offset:592
	v_add_f64 v[11:12], v[11:12], v[135:136]
	v_add_f64 v[125:126], v[125:126], v[127:128]
	v_fma_f64 v[129:130], v[8:9], v[105:106], v[129:130]
	v_fma_f64 v[135:136], v[6:7], v[105:106], -v[107:108]
	ds_load_b128 v[6:9], v1 offset:608
	s_waitcnt vmcnt(8) lgkmcnt(1)
	v_mul_f64 v[127:128], v[2:3], v[115:116]
	v_mul_f64 v[115:116], v[4:5], v[115:116]
	scratch_load_b128 v[105:108], off, off offset:352
	v_add_f64 v[11:12], v[11:12], v[133:134]
	v_add_f64 v[125:126], v[125:126], v[131:132]
	s_waitcnt vmcnt(8) lgkmcnt(0)
	v_mul_f64 v[131:132], v[6:7], v[123:124]
	v_mul_f64 v[123:124], v[8:9], v[123:124]
	v_fma_f64 v[127:128], v[4:5], v[113:114], v[127:128]
	v_fma_f64 v[133:134], v[2:3], v[113:114], -v[115:116]
	scratch_load_b128 v[113:116], off, off offset:368
	ds_load_b128 v[2:5], v1 offset:624
	v_add_f64 v[11:12], v[11:12], v[135:136]
	v_add_f64 v[125:126], v[125:126], v[129:130]
	v_fma_f64 v[131:132], v[8:9], v[121:122], v[131:132]
	v_fma_f64 v[121:122], v[6:7], v[121:122], -v[123:124]
	ds_load_b128 v[6:9], v1 offset:640
	s_waitcnt vmcnt(8) lgkmcnt(1)
	v_mul_f64 v[129:130], v[2:3], v[111:112]
	v_mul_f64 v[111:112], v[4:5], v[111:112]
	v_add_f64 v[11:12], v[11:12], v[133:134]
	v_add_f64 v[123:124], v[125:126], v[127:128]
	s_waitcnt vmcnt(7) lgkmcnt(0)
	v_mul_f64 v[125:126], v[6:7], v[15:16]
	v_mul_f64 v[15:16], v[8:9], v[15:16]
	v_fma_f64 v[127:128], v[4:5], v[109:110], v[129:130]
	v_fma_f64 v[109:110], v[2:3], v[109:110], -v[111:112]
	ds_load_b128 v[2:5], v1 offset:656
	v_add_f64 v[11:12], v[11:12], v[121:122]
	v_add_f64 v[111:112], v[123:124], v[131:132]
	v_fma_f64 v[123:124], v[8:9], v[13:14], v[125:126]
	v_fma_f64 v[15:16], v[6:7], v[13:14], -v[15:16]
	ds_load_b128 v[6:9], v1 offset:672
	v_add_f64 v[109:110], v[11:12], v[109:110]
	scratch_load_b128 v[11:14], off, off offset:64
	s_waitcnt vmcnt(6) lgkmcnt(1)
	v_mul_f64 v[121:122], v[2:3], v[119:120]
	v_mul_f64 v[119:120], v[4:5], v[119:120]
	v_add_f64 v[111:112], v[111:112], v[127:128]
	s_waitcnt lgkmcnt(0)
	v_mul_f64 v[125:126], v[6:7], v[91:92]
	v_mul_f64 v[91:92], v[8:9], v[91:92]
	v_add_f64 v[15:16], v[109:110], v[15:16]
	v_fma_f64 v[121:122], v[4:5], v[117:118], v[121:122]
	v_fma_f64 v[117:118], v[2:3], v[117:118], -v[119:120]
	v_add_f64 v[109:110], v[111:112], v[123:124]
	ds_load_b128 v[2:5], v1 offset:688
	v_fma_f64 v[119:120], v[8:9], v[89:90], v[125:126]
	v_fma_f64 v[89:90], v[6:7], v[89:90], -v[91:92]
	ds_load_b128 v[6:9], v1 offset:704
	s_waitcnt vmcnt(5) lgkmcnt(1)
	v_mul_f64 v[111:112], v[2:3], v[95:96]
	v_mul_f64 v[95:96], v[4:5], v[95:96]
	v_add_f64 v[15:16], v[15:16], v[117:118]
	v_add_f64 v[91:92], v[109:110], v[121:122]
	s_waitcnt vmcnt(4) lgkmcnt(0)
	v_mul_f64 v[109:110], v[6:7], v[99:100]
	v_mul_f64 v[99:100], v[8:9], v[99:100]
	v_fma_f64 v[111:112], v[4:5], v[93:94], v[111:112]
	v_fma_f64 v[93:94], v[2:3], v[93:94], -v[95:96]
	ds_load_b128 v[2:5], v1 offset:720
	v_add_f64 v[15:16], v[15:16], v[89:90]
	v_add_f64 v[89:90], v[91:92], v[119:120]
	s_waitcnt vmcnt(3) lgkmcnt(0)
	v_mul_f64 v[91:92], v[2:3], v[103:104]
	v_mul_f64 v[95:96], v[4:5], v[103:104]
	v_fma_f64 v[103:104], v[8:9], v[97:98], v[109:110]
	v_fma_f64 v[97:98], v[6:7], v[97:98], -v[99:100]
	ds_load_b128 v[6:9], v1 offset:736
	v_add_f64 v[15:16], v[15:16], v[93:94]
	v_add_f64 v[89:90], v[89:90], v[111:112]
	v_fma_f64 v[91:92], v[4:5], v[101:102], v[91:92]
	v_fma_f64 v[95:96], v[2:3], v[101:102], -v[95:96]
	ds_load_b128 v[2:5], v1 offset:752
	s_waitcnt vmcnt(2) lgkmcnt(1)
	v_mul_f64 v[93:94], v[6:7], v[107:108]
	v_mul_f64 v[99:100], v[8:9], v[107:108]
	s_waitcnt vmcnt(1) lgkmcnt(0)
	v_mul_f64 v[101:102], v[4:5], v[115:116]
	v_add_f64 v[15:16], v[15:16], v[97:98]
	v_add_f64 v[89:90], v[89:90], v[103:104]
	v_mul_f64 v[97:98], v[2:3], v[115:116]
	v_fma_f64 v[8:9], v[8:9], v[105:106], v[93:94]
	v_fma_f64 v[6:7], v[6:7], v[105:106], -v[99:100]
	v_fma_f64 v[2:3], v[2:3], v[113:114], -v[101:102]
	v_add_f64 v[15:16], v[15:16], v[95:96]
	v_add_f64 v[89:90], v[89:90], v[91:92]
	v_fma_f64 v[4:5], v[4:5], v[113:114], v[97:98]
	s_delay_alu instid0(VALU_DEP_3) | instskip(NEXT) | instid1(VALU_DEP_3)
	v_add_f64 v[6:7], v[15:16], v[6:7]
	v_add_f64 v[8:9], v[89:90], v[8:9]
	s_delay_alu instid0(VALU_DEP_2) | instskip(NEXT) | instid1(VALU_DEP_2)
	v_add_f64 v[2:3], v[6:7], v[2:3]
	v_add_f64 v[4:5], v[8:9], v[4:5]
	s_waitcnt vmcnt(0)
	s_delay_alu instid0(VALU_DEP_2) | instskip(NEXT) | instid1(VALU_DEP_2)
	v_add_f64 v[2:3], v[11:12], -v[2:3]
	v_add_f64 v[4:5], v[13:14], -v[4:5]
	scratch_store_b128 off, v[2:5], off offset:64
	v_cmpx_lt_u32_e32 3, v65
	s_cbranch_execz .LBB23_151
; %bb.150:
	scratch_load_b128 v[5:8], v68, off
	v_mov_b32_e32 v2, v1
	v_mov_b32_e32 v3, v1
	;; [unrolled: 1-line block ×3, first 2 shown]
	scratch_store_b128 off, v[1:4], off offset:48
	s_waitcnt vmcnt(0)
	ds_store_b128 v10, v[5:8]
.LBB23_151:
	s_or_b32 exec_lo, exec_lo, s2
	s_waitcnt lgkmcnt(0)
	s_waitcnt_vscnt null, 0x0
	s_barrier
	buffer_gl0_inv
	s_clause 0x7
	scratch_load_b128 v[2:5], off, off offset:64
	scratch_load_b128 v[6:9], off, off offset:80
	;; [unrolled: 1-line block ×8, first 2 shown]
	ds_load_b128 v[109:112], v1 offset:448
	ds_load_b128 v[117:120], v1 offset:464
	s_clause 0x1
	scratch_load_b128 v[113:116], off, off offset:192
	scratch_load_b128 v[121:124], off, off offset:208
	s_mov_b32 s2, exec_lo
	s_waitcnt vmcnt(9) lgkmcnt(1)
	v_mul_f64 v[15:16], v[111:112], v[4:5]
	v_mul_f64 v[4:5], v[109:110], v[4:5]
	s_waitcnt vmcnt(8) lgkmcnt(0)
	v_mul_f64 v[125:126], v[117:118], v[8:9]
	v_mul_f64 v[8:9], v[119:120], v[8:9]
	s_delay_alu instid0(VALU_DEP_4) | instskip(NEXT) | instid1(VALU_DEP_4)
	v_fma_f64 v[15:16], v[109:110], v[2:3], -v[15:16]
	v_fma_f64 v[127:128], v[111:112], v[2:3], v[4:5]
	ds_load_b128 v[2:5], v1 offset:480
	scratch_load_b128 v[109:112], off, off offset:224
	v_fma_f64 v[119:120], v[119:120], v[6:7], v[125:126]
	v_fma_f64 v[117:118], v[117:118], v[6:7], -v[8:9]
	ds_load_b128 v[6:9], v1 offset:496
	s_waitcnt vmcnt(8) lgkmcnt(1)
	v_mul_f64 v[129:130], v[2:3], v[13:14]
	v_mul_f64 v[131:132], v[4:5], v[13:14]
	s_waitcnt vmcnt(7) lgkmcnt(0)
	v_mul_f64 v[133:134], v[6:7], v[91:92]
	v_mul_f64 v[91:92], v[8:9], v[91:92]
	v_add_f64 v[125:126], v[15:16], 0
	scratch_load_b128 v[13:16], off, off offset:240
	v_add_f64 v[127:128], v[127:128], 0
	v_fma_f64 v[129:130], v[4:5], v[11:12], v[129:130]
	v_fma_f64 v[11:12], v[2:3], v[11:12], -v[131:132]
	ds_load_b128 v[2:5], v1 offset:512
	v_fma_f64 v[133:134], v[8:9], v[89:90], v[133:134]
	v_fma_f64 v[135:136], v[6:7], v[89:90], -v[91:92]
	ds_load_b128 v[6:9], v1 offset:528
	scratch_load_b128 v[89:92], off, off offset:272
	v_add_f64 v[125:126], v[125:126], v[117:118]
	v_add_f64 v[127:128], v[127:128], v[119:120]
	scratch_load_b128 v[117:120], off, off offset:256
	s_waitcnt vmcnt(9) lgkmcnt(1)
	v_mul_f64 v[131:132], v[2:3], v[95:96]
	v_mul_f64 v[95:96], v[4:5], v[95:96]
	v_add_f64 v[11:12], v[125:126], v[11:12]
	v_add_f64 v[125:126], v[127:128], v[129:130]
	s_waitcnt vmcnt(8) lgkmcnt(0)
	v_mul_f64 v[127:128], v[6:7], v[99:100]
	v_mul_f64 v[99:100], v[8:9], v[99:100]
	v_fma_f64 v[129:130], v[4:5], v[93:94], v[131:132]
	v_fma_f64 v[131:132], v[2:3], v[93:94], -v[95:96]
	scratch_load_b128 v[93:96], off, off offset:288
	ds_load_b128 v[2:5], v1 offset:544
	v_add_f64 v[11:12], v[11:12], v[135:136]
	v_add_f64 v[125:126], v[125:126], v[133:134]
	v_fma_f64 v[127:128], v[8:9], v[97:98], v[127:128]
	v_fma_f64 v[135:136], v[6:7], v[97:98], -v[99:100]
	ds_load_b128 v[6:9], v1 offset:560
	s_waitcnt vmcnt(8) lgkmcnt(1)
	v_mul_f64 v[133:134], v[2:3], v[103:104]
	v_mul_f64 v[103:104], v[4:5], v[103:104]
	scratch_load_b128 v[97:100], off, off offset:304
	v_add_f64 v[11:12], v[11:12], v[131:132]
	v_add_f64 v[125:126], v[125:126], v[129:130]
	s_waitcnt vmcnt(8) lgkmcnt(0)
	v_mul_f64 v[129:130], v[6:7], v[107:108]
	v_mul_f64 v[107:108], v[8:9], v[107:108]
	v_fma_f64 v[131:132], v[4:5], v[101:102], v[133:134]
	v_fma_f64 v[133:134], v[2:3], v[101:102], -v[103:104]
	scratch_load_b128 v[101:104], off, off offset:320
	ds_load_b128 v[2:5], v1 offset:576
	v_add_f64 v[11:12], v[11:12], v[135:136]
	v_add_f64 v[125:126], v[125:126], v[127:128]
	v_fma_f64 v[129:130], v[8:9], v[105:106], v[129:130]
	v_fma_f64 v[135:136], v[6:7], v[105:106], -v[107:108]
	ds_load_b128 v[6:9], v1 offset:592
	s_waitcnt vmcnt(8) lgkmcnt(1)
	v_mul_f64 v[127:128], v[2:3], v[115:116]
	v_mul_f64 v[115:116], v[4:5], v[115:116]
	scratch_load_b128 v[105:108], off, off offset:336
	v_add_f64 v[11:12], v[11:12], v[133:134]
	v_add_f64 v[125:126], v[125:126], v[131:132]
	s_waitcnt vmcnt(8) lgkmcnt(0)
	v_mul_f64 v[131:132], v[6:7], v[123:124]
	v_mul_f64 v[123:124], v[8:9], v[123:124]
	v_fma_f64 v[127:128], v[4:5], v[113:114], v[127:128]
	v_fma_f64 v[133:134], v[2:3], v[113:114], -v[115:116]
	scratch_load_b128 v[113:116], off, off offset:352
	ds_load_b128 v[2:5], v1 offset:608
	v_add_f64 v[11:12], v[11:12], v[135:136]
	v_add_f64 v[125:126], v[125:126], v[129:130]
	v_fma_f64 v[131:132], v[8:9], v[121:122], v[131:132]
	v_fma_f64 v[135:136], v[6:7], v[121:122], -v[123:124]
	ds_load_b128 v[6:9], v1 offset:624
	scratch_load_b128 v[121:124], off, off offset:368
	s_waitcnt vmcnt(9) lgkmcnt(1)
	v_mul_f64 v[129:130], v[2:3], v[111:112]
	v_mul_f64 v[111:112], v[4:5], v[111:112]
	v_add_f64 v[11:12], v[11:12], v[133:134]
	v_add_f64 v[125:126], v[125:126], v[127:128]
	s_waitcnt vmcnt(8) lgkmcnt(0)
	v_mul_f64 v[127:128], v[6:7], v[15:16]
	v_mul_f64 v[15:16], v[8:9], v[15:16]
	v_fma_f64 v[129:130], v[4:5], v[109:110], v[129:130]
	v_fma_f64 v[109:110], v[2:3], v[109:110], -v[111:112]
	ds_load_b128 v[2:5], v1 offset:640
	v_add_f64 v[11:12], v[11:12], v[135:136]
	v_add_f64 v[111:112], v[125:126], v[131:132]
	v_fma_f64 v[127:128], v[8:9], v[13:14], v[127:128]
	v_fma_f64 v[13:14], v[6:7], v[13:14], -v[15:16]
	ds_load_b128 v[6:9], v1 offset:656
	s_waitcnt vmcnt(6) lgkmcnt(1)
	v_mul_f64 v[125:126], v[2:3], v[119:120]
	v_mul_f64 v[119:120], v[4:5], v[119:120]
	v_add_f64 v[11:12], v[11:12], v[109:110]
	v_add_f64 v[15:16], v[111:112], v[129:130]
	s_delay_alu instid0(VALU_DEP_4) | instskip(NEXT) | instid1(VALU_DEP_4)
	v_fma_f64 v[111:112], v[4:5], v[117:118], v[125:126]
	v_fma_f64 v[117:118], v[2:3], v[117:118], -v[119:120]
	ds_load_b128 v[2:5], v1 offset:672
	v_add_f64 v[119:120], v[11:12], v[13:14]
	scratch_load_b128 v[11:14], off, off offset:48
	s_waitcnt lgkmcnt(1)
	v_mul_f64 v[109:110], v[6:7], v[91:92]
	v_mul_f64 v[91:92], v[8:9], v[91:92]
	v_add_f64 v[15:16], v[15:16], v[127:128]
	s_delay_alu instid0(VALU_DEP_3) | instskip(NEXT) | instid1(VALU_DEP_3)
	v_fma_f64 v[109:110], v[8:9], v[89:90], v[109:110]
	v_fma_f64 v[89:90], v[6:7], v[89:90], -v[91:92]
	ds_load_b128 v[6:9], v1 offset:688
	s_waitcnt vmcnt(6) lgkmcnt(1)
	v_mul_f64 v[125:126], v[2:3], v[95:96]
	v_mul_f64 v[95:96], v[4:5], v[95:96]
	v_add_f64 v[91:92], v[119:120], v[117:118]
	v_add_f64 v[15:16], v[15:16], v[111:112]
	s_waitcnt vmcnt(5) lgkmcnt(0)
	v_mul_f64 v[111:112], v[6:7], v[99:100]
	v_mul_f64 v[99:100], v[8:9], v[99:100]
	v_fma_f64 v[117:118], v[4:5], v[93:94], v[125:126]
	v_fma_f64 v[93:94], v[2:3], v[93:94], -v[95:96]
	v_add_f64 v[89:90], v[91:92], v[89:90]
	v_add_f64 v[15:16], v[15:16], v[109:110]
	ds_load_b128 v[2:5], v1 offset:704
	s_waitcnt vmcnt(4) lgkmcnt(0)
	v_mul_f64 v[91:92], v[2:3], v[103:104]
	v_mul_f64 v[95:96], v[4:5], v[103:104]
	v_fma_f64 v[103:104], v[8:9], v[97:98], v[111:112]
	v_fma_f64 v[97:98], v[6:7], v[97:98], -v[99:100]
	ds_load_b128 v[6:9], v1 offset:720
	v_add_f64 v[89:90], v[89:90], v[93:94]
	v_add_f64 v[15:16], v[15:16], v[117:118]
	v_fma_f64 v[91:92], v[4:5], v[101:102], v[91:92]
	v_fma_f64 v[95:96], v[2:3], v[101:102], -v[95:96]
	ds_load_b128 v[2:5], v1 offset:736
	s_waitcnt vmcnt(3) lgkmcnt(1)
	v_mul_f64 v[93:94], v[6:7], v[107:108]
	v_mul_f64 v[99:100], v[8:9], v[107:108]
	v_add_f64 v[89:90], v[89:90], v[97:98]
	v_add_f64 v[15:16], v[15:16], v[103:104]
	s_waitcnt vmcnt(2) lgkmcnt(0)
	v_mul_f64 v[97:98], v[2:3], v[115:116]
	v_mul_f64 v[101:102], v[4:5], v[115:116]
	v_fma_f64 v[93:94], v[8:9], v[105:106], v[93:94]
	v_fma_f64 v[99:100], v[6:7], v[105:106], -v[99:100]
	ds_load_b128 v[6:9], v1 offset:752
	v_add_f64 v[89:90], v[89:90], v[95:96]
	v_add_f64 v[15:16], v[15:16], v[91:92]
	v_fma_f64 v[4:5], v[4:5], v[113:114], v[97:98]
	v_fma_f64 v[1:2], v[2:3], v[113:114], -v[101:102]
	s_waitcnt vmcnt(1) lgkmcnt(0)
	v_mul_f64 v[91:92], v[6:7], v[123:124]
	v_mul_f64 v[95:96], v[8:9], v[123:124]
	v_add_f64 v[89:90], v[89:90], v[99:100]
	v_add_f64 v[15:16], v[15:16], v[93:94]
	s_delay_alu instid0(VALU_DEP_4) | instskip(NEXT) | instid1(VALU_DEP_4)
	v_fma_f64 v[8:9], v[8:9], v[121:122], v[91:92]
	v_fma_f64 v[6:7], v[6:7], v[121:122], -v[95:96]
	s_delay_alu instid0(VALU_DEP_4) | instskip(NEXT) | instid1(VALU_DEP_4)
	v_add_f64 v[1:2], v[89:90], v[1:2]
	v_add_f64 v[3:4], v[15:16], v[4:5]
	s_delay_alu instid0(VALU_DEP_2) | instskip(NEXT) | instid1(VALU_DEP_2)
	v_add_f64 v[1:2], v[1:2], v[6:7]
	v_add_f64 v[3:4], v[3:4], v[8:9]
	s_waitcnt vmcnt(0)
	s_delay_alu instid0(VALU_DEP_2) | instskip(NEXT) | instid1(VALU_DEP_2)
	v_add_f64 v[1:2], v[11:12], -v[1:2]
	v_add_f64 v[3:4], v[13:14], -v[3:4]
	scratch_store_b128 off, v[1:4], off offset:48
	v_cmpx_lt_u32_e32 2, v65
	s_cbranch_execz .LBB23_153
; %bb.152:
	scratch_load_b128 v[1:4], v67, off
	v_mov_b32_e32 v5, 0
	s_delay_alu instid0(VALU_DEP_1)
	v_mov_b32_e32 v6, v5
	v_mov_b32_e32 v7, v5
	v_mov_b32_e32 v8, v5
	scratch_store_b128 off, v[5:8], off offset:32
	s_waitcnt vmcnt(0)
	ds_store_b128 v10, v[1:4]
.LBB23_153:
	s_or_b32 exec_lo, exec_lo, s2
	s_waitcnt lgkmcnt(0)
	s_waitcnt_vscnt null, 0x0
	s_barrier
	buffer_gl0_inv
	s_clause 0x7
	scratch_load_b128 v[2:5], off, off offset:48
	scratch_load_b128 v[6:9], off, off offset:64
	;; [unrolled: 1-line block ×8, first 2 shown]
	v_mov_b32_e32 v1, 0
	s_clause 0x1
	scratch_load_b128 v[113:116], off, off offset:176
	scratch_load_b128 v[121:124], off, off offset:192
	s_mov_b32 s2, exec_lo
	ds_load_b128 v[109:112], v1 offset:432
	ds_load_b128 v[117:120], v1 offset:448
	s_waitcnt vmcnt(9) lgkmcnt(1)
	v_mul_f64 v[15:16], v[111:112], v[4:5]
	v_mul_f64 v[4:5], v[109:110], v[4:5]
	s_waitcnt vmcnt(8) lgkmcnt(0)
	v_mul_f64 v[125:126], v[117:118], v[8:9]
	v_mul_f64 v[8:9], v[119:120], v[8:9]
	s_delay_alu instid0(VALU_DEP_4) | instskip(NEXT) | instid1(VALU_DEP_4)
	v_fma_f64 v[15:16], v[109:110], v[2:3], -v[15:16]
	v_fma_f64 v[127:128], v[111:112], v[2:3], v[4:5]
	ds_load_b128 v[2:5], v1 offset:464
	scratch_load_b128 v[109:112], off, off offset:208
	v_fma_f64 v[119:120], v[119:120], v[6:7], v[125:126]
	v_fma_f64 v[117:118], v[117:118], v[6:7], -v[8:9]
	ds_load_b128 v[6:9], v1 offset:480
	s_waitcnt vmcnt(8) lgkmcnt(1)
	v_mul_f64 v[129:130], v[2:3], v[13:14]
	v_mul_f64 v[131:132], v[4:5], v[13:14]
	s_waitcnt vmcnt(7) lgkmcnt(0)
	v_mul_f64 v[133:134], v[6:7], v[91:92]
	v_mul_f64 v[91:92], v[8:9], v[91:92]
	v_add_f64 v[125:126], v[15:16], 0
	scratch_load_b128 v[13:16], off, off offset:224
	v_add_f64 v[127:128], v[127:128], 0
	v_fma_f64 v[129:130], v[4:5], v[11:12], v[129:130]
	v_fma_f64 v[11:12], v[2:3], v[11:12], -v[131:132]
	ds_load_b128 v[2:5], v1 offset:496
	v_fma_f64 v[133:134], v[8:9], v[89:90], v[133:134]
	v_fma_f64 v[135:136], v[6:7], v[89:90], -v[91:92]
	ds_load_b128 v[6:9], v1 offset:512
	scratch_load_b128 v[89:92], off, off offset:256
	v_add_f64 v[125:126], v[125:126], v[117:118]
	v_add_f64 v[127:128], v[127:128], v[119:120]
	scratch_load_b128 v[117:120], off, off offset:240
	s_waitcnt vmcnt(9) lgkmcnt(1)
	v_mul_f64 v[131:132], v[2:3], v[95:96]
	v_mul_f64 v[95:96], v[4:5], v[95:96]
	v_add_f64 v[11:12], v[125:126], v[11:12]
	v_add_f64 v[125:126], v[127:128], v[129:130]
	s_waitcnt vmcnt(8) lgkmcnt(0)
	v_mul_f64 v[127:128], v[6:7], v[99:100]
	v_mul_f64 v[99:100], v[8:9], v[99:100]
	v_fma_f64 v[129:130], v[4:5], v[93:94], v[131:132]
	v_fma_f64 v[131:132], v[2:3], v[93:94], -v[95:96]
	ds_load_b128 v[2:5], v1 offset:528
	scratch_load_b128 v[93:96], off, off offset:272
	v_add_f64 v[11:12], v[11:12], v[135:136]
	v_add_f64 v[125:126], v[125:126], v[133:134]
	v_fma_f64 v[127:128], v[8:9], v[97:98], v[127:128]
	v_fma_f64 v[135:136], v[6:7], v[97:98], -v[99:100]
	ds_load_b128 v[6:9], v1 offset:544
	s_waitcnt vmcnt(8) lgkmcnt(1)
	v_mul_f64 v[133:134], v[2:3], v[103:104]
	v_mul_f64 v[103:104], v[4:5], v[103:104]
	scratch_load_b128 v[97:100], off, off offset:288
	v_add_f64 v[11:12], v[11:12], v[131:132]
	v_add_f64 v[125:126], v[125:126], v[129:130]
	s_waitcnt vmcnt(8) lgkmcnt(0)
	v_mul_f64 v[129:130], v[6:7], v[107:108]
	v_mul_f64 v[107:108], v[8:9], v[107:108]
	v_fma_f64 v[131:132], v[4:5], v[101:102], v[133:134]
	v_fma_f64 v[133:134], v[2:3], v[101:102], -v[103:104]
	scratch_load_b128 v[101:104], off, off offset:304
	ds_load_b128 v[2:5], v1 offset:560
	v_add_f64 v[11:12], v[11:12], v[135:136]
	v_add_f64 v[125:126], v[125:126], v[127:128]
	v_fma_f64 v[129:130], v[8:9], v[105:106], v[129:130]
	v_fma_f64 v[135:136], v[6:7], v[105:106], -v[107:108]
	ds_load_b128 v[6:9], v1 offset:576
	s_waitcnt vmcnt(8) lgkmcnt(1)
	v_mul_f64 v[127:128], v[2:3], v[115:116]
	v_mul_f64 v[115:116], v[4:5], v[115:116]
	scratch_load_b128 v[105:108], off, off offset:320
	v_add_f64 v[11:12], v[11:12], v[133:134]
	v_add_f64 v[125:126], v[125:126], v[131:132]
	s_waitcnt vmcnt(8) lgkmcnt(0)
	v_mul_f64 v[131:132], v[6:7], v[123:124]
	v_mul_f64 v[123:124], v[8:9], v[123:124]
	v_fma_f64 v[127:128], v[4:5], v[113:114], v[127:128]
	v_fma_f64 v[133:134], v[2:3], v[113:114], -v[115:116]
	scratch_load_b128 v[113:116], off, off offset:336
	ds_load_b128 v[2:5], v1 offset:592
	v_add_f64 v[11:12], v[11:12], v[135:136]
	v_add_f64 v[125:126], v[125:126], v[129:130]
	v_fma_f64 v[131:132], v[8:9], v[121:122], v[131:132]
	v_fma_f64 v[135:136], v[6:7], v[121:122], -v[123:124]
	ds_load_b128 v[6:9], v1 offset:608
	scratch_load_b128 v[121:124], off, off offset:352
	s_waitcnt vmcnt(9) lgkmcnt(1)
	v_mul_f64 v[129:130], v[2:3], v[111:112]
	v_mul_f64 v[111:112], v[4:5], v[111:112]
	v_add_f64 v[11:12], v[11:12], v[133:134]
	v_add_f64 v[125:126], v[125:126], v[127:128]
	s_waitcnt vmcnt(8) lgkmcnt(0)
	v_mul_f64 v[127:128], v[6:7], v[15:16]
	v_mul_f64 v[15:16], v[8:9], v[15:16]
	v_fma_f64 v[129:130], v[4:5], v[109:110], v[129:130]
	v_fma_f64 v[133:134], v[2:3], v[109:110], -v[111:112]
	scratch_load_b128 v[109:112], off, off offset:368
	ds_load_b128 v[2:5], v1 offset:624
	v_add_f64 v[11:12], v[11:12], v[135:136]
	v_add_f64 v[125:126], v[125:126], v[131:132]
	v_fma_f64 v[127:128], v[8:9], v[13:14], v[127:128]
	v_fma_f64 v[13:14], v[6:7], v[13:14], -v[15:16]
	ds_load_b128 v[6:9], v1 offset:640
	s_waitcnt vmcnt(7) lgkmcnt(1)
	v_mul_f64 v[131:132], v[2:3], v[119:120]
	v_mul_f64 v[119:120], v[4:5], v[119:120]
	v_add_f64 v[11:12], v[11:12], v[133:134]
	v_add_f64 v[15:16], v[125:126], v[129:130]
	s_waitcnt lgkmcnt(0)
	v_mul_f64 v[125:126], v[6:7], v[91:92]
	v_mul_f64 v[91:92], v[8:9], v[91:92]
	v_fma_f64 v[129:130], v[4:5], v[117:118], v[131:132]
	v_fma_f64 v[117:118], v[2:3], v[117:118], -v[119:120]
	ds_load_b128 v[2:5], v1 offset:656
	v_add_f64 v[11:12], v[11:12], v[13:14]
	v_add_f64 v[13:14], v[15:16], v[127:128]
	v_fma_f64 v[119:120], v[8:9], v[89:90], v[125:126]
	v_fma_f64 v[89:90], v[6:7], v[89:90], -v[91:92]
	ds_load_b128 v[6:9], v1 offset:672
	s_waitcnt vmcnt(5) lgkmcnt(0)
	v_mul_f64 v[125:126], v[6:7], v[99:100]
	v_mul_f64 v[99:100], v[8:9], v[99:100]
	v_add_f64 v[91:92], v[11:12], v[117:118]
	v_add_f64 v[117:118], v[13:14], v[129:130]
	scratch_load_b128 v[11:14], off, off offset:32
	v_mul_f64 v[15:16], v[2:3], v[95:96]
	v_mul_f64 v[95:96], v[4:5], v[95:96]
	v_add_f64 v[89:90], v[91:92], v[89:90]
	v_add_f64 v[91:92], v[117:118], v[119:120]
	v_fma_f64 v[117:118], v[8:9], v[97:98], v[125:126]
	v_fma_f64 v[15:16], v[4:5], v[93:94], v[15:16]
	v_fma_f64 v[93:94], v[2:3], v[93:94], -v[95:96]
	ds_load_b128 v[2:5], v1 offset:688
	v_fma_f64 v[97:98], v[6:7], v[97:98], -v[99:100]
	ds_load_b128 v[6:9], v1 offset:704
	s_waitcnt vmcnt(5) lgkmcnt(1)
	v_mul_f64 v[95:96], v[2:3], v[103:104]
	v_mul_f64 v[103:104], v[4:5], v[103:104]
	v_add_f64 v[15:16], v[91:92], v[15:16]
	v_add_f64 v[89:90], v[89:90], v[93:94]
	s_waitcnt vmcnt(4) lgkmcnt(0)
	v_mul_f64 v[91:92], v[6:7], v[107:108]
	v_mul_f64 v[93:94], v[8:9], v[107:108]
	v_fma_f64 v[95:96], v[4:5], v[101:102], v[95:96]
	v_fma_f64 v[99:100], v[2:3], v[101:102], -v[103:104]
	ds_load_b128 v[2:5], v1 offset:720
	v_add_f64 v[15:16], v[15:16], v[117:118]
	v_add_f64 v[89:90], v[89:90], v[97:98]
	v_fma_f64 v[91:92], v[8:9], v[105:106], v[91:92]
	v_fma_f64 v[93:94], v[6:7], v[105:106], -v[93:94]
	ds_load_b128 v[6:9], v1 offset:736
	s_waitcnt vmcnt(3) lgkmcnt(1)
	v_mul_f64 v[97:98], v[2:3], v[115:116]
	v_mul_f64 v[101:102], v[4:5], v[115:116]
	v_add_f64 v[15:16], v[15:16], v[95:96]
	v_add_f64 v[89:90], v[89:90], v[99:100]
	s_waitcnt vmcnt(2) lgkmcnt(0)
	v_mul_f64 v[95:96], v[6:7], v[123:124]
	v_mul_f64 v[99:100], v[8:9], v[123:124]
	v_fma_f64 v[97:98], v[4:5], v[113:114], v[97:98]
	v_fma_f64 v[101:102], v[2:3], v[113:114], -v[101:102]
	ds_load_b128 v[2:5], v1 offset:752
	v_add_f64 v[15:16], v[15:16], v[91:92]
	v_add_f64 v[89:90], v[89:90], v[93:94]
	s_waitcnt vmcnt(1) lgkmcnt(0)
	v_mul_f64 v[91:92], v[2:3], v[111:112]
	v_mul_f64 v[93:94], v[4:5], v[111:112]
	v_fma_f64 v[8:9], v[8:9], v[121:122], v[95:96]
	v_fma_f64 v[6:7], v[6:7], v[121:122], -v[99:100]
	v_add_f64 v[15:16], v[15:16], v[97:98]
	v_add_f64 v[89:90], v[89:90], v[101:102]
	v_fma_f64 v[4:5], v[4:5], v[109:110], v[91:92]
	v_fma_f64 v[2:3], v[2:3], v[109:110], -v[93:94]
	s_delay_alu instid0(VALU_DEP_4) | instskip(NEXT) | instid1(VALU_DEP_4)
	v_add_f64 v[8:9], v[15:16], v[8:9]
	v_add_f64 v[6:7], v[89:90], v[6:7]
	s_delay_alu instid0(VALU_DEP_2) | instskip(NEXT) | instid1(VALU_DEP_2)
	v_add_f64 v[4:5], v[8:9], v[4:5]
	v_add_f64 v[2:3], v[6:7], v[2:3]
	s_waitcnt vmcnt(0)
	s_delay_alu instid0(VALU_DEP_2) | instskip(NEXT) | instid1(VALU_DEP_2)
	v_add_f64 v[4:5], v[13:14], -v[4:5]
	v_add_f64 v[2:3], v[11:12], -v[2:3]
	scratch_store_b128 off, v[2:5], off offset:32
	v_cmpx_lt_u32_e32 1, v65
	s_cbranch_execz .LBB23_155
; %bb.154:
	scratch_load_b128 v[5:8], v69, off
	v_mov_b32_e32 v2, v1
	v_mov_b32_e32 v3, v1
	;; [unrolled: 1-line block ×3, first 2 shown]
	scratch_store_b128 off, v[1:4], off offset:16
	s_waitcnt vmcnt(0)
	ds_store_b128 v10, v[5:8]
.LBB23_155:
	s_or_b32 exec_lo, exec_lo, s2
	s_waitcnt lgkmcnt(0)
	s_waitcnt_vscnt null, 0x0
	s_barrier
	buffer_gl0_inv
	s_clause 0x7
	scratch_load_b128 v[2:5], off, off offset:32
	scratch_load_b128 v[6:9], off, off offset:48
	;; [unrolled: 1-line block ×8, first 2 shown]
	ds_load_b128 v[109:112], v1 offset:416
	ds_load_b128 v[117:120], v1 offset:432
	s_clause 0x1
	scratch_load_b128 v[113:116], off, off offset:160
	scratch_load_b128 v[121:124], off, off offset:176
	s_mov_b32 s2, exec_lo
	s_waitcnt vmcnt(9) lgkmcnt(1)
	v_mul_f64 v[15:16], v[111:112], v[4:5]
	v_mul_f64 v[4:5], v[109:110], v[4:5]
	s_waitcnt vmcnt(8) lgkmcnt(0)
	v_mul_f64 v[125:126], v[117:118], v[8:9]
	v_mul_f64 v[8:9], v[119:120], v[8:9]
	s_delay_alu instid0(VALU_DEP_4) | instskip(NEXT) | instid1(VALU_DEP_4)
	v_fma_f64 v[15:16], v[109:110], v[2:3], -v[15:16]
	v_fma_f64 v[127:128], v[111:112], v[2:3], v[4:5]
	ds_load_b128 v[2:5], v1 offset:448
	scratch_load_b128 v[109:112], off, off offset:192
	v_fma_f64 v[119:120], v[119:120], v[6:7], v[125:126]
	v_fma_f64 v[117:118], v[117:118], v[6:7], -v[8:9]
	ds_load_b128 v[6:9], v1 offset:464
	s_waitcnt vmcnt(8) lgkmcnt(1)
	v_mul_f64 v[129:130], v[2:3], v[13:14]
	v_mul_f64 v[131:132], v[4:5], v[13:14]
	s_waitcnt vmcnt(7) lgkmcnt(0)
	v_mul_f64 v[133:134], v[6:7], v[91:92]
	v_mul_f64 v[91:92], v[8:9], v[91:92]
	v_add_f64 v[125:126], v[15:16], 0
	scratch_load_b128 v[13:16], off, off offset:208
	v_add_f64 v[127:128], v[127:128], 0
	v_fma_f64 v[129:130], v[4:5], v[11:12], v[129:130]
	v_fma_f64 v[11:12], v[2:3], v[11:12], -v[131:132]
	ds_load_b128 v[2:5], v1 offset:480
	v_fma_f64 v[133:134], v[8:9], v[89:90], v[133:134]
	v_fma_f64 v[135:136], v[6:7], v[89:90], -v[91:92]
	ds_load_b128 v[6:9], v1 offset:496
	scratch_load_b128 v[89:92], off, off offset:240
	v_add_f64 v[125:126], v[125:126], v[117:118]
	v_add_f64 v[127:128], v[127:128], v[119:120]
	scratch_load_b128 v[117:120], off, off offset:224
	s_waitcnt vmcnt(9) lgkmcnt(1)
	v_mul_f64 v[131:132], v[2:3], v[95:96]
	v_mul_f64 v[95:96], v[4:5], v[95:96]
	v_add_f64 v[11:12], v[125:126], v[11:12]
	v_add_f64 v[125:126], v[127:128], v[129:130]
	s_waitcnt vmcnt(8) lgkmcnt(0)
	v_mul_f64 v[127:128], v[6:7], v[99:100]
	v_mul_f64 v[99:100], v[8:9], v[99:100]
	v_fma_f64 v[129:130], v[4:5], v[93:94], v[131:132]
	v_fma_f64 v[131:132], v[2:3], v[93:94], -v[95:96]
	ds_load_b128 v[2:5], v1 offset:512
	scratch_load_b128 v[93:96], off, off offset:256
	v_add_f64 v[11:12], v[11:12], v[135:136]
	v_add_f64 v[125:126], v[125:126], v[133:134]
	v_fma_f64 v[127:128], v[8:9], v[97:98], v[127:128]
	v_fma_f64 v[135:136], v[6:7], v[97:98], -v[99:100]
	ds_load_b128 v[6:9], v1 offset:528
	s_waitcnt vmcnt(8) lgkmcnt(1)
	v_mul_f64 v[133:134], v[2:3], v[103:104]
	v_mul_f64 v[103:104], v[4:5], v[103:104]
	scratch_load_b128 v[97:100], off, off offset:272
	v_add_f64 v[11:12], v[11:12], v[131:132]
	v_add_f64 v[125:126], v[125:126], v[129:130]
	s_waitcnt vmcnt(8) lgkmcnt(0)
	v_mul_f64 v[129:130], v[6:7], v[107:108]
	v_mul_f64 v[107:108], v[8:9], v[107:108]
	v_fma_f64 v[131:132], v[4:5], v[101:102], v[133:134]
	v_fma_f64 v[133:134], v[2:3], v[101:102], -v[103:104]
	ds_load_b128 v[2:5], v1 offset:544
	scratch_load_b128 v[101:104], off, off offset:288
	v_add_f64 v[11:12], v[11:12], v[135:136]
	v_add_f64 v[125:126], v[125:126], v[127:128]
	v_fma_f64 v[129:130], v[8:9], v[105:106], v[129:130]
	v_fma_f64 v[135:136], v[6:7], v[105:106], -v[107:108]
	ds_load_b128 v[6:9], v1 offset:560
	s_waitcnt vmcnt(8) lgkmcnt(1)
	v_mul_f64 v[127:128], v[2:3], v[115:116]
	v_mul_f64 v[115:116], v[4:5], v[115:116]
	scratch_load_b128 v[105:108], off, off offset:304
	v_add_f64 v[11:12], v[11:12], v[133:134]
	v_add_f64 v[125:126], v[125:126], v[131:132]
	s_waitcnt vmcnt(8) lgkmcnt(0)
	v_mul_f64 v[131:132], v[6:7], v[123:124]
	v_mul_f64 v[123:124], v[8:9], v[123:124]
	v_fma_f64 v[127:128], v[4:5], v[113:114], v[127:128]
	v_fma_f64 v[133:134], v[2:3], v[113:114], -v[115:116]
	scratch_load_b128 v[113:116], off, off offset:320
	ds_load_b128 v[2:5], v1 offset:576
	v_add_f64 v[11:12], v[11:12], v[135:136]
	v_add_f64 v[125:126], v[125:126], v[129:130]
	v_fma_f64 v[131:132], v[8:9], v[121:122], v[131:132]
	v_fma_f64 v[135:136], v[6:7], v[121:122], -v[123:124]
	ds_load_b128 v[6:9], v1 offset:592
	scratch_load_b128 v[121:124], off, off offset:336
	s_waitcnt vmcnt(9) lgkmcnt(1)
	v_mul_f64 v[129:130], v[2:3], v[111:112]
	v_mul_f64 v[111:112], v[4:5], v[111:112]
	v_add_f64 v[11:12], v[11:12], v[133:134]
	v_add_f64 v[125:126], v[125:126], v[127:128]
	s_waitcnt vmcnt(8) lgkmcnt(0)
	v_mul_f64 v[127:128], v[6:7], v[15:16]
	v_mul_f64 v[15:16], v[8:9], v[15:16]
	v_fma_f64 v[129:130], v[4:5], v[109:110], v[129:130]
	v_fma_f64 v[133:134], v[2:3], v[109:110], -v[111:112]
	scratch_load_b128 v[109:112], off, off offset:352
	ds_load_b128 v[2:5], v1 offset:608
	v_add_f64 v[11:12], v[11:12], v[135:136]
	v_add_f64 v[125:126], v[125:126], v[131:132]
	v_fma_f64 v[127:128], v[8:9], v[13:14], v[127:128]
	v_fma_f64 v[15:16], v[6:7], v[13:14], -v[15:16]
	ds_load_b128 v[6:9], v1 offset:624
	s_waitcnt vmcnt(7) lgkmcnt(1)
	v_mul_f64 v[131:132], v[2:3], v[119:120]
	v_mul_f64 v[119:120], v[4:5], v[119:120]
	v_add_f64 v[133:134], v[11:12], v[133:134]
	scratch_load_b128 v[11:14], off, off offset:368
	v_add_f64 v[125:126], v[125:126], v[129:130]
	s_waitcnt lgkmcnt(0)
	v_mul_f64 v[129:130], v[6:7], v[91:92]
	v_mul_f64 v[91:92], v[8:9], v[91:92]
	v_fma_f64 v[131:132], v[4:5], v[117:118], v[131:132]
	v_fma_f64 v[117:118], v[2:3], v[117:118], -v[119:120]
	ds_load_b128 v[2:5], v1 offset:640
	v_add_f64 v[15:16], v[133:134], v[15:16]
	v_add_f64 v[119:120], v[125:126], v[127:128]
	v_fma_f64 v[127:128], v[8:9], v[89:90], v[129:130]
	v_fma_f64 v[89:90], v[6:7], v[89:90], -v[91:92]
	ds_load_b128 v[6:9], v1 offset:656
	s_waitcnt vmcnt(7) lgkmcnt(1)
	v_mul_f64 v[125:126], v[2:3], v[95:96]
	v_mul_f64 v[95:96], v[4:5], v[95:96]
	v_add_f64 v[15:16], v[15:16], v[117:118]
	v_add_f64 v[91:92], v[119:120], v[131:132]
	s_delay_alu instid0(VALU_DEP_4) | instskip(NEXT) | instid1(VALU_DEP_4)
	v_fma_f64 v[119:120], v[4:5], v[93:94], v[125:126]
	v_fma_f64 v[93:94], v[2:3], v[93:94], -v[95:96]
	ds_load_b128 v[2:5], v1 offset:672
	v_add_f64 v[15:16], v[15:16], v[89:90]
	v_add_f64 v[95:96], v[91:92], v[127:128]
	scratch_load_b128 v[89:92], off, off offset:16
	s_waitcnt vmcnt(7) lgkmcnt(1)
	v_mul_f64 v[117:118], v[6:7], v[99:100]
	v_mul_f64 v[99:100], v[8:9], v[99:100]
	v_add_f64 v[15:16], v[15:16], v[93:94]
	v_add_f64 v[93:94], v[95:96], v[119:120]
	s_delay_alu instid0(VALU_DEP_4) | instskip(NEXT) | instid1(VALU_DEP_4)
	v_fma_f64 v[117:118], v[8:9], v[97:98], v[117:118]
	v_fma_f64 v[97:98], v[6:7], v[97:98], -v[99:100]
	ds_load_b128 v[6:9], v1 offset:688
	s_waitcnt vmcnt(6) lgkmcnt(1)
	v_mul_f64 v[125:126], v[2:3], v[103:104]
	v_mul_f64 v[103:104], v[4:5], v[103:104]
	s_waitcnt vmcnt(5) lgkmcnt(0)
	v_mul_f64 v[95:96], v[6:7], v[107:108]
	v_mul_f64 v[99:100], v[8:9], v[107:108]
	v_add_f64 v[93:94], v[93:94], v[117:118]
	v_add_f64 v[15:16], v[15:16], v[97:98]
	v_fma_f64 v[107:108], v[4:5], v[101:102], v[125:126]
	v_fma_f64 v[101:102], v[2:3], v[101:102], -v[103:104]
	ds_load_b128 v[2:5], v1 offset:704
	v_fma_f64 v[95:96], v[8:9], v[105:106], v[95:96]
	v_fma_f64 v[99:100], v[6:7], v[105:106], -v[99:100]
	ds_load_b128 v[6:9], v1 offset:720
	s_waitcnt vmcnt(4) lgkmcnt(1)
	v_mul_f64 v[97:98], v[2:3], v[115:116]
	v_mul_f64 v[103:104], v[4:5], v[115:116]
	v_add_f64 v[93:94], v[93:94], v[107:108]
	v_add_f64 v[15:16], v[15:16], v[101:102]
	s_waitcnt vmcnt(3) lgkmcnt(0)
	v_mul_f64 v[101:102], v[6:7], v[123:124]
	v_mul_f64 v[105:106], v[8:9], v[123:124]
	v_fma_f64 v[97:98], v[4:5], v[113:114], v[97:98]
	v_fma_f64 v[103:104], v[2:3], v[113:114], -v[103:104]
	ds_load_b128 v[2:5], v1 offset:736
	v_add_f64 v[93:94], v[93:94], v[95:96]
	v_add_f64 v[15:16], v[15:16], v[99:100]
	v_fma_f64 v[101:102], v[8:9], v[121:122], v[101:102]
	v_fma_f64 v[105:106], v[6:7], v[121:122], -v[105:106]
	ds_load_b128 v[6:9], v1 offset:752
	s_waitcnt vmcnt(2) lgkmcnt(1)
	v_mul_f64 v[95:96], v[2:3], v[111:112]
	v_mul_f64 v[99:100], v[4:5], v[111:112]
	v_add_f64 v[93:94], v[93:94], v[97:98]
	v_add_f64 v[15:16], v[15:16], v[103:104]
	s_delay_alu instid0(VALU_DEP_4) | instskip(NEXT) | instid1(VALU_DEP_4)
	v_fma_f64 v[4:5], v[4:5], v[109:110], v[95:96]
	v_fma_f64 v[1:2], v[2:3], v[109:110], -v[99:100]
	s_waitcnt vmcnt(1) lgkmcnt(0)
	v_mul_f64 v[97:98], v[6:7], v[13:14]
	v_mul_f64 v[13:14], v[8:9], v[13:14]
	v_add_f64 v[93:94], v[93:94], v[101:102]
	v_add_f64 v[15:16], v[15:16], v[105:106]
	s_delay_alu instid0(VALU_DEP_4) | instskip(NEXT) | instid1(VALU_DEP_4)
	v_fma_f64 v[8:9], v[8:9], v[11:12], v[97:98]
	v_fma_f64 v[6:7], v[6:7], v[11:12], -v[13:14]
	s_delay_alu instid0(VALU_DEP_4) | instskip(NEXT) | instid1(VALU_DEP_4)
	v_add_f64 v[3:4], v[93:94], v[4:5]
	v_add_f64 v[1:2], v[15:16], v[1:2]
	s_delay_alu instid0(VALU_DEP_2) | instskip(NEXT) | instid1(VALU_DEP_2)
	v_add_f64 v[3:4], v[3:4], v[8:9]
	v_add_f64 v[1:2], v[1:2], v[6:7]
	s_waitcnt vmcnt(0)
	s_delay_alu instid0(VALU_DEP_2) | instskip(NEXT) | instid1(VALU_DEP_2)
	v_add_f64 v[3:4], v[91:92], -v[3:4]
	v_add_f64 v[1:2], v[89:90], -v[1:2]
	scratch_store_b128 off, v[1:4], off offset:16
	v_cmpx_ne_u32_e32 0, v65
	s_cbranch_execz .LBB23_157
; %bb.156:
	scratch_load_b128 v[1:4], off, off
	v_mov_b32_e32 v5, 0
	s_delay_alu instid0(VALU_DEP_1)
	v_mov_b32_e32 v6, v5
	v_mov_b32_e32 v7, v5
	;; [unrolled: 1-line block ×3, first 2 shown]
	scratch_store_b128 off, v[5:8], off
	s_waitcnt vmcnt(0)
	ds_store_b128 v10, v[1:4]
.LBB23_157:
	s_or_b32 exec_lo, exec_lo, s2
	s_waitcnt lgkmcnt(0)
	s_waitcnt_vscnt null, 0x0
	s_barrier
	buffer_gl0_inv
	s_clause 0x7
	scratch_load_b128 v[1:4], off, off offset:16
	scratch_load_b128 v[5:8], off, off offset:32
	;; [unrolled: 1-line block ×8, first 2 shown]
	v_mov_b32_e32 v89, 0
	s_and_b32 vcc_lo, exec_lo, s20
	ds_load_b128 v[106:109], v89 offset:400
	s_clause 0x1
	scratch_load_b128 v[110:113], off, off offset:144
	scratch_load_b128 v[114:117], off, off
	ds_load_b128 v[118:121], v89 offset:416
	scratch_load_b128 v[122:125], off, off offset:160
	s_waitcnt vmcnt(10) lgkmcnt(1)
	v_mul_f64 v[126:127], v[108:109], v[3:4]
	v_mul_f64 v[3:4], v[106:107], v[3:4]
	s_delay_alu instid0(VALU_DEP_2) | instskip(NEXT) | instid1(VALU_DEP_2)
	v_fma_f64 v[132:133], v[106:107], v[1:2], -v[126:127]
	v_fma_f64 v[134:135], v[108:109], v[1:2], v[3:4]
	scratch_load_b128 v[106:109], off, off offset:176
	ds_load_b128 v[1:4], v89 offset:432
	s_waitcnt vmcnt(10) lgkmcnt(1)
	v_mul_f64 v[130:131], v[118:119], v[7:8]
	v_mul_f64 v[7:8], v[120:121], v[7:8]
	ds_load_b128 v[126:129], v89 offset:448
	s_waitcnt vmcnt(9) lgkmcnt(1)
	v_mul_f64 v[136:137], v[1:2], v[11:12]
	v_mul_f64 v[11:12], v[3:4], v[11:12]
	v_fma_f64 v[120:121], v[120:121], v[5:6], v[130:131]
	v_fma_f64 v[118:119], v[118:119], v[5:6], -v[7:8]
	v_add_f64 v[130:131], v[132:133], 0
	v_add_f64 v[132:133], v[134:135], 0
	scratch_load_b128 v[5:8], off, off offset:192
	v_fma_f64 v[136:137], v[3:4], v[9:10], v[136:137]
	v_fma_f64 v[138:139], v[1:2], v[9:10], -v[11:12]
	scratch_load_b128 v[9:12], off, off offset:208
	ds_load_b128 v[1:4], v89 offset:464
	s_waitcnt vmcnt(10) lgkmcnt(1)
	v_mul_f64 v[134:135], v[126:127], v[15:16]
	v_mul_f64 v[15:16], v[128:129], v[15:16]
	v_add_f64 v[130:131], v[130:131], v[118:119]
	v_add_f64 v[132:133], v[132:133], v[120:121]
	s_waitcnt vmcnt(9) lgkmcnt(0)
	v_mul_f64 v[140:141], v[1:2], v[92:93]
	v_mul_f64 v[92:93], v[3:4], v[92:93]
	ds_load_b128 v[118:121], v89 offset:480
	v_fma_f64 v[128:129], v[128:129], v[13:14], v[134:135]
	v_fma_f64 v[126:127], v[126:127], v[13:14], -v[15:16]
	scratch_load_b128 v[13:16], off, off offset:224
	v_add_f64 v[130:131], v[130:131], v[138:139]
	v_add_f64 v[132:133], v[132:133], v[136:137]
	v_fma_f64 v[136:137], v[3:4], v[90:91], v[140:141]
	v_fma_f64 v[138:139], v[1:2], v[90:91], -v[92:93]
	scratch_load_b128 v[90:93], off, off offset:240
	ds_load_b128 v[1:4], v89 offset:496
	s_waitcnt vmcnt(10) lgkmcnt(1)
	v_mul_f64 v[134:135], v[118:119], v[96:97]
	v_mul_f64 v[96:97], v[120:121], v[96:97]
	s_waitcnt vmcnt(9) lgkmcnt(0)
	v_mul_f64 v[140:141], v[1:2], v[100:101]
	v_mul_f64 v[100:101], v[3:4], v[100:101]
	v_add_f64 v[130:131], v[130:131], v[126:127]
	v_add_f64 v[132:133], v[132:133], v[128:129]
	ds_load_b128 v[126:129], v89 offset:512
	v_fma_f64 v[120:121], v[120:121], v[94:95], v[134:135]
	v_fma_f64 v[118:119], v[118:119], v[94:95], -v[96:97]
	scratch_load_b128 v[94:97], off, off offset:256
	v_add_f64 v[130:131], v[130:131], v[138:139]
	v_add_f64 v[132:133], v[132:133], v[136:137]
	v_fma_f64 v[136:137], v[3:4], v[98:99], v[140:141]
	v_fma_f64 v[138:139], v[1:2], v[98:99], -v[100:101]
	scratch_load_b128 v[98:101], off, off offset:272
	ds_load_b128 v[1:4], v89 offset:528
	s_waitcnt vmcnt(10) lgkmcnt(1)
	v_mul_f64 v[134:135], v[126:127], v[104:105]
	v_mul_f64 v[104:105], v[128:129], v[104:105]
	s_waitcnt vmcnt(9) lgkmcnt(0)
	v_mul_f64 v[140:141], v[1:2], v[112:113]
	v_mul_f64 v[112:113], v[3:4], v[112:113]
	v_add_f64 v[130:131], v[130:131], v[118:119]
	v_add_f64 v[132:133], v[132:133], v[120:121]
	ds_load_b128 v[118:121], v89 offset:544
	v_fma_f64 v[128:129], v[128:129], v[102:103], v[134:135]
	v_fma_f64 v[126:127], v[126:127], v[102:103], -v[104:105]
	scratch_load_b128 v[102:105], off, off offset:288
	v_add_f64 v[130:131], v[130:131], v[138:139]
	v_add_f64 v[132:133], v[132:133], v[136:137]
	v_fma_f64 v[138:139], v[3:4], v[110:111], v[140:141]
	v_fma_f64 v[140:141], v[1:2], v[110:111], -v[112:113]
	scratch_load_b128 v[110:113], off, off offset:304
	ds_load_b128 v[1:4], v89 offset:560
	s_waitcnt vmcnt(9) lgkmcnt(1)
	v_mul_f64 v[134:135], v[118:119], v[124:125]
	v_mul_f64 v[136:137], v[120:121], v[124:125]
	v_add_f64 v[130:131], v[130:131], v[126:127]
	v_add_f64 v[128:129], v[132:133], v[128:129]
	ds_load_b128 v[124:127], v89 offset:576
	v_fma_f64 v[134:135], v[120:121], v[122:123], v[134:135]
	v_fma_f64 v[122:123], v[118:119], v[122:123], -v[136:137]
	scratch_load_b128 v[118:121], off, off offset:320
	s_waitcnt vmcnt(9) lgkmcnt(1)
	v_mul_f64 v[132:133], v[1:2], v[108:109]
	v_mul_f64 v[108:109], v[3:4], v[108:109]
	v_add_f64 v[130:131], v[130:131], v[140:141]
	v_add_f64 v[128:129], v[128:129], v[138:139]
	s_delay_alu instid0(VALU_DEP_4) | instskip(NEXT) | instid1(VALU_DEP_4)
	v_fma_f64 v[132:133], v[3:4], v[106:107], v[132:133]
	v_fma_f64 v[138:139], v[1:2], v[106:107], -v[108:109]
	scratch_load_b128 v[106:109], off, off offset:336
	ds_load_b128 v[1:4], v89 offset:592
	s_waitcnt vmcnt(9) lgkmcnt(1)
	v_mul_f64 v[136:137], v[124:125], v[7:8]
	v_mul_f64 v[7:8], v[126:127], v[7:8]
	s_waitcnt vmcnt(8) lgkmcnt(0)
	v_mul_f64 v[140:141], v[1:2], v[11:12]
	v_mul_f64 v[11:12], v[3:4], v[11:12]
	v_add_f64 v[122:123], v[130:131], v[122:123]
	v_add_f64 v[134:135], v[128:129], v[134:135]
	ds_load_b128 v[128:131], v89 offset:608
	v_fma_f64 v[126:127], v[126:127], v[5:6], v[136:137]
	v_fma_f64 v[124:125], v[124:125], v[5:6], -v[7:8]
	scratch_load_b128 v[5:8], off, off offset:352
	v_fma_f64 v[136:137], v[3:4], v[9:10], v[140:141]
	v_add_f64 v[122:123], v[122:123], v[138:139]
	v_add_f64 v[132:133], v[134:135], v[132:133]
	v_fma_f64 v[138:139], v[1:2], v[9:10], -v[11:12]
	scratch_load_b128 v[9:12], off, off offset:368
	ds_load_b128 v[1:4], v89 offset:624
	s_waitcnt vmcnt(9) lgkmcnt(1)
	v_mul_f64 v[134:135], v[128:129], v[15:16]
	v_mul_f64 v[15:16], v[130:131], v[15:16]
	v_add_f64 v[140:141], v[122:123], v[124:125]
	v_add_f64 v[126:127], v[132:133], v[126:127]
	s_waitcnt vmcnt(8) lgkmcnt(0)
	v_mul_f64 v[132:133], v[1:2], v[92:93]
	v_mul_f64 v[92:93], v[3:4], v[92:93]
	ds_load_b128 v[122:125], v89 offset:640
	v_fma_f64 v[130:131], v[130:131], v[13:14], v[134:135]
	v_fma_f64 v[13:14], v[128:129], v[13:14], -v[15:16]
	s_waitcnt vmcnt(7) lgkmcnt(0)
	v_mul_f64 v[128:129], v[122:123], v[96:97]
	v_mul_f64 v[96:97], v[124:125], v[96:97]
	v_add_f64 v[15:16], v[140:141], v[138:139]
	v_add_f64 v[126:127], v[126:127], v[136:137]
	v_fma_f64 v[132:133], v[3:4], v[90:91], v[132:133]
	v_fma_f64 v[90:91], v[1:2], v[90:91], -v[92:93]
	v_fma_f64 v[124:125], v[124:125], v[94:95], v[128:129]
	v_fma_f64 v[94:95], v[122:123], v[94:95], -v[96:97]
	v_add_f64 v[92:93], v[15:16], v[13:14]
	v_add_f64 v[126:127], v[126:127], v[130:131]
	ds_load_b128 v[1:4], v89 offset:656
	ds_load_b128 v[13:16], v89 offset:672
	s_waitcnt vmcnt(6) lgkmcnt(1)
	v_mul_f64 v[130:131], v[1:2], v[100:101]
	v_mul_f64 v[100:101], v[3:4], v[100:101]
	s_waitcnt vmcnt(5) lgkmcnt(0)
	v_mul_f64 v[96:97], v[13:14], v[104:105]
	v_mul_f64 v[104:105], v[15:16], v[104:105]
	v_add_f64 v[90:91], v[92:93], v[90:91]
	v_add_f64 v[92:93], v[126:127], v[132:133]
	v_fma_f64 v[122:123], v[3:4], v[98:99], v[130:131]
	v_fma_f64 v[98:99], v[1:2], v[98:99], -v[100:101]
	v_fma_f64 v[15:16], v[15:16], v[102:103], v[96:97]
	v_fma_f64 v[13:14], v[13:14], v[102:103], -v[104:105]
	v_add_f64 v[94:95], v[90:91], v[94:95]
	v_add_f64 v[100:101], v[92:93], v[124:125]
	ds_load_b128 v[1:4], v89 offset:688
	ds_load_b128 v[90:93], v89 offset:704
	s_waitcnt vmcnt(4) lgkmcnt(1)
	v_mul_f64 v[124:125], v[1:2], v[112:113]
	v_mul_f64 v[112:113], v[3:4], v[112:113]
	v_add_f64 v[94:95], v[94:95], v[98:99]
	v_add_f64 v[96:97], v[100:101], v[122:123]
	s_waitcnt vmcnt(3) lgkmcnt(0)
	v_mul_f64 v[98:99], v[90:91], v[120:121]
	v_mul_f64 v[100:101], v[92:93], v[120:121]
	v_fma_f64 v[102:103], v[3:4], v[110:111], v[124:125]
	v_fma_f64 v[104:105], v[1:2], v[110:111], -v[112:113]
	v_add_f64 v[94:95], v[94:95], v[13:14]
	v_add_f64 v[96:97], v[96:97], v[15:16]
	ds_load_b128 v[1:4], v89 offset:720
	ds_load_b128 v[13:16], v89 offset:736
	v_fma_f64 v[92:93], v[92:93], v[118:119], v[98:99]
	v_fma_f64 v[90:91], v[90:91], v[118:119], -v[100:101]
	s_waitcnt vmcnt(2) lgkmcnt(1)
	v_mul_f64 v[110:111], v[1:2], v[108:109]
	v_mul_f64 v[108:109], v[3:4], v[108:109]
	s_waitcnt vmcnt(1) lgkmcnt(0)
	v_mul_f64 v[98:99], v[13:14], v[7:8]
	v_mul_f64 v[7:8], v[15:16], v[7:8]
	v_add_f64 v[94:95], v[94:95], v[104:105]
	v_add_f64 v[96:97], v[96:97], v[102:103]
	v_fma_f64 v[100:101], v[3:4], v[106:107], v[110:111]
	v_fma_f64 v[102:103], v[1:2], v[106:107], -v[108:109]
	ds_load_b128 v[1:4], v89 offset:752
	v_fma_f64 v[15:16], v[15:16], v[5:6], v[98:99]
	v_fma_f64 v[5:6], v[13:14], v[5:6], -v[7:8]
	v_add_f64 v[90:91], v[94:95], v[90:91]
	v_add_f64 v[92:93], v[96:97], v[92:93]
	s_waitcnt vmcnt(0) lgkmcnt(0)
	v_mul_f64 v[94:95], v[1:2], v[11:12]
	v_mul_f64 v[11:12], v[3:4], v[11:12]
	s_delay_alu instid0(VALU_DEP_4) | instskip(NEXT) | instid1(VALU_DEP_4)
	v_add_f64 v[7:8], v[90:91], v[102:103]
	v_add_f64 v[13:14], v[92:93], v[100:101]
	s_delay_alu instid0(VALU_DEP_4) | instskip(NEXT) | instid1(VALU_DEP_4)
	v_fma_f64 v[3:4], v[3:4], v[9:10], v[94:95]
	v_fma_f64 v[1:2], v[1:2], v[9:10], -v[11:12]
	s_delay_alu instid0(VALU_DEP_4) | instskip(NEXT) | instid1(VALU_DEP_4)
	v_add_f64 v[5:6], v[7:8], v[5:6]
	v_add_f64 v[7:8], v[13:14], v[15:16]
	s_delay_alu instid0(VALU_DEP_2) | instskip(NEXT) | instid1(VALU_DEP_2)
	v_add_f64 v[1:2], v[5:6], v[1:2]
	v_add_f64 v[3:4], v[7:8], v[3:4]
	s_delay_alu instid0(VALU_DEP_2) | instskip(NEXT) | instid1(VALU_DEP_2)
	v_add_f64 v[1:2], v[114:115], -v[1:2]
	v_add_f64 v[3:4], v[116:117], -v[3:4]
	scratch_store_b128 off, v[1:4], off
	s_cbranch_vccz .LBB23_205
; %bb.158:
	v_dual_mov_b32 v1, s16 :: v_dual_mov_b32 v2, s17
	s_load_b64 s[0:1], s[0:1], 0x4
	flat_load_b32 v1, v[1:2] offset:88
	v_bfe_u32 v2, v0, 10, 10
	v_bfe_u32 v0, v0, 20, 10
	s_waitcnt lgkmcnt(0)
	s_lshr_b32 s0, s0, 16
	s_delay_alu instid0(VALU_DEP_2) | instskip(SKIP_1) | instid1(SALU_CYCLE_1)
	v_mul_u32_u24_e32 v2, s1, v2
	s_mul_i32 s0, s0, s1
	v_mul_u32_u24_e32 v3, s0, v65
	s_mov_b32 s0, exec_lo
	s_delay_alu instid0(VALU_DEP_1) | instskip(NEXT) | instid1(VALU_DEP_1)
	v_add3_u32 v0, v3, v2, v0
	v_lshl_add_u32 v0, v0, 4, 0x308
	s_waitcnt vmcnt(0)
	v_cmpx_ne_u32_e32 23, v1
	s_cbranch_execz .LBB23_160
; %bb.159:
	v_lshl_add_u32 v9, v1, 4, 0
	s_clause 0x1
	scratch_load_b128 v[1:4], v81, off
	scratch_load_b128 v[5:8], v9, off offset:-16
	s_waitcnt vmcnt(1)
	ds_store_2addr_b64 v0, v[1:2], v[3:4] offset1:1
	s_waitcnt vmcnt(0)
	s_clause 0x1
	scratch_store_b128 v81, v[5:8], off
	scratch_store_b128 v9, v[1:4], off offset:-16
.LBB23_160:
	s_or_b32 exec_lo, exec_lo, s0
	v_dual_mov_b32 v1, s16 :: v_dual_mov_b32 v2, s17
	s_mov_b32 s0, exec_lo
	flat_load_b32 v1, v[1:2] offset:84
	s_waitcnt vmcnt(0) lgkmcnt(0)
	v_cmpx_ne_u32_e32 22, v1
	s_cbranch_execz .LBB23_162
; %bb.161:
	v_lshl_add_u32 v9, v1, 4, 0
	s_clause 0x1
	scratch_load_b128 v[1:4], v73, off
	scratch_load_b128 v[5:8], v9, off offset:-16
	s_waitcnt vmcnt(1)
	ds_store_2addr_b64 v0, v[1:2], v[3:4] offset1:1
	s_waitcnt vmcnt(0)
	s_clause 0x1
	scratch_store_b128 v73, v[5:8], off
	scratch_store_b128 v9, v[1:4], off offset:-16
.LBB23_162:
	s_or_b32 exec_lo, exec_lo, s0
	v_dual_mov_b32 v1, s16 :: v_dual_mov_b32 v2, s17
	s_mov_b32 s0, exec_lo
	flat_load_b32 v1, v[1:2] offset:80
	s_waitcnt vmcnt(0) lgkmcnt(0)
	;; [unrolled: 19-line block ×21, first 2 shown]
	v_cmpx_ne_u32_e32 2, v1
	s_cbranch_execz .LBB23_202
; %bb.201:
	v_lshl_add_u32 v9, v1, 4, 0
	s_clause 0x1
	scratch_load_b128 v[1:4], v69, off
	scratch_load_b128 v[5:8], v9, off offset:-16
	s_waitcnt vmcnt(1)
	ds_store_2addr_b64 v0, v[1:2], v[3:4] offset1:1
	s_waitcnt vmcnt(0)
	s_clause 0x1
	scratch_store_b128 v69, v[5:8], off
	scratch_store_b128 v9, v[1:4], off offset:-16
.LBB23_202:
	s_or_b32 exec_lo, exec_lo, s0
	v_dual_mov_b32 v1, s16 :: v_dual_mov_b32 v2, s17
	s_mov_b32 s0, exec_lo
	flat_load_b32 v1, v[1:2]
	s_waitcnt vmcnt(0) lgkmcnt(0)
	v_cmpx_ne_u32_e32 1, v1
	s_cbranch_execz .LBB23_204
; %bb.203:
	v_lshl_add_u32 v9, v1, 4, 0
	scratch_load_b128 v[1:4], off, off
	scratch_load_b128 v[5:8], v9, off offset:-16
	s_waitcnt vmcnt(1)
	ds_store_2addr_b64 v0, v[1:2], v[3:4] offset1:1
	s_waitcnt vmcnt(0)
	scratch_store_b128 off, v[5:8], off
	scratch_store_b128 v9, v[1:4], off offset:-16
.LBB23_204:
	s_or_b32 exec_lo, exec_lo, s0
.LBB23_205:
	scratch_load_b128 v[0:3], off, off
	s_clause 0x14
	scratch_load_b128 v[4:7], v69, off
	scratch_load_b128 v[8:11], v67, off
	;; [unrolled: 1-line block ×21, first 2 shown]
	s_waitcnt vmcnt(21)
	global_store_b128 v[17:18], v[0:3], off
	s_clause 0x1
	scratch_load_b128 v[0:3], v81, off
	scratch_load_b128 v[145:148], v80, off
	s_waitcnt vmcnt(22)
	global_store_b128 v[19:20], v[4:7], off
	s_waitcnt vmcnt(21)
	global_store_b128 v[21:22], v[8:11], off
	s_waitcnt vmcnt(20)
	global_store_b128 v[23:24], v[12:15], off
	s_waitcnt vmcnt(19)
	global_store_b128 v[25:26], v[65:68], off
	s_waitcnt vmcnt(18)
	global_store_b128 v[27:28], v[89:92], off
	s_waitcnt vmcnt(17)
	global_store_b128 v[29:30], v[93:96], off
	s_waitcnt vmcnt(16)
	global_store_b128 v[31:32], v[69:72], off
	s_waitcnt vmcnt(15)
	global_store_b128 v[33:34], v[97:100], off
	s_waitcnt vmcnt(14)
	global_store_b128 v[35:36], v[101:104], off
	s_waitcnt vmcnt(13)
	global_store_b128 v[37:38], v[105:108], off
	s_waitcnt vmcnt(12)
	global_store_b128 v[39:40], v[109:112], off
	s_waitcnt vmcnt(11)
	global_store_b128 v[41:42], v[113:116], off
	s_waitcnt vmcnt(10)
	global_store_b128 v[43:44], v[117:120], off
	s_waitcnt vmcnt(9)
	global_store_b128 v[45:46], v[75:78], off
	s_waitcnt vmcnt(8)
	global_store_b128 v[47:48], v[121:124], off
	s_waitcnt vmcnt(7)
	global_store_b128 v[49:50], v[125:128], off
	s_waitcnt vmcnt(6)
	global_store_b128 v[51:52], v[82:85], off
	s_waitcnt vmcnt(5)
	global_store_b128 v[53:54], v[129:132], off
	s_waitcnt vmcnt(4)
	global_store_b128 v[55:56], v[133:136], off
	s_waitcnt vmcnt(3)
	global_store_b128 v[57:58], v[137:140], off
	s_waitcnt vmcnt(2)
	global_store_b128 v[61:62], v[141:144], off
	s_waitcnt vmcnt(1)
	global_store_b128 v[63:64], v[0:3], off
	s_waitcnt vmcnt(0)
	global_store_b128 v[59:60], v[145:148], off
	s_endpgm
	.section	.rodata,"a",@progbits
	.p2align	6, 0x0
	.amdhsa_kernel _ZN9rocsolver6v33100L18getri_kernel_smallILi24E19rocblas_complex_numIdEPS3_EEvT1_iilPiilS6_bb
		.amdhsa_group_segment_fixed_size 1800
		.amdhsa_private_segment_fixed_size 400
		.amdhsa_kernarg_size 60
		.amdhsa_user_sgpr_count 15
		.amdhsa_user_sgpr_dispatch_ptr 1
		.amdhsa_user_sgpr_queue_ptr 0
		.amdhsa_user_sgpr_kernarg_segment_ptr 1
		.amdhsa_user_sgpr_dispatch_id 0
		.amdhsa_user_sgpr_private_segment_size 0
		.amdhsa_wavefront_size32 1
		.amdhsa_uses_dynamic_stack 0
		.amdhsa_enable_private_segment 1
		.amdhsa_system_sgpr_workgroup_id_x 1
		.amdhsa_system_sgpr_workgroup_id_y 0
		.amdhsa_system_sgpr_workgroup_id_z 0
		.amdhsa_system_sgpr_workgroup_info 0
		.amdhsa_system_vgpr_workitem_id 2
		.amdhsa_next_free_vgpr 149
		.amdhsa_next_free_sgpr 22
		.amdhsa_reserve_vcc 1
		.amdhsa_float_round_mode_32 0
		.amdhsa_float_round_mode_16_64 0
		.amdhsa_float_denorm_mode_32 3
		.amdhsa_float_denorm_mode_16_64 3
		.amdhsa_dx10_clamp 1
		.amdhsa_ieee_mode 1
		.amdhsa_fp16_overflow 0
		.amdhsa_workgroup_processor_mode 1
		.amdhsa_memory_ordered 1
		.amdhsa_forward_progress 0
		.amdhsa_shared_vgpr_count 0
		.amdhsa_exception_fp_ieee_invalid_op 0
		.amdhsa_exception_fp_denorm_src 0
		.amdhsa_exception_fp_ieee_div_zero 0
		.amdhsa_exception_fp_ieee_overflow 0
		.amdhsa_exception_fp_ieee_underflow 0
		.amdhsa_exception_fp_ieee_inexact 0
		.amdhsa_exception_int_div_zero 0
	.end_amdhsa_kernel
	.section	.text._ZN9rocsolver6v33100L18getri_kernel_smallILi24E19rocblas_complex_numIdEPS3_EEvT1_iilPiilS6_bb,"axG",@progbits,_ZN9rocsolver6v33100L18getri_kernel_smallILi24E19rocblas_complex_numIdEPS3_EEvT1_iilPiilS6_bb,comdat
.Lfunc_end23:
	.size	_ZN9rocsolver6v33100L18getri_kernel_smallILi24E19rocblas_complex_numIdEPS3_EEvT1_iilPiilS6_bb, .Lfunc_end23-_ZN9rocsolver6v33100L18getri_kernel_smallILi24E19rocblas_complex_numIdEPS3_EEvT1_iilPiilS6_bb
                                        ; -- End function
	.section	.AMDGPU.csdata,"",@progbits
; Kernel info:
; codeLenInByte = 34024
; NumSgprs: 24
; NumVgprs: 149
; ScratchSize: 400
; MemoryBound: 0
; FloatMode: 240
; IeeeMode: 1
; LDSByteSize: 1800 bytes/workgroup (compile time only)
; SGPRBlocks: 2
; VGPRBlocks: 18
; NumSGPRsForWavesPerEU: 24
; NumVGPRsForWavesPerEU: 149
; Occupancy: 9
; WaveLimiterHint : 1
; COMPUTE_PGM_RSRC2:SCRATCH_EN: 1
; COMPUTE_PGM_RSRC2:USER_SGPR: 15
; COMPUTE_PGM_RSRC2:TRAP_HANDLER: 0
; COMPUTE_PGM_RSRC2:TGID_X_EN: 1
; COMPUTE_PGM_RSRC2:TGID_Y_EN: 0
; COMPUTE_PGM_RSRC2:TGID_Z_EN: 0
; COMPUTE_PGM_RSRC2:TIDIG_COMP_CNT: 2
	.section	.text._ZN9rocsolver6v33100L18getri_kernel_smallILi25E19rocblas_complex_numIdEPS3_EEvT1_iilPiilS6_bb,"axG",@progbits,_ZN9rocsolver6v33100L18getri_kernel_smallILi25E19rocblas_complex_numIdEPS3_EEvT1_iilPiilS6_bb,comdat
	.globl	_ZN9rocsolver6v33100L18getri_kernel_smallILi25E19rocblas_complex_numIdEPS3_EEvT1_iilPiilS6_bb ; -- Begin function _ZN9rocsolver6v33100L18getri_kernel_smallILi25E19rocblas_complex_numIdEPS3_EEvT1_iilPiilS6_bb
	.p2align	8
	.type	_ZN9rocsolver6v33100L18getri_kernel_smallILi25E19rocblas_complex_numIdEPS3_EEvT1_iilPiilS6_bb,@function
_ZN9rocsolver6v33100L18getri_kernel_smallILi25E19rocblas_complex_numIdEPS3_EEvT1_iilPiilS6_bb: ; @_ZN9rocsolver6v33100L18getri_kernel_smallILi25E19rocblas_complex_numIdEPS3_EEvT1_iilPiilS6_bb
; %bb.0:
	v_and_b32_e32 v76, 0x3ff, v0
	s_mov_b32 s4, exec_lo
	s_delay_alu instid0(VALU_DEP_1)
	v_cmpx_gt_u32_e32 25, v76
	s_cbranch_execz .LBB24_114
; %bb.1:
	s_mov_b32 s18, s15
	s_clause 0x2
	s_load_b32 s21, s[2:3], 0x38
	s_load_b128 s[12:15], s[2:3], 0x10
	s_load_b128 s[4:7], s[2:3], 0x28
                                        ; implicit-def: $sgpr16_sgpr17
	s_waitcnt lgkmcnt(0)
	s_bitcmp1_b32 s21, 8
	s_cselect_b32 s20, -1, 0
	s_bfe_u32 s8, s21, 0x10008
	s_ashr_i32 s19, s18, 31
	s_cmp_eq_u32 s8, 0
	s_cbranch_scc1 .LBB24_3
; %bb.2:
	s_load_b32 s8, s[2:3], 0x20
	s_mul_i32 s5, s18, s5
	s_mul_hi_u32 s9, s18, s4
	s_mul_i32 s10, s19, s4
	s_add_i32 s5, s9, s5
	s_mul_i32 s4, s18, s4
	s_add_i32 s5, s5, s10
	s_delay_alu instid0(SALU_CYCLE_1)
	s_lshl_b64 s[4:5], s[4:5], 2
	s_waitcnt lgkmcnt(0)
	s_ashr_i32 s9, s8, 31
	s_add_u32 s10, s14, s4
	s_addc_u32 s11, s15, s5
	s_lshl_b64 s[4:5], s[8:9], 2
	s_delay_alu instid0(SALU_CYCLE_1)
	s_add_u32 s16, s10, s4
	s_addc_u32 s17, s11, s5
.LBB24_3:
	s_load_b128 s[8:11], s[2:3], 0x0
	s_mul_i32 s2, s18, s13
	s_mul_hi_u32 s3, s18, s12
	s_mul_i32 s4, s19, s12
	s_add_i32 s3, s3, s2
	s_mul_i32 s2, s18, s12
	s_add_i32 s3, s3, s4
	v_lshlrev_b32_e32 v13, 4, v76
	s_lshl_b64 s[2:3], s[2:3], 4
	v_add_nc_u32_e64 v80, 0, 16
	v_add_nc_u32_e64 v79, 0, 32
	s_waitcnt lgkmcnt(0)
	v_add3_u32 v14, s11, s11, v76
	s_ashr_i32 s5, s10, 31
	s_mov_b32 s4, s10
	s_add_u32 s8, s8, s2
	s_addc_u32 s9, s9, s3
	s_lshl_b64 s[2:3], s[4:5], 4
	v_ashrrev_i32_e32 v15, 31, v14
	s_add_u32 s2, s8, s2
	s_addc_u32 s3, s9, s3
	v_add_co_u32 v26, s8, s2, v13
	s_mov_b32 s4, s11
	s_ashr_i32 s5, s11, 31
	v_add_co_ci_u32_e64 v27, null, s3, 0, s8
	v_lshlrev_b64 v[5:6], 4, v[14:15]
	s_lshl_b64 s[4:5], s[4:5], 4
	global_load_b128 v[1:4], v13, s[2:3]
	v_add_co_u32 v30, vcc_lo, v26, s4
	v_add_co_ci_u32_e32 v31, vcc_lo, s5, v27, vcc_lo
	v_add_co_u32 v28, vcc_lo, s2, v5
	v_add_co_ci_u32_e32 v29, vcc_lo, s3, v6, vcc_lo
	s_clause 0x1
	global_load_b128 v[5:8], v[30:31], off
	global_load_b128 v[9:12], v[28:29], off
	v_add_nc_u32_e32 v14, s11, v14
	s_movk_i32 s4, 0x70
	s_movk_i32 s5, 0x80
	;; [unrolled: 1-line block ×4, first 2 shown]
	v_add_nc_u32_e32 v16, s11, v14
	v_ashrrev_i32_e32 v15, 31, v14
	s_movk_i32 s10, 0xb0
	v_add_nc_u32_e64 v84, s4, 0
	v_add_nc_u32_e64 v82, s5, 0
	v_add_nc_u32_e32 v18, s11, v16
	v_ashrrev_i32_e32 v17, 31, v16
	v_lshlrev_b64 v[14:15], 4, v[14:15]
	v_add_nc_u32_e64 v83, s8, 0
	v_add_nc_u32_e64 v81, s9, 0
	v_add_nc_u32_e32 v20, s11, v18
	v_ashrrev_i32_e32 v19, 31, v18
	v_lshlrev_b64 v[16:17], 4, v[16:17]
	v_add_co_u32 v32, vcc_lo, s2, v14
	s_delay_alu instid0(VALU_DEP_4) | instskip(SKIP_3) | instid1(VALU_DEP_4)
	v_add_nc_u32_e32 v22, s11, v20
	v_ashrrev_i32_e32 v21, 31, v20
	v_lshlrev_b64 v[24:25], 4, v[18:19]
	v_add_co_ci_u32_e32 v33, vcc_lo, s3, v15, vcc_lo
	v_add_nc_u32_e32 v40, s11, v22
	v_ashrrev_i32_e32 v23, 31, v22
	v_add_co_u32 v34, vcc_lo, s2, v16
	v_lshlrev_b64 v[38:39], 4, v[20:21]
	s_delay_alu instid0(VALU_DEP_4)
	v_add_nc_u32_e32 v44, s11, v40
	v_ashrrev_i32_e32 v41, 31, v40
	v_add_co_ci_u32_e32 v35, vcc_lo, s3, v17, vcc_lo
	v_add_co_u32 v36, vcc_lo, s2, v24
	v_lshlrev_b64 v[42:43], 4, v[22:23]
	v_add_nc_u32_e32 v48, s11, v44
	v_add_co_ci_u32_e32 v37, vcc_lo, s3, v25, vcc_lo
	v_add_co_u32 v38, vcc_lo, s2, v38
	v_lshlrev_b64 v[46:47], 4, v[40:41]
	v_add_co_ci_u32_e32 v39, vcc_lo, s3, v39, vcc_lo
	v_add_co_u32 v40, vcc_lo, s2, v42
	v_ashrrev_i32_e32 v49, 31, v48
	v_add_nc_u32_e32 v50, s11, v48
	v_add_co_ci_u32_e32 v41, vcc_lo, s3, v43, vcc_lo
	v_ashrrev_i32_e32 v45, 31, v44
	v_add_co_u32 v42, vcc_lo, s2, v46
	v_add_co_ci_u32_e32 v43, vcc_lo, s3, v47, vcc_lo
	v_lshlrev_b64 v[46:47], 4, v[48:49]
	v_add_nc_u32_e32 v48, s11, v50
	v_lshlrev_b64 v[44:45], 4, v[44:45]
	v_ashrrev_i32_e32 v51, 31, v50
	s_clause 0x3
	global_load_b128 v[14:17], v[32:33], off
	global_load_b128 v[18:21], v[34:35], off
	global_load_b128 v[22:25], v[36:37], off
	global_load_b128 v[88:91], v[38:39], off
	v_add_nc_u32_e32 v52, s11, v48
	v_ashrrev_i32_e32 v49, 31, v48
	v_add_co_u32 v44, vcc_lo, s2, v44
	v_lshlrev_b64 v[50:51], 4, v[50:51]
	s_delay_alu instid0(VALU_DEP_4)
	v_add_nc_u32_e32 v56, s11, v52
	v_add_co_ci_u32_e32 v45, vcc_lo, s3, v45, vcc_lo
	v_add_co_u32 v46, vcc_lo, s2, v46
	v_lshlrev_b64 v[54:55], 4, v[48:49]
	v_add_co_ci_u32_e32 v47, vcc_lo, s3, v47, vcc_lo
	v_add_co_u32 v48, vcc_lo, s2, v50
	v_ashrrev_i32_e32 v57, 31, v56
	v_add_nc_u32_e32 v58, s11, v56
	v_add_co_ci_u32_e32 v49, vcc_lo, s3, v51, vcc_lo
	v_ashrrev_i32_e32 v53, 31, v52
	v_add_co_u32 v50, vcc_lo, s2, v54
	v_add_co_ci_u32_e32 v51, vcc_lo, s3, v55, vcc_lo
	v_lshlrev_b64 v[54:55], 4, v[56:57]
	v_add_nc_u32_e32 v56, s11, v58
	v_lshlrev_b64 v[52:53], 4, v[52:53]
	v_ashrrev_i32_e32 v59, 31, v58
	s_clause 0x3
	global_load_b128 v[92:95], v[40:41], off
	global_load_b128 v[96:99], v[42:43], off
	global_load_b128 v[100:103], v[44:45], off
	global_load_b128 v[104:107], v[46:47], off
	v_add_nc_u32_e32 v60, s11, v56
	v_ashrrev_i32_e32 v57, 31, v56
	v_add_co_u32 v52, vcc_lo, s2, v52
	v_lshlrev_b64 v[58:59], 4, v[58:59]
	s_delay_alu instid0(VALU_DEP_4)
	;; [unrolled: 26-line block ×3, first 2 shown]
	v_add_nc_u32_e32 v72, s11, v68
	v_add_co_ci_u32_e32 v61, vcc_lo, s3, v61, vcc_lo
	v_add_co_u32 v62, vcc_lo, s2, v62
	v_lshlrev_b64 v[70:71], 4, v[64:65]
	v_add_co_ci_u32_e32 v63, vcc_lo, s3, v63, vcc_lo
	v_add_co_u32 v64, vcc_lo, s2, v66
	v_ashrrev_i32_e32 v73, 31, v72
	v_add_nc_u32_e32 v74, s11, v72
	v_ashrrev_i32_e32 v69, 31, v68
	v_add_co_ci_u32_e32 v65, vcc_lo, s3, v67, vcc_lo
	v_add_co_u32 v66, vcc_lo, s2, v70
	v_add_co_ci_u32_e32 v67, vcc_lo, s3, v71, vcc_lo
	v_lshlrev_b64 v[70:71], 4, v[72:73]
	v_add_nc_u32_e32 v72, s11, v74
	v_lshlrev_b64 v[68:69], 4, v[68:69]
	v_ashrrev_i32_e32 v75, 31, v74
	s_clause 0x3
	global_load_b128 v[124:127], v[56:57], off
	global_load_b128 v[128:131], v[58:59], off
	;; [unrolled: 1-line block ×4, first 2 shown]
	v_ashrrev_i32_e32 v73, 31, v72
	s_clause 0x1
	global_load_b128 v[140:143], v[64:65], off
	global_load_b128 v[144:147], v[66:67], off
	v_add_co_u32 v68, vcc_lo, s2, v68
	v_lshlrev_b64 v[74:75], 4, v[74:75]
	v_add_co_ci_u32_e32 v69, vcc_lo, s3, v69, vcc_lo
	v_add_co_u32 v70, vcc_lo, s2, v70
	v_lshlrev_b64 v[77:78], 4, v[72:73]
	v_add_co_ci_u32_e32 v71, vcc_lo, s3, v71, vcc_lo
	v_add_co_u32 v72, vcc_lo, s2, v74
	v_add_co_ci_u32_e32 v73, vcc_lo, s3, v75, vcc_lo
	s_delay_alu instid0(VALU_DEP_4)
	v_add_co_u32 v74, vcc_lo, s2, v77
	v_add_co_ci_u32_e32 v75, vcc_lo, s3, v78, vcc_lo
	global_load_b128 v[148:151], v[68:69], off
	s_movk_i32 s2, 0x50
	s_movk_i32 s3, 0x60
	v_add_nc_u32_e64 v87, s2, 0
	s_movk_i32 s2, 0xc0
	v_add_nc_u32_e64 v85, s3, 0
	;; [unrolled: 2-line block ×3, first 2 shown]
	v_add_nc_u32_e64 v77, 0, 64
	s_bitcmp0_b32 s21, 0
	s_waitcnt vmcnt(21)
	scratch_store_b128 off, v[1:4], off
	global_load_b128 v[1:4], v[70:71], off
	s_waitcnt vmcnt(21)
	scratch_store_b128 off, v[5:8], off offset:16
	global_load_b128 v[5:8], v[72:73], off
	s_waitcnt vmcnt(21)
	scratch_store_b128 off, v[9:12], off offset:32
	;; [unrolled: 3-line block ×3, first 2 shown]
	s_waitcnt vmcnt(20)
	scratch_store_b128 off, v[18:21], off offset:64
	s_waitcnt vmcnt(19)
	scratch_store_b128 off, v[22:25], off offset:80
	s_waitcnt vmcnt(18)
	scratch_store_b128 off, v[88:91], off offset:96
	s_waitcnt vmcnt(17)
	scratch_store_b128 off, v[92:95], off offset:112
	s_waitcnt vmcnt(16)
	scratch_store_b128 off, v[96:99], off offset:128
	s_waitcnt vmcnt(15)
	scratch_store_b128 off, v[100:103], off offset:144
	s_waitcnt vmcnt(14)
	scratch_store_b128 off, v[104:107], off offset:160
	s_waitcnt vmcnt(13)
	scratch_store_b128 off, v[108:111], off offset:176
	s_waitcnt vmcnt(12)
	scratch_store_b128 off, v[112:115], off offset:192
	s_waitcnt vmcnt(11)
	scratch_store_b128 off, v[116:119], off offset:208
	s_waitcnt vmcnt(10)
	scratch_store_b128 off, v[120:123], off offset:224
	s_waitcnt vmcnt(9)
	scratch_store_b128 off, v[124:127], off offset:240
	s_waitcnt vmcnt(8)
	scratch_store_b128 off, v[128:131], off offset:256
	s_waitcnt vmcnt(7)
	scratch_store_b128 off, v[132:135], off offset:272
	v_add_nc_u32_e64 v93, s2, 0
	s_movk_i32 s2, 0xd0
	v_add_nc_u32_e64 v95, s3, 0
	v_add_nc_u32_e64 v98, s2, 0
	s_movk_i32 s2, 0xf0
	s_movk_i32 s3, 0x100
	v_add_nc_u32_e64 v97, s2, 0
	s_movk_i32 s2, 0x110
	v_add_nc_u32_e64 v94, s3, 0
	v_add_nc_u32_e64 v100, s2, 0
	s_movk_i32 s2, 0x130
	s_movk_i32 s3, 0x120
	v_add_nc_u32_e64 v86, s2, 0
	s_movk_i32 s2, 0x150
	v_add_nc_u32_e64 v99, s3, 0
	;; [unrolled: 2-line block ×4, first 2 shown]
	v_add_nc_u32_e64 v92, s2, 0
	s_movk_i32 s2, 0x170
	s_movk_i32 s3, 0x180
	v_add_nc_u32_e64 v96, s10, 0
	v_add_nc_u32_e64 v91, s2, 0
	v_add_nc_u32_e64 v90, s3, 0
	s_mov_b32 s3, -1
	s_waitcnt vmcnt(6)
	scratch_store_b128 off, v[136:139], off offset:288
	s_waitcnt vmcnt(5)
	scratch_store_b128 off, v[140:143], off offset:304
	s_waitcnt vmcnt(4)
	scratch_store_b128 off, v[144:147], off offset:320
	s_waitcnt vmcnt(3)
	scratch_store_b128 off, v[148:151], off offset:336
	s_waitcnt vmcnt(2)
	scratch_store_b128 off, v[1:4], off offset:352
	s_waitcnt vmcnt(1)
	scratch_store_b128 off, v[5:8], off offset:368
	s_waitcnt vmcnt(0)
	scratch_store_b128 off, v[9:12], off offset:384
	s_cbranch_scc1 .LBB24_112
; %bb.4:
	v_cmp_eq_u32_e64 s2, 0, v76
	s_delay_alu instid0(VALU_DEP_1)
	s_and_saveexec_b32 s3, s2
	s_cbranch_execz .LBB24_6
; %bb.5:
	v_mov_b32_e32 v1, 0
	ds_store_b32 v1, v1 offset:800
.LBB24_6:
	s_or_b32 exec_lo, exec_lo, s3
	s_waitcnt lgkmcnt(0)
	s_waitcnt_vscnt null, 0x0
	s_barrier
	buffer_gl0_inv
	scratch_load_b128 v[1:4], v13, off
	s_waitcnt vmcnt(0)
	v_cmp_eq_f64_e32 vcc_lo, 0, v[1:2]
	v_cmp_eq_f64_e64 s3, 0, v[3:4]
	s_delay_alu instid0(VALU_DEP_1) | instskip(NEXT) | instid1(SALU_CYCLE_1)
	s_and_b32 s3, vcc_lo, s3
	s_and_saveexec_b32 s4, s3
	s_cbranch_execz .LBB24_10
; %bb.7:
	v_mov_b32_e32 v1, 0
	s_mov_b32 s5, 0
	ds_load_b32 v2, v1 offset:800
	s_waitcnt lgkmcnt(0)
	v_readfirstlane_b32 s3, v2
	v_add_nc_u32_e32 v2, 1, v76
	s_delay_alu instid0(VALU_DEP_2) | instskip(NEXT) | instid1(VALU_DEP_1)
	s_cmp_eq_u32 s3, 0
	v_cmp_gt_i32_e32 vcc_lo, s3, v2
	s_cselect_b32 s8, -1, 0
	s_delay_alu instid0(SALU_CYCLE_1) | instskip(NEXT) | instid1(SALU_CYCLE_1)
	s_or_b32 s8, s8, vcc_lo
	s_and_b32 exec_lo, exec_lo, s8
	s_cbranch_execz .LBB24_10
; %bb.8:
	v_mov_b32_e32 v3, s3
.LBB24_9:                               ; =>This Inner Loop Header: Depth=1
	ds_cmpstore_rtn_b32 v3, v1, v2, v3 offset:800
	s_waitcnt lgkmcnt(0)
	v_cmp_ne_u32_e32 vcc_lo, 0, v3
	v_cmp_le_i32_e64 s3, v3, v2
	s_delay_alu instid0(VALU_DEP_1) | instskip(NEXT) | instid1(SALU_CYCLE_1)
	s_and_b32 s3, vcc_lo, s3
	s_and_b32 s3, exec_lo, s3
	s_delay_alu instid0(SALU_CYCLE_1) | instskip(NEXT) | instid1(SALU_CYCLE_1)
	s_or_b32 s5, s3, s5
	s_and_not1_b32 exec_lo, exec_lo, s5
	s_cbranch_execnz .LBB24_9
.LBB24_10:
	s_or_b32 exec_lo, exec_lo, s4
	v_mov_b32_e32 v1, 0
	s_barrier
	buffer_gl0_inv
	ds_load_b32 v2, v1 offset:800
	s_and_saveexec_b32 s3, s2
	s_cbranch_execz .LBB24_12
; %bb.11:
	s_lshl_b64 s[4:5], s[18:19], 2
	s_delay_alu instid0(SALU_CYCLE_1)
	s_add_u32 s4, s6, s4
	s_addc_u32 s5, s7, s5
	s_waitcnt lgkmcnt(0)
	global_store_b32 v1, v2, s[4:5]
.LBB24_12:
	s_or_b32 exec_lo, exec_lo, s3
	s_waitcnt lgkmcnt(0)
	v_cmp_ne_u32_e32 vcc_lo, 0, v2
	s_mov_b32 s3, 0
	s_cbranch_vccnz .LBB24_112
; %bb.13:
	v_add_nc_u32_e32 v14, 0, v13
                                        ; implicit-def: $vgpr9_vgpr10
	scratch_load_b128 v[1:4], v14, off
	s_waitcnt vmcnt(0)
	v_mov_b32_e32 v5, v1
	v_cmp_gt_f64_e32 vcc_lo, 0, v[1:2]
	v_xor_b32_e32 v6, 0x80000000, v2
	v_xor_b32_e32 v7, 0x80000000, v4
	s_delay_alu instid0(VALU_DEP_2) | instskip(SKIP_1) | instid1(VALU_DEP_3)
	v_cndmask_b32_e32 v6, v2, v6, vcc_lo
	v_cmp_gt_f64_e32 vcc_lo, 0, v[3:4]
	v_dual_cndmask_b32 v8, v4, v7 :: v_dual_mov_b32 v7, v3
	s_delay_alu instid0(VALU_DEP_1) | instskip(SKIP_1) | instid1(SALU_CYCLE_1)
	v_cmp_ngt_f64_e32 vcc_lo, v[5:6], v[7:8]
                                        ; implicit-def: $vgpr5_vgpr6
	s_and_saveexec_b32 s3, vcc_lo
	s_xor_b32 s3, exec_lo, s3
	s_cbranch_execz .LBB24_15
; %bb.14:
	v_div_scale_f64 v[5:6], null, v[3:4], v[3:4], v[1:2]
	v_div_scale_f64 v[11:12], vcc_lo, v[1:2], v[3:4], v[1:2]
	s_delay_alu instid0(VALU_DEP_2) | instskip(SKIP_2) | instid1(VALU_DEP_1)
	v_rcp_f64_e32 v[7:8], v[5:6]
	s_waitcnt_depctr 0xfff
	v_fma_f64 v[9:10], -v[5:6], v[7:8], 1.0
	v_fma_f64 v[7:8], v[7:8], v[9:10], v[7:8]
	s_delay_alu instid0(VALU_DEP_1) | instskip(NEXT) | instid1(VALU_DEP_1)
	v_fma_f64 v[9:10], -v[5:6], v[7:8], 1.0
	v_fma_f64 v[7:8], v[7:8], v[9:10], v[7:8]
	s_delay_alu instid0(VALU_DEP_1) | instskip(NEXT) | instid1(VALU_DEP_1)
	v_mul_f64 v[9:10], v[11:12], v[7:8]
	v_fma_f64 v[5:6], -v[5:6], v[9:10], v[11:12]
	s_delay_alu instid0(VALU_DEP_1) | instskip(NEXT) | instid1(VALU_DEP_1)
	v_div_fmas_f64 v[5:6], v[5:6], v[7:8], v[9:10]
	v_div_fixup_f64 v[5:6], v[5:6], v[3:4], v[1:2]
	s_delay_alu instid0(VALU_DEP_1) | instskip(NEXT) | instid1(VALU_DEP_1)
	v_fma_f64 v[1:2], v[1:2], v[5:6], v[3:4]
	v_div_scale_f64 v[3:4], null, v[1:2], v[1:2], 1.0
	v_div_scale_f64 v[11:12], vcc_lo, 1.0, v[1:2], 1.0
	s_delay_alu instid0(VALU_DEP_2) | instskip(SKIP_2) | instid1(VALU_DEP_1)
	v_rcp_f64_e32 v[7:8], v[3:4]
	s_waitcnt_depctr 0xfff
	v_fma_f64 v[9:10], -v[3:4], v[7:8], 1.0
	v_fma_f64 v[7:8], v[7:8], v[9:10], v[7:8]
	s_delay_alu instid0(VALU_DEP_1) | instskip(NEXT) | instid1(VALU_DEP_1)
	v_fma_f64 v[9:10], -v[3:4], v[7:8], 1.0
	v_fma_f64 v[7:8], v[7:8], v[9:10], v[7:8]
	s_delay_alu instid0(VALU_DEP_1) | instskip(NEXT) | instid1(VALU_DEP_1)
	v_mul_f64 v[9:10], v[11:12], v[7:8]
	v_fma_f64 v[3:4], -v[3:4], v[9:10], v[11:12]
	s_delay_alu instid0(VALU_DEP_1) | instskip(NEXT) | instid1(VALU_DEP_1)
	v_div_fmas_f64 v[3:4], v[3:4], v[7:8], v[9:10]
	v_div_fixup_f64 v[7:8], v[3:4], v[1:2], 1.0
                                        ; implicit-def: $vgpr1_vgpr2
	s_delay_alu instid0(VALU_DEP_1) | instskip(SKIP_1) | instid1(VALU_DEP_2)
	v_mul_f64 v[5:6], v[5:6], v[7:8]
	v_xor_b32_e32 v8, 0x80000000, v8
	v_xor_b32_e32 v10, 0x80000000, v6
	s_delay_alu instid0(VALU_DEP_3)
	v_mov_b32_e32 v9, v5
.LBB24_15:
	s_and_not1_saveexec_b32 s3, s3
	s_cbranch_execz .LBB24_17
; %bb.16:
	v_div_scale_f64 v[5:6], null, v[1:2], v[1:2], v[3:4]
	v_div_scale_f64 v[11:12], vcc_lo, v[3:4], v[1:2], v[3:4]
	s_delay_alu instid0(VALU_DEP_2) | instskip(SKIP_2) | instid1(VALU_DEP_1)
	v_rcp_f64_e32 v[7:8], v[5:6]
	s_waitcnt_depctr 0xfff
	v_fma_f64 v[9:10], -v[5:6], v[7:8], 1.0
	v_fma_f64 v[7:8], v[7:8], v[9:10], v[7:8]
	s_delay_alu instid0(VALU_DEP_1) | instskip(NEXT) | instid1(VALU_DEP_1)
	v_fma_f64 v[9:10], -v[5:6], v[7:8], 1.0
	v_fma_f64 v[7:8], v[7:8], v[9:10], v[7:8]
	s_delay_alu instid0(VALU_DEP_1) | instskip(NEXT) | instid1(VALU_DEP_1)
	v_mul_f64 v[9:10], v[11:12], v[7:8]
	v_fma_f64 v[5:6], -v[5:6], v[9:10], v[11:12]
	s_delay_alu instid0(VALU_DEP_1) | instskip(NEXT) | instid1(VALU_DEP_1)
	v_div_fmas_f64 v[5:6], v[5:6], v[7:8], v[9:10]
	v_div_fixup_f64 v[7:8], v[5:6], v[1:2], v[3:4]
	s_delay_alu instid0(VALU_DEP_1) | instskip(NEXT) | instid1(VALU_DEP_1)
	v_fma_f64 v[1:2], v[3:4], v[7:8], v[1:2]
	v_div_scale_f64 v[3:4], null, v[1:2], v[1:2], 1.0
	s_delay_alu instid0(VALU_DEP_1) | instskip(SKIP_2) | instid1(VALU_DEP_1)
	v_rcp_f64_e32 v[5:6], v[3:4]
	s_waitcnt_depctr 0xfff
	v_fma_f64 v[9:10], -v[3:4], v[5:6], 1.0
	v_fma_f64 v[5:6], v[5:6], v[9:10], v[5:6]
	s_delay_alu instid0(VALU_DEP_1) | instskip(NEXT) | instid1(VALU_DEP_1)
	v_fma_f64 v[9:10], -v[3:4], v[5:6], 1.0
	v_fma_f64 v[5:6], v[5:6], v[9:10], v[5:6]
	v_div_scale_f64 v[9:10], vcc_lo, 1.0, v[1:2], 1.0
	s_delay_alu instid0(VALU_DEP_1) | instskip(NEXT) | instid1(VALU_DEP_1)
	v_mul_f64 v[11:12], v[9:10], v[5:6]
	v_fma_f64 v[3:4], -v[3:4], v[11:12], v[9:10]
	s_delay_alu instid0(VALU_DEP_1) | instskip(NEXT) | instid1(VALU_DEP_1)
	v_div_fmas_f64 v[3:4], v[3:4], v[5:6], v[11:12]
	v_div_fixup_f64 v[5:6], v[3:4], v[1:2], 1.0
	s_delay_alu instid0(VALU_DEP_1)
	v_mul_f64 v[7:8], v[7:8], -v[5:6]
	v_xor_b32_e32 v10, 0x80000000, v6
	v_mov_b32_e32 v9, v5
.LBB24_17:
	s_or_b32 exec_lo, exec_lo, s3
	scratch_store_b128 v14, v[5:8], off
	scratch_load_b128 v[1:4], v80, off
	v_xor_b32_e32 v12, 0x80000000, v8
	v_mov_b32_e32 v11, v7
	v_add_nc_u32_e32 v5, 0x190, v13
	ds_store_b128 v13, v[9:12]
	s_waitcnt vmcnt(0)
	ds_store_b128 v13, v[1:4] offset:400
	s_waitcnt lgkmcnt(0)
	s_waitcnt_vscnt null, 0x0
	s_barrier
	buffer_gl0_inv
	s_and_saveexec_b32 s3, s2
	s_cbranch_execz .LBB24_19
; %bb.18:
	scratch_load_b128 v[1:4], v14, off
	ds_load_b128 v[6:9], v5
	v_mov_b32_e32 v10, 0
	ds_load_b128 v[15:18], v10 offset:16
	s_waitcnt vmcnt(0) lgkmcnt(1)
	v_mul_f64 v[10:11], v[6:7], v[3:4]
	v_mul_f64 v[3:4], v[8:9], v[3:4]
	s_delay_alu instid0(VALU_DEP_2) | instskip(NEXT) | instid1(VALU_DEP_2)
	v_fma_f64 v[8:9], v[8:9], v[1:2], v[10:11]
	v_fma_f64 v[1:2], v[6:7], v[1:2], -v[3:4]
	s_delay_alu instid0(VALU_DEP_2) | instskip(NEXT) | instid1(VALU_DEP_2)
	v_add_f64 v[3:4], v[8:9], 0
	v_add_f64 v[1:2], v[1:2], 0
	s_waitcnt lgkmcnt(0)
	s_delay_alu instid0(VALU_DEP_2) | instskip(NEXT) | instid1(VALU_DEP_2)
	v_mul_f64 v[6:7], v[3:4], v[17:18]
	v_mul_f64 v[8:9], v[1:2], v[17:18]
	s_delay_alu instid0(VALU_DEP_2) | instskip(NEXT) | instid1(VALU_DEP_2)
	v_fma_f64 v[1:2], v[1:2], v[15:16], -v[6:7]
	v_fma_f64 v[3:4], v[3:4], v[15:16], v[8:9]
	scratch_store_b128 off, v[1:4], off offset:16
.LBB24_19:
	s_or_b32 exec_lo, exec_lo, s3
	s_waitcnt_vscnt null, 0x0
	s_barrier
	buffer_gl0_inv
	scratch_load_b128 v[1:4], v79, off
	s_mov_b32 s3, exec_lo
	s_waitcnt vmcnt(0)
	ds_store_b128 v5, v[1:4]
	s_waitcnt lgkmcnt(0)
	s_barrier
	buffer_gl0_inv
	v_cmpx_gt_u32_e32 2, v76
	s_cbranch_execz .LBB24_23
; %bb.20:
	scratch_load_b128 v[1:4], v14, off
	ds_load_b128 v[6:9], v5
	s_waitcnt vmcnt(0) lgkmcnt(0)
	v_mul_f64 v[10:11], v[8:9], v[3:4]
	v_mul_f64 v[3:4], v[6:7], v[3:4]
	s_delay_alu instid0(VALU_DEP_2) | instskip(NEXT) | instid1(VALU_DEP_2)
	v_fma_f64 v[6:7], v[6:7], v[1:2], -v[10:11]
	v_fma_f64 v[3:4], v[8:9], v[1:2], v[3:4]
	s_delay_alu instid0(VALU_DEP_2) | instskip(NEXT) | instid1(VALU_DEP_2)
	v_add_f64 v[1:2], v[6:7], 0
	v_add_f64 v[3:4], v[3:4], 0
	s_and_saveexec_b32 s4, s2
	s_cbranch_execz .LBB24_22
; %bb.21:
	scratch_load_b128 v[6:9], off, off offset:16
	v_mov_b32_e32 v10, 0
	ds_load_b128 v[15:18], v10 offset:416
	s_waitcnt vmcnt(0) lgkmcnt(0)
	v_mul_f64 v[10:11], v[15:16], v[8:9]
	v_mul_f64 v[8:9], v[17:18], v[8:9]
	s_delay_alu instid0(VALU_DEP_2) | instskip(NEXT) | instid1(VALU_DEP_2)
	v_fma_f64 v[10:11], v[17:18], v[6:7], v[10:11]
	v_fma_f64 v[6:7], v[15:16], v[6:7], -v[8:9]
	s_delay_alu instid0(VALU_DEP_2) | instskip(NEXT) | instid1(VALU_DEP_2)
	v_add_f64 v[3:4], v[3:4], v[10:11]
	v_add_f64 v[1:2], v[1:2], v[6:7]
.LBB24_22:
	s_or_b32 exec_lo, exec_lo, s4
	v_mov_b32_e32 v6, 0
	ds_load_b128 v[6:9], v6 offset:32
	s_waitcnt lgkmcnt(0)
	v_mul_f64 v[10:11], v[3:4], v[8:9]
	v_mul_f64 v[8:9], v[1:2], v[8:9]
	s_delay_alu instid0(VALU_DEP_2) | instskip(NEXT) | instid1(VALU_DEP_2)
	v_fma_f64 v[1:2], v[1:2], v[6:7], -v[10:11]
	v_fma_f64 v[3:4], v[3:4], v[6:7], v[8:9]
	scratch_store_b128 off, v[1:4], off offset:32
.LBB24_23:
	s_or_b32 exec_lo, exec_lo, s3
	s_waitcnt_vscnt null, 0x0
	s_barrier
	buffer_gl0_inv
	scratch_load_b128 v[1:4], v78, off
	v_add_nc_u32_e32 v6, -1, v76
	s_mov_b32 s2, exec_lo
	s_waitcnt vmcnt(0)
	ds_store_b128 v5, v[1:4]
	s_waitcnt lgkmcnt(0)
	s_barrier
	buffer_gl0_inv
	v_cmpx_gt_u32_e32 3, v76
	s_cbranch_execz .LBB24_27
; %bb.24:
	v_dual_mov_b32 v1, 0 :: v_dual_add_nc_u32 v8, 0x190, v13
	v_dual_mov_b32 v2, 0 :: v_dual_add_nc_u32 v7, -1, v76
	v_or_b32_e32 v9, 8, v14
	s_mov_b32 s3, 0
	s_delay_alu instid0(VALU_DEP_2)
	v_dual_mov_b32 v4, v2 :: v_dual_mov_b32 v3, v1
	.p2align	6
.LBB24_25:                              ; =>This Inner Loop Header: Depth=1
	scratch_load_b128 v[15:18], v9, off offset:-8
	ds_load_b128 v[19:22], v8
	v_add_nc_u32_e32 v7, 1, v7
	v_add_nc_u32_e32 v8, 16, v8
	;; [unrolled: 1-line block ×3, first 2 shown]
	s_delay_alu instid0(VALU_DEP_3) | instskip(SKIP_4) | instid1(VALU_DEP_2)
	v_cmp_lt_u32_e32 vcc_lo, 1, v7
	s_or_b32 s3, vcc_lo, s3
	s_waitcnt vmcnt(0) lgkmcnt(0)
	v_mul_f64 v[10:11], v[21:22], v[17:18]
	v_mul_f64 v[17:18], v[19:20], v[17:18]
	v_fma_f64 v[10:11], v[19:20], v[15:16], -v[10:11]
	s_delay_alu instid0(VALU_DEP_2) | instskip(NEXT) | instid1(VALU_DEP_2)
	v_fma_f64 v[15:16], v[21:22], v[15:16], v[17:18]
	v_add_f64 v[3:4], v[3:4], v[10:11]
	s_delay_alu instid0(VALU_DEP_2)
	v_add_f64 v[1:2], v[1:2], v[15:16]
	s_and_not1_b32 exec_lo, exec_lo, s3
	s_cbranch_execnz .LBB24_25
; %bb.26:
	s_or_b32 exec_lo, exec_lo, s3
	v_mov_b32_e32 v7, 0
	ds_load_b128 v[7:10], v7 offset:48
	s_waitcnt lgkmcnt(0)
	v_mul_f64 v[11:12], v[1:2], v[9:10]
	v_mul_f64 v[15:16], v[3:4], v[9:10]
	s_delay_alu instid0(VALU_DEP_2) | instskip(NEXT) | instid1(VALU_DEP_2)
	v_fma_f64 v[9:10], v[3:4], v[7:8], -v[11:12]
	v_fma_f64 v[11:12], v[1:2], v[7:8], v[15:16]
	scratch_store_b128 off, v[9:12], off offset:48
.LBB24_27:
	s_or_b32 exec_lo, exec_lo, s2
	s_waitcnt_vscnt null, 0x0
	s_barrier
	buffer_gl0_inv
	scratch_load_b128 v[1:4], v77, off
	s_mov_b32 s2, exec_lo
	s_waitcnt vmcnt(0)
	ds_store_b128 v5, v[1:4]
	s_waitcnt lgkmcnt(0)
	s_barrier
	buffer_gl0_inv
	v_cmpx_gt_u32_e32 4, v76
	s_cbranch_execz .LBB24_31
; %bb.28:
	v_dual_mov_b32 v1, 0 :: v_dual_add_nc_u32 v8, 0x190, v13
	v_dual_mov_b32 v2, 0 :: v_dual_add_nc_u32 v7, -1, v76
	v_or_b32_e32 v9, 8, v14
	s_mov_b32 s3, 0
	s_delay_alu instid0(VALU_DEP_2)
	v_dual_mov_b32 v4, v2 :: v_dual_mov_b32 v3, v1
	.p2align	6
.LBB24_29:                              ; =>This Inner Loop Header: Depth=1
	scratch_load_b128 v[15:18], v9, off offset:-8
	ds_load_b128 v[19:22], v8
	v_add_nc_u32_e32 v7, 1, v7
	v_add_nc_u32_e32 v8, 16, v8
	;; [unrolled: 1-line block ×3, first 2 shown]
	s_delay_alu instid0(VALU_DEP_3) | instskip(SKIP_4) | instid1(VALU_DEP_2)
	v_cmp_lt_u32_e32 vcc_lo, 2, v7
	s_or_b32 s3, vcc_lo, s3
	s_waitcnt vmcnt(0) lgkmcnt(0)
	v_mul_f64 v[10:11], v[21:22], v[17:18]
	v_mul_f64 v[17:18], v[19:20], v[17:18]
	v_fma_f64 v[10:11], v[19:20], v[15:16], -v[10:11]
	s_delay_alu instid0(VALU_DEP_2) | instskip(NEXT) | instid1(VALU_DEP_2)
	v_fma_f64 v[15:16], v[21:22], v[15:16], v[17:18]
	v_add_f64 v[3:4], v[3:4], v[10:11]
	s_delay_alu instid0(VALU_DEP_2)
	v_add_f64 v[1:2], v[1:2], v[15:16]
	s_and_not1_b32 exec_lo, exec_lo, s3
	s_cbranch_execnz .LBB24_29
; %bb.30:
	s_or_b32 exec_lo, exec_lo, s3
	v_mov_b32_e32 v7, 0
	ds_load_b128 v[7:10], v7 offset:64
	s_waitcnt lgkmcnt(0)
	v_mul_f64 v[11:12], v[1:2], v[9:10]
	v_mul_f64 v[15:16], v[3:4], v[9:10]
	s_delay_alu instid0(VALU_DEP_2) | instskip(NEXT) | instid1(VALU_DEP_2)
	v_fma_f64 v[9:10], v[3:4], v[7:8], -v[11:12]
	v_fma_f64 v[11:12], v[1:2], v[7:8], v[15:16]
	scratch_store_b128 off, v[9:12], off offset:64
.LBB24_31:
	s_or_b32 exec_lo, exec_lo, s2
	s_waitcnt_vscnt null, 0x0
	s_barrier
	buffer_gl0_inv
	scratch_load_b128 v[1:4], v87, off
	s_mov_b32 s2, exec_lo
	s_waitcnt vmcnt(0)
	ds_store_b128 v5, v[1:4]
	s_waitcnt lgkmcnt(0)
	s_barrier
	buffer_gl0_inv
	v_cmpx_gt_u32_e32 5, v76
	s_cbranch_execz .LBB24_35
; %bb.32:
	v_dual_mov_b32 v1, 0 :: v_dual_add_nc_u32 v8, 0x190, v13
	v_dual_mov_b32 v2, 0 :: v_dual_add_nc_u32 v7, -1, v76
	v_or_b32_e32 v9, 8, v14
	s_mov_b32 s3, 0
	s_delay_alu instid0(VALU_DEP_2)
	v_dual_mov_b32 v4, v2 :: v_dual_mov_b32 v3, v1
	.p2align	6
.LBB24_33:                              ; =>This Inner Loop Header: Depth=1
	scratch_load_b128 v[15:18], v9, off offset:-8
	ds_load_b128 v[19:22], v8
	v_add_nc_u32_e32 v7, 1, v7
	v_add_nc_u32_e32 v8, 16, v8
	;; [unrolled: 1-line block ×3, first 2 shown]
	s_delay_alu instid0(VALU_DEP_3) | instskip(SKIP_4) | instid1(VALU_DEP_2)
	v_cmp_lt_u32_e32 vcc_lo, 3, v7
	s_or_b32 s3, vcc_lo, s3
	s_waitcnt vmcnt(0) lgkmcnt(0)
	v_mul_f64 v[10:11], v[21:22], v[17:18]
	v_mul_f64 v[17:18], v[19:20], v[17:18]
	v_fma_f64 v[10:11], v[19:20], v[15:16], -v[10:11]
	s_delay_alu instid0(VALU_DEP_2) | instskip(NEXT) | instid1(VALU_DEP_2)
	v_fma_f64 v[15:16], v[21:22], v[15:16], v[17:18]
	v_add_f64 v[3:4], v[3:4], v[10:11]
	s_delay_alu instid0(VALU_DEP_2)
	v_add_f64 v[1:2], v[1:2], v[15:16]
	s_and_not1_b32 exec_lo, exec_lo, s3
	s_cbranch_execnz .LBB24_33
; %bb.34:
	s_or_b32 exec_lo, exec_lo, s3
	v_mov_b32_e32 v7, 0
	ds_load_b128 v[7:10], v7 offset:80
	s_waitcnt lgkmcnt(0)
	v_mul_f64 v[11:12], v[1:2], v[9:10]
	v_mul_f64 v[15:16], v[3:4], v[9:10]
	s_delay_alu instid0(VALU_DEP_2) | instskip(NEXT) | instid1(VALU_DEP_2)
	v_fma_f64 v[9:10], v[3:4], v[7:8], -v[11:12]
	v_fma_f64 v[11:12], v[1:2], v[7:8], v[15:16]
	scratch_store_b128 off, v[9:12], off offset:80
.LBB24_35:
	s_or_b32 exec_lo, exec_lo, s2
	s_waitcnt_vscnt null, 0x0
	s_barrier
	buffer_gl0_inv
	scratch_load_b128 v[1:4], v85, off
	s_mov_b32 s2, exec_lo
	s_waitcnt vmcnt(0)
	ds_store_b128 v5, v[1:4]
	s_waitcnt lgkmcnt(0)
	s_barrier
	buffer_gl0_inv
	v_cmpx_gt_u32_e32 6, v76
	s_cbranch_execz .LBB24_39
; %bb.36:
	v_dual_mov_b32 v1, 0 :: v_dual_add_nc_u32 v8, 0x190, v13
	v_dual_mov_b32 v2, 0 :: v_dual_add_nc_u32 v7, -1, v76
	v_or_b32_e32 v9, 8, v14
	s_mov_b32 s3, 0
	s_delay_alu instid0(VALU_DEP_2)
	v_dual_mov_b32 v4, v2 :: v_dual_mov_b32 v3, v1
	.p2align	6
.LBB24_37:                              ; =>This Inner Loop Header: Depth=1
	scratch_load_b128 v[15:18], v9, off offset:-8
	ds_load_b128 v[19:22], v8
	v_add_nc_u32_e32 v7, 1, v7
	v_add_nc_u32_e32 v8, 16, v8
	;; [unrolled: 1-line block ×3, first 2 shown]
	s_delay_alu instid0(VALU_DEP_3) | instskip(SKIP_4) | instid1(VALU_DEP_2)
	v_cmp_lt_u32_e32 vcc_lo, 4, v7
	s_or_b32 s3, vcc_lo, s3
	s_waitcnt vmcnt(0) lgkmcnt(0)
	v_mul_f64 v[10:11], v[21:22], v[17:18]
	v_mul_f64 v[17:18], v[19:20], v[17:18]
	v_fma_f64 v[10:11], v[19:20], v[15:16], -v[10:11]
	s_delay_alu instid0(VALU_DEP_2) | instskip(NEXT) | instid1(VALU_DEP_2)
	v_fma_f64 v[15:16], v[21:22], v[15:16], v[17:18]
	v_add_f64 v[3:4], v[3:4], v[10:11]
	s_delay_alu instid0(VALU_DEP_2)
	v_add_f64 v[1:2], v[1:2], v[15:16]
	s_and_not1_b32 exec_lo, exec_lo, s3
	s_cbranch_execnz .LBB24_37
; %bb.38:
	s_or_b32 exec_lo, exec_lo, s3
	v_mov_b32_e32 v7, 0
	ds_load_b128 v[7:10], v7 offset:96
	s_waitcnt lgkmcnt(0)
	v_mul_f64 v[11:12], v[1:2], v[9:10]
	v_mul_f64 v[15:16], v[3:4], v[9:10]
	s_delay_alu instid0(VALU_DEP_2) | instskip(NEXT) | instid1(VALU_DEP_2)
	v_fma_f64 v[9:10], v[3:4], v[7:8], -v[11:12]
	v_fma_f64 v[11:12], v[1:2], v[7:8], v[15:16]
	scratch_store_b128 off, v[9:12], off offset:96
.LBB24_39:
	s_or_b32 exec_lo, exec_lo, s2
	s_waitcnt_vscnt null, 0x0
	s_barrier
	buffer_gl0_inv
	scratch_load_b128 v[1:4], v84, off
	s_mov_b32 s2, exec_lo
	s_waitcnt vmcnt(0)
	ds_store_b128 v5, v[1:4]
	s_waitcnt lgkmcnt(0)
	s_barrier
	buffer_gl0_inv
	v_cmpx_gt_u32_e32 7, v76
	s_cbranch_execz .LBB24_43
; %bb.40:
	v_dual_mov_b32 v1, 0 :: v_dual_add_nc_u32 v8, 0x190, v13
	v_dual_mov_b32 v2, 0 :: v_dual_add_nc_u32 v7, -1, v76
	v_or_b32_e32 v9, 8, v14
	s_mov_b32 s3, 0
	s_delay_alu instid0(VALU_DEP_2)
	v_dual_mov_b32 v4, v2 :: v_dual_mov_b32 v3, v1
	.p2align	6
.LBB24_41:                              ; =>This Inner Loop Header: Depth=1
	scratch_load_b128 v[15:18], v9, off offset:-8
	ds_load_b128 v[19:22], v8
	v_add_nc_u32_e32 v7, 1, v7
	v_add_nc_u32_e32 v8, 16, v8
	;; [unrolled: 1-line block ×3, first 2 shown]
	s_delay_alu instid0(VALU_DEP_3) | instskip(SKIP_4) | instid1(VALU_DEP_2)
	v_cmp_lt_u32_e32 vcc_lo, 5, v7
	s_or_b32 s3, vcc_lo, s3
	s_waitcnt vmcnt(0) lgkmcnt(0)
	v_mul_f64 v[10:11], v[21:22], v[17:18]
	v_mul_f64 v[17:18], v[19:20], v[17:18]
	v_fma_f64 v[10:11], v[19:20], v[15:16], -v[10:11]
	s_delay_alu instid0(VALU_DEP_2) | instskip(NEXT) | instid1(VALU_DEP_2)
	v_fma_f64 v[15:16], v[21:22], v[15:16], v[17:18]
	v_add_f64 v[3:4], v[3:4], v[10:11]
	s_delay_alu instid0(VALU_DEP_2)
	v_add_f64 v[1:2], v[1:2], v[15:16]
	s_and_not1_b32 exec_lo, exec_lo, s3
	s_cbranch_execnz .LBB24_41
; %bb.42:
	s_or_b32 exec_lo, exec_lo, s3
	v_mov_b32_e32 v7, 0
	ds_load_b128 v[7:10], v7 offset:112
	s_waitcnt lgkmcnt(0)
	v_mul_f64 v[11:12], v[1:2], v[9:10]
	v_mul_f64 v[15:16], v[3:4], v[9:10]
	s_delay_alu instid0(VALU_DEP_2) | instskip(NEXT) | instid1(VALU_DEP_2)
	v_fma_f64 v[9:10], v[3:4], v[7:8], -v[11:12]
	v_fma_f64 v[11:12], v[1:2], v[7:8], v[15:16]
	scratch_store_b128 off, v[9:12], off offset:112
.LBB24_43:
	s_or_b32 exec_lo, exec_lo, s2
	s_waitcnt_vscnt null, 0x0
	s_barrier
	buffer_gl0_inv
	scratch_load_b128 v[1:4], v82, off
	s_mov_b32 s2, exec_lo
	s_waitcnt vmcnt(0)
	ds_store_b128 v5, v[1:4]
	s_waitcnt lgkmcnt(0)
	s_barrier
	buffer_gl0_inv
	v_cmpx_gt_u32_e32 8, v76
	s_cbranch_execz .LBB24_47
; %bb.44:
	v_dual_mov_b32 v1, 0 :: v_dual_add_nc_u32 v8, 0x190, v13
	v_dual_mov_b32 v2, 0 :: v_dual_add_nc_u32 v7, -1, v76
	v_or_b32_e32 v9, 8, v14
	s_mov_b32 s3, 0
	s_delay_alu instid0(VALU_DEP_2)
	v_dual_mov_b32 v4, v2 :: v_dual_mov_b32 v3, v1
	.p2align	6
.LBB24_45:                              ; =>This Inner Loop Header: Depth=1
	scratch_load_b128 v[15:18], v9, off offset:-8
	ds_load_b128 v[19:22], v8
	v_add_nc_u32_e32 v7, 1, v7
	v_add_nc_u32_e32 v8, 16, v8
	;; [unrolled: 1-line block ×3, first 2 shown]
	s_delay_alu instid0(VALU_DEP_3) | instskip(SKIP_4) | instid1(VALU_DEP_2)
	v_cmp_lt_u32_e32 vcc_lo, 6, v7
	s_or_b32 s3, vcc_lo, s3
	s_waitcnt vmcnt(0) lgkmcnt(0)
	v_mul_f64 v[10:11], v[21:22], v[17:18]
	v_mul_f64 v[17:18], v[19:20], v[17:18]
	v_fma_f64 v[10:11], v[19:20], v[15:16], -v[10:11]
	s_delay_alu instid0(VALU_DEP_2) | instskip(NEXT) | instid1(VALU_DEP_2)
	v_fma_f64 v[15:16], v[21:22], v[15:16], v[17:18]
	v_add_f64 v[3:4], v[3:4], v[10:11]
	s_delay_alu instid0(VALU_DEP_2)
	v_add_f64 v[1:2], v[1:2], v[15:16]
	s_and_not1_b32 exec_lo, exec_lo, s3
	s_cbranch_execnz .LBB24_45
; %bb.46:
	s_or_b32 exec_lo, exec_lo, s3
	v_mov_b32_e32 v7, 0
	ds_load_b128 v[7:10], v7 offset:128
	s_waitcnt lgkmcnt(0)
	v_mul_f64 v[11:12], v[1:2], v[9:10]
	v_mul_f64 v[15:16], v[3:4], v[9:10]
	s_delay_alu instid0(VALU_DEP_2) | instskip(NEXT) | instid1(VALU_DEP_2)
	v_fma_f64 v[9:10], v[3:4], v[7:8], -v[11:12]
	v_fma_f64 v[11:12], v[1:2], v[7:8], v[15:16]
	scratch_store_b128 off, v[9:12], off offset:128
.LBB24_47:
	s_or_b32 exec_lo, exec_lo, s2
	s_waitcnt_vscnt null, 0x0
	s_barrier
	buffer_gl0_inv
	scratch_load_b128 v[1:4], v83, off
	s_mov_b32 s2, exec_lo
	s_waitcnt vmcnt(0)
	ds_store_b128 v5, v[1:4]
	s_waitcnt lgkmcnt(0)
	s_barrier
	buffer_gl0_inv
	v_cmpx_gt_u32_e32 9, v76
	s_cbranch_execz .LBB24_51
; %bb.48:
	v_dual_mov_b32 v1, 0 :: v_dual_add_nc_u32 v8, 0x190, v13
	v_dual_mov_b32 v2, 0 :: v_dual_add_nc_u32 v7, -1, v76
	v_or_b32_e32 v9, 8, v14
	s_mov_b32 s3, 0
	s_delay_alu instid0(VALU_DEP_2)
	v_dual_mov_b32 v4, v2 :: v_dual_mov_b32 v3, v1
	.p2align	6
.LBB24_49:                              ; =>This Inner Loop Header: Depth=1
	scratch_load_b128 v[15:18], v9, off offset:-8
	ds_load_b128 v[19:22], v8
	v_add_nc_u32_e32 v7, 1, v7
	v_add_nc_u32_e32 v8, 16, v8
	;; [unrolled: 1-line block ×3, first 2 shown]
	s_delay_alu instid0(VALU_DEP_3) | instskip(SKIP_4) | instid1(VALU_DEP_2)
	v_cmp_lt_u32_e32 vcc_lo, 7, v7
	s_or_b32 s3, vcc_lo, s3
	s_waitcnt vmcnt(0) lgkmcnt(0)
	v_mul_f64 v[10:11], v[21:22], v[17:18]
	v_mul_f64 v[17:18], v[19:20], v[17:18]
	v_fma_f64 v[10:11], v[19:20], v[15:16], -v[10:11]
	s_delay_alu instid0(VALU_DEP_2) | instskip(NEXT) | instid1(VALU_DEP_2)
	v_fma_f64 v[15:16], v[21:22], v[15:16], v[17:18]
	v_add_f64 v[3:4], v[3:4], v[10:11]
	s_delay_alu instid0(VALU_DEP_2)
	v_add_f64 v[1:2], v[1:2], v[15:16]
	s_and_not1_b32 exec_lo, exec_lo, s3
	s_cbranch_execnz .LBB24_49
; %bb.50:
	s_or_b32 exec_lo, exec_lo, s3
	v_mov_b32_e32 v7, 0
	ds_load_b128 v[7:10], v7 offset:144
	s_waitcnt lgkmcnt(0)
	v_mul_f64 v[11:12], v[1:2], v[9:10]
	v_mul_f64 v[15:16], v[3:4], v[9:10]
	s_delay_alu instid0(VALU_DEP_2) | instskip(NEXT) | instid1(VALU_DEP_2)
	v_fma_f64 v[9:10], v[3:4], v[7:8], -v[11:12]
	v_fma_f64 v[11:12], v[1:2], v[7:8], v[15:16]
	scratch_store_b128 off, v[9:12], off offset:144
.LBB24_51:
	s_or_b32 exec_lo, exec_lo, s2
	s_waitcnt_vscnt null, 0x0
	s_barrier
	buffer_gl0_inv
	scratch_load_b128 v[1:4], v81, off
	s_mov_b32 s2, exec_lo
	s_waitcnt vmcnt(0)
	ds_store_b128 v5, v[1:4]
	s_waitcnt lgkmcnt(0)
	s_barrier
	buffer_gl0_inv
	v_cmpx_gt_u32_e32 10, v76
	s_cbranch_execz .LBB24_55
; %bb.52:
	v_dual_mov_b32 v1, 0 :: v_dual_add_nc_u32 v8, 0x190, v13
	v_dual_mov_b32 v2, 0 :: v_dual_add_nc_u32 v7, -1, v76
	v_or_b32_e32 v9, 8, v14
	s_mov_b32 s3, 0
	s_delay_alu instid0(VALU_DEP_2)
	v_dual_mov_b32 v4, v2 :: v_dual_mov_b32 v3, v1
	.p2align	6
.LBB24_53:                              ; =>This Inner Loop Header: Depth=1
	scratch_load_b128 v[15:18], v9, off offset:-8
	ds_load_b128 v[19:22], v8
	v_add_nc_u32_e32 v7, 1, v7
	v_add_nc_u32_e32 v8, 16, v8
	;; [unrolled: 1-line block ×3, first 2 shown]
	s_delay_alu instid0(VALU_DEP_3) | instskip(SKIP_4) | instid1(VALU_DEP_2)
	v_cmp_lt_u32_e32 vcc_lo, 8, v7
	s_or_b32 s3, vcc_lo, s3
	s_waitcnt vmcnt(0) lgkmcnt(0)
	v_mul_f64 v[10:11], v[21:22], v[17:18]
	v_mul_f64 v[17:18], v[19:20], v[17:18]
	v_fma_f64 v[10:11], v[19:20], v[15:16], -v[10:11]
	s_delay_alu instid0(VALU_DEP_2) | instskip(NEXT) | instid1(VALU_DEP_2)
	v_fma_f64 v[15:16], v[21:22], v[15:16], v[17:18]
	v_add_f64 v[3:4], v[3:4], v[10:11]
	s_delay_alu instid0(VALU_DEP_2)
	v_add_f64 v[1:2], v[1:2], v[15:16]
	s_and_not1_b32 exec_lo, exec_lo, s3
	s_cbranch_execnz .LBB24_53
; %bb.54:
	s_or_b32 exec_lo, exec_lo, s3
	v_mov_b32_e32 v7, 0
	ds_load_b128 v[7:10], v7 offset:160
	s_waitcnt lgkmcnt(0)
	v_mul_f64 v[11:12], v[1:2], v[9:10]
	v_mul_f64 v[15:16], v[3:4], v[9:10]
	s_delay_alu instid0(VALU_DEP_2) | instskip(NEXT) | instid1(VALU_DEP_2)
	v_fma_f64 v[9:10], v[3:4], v[7:8], -v[11:12]
	v_fma_f64 v[11:12], v[1:2], v[7:8], v[15:16]
	scratch_store_b128 off, v[9:12], off offset:160
.LBB24_55:
	s_or_b32 exec_lo, exec_lo, s2
	s_waitcnt_vscnt null, 0x0
	s_barrier
	buffer_gl0_inv
	scratch_load_b128 v[1:4], v96, off
	s_mov_b32 s2, exec_lo
	s_waitcnt vmcnt(0)
	ds_store_b128 v5, v[1:4]
	s_waitcnt lgkmcnt(0)
	s_barrier
	buffer_gl0_inv
	v_cmpx_gt_u32_e32 11, v76
	s_cbranch_execz .LBB24_59
; %bb.56:
	v_dual_mov_b32 v1, 0 :: v_dual_add_nc_u32 v8, 0x190, v13
	v_dual_mov_b32 v2, 0 :: v_dual_add_nc_u32 v7, -1, v76
	v_or_b32_e32 v9, 8, v14
	s_mov_b32 s3, 0
	s_delay_alu instid0(VALU_DEP_2)
	v_dual_mov_b32 v4, v2 :: v_dual_mov_b32 v3, v1
	.p2align	6
.LBB24_57:                              ; =>This Inner Loop Header: Depth=1
	scratch_load_b128 v[15:18], v9, off offset:-8
	ds_load_b128 v[19:22], v8
	v_add_nc_u32_e32 v7, 1, v7
	v_add_nc_u32_e32 v8, 16, v8
	;; [unrolled: 1-line block ×3, first 2 shown]
	s_delay_alu instid0(VALU_DEP_3) | instskip(SKIP_4) | instid1(VALU_DEP_2)
	v_cmp_lt_u32_e32 vcc_lo, 9, v7
	s_or_b32 s3, vcc_lo, s3
	s_waitcnt vmcnt(0) lgkmcnt(0)
	v_mul_f64 v[10:11], v[21:22], v[17:18]
	v_mul_f64 v[17:18], v[19:20], v[17:18]
	v_fma_f64 v[10:11], v[19:20], v[15:16], -v[10:11]
	s_delay_alu instid0(VALU_DEP_2) | instskip(NEXT) | instid1(VALU_DEP_2)
	v_fma_f64 v[15:16], v[21:22], v[15:16], v[17:18]
	v_add_f64 v[3:4], v[3:4], v[10:11]
	s_delay_alu instid0(VALU_DEP_2)
	v_add_f64 v[1:2], v[1:2], v[15:16]
	s_and_not1_b32 exec_lo, exec_lo, s3
	s_cbranch_execnz .LBB24_57
; %bb.58:
	s_or_b32 exec_lo, exec_lo, s3
	v_mov_b32_e32 v7, 0
	ds_load_b128 v[7:10], v7 offset:176
	s_waitcnt lgkmcnt(0)
	v_mul_f64 v[11:12], v[1:2], v[9:10]
	v_mul_f64 v[15:16], v[3:4], v[9:10]
	s_delay_alu instid0(VALU_DEP_2) | instskip(NEXT) | instid1(VALU_DEP_2)
	v_fma_f64 v[9:10], v[3:4], v[7:8], -v[11:12]
	v_fma_f64 v[11:12], v[1:2], v[7:8], v[15:16]
	scratch_store_b128 off, v[9:12], off offset:176
.LBB24_59:
	s_or_b32 exec_lo, exec_lo, s2
	s_waitcnt_vscnt null, 0x0
	s_barrier
	buffer_gl0_inv
	scratch_load_b128 v[1:4], v93, off
	s_mov_b32 s2, exec_lo
	s_waitcnt vmcnt(0)
	ds_store_b128 v5, v[1:4]
	s_waitcnt lgkmcnt(0)
	s_barrier
	buffer_gl0_inv
	v_cmpx_gt_u32_e32 12, v76
	s_cbranch_execz .LBB24_63
; %bb.60:
	v_dual_mov_b32 v1, 0 :: v_dual_add_nc_u32 v8, 0x190, v13
	v_dual_mov_b32 v2, 0 :: v_dual_add_nc_u32 v7, -1, v76
	v_or_b32_e32 v9, 8, v14
	s_mov_b32 s3, 0
	s_delay_alu instid0(VALU_DEP_2)
	v_dual_mov_b32 v4, v2 :: v_dual_mov_b32 v3, v1
	.p2align	6
.LBB24_61:                              ; =>This Inner Loop Header: Depth=1
	scratch_load_b128 v[15:18], v9, off offset:-8
	ds_load_b128 v[19:22], v8
	v_add_nc_u32_e32 v7, 1, v7
	v_add_nc_u32_e32 v8, 16, v8
	;; [unrolled: 1-line block ×3, first 2 shown]
	s_delay_alu instid0(VALU_DEP_3) | instskip(SKIP_4) | instid1(VALU_DEP_2)
	v_cmp_lt_u32_e32 vcc_lo, 10, v7
	s_or_b32 s3, vcc_lo, s3
	s_waitcnt vmcnt(0) lgkmcnt(0)
	v_mul_f64 v[10:11], v[21:22], v[17:18]
	v_mul_f64 v[17:18], v[19:20], v[17:18]
	v_fma_f64 v[10:11], v[19:20], v[15:16], -v[10:11]
	s_delay_alu instid0(VALU_DEP_2) | instskip(NEXT) | instid1(VALU_DEP_2)
	v_fma_f64 v[15:16], v[21:22], v[15:16], v[17:18]
	v_add_f64 v[3:4], v[3:4], v[10:11]
	s_delay_alu instid0(VALU_DEP_2)
	v_add_f64 v[1:2], v[1:2], v[15:16]
	s_and_not1_b32 exec_lo, exec_lo, s3
	s_cbranch_execnz .LBB24_61
; %bb.62:
	s_or_b32 exec_lo, exec_lo, s3
	v_mov_b32_e32 v7, 0
	ds_load_b128 v[7:10], v7 offset:192
	s_waitcnt lgkmcnt(0)
	v_mul_f64 v[11:12], v[1:2], v[9:10]
	v_mul_f64 v[15:16], v[3:4], v[9:10]
	s_delay_alu instid0(VALU_DEP_2) | instskip(NEXT) | instid1(VALU_DEP_2)
	v_fma_f64 v[9:10], v[3:4], v[7:8], -v[11:12]
	v_fma_f64 v[11:12], v[1:2], v[7:8], v[15:16]
	scratch_store_b128 off, v[9:12], off offset:192
.LBB24_63:
	s_or_b32 exec_lo, exec_lo, s2
	s_waitcnt_vscnt null, 0x0
	s_barrier
	buffer_gl0_inv
	scratch_load_b128 v[1:4], v98, off
	s_mov_b32 s2, exec_lo
	s_waitcnt vmcnt(0)
	ds_store_b128 v5, v[1:4]
	s_waitcnt lgkmcnt(0)
	s_barrier
	buffer_gl0_inv
	v_cmpx_gt_u32_e32 13, v76
	s_cbranch_execz .LBB24_67
; %bb.64:
	v_dual_mov_b32 v1, 0 :: v_dual_add_nc_u32 v8, 0x190, v13
	v_dual_mov_b32 v2, 0 :: v_dual_add_nc_u32 v7, -1, v76
	v_or_b32_e32 v9, 8, v14
	s_mov_b32 s3, 0
	s_delay_alu instid0(VALU_DEP_2)
	v_dual_mov_b32 v4, v2 :: v_dual_mov_b32 v3, v1
	.p2align	6
.LBB24_65:                              ; =>This Inner Loop Header: Depth=1
	scratch_load_b128 v[15:18], v9, off offset:-8
	ds_load_b128 v[19:22], v8
	v_add_nc_u32_e32 v7, 1, v7
	v_add_nc_u32_e32 v8, 16, v8
	;; [unrolled: 1-line block ×3, first 2 shown]
	s_delay_alu instid0(VALU_DEP_3) | instskip(SKIP_4) | instid1(VALU_DEP_2)
	v_cmp_lt_u32_e32 vcc_lo, 11, v7
	s_or_b32 s3, vcc_lo, s3
	s_waitcnt vmcnt(0) lgkmcnt(0)
	v_mul_f64 v[10:11], v[21:22], v[17:18]
	v_mul_f64 v[17:18], v[19:20], v[17:18]
	v_fma_f64 v[10:11], v[19:20], v[15:16], -v[10:11]
	s_delay_alu instid0(VALU_DEP_2) | instskip(NEXT) | instid1(VALU_DEP_2)
	v_fma_f64 v[15:16], v[21:22], v[15:16], v[17:18]
	v_add_f64 v[3:4], v[3:4], v[10:11]
	s_delay_alu instid0(VALU_DEP_2)
	v_add_f64 v[1:2], v[1:2], v[15:16]
	s_and_not1_b32 exec_lo, exec_lo, s3
	s_cbranch_execnz .LBB24_65
; %bb.66:
	s_or_b32 exec_lo, exec_lo, s3
	v_mov_b32_e32 v7, 0
	ds_load_b128 v[7:10], v7 offset:208
	s_waitcnt lgkmcnt(0)
	v_mul_f64 v[11:12], v[1:2], v[9:10]
	v_mul_f64 v[15:16], v[3:4], v[9:10]
	s_delay_alu instid0(VALU_DEP_2) | instskip(NEXT) | instid1(VALU_DEP_2)
	v_fma_f64 v[9:10], v[3:4], v[7:8], -v[11:12]
	v_fma_f64 v[11:12], v[1:2], v[7:8], v[15:16]
	scratch_store_b128 off, v[9:12], off offset:208
.LBB24_67:
	s_or_b32 exec_lo, exec_lo, s2
	s_waitcnt_vscnt null, 0x0
	s_barrier
	buffer_gl0_inv
	scratch_load_b128 v[1:4], v95, off
	s_mov_b32 s2, exec_lo
	s_waitcnt vmcnt(0)
	ds_store_b128 v5, v[1:4]
	s_waitcnt lgkmcnt(0)
	s_barrier
	buffer_gl0_inv
	v_cmpx_gt_u32_e32 14, v76
	s_cbranch_execz .LBB24_71
; %bb.68:
	v_dual_mov_b32 v1, 0 :: v_dual_add_nc_u32 v8, 0x190, v13
	v_dual_mov_b32 v2, 0 :: v_dual_add_nc_u32 v7, -1, v76
	v_or_b32_e32 v9, 8, v14
	s_mov_b32 s3, 0
	s_delay_alu instid0(VALU_DEP_2)
	v_dual_mov_b32 v4, v2 :: v_dual_mov_b32 v3, v1
	.p2align	6
.LBB24_69:                              ; =>This Inner Loop Header: Depth=1
	scratch_load_b128 v[15:18], v9, off offset:-8
	ds_load_b128 v[19:22], v8
	v_add_nc_u32_e32 v7, 1, v7
	v_add_nc_u32_e32 v8, 16, v8
	;; [unrolled: 1-line block ×3, first 2 shown]
	s_delay_alu instid0(VALU_DEP_3) | instskip(SKIP_4) | instid1(VALU_DEP_2)
	v_cmp_lt_u32_e32 vcc_lo, 12, v7
	s_or_b32 s3, vcc_lo, s3
	s_waitcnt vmcnt(0) lgkmcnt(0)
	v_mul_f64 v[10:11], v[21:22], v[17:18]
	v_mul_f64 v[17:18], v[19:20], v[17:18]
	v_fma_f64 v[10:11], v[19:20], v[15:16], -v[10:11]
	s_delay_alu instid0(VALU_DEP_2) | instskip(NEXT) | instid1(VALU_DEP_2)
	v_fma_f64 v[15:16], v[21:22], v[15:16], v[17:18]
	v_add_f64 v[3:4], v[3:4], v[10:11]
	s_delay_alu instid0(VALU_DEP_2)
	v_add_f64 v[1:2], v[1:2], v[15:16]
	s_and_not1_b32 exec_lo, exec_lo, s3
	s_cbranch_execnz .LBB24_69
; %bb.70:
	s_or_b32 exec_lo, exec_lo, s3
	v_mov_b32_e32 v7, 0
	ds_load_b128 v[7:10], v7 offset:224
	s_waitcnt lgkmcnt(0)
	v_mul_f64 v[11:12], v[1:2], v[9:10]
	v_mul_f64 v[15:16], v[3:4], v[9:10]
	s_delay_alu instid0(VALU_DEP_2) | instskip(NEXT) | instid1(VALU_DEP_2)
	v_fma_f64 v[9:10], v[3:4], v[7:8], -v[11:12]
	v_fma_f64 v[11:12], v[1:2], v[7:8], v[15:16]
	scratch_store_b128 off, v[9:12], off offset:224
.LBB24_71:
	s_or_b32 exec_lo, exec_lo, s2
	s_waitcnt_vscnt null, 0x0
	s_barrier
	buffer_gl0_inv
	scratch_load_b128 v[1:4], v97, off
	s_mov_b32 s2, exec_lo
	s_waitcnt vmcnt(0)
	ds_store_b128 v5, v[1:4]
	s_waitcnt lgkmcnt(0)
	s_barrier
	buffer_gl0_inv
	v_cmpx_gt_u32_e32 15, v76
	s_cbranch_execz .LBB24_75
; %bb.72:
	v_dual_mov_b32 v1, 0 :: v_dual_add_nc_u32 v8, 0x190, v13
	v_dual_mov_b32 v2, 0 :: v_dual_add_nc_u32 v7, -1, v76
	v_or_b32_e32 v9, 8, v14
	s_mov_b32 s3, 0
	s_delay_alu instid0(VALU_DEP_2)
	v_dual_mov_b32 v4, v2 :: v_dual_mov_b32 v3, v1
	.p2align	6
.LBB24_73:                              ; =>This Inner Loop Header: Depth=1
	scratch_load_b128 v[15:18], v9, off offset:-8
	ds_load_b128 v[19:22], v8
	v_add_nc_u32_e32 v7, 1, v7
	v_add_nc_u32_e32 v8, 16, v8
	;; [unrolled: 1-line block ×3, first 2 shown]
	s_delay_alu instid0(VALU_DEP_3) | instskip(SKIP_4) | instid1(VALU_DEP_2)
	v_cmp_lt_u32_e32 vcc_lo, 13, v7
	s_or_b32 s3, vcc_lo, s3
	s_waitcnt vmcnt(0) lgkmcnt(0)
	v_mul_f64 v[10:11], v[21:22], v[17:18]
	v_mul_f64 v[17:18], v[19:20], v[17:18]
	v_fma_f64 v[10:11], v[19:20], v[15:16], -v[10:11]
	s_delay_alu instid0(VALU_DEP_2) | instskip(NEXT) | instid1(VALU_DEP_2)
	v_fma_f64 v[15:16], v[21:22], v[15:16], v[17:18]
	v_add_f64 v[3:4], v[3:4], v[10:11]
	s_delay_alu instid0(VALU_DEP_2)
	v_add_f64 v[1:2], v[1:2], v[15:16]
	s_and_not1_b32 exec_lo, exec_lo, s3
	s_cbranch_execnz .LBB24_73
; %bb.74:
	s_or_b32 exec_lo, exec_lo, s3
	v_mov_b32_e32 v7, 0
	ds_load_b128 v[7:10], v7 offset:240
	s_waitcnt lgkmcnt(0)
	v_mul_f64 v[11:12], v[1:2], v[9:10]
	v_mul_f64 v[15:16], v[3:4], v[9:10]
	s_delay_alu instid0(VALU_DEP_2) | instskip(NEXT) | instid1(VALU_DEP_2)
	v_fma_f64 v[9:10], v[3:4], v[7:8], -v[11:12]
	v_fma_f64 v[11:12], v[1:2], v[7:8], v[15:16]
	scratch_store_b128 off, v[9:12], off offset:240
.LBB24_75:
	s_or_b32 exec_lo, exec_lo, s2
	s_waitcnt_vscnt null, 0x0
	s_barrier
	buffer_gl0_inv
	scratch_load_b128 v[1:4], v94, off
	s_mov_b32 s2, exec_lo
	s_waitcnt vmcnt(0)
	ds_store_b128 v5, v[1:4]
	s_waitcnt lgkmcnt(0)
	s_barrier
	buffer_gl0_inv
	v_cmpx_gt_u32_e32 16, v76
	s_cbranch_execz .LBB24_79
; %bb.76:
	v_dual_mov_b32 v1, 0 :: v_dual_add_nc_u32 v8, 0x190, v13
	v_dual_mov_b32 v2, 0 :: v_dual_add_nc_u32 v7, -1, v76
	v_or_b32_e32 v9, 8, v14
	s_mov_b32 s3, 0
	s_delay_alu instid0(VALU_DEP_2)
	v_dual_mov_b32 v4, v2 :: v_dual_mov_b32 v3, v1
	.p2align	6
.LBB24_77:                              ; =>This Inner Loop Header: Depth=1
	scratch_load_b128 v[15:18], v9, off offset:-8
	ds_load_b128 v[19:22], v8
	v_add_nc_u32_e32 v7, 1, v7
	v_add_nc_u32_e32 v8, 16, v8
	v_add_nc_u32_e32 v9, 16, v9
	s_delay_alu instid0(VALU_DEP_3) | instskip(SKIP_4) | instid1(VALU_DEP_2)
	v_cmp_lt_u32_e32 vcc_lo, 14, v7
	s_or_b32 s3, vcc_lo, s3
	s_waitcnt vmcnt(0) lgkmcnt(0)
	v_mul_f64 v[10:11], v[21:22], v[17:18]
	v_mul_f64 v[17:18], v[19:20], v[17:18]
	v_fma_f64 v[10:11], v[19:20], v[15:16], -v[10:11]
	s_delay_alu instid0(VALU_DEP_2) | instskip(NEXT) | instid1(VALU_DEP_2)
	v_fma_f64 v[15:16], v[21:22], v[15:16], v[17:18]
	v_add_f64 v[3:4], v[3:4], v[10:11]
	s_delay_alu instid0(VALU_DEP_2)
	v_add_f64 v[1:2], v[1:2], v[15:16]
	s_and_not1_b32 exec_lo, exec_lo, s3
	s_cbranch_execnz .LBB24_77
; %bb.78:
	s_or_b32 exec_lo, exec_lo, s3
	v_mov_b32_e32 v7, 0
	ds_load_b128 v[7:10], v7 offset:256
	s_waitcnt lgkmcnt(0)
	v_mul_f64 v[11:12], v[1:2], v[9:10]
	v_mul_f64 v[15:16], v[3:4], v[9:10]
	s_delay_alu instid0(VALU_DEP_2) | instskip(NEXT) | instid1(VALU_DEP_2)
	v_fma_f64 v[9:10], v[3:4], v[7:8], -v[11:12]
	v_fma_f64 v[11:12], v[1:2], v[7:8], v[15:16]
	scratch_store_b128 off, v[9:12], off offset:256
.LBB24_79:
	s_or_b32 exec_lo, exec_lo, s2
	s_waitcnt_vscnt null, 0x0
	s_barrier
	buffer_gl0_inv
	scratch_load_b128 v[1:4], v100, off
	s_mov_b32 s2, exec_lo
	s_waitcnt vmcnt(0)
	ds_store_b128 v5, v[1:4]
	s_waitcnt lgkmcnt(0)
	s_barrier
	buffer_gl0_inv
	v_cmpx_gt_u32_e32 17, v76
	s_cbranch_execz .LBB24_83
; %bb.80:
	v_dual_mov_b32 v1, 0 :: v_dual_add_nc_u32 v8, 0x190, v13
	v_dual_mov_b32 v2, 0 :: v_dual_add_nc_u32 v7, -1, v76
	v_or_b32_e32 v9, 8, v14
	s_mov_b32 s3, 0
	s_delay_alu instid0(VALU_DEP_2)
	v_dual_mov_b32 v4, v2 :: v_dual_mov_b32 v3, v1
	.p2align	6
.LBB24_81:                              ; =>This Inner Loop Header: Depth=1
	scratch_load_b128 v[15:18], v9, off offset:-8
	ds_load_b128 v[19:22], v8
	v_add_nc_u32_e32 v7, 1, v7
	v_add_nc_u32_e32 v8, 16, v8
	;; [unrolled: 1-line block ×3, first 2 shown]
	s_delay_alu instid0(VALU_DEP_3) | instskip(SKIP_4) | instid1(VALU_DEP_2)
	v_cmp_lt_u32_e32 vcc_lo, 15, v7
	s_or_b32 s3, vcc_lo, s3
	s_waitcnt vmcnt(0) lgkmcnt(0)
	v_mul_f64 v[10:11], v[21:22], v[17:18]
	v_mul_f64 v[17:18], v[19:20], v[17:18]
	v_fma_f64 v[10:11], v[19:20], v[15:16], -v[10:11]
	s_delay_alu instid0(VALU_DEP_2) | instskip(NEXT) | instid1(VALU_DEP_2)
	v_fma_f64 v[15:16], v[21:22], v[15:16], v[17:18]
	v_add_f64 v[3:4], v[3:4], v[10:11]
	s_delay_alu instid0(VALU_DEP_2)
	v_add_f64 v[1:2], v[1:2], v[15:16]
	s_and_not1_b32 exec_lo, exec_lo, s3
	s_cbranch_execnz .LBB24_81
; %bb.82:
	s_or_b32 exec_lo, exec_lo, s3
	v_mov_b32_e32 v7, 0
	ds_load_b128 v[7:10], v7 offset:272
	s_waitcnt lgkmcnt(0)
	v_mul_f64 v[11:12], v[1:2], v[9:10]
	v_mul_f64 v[15:16], v[3:4], v[9:10]
	s_delay_alu instid0(VALU_DEP_2) | instskip(NEXT) | instid1(VALU_DEP_2)
	v_fma_f64 v[9:10], v[3:4], v[7:8], -v[11:12]
	v_fma_f64 v[11:12], v[1:2], v[7:8], v[15:16]
	scratch_store_b128 off, v[9:12], off offset:272
.LBB24_83:
	s_or_b32 exec_lo, exec_lo, s2
	s_waitcnt_vscnt null, 0x0
	s_barrier
	buffer_gl0_inv
	scratch_load_b128 v[1:4], v99, off
	s_mov_b32 s2, exec_lo
	s_waitcnt vmcnt(0)
	ds_store_b128 v5, v[1:4]
	s_waitcnt lgkmcnt(0)
	s_barrier
	buffer_gl0_inv
	v_cmpx_gt_u32_e32 18, v76
	s_cbranch_execz .LBB24_87
; %bb.84:
	v_dual_mov_b32 v1, 0 :: v_dual_add_nc_u32 v8, 0x190, v13
	v_dual_mov_b32 v2, 0 :: v_dual_add_nc_u32 v7, -1, v76
	v_or_b32_e32 v9, 8, v14
	s_mov_b32 s3, 0
	s_delay_alu instid0(VALU_DEP_2)
	v_dual_mov_b32 v4, v2 :: v_dual_mov_b32 v3, v1
	.p2align	6
.LBB24_85:                              ; =>This Inner Loop Header: Depth=1
	scratch_load_b128 v[15:18], v9, off offset:-8
	ds_load_b128 v[19:22], v8
	v_add_nc_u32_e32 v7, 1, v7
	v_add_nc_u32_e32 v8, 16, v8
	;; [unrolled: 1-line block ×3, first 2 shown]
	s_delay_alu instid0(VALU_DEP_3) | instskip(SKIP_4) | instid1(VALU_DEP_2)
	v_cmp_lt_u32_e32 vcc_lo, 16, v7
	s_or_b32 s3, vcc_lo, s3
	s_waitcnt vmcnt(0) lgkmcnt(0)
	v_mul_f64 v[10:11], v[21:22], v[17:18]
	v_mul_f64 v[17:18], v[19:20], v[17:18]
	v_fma_f64 v[10:11], v[19:20], v[15:16], -v[10:11]
	s_delay_alu instid0(VALU_DEP_2) | instskip(NEXT) | instid1(VALU_DEP_2)
	v_fma_f64 v[15:16], v[21:22], v[15:16], v[17:18]
	v_add_f64 v[3:4], v[3:4], v[10:11]
	s_delay_alu instid0(VALU_DEP_2)
	v_add_f64 v[1:2], v[1:2], v[15:16]
	s_and_not1_b32 exec_lo, exec_lo, s3
	s_cbranch_execnz .LBB24_85
; %bb.86:
	s_or_b32 exec_lo, exec_lo, s3
	v_mov_b32_e32 v7, 0
	ds_load_b128 v[7:10], v7 offset:288
	s_waitcnt lgkmcnt(0)
	v_mul_f64 v[11:12], v[1:2], v[9:10]
	v_mul_f64 v[15:16], v[3:4], v[9:10]
	s_delay_alu instid0(VALU_DEP_2) | instskip(NEXT) | instid1(VALU_DEP_2)
	v_fma_f64 v[9:10], v[3:4], v[7:8], -v[11:12]
	v_fma_f64 v[11:12], v[1:2], v[7:8], v[15:16]
	scratch_store_b128 off, v[9:12], off offset:288
.LBB24_87:
	s_or_b32 exec_lo, exec_lo, s2
	s_waitcnt_vscnt null, 0x0
	s_barrier
	buffer_gl0_inv
	scratch_load_b128 v[1:4], v86, off
	s_mov_b32 s2, exec_lo
	s_waitcnt vmcnt(0)
	ds_store_b128 v5, v[1:4]
	s_waitcnt lgkmcnt(0)
	s_barrier
	buffer_gl0_inv
	v_cmpx_gt_u32_e32 19, v76
	s_cbranch_execz .LBB24_91
; %bb.88:
	v_dual_mov_b32 v1, 0 :: v_dual_add_nc_u32 v8, 0x190, v13
	v_dual_mov_b32 v2, 0 :: v_dual_add_nc_u32 v7, -1, v76
	v_or_b32_e32 v9, 8, v14
	s_mov_b32 s3, 0
	s_delay_alu instid0(VALU_DEP_2)
	v_dual_mov_b32 v4, v2 :: v_dual_mov_b32 v3, v1
	.p2align	6
.LBB24_89:                              ; =>This Inner Loop Header: Depth=1
	scratch_load_b128 v[15:18], v9, off offset:-8
	ds_load_b128 v[19:22], v8
	v_add_nc_u32_e32 v7, 1, v7
	v_add_nc_u32_e32 v8, 16, v8
	;; [unrolled: 1-line block ×3, first 2 shown]
	s_delay_alu instid0(VALU_DEP_3) | instskip(SKIP_4) | instid1(VALU_DEP_2)
	v_cmp_lt_u32_e32 vcc_lo, 17, v7
	s_or_b32 s3, vcc_lo, s3
	s_waitcnt vmcnt(0) lgkmcnt(0)
	v_mul_f64 v[10:11], v[21:22], v[17:18]
	v_mul_f64 v[17:18], v[19:20], v[17:18]
	v_fma_f64 v[10:11], v[19:20], v[15:16], -v[10:11]
	s_delay_alu instid0(VALU_DEP_2) | instskip(NEXT) | instid1(VALU_DEP_2)
	v_fma_f64 v[15:16], v[21:22], v[15:16], v[17:18]
	v_add_f64 v[3:4], v[3:4], v[10:11]
	s_delay_alu instid0(VALU_DEP_2)
	v_add_f64 v[1:2], v[1:2], v[15:16]
	s_and_not1_b32 exec_lo, exec_lo, s3
	s_cbranch_execnz .LBB24_89
; %bb.90:
	s_or_b32 exec_lo, exec_lo, s3
	v_mov_b32_e32 v7, 0
	ds_load_b128 v[7:10], v7 offset:304
	s_waitcnt lgkmcnt(0)
	v_mul_f64 v[11:12], v[1:2], v[9:10]
	v_mul_f64 v[15:16], v[3:4], v[9:10]
	s_delay_alu instid0(VALU_DEP_2) | instskip(NEXT) | instid1(VALU_DEP_2)
	v_fma_f64 v[9:10], v[3:4], v[7:8], -v[11:12]
	v_fma_f64 v[11:12], v[1:2], v[7:8], v[15:16]
	scratch_store_b128 off, v[9:12], off offset:304
.LBB24_91:
	s_or_b32 exec_lo, exec_lo, s2
	s_waitcnt_vscnt null, 0x0
	s_barrier
	buffer_gl0_inv
	scratch_load_b128 v[1:4], v89, off
	s_mov_b32 s2, exec_lo
	s_waitcnt vmcnt(0)
	ds_store_b128 v5, v[1:4]
	s_waitcnt lgkmcnt(0)
	s_barrier
	buffer_gl0_inv
	v_cmpx_gt_u32_e32 20, v76
	s_cbranch_execz .LBB24_95
; %bb.92:
	v_dual_mov_b32 v1, 0 :: v_dual_add_nc_u32 v8, 0x190, v13
	v_dual_mov_b32 v2, 0 :: v_dual_add_nc_u32 v7, -1, v76
	v_or_b32_e32 v9, 8, v14
	s_mov_b32 s3, 0
	s_delay_alu instid0(VALU_DEP_2)
	v_dual_mov_b32 v4, v2 :: v_dual_mov_b32 v3, v1
	.p2align	6
.LBB24_93:                              ; =>This Inner Loop Header: Depth=1
	scratch_load_b128 v[15:18], v9, off offset:-8
	ds_load_b128 v[19:22], v8
	v_add_nc_u32_e32 v7, 1, v7
	v_add_nc_u32_e32 v8, 16, v8
	;; [unrolled: 1-line block ×3, first 2 shown]
	s_delay_alu instid0(VALU_DEP_3) | instskip(SKIP_4) | instid1(VALU_DEP_2)
	v_cmp_lt_u32_e32 vcc_lo, 18, v7
	s_or_b32 s3, vcc_lo, s3
	s_waitcnt vmcnt(0) lgkmcnt(0)
	v_mul_f64 v[10:11], v[21:22], v[17:18]
	v_mul_f64 v[17:18], v[19:20], v[17:18]
	v_fma_f64 v[10:11], v[19:20], v[15:16], -v[10:11]
	s_delay_alu instid0(VALU_DEP_2) | instskip(NEXT) | instid1(VALU_DEP_2)
	v_fma_f64 v[15:16], v[21:22], v[15:16], v[17:18]
	v_add_f64 v[3:4], v[3:4], v[10:11]
	s_delay_alu instid0(VALU_DEP_2)
	v_add_f64 v[1:2], v[1:2], v[15:16]
	s_and_not1_b32 exec_lo, exec_lo, s3
	s_cbranch_execnz .LBB24_93
; %bb.94:
	s_or_b32 exec_lo, exec_lo, s3
	v_mov_b32_e32 v7, 0
	ds_load_b128 v[7:10], v7 offset:320
	s_waitcnt lgkmcnt(0)
	v_mul_f64 v[11:12], v[1:2], v[9:10]
	v_mul_f64 v[15:16], v[3:4], v[9:10]
	s_delay_alu instid0(VALU_DEP_2) | instskip(NEXT) | instid1(VALU_DEP_2)
	v_fma_f64 v[9:10], v[3:4], v[7:8], -v[11:12]
	v_fma_f64 v[11:12], v[1:2], v[7:8], v[15:16]
	scratch_store_b128 off, v[9:12], off offset:320
.LBB24_95:
	s_or_b32 exec_lo, exec_lo, s2
	s_waitcnt_vscnt null, 0x0
	s_barrier
	buffer_gl0_inv
	scratch_load_b128 v[1:4], v88, off
	s_mov_b32 s2, exec_lo
	s_waitcnt vmcnt(0)
	ds_store_b128 v5, v[1:4]
	s_waitcnt lgkmcnt(0)
	s_barrier
	buffer_gl0_inv
	v_cmpx_gt_u32_e32 21, v76
	s_cbranch_execz .LBB24_99
; %bb.96:
	v_dual_mov_b32 v1, 0 :: v_dual_add_nc_u32 v8, 0x190, v13
	v_dual_mov_b32 v2, 0 :: v_dual_add_nc_u32 v7, -1, v76
	v_or_b32_e32 v9, 8, v14
	s_mov_b32 s3, 0
	s_delay_alu instid0(VALU_DEP_2)
	v_dual_mov_b32 v4, v2 :: v_dual_mov_b32 v3, v1
	.p2align	6
.LBB24_97:                              ; =>This Inner Loop Header: Depth=1
	scratch_load_b128 v[15:18], v9, off offset:-8
	ds_load_b128 v[19:22], v8
	v_add_nc_u32_e32 v7, 1, v7
	v_add_nc_u32_e32 v8, 16, v8
	v_add_nc_u32_e32 v9, 16, v9
	s_delay_alu instid0(VALU_DEP_3) | instskip(SKIP_4) | instid1(VALU_DEP_2)
	v_cmp_lt_u32_e32 vcc_lo, 19, v7
	s_or_b32 s3, vcc_lo, s3
	s_waitcnt vmcnt(0) lgkmcnt(0)
	v_mul_f64 v[10:11], v[21:22], v[17:18]
	v_mul_f64 v[17:18], v[19:20], v[17:18]
	v_fma_f64 v[10:11], v[19:20], v[15:16], -v[10:11]
	s_delay_alu instid0(VALU_DEP_2) | instskip(NEXT) | instid1(VALU_DEP_2)
	v_fma_f64 v[15:16], v[21:22], v[15:16], v[17:18]
	v_add_f64 v[3:4], v[3:4], v[10:11]
	s_delay_alu instid0(VALU_DEP_2)
	v_add_f64 v[1:2], v[1:2], v[15:16]
	s_and_not1_b32 exec_lo, exec_lo, s3
	s_cbranch_execnz .LBB24_97
; %bb.98:
	s_or_b32 exec_lo, exec_lo, s3
	v_mov_b32_e32 v7, 0
	ds_load_b128 v[7:10], v7 offset:336
	s_waitcnt lgkmcnt(0)
	v_mul_f64 v[11:12], v[1:2], v[9:10]
	v_mul_f64 v[15:16], v[3:4], v[9:10]
	s_delay_alu instid0(VALU_DEP_2) | instskip(NEXT) | instid1(VALU_DEP_2)
	v_fma_f64 v[9:10], v[3:4], v[7:8], -v[11:12]
	v_fma_f64 v[11:12], v[1:2], v[7:8], v[15:16]
	scratch_store_b128 off, v[9:12], off offset:336
.LBB24_99:
	s_or_b32 exec_lo, exec_lo, s2
	s_waitcnt_vscnt null, 0x0
	s_barrier
	buffer_gl0_inv
	scratch_load_b128 v[1:4], v92, off
	s_mov_b32 s2, exec_lo
	s_waitcnt vmcnt(0)
	ds_store_b128 v5, v[1:4]
	s_waitcnt lgkmcnt(0)
	s_barrier
	buffer_gl0_inv
	v_cmpx_gt_u32_e32 22, v76
	s_cbranch_execz .LBB24_103
; %bb.100:
	v_dual_mov_b32 v1, 0 :: v_dual_add_nc_u32 v8, 0x190, v13
	v_dual_mov_b32 v2, 0 :: v_dual_add_nc_u32 v7, -1, v76
	v_or_b32_e32 v9, 8, v14
	s_mov_b32 s3, 0
	s_delay_alu instid0(VALU_DEP_2)
	v_dual_mov_b32 v4, v2 :: v_dual_mov_b32 v3, v1
	.p2align	6
.LBB24_101:                             ; =>This Inner Loop Header: Depth=1
	scratch_load_b128 v[15:18], v9, off offset:-8
	ds_load_b128 v[19:22], v8
	v_add_nc_u32_e32 v7, 1, v7
	v_add_nc_u32_e32 v8, 16, v8
	;; [unrolled: 1-line block ×3, first 2 shown]
	s_delay_alu instid0(VALU_DEP_3) | instskip(SKIP_4) | instid1(VALU_DEP_2)
	v_cmp_lt_u32_e32 vcc_lo, 20, v7
	s_or_b32 s3, vcc_lo, s3
	s_waitcnt vmcnt(0) lgkmcnt(0)
	v_mul_f64 v[10:11], v[21:22], v[17:18]
	v_mul_f64 v[17:18], v[19:20], v[17:18]
	v_fma_f64 v[10:11], v[19:20], v[15:16], -v[10:11]
	s_delay_alu instid0(VALU_DEP_2) | instskip(NEXT) | instid1(VALU_DEP_2)
	v_fma_f64 v[15:16], v[21:22], v[15:16], v[17:18]
	v_add_f64 v[3:4], v[3:4], v[10:11]
	s_delay_alu instid0(VALU_DEP_2)
	v_add_f64 v[1:2], v[1:2], v[15:16]
	s_and_not1_b32 exec_lo, exec_lo, s3
	s_cbranch_execnz .LBB24_101
; %bb.102:
	s_or_b32 exec_lo, exec_lo, s3
	v_mov_b32_e32 v7, 0
	ds_load_b128 v[7:10], v7 offset:352
	s_waitcnt lgkmcnt(0)
	v_mul_f64 v[11:12], v[1:2], v[9:10]
	v_mul_f64 v[15:16], v[3:4], v[9:10]
	s_delay_alu instid0(VALU_DEP_2) | instskip(NEXT) | instid1(VALU_DEP_2)
	v_fma_f64 v[9:10], v[3:4], v[7:8], -v[11:12]
	v_fma_f64 v[11:12], v[1:2], v[7:8], v[15:16]
	scratch_store_b128 off, v[9:12], off offset:352
.LBB24_103:
	s_or_b32 exec_lo, exec_lo, s2
	s_waitcnt_vscnt null, 0x0
	s_barrier
	buffer_gl0_inv
	scratch_load_b128 v[1:4], v91, off
	s_mov_b32 s2, exec_lo
	s_waitcnt vmcnt(0)
	ds_store_b128 v5, v[1:4]
	s_waitcnt lgkmcnt(0)
	s_barrier
	buffer_gl0_inv
	v_cmpx_gt_u32_e32 23, v76
	s_cbranch_execz .LBB24_107
; %bb.104:
	v_dual_mov_b32 v1, 0 :: v_dual_add_nc_u32 v8, 0x190, v13
	v_dual_mov_b32 v2, 0 :: v_dual_add_nc_u32 v7, -1, v76
	v_or_b32_e32 v9, 8, v14
	s_mov_b32 s3, 0
	s_delay_alu instid0(VALU_DEP_2)
	v_dual_mov_b32 v4, v2 :: v_dual_mov_b32 v3, v1
	.p2align	6
.LBB24_105:                             ; =>This Inner Loop Header: Depth=1
	scratch_load_b128 v[10:13], v9, off offset:-8
	ds_load_b128 v[15:18], v8
	v_add_nc_u32_e32 v7, 1, v7
	v_add_nc_u32_e32 v8, 16, v8
	;; [unrolled: 1-line block ×3, first 2 shown]
	s_delay_alu instid0(VALU_DEP_3) | instskip(SKIP_4) | instid1(VALU_DEP_2)
	v_cmp_lt_u32_e32 vcc_lo, 21, v7
	s_or_b32 s3, vcc_lo, s3
	s_waitcnt vmcnt(0) lgkmcnt(0)
	v_mul_f64 v[19:20], v[17:18], v[12:13]
	v_mul_f64 v[12:13], v[15:16], v[12:13]
	v_fma_f64 v[15:16], v[15:16], v[10:11], -v[19:20]
	s_delay_alu instid0(VALU_DEP_2) | instskip(NEXT) | instid1(VALU_DEP_2)
	v_fma_f64 v[10:11], v[17:18], v[10:11], v[12:13]
	v_add_f64 v[3:4], v[3:4], v[15:16]
	s_delay_alu instid0(VALU_DEP_2)
	v_add_f64 v[1:2], v[1:2], v[10:11]
	s_and_not1_b32 exec_lo, exec_lo, s3
	s_cbranch_execnz .LBB24_105
; %bb.106:
	s_or_b32 exec_lo, exec_lo, s3
	v_mov_b32_e32 v7, 0
	ds_load_b128 v[7:10], v7 offset:368
	s_waitcnt lgkmcnt(0)
	v_mul_f64 v[11:12], v[1:2], v[9:10]
	v_mul_f64 v[15:16], v[3:4], v[9:10]
	s_delay_alu instid0(VALU_DEP_2) | instskip(NEXT) | instid1(VALU_DEP_2)
	v_fma_f64 v[9:10], v[3:4], v[7:8], -v[11:12]
	v_fma_f64 v[11:12], v[1:2], v[7:8], v[15:16]
	scratch_store_b128 off, v[9:12], off offset:368
.LBB24_107:
	s_or_b32 exec_lo, exec_lo, s2
	s_waitcnt_vscnt null, 0x0
	s_barrier
	buffer_gl0_inv
	scratch_load_b128 v[1:4], v90, off
	s_mov_b32 s2, exec_lo
	s_waitcnt vmcnt(0)
	ds_store_b128 v5, v[1:4]
	s_waitcnt lgkmcnt(0)
	s_barrier
	buffer_gl0_inv
	v_cmpx_ne_u32_e32 24, v76
	s_cbranch_execz .LBB24_111
; %bb.108:
	v_mov_b32_e32 v1, 0
	v_mov_b32_e32 v2, 0
	v_or_b32_e32 v7, 8, v14
	s_mov_b32 s3, 0
	s_delay_alu instid0(VALU_DEP_2)
	v_dual_mov_b32 v4, v2 :: v_dual_mov_b32 v3, v1
	.p2align	6
.LBB24_109:                             ; =>This Inner Loop Header: Depth=1
	scratch_load_b128 v[8:11], v7, off offset:-8
	ds_load_b128 v[12:15], v5
	v_add_nc_u32_e32 v6, 1, v6
	v_add_nc_u32_e32 v5, 16, v5
	;; [unrolled: 1-line block ×3, first 2 shown]
	s_delay_alu instid0(VALU_DEP_3) | instskip(SKIP_4) | instid1(VALU_DEP_2)
	v_cmp_lt_u32_e32 vcc_lo, 22, v6
	s_or_b32 s3, vcc_lo, s3
	s_waitcnt vmcnt(0) lgkmcnt(0)
	v_mul_f64 v[16:17], v[14:15], v[10:11]
	v_mul_f64 v[10:11], v[12:13], v[10:11]
	v_fma_f64 v[12:13], v[12:13], v[8:9], -v[16:17]
	s_delay_alu instid0(VALU_DEP_2) | instskip(NEXT) | instid1(VALU_DEP_2)
	v_fma_f64 v[8:9], v[14:15], v[8:9], v[10:11]
	v_add_f64 v[3:4], v[3:4], v[12:13]
	s_delay_alu instid0(VALU_DEP_2)
	v_add_f64 v[1:2], v[1:2], v[8:9]
	s_and_not1_b32 exec_lo, exec_lo, s3
	s_cbranch_execnz .LBB24_109
; %bb.110:
	s_or_b32 exec_lo, exec_lo, s3
	v_mov_b32_e32 v5, 0
	ds_load_b128 v[5:8], v5 offset:384
	s_waitcnt lgkmcnt(0)
	v_mul_f64 v[9:10], v[1:2], v[7:8]
	v_mul_f64 v[7:8], v[3:4], v[7:8]
	s_delay_alu instid0(VALU_DEP_2) | instskip(NEXT) | instid1(VALU_DEP_2)
	v_fma_f64 v[3:4], v[3:4], v[5:6], -v[9:10]
	v_fma_f64 v[5:6], v[1:2], v[5:6], v[7:8]
	scratch_store_b128 off, v[3:6], off offset:384
.LBB24_111:
	s_or_b32 exec_lo, exec_lo, s2
	s_mov_b32 s3, -1
	s_waitcnt_vscnt null, 0x0
	s_barrier
	buffer_gl0_inv
.LBB24_112:
	s_and_b32 vcc_lo, exec_lo, s3
	s_cbranch_vccz .LBB24_114
; %bb.113:
	s_lshl_b64 s[2:3], s[18:19], 2
	v_mov_b32_e32 v1, 0
	s_add_u32 s2, s6, s2
	s_addc_u32 s3, s7, s3
	global_load_b32 v1, v1, s[2:3]
	s_waitcnt vmcnt(0)
	v_cmp_ne_u32_e32 vcc_lo, 0, v1
	s_cbranch_vccz .LBB24_115
.LBB24_114:
	s_endpgm
.LBB24_115:
	v_lshl_add_u32 v18, v76, 4, 0x190
	s_mov_b32 s2, exec_lo
	v_cmpx_eq_u32_e32 24, v76
	s_cbranch_execz .LBB24_117
; %bb.116:
	scratch_load_b128 v[1:4], v91, off
	v_mov_b32_e32 v5, 0
	s_delay_alu instid0(VALU_DEP_1)
	v_mov_b32_e32 v6, v5
	v_mov_b32_e32 v7, v5
	;; [unrolled: 1-line block ×3, first 2 shown]
	scratch_store_b128 off, v[5:8], off offset:368
	s_waitcnt vmcnt(0)
	ds_store_b128 v18, v[1:4]
.LBB24_117:
	s_or_b32 exec_lo, exec_lo, s2
	s_waitcnt lgkmcnt(0)
	s_waitcnt_vscnt null, 0x0
	s_barrier
	buffer_gl0_inv
	s_clause 0x1
	scratch_load_b128 v[2:5], off, off offset:384
	scratch_load_b128 v[6:9], off, off offset:368
	v_mov_b32_e32 v1, 0
	s_mov_b32 s2, exec_lo
	ds_load_b128 v[10:13], v1 offset:784
	s_waitcnt vmcnt(1) lgkmcnt(0)
	v_mul_f64 v[14:15], v[12:13], v[4:5]
	v_mul_f64 v[4:5], v[10:11], v[4:5]
	s_delay_alu instid0(VALU_DEP_2) | instskip(NEXT) | instid1(VALU_DEP_2)
	v_fma_f64 v[10:11], v[10:11], v[2:3], -v[14:15]
	v_fma_f64 v[2:3], v[12:13], v[2:3], v[4:5]
	s_delay_alu instid0(VALU_DEP_2) | instskip(NEXT) | instid1(VALU_DEP_2)
	v_add_f64 v[4:5], v[10:11], 0
	v_add_f64 v[10:11], v[2:3], 0
	s_waitcnt vmcnt(0)
	s_delay_alu instid0(VALU_DEP_2) | instskip(NEXT) | instid1(VALU_DEP_2)
	v_add_f64 v[2:3], v[6:7], -v[4:5]
	v_add_f64 v[4:5], v[8:9], -v[10:11]
	scratch_store_b128 off, v[2:5], off offset:368
	v_cmpx_lt_u32_e32 22, v76
	s_cbranch_execz .LBB24_119
; %bb.118:
	scratch_load_b128 v[5:8], v92, off
	v_mov_b32_e32 v2, v1
	v_mov_b32_e32 v3, v1
	;; [unrolled: 1-line block ×3, first 2 shown]
	scratch_store_b128 off, v[1:4], off offset:352
	s_waitcnt vmcnt(0)
	ds_store_b128 v18, v[5:8]
.LBB24_119:
	s_or_b32 exec_lo, exec_lo, s2
	s_waitcnt lgkmcnt(0)
	s_waitcnt_vscnt null, 0x0
	s_barrier
	buffer_gl0_inv
	s_clause 0x2
	scratch_load_b128 v[2:5], off, off offset:368
	scratch_load_b128 v[6:9], off, off offset:384
	scratch_load_b128 v[10:13], off, off offset:352
	ds_load_b128 v[14:17], v1 offset:768
	ds_load_b128 v[19:22], v1 offset:784
	s_mov_b32 s2, exec_lo
	s_waitcnt vmcnt(2) lgkmcnt(1)
	v_mul_f64 v[23:24], v[16:17], v[4:5]
	v_mul_f64 v[4:5], v[14:15], v[4:5]
	s_waitcnt vmcnt(1) lgkmcnt(0)
	v_mul_f64 v[101:102], v[19:20], v[8:9]
	v_mul_f64 v[8:9], v[21:22], v[8:9]
	s_delay_alu instid0(VALU_DEP_4) | instskip(NEXT) | instid1(VALU_DEP_4)
	v_fma_f64 v[14:15], v[14:15], v[2:3], -v[23:24]
	v_fma_f64 v[1:2], v[16:17], v[2:3], v[4:5]
	s_delay_alu instid0(VALU_DEP_4) | instskip(NEXT) | instid1(VALU_DEP_4)
	v_fma_f64 v[3:4], v[21:22], v[6:7], v[101:102]
	v_fma_f64 v[5:6], v[19:20], v[6:7], -v[8:9]
	s_delay_alu instid0(VALU_DEP_4) | instskip(NEXT) | instid1(VALU_DEP_4)
	v_add_f64 v[7:8], v[14:15], 0
	v_add_f64 v[1:2], v[1:2], 0
	s_delay_alu instid0(VALU_DEP_2) | instskip(NEXT) | instid1(VALU_DEP_2)
	v_add_f64 v[5:6], v[7:8], v[5:6]
	v_add_f64 v[3:4], v[1:2], v[3:4]
	s_waitcnt vmcnt(0)
	s_delay_alu instid0(VALU_DEP_2) | instskip(NEXT) | instid1(VALU_DEP_2)
	v_add_f64 v[1:2], v[10:11], -v[5:6]
	v_add_f64 v[3:4], v[12:13], -v[3:4]
	scratch_store_b128 off, v[1:4], off offset:352
	v_cmpx_lt_u32_e32 21, v76
	s_cbranch_execz .LBB24_121
; %bb.120:
	scratch_load_b128 v[1:4], v88, off
	v_mov_b32_e32 v5, 0
	s_delay_alu instid0(VALU_DEP_1)
	v_mov_b32_e32 v6, v5
	v_mov_b32_e32 v7, v5
	;; [unrolled: 1-line block ×3, first 2 shown]
	scratch_store_b128 off, v[5:8], off offset:336
	s_waitcnt vmcnt(0)
	ds_store_b128 v18, v[1:4]
.LBB24_121:
	s_or_b32 exec_lo, exec_lo, s2
	s_waitcnt lgkmcnt(0)
	s_waitcnt_vscnt null, 0x0
	s_barrier
	buffer_gl0_inv
	s_clause 0x3
	scratch_load_b128 v[2:5], off, off offset:352
	scratch_load_b128 v[6:9], off, off offset:368
	;; [unrolled: 1-line block ×4, first 2 shown]
	v_mov_b32_e32 v1, 0
	ds_load_b128 v[19:22], v1 offset:752
	ds_load_b128 v[101:104], v1 offset:768
	s_mov_b32 s2, exec_lo
	s_waitcnt vmcnt(3) lgkmcnt(1)
	v_mul_f64 v[23:24], v[21:22], v[4:5]
	v_mul_f64 v[4:5], v[19:20], v[4:5]
	s_waitcnt vmcnt(2) lgkmcnt(0)
	v_mul_f64 v[105:106], v[101:102], v[8:9]
	v_mul_f64 v[8:9], v[103:104], v[8:9]
	s_delay_alu instid0(VALU_DEP_4) | instskip(NEXT) | instid1(VALU_DEP_4)
	v_fma_f64 v[19:20], v[19:20], v[2:3], -v[23:24]
	v_fma_f64 v[21:22], v[21:22], v[2:3], v[4:5]
	ds_load_b128 v[2:5], v1 offset:784
	v_fma_f64 v[103:104], v[103:104], v[6:7], v[105:106]
	v_fma_f64 v[6:7], v[101:102], v[6:7], -v[8:9]
	s_waitcnt vmcnt(1) lgkmcnt(0)
	v_mul_f64 v[23:24], v[2:3], v[12:13]
	v_mul_f64 v[12:13], v[4:5], v[12:13]
	v_add_f64 v[8:9], v[19:20], 0
	v_add_f64 v[19:20], v[21:22], 0
	s_delay_alu instid0(VALU_DEP_4) | instskip(NEXT) | instid1(VALU_DEP_4)
	v_fma_f64 v[4:5], v[4:5], v[10:11], v[23:24]
	v_fma_f64 v[2:3], v[2:3], v[10:11], -v[12:13]
	s_delay_alu instid0(VALU_DEP_4) | instskip(NEXT) | instid1(VALU_DEP_4)
	v_add_f64 v[6:7], v[8:9], v[6:7]
	v_add_f64 v[8:9], v[19:20], v[103:104]
	s_delay_alu instid0(VALU_DEP_2) | instskip(NEXT) | instid1(VALU_DEP_2)
	v_add_f64 v[2:3], v[6:7], v[2:3]
	v_add_f64 v[4:5], v[8:9], v[4:5]
	s_waitcnt vmcnt(0)
	s_delay_alu instid0(VALU_DEP_2) | instskip(NEXT) | instid1(VALU_DEP_2)
	v_add_f64 v[2:3], v[14:15], -v[2:3]
	v_add_f64 v[4:5], v[16:17], -v[4:5]
	scratch_store_b128 off, v[2:5], off offset:336
	v_cmpx_lt_u32_e32 20, v76
	s_cbranch_execz .LBB24_123
; %bb.122:
	scratch_load_b128 v[5:8], v89, off
	v_mov_b32_e32 v2, v1
	v_mov_b32_e32 v3, v1
	;; [unrolled: 1-line block ×3, first 2 shown]
	scratch_store_b128 off, v[1:4], off offset:320
	s_waitcnt vmcnt(0)
	ds_store_b128 v18, v[5:8]
.LBB24_123:
	s_or_b32 exec_lo, exec_lo, s2
	s_waitcnt lgkmcnt(0)
	s_waitcnt_vscnt null, 0x0
	s_barrier
	buffer_gl0_inv
	s_clause 0x4
	scratch_load_b128 v[2:5], off, off offset:336
	scratch_load_b128 v[6:9], off, off offset:352
	scratch_load_b128 v[10:13], off, off offset:368
	scratch_load_b128 v[14:17], off, off offset:384
	scratch_load_b128 v[19:22], off, off offset:320
	ds_load_b128 v[101:104], v1 offset:736
	ds_load_b128 v[105:108], v1 offset:752
	s_mov_b32 s2, exec_lo
	s_waitcnt vmcnt(4) lgkmcnt(1)
	v_mul_f64 v[23:24], v[103:104], v[4:5]
	v_mul_f64 v[4:5], v[101:102], v[4:5]
	s_waitcnt vmcnt(3) lgkmcnt(0)
	v_mul_f64 v[109:110], v[105:106], v[8:9]
	v_mul_f64 v[8:9], v[107:108], v[8:9]
	s_delay_alu instid0(VALU_DEP_4) | instskip(NEXT) | instid1(VALU_DEP_4)
	v_fma_f64 v[23:24], v[101:102], v[2:3], -v[23:24]
	v_fma_f64 v[111:112], v[103:104], v[2:3], v[4:5]
	ds_load_b128 v[2:5], v1 offset:768
	ds_load_b128 v[101:104], v1 offset:784
	v_fma_f64 v[107:108], v[107:108], v[6:7], v[109:110]
	v_fma_f64 v[6:7], v[105:106], v[6:7], -v[8:9]
	s_waitcnt vmcnt(2) lgkmcnt(1)
	v_mul_f64 v[113:114], v[2:3], v[12:13]
	v_mul_f64 v[12:13], v[4:5], v[12:13]
	s_waitcnt vmcnt(1) lgkmcnt(0)
	v_mul_f64 v[105:106], v[101:102], v[16:17]
	v_mul_f64 v[16:17], v[103:104], v[16:17]
	v_add_f64 v[8:9], v[23:24], 0
	v_add_f64 v[23:24], v[111:112], 0
	v_fma_f64 v[4:5], v[4:5], v[10:11], v[113:114]
	v_fma_f64 v[1:2], v[2:3], v[10:11], -v[12:13]
	v_fma_f64 v[10:11], v[103:104], v[14:15], v[105:106]
	v_fma_f64 v[12:13], v[101:102], v[14:15], -v[16:17]
	v_add_f64 v[6:7], v[8:9], v[6:7]
	v_add_f64 v[8:9], v[23:24], v[107:108]
	s_delay_alu instid0(VALU_DEP_2) | instskip(NEXT) | instid1(VALU_DEP_2)
	v_add_f64 v[1:2], v[6:7], v[1:2]
	v_add_f64 v[3:4], v[8:9], v[4:5]
	s_delay_alu instid0(VALU_DEP_2) | instskip(NEXT) | instid1(VALU_DEP_2)
	v_add_f64 v[1:2], v[1:2], v[12:13]
	v_add_f64 v[3:4], v[3:4], v[10:11]
	s_waitcnt vmcnt(0)
	s_delay_alu instid0(VALU_DEP_2) | instskip(NEXT) | instid1(VALU_DEP_2)
	v_add_f64 v[1:2], v[19:20], -v[1:2]
	v_add_f64 v[3:4], v[21:22], -v[3:4]
	scratch_store_b128 off, v[1:4], off offset:320
	v_cmpx_lt_u32_e32 19, v76
	s_cbranch_execz .LBB24_125
; %bb.124:
	scratch_load_b128 v[1:4], v86, off
	v_mov_b32_e32 v5, 0
	s_delay_alu instid0(VALU_DEP_1)
	v_mov_b32_e32 v6, v5
	v_mov_b32_e32 v7, v5
	;; [unrolled: 1-line block ×3, first 2 shown]
	scratch_store_b128 off, v[5:8], off offset:304
	s_waitcnt vmcnt(0)
	ds_store_b128 v18, v[1:4]
.LBB24_125:
	s_or_b32 exec_lo, exec_lo, s2
	s_waitcnt lgkmcnt(0)
	s_waitcnt_vscnt null, 0x0
	s_barrier
	buffer_gl0_inv
	s_clause 0x5
	scratch_load_b128 v[2:5], off, off offset:320
	scratch_load_b128 v[6:9], off, off offset:336
	;; [unrolled: 1-line block ×6, first 2 shown]
	v_mov_b32_e32 v1, 0
	ds_load_b128 v[105:108], v1 offset:720
	ds_load_b128 v[109:112], v1 offset:736
	s_mov_b32 s2, exec_lo
	s_waitcnt vmcnt(5) lgkmcnt(1)
	v_mul_f64 v[23:24], v[107:108], v[4:5]
	v_mul_f64 v[4:5], v[105:106], v[4:5]
	s_waitcnt vmcnt(4) lgkmcnt(0)
	v_mul_f64 v[113:114], v[109:110], v[8:9]
	v_mul_f64 v[8:9], v[111:112], v[8:9]
	s_delay_alu instid0(VALU_DEP_4) | instskip(NEXT) | instid1(VALU_DEP_4)
	v_fma_f64 v[23:24], v[105:106], v[2:3], -v[23:24]
	v_fma_f64 v[115:116], v[107:108], v[2:3], v[4:5]
	ds_load_b128 v[2:5], v1 offset:752
	ds_load_b128 v[105:108], v1 offset:768
	v_fma_f64 v[111:112], v[111:112], v[6:7], v[113:114]
	v_fma_f64 v[6:7], v[109:110], v[6:7], -v[8:9]
	s_waitcnt vmcnt(3) lgkmcnt(1)
	v_mul_f64 v[117:118], v[2:3], v[12:13]
	v_mul_f64 v[12:13], v[4:5], v[12:13]
	s_waitcnt vmcnt(2) lgkmcnt(0)
	v_mul_f64 v[109:110], v[105:106], v[16:17]
	v_mul_f64 v[16:17], v[107:108], v[16:17]
	v_add_f64 v[8:9], v[23:24], 0
	v_add_f64 v[23:24], v[115:116], 0
	v_fma_f64 v[113:114], v[4:5], v[10:11], v[117:118]
	v_fma_f64 v[10:11], v[2:3], v[10:11], -v[12:13]
	ds_load_b128 v[2:5], v1 offset:784
	v_add_f64 v[6:7], v[8:9], v[6:7]
	v_add_f64 v[8:9], v[23:24], v[111:112]
	v_fma_f64 v[23:24], v[107:108], v[14:15], v[109:110]
	v_fma_f64 v[14:15], v[105:106], v[14:15], -v[16:17]
	s_waitcnt vmcnt(1) lgkmcnt(0)
	v_mul_f64 v[12:13], v[2:3], v[21:22]
	v_mul_f64 v[21:22], v[4:5], v[21:22]
	v_add_f64 v[6:7], v[6:7], v[10:11]
	v_add_f64 v[8:9], v[8:9], v[113:114]
	s_delay_alu instid0(VALU_DEP_4) | instskip(NEXT) | instid1(VALU_DEP_4)
	v_fma_f64 v[4:5], v[4:5], v[19:20], v[12:13]
	v_fma_f64 v[2:3], v[2:3], v[19:20], -v[21:22]
	s_delay_alu instid0(VALU_DEP_4) | instskip(NEXT) | instid1(VALU_DEP_4)
	v_add_f64 v[6:7], v[6:7], v[14:15]
	v_add_f64 v[8:9], v[8:9], v[23:24]
	s_delay_alu instid0(VALU_DEP_2) | instskip(NEXT) | instid1(VALU_DEP_2)
	v_add_f64 v[2:3], v[6:7], v[2:3]
	v_add_f64 v[4:5], v[8:9], v[4:5]
	s_waitcnt vmcnt(0)
	s_delay_alu instid0(VALU_DEP_2) | instskip(NEXT) | instid1(VALU_DEP_2)
	v_add_f64 v[2:3], v[101:102], -v[2:3]
	v_add_f64 v[4:5], v[103:104], -v[4:5]
	scratch_store_b128 off, v[2:5], off offset:304
	v_cmpx_lt_u32_e32 18, v76
	s_cbranch_execz .LBB24_127
; %bb.126:
	scratch_load_b128 v[5:8], v99, off
	v_mov_b32_e32 v2, v1
	v_mov_b32_e32 v3, v1
	;; [unrolled: 1-line block ×3, first 2 shown]
	scratch_store_b128 off, v[1:4], off offset:288
	s_waitcnt vmcnt(0)
	ds_store_b128 v18, v[5:8]
.LBB24_127:
	s_or_b32 exec_lo, exec_lo, s2
	s_waitcnt lgkmcnt(0)
	s_waitcnt_vscnt null, 0x0
	s_barrier
	buffer_gl0_inv
	s_clause 0x5
	scratch_load_b128 v[2:5], off, off offset:304
	scratch_load_b128 v[6:9], off, off offset:320
	;; [unrolled: 1-line block ×6, first 2 shown]
	ds_load_b128 v[105:108], v1 offset:704
	ds_load_b128 v[113:116], v1 offset:720
	scratch_load_b128 v[109:112], off, off offset:288
	s_mov_b32 s2, exec_lo
	s_waitcnt vmcnt(6) lgkmcnt(1)
	v_mul_f64 v[23:24], v[107:108], v[4:5]
	v_mul_f64 v[4:5], v[105:106], v[4:5]
	s_waitcnt vmcnt(5) lgkmcnt(0)
	v_mul_f64 v[117:118], v[113:114], v[8:9]
	v_mul_f64 v[8:9], v[115:116], v[8:9]
	s_delay_alu instid0(VALU_DEP_4) | instskip(NEXT) | instid1(VALU_DEP_4)
	v_fma_f64 v[23:24], v[105:106], v[2:3], -v[23:24]
	v_fma_f64 v[119:120], v[107:108], v[2:3], v[4:5]
	ds_load_b128 v[2:5], v1 offset:736
	ds_load_b128 v[105:108], v1 offset:752
	v_fma_f64 v[115:116], v[115:116], v[6:7], v[117:118]
	v_fma_f64 v[6:7], v[113:114], v[6:7], -v[8:9]
	s_waitcnt vmcnt(4) lgkmcnt(1)
	v_mul_f64 v[121:122], v[2:3], v[12:13]
	v_mul_f64 v[12:13], v[4:5], v[12:13]
	s_waitcnt vmcnt(3) lgkmcnt(0)
	v_mul_f64 v[113:114], v[105:106], v[16:17]
	v_mul_f64 v[16:17], v[107:108], v[16:17]
	v_add_f64 v[8:9], v[23:24], 0
	v_add_f64 v[23:24], v[119:120], 0
	v_fma_f64 v[117:118], v[4:5], v[10:11], v[121:122]
	v_fma_f64 v[10:11], v[2:3], v[10:11], -v[12:13]
	v_fma_f64 v[107:108], v[107:108], v[14:15], v[113:114]
	v_fma_f64 v[14:15], v[105:106], v[14:15], -v[16:17]
	v_add_f64 v[12:13], v[8:9], v[6:7]
	v_add_f64 v[23:24], v[23:24], v[115:116]
	ds_load_b128 v[2:5], v1 offset:768
	ds_load_b128 v[6:9], v1 offset:784
	s_waitcnt vmcnt(2) lgkmcnt(1)
	v_mul_f64 v[115:116], v[2:3], v[21:22]
	v_mul_f64 v[21:22], v[4:5], v[21:22]
	s_waitcnt vmcnt(1) lgkmcnt(0)
	v_mul_f64 v[16:17], v[6:7], v[103:104]
	v_add_f64 v[10:11], v[12:13], v[10:11]
	v_add_f64 v[12:13], v[23:24], v[117:118]
	v_mul_f64 v[23:24], v[8:9], v[103:104]
	v_fma_f64 v[4:5], v[4:5], v[19:20], v[115:116]
	v_fma_f64 v[1:2], v[2:3], v[19:20], -v[21:22]
	v_fma_f64 v[8:9], v[8:9], v[101:102], v[16:17]
	v_add_f64 v[10:11], v[10:11], v[14:15]
	v_add_f64 v[12:13], v[12:13], v[107:108]
	v_fma_f64 v[6:7], v[6:7], v[101:102], -v[23:24]
	s_delay_alu instid0(VALU_DEP_3) | instskip(NEXT) | instid1(VALU_DEP_3)
	v_add_f64 v[1:2], v[10:11], v[1:2]
	v_add_f64 v[3:4], v[12:13], v[4:5]
	s_delay_alu instid0(VALU_DEP_2) | instskip(NEXT) | instid1(VALU_DEP_2)
	v_add_f64 v[1:2], v[1:2], v[6:7]
	v_add_f64 v[3:4], v[3:4], v[8:9]
	s_waitcnt vmcnt(0)
	s_delay_alu instid0(VALU_DEP_2) | instskip(NEXT) | instid1(VALU_DEP_2)
	v_add_f64 v[1:2], v[109:110], -v[1:2]
	v_add_f64 v[3:4], v[111:112], -v[3:4]
	scratch_store_b128 off, v[1:4], off offset:288
	v_cmpx_lt_u32_e32 17, v76
	s_cbranch_execz .LBB24_129
; %bb.128:
	scratch_load_b128 v[1:4], v100, off
	v_mov_b32_e32 v5, 0
	s_delay_alu instid0(VALU_DEP_1)
	v_mov_b32_e32 v6, v5
	v_mov_b32_e32 v7, v5
	;; [unrolled: 1-line block ×3, first 2 shown]
	scratch_store_b128 off, v[5:8], off offset:272
	s_waitcnt vmcnt(0)
	ds_store_b128 v18, v[1:4]
.LBB24_129:
	s_or_b32 exec_lo, exec_lo, s2
	s_waitcnt lgkmcnt(0)
	s_waitcnt_vscnt null, 0x0
	s_barrier
	buffer_gl0_inv
	s_clause 0x6
	scratch_load_b128 v[2:5], off, off offset:288
	scratch_load_b128 v[6:9], off, off offset:304
	;; [unrolled: 1-line block ×7, first 2 shown]
	v_mov_b32_e32 v1, 0
	scratch_load_b128 v[113:116], off, off offset:272
	s_mov_b32 s2, exec_lo
	ds_load_b128 v[109:112], v1 offset:688
	ds_load_b128 v[117:120], v1 offset:704
	s_waitcnt vmcnt(7) lgkmcnt(1)
	v_mul_f64 v[23:24], v[111:112], v[4:5]
	v_mul_f64 v[4:5], v[109:110], v[4:5]
	s_waitcnt vmcnt(6) lgkmcnt(0)
	v_mul_f64 v[121:122], v[117:118], v[8:9]
	v_mul_f64 v[8:9], v[119:120], v[8:9]
	s_delay_alu instid0(VALU_DEP_4) | instskip(NEXT) | instid1(VALU_DEP_4)
	v_fma_f64 v[23:24], v[109:110], v[2:3], -v[23:24]
	v_fma_f64 v[123:124], v[111:112], v[2:3], v[4:5]
	ds_load_b128 v[2:5], v1 offset:720
	ds_load_b128 v[109:112], v1 offset:736
	v_fma_f64 v[119:120], v[119:120], v[6:7], v[121:122]
	v_fma_f64 v[6:7], v[117:118], v[6:7], -v[8:9]
	s_waitcnt vmcnt(5) lgkmcnt(1)
	v_mul_f64 v[125:126], v[2:3], v[12:13]
	v_mul_f64 v[12:13], v[4:5], v[12:13]
	s_waitcnt vmcnt(4) lgkmcnt(0)
	v_mul_f64 v[117:118], v[109:110], v[16:17]
	v_mul_f64 v[16:17], v[111:112], v[16:17]
	v_add_f64 v[8:9], v[23:24], 0
	v_add_f64 v[23:24], v[123:124], 0
	v_fma_f64 v[121:122], v[4:5], v[10:11], v[125:126]
	v_fma_f64 v[10:11], v[2:3], v[10:11], -v[12:13]
	v_fma_f64 v[111:112], v[111:112], v[14:15], v[117:118]
	v_fma_f64 v[14:15], v[109:110], v[14:15], -v[16:17]
	v_add_f64 v[12:13], v[8:9], v[6:7]
	v_add_f64 v[23:24], v[23:24], v[119:120]
	ds_load_b128 v[2:5], v1 offset:752
	ds_load_b128 v[6:9], v1 offset:768
	s_waitcnt vmcnt(3) lgkmcnt(1)
	v_mul_f64 v[119:120], v[2:3], v[21:22]
	v_mul_f64 v[21:22], v[4:5], v[21:22]
	s_waitcnt vmcnt(2) lgkmcnt(0)
	v_mul_f64 v[16:17], v[6:7], v[103:104]
	v_add_f64 v[10:11], v[12:13], v[10:11]
	v_add_f64 v[12:13], v[23:24], v[121:122]
	v_mul_f64 v[23:24], v[8:9], v[103:104]
	v_fma_f64 v[103:104], v[4:5], v[19:20], v[119:120]
	v_fma_f64 v[19:20], v[2:3], v[19:20], -v[21:22]
	ds_load_b128 v[2:5], v1 offset:784
	v_fma_f64 v[8:9], v[8:9], v[101:102], v[16:17]
	v_add_f64 v[10:11], v[10:11], v[14:15]
	v_add_f64 v[12:13], v[12:13], v[111:112]
	v_fma_f64 v[6:7], v[6:7], v[101:102], -v[23:24]
	s_waitcnt vmcnt(1) lgkmcnt(0)
	v_mul_f64 v[14:15], v[2:3], v[107:108]
	v_mul_f64 v[21:22], v[4:5], v[107:108]
	v_add_f64 v[10:11], v[10:11], v[19:20]
	v_add_f64 v[12:13], v[12:13], v[103:104]
	s_delay_alu instid0(VALU_DEP_4) | instskip(NEXT) | instid1(VALU_DEP_4)
	v_fma_f64 v[4:5], v[4:5], v[105:106], v[14:15]
	v_fma_f64 v[2:3], v[2:3], v[105:106], -v[21:22]
	s_delay_alu instid0(VALU_DEP_4) | instskip(NEXT) | instid1(VALU_DEP_4)
	v_add_f64 v[6:7], v[10:11], v[6:7]
	v_add_f64 v[8:9], v[12:13], v[8:9]
	s_delay_alu instid0(VALU_DEP_2) | instskip(NEXT) | instid1(VALU_DEP_2)
	v_add_f64 v[2:3], v[6:7], v[2:3]
	v_add_f64 v[4:5], v[8:9], v[4:5]
	s_waitcnt vmcnt(0)
	s_delay_alu instid0(VALU_DEP_2) | instskip(NEXT) | instid1(VALU_DEP_2)
	v_add_f64 v[2:3], v[113:114], -v[2:3]
	v_add_f64 v[4:5], v[115:116], -v[4:5]
	scratch_store_b128 off, v[2:5], off offset:272
	v_cmpx_lt_u32_e32 16, v76
	s_cbranch_execz .LBB24_131
; %bb.130:
	scratch_load_b128 v[5:8], v94, off
	v_mov_b32_e32 v2, v1
	v_mov_b32_e32 v3, v1
	;; [unrolled: 1-line block ×3, first 2 shown]
	scratch_store_b128 off, v[1:4], off offset:256
	s_waitcnt vmcnt(0)
	ds_store_b128 v18, v[5:8]
.LBB24_131:
	s_or_b32 exec_lo, exec_lo, s2
	s_waitcnt lgkmcnt(0)
	s_waitcnt_vscnt null, 0x0
	s_barrier
	buffer_gl0_inv
	s_clause 0x7
	scratch_load_b128 v[2:5], off, off offset:272
	scratch_load_b128 v[6:9], off, off offset:288
	;; [unrolled: 1-line block ×8, first 2 shown]
	ds_load_b128 v[113:116], v1 offset:672
	ds_load_b128 v[117:120], v1 offset:688
	scratch_load_b128 v[121:124], off, off offset:256
	s_mov_b32 s2, exec_lo
	s_waitcnt vmcnt(8) lgkmcnt(1)
	v_mul_f64 v[23:24], v[115:116], v[4:5]
	v_mul_f64 v[4:5], v[113:114], v[4:5]
	s_waitcnt vmcnt(7) lgkmcnt(0)
	v_mul_f64 v[125:126], v[117:118], v[8:9]
	v_mul_f64 v[8:9], v[119:120], v[8:9]
	s_delay_alu instid0(VALU_DEP_4) | instskip(NEXT) | instid1(VALU_DEP_4)
	v_fma_f64 v[23:24], v[113:114], v[2:3], -v[23:24]
	v_fma_f64 v[127:128], v[115:116], v[2:3], v[4:5]
	ds_load_b128 v[2:5], v1 offset:704
	ds_load_b128 v[113:116], v1 offset:720
	v_fma_f64 v[119:120], v[119:120], v[6:7], v[125:126]
	v_fma_f64 v[6:7], v[117:118], v[6:7], -v[8:9]
	s_waitcnt vmcnt(6) lgkmcnt(1)
	v_mul_f64 v[129:130], v[2:3], v[12:13]
	v_mul_f64 v[12:13], v[4:5], v[12:13]
	s_waitcnt vmcnt(5) lgkmcnt(0)
	v_mul_f64 v[117:118], v[113:114], v[16:17]
	v_mul_f64 v[16:17], v[115:116], v[16:17]
	v_add_f64 v[8:9], v[23:24], 0
	v_add_f64 v[23:24], v[127:128], 0
	v_fma_f64 v[125:126], v[4:5], v[10:11], v[129:130]
	v_fma_f64 v[10:11], v[2:3], v[10:11], -v[12:13]
	v_fma_f64 v[115:116], v[115:116], v[14:15], v[117:118]
	v_fma_f64 v[14:15], v[113:114], v[14:15], -v[16:17]
	v_add_f64 v[12:13], v[8:9], v[6:7]
	v_add_f64 v[23:24], v[23:24], v[119:120]
	ds_load_b128 v[2:5], v1 offset:736
	ds_load_b128 v[6:9], v1 offset:752
	s_waitcnt vmcnt(4) lgkmcnt(1)
	v_mul_f64 v[119:120], v[2:3], v[21:22]
	v_mul_f64 v[21:22], v[4:5], v[21:22]
	s_waitcnt vmcnt(3) lgkmcnt(0)
	v_mul_f64 v[16:17], v[6:7], v[103:104]
	v_add_f64 v[10:11], v[12:13], v[10:11]
	v_add_f64 v[12:13], v[23:24], v[125:126]
	v_mul_f64 v[23:24], v[8:9], v[103:104]
	v_fma_f64 v[103:104], v[4:5], v[19:20], v[119:120]
	v_fma_f64 v[19:20], v[2:3], v[19:20], -v[21:22]
	v_fma_f64 v[8:9], v[8:9], v[101:102], v[16:17]
	v_add_f64 v[14:15], v[10:11], v[14:15]
	v_add_f64 v[21:22], v[12:13], v[115:116]
	ds_load_b128 v[2:5], v1 offset:768
	ds_load_b128 v[10:13], v1 offset:784
	v_fma_f64 v[6:7], v[6:7], v[101:102], -v[23:24]
	s_waitcnt vmcnt(2) lgkmcnt(1)
	v_mul_f64 v[113:114], v[2:3], v[107:108]
	v_mul_f64 v[107:108], v[4:5], v[107:108]
	v_add_f64 v[14:15], v[14:15], v[19:20]
	v_add_f64 v[16:17], v[21:22], v[103:104]
	s_waitcnt vmcnt(1) lgkmcnt(0)
	v_mul_f64 v[19:20], v[10:11], v[111:112]
	v_mul_f64 v[21:22], v[12:13], v[111:112]
	v_fma_f64 v[4:5], v[4:5], v[105:106], v[113:114]
	v_fma_f64 v[1:2], v[2:3], v[105:106], -v[107:108]
	v_add_f64 v[6:7], v[14:15], v[6:7]
	v_add_f64 v[8:9], v[16:17], v[8:9]
	v_fma_f64 v[12:13], v[12:13], v[109:110], v[19:20]
	v_fma_f64 v[10:11], v[10:11], v[109:110], -v[21:22]
	s_delay_alu instid0(VALU_DEP_4) | instskip(NEXT) | instid1(VALU_DEP_4)
	v_add_f64 v[1:2], v[6:7], v[1:2]
	v_add_f64 v[3:4], v[8:9], v[4:5]
	s_delay_alu instid0(VALU_DEP_2) | instskip(NEXT) | instid1(VALU_DEP_2)
	v_add_f64 v[1:2], v[1:2], v[10:11]
	v_add_f64 v[3:4], v[3:4], v[12:13]
	s_waitcnt vmcnt(0)
	s_delay_alu instid0(VALU_DEP_2) | instskip(NEXT) | instid1(VALU_DEP_2)
	v_add_f64 v[1:2], v[121:122], -v[1:2]
	v_add_f64 v[3:4], v[123:124], -v[3:4]
	scratch_store_b128 off, v[1:4], off offset:256
	v_cmpx_lt_u32_e32 15, v76
	s_cbranch_execz .LBB24_133
; %bb.132:
	scratch_load_b128 v[1:4], v97, off
	v_mov_b32_e32 v5, 0
	s_delay_alu instid0(VALU_DEP_1)
	v_mov_b32_e32 v6, v5
	v_mov_b32_e32 v7, v5
	;; [unrolled: 1-line block ×3, first 2 shown]
	scratch_store_b128 off, v[5:8], off offset:240
	s_waitcnt vmcnt(0)
	ds_store_b128 v18, v[1:4]
.LBB24_133:
	s_or_b32 exec_lo, exec_lo, s2
	s_waitcnt lgkmcnt(0)
	s_waitcnt_vscnt null, 0x0
	s_barrier
	buffer_gl0_inv
	s_clause 0x7
	scratch_load_b128 v[2:5], off, off offset:256
	scratch_load_b128 v[6:9], off, off offset:272
	;; [unrolled: 1-line block ×8, first 2 shown]
	v_mov_b32_e32 v1, 0
	s_mov_b32 s2, exec_lo
	ds_load_b128 v[113:116], v1 offset:656
	s_clause 0x1
	scratch_load_b128 v[117:120], off, off offset:384
	scratch_load_b128 v[121:124], off, off offset:240
	ds_load_b128 v[125:128], v1 offset:672
	s_waitcnt vmcnt(9) lgkmcnt(1)
	v_mul_f64 v[23:24], v[115:116], v[4:5]
	v_mul_f64 v[4:5], v[113:114], v[4:5]
	s_waitcnt vmcnt(8) lgkmcnt(0)
	v_mul_f64 v[129:130], v[125:126], v[8:9]
	v_mul_f64 v[8:9], v[127:128], v[8:9]
	s_delay_alu instid0(VALU_DEP_4) | instskip(NEXT) | instid1(VALU_DEP_4)
	v_fma_f64 v[23:24], v[113:114], v[2:3], -v[23:24]
	v_fma_f64 v[131:132], v[115:116], v[2:3], v[4:5]
	ds_load_b128 v[2:5], v1 offset:688
	ds_load_b128 v[113:116], v1 offset:704
	v_fma_f64 v[127:128], v[127:128], v[6:7], v[129:130]
	v_fma_f64 v[6:7], v[125:126], v[6:7], -v[8:9]
	s_waitcnt vmcnt(7) lgkmcnt(1)
	v_mul_f64 v[133:134], v[2:3], v[12:13]
	v_mul_f64 v[12:13], v[4:5], v[12:13]
	s_waitcnt vmcnt(6) lgkmcnt(0)
	v_mul_f64 v[125:126], v[113:114], v[16:17]
	v_mul_f64 v[16:17], v[115:116], v[16:17]
	v_add_f64 v[8:9], v[23:24], 0
	v_add_f64 v[23:24], v[131:132], 0
	v_fma_f64 v[129:130], v[4:5], v[10:11], v[133:134]
	v_fma_f64 v[10:11], v[2:3], v[10:11], -v[12:13]
	v_fma_f64 v[115:116], v[115:116], v[14:15], v[125:126]
	v_fma_f64 v[14:15], v[113:114], v[14:15], -v[16:17]
	v_add_f64 v[12:13], v[8:9], v[6:7]
	v_add_f64 v[23:24], v[23:24], v[127:128]
	ds_load_b128 v[2:5], v1 offset:720
	ds_load_b128 v[6:9], v1 offset:736
	s_waitcnt vmcnt(5) lgkmcnt(1)
	v_mul_f64 v[127:128], v[2:3], v[21:22]
	v_mul_f64 v[21:22], v[4:5], v[21:22]
	s_waitcnt vmcnt(4) lgkmcnt(0)
	v_mul_f64 v[16:17], v[6:7], v[103:104]
	v_add_f64 v[10:11], v[12:13], v[10:11]
	v_add_f64 v[12:13], v[23:24], v[129:130]
	v_mul_f64 v[23:24], v[8:9], v[103:104]
	v_fma_f64 v[103:104], v[4:5], v[19:20], v[127:128]
	v_fma_f64 v[19:20], v[2:3], v[19:20], -v[21:22]
	v_fma_f64 v[8:9], v[8:9], v[101:102], v[16:17]
	v_add_f64 v[14:15], v[10:11], v[14:15]
	v_add_f64 v[21:22], v[12:13], v[115:116]
	ds_load_b128 v[2:5], v1 offset:752
	ds_load_b128 v[10:13], v1 offset:768
	v_fma_f64 v[6:7], v[6:7], v[101:102], -v[23:24]
	s_waitcnt vmcnt(3) lgkmcnt(1)
	v_mul_f64 v[113:114], v[2:3], v[107:108]
	v_mul_f64 v[107:108], v[4:5], v[107:108]
	v_add_f64 v[14:15], v[14:15], v[19:20]
	v_add_f64 v[16:17], v[21:22], v[103:104]
	s_waitcnt vmcnt(2) lgkmcnt(0)
	v_mul_f64 v[19:20], v[10:11], v[111:112]
	v_mul_f64 v[21:22], v[12:13], v[111:112]
	v_fma_f64 v[23:24], v[4:5], v[105:106], v[113:114]
	v_fma_f64 v[101:102], v[2:3], v[105:106], -v[107:108]
	ds_load_b128 v[2:5], v1 offset:784
	v_add_f64 v[6:7], v[14:15], v[6:7]
	v_add_f64 v[8:9], v[16:17], v[8:9]
	v_fma_f64 v[12:13], v[12:13], v[109:110], v[19:20]
	v_fma_f64 v[10:11], v[10:11], v[109:110], -v[21:22]
	s_waitcnt vmcnt(1) lgkmcnt(0)
	v_mul_f64 v[14:15], v[2:3], v[119:120]
	v_mul_f64 v[16:17], v[4:5], v[119:120]
	v_add_f64 v[6:7], v[6:7], v[101:102]
	v_add_f64 v[8:9], v[8:9], v[23:24]
	s_delay_alu instid0(VALU_DEP_4) | instskip(NEXT) | instid1(VALU_DEP_4)
	v_fma_f64 v[4:5], v[4:5], v[117:118], v[14:15]
	v_fma_f64 v[2:3], v[2:3], v[117:118], -v[16:17]
	s_delay_alu instid0(VALU_DEP_4) | instskip(NEXT) | instid1(VALU_DEP_4)
	v_add_f64 v[6:7], v[6:7], v[10:11]
	v_add_f64 v[8:9], v[8:9], v[12:13]
	s_delay_alu instid0(VALU_DEP_2) | instskip(NEXT) | instid1(VALU_DEP_2)
	v_add_f64 v[2:3], v[6:7], v[2:3]
	v_add_f64 v[4:5], v[8:9], v[4:5]
	s_waitcnt vmcnt(0)
	s_delay_alu instid0(VALU_DEP_2) | instskip(NEXT) | instid1(VALU_DEP_2)
	v_add_f64 v[2:3], v[121:122], -v[2:3]
	v_add_f64 v[4:5], v[123:124], -v[4:5]
	scratch_store_b128 off, v[2:5], off offset:240
	v_cmpx_lt_u32_e32 14, v76
	s_cbranch_execz .LBB24_135
; %bb.134:
	scratch_load_b128 v[5:8], v95, off
	v_mov_b32_e32 v2, v1
	v_mov_b32_e32 v3, v1
	;; [unrolled: 1-line block ×3, first 2 shown]
	scratch_store_b128 off, v[1:4], off offset:224
	s_waitcnt vmcnt(0)
	ds_store_b128 v18, v[5:8]
.LBB24_135:
	s_or_b32 exec_lo, exec_lo, s2
	s_waitcnt lgkmcnt(0)
	s_waitcnt_vscnt null, 0x0
	s_barrier
	buffer_gl0_inv
	s_clause 0x8
	scratch_load_b128 v[2:5], off, off offset:240
	scratch_load_b128 v[6:9], off, off offset:256
	;; [unrolled: 1-line block ×9, first 2 shown]
	ds_load_b128 v[117:120], v1 offset:640
	ds_load_b128 v[121:124], v1 offset:656
	s_clause 0x1
	scratch_load_b128 v[125:128], off, off offset:224
	scratch_load_b128 v[129:132], off, off offset:384
	s_mov_b32 s2, exec_lo
	s_waitcnt vmcnt(10) lgkmcnt(1)
	v_mul_f64 v[23:24], v[119:120], v[4:5]
	v_mul_f64 v[4:5], v[117:118], v[4:5]
	s_waitcnt vmcnt(9) lgkmcnt(0)
	v_mul_f64 v[133:134], v[121:122], v[8:9]
	v_mul_f64 v[8:9], v[123:124], v[8:9]
	s_delay_alu instid0(VALU_DEP_4) | instskip(NEXT) | instid1(VALU_DEP_4)
	v_fma_f64 v[23:24], v[117:118], v[2:3], -v[23:24]
	v_fma_f64 v[135:136], v[119:120], v[2:3], v[4:5]
	ds_load_b128 v[2:5], v1 offset:672
	ds_load_b128 v[117:120], v1 offset:688
	v_fma_f64 v[123:124], v[123:124], v[6:7], v[133:134]
	v_fma_f64 v[6:7], v[121:122], v[6:7], -v[8:9]
	s_waitcnt vmcnt(8) lgkmcnt(1)
	v_mul_f64 v[137:138], v[2:3], v[12:13]
	v_mul_f64 v[12:13], v[4:5], v[12:13]
	s_waitcnt vmcnt(7) lgkmcnt(0)
	v_mul_f64 v[121:122], v[117:118], v[16:17]
	v_mul_f64 v[16:17], v[119:120], v[16:17]
	v_add_f64 v[8:9], v[23:24], 0
	v_add_f64 v[23:24], v[135:136], 0
	v_fma_f64 v[133:134], v[4:5], v[10:11], v[137:138]
	v_fma_f64 v[10:11], v[2:3], v[10:11], -v[12:13]
	v_fma_f64 v[119:120], v[119:120], v[14:15], v[121:122]
	v_fma_f64 v[14:15], v[117:118], v[14:15], -v[16:17]
	v_add_f64 v[12:13], v[8:9], v[6:7]
	v_add_f64 v[23:24], v[23:24], v[123:124]
	ds_load_b128 v[2:5], v1 offset:704
	ds_load_b128 v[6:9], v1 offset:720
	s_waitcnt vmcnt(6) lgkmcnt(1)
	v_mul_f64 v[123:124], v[2:3], v[21:22]
	v_mul_f64 v[21:22], v[4:5], v[21:22]
	s_waitcnt vmcnt(5) lgkmcnt(0)
	v_mul_f64 v[16:17], v[6:7], v[103:104]
	v_add_f64 v[10:11], v[12:13], v[10:11]
	v_add_f64 v[12:13], v[23:24], v[133:134]
	v_mul_f64 v[23:24], v[8:9], v[103:104]
	v_fma_f64 v[103:104], v[4:5], v[19:20], v[123:124]
	v_fma_f64 v[19:20], v[2:3], v[19:20], -v[21:22]
	v_fma_f64 v[8:9], v[8:9], v[101:102], v[16:17]
	v_add_f64 v[14:15], v[10:11], v[14:15]
	v_add_f64 v[21:22], v[12:13], v[119:120]
	ds_load_b128 v[2:5], v1 offset:736
	ds_load_b128 v[10:13], v1 offset:752
	v_fma_f64 v[6:7], v[6:7], v[101:102], -v[23:24]
	s_waitcnt vmcnt(4) lgkmcnt(1)
	v_mul_f64 v[117:118], v[2:3], v[107:108]
	v_mul_f64 v[107:108], v[4:5], v[107:108]
	v_add_f64 v[14:15], v[14:15], v[19:20]
	v_add_f64 v[16:17], v[21:22], v[103:104]
	s_waitcnt vmcnt(3) lgkmcnt(0)
	v_mul_f64 v[19:20], v[10:11], v[111:112]
	v_mul_f64 v[21:22], v[12:13], v[111:112]
	v_fma_f64 v[23:24], v[4:5], v[105:106], v[117:118]
	v_fma_f64 v[101:102], v[2:3], v[105:106], -v[107:108]
	v_add_f64 v[14:15], v[14:15], v[6:7]
	v_add_f64 v[16:17], v[16:17], v[8:9]
	ds_load_b128 v[2:5], v1 offset:768
	ds_load_b128 v[6:9], v1 offset:784
	v_fma_f64 v[12:13], v[12:13], v[109:110], v[19:20]
	v_fma_f64 v[10:11], v[10:11], v[109:110], -v[21:22]
	s_waitcnt vmcnt(2) lgkmcnt(1)
	v_mul_f64 v[103:104], v[2:3], v[115:116]
	v_mul_f64 v[105:106], v[4:5], v[115:116]
	s_waitcnt vmcnt(0) lgkmcnt(0)
	v_mul_f64 v[19:20], v[6:7], v[131:132]
	v_mul_f64 v[21:22], v[8:9], v[131:132]
	v_add_f64 v[14:15], v[14:15], v[101:102]
	v_add_f64 v[16:17], v[16:17], v[23:24]
	v_fma_f64 v[4:5], v[4:5], v[113:114], v[103:104]
	v_fma_f64 v[1:2], v[2:3], v[113:114], -v[105:106]
	v_fma_f64 v[8:9], v[8:9], v[129:130], v[19:20]
	v_fma_f64 v[6:7], v[6:7], v[129:130], -v[21:22]
	v_add_f64 v[10:11], v[14:15], v[10:11]
	v_add_f64 v[12:13], v[16:17], v[12:13]
	s_delay_alu instid0(VALU_DEP_2) | instskip(NEXT) | instid1(VALU_DEP_2)
	v_add_f64 v[1:2], v[10:11], v[1:2]
	v_add_f64 v[3:4], v[12:13], v[4:5]
	s_delay_alu instid0(VALU_DEP_2) | instskip(NEXT) | instid1(VALU_DEP_2)
	v_add_f64 v[1:2], v[1:2], v[6:7]
	v_add_f64 v[3:4], v[3:4], v[8:9]
	s_delay_alu instid0(VALU_DEP_2) | instskip(NEXT) | instid1(VALU_DEP_2)
	v_add_f64 v[1:2], v[125:126], -v[1:2]
	v_add_f64 v[3:4], v[127:128], -v[3:4]
	scratch_store_b128 off, v[1:4], off offset:224
	v_cmpx_lt_u32_e32 13, v76
	s_cbranch_execz .LBB24_137
; %bb.136:
	scratch_load_b128 v[1:4], v98, off
	v_mov_b32_e32 v5, 0
	s_delay_alu instid0(VALU_DEP_1)
	v_mov_b32_e32 v6, v5
	v_mov_b32_e32 v7, v5
	;; [unrolled: 1-line block ×3, first 2 shown]
	scratch_store_b128 off, v[5:8], off offset:208
	s_waitcnt vmcnt(0)
	ds_store_b128 v18, v[1:4]
.LBB24_137:
	s_or_b32 exec_lo, exec_lo, s2
	s_waitcnt lgkmcnt(0)
	s_waitcnt_vscnt null, 0x0
	s_barrier
	buffer_gl0_inv
	s_clause 0x7
	scratch_load_b128 v[2:5], off, off offset:224
	scratch_load_b128 v[6:9], off, off offset:240
	;; [unrolled: 1-line block ×8, first 2 shown]
	v_mov_b32_e32 v1, 0
	s_mov_b32 s2, exec_lo
	ds_load_b128 v[113:116], v1 offset:624
	s_clause 0x1
	scratch_load_b128 v[117:120], off, off offset:352
	scratch_load_b128 v[121:124], off, off offset:208
	ds_load_b128 v[125:128], v1 offset:640
	scratch_load_b128 v[129:132], off, off offset:368
	ds_load_b128 v[133:136], v1 offset:672
	s_waitcnt vmcnt(10) lgkmcnt(2)
	v_mul_f64 v[23:24], v[115:116], v[4:5]
	v_mul_f64 v[4:5], v[113:114], v[4:5]
	s_delay_alu instid0(VALU_DEP_2) | instskip(NEXT) | instid1(VALU_DEP_2)
	v_fma_f64 v[23:24], v[113:114], v[2:3], -v[23:24]
	v_fma_f64 v[139:140], v[115:116], v[2:3], v[4:5]
	scratch_load_b128 v[113:116], off, off offset:384
	ds_load_b128 v[2:5], v1 offset:656
	s_waitcnt vmcnt(10) lgkmcnt(2)
	v_mul_f64 v[137:138], v[125:126], v[8:9]
	v_mul_f64 v[8:9], v[127:128], v[8:9]
	s_waitcnt vmcnt(9) lgkmcnt(0)
	v_mul_f64 v[141:142], v[2:3], v[12:13]
	v_mul_f64 v[12:13], v[4:5], v[12:13]
	s_delay_alu instid0(VALU_DEP_4) | instskip(NEXT) | instid1(VALU_DEP_4)
	v_fma_f64 v[127:128], v[127:128], v[6:7], v[137:138]
	v_fma_f64 v[6:7], v[125:126], v[6:7], -v[8:9]
	v_add_f64 v[8:9], v[23:24], 0
	v_add_f64 v[23:24], v[139:140], 0
	s_waitcnt vmcnt(8)
	v_mul_f64 v[125:126], v[133:134], v[16:17]
	v_mul_f64 v[16:17], v[135:136], v[16:17]
	v_fma_f64 v[137:138], v[4:5], v[10:11], v[141:142]
	v_fma_f64 v[10:11], v[2:3], v[10:11], -v[12:13]
	v_add_f64 v[12:13], v[8:9], v[6:7]
	v_add_f64 v[23:24], v[23:24], v[127:128]
	ds_load_b128 v[2:5], v1 offset:688
	ds_load_b128 v[6:9], v1 offset:704
	v_fma_f64 v[125:126], v[135:136], v[14:15], v[125:126]
	v_fma_f64 v[14:15], v[133:134], v[14:15], -v[16:17]
	s_waitcnt vmcnt(7) lgkmcnt(1)
	v_mul_f64 v[127:128], v[2:3], v[21:22]
	v_mul_f64 v[21:22], v[4:5], v[21:22]
	s_waitcnt vmcnt(6) lgkmcnt(0)
	v_mul_f64 v[16:17], v[6:7], v[103:104]
	v_add_f64 v[10:11], v[12:13], v[10:11]
	v_add_f64 v[12:13], v[23:24], v[137:138]
	v_mul_f64 v[23:24], v[8:9], v[103:104]
	v_fma_f64 v[103:104], v[4:5], v[19:20], v[127:128]
	v_fma_f64 v[19:20], v[2:3], v[19:20], -v[21:22]
	v_fma_f64 v[8:9], v[8:9], v[101:102], v[16:17]
	v_add_f64 v[14:15], v[10:11], v[14:15]
	v_add_f64 v[21:22], v[12:13], v[125:126]
	ds_load_b128 v[2:5], v1 offset:720
	ds_load_b128 v[10:13], v1 offset:736
	v_fma_f64 v[6:7], v[6:7], v[101:102], -v[23:24]
	s_waitcnt vmcnt(5) lgkmcnt(1)
	v_mul_f64 v[125:126], v[2:3], v[107:108]
	v_mul_f64 v[107:108], v[4:5], v[107:108]
	v_add_f64 v[14:15], v[14:15], v[19:20]
	v_add_f64 v[16:17], v[21:22], v[103:104]
	s_waitcnt vmcnt(4) lgkmcnt(0)
	v_mul_f64 v[19:20], v[10:11], v[111:112]
	v_mul_f64 v[21:22], v[12:13], v[111:112]
	v_fma_f64 v[23:24], v[4:5], v[105:106], v[125:126]
	v_fma_f64 v[101:102], v[2:3], v[105:106], -v[107:108]
	v_add_f64 v[14:15], v[14:15], v[6:7]
	v_add_f64 v[16:17], v[16:17], v[8:9]
	ds_load_b128 v[2:5], v1 offset:752
	ds_load_b128 v[6:9], v1 offset:768
	v_fma_f64 v[12:13], v[12:13], v[109:110], v[19:20]
	v_fma_f64 v[10:11], v[10:11], v[109:110], -v[21:22]
	s_waitcnt vmcnt(3) lgkmcnt(1)
	v_mul_f64 v[103:104], v[2:3], v[119:120]
	v_mul_f64 v[105:106], v[4:5], v[119:120]
	s_waitcnt vmcnt(1) lgkmcnt(0)
	v_mul_f64 v[19:20], v[6:7], v[131:132]
	v_mul_f64 v[21:22], v[8:9], v[131:132]
	v_add_f64 v[14:15], v[14:15], v[101:102]
	v_add_f64 v[16:17], v[16:17], v[23:24]
	v_fma_f64 v[23:24], v[4:5], v[117:118], v[103:104]
	v_fma_f64 v[101:102], v[2:3], v[117:118], -v[105:106]
	ds_load_b128 v[2:5], v1 offset:784
	v_fma_f64 v[8:9], v[8:9], v[129:130], v[19:20]
	v_fma_f64 v[6:7], v[6:7], v[129:130], -v[21:22]
	v_add_f64 v[10:11], v[14:15], v[10:11]
	v_add_f64 v[12:13], v[16:17], v[12:13]
	s_waitcnt vmcnt(0) lgkmcnt(0)
	v_mul_f64 v[14:15], v[2:3], v[115:116]
	v_mul_f64 v[16:17], v[4:5], v[115:116]
	s_delay_alu instid0(VALU_DEP_4) | instskip(NEXT) | instid1(VALU_DEP_4)
	v_add_f64 v[10:11], v[10:11], v[101:102]
	v_add_f64 v[12:13], v[12:13], v[23:24]
	s_delay_alu instid0(VALU_DEP_4) | instskip(NEXT) | instid1(VALU_DEP_4)
	v_fma_f64 v[4:5], v[4:5], v[113:114], v[14:15]
	v_fma_f64 v[2:3], v[2:3], v[113:114], -v[16:17]
	s_delay_alu instid0(VALU_DEP_4) | instskip(NEXT) | instid1(VALU_DEP_4)
	v_add_f64 v[6:7], v[10:11], v[6:7]
	v_add_f64 v[8:9], v[12:13], v[8:9]
	s_delay_alu instid0(VALU_DEP_2) | instskip(NEXT) | instid1(VALU_DEP_2)
	v_add_f64 v[2:3], v[6:7], v[2:3]
	v_add_f64 v[4:5], v[8:9], v[4:5]
	s_delay_alu instid0(VALU_DEP_2) | instskip(NEXT) | instid1(VALU_DEP_2)
	v_add_f64 v[2:3], v[121:122], -v[2:3]
	v_add_f64 v[4:5], v[123:124], -v[4:5]
	scratch_store_b128 off, v[2:5], off offset:208
	v_cmpx_lt_u32_e32 12, v76
	s_cbranch_execz .LBB24_139
; %bb.138:
	scratch_load_b128 v[5:8], v93, off
	v_mov_b32_e32 v2, v1
	v_mov_b32_e32 v3, v1
	;; [unrolled: 1-line block ×3, first 2 shown]
	scratch_store_b128 off, v[1:4], off offset:192
	s_waitcnt vmcnt(0)
	ds_store_b128 v18, v[5:8]
.LBB24_139:
	s_or_b32 exec_lo, exec_lo, s2
	s_waitcnt lgkmcnt(0)
	s_waitcnt_vscnt null, 0x0
	s_barrier
	buffer_gl0_inv
	s_clause 0x8
	scratch_load_b128 v[2:5], off, off offset:208
	scratch_load_b128 v[6:9], off, off offset:224
	;; [unrolled: 1-line block ×9, first 2 shown]
	ds_load_b128 v[117:120], v1 offset:608
	ds_load_b128 v[121:124], v1 offset:624
	s_clause 0x1
	scratch_load_b128 v[125:128], off, off offset:192
	scratch_load_b128 v[129:132], off, off offset:352
	s_mov_b32 s2, exec_lo
	ds_load_b128 v[133:136], v1 offset:656
	s_waitcnt vmcnt(10) lgkmcnt(2)
	v_mul_f64 v[23:24], v[119:120], v[4:5]
	v_mul_f64 v[4:5], v[117:118], v[4:5]
	s_waitcnt vmcnt(9) lgkmcnt(1)
	v_mul_f64 v[137:138], v[121:122], v[8:9]
	v_mul_f64 v[8:9], v[123:124], v[8:9]
	s_delay_alu instid0(VALU_DEP_4) | instskip(NEXT) | instid1(VALU_DEP_4)
	v_fma_f64 v[23:24], v[117:118], v[2:3], -v[23:24]
	v_fma_f64 v[139:140], v[119:120], v[2:3], v[4:5]
	ds_load_b128 v[2:5], v1 offset:640
	scratch_load_b128 v[117:120], off, off offset:368
	v_fma_f64 v[123:124], v[123:124], v[6:7], v[137:138]
	v_fma_f64 v[121:122], v[121:122], v[6:7], -v[8:9]
	scratch_load_b128 v[6:9], off, off offset:384
	s_waitcnt vmcnt(10) lgkmcnt(0)
	v_mul_f64 v[141:142], v[2:3], v[12:13]
	v_mul_f64 v[12:13], v[4:5], v[12:13]
	v_add_f64 v[23:24], v[23:24], 0
	v_add_f64 v[137:138], v[139:140], 0
	s_waitcnt vmcnt(9)
	v_mul_f64 v[139:140], v[133:134], v[16:17]
	v_mul_f64 v[16:17], v[135:136], v[16:17]
	v_fma_f64 v[141:142], v[4:5], v[10:11], v[141:142]
	v_fma_f64 v[143:144], v[2:3], v[10:11], -v[12:13]
	ds_load_b128 v[2:5], v1 offset:672
	ds_load_b128 v[10:13], v1 offset:688
	v_add_f64 v[23:24], v[23:24], v[121:122]
	v_add_f64 v[121:122], v[137:138], v[123:124]
	v_fma_f64 v[135:136], v[135:136], v[14:15], v[139:140]
	v_fma_f64 v[14:15], v[133:134], v[14:15], -v[16:17]
	s_waitcnt vmcnt(8) lgkmcnt(1)
	v_mul_f64 v[123:124], v[2:3], v[21:22]
	v_mul_f64 v[21:22], v[4:5], v[21:22]
	v_add_f64 v[16:17], v[23:24], v[143:144]
	v_add_f64 v[23:24], v[121:122], v[141:142]
	s_waitcnt vmcnt(7) lgkmcnt(0)
	v_mul_f64 v[121:122], v[10:11], v[103:104]
	v_mul_f64 v[103:104], v[12:13], v[103:104]
	v_fma_f64 v[123:124], v[4:5], v[19:20], v[123:124]
	v_fma_f64 v[19:20], v[2:3], v[19:20], -v[21:22]
	v_add_f64 v[21:22], v[16:17], v[14:15]
	v_add_f64 v[23:24], v[23:24], v[135:136]
	ds_load_b128 v[2:5], v1 offset:704
	ds_load_b128 v[14:17], v1 offset:720
	v_fma_f64 v[12:13], v[12:13], v[101:102], v[121:122]
	v_fma_f64 v[10:11], v[10:11], v[101:102], -v[103:104]
	s_waitcnt vmcnt(6) lgkmcnt(1)
	v_mul_f64 v[133:134], v[2:3], v[107:108]
	v_mul_f64 v[107:108], v[4:5], v[107:108]
	s_waitcnt vmcnt(5) lgkmcnt(0)
	v_mul_f64 v[101:102], v[16:17], v[111:112]
	v_add_f64 v[19:20], v[21:22], v[19:20]
	v_add_f64 v[21:22], v[23:24], v[123:124]
	v_mul_f64 v[23:24], v[14:15], v[111:112]
	v_fma_f64 v[103:104], v[4:5], v[105:106], v[133:134]
	v_fma_f64 v[105:106], v[2:3], v[105:106], -v[107:108]
	v_fma_f64 v[14:15], v[14:15], v[109:110], -v[101:102]
	v_add_f64 v[19:20], v[19:20], v[10:11]
	v_add_f64 v[21:22], v[21:22], v[12:13]
	ds_load_b128 v[2:5], v1 offset:736
	ds_load_b128 v[10:13], v1 offset:752
	v_fma_f64 v[16:17], v[16:17], v[109:110], v[23:24]
	s_waitcnt vmcnt(4) lgkmcnt(1)
	v_mul_f64 v[107:108], v[2:3], v[115:116]
	v_mul_f64 v[111:112], v[4:5], v[115:116]
	s_waitcnt vmcnt(2) lgkmcnt(0)
	v_mul_f64 v[23:24], v[10:11], v[131:132]
	v_mul_f64 v[101:102], v[12:13], v[131:132]
	v_add_f64 v[19:20], v[19:20], v[105:106]
	v_add_f64 v[21:22], v[21:22], v[103:104]
	v_fma_f64 v[103:104], v[4:5], v[113:114], v[107:108]
	v_fma_f64 v[105:106], v[2:3], v[113:114], -v[111:112]
	v_fma_f64 v[12:13], v[12:13], v[129:130], v[23:24]
	v_fma_f64 v[10:11], v[10:11], v[129:130], -v[101:102]
	v_add_f64 v[19:20], v[19:20], v[14:15]
	v_add_f64 v[21:22], v[21:22], v[16:17]
	ds_load_b128 v[2:5], v1 offset:768
	ds_load_b128 v[14:17], v1 offset:784
	s_waitcnt vmcnt(1) lgkmcnt(1)
	v_mul_f64 v[107:108], v[2:3], v[119:120]
	v_mul_f64 v[109:110], v[4:5], v[119:120]
	s_waitcnt vmcnt(0) lgkmcnt(0)
	v_mul_f64 v[23:24], v[14:15], v[8:9]
	v_mul_f64 v[8:9], v[16:17], v[8:9]
	v_add_f64 v[19:20], v[19:20], v[105:106]
	v_add_f64 v[21:22], v[21:22], v[103:104]
	v_fma_f64 v[4:5], v[4:5], v[117:118], v[107:108]
	v_fma_f64 v[1:2], v[2:3], v[117:118], -v[109:110]
	v_fma_f64 v[16:17], v[16:17], v[6:7], v[23:24]
	v_fma_f64 v[6:7], v[14:15], v[6:7], -v[8:9]
	v_add_f64 v[10:11], v[19:20], v[10:11]
	v_add_f64 v[12:13], v[21:22], v[12:13]
	s_delay_alu instid0(VALU_DEP_2) | instskip(NEXT) | instid1(VALU_DEP_2)
	v_add_f64 v[1:2], v[10:11], v[1:2]
	v_add_f64 v[3:4], v[12:13], v[4:5]
	s_delay_alu instid0(VALU_DEP_2) | instskip(NEXT) | instid1(VALU_DEP_2)
	;; [unrolled: 3-line block ×3, first 2 shown]
	v_add_f64 v[1:2], v[125:126], -v[1:2]
	v_add_f64 v[3:4], v[127:128], -v[3:4]
	scratch_store_b128 off, v[1:4], off offset:192
	v_cmpx_lt_u32_e32 11, v76
	s_cbranch_execz .LBB24_141
; %bb.140:
	scratch_load_b128 v[1:4], v96, off
	v_mov_b32_e32 v5, 0
	s_delay_alu instid0(VALU_DEP_1)
	v_mov_b32_e32 v6, v5
	v_mov_b32_e32 v7, v5
	;; [unrolled: 1-line block ×3, first 2 shown]
	scratch_store_b128 off, v[5:8], off offset:176
	s_waitcnt vmcnt(0)
	ds_store_b128 v18, v[1:4]
.LBB24_141:
	s_or_b32 exec_lo, exec_lo, s2
	s_waitcnt lgkmcnt(0)
	s_waitcnt_vscnt null, 0x0
	s_barrier
	buffer_gl0_inv
	s_clause 0x7
	scratch_load_b128 v[2:5], off, off offset:192
	scratch_load_b128 v[6:9], off, off offset:208
	;; [unrolled: 1-line block ×8, first 2 shown]
	v_mov_b32_e32 v1, 0
	s_clause 0x1
	scratch_load_b128 v[117:120], off, off offset:320
	scratch_load_b128 v[125:128], off, off offset:336
	s_mov_b32 s2, exec_lo
	ds_load_b128 v[113:116], v1 offset:592
	ds_load_b128 v[121:124], v1 offset:608
	s_waitcnt vmcnt(9) lgkmcnt(1)
	v_mul_f64 v[23:24], v[115:116], v[4:5]
	v_mul_f64 v[4:5], v[113:114], v[4:5]
	s_waitcnt vmcnt(8) lgkmcnt(0)
	v_mul_f64 v[129:130], v[121:122], v[8:9]
	v_mul_f64 v[8:9], v[123:124], v[8:9]
	s_delay_alu instid0(VALU_DEP_4) | instskip(NEXT) | instid1(VALU_DEP_4)
	v_fma_f64 v[23:24], v[113:114], v[2:3], -v[23:24]
	v_fma_f64 v[131:132], v[115:116], v[2:3], v[4:5]
	ds_load_b128 v[2:5], v1 offset:624
	scratch_load_b128 v[113:116], off, off offset:352
	v_fma_f64 v[129:130], v[123:124], v[6:7], v[129:130]
	v_fma_f64 v[135:136], v[121:122], v[6:7], -v[8:9]
	ds_load_b128 v[6:9], v1 offset:640
	scratch_load_b128 v[121:124], off, off offset:368
	s_waitcnt vmcnt(9) lgkmcnt(1)
	v_mul_f64 v[133:134], v[2:3], v[12:13]
	v_mul_f64 v[12:13], v[4:5], v[12:13]
	s_waitcnt vmcnt(8) lgkmcnt(0)
	v_mul_f64 v[137:138], v[6:7], v[16:17]
	v_mul_f64 v[16:17], v[8:9], v[16:17]
	v_add_f64 v[23:24], v[23:24], 0
	v_add_f64 v[131:132], v[131:132], 0
	v_fma_f64 v[133:134], v[4:5], v[10:11], v[133:134]
	v_fma_f64 v[139:140], v[2:3], v[10:11], -v[12:13]
	scratch_load_b128 v[10:13], off, off offset:384
	ds_load_b128 v[2:5], v1 offset:656
	v_add_f64 v[23:24], v[23:24], v[135:136]
	v_add_f64 v[129:130], v[131:132], v[129:130]
	v_fma_f64 v[135:136], v[8:9], v[14:15], v[137:138]
	v_fma_f64 v[14:15], v[6:7], v[14:15], -v[16:17]
	ds_load_b128 v[6:9], v1 offset:672
	s_waitcnt vmcnt(8) lgkmcnt(1)
	v_mul_f64 v[131:132], v[2:3], v[21:22]
	v_mul_f64 v[21:22], v[4:5], v[21:22]
	v_add_f64 v[16:17], v[23:24], v[139:140]
	v_add_f64 v[23:24], v[129:130], v[133:134]
	s_waitcnt vmcnt(7) lgkmcnt(0)
	v_mul_f64 v[129:130], v[6:7], v[103:104]
	v_mul_f64 v[103:104], v[8:9], v[103:104]
	v_fma_f64 v[131:132], v[4:5], v[19:20], v[131:132]
	v_fma_f64 v[19:20], v[2:3], v[19:20], -v[21:22]
	ds_load_b128 v[2:5], v1 offset:688
	s_waitcnt vmcnt(6) lgkmcnt(0)
	v_mul_f64 v[21:22], v[2:3], v[107:108]
	v_add_f64 v[14:15], v[16:17], v[14:15]
	v_add_f64 v[16:17], v[23:24], v[135:136]
	v_mul_f64 v[23:24], v[4:5], v[107:108]
	v_fma_f64 v[107:108], v[8:9], v[101:102], v[129:130]
	v_fma_f64 v[101:102], v[6:7], v[101:102], -v[103:104]
	ds_load_b128 v[6:9], v1 offset:704
	v_fma_f64 v[21:22], v[4:5], v[105:106], v[21:22]
	v_add_f64 v[19:20], v[14:15], v[19:20]
	v_add_f64 v[103:104], v[16:17], v[131:132]
	scratch_load_b128 v[14:17], off, off offset:176
	v_fma_f64 v[23:24], v[2:3], v[105:106], -v[23:24]
	ds_load_b128 v[2:5], v1 offset:720
	s_waitcnt vmcnt(6) lgkmcnt(1)
	v_mul_f64 v[129:130], v[6:7], v[111:112]
	v_mul_f64 v[111:112], v[8:9], v[111:112]
	s_waitcnt vmcnt(5) lgkmcnt(0)
	v_mul_f64 v[105:106], v[4:5], v[119:120]
	v_add_f64 v[19:20], v[19:20], v[101:102]
	v_add_f64 v[101:102], v[103:104], v[107:108]
	v_mul_f64 v[103:104], v[2:3], v[119:120]
	v_fma_f64 v[107:108], v[8:9], v[109:110], v[129:130]
	v_fma_f64 v[109:110], v[6:7], v[109:110], -v[111:112]
	ds_load_b128 v[6:9], v1 offset:736
	v_fma_f64 v[105:106], v[2:3], v[117:118], -v[105:106]
	v_add_f64 v[19:20], v[19:20], v[23:24]
	v_add_f64 v[21:22], v[101:102], v[21:22]
	v_fma_f64 v[103:104], v[4:5], v[117:118], v[103:104]
	ds_load_b128 v[2:5], v1 offset:752
	s_waitcnt vmcnt(4) lgkmcnt(1)
	v_mul_f64 v[23:24], v[6:7], v[127:128]
	v_mul_f64 v[101:102], v[8:9], v[127:128]
	v_add_f64 v[19:20], v[19:20], v[109:110]
	v_add_f64 v[21:22], v[21:22], v[107:108]
	s_delay_alu instid0(VALU_DEP_4) | instskip(NEXT) | instid1(VALU_DEP_4)
	v_fma_f64 v[23:24], v[8:9], v[125:126], v[23:24]
	v_fma_f64 v[101:102], v[6:7], v[125:126], -v[101:102]
	ds_load_b128 v[6:9], v1 offset:768
	s_waitcnt vmcnt(3) lgkmcnt(1)
	v_mul_f64 v[107:108], v[2:3], v[115:116]
	v_mul_f64 v[109:110], v[4:5], v[115:116]
	v_add_f64 v[19:20], v[19:20], v[105:106]
	v_add_f64 v[21:22], v[21:22], v[103:104]
	s_delay_alu instid0(VALU_DEP_4) | instskip(NEXT) | instid1(VALU_DEP_4)
	v_fma_f64 v[107:108], v[4:5], v[113:114], v[107:108]
	v_fma_f64 v[109:110], v[2:3], v[113:114], -v[109:110]
	ds_load_b128 v[2:5], v1 offset:784
	s_waitcnt vmcnt(2) lgkmcnt(1)
	v_mul_f64 v[103:104], v[6:7], v[123:124]
	v_mul_f64 v[105:106], v[8:9], v[123:124]
	v_add_f64 v[19:20], v[19:20], v[101:102]
	v_add_f64 v[21:22], v[21:22], v[23:24]
	s_waitcnt vmcnt(1) lgkmcnt(0)
	v_mul_f64 v[23:24], v[2:3], v[12:13]
	v_mul_f64 v[12:13], v[4:5], v[12:13]
	v_fma_f64 v[8:9], v[8:9], v[121:122], v[103:104]
	v_fma_f64 v[6:7], v[6:7], v[121:122], -v[105:106]
	v_add_f64 v[19:20], v[19:20], v[109:110]
	v_add_f64 v[21:22], v[21:22], v[107:108]
	v_fma_f64 v[4:5], v[4:5], v[10:11], v[23:24]
	v_fma_f64 v[2:3], v[2:3], v[10:11], -v[12:13]
	s_delay_alu instid0(VALU_DEP_4) | instskip(NEXT) | instid1(VALU_DEP_4)
	v_add_f64 v[6:7], v[19:20], v[6:7]
	v_add_f64 v[8:9], v[21:22], v[8:9]
	s_delay_alu instid0(VALU_DEP_2) | instskip(NEXT) | instid1(VALU_DEP_2)
	v_add_f64 v[2:3], v[6:7], v[2:3]
	v_add_f64 v[4:5], v[8:9], v[4:5]
	s_waitcnt vmcnt(0)
	s_delay_alu instid0(VALU_DEP_2) | instskip(NEXT) | instid1(VALU_DEP_2)
	v_add_f64 v[2:3], v[14:15], -v[2:3]
	v_add_f64 v[4:5], v[16:17], -v[4:5]
	scratch_store_b128 off, v[2:5], off offset:176
	v_cmpx_lt_u32_e32 10, v76
	s_cbranch_execz .LBB24_143
; %bb.142:
	scratch_load_b128 v[5:8], v81, off
	v_mov_b32_e32 v2, v1
	v_mov_b32_e32 v3, v1
	;; [unrolled: 1-line block ×3, first 2 shown]
	scratch_store_b128 off, v[1:4], off offset:160
	s_waitcnt vmcnt(0)
	ds_store_b128 v18, v[5:8]
.LBB24_143:
	s_or_b32 exec_lo, exec_lo, s2
	s_waitcnt lgkmcnt(0)
	s_waitcnt_vscnt null, 0x0
	s_barrier
	buffer_gl0_inv
	s_clause 0x7
	scratch_load_b128 v[2:5], off, off offset:176
	scratch_load_b128 v[6:9], off, off offset:192
	;; [unrolled: 1-line block ×8, first 2 shown]
	ds_load_b128 v[113:116], v1 offset:576
	ds_load_b128 v[121:124], v1 offset:592
	s_clause 0x1
	scratch_load_b128 v[117:120], off, off offset:304
	scratch_load_b128 v[125:128], off, off offset:320
	s_mov_b32 s2, exec_lo
	s_waitcnt vmcnt(9) lgkmcnt(1)
	v_mul_f64 v[23:24], v[115:116], v[4:5]
	v_mul_f64 v[4:5], v[113:114], v[4:5]
	s_waitcnt vmcnt(8) lgkmcnt(0)
	v_mul_f64 v[129:130], v[121:122], v[8:9]
	v_mul_f64 v[8:9], v[123:124], v[8:9]
	s_delay_alu instid0(VALU_DEP_4) | instskip(NEXT) | instid1(VALU_DEP_4)
	v_fma_f64 v[23:24], v[113:114], v[2:3], -v[23:24]
	v_fma_f64 v[131:132], v[115:116], v[2:3], v[4:5]
	scratch_load_b128 v[113:116], off, off offset:336
	ds_load_b128 v[2:5], v1 offset:608
	v_fma_f64 v[129:130], v[123:124], v[6:7], v[129:130]
	v_fma_f64 v[135:136], v[121:122], v[6:7], -v[8:9]
	ds_load_b128 v[6:9], v1 offset:624
	scratch_load_b128 v[121:124], off, off offset:352
	s_waitcnt vmcnt(9) lgkmcnt(1)
	v_mul_f64 v[133:134], v[2:3], v[12:13]
	v_mul_f64 v[12:13], v[4:5], v[12:13]
	s_waitcnt vmcnt(8) lgkmcnt(0)
	v_mul_f64 v[137:138], v[6:7], v[16:17]
	v_mul_f64 v[16:17], v[8:9], v[16:17]
	v_add_f64 v[23:24], v[23:24], 0
	v_add_f64 v[131:132], v[131:132], 0
	v_fma_f64 v[133:134], v[4:5], v[10:11], v[133:134]
	v_fma_f64 v[139:140], v[2:3], v[10:11], -v[12:13]
	scratch_load_b128 v[10:13], off, off offset:368
	ds_load_b128 v[2:5], v1 offset:640
	v_add_f64 v[23:24], v[23:24], v[135:136]
	v_add_f64 v[129:130], v[131:132], v[129:130]
	v_fma_f64 v[135:136], v[8:9], v[14:15], v[137:138]
	v_fma_f64 v[137:138], v[6:7], v[14:15], -v[16:17]
	ds_load_b128 v[6:9], v1 offset:656
	scratch_load_b128 v[14:17], off, off offset:384
	s_waitcnt vmcnt(9) lgkmcnt(1)
	v_mul_f64 v[131:132], v[2:3], v[21:22]
	v_mul_f64 v[21:22], v[4:5], v[21:22]
	v_add_f64 v[23:24], v[23:24], v[139:140]
	v_add_f64 v[129:130], v[129:130], v[133:134]
	s_waitcnt vmcnt(8) lgkmcnt(0)
	v_mul_f64 v[133:134], v[6:7], v[103:104]
	v_mul_f64 v[103:104], v[8:9], v[103:104]
	v_fma_f64 v[131:132], v[4:5], v[19:20], v[131:132]
	v_fma_f64 v[19:20], v[2:3], v[19:20], -v[21:22]
	ds_load_b128 v[2:5], v1 offset:672
	v_add_f64 v[21:22], v[23:24], v[137:138]
	v_add_f64 v[23:24], v[129:130], v[135:136]
	v_fma_f64 v[133:134], v[8:9], v[101:102], v[133:134]
	v_fma_f64 v[101:102], v[6:7], v[101:102], -v[103:104]
	ds_load_b128 v[6:9], v1 offset:688
	s_waitcnt vmcnt(7) lgkmcnt(1)
	v_mul_f64 v[129:130], v[2:3], v[107:108]
	v_mul_f64 v[107:108], v[4:5], v[107:108]
	s_waitcnt vmcnt(6) lgkmcnt(0)
	v_mul_f64 v[103:104], v[8:9], v[111:112]
	v_add_f64 v[19:20], v[21:22], v[19:20]
	v_add_f64 v[21:22], v[23:24], v[131:132]
	v_mul_f64 v[23:24], v[6:7], v[111:112]
	v_fma_f64 v[111:112], v[4:5], v[105:106], v[129:130]
	v_fma_f64 v[105:106], v[2:3], v[105:106], -v[107:108]
	ds_load_b128 v[2:5], v1 offset:704
	v_fma_f64 v[103:104], v[6:7], v[109:110], -v[103:104]
	v_add_f64 v[101:102], v[19:20], v[101:102]
	v_add_f64 v[107:108], v[21:22], v[133:134]
	scratch_load_b128 v[19:22], off, off offset:160
	v_fma_f64 v[23:24], v[8:9], v[109:110], v[23:24]
	ds_load_b128 v[6:9], v1 offset:720
	s_waitcnt vmcnt(6) lgkmcnt(1)
	v_mul_f64 v[129:130], v[2:3], v[119:120]
	v_mul_f64 v[119:120], v[4:5], v[119:120]
	s_waitcnt vmcnt(5) lgkmcnt(0)
	v_mul_f64 v[109:110], v[8:9], v[127:128]
	v_add_f64 v[101:102], v[101:102], v[105:106]
	v_add_f64 v[105:106], v[107:108], v[111:112]
	v_mul_f64 v[107:108], v[6:7], v[127:128]
	v_fma_f64 v[111:112], v[4:5], v[117:118], v[129:130]
	v_fma_f64 v[117:118], v[2:3], v[117:118], -v[119:120]
	ds_load_b128 v[2:5], v1 offset:736
	v_fma_f64 v[109:110], v[6:7], v[125:126], -v[109:110]
	v_add_f64 v[101:102], v[101:102], v[103:104]
	v_add_f64 v[23:24], v[105:106], v[23:24]
	v_fma_f64 v[107:108], v[8:9], v[125:126], v[107:108]
	ds_load_b128 v[6:9], v1 offset:752
	s_waitcnt vmcnt(4) lgkmcnt(1)
	v_mul_f64 v[103:104], v[2:3], v[115:116]
	v_mul_f64 v[105:106], v[4:5], v[115:116]
	s_waitcnt vmcnt(3) lgkmcnt(0)
	v_mul_f64 v[115:116], v[8:9], v[123:124]
	v_add_f64 v[101:102], v[101:102], v[117:118]
	v_add_f64 v[23:24], v[23:24], v[111:112]
	v_mul_f64 v[111:112], v[6:7], v[123:124]
	v_fma_f64 v[103:104], v[4:5], v[113:114], v[103:104]
	v_fma_f64 v[105:106], v[2:3], v[113:114], -v[105:106]
	ds_load_b128 v[2:5], v1 offset:768
	v_add_f64 v[101:102], v[101:102], v[109:110]
	v_add_f64 v[23:24], v[23:24], v[107:108]
	v_fma_f64 v[109:110], v[8:9], v[121:122], v[111:112]
	v_fma_f64 v[111:112], v[6:7], v[121:122], -v[115:116]
	ds_load_b128 v[6:9], v1 offset:784
	s_waitcnt vmcnt(2) lgkmcnt(1)
	v_mul_f64 v[107:108], v[2:3], v[12:13]
	v_mul_f64 v[12:13], v[4:5], v[12:13]
	v_add_f64 v[101:102], v[101:102], v[105:106]
	v_add_f64 v[23:24], v[23:24], v[103:104]
	s_waitcnt vmcnt(1) lgkmcnt(0)
	v_mul_f64 v[103:104], v[6:7], v[16:17]
	v_mul_f64 v[16:17], v[8:9], v[16:17]
	v_fma_f64 v[4:5], v[4:5], v[10:11], v[107:108]
	v_fma_f64 v[1:2], v[2:3], v[10:11], -v[12:13]
	v_add_f64 v[10:11], v[101:102], v[111:112]
	v_add_f64 v[12:13], v[23:24], v[109:110]
	v_fma_f64 v[8:9], v[8:9], v[14:15], v[103:104]
	v_fma_f64 v[6:7], v[6:7], v[14:15], -v[16:17]
	s_delay_alu instid0(VALU_DEP_4) | instskip(NEXT) | instid1(VALU_DEP_4)
	v_add_f64 v[1:2], v[10:11], v[1:2]
	v_add_f64 v[3:4], v[12:13], v[4:5]
	s_delay_alu instid0(VALU_DEP_2) | instskip(NEXT) | instid1(VALU_DEP_2)
	v_add_f64 v[1:2], v[1:2], v[6:7]
	v_add_f64 v[3:4], v[3:4], v[8:9]
	s_waitcnt vmcnt(0)
	s_delay_alu instid0(VALU_DEP_2) | instskip(NEXT) | instid1(VALU_DEP_2)
	v_add_f64 v[1:2], v[19:20], -v[1:2]
	v_add_f64 v[3:4], v[21:22], -v[3:4]
	scratch_store_b128 off, v[1:4], off offset:160
	v_cmpx_lt_u32_e32 9, v76
	s_cbranch_execz .LBB24_145
; %bb.144:
	scratch_load_b128 v[1:4], v83, off
	v_mov_b32_e32 v5, 0
	s_delay_alu instid0(VALU_DEP_1)
	v_mov_b32_e32 v6, v5
	v_mov_b32_e32 v7, v5
	v_mov_b32_e32 v8, v5
	scratch_store_b128 off, v[5:8], off offset:144
	s_waitcnt vmcnt(0)
	ds_store_b128 v18, v[1:4]
.LBB24_145:
	s_or_b32 exec_lo, exec_lo, s2
	s_waitcnt lgkmcnt(0)
	s_waitcnt_vscnt null, 0x0
	s_barrier
	buffer_gl0_inv
	s_clause 0x7
	scratch_load_b128 v[2:5], off, off offset:160
	scratch_load_b128 v[6:9], off, off offset:176
	;; [unrolled: 1-line block ×8, first 2 shown]
	v_mov_b32_e32 v1, 0
	s_clause 0x1
	scratch_load_b128 v[117:120], off, off offset:288
	scratch_load_b128 v[125:128], off, off offset:304
	s_mov_b32 s2, exec_lo
	ds_load_b128 v[113:116], v1 offset:560
	ds_load_b128 v[121:124], v1 offset:576
	s_waitcnt vmcnt(9) lgkmcnt(1)
	v_mul_f64 v[23:24], v[115:116], v[4:5]
	v_mul_f64 v[4:5], v[113:114], v[4:5]
	s_waitcnt vmcnt(8) lgkmcnt(0)
	v_mul_f64 v[129:130], v[121:122], v[8:9]
	v_mul_f64 v[8:9], v[123:124], v[8:9]
	s_delay_alu instid0(VALU_DEP_4) | instskip(NEXT) | instid1(VALU_DEP_4)
	v_fma_f64 v[23:24], v[113:114], v[2:3], -v[23:24]
	v_fma_f64 v[131:132], v[115:116], v[2:3], v[4:5]
	ds_load_b128 v[2:5], v1 offset:592
	scratch_load_b128 v[113:116], off, off offset:320
	v_fma_f64 v[129:130], v[123:124], v[6:7], v[129:130]
	v_fma_f64 v[135:136], v[121:122], v[6:7], -v[8:9]
	ds_load_b128 v[6:9], v1 offset:608
	scratch_load_b128 v[121:124], off, off offset:336
	s_waitcnt vmcnt(9) lgkmcnt(1)
	v_mul_f64 v[133:134], v[2:3], v[12:13]
	v_mul_f64 v[12:13], v[4:5], v[12:13]
	s_waitcnt vmcnt(8) lgkmcnt(0)
	v_mul_f64 v[137:138], v[6:7], v[16:17]
	v_mul_f64 v[16:17], v[8:9], v[16:17]
	v_add_f64 v[23:24], v[23:24], 0
	v_add_f64 v[131:132], v[131:132], 0
	v_fma_f64 v[133:134], v[4:5], v[10:11], v[133:134]
	v_fma_f64 v[139:140], v[2:3], v[10:11], -v[12:13]
	scratch_load_b128 v[10:13], off, off offset:352
	ds_load_b128 v[2:5], v1 offset:624
	v_add_f64 v[23:24], v[23:24], v[135:136]
	v_add_f64 v[129:130], v[131:132], v[129:130]
	v_fma_f64 v[135:136], v[8:9], v[14:15], v[137:138]
	v_fma_f64 v[137:138], v[6:7], v[14:15], -v[16:17]
	ds_load_b128 v[6:9], v1 offset:640
	scratch_load_b128 v[14:17], off, off offset:368
	s_waitcnt vmcnt(9) lgkmcnt(1)
	v_mul_f64 v[131:132], v[2:3], v[21:22]
	v_mul_f64 v[21:22], v[4:5], v[21:22]
	v_add_f64 v[23:24], v[23:24], v[139:140]
	v_add_f64 v[129:130], v[129:130], v[133:134]
	s_waitcnt vmcnt(8) lgkmcnt(0)
	v_mul_f64 v[133:134], v[6:7], v[103:104]
	v_mul_f64 v[103:104], v[8:9], v[103:104]
	v_fma_f64 v[131:132], v[4:5], v[19:20], v[131:132]
	v_fma_f64 v[139:140], v[2:3], v[19:20], -v[21:22]
	scratch_load_b128 v[19:22], off, off offset:384
	ds_load_b128 v[2:5], v1 offset:656
	v_add_f64 v[23:24], v[23:24], v[137:138]
	v_add_f64 v[129:130], v[129:130], v[135:136]
	v_fma_f64 v[133:134], v[8:9], v[101:102], v[133:134]
	v_fma_f64 v[101:102], v[6:7], v[101:102], -v[103:104]
	ds_load_b128 v[6:9], v1 offset:672
	s_waitcnt vmcnt(8) lgkmcnt(1)
	v_mul_f64 v[135:136], v[2:3], v[107:108]
	v_mul_f64 v[107:108], v[4:5], v[107:108]
	v_add_f64 v[23:24], v[23:24], v[139:140]
	v_add_f64 v[103:104], v[129:130], v[131:132]
	s_waitcnt vmcnt(7) lgkmcnt(0)
	v_mul_f64 v[129:130], v[6:7], v[111:112]
	v_mul_f64 v[111:112], v[8:9], v[111:112]
	v_fma_f64 v[131:132], v[4:5], v[105:106], v[135:136]
	v_fma_f64 v[105:106], v[2:3], v[105:106], -v[107:108]
	ds_load_b128 v[2:5], v1 offset:688
	v_add_f64 v[23:24], v[23:24], v[101:102]
	v_add_f64 v[101:102], v[103:104], v[133:134]
	v_fma_f64 v[129:130], v[8:9], v[109:110], v[129:130]
	v_fma_f64 v[109:110], v[6:7], v[109:110], -v[111:112]
	ds_load_b128 v[6:9], v1 offset:704
	s_waitcnt vmcnt(5) lgkmcnt(0)
	v_mul_f64 v[111:112], v[6:7], v[127:128]
	v_mul_f64 v[127:128], v[8:9], v[127:128]
	v_add_f64 v[23:24], v[23:24], v[105:106]
	v_add_f64 v[105:106], v[101:102], v[131:132]
	scratch_load_b128 v[101:104], off, off offset:144
	v_mul_f64 v[107:108], v[2:3], v[119:120]
	v_mul_f64 v[119:120], v[4:5], v[119:120]
	v_fma_f64 v[111:112], v[8:9], v[125:126], v[111:112]
	v_add_f64 v[23:24], v[23:24], v[109:110]
	v_add_f64 v[105:106], v[105:106], v[129:130]
	v_fma_f64 v[107:108], v[4:5], v[117:118], v[107:108]
	v_fma_f64 v[117:118], v[2:3], v[117:118], -v[119:120]
	ds_load_b128 v[2:5], v1 offset:720
	v_fma_f64 v[119:120], v[6:7], v[125:126], -v[127:128]
	ds_load_b128 v[6:9], v1 offset:736
	s_waitcnt vmcnt(5) lgkmcnt(1)
	v_mul_f64 v[109:110], v[2:3], v[115:116]
	v_mul_f64 v[115:116], v[4:5], v[115:116]
	v_add_f64 v[105:106], v[105:106], v[107:108]
	v_add_f64 v[23:24], v[23:24], v[117:118]
	s_waitcnt vmcnt(4) lgkmcnt(0)
	v_mul_f64 v[107:108], v[6:7], v[123:124]
	v_mul_f64 v[117:118], v[8:9], v[123:124]
	v_fma_f64 v[109:110], v[4:5], v[113:114], v[109:110]
	v_fma_f64 v[113:114], v[2:3], v[113:114], -v[115:116]
	ds_load_b128 v[2:5], v1 offset:752
	v_add_f64 v[105:106], v[105:106], v[111:112]
	v_add_f64 v[23:24], v[23:24], v[119:120]
	v_fma_f64 v[107:108], v[8:9], v[121:122], v[107:108]
	v_fma_f64 v[115:116], v[6:7], v[121:122], -v[117:118]
	ds_load_b128 v[6:9], v1 offset:768
	s_waitcnt vmcnt(3) lgkmcnt(1)
	v_mul_f64 v[111:112], v[2:3], v[12:13]
	v_mul_f64 v[12:13], v[4:5], v[12:13]
	v_add_f64 v[105:106], v[105:106], v[109:110]
	v_add_f64 v[23:24], v[23:24], v[113:114]
	s_waitcnt vmcnt(2) lgkmcnt(0)
	v_mul_f64 v[109:110], v[6:7], v[16:17]
	v_mul_f64 v[16:17], v[8:9], v[16:17]
	v_fma_f64 v[111:112], v[4:5], v[10:11], v[111:112]
	v_fma_f64 v[10:11], v[2:3], v[10:11], -v[12:13]
	ds_load_b128 v[2:5], v1 offset:784
	v_add_f64 v[12:13], v[23:24], v[115:116]
	v_add_f64 v[23:24], v[105:106], v[107:108]
	s_waitcnt vmcnt(1) lgkmcnt(0)
	v_mul_f64 v[105:106], v[2:3], v[21:22]
	v_mul_f64 v[21:22], v[4:5], v[21:22]
	v_fma_f64 v[8:9], v[8:9], v[14:15], v[109:110]
	v_fma_f64 v[6:7], v[6:7], v[14:15], -v[16:17]
	v_add_f64 v[10:11], v[12:13], v[10:11]
	v_add_f64 v[12:13], v[23:24], v[111:112]
	v_fma_f64 v[4:5], v[4:5], v[19:20], v[105:106]
	v_fma_f64 v[2:3], v[2:3], v[19:20], -v[21:22]
	s_delay_alu instid0(VALU_DEP_4) | instskip(NEXT) | instid1(VALU_DEP_4)
	v_add_f64 v[6:7], v[10:11], v[6:7]
	v_add_f64 v[8:9], v[12:13], v[8:9]
	s_delay_alu instid0(VALU_DEP_2) | instskip(NEXT) | instid1(VALU_DEP_2)
	v_add_f64 v[2:3], v[6:7], v[2:3]
	v_add_f64 v[4:5], v[8:9], v[4:5]
	s_waitcnt vmcnt(0)
	s_delay_alu instid0(VALU_DEP_2) | instskip(NEXT) | instid1(VALU_DEP_2)
	v_add_f64 v[2:3], v[101:102], -v[2:3]
	v_add_f64 v[4:5], v[103:104], -v[4:5]
	scratch_store_b128 off, v[2:5], off offset:144
	v_cmpx_lt_u32_e32 8, v76
	s_cbranch_execz .LBB24_147
; %bb.146:
	scratch_load_b128 v[5:8], v82, off
	v_mov_b32_e32 v2, v1
	v_mov_b32_e32 v3, v1
	;; [unrolled: 1-line block ×3, first 2 shown]
	scratch_store_b128 off, v[1:4], off offset:128
	s_waitcnt vmcnt(0)
	ds_store_b128 v18, v[5:8]
.LBB24_147:
	s_or_b32 exec_lo, exec_lo, s2
	s_waitcnt lgkmcnt(0)
	s_waitcnt_vscnt null, 0x0
	s_barrier
	buffer_gl0_inv
	s_clause 0x7
	scratch_load_b128 v[2:5], off, off offset:144
	scratch_load_b128 v[6:9], off, off offset:160
	;; [unrolled: 1-line block ×8, first 2 shown]
	ds_load_b128 v[113:116], v1 offset:544
	ds_load_b128 v[121:124], v1 offset:560
	s_clause 0x1
	scratch_load_b128 v[117:120], off, off offset:272
	scratch_load_b128 v[125:128], off, off offset:288
	s_mov_b32 s2, exec_lo
	s_waitcnt vmcnt(9) lgkmcnt(1)
	v_mul_f64 v[23:24], v[115:116], v[4:5]
	v_mul_f64 v[4:5], v[113:114], v[4:5]
	s_waitcnt vmcnt(8) lgkmcnt(0)
	v_mul_f64 v[129:130], v[121:122], v[8:9]
	v_mul_f64 v[8:9], v[123:124], v[8:9]
	s_delay_alu instid0(VALU_DEP_4) | instskip(NEXT) | instid1(VALU_DEP_4)
	v_fma_f64 v[23:24], v[113:114], v[2:3], -v[23:24]
	v_fma_f64 v[131:132], v[115:116], v[2:3], v[4:5]
	scratch_load_b128 v[113:116], off, off offset:304
	ds_load_b128 v[2:5], v1 offset:576
	v_fma_f64 v[129:130], v[123:124], v[6:7], v[129:130]
	v_fma_f64 v[135:136], v[121:122], v[6:7], -v[8:9]
	ds_load_b128 v[6:9], v1 offset:592
	scratch_load_b128 v[121:124], off, off offset:320
	s_waitcnt vmcnt(9) lgkmcnt(1)
	v_mul_f64 v[133:134], v[2:3], v[12:13]
	v_mul_f64 v[12:13], v[4:5], v[12:13]
	s_waitcnt vmcnt(8) lgkmcnt(0)
	v_mul_f64 v[137:138], v[6:7], v[16:17]
	v_mul_f64 v[16:17], v[8:9], v[16:17]
	v_add_f64 v[23:24], v[23:24], 0
	v_add_f64 v[131:132], v[131:132], 0
	v_fma_f64 v[133:134], v[4:5], v[10:11], v[133:134]
	v_fma_f64 v[139:140], v[2:3], v[10:11], -v[12:13]
	scratch_load_b128 v[10:13], off, off offset:336
	ds_load_b128 v[2:5], v1 offset:608
	v_add_f64 v[23:24], v[23:24], v[135:136]
	v_add_f64 v[129:130], v[131:132], v[129:130]
	v_fma_f64 v[135:136], v[8:9], v[14:15], v[137:138]
	v_fma_f64 v[137:138], v[6:7], v[14:15], -v[16:17]
	ds_load_b128 v[6:9], v1 offset:624
	scratch_load_b128 v[14:17], off, off offset:352
	s_waitcnt vmcnt(9) lgkmcnt(1)
	v_mul_f64 v[131:132], v[2:3], v[21:22]
	v_mul_f64 v[21:22], v[4:5], v[21:22]
	v_add_f64 v[23:24], v[23:24], v[139:140]
	v_add_f64 v[129:130], v[129:130], v[133:134]
	s_waitcnt vmcnt(8) lgkmcnt(0)
	v_mul_f64 v[133:134], v[6:7], v[103:104]
	v_mul_f64 v[103:104], v[8:9], v[103:104]
	v_fma_f64 v[131:132], v[4:5], v[19:20], v[131:132]
	v_fma_f64 v[139:140], v[2:3], v[19:20], -v[21:22]
	scratch_load_b128 v[19:22], off, off offset:368
	ds_load_b128 v[2:5], v1 offset:640
	v_add_f64 v[23:24], v[23:24], v[137:138]
	v_add_f64 v[129:130], v[129:130], v[135:136]
	v_fma_f64 v[133:134], v[8:9], v[101:102], v[133:134]
	v_fma_f64 v[137:138], v[6:7], v[101:102], -v[103:104]
	ds_load_b128 v[6:9], v1 offset:656
	s_waitcnt vmcnt(8) lgkmcnt(1)
	v_mul_f64 v[135:136], v[2:3], v[107:108]
	v_mul_f64 v[107:108], v[4:5], v[107:108]
	scratch_load_b128 v[101:104], off, off offset:384
	v_add_f64 v[23:24], v[23:24], v[139:140]
	v_add_f64 v[129:130], v[129:130], v[131:132]
	s_waitcnt vmcnt(8) lgkmcnt(0)
	v_mul_f64 v[131:132], v[6:7], v[111:112]
	v_mul_f64 v[111:112], v[8:9], v[111:112]
	v_fma_f64 v[135:136], v[4:5], v[105:106], v[135:136]
	v_fma_f64 v[105:106], v[2:3], v[105:106], -v[107:108]
	ds_load_b128 v[2:5], v1 offset:672
	v_add_f64 v[23:24], v[23:24], v[137:138]
	v_add_f64 v[107:108], v[129:130], v[133:134]
	v_fma_f64 v[131:132], v[8:9], v[109:110], v[131:132]
	v_fma_f64 v[109:110], v[6:7], v[109:110], -v[111:112]
	ds_load_b128 v[6:9], v1 offset:688
	s_waitcnt vmcnt(6) lgkmcnt(0)
	v_mul_f64 v[111:112], v[6:7], v[127:128]
	v_mul_f64 v[127:128], v[8:9], v[127:128]
	v_add_f64 v[23:24], v[23:24], v[105:106]
	v_add_f64 v[105:106], v[107:108], v[135:136]
	s_delay_alu instid0(VALU_DEP_4) | instskip(NEXT) | instid1(VALU_DEP_4)
	v_fma_f64 v[111:112], v[8:9], v[125:126], v[111:112]
	v_fma_f64 v[125:126], v[6:7], v[125:126], -v[127:128]
	ds_load_b128 v[6:9], v1 offset:720
	v_add_f64 v[23:24], v[23:24], v[109:110]
	v_add_f64 v[109:110], v[105:106], v[131:132]
	scratch_load_b128 v[105:108], off, off offset:128
	v_mul_f64 v[129:130], v[2:3], v[119:120]
	v_mul_f64 v[119:120], v[4:5], v[119:120]
	s_delay_alu instid0(VALU_DEP_2) | instskip(NEXT) | instid1(VALU_DEP_2)
	v_fma_f64 v[129:130], v[4:5], v[117:118], v[129:130]
	v_fma_f64 v[117:118], v[2:3], v[117:118], -v[119:120]
	ds_load_b128 v[2:5], v1 offset:704
	s_waitcnt vmcnt(6) lgkmcnt(0)
	v_mul_f64 v[119:120], v[2:3], v[115:116]
	v_mul_f64 v[115:116], v[4:5], v[115:116]
	v_add_f64 v[109:110], v[109:110], v[129:130]
	v_add_f64 v[23:24], v[23:24], v[117:118]
	s_waitcnt vmcnt(5)
	v_mul_f64 v[117:118], v[6:7], v[123:124]
	v_mul_f64 v[123:124], v[8:9], v[123:124]
	v_fma_f64 v[119:120], v[4:5], v[113:114], v[119:120]
	v_fma_f64 v[113:114], v[2:3], v[113:114], -v[115:116]
	ds_load_b128 v[2:5], v1 offset:736
	v_add_f64 v[109:110], v[109:110], v[111:112]
	v_add_f64 v[23:24], v[23:24], v[125:126]
	v_fma_f64 v[115:116], v[8:9], v[121:122], v[117:118]
	v_fma_f64 v[117:118], v[6:7], v[121:122], -v[123:124]
	ds_load_b128 v[6:9], v1 offset:752
	s_waitcnt vmcnt(4) lgkmcnt(1)
	v_mul_f64 v[111:112], v[2:3], v[12:13]
	v_mul_f64 v[12:13], v[4:5], v[12:13]
	v_add_f64 v[109:110], v[109:110], v[119:120]
	v_add_f64 v[23:24], v[23:24], v[113:114]
	s_waitcnt vmcnt(3) lgkmcnt(0)
	v_mul_f64 v[113:114], v[6:7], v[16:17]
	v_mul_f64 v[16:17], v[8:9], v[16:17]
	v_fma_f64 v[111:112], v[4:5], v[10:11], v[111:112]
	v_fma_f64 v[10:11], v[2:3], v[10:11], -v[12:13]
	ds_load_b128 v[2:5], v1 offset:768
	v_add_f64 v[12:13], v[23:24], v[117:118]
	v_add_f64 v[23:24], v[109:110], v[115:116]
	v_fma_f64 v[113:114], v[8:9], v[14:15], v[113:114]
	v_fma_f64 v[14:15], v[6:7], v[14:15], -v[16:17]
	ds_load_b128 v[6:9], v1 offset:784
	s_waitcnt vmcnt(2) lgkmcnt(1)
	v_mul_f64 v[109:110], v[2:3], v[21:22]
	v_mul_f64 v[21:22], v[4:5], v[21:22]
	s_waitcnt vmcnt(1) lgkmcnt(0)
	v_mul_f64 v[16:17], v[6:7], v[103:104]
	v_add_f64 v[10:11], v[12:13], v[10:11]
	v_add_f64 v[12:13], v[23:24], v[111:112]
	v_mul_f64 v[23:24], v[8:9], v[103:104]
	v_fma_f64 v[4:5], v[4:5], v[19:20], v[109:110]
	v_fma_f64 v[1:2], v[2:3], v[19:20], -v[21:22]
	v_fma_f64 v[8:9], v[8:9], v[101:102], v[16:17]
	v_add_f64 v[10:11], v[10:11], v[14:15]
	v_add_f64 v[12:13], v[12:13], v[113:114]
	v_fma_f64 v[6:7], v[6:7], v[101:102], -v[23:24]
	s_delay_alu instid0(VALU_DEP_3) | instskip(NEXT) | instid1(VALU_DEP_3)
	v_add_f64 v[1:2], v[10:11], v[1:2]
	v_add_f64 v[3:4], v[12:13], v[4:5]
	s_delay_alu instid0(VALU_DEP_2) | instskip(NEXT) | instid1(VALU_DEP_2)
	v_add_f64 v[1:2], v[1:2], v[6:7]
	v_add_f64 v[3:4], v[3:4], v[8:9]
	s_waitcnt vmcnt(0)
	s_delay_alu instid0(VALU_DEP_2) | instskip(NEXT) | instid1(VALU_DEP_2)
	v_add_f64 v[1:2], v[105:106], -v[1:2]
	v_add_f64 v[3:4], v[107:108], -v[3:4]
	scratch_store_b128 off, v[1:4], off offset:128
	v_cmpx_lt_u32_e32 7, v76
	s_cbranch_execz .LBB24_149
; %bb.148:
	scratch_load_b128 v[1:4], v84, off
	v_mov_b32_e32 v5, 0
	s_delay_alu instid0(VALU_DEP_1)
	v_mov_b32_e32 v6, v5
	v_mov_b32_e32 v7, v5
	;; [unrolled: 1-line block ×3, first 2 shown]
	scratch_store_b128 off, v[5:8], off offset:112
	s_waitcnt vmcnt(0)
	ds_store_b128 v18, v[1:4]
.LBB24_149:
	s_or_b32 exec_lo, exec_lo, s2
	s_waitcnt lgkmcnt(0)
	s_waitcnt_vscnt null, 0x0
	s_barrier
	buffer_gl0_inv
	s_clause 0x7
	scratch_load_b128 v[2:5], off, off offset:128
	scratch_load_b128 v[6:9], off, off offset:144
	;; [unrolled: 1-line block ×8, first 2 shown]
	v_mov_b32_e32 v1, 0
	s_clause 0x1
	scratch_load_b128 v[117:120], off, off offset:256
	scratch_load_b128 v[125:128], off, off offset:272
	s_mov_b32 s2, exec_lo
	ds_load_b128 v[113:116], v1 offset:528
	ds_load_b128 v[121:124], v1 offset:544
	s_waitcnt vmcnt(9) lgkmcnt(1)
	v_mul_f64 v[23:24], v[115:116], v[4:5]
	v_mul_f64 v[4:5], v[113:114], v[4:5]
	s_waitcnt vmcnt(8) lgkmcnt(0)
	v_mul_f64 v[129:130], v[121:122], v[8:9]
	v_mul_f64 v[8:9], v[123:124], v[8:9]
	s_delay_alu instid0(VALU_DEP_4) | instskip(NEXT) | instid1(VALU_DEP_4)
	v_fma_f64 v[23:24], v[113:114], v[2:3], -v[23:24]
	v_fma_f64 v[131:132], v[115:116], v[2:3], v[4:5]
	ds_load_b128 v[2:5], v1 offset:560
	v_fma_f64 v[129:130], v[123:124], v[6:7], v[129:130]
	v_fma_f64 v[135:136], v[121:122], v[6:7], -v[8:9]
	ds_load_b128 v[6:9], v1 offset:576
	s_clause 0x1
	scratch_load_b128 v[113:116], off, off offset:288
	scratch_load_b128 v[121:124], off, off offset:304
	s_waitcnt vmcnt(9) lgkmcnt(1)
	v_mul_f64 v[133:134], v[2:3], v[12:13]
	v_mul_f64 v[12:13], v[4:5], v[12:13]
	s_waitcnt vmcnt(8) lgkmcnt(0)
	v_mul_f64 v[137:138], v[6:7], v[16:17]
	v_mul_f64 v[16:17], v[8:9], v[16:17]
	v_add_f64 v[23:24], v[23:24], 0
	v_add_f64 v[131:132], v[131:132], 0
	v_fma_f64 v[133:134], v[4:5], v[10:11], v[133:134]
	v_fma_f64 v[139:140], v[2:3], v[10:11], -v[12:13]
	scratch_load_b128 v[10:13], off, off offset:320
	ds_load_b128 v[2:5], v1 offset:592
	v_add_f64 v[23:24], v[23:24], v[135:136]
	v_add_f64 v[129:130], v[131:132], v[129:130]
	v_fma_f64 v[135:136], v[8:9], v[14:15], v[137:138]
	v_fma_f64 v[137:138], v[6:7], v[14:15], -v[16:17]
	ds_load_b128 v[6:9], v1 offset:608
	scratch_load_b128 v[14:17], off, off offset:336
	s_waitcnt vmcnt(9) lgkmcnt(1)
	v_mul_f64 v[131:132], v[2:3], v[21:22]
	v_mul_f64 v[21:22], v[4:5], v[21:22]
	v_add_f64 v[23:24], v[23:24], v[139:140]
	v_add_f64 v[129:130], v[129:130], v[133:134]
	s_waitcnt vmcnt(8) lgkmcnt(0)
	v_mul_f64 v[133:134], v[6:7], v[103:104]
	v_mul_f64 v[103:104], v[8:9], v[103:104]
	v_fma_f64 v[131:132], v[4:5], v[19:20], v[131:132]
	v_fma_f64 v[139:140], v[2:3], v[19:20], -v[21:22]
	scratch_load_b128 v[19:22], off, off offset:352
	ds_load_b128 v[2:5], v1 offset:624
	v_add_f64 v[23:24], v[23:24], v[137:138]
	v_add_f64 v[129:130], v[129:130], v[135:136]
	v_fma_f64 v[133:134], v[8:9], v[101:102], v[133:134]
	v_fma_f64 v[137:138], v[6:7], v[101:102], -v[103:104]
	ds_load_b128 v[6:9], v1 offset:640
	s_waitcnt vmcnt(8) lgkmcnt(1)
	v_mul_f64 v[135:136], v[2:3], v[107:108]
	v_mul_f64 v[107:108], v[4:5], v[107:108]
	scratch_load_b128 v[101:104], off, off offset:368
	v_add_f64 v[23:24], v[23:24], v[139:140]
	v_add_f64 v[129:130], v[129:130], v[131:132]
	s_waitcnt vmcnt(8) lgkmcnt(0)
	v_mul_f64 v[131:132], v[6:7], v[111:112]
	v_mul_f64 v[111:112], v[8:9], v[111:112]
	v_fma_f64 v[135:136], v[4:5], v[105:106], v[135:136]
	v_fma_f64 v[139:140], v[2:3], v[105:106], -v[107:108]
	scratch_load_b128 v[105:108], off, off offset:384
	ds_load_b128 v[2:5], v1 offset:656
	v_add_f64 v[23:24], v[23:24], v[137:138]
	v_add_f64 v[129:130], v[129:130], v[133:134]
	v_fma_f64 v[131:132], v[8:9], v[109:110], v[131:132]
	v_fma_f64 v[109:110], v[6:7], v[109:110], -v[111:112]
	ds_load_b128 v[6:9], v1 offset:672
	s_waitcnt vmcnt(8) lgkmcnt(1)
	v_mul_f64 v[133:134], v[2:3], v[119:120]
	v_mul_f64 v[119:120], v[4:5], v[119:120]
	v_add_f64 v[23:24], v[23:24], v[139:140]
	v_add_f64 v[111:112], v[129:130], v[135:136]
	s_delay_alu instid0(VALU_DEP_4) | instskip(NEXT) | instid1(VALU_DEP_4)
	v_fma_f64 v[133:134], v[4:5], v[117:118], v[133:134]
	v_fma_f64 v[117:118], v[2:3], v[117:118], -v[119:120]
	ds_load_b128 v[2:5], v1 offset:688
	v_add_f64 v[23:24], v[23:24], v[109:110]
	v_add_f64 v[109:110], v[111:112], v[131:132]
	s_delay_alu instid0(VALU_DEP_2) | instskip(NEXT) | instid1(VALU_DEP_2)
	v_add_f64 v[23:24], v[23:24], v[117:118]
	v_add_f64 v[117:118], v[109:110], v[133:134]
	scratch_load_b128 v[109:112], off, off offset:112
	s_waitcnt vmcnt(8) lgkmcnt(1)
	v_mul_f64 v[129:130], v[6:7], v[127:128]
	v_mul_f64 v[127:128], v[8:9], v[127:128]
	s_delay_alu instid0(VALU_DEP_2) | instskip(NEXT) | instid1(VALU_DEP_2)
	v_fma_f64 v[129:130], v[8:9], v[125:126], v[129:130]
	v_fma_f64 v[125:126], v[6:7], v[125:126], -v[127:128]
	ds_load_b128 v[6:9], v1 offset:704
	s_waitcnt vmcnt(7) lgkmcnt(1)
	v_mul_f64 v[119:120], v[2:3], v[115:116]
	v_mul_f64 v[115:116], v[4:5], v[115:116]
	s_waitcnt vmcnt(6) lgkmcnt(0)
	v_mul_f64 v[127:128], v[6:7], v[123:124]
	v_mul_f64 v[123:124], v[8:9], v[123:124]
	v_add_f64 v[23:24], v[23:24], v[125:126]
	v_fma_f64 v[119:120], v[4:5], v[113:114], v[119:120]
	v_fma_f64 v[113:114], v[2:3], v[113:114], -v[115:116]
	v_add_f64 v[115:116], v[117:118], v[129:130]
	ds_load_b128 v[2:5], v1 offset:720
	v_fma_f64 v[125:126], v[8:9], v[121:122], v[127:128]
	v_fma_f64 v[121:122], v[6:7], v[121:122], -v[123:124]
	ds_load_b128 v[6:9], v1 offset:736
	s_waitcnt vmcnt(5) lgkmcnt(1)
	v_mul_f64 v[117:118], v[2:3], v[12:13]
	v_mul_f64 v[12:13], v[4:5], v[12:13]
	v_add_f64 v[23:24], v[23:24], v[113:114]
	v_add_f64 v[113:114], v[115:116], v[119:120]
	s_waitcnt vmcnt(4) lgkmcnt(0)
	v_mul_f64 v[115:116], v[6:7], v[16:17]
	v_mul_f64 v[16:17], v[8:9], v[16:17]
	v_fma_f64 v[117:118], v[4:5], v[10:11], v[117:118]
	v_fma_f64 v[10:11], v[2:3], v[10:11], -v[12:13]
	ds_load_b128 v[2:5], v1 offset:752
	v_add_f64 v[12:13], v[23:24], v[121:122]
	v_add_f64 v[23:24], v[113:114], v[125:126]
	v_fma_f64 v[115:116], v[8:9], v[14:15], v[115:116]
	v_fma_f64 v[14:15], v[6:7], v[14:15], -v[16:17]
	ds_load_b128 v[6:9], v1 offset:768
	s_waitcnt vmcnt(3) lgkmcnt(1)
	v_mul_f64 v[113:114], v[2:3], v[21:22]
	v_mul_f64 v[21:22], v[4:5], v[21:22]
	s_waitcnt vmcnt(2) lgkmcnt(0)
	v_mul_f64 v[16:17], v[6:7], v[103:104]
	v_add_f64 v[10:11], v[12:13], v[10:11]
	v_add_f64 v[12:13], v[23:24], v[117:118]
	v_mul_f64 v[23:24], v[8:9], v[103:104]
	v_fma_f64 v[103:104], v[4:5], v[19:20], v[113:114]
	v_fma_f64 v[19:20], v[2:3], v[19:20], -v[21:22]
	ds_load_b128 v[2:5], v1 offset:784
	v_fma_f64 v[8:9], v[8:9], v[101:102], v[16:17]
	s_waitcnt vmcnt(1) lgkmcnt(0)
	v_mul_f64 v[21:22], v[4:5], v[107:108]
	v_add_f64 v[10:11], v[10:11], v[14:15]
	v_add_f64 v[12:13], v[12:13], v[115:116]
	v_mul_f64 v[14:15], v[2:3], v[107:108]
	v_fma_f64 v[6:7], v[6:7], v[101:102], -v[23:24]
	v_fma_f64 v[2:3], v[2:3], v[105:106], -v[21:22]
	v_add_f64 v[10:11], v[10:11], v[19:20]
	v_add_f64 v[12:13], v[12:13], v[103:104]
	v_fma_f64 v[4:5], v[4:5], v[105:106], v[14:15]
	s_delay_alu instid0(VALU_DEP_3) | instskip(NEXT) | instid1(VALU_DEP_3)
	v_add_f64 v[6:7], v[10:11], v[6:7]
	v_add_f64 v[8:9], v[12:13], v[8:9]
	s_delay_alu instid0(VALU_DEP_2) | instskip(NEXT) | instid1(VALU_DEP_2)
	v_add_f64 v[2:3], v[6:7], v[2:3]
	v_add_f64 v[4:5], v[8:9], v[4:5]
	s_waitcnt vmcnt(0)
	s_delay_alu instid0(VALU_DEP_2) | instskip(NEXT) | instid1(VALU_DEP_2)
	v_add_f64 v[2:3], v[109:110], -v[2:3]
	v_add_f64 v[4:5], v[111:112], -v[4:5]
	scratch_store_b128 off, v[2:5], off offset:112
	v_cmpx_lt_u32_e32 6, v76
	s_cbranch_execz .LBB24_151
; %bb.150:
	scratch_load_b128 v[5:8], v85, off
	v_mov_b32_e32 v2, v1
	v_mov_b32_e32 v3, v1
	;; [unrolled: 1-line block ×3, first 2 shown]
	scratch_store_b128 off, v[1:4], off offset:96
	s_waitcnt vmcnt(0)
	ds_store_b128 v18, v[5:8]
.LBB24_151:
	s_or_b32 exec_lo, exec_lo, s2
	s_waitcnt lgkmcnt(0)
	s_waitcnt_vscnt null, 0x0
	s_barrier
	buffer_gl0_inv
	s_clause 0x7
	scratch_load_b128 v[2:5], off, off offset:112
	scratch_load_b128 v[6:9], off, off offset:128
	;; [unrolled: 1-line block ×8, first 2 shown]
	ds_load_b128 v[113:116], v1 offset:512
	ds_load_b128 v[121:124], v1 offset:528
	s_clause 0x1
	scratch_load_b128 v[117:120], off, off offset:240
	scratch_load_b128 v[125:128], off, off offset:256
	s_mov_b32 s2, exec_lo
	s_waitcnt vmcnt(9) lgkmcnt(1)
	v_mul_f64 v[23:24], v[115:116], v[4:5]
	v_mul_f64 v[4:5], v[113:114], v[4:5]
	s_waitcnt vmcnt(8) lgkmcnt(0)
	v_mul_f64 v[129:130], v[121:122], v[8:9]
	v_mul_f64 v[8:9], v[123:124], v[8:9]
	s_delay_alu instid0(VALU_DEP_4) | instskip(NEXT) | instid1(VALU_DEP_4)
	v_fma_f64 v[23:24], v[113:114], v[2:3], -v[23:24]
	v_fma_f64 v[131:132], v[115:116], v[2:3], v[4:5]
	ds_load_b128 v[2:5], v1 offset:544
	scratch_load_b128 v[113:116], off, off offset:272
	v_fma_f64 v[129:130], v[123:124], v[6:7], v[129:130]
	v_fma_f64 v[135:136], v[121:122], v[6:7], -v[8:9]
	ds_load_b128 v[6:9], v1 offset:560
	scratch_load_b128 v[121:124], off, off offset:288
	s_waitcnt vmcnt(9) lgkmcnt(1)
	v_mul_f64 v[133:134], v[2:3], v[12:13]
	v_mul_f64 v[12:13], v[4:5], v[12:13]
	s_waitcnt vmcnt(8) lgkmcnt(0)
	v_mul_f64 v[137:138], v[6:7], v[16:17]
	v_mul_f64 v[16:17], v[8:9], v[16:17]
	v_add_f64 v[23:24], v[23:24], 0
	v_add_f64 v[131:132], v[131:132], 0
	v_fma_f64 v[133:134], v[4:5], v[10:11], v[133:134]
	v_fma_f64 v[139:140], v[2:3], v[10:11], -v[12:13]
	ds_load_b128 v[2:5], v1 offset:576
	scratch_load_b128 v[10:13], off, off offset:304
	v_add_f64 v[23:24], v[23:24], v[135:136]
	v_add_f64 v[129:130], v[131:132], v[129:130]
	v_fma_f64 v[135:136], v[8:9], v[14:15], v[137:138]
	v_fma_f64 v[137:138], v[6:7], v[14:15], -v[16:17]
	ds_load_b128 v[6:9], v1 offset:592
	scratch_load_b128 v[14:17], off, off offset:320
	s_waitcnt vmcnt(9) lgkmcnt(1)
	v_mul_f64 v[131:132], v[2:3], v[21:22]
	v_mul_f64 v[21:22], v[4:5], v[21:22]
	v_add_f64 v[23:24], v[23:24], v[139:140]
	v_add_f64 v[129:130], v[129:130], v[133:134]
	s_waitcnt vmcnt(8) lgkmcnt(0)
	v_mul_f64 v[133:134], v[6:7], v[103:104]
	v_mul_f64 v[103:104], v[8:9], v[103:104]
	v_fma_f64 v[131:132], v[4:5], v[19:20], v[131:132]
	v_fma_f64 v[139:140], v[2:3], v[19:20], -v[21:22]
	scratch_load_b128 v[19:22], off, off offset:336
	ds_load_b128 v[2:5], v1 offset:608
	v_add_f64 v[23:24], v[23:24], v[137:138]
	v_add_f64 v[129:130], v[129:130], v[135:136]
	v_fma_f64 v[133:134], v[8:9], v[101:102], v[133:134]
	v_fma_f64 v[137:138], v[6:7], v[101:102], -v[103:104]
	ds_load_b128 v[6:9], v1 offset:624
	s_waitcnt vmcnt(8) lgkmcnt(1)
	v_mul_f64 v[135:136], v[2:3], v[107:108]
	v_mul_f64 v[107:108], v[4:5], v[107:108]
	scratch_load_b128 v[101:104], off, off offset:352
	v_add_f64 v[23:24], v[23:24], v[139:140]
	v_add_f64 v[129:130], v[129:130], v[131:132]
	s_waitcnt vmcnt(8) lgkmcnt(0)
	v_mul_f64 v[131:132], v[6:7], v[111:112]
	v_mul_f64 v[111:112], v[8:9], v[111:112]
	v_fma_f64 v[135:136], v[4:5], v[105:106], v[135:136]
	v_fma_f64 v[139:140], v[2:3], v[105:106], -v[107:108]
	scratch_load_b128 v[105:108], off, off offset:368
	ds_load_b128 v[2:5], v1 offset:640
	v_add_f64 v[23:24], v[23:24], v[137:138]
	v_add_f64 v[129:130], v[129:130], v[133:134]
	v_fma_f64 v[131:132], v[8:9], v[109:110], v[131:132]
	v_fma_f64 v[137:138], v[6:7], v[109:110], -v[111:112]
	ds_load_b128 v[6:9], v1 offset:656
	s_waitcnt vmcnt(8) lgkmcnt(1)
	v_mul_f64 v[133:134], v[2:3], v[119:120]
	v_mul_f64 v[119:120], v[4:5], v[119:120]
	scratch_load_b128 v[109:112], off, off offset:384
	v_add_f64 v[23:24], v[23:24], v[139:140]
	v_add_f64 v[129:130], v[129:130], v[135:136]
	s_waitcnt vmcnt(8) lgkmcnt(0)
	v_mul_f64 v[135:136], v[6:7], v[127:128]
	v_mul_f64 v[127:128], v[8:9], v[127:128]
	v_fma_f64 v[133:134], v[4:5], v[117:118], v[133:134]
	v_fma_f64 v[117:118], v[2:3], v[117:118], -v[119:120]
	ds_load_b128 v[2:5], v1 offset:672
	v_add_f64 v[23:24], v[23:24], v[137:138]
	v_add_f64 v[119:120], v[129:130], v[131:132]
	v_fma_f64 v[131:132], v[8:9], v[125:126], v[135:136]
	v_fma_f64 v[125:126], v[6:7], v[125:126], -v[127:128]
	ds_load_b128 v[6:9], v1 offset:688
	s_waitcnt vmcnt(7) lgkmcnt(1)
	v_mul_f64 v[129:130], v[2:3], v[115:116]
	v_mul_f64 v[115:116], v[4:5], v[115:116]
	v_add_f64 v[23:24], v[23:24], v[117:118]
	v_add_f64 v[117:118], v[119:120], v[133:134]
	s_delay_alu instid0(VALU_DEP_4) | instskip(NEXT) | instid1(VALU_DEP_4)
	v_fma_f64 v[127:128], v[4:5], v[113:114], v[129:130]
	v_fma_f64 v[129:130], v[2:3], v[113:114], -v[115:116]
	scratch_load_b128 v[113:116], off, off offset:96
	s_waitcnt vmcnt(7) lgkmcnt(0)
	v_mul_f64 v[119:120], v[6:7], v[123:124]
	v_mul_f64 v[123:124], v[8:9], v[123:124]
	ds_load_b128 v[2:5], v1 offset:704
	v_add_f64 v[23:24], v[23:24], v[125:126]
	v_add_f64 v[117:118], v[117:118], v[131:132]
	v_fma_f64 v[119:120], v[8:9], v[121:122], v[119:120]
	v_fma_f64 v[121:122], v[6:7], v[121:122], -v[123:124]
	ds_load_b128 v[6:9], v1 offset:720
	s_waitcnt vmcnt(6) lgkmcnt(1)
	v_mul_f64 v[125:126], v[2:3], v[12:13]
	v_mul_f64 v[12:13], v[4:5], v[12:13]
	v_add_f64 v[23:24], v[23:24], v[129:130]
	v_add_f64 v[117:118], v[117:118], v[127:128]
	s_waitcnt vmcnt(5) lgkmcnt(0)
	v_mul_f64 v[123:124], v[6:7], v[16:17]
	v_mul_f64 v[16:17], v[8:9], v[16:17]
	v_fma_f64 v[125:126], v[4:5], v[10:11], v[125:126]
	v_fma_f64 v[10:11], v[2:3], v[10:11], -v[12:13]
	ds_load_b128 v[2:5], v1 offset:736
	v_add_f64 v[12:13], v[23:24], v[121:122]
	v_add_f64 v[23:24], v[117:118], v[119:120]
	v_fma_f64 v[119:120], v[8:9], v[14:15], v[123:124]
	v_fma_f64 v[14:15], v[6:7], v[14:15], -v[16:17]
	ds_load_b128 v[6:9], v1 offset:752
	s_waitcnt vmcnt(4) lgkmcnt(1)
	v_mul_f64 v[117:118], v[2:3], v[21:22]
	v_mul_f64 v[21:22], v[4:5], v[21:22]
	s_waitcnt vmcnt(3) lgkmcnt(0)
	v_mul_f64 v[16:17], v[6:7], v[103:104]
	v_add_f64 v[10:11], v[12:13], v[10:11]
	v_add_f64 v[12:13], v[23:24], v[125:126]
	v_mul_f64 v[23:24], v[8:9], v[103:104]
	v_fma_f64 v[103:104], v[4:5], v[19:20], v[117:118]
	v_fma_f64 v[19:20], v[2:3], v[19:20], -v[21:22]
	ds_load_b128 v[2:5], v1 offset:768
	v_fma_f64 v[16:17], v[8:9], v[101:102], v[16:17]
	v_add_f64 v[10:11], v[10:11], v[14:15]
	v_add_f64 v[12:13], v[12:13], v[119:120]
	v_fma_f64 v[23:24], v[6:7], v[101:102], -v[23:24]
	ds_load_b128 v[6:9], v1 offset:784
	s_waitcnt vmcnt(2) lgkmcnt(1)
	v_mul_f64 v[14:15], v[2:3], v[107:108]
	v_mul_f64 v[21:22], v[4:5], v[107:108]
	s_waitcnt vmcnt(1) lgkmcnt(0)
	v_mul_f64 v[101:102], v[8:9], v[111:112]
	v_add_f64 v[10:11], v[10:11], v[19:20]
	v_add_f64 v[12:13], v[12:13], v[103:104]
	v_mul_f64 v[19:20], v[6:7], v[111:112]
	v_fma_f64 v[4:5], v[4:5], v[105:106], v[14:15]
	v_fma_f64 v[1:2], v[2:3], v[105:106], -v[21:22]
	v_fma_f64 v[6:7], v[6:7], v[109:110], -v[101:102]
	v_add_f64 v[10:11], v[10:11], v[23:24]
	v_add_f64 v[12:13], v[12:13], v[16:17]
	v_fma_f64 v[8:9], v[8:9], v[109:110], v[19:20]
	s_delay_alu instid0(VALU_DEP_3) | instskip(NEXT) | instid1(VALU_DEP_3)
	v_add_f64 v[1:2], v[10:11], v[1:2]
	v_add_f64 v[3:4], v[12:13], v[4:5]
	s_delay_alu instid0(VALU_DEP_2) | instskip(NEXT) | instid1(VALU_DEP_2)
	v_add_f64 v[1:2], v[1:2], v[6:7]
	v_add_f64 v[3:4], v[3:4], v[8:9]
	s_waitcnt vmcnt(0)
	s_delay_alu instid0(VALU_DEP_2) | instskip(NEXT) | instid1(VALU_DEP_2)
	v_add_f64 v[1:2], v[113:114], -v[1:2]
	v_add_f64 v[3:4], v[115:116], -v[3:4]
	scratch_store_b128 off, v[1:4], off offset:96
	v_cmpx_lt_u32_e32 5, v76
	s_cbranch_execz .LBB24_153
; %bb.152:
	scratch_load_b128 v[1:4], v87, off
	v_mov_b32_e32 v5, 0
	s_delay_alu instid0(VALU_DEP_1)
	v_mov_b32_e32 v6, v5
	v_mov_b32_e32 v7, v5
	;; [unrolled: 1-line block ×3, first 2 shown]
	scratch_store_b128 off, v[5:8], off offset:80
	s_waitcnt vmcnt(0)
	ds_store_b128 v18, v[1:4]
.LBB24_153:
	s_or_b32 exec_lo, exec_lo, s2
	s_waitcnt lgkmcnt(0)
	s_waitcnt_vscnt null, 0x0
	s_barrier
	buffer_gl0_inv
	s_clause 0x7
	scratch_load_b128 v[2:5], off, off offset:96
	scratch_load_b128 v[6:9], off, off offset:112
	;; [unrolled: 1-line block ×8, first 2 shown]
	v_mov_b32_e32 v1, 0
	s_clause 0x1
	scratch_load_b128 v[117:120], off, off offset:224
	scratch_load_b128 v[125:128], off, off offset:240
	s_mov_b32 s2, exec_lo
	ds_load_b128 v[113:116], v1 offset:496
	ds_load_b128 v[121:124], v1 offset:512
	s_waitcnt vmcnt(9) lgkmcnt(1)
	v_mul_f64 v[23:24], v[115:116], v[4:5]
	v_mul_f64 v[4:5], v[113:114], v[4:5]
	s_waitcnt vmcnt(8) lgkmcnt(0)
	v_mul_f64 v[129:130], v[121:122], v[8:9]
	v_mul_f64 v[8:9], v[123:124], v[8:9]
	s_delay_alu instid0(VALU_DEP_4) | instskip(NEXT) | instid1(VALU_DEP_4)
	v_fma_f64 v[23:24], v[113:114], v[2:3], -v[23:24]
	v_fma_f64 v[131:132], v[115:116], v[2:3], v[4:5]
	ds_load_b128 v[2:5], v1 offset:528
	scratch_load_b128 v[113:116], off, off offset:256
	v_fma_f64 v[129:130], v[123:124], v[6:7], v[129:130]
	v_fma_f64 v[135:136], v[121:122], v[6:7], -v[8:9]
	scratch_load_b128 v[121:124], off, off offset:272
	ds_load_b128 v[6:9], v1 offset:544
	s_waitcnt vmcnt(9) lgkmcnt(1)
	v_mul_f64 v[133:134], v[2:3], v[12:13]
	v_mul_f64 v[12:13], v[4:5], v[12:13]
	s_waitcnt vmcnt(8) lgkmcnt(0)
	v_mul_f64 v[137:138], v[6:7], v[16:17]
	v_mul_f64 v[16:17], v[8:9], v[16:17]
	v_add_f64 v[23:24], v[23:24], 0
	v_add_f64 v[131:132], v[131:132], 0
	v_fma_f64 v[133:134], v[4:5], v[10:11], v[133:134]
	v_fma_f64 v[139:140], v[2:3], v[10:11], -v[12:13]
	ds_load_b128 v[2:5], v1 offset:560
	scratch_load_b128 v[10:13], off, off offset:288
	v_add_f64 v[23:24], v[23:24], v[135:136]
	v_add_f64 v[129:130], v[131:132], v[129:130]
	v_fma_f64 v[135:136], v[8:9], v[14:15], v[137:138]
	v_fma_f64 v[137:138], v[6:7], v[14:15], -v[16:17]
	ds_load_b128 v[6:9], v1 offset:576
	scratch_load_b128 v[14:17], off, off offset:304
	s_waitcnt vmcnt(9) lgkmcnt(1)
	v_mul_f64 v[131:132], v[2:3], v[21:22]
	v_mul_f64 v[21:22], v[4:5], v[21:22]
	v_add_f64 v[23:24], v[23:24], v[139:140]
	v_add_f64 v[129:130], v[129:130], v[133:134]
	s_waitcnt vmcnt(8) lgkmcnt(0)
	v_mul_f64 v[133:134], v[6:7], v[103:104]
	v_mul_f64 v[103:104], v[8:9], v[103:104]
	v_fma_f64 v[131:132], v[4:5], v[19:20], v[131:132]
	v_fma_f64 v[139:140], v[2:3], v[19:20], -v[21:22]
	scratch_load_b128 v[19:22], off, off offset:320
	ds_load_b128 v[2:5], v1 offset:592
	v_add_f64 v[23:24], v[23:24], v[137:138]
	v_add_f64 v[129:130], v[129:130], v[135:136]
	v_fma_f64 v[133:134], v[8:9], v[101:102], v[133:134]
	v_fma_f64 v[137:138], v[6:7], v[101:102], -v[103:104]
	ds_load_b128 v[6:9], v1 offset:608
	s_waitcnt vmcnt(8) lgkmcnt(1)
	v_mul_f64 v[135:136], v[2:3], v[107:108]
	v_mul_f64 v[107:108], v[4:5], v[107:108]
	scratch_load_b128 v[101:104], off, off offset:336
	v_add_f64 v[23:24], v[23:24], v[139:140]
	v_add_f64 v[129:130], v[129:130], v[131:132]
	s_waitcnt vmcnt(8) lgkmcnt(0)
	v_mul_f64 v[131:132], v[6:7], v[111:112]
	v_mul_f64 v[111:112], v[8:9], v[111:112]
	v_fma_f64 v[135:136], v[4:5], v[105:106], v[135:136]
	v_fma_f64 v[139:140], v[2:3], v[105:106], -v[107:108]
	scratch_load_b128 v[105:108], off, off offset:352
	ds_load_b128 v[2:5], v1 offset:624
	v_add_f64 v[23:24], v[23:24], v[137:138]
	v_add_f64 v[129:130], v[129:130], v[133:134]
	v_fma_f64 v[131:132], v[8:9], v[109:110], v[131:132]
	v_fma_f64 v[137:138], v[6:7], v[109:110], -v[111:112]
	ds_load_b128 v[6:9], v1 offset:640
	s_waitcnt vmcnt(8) lgkmcnt(1)
	v_mul_f64 v[133:134], v[2:3], v[119:120]
	v_mul_f64 v[119:120], v[4:5], v[119:120]
	scratch_load_b128 v[109:112], off, off offset:368
	v_add_f64 v[23:24], v[23:24], v[139:140]
	v_add_f64 v[129:130], v[129:130], v[135:136]
	s_waitcnt vmcnt(8) lgkmcnt(0)
	v_mul_f64 v[135:136], v[6:7], v[127:128]
	v_mul_f64 v[127:128], v[8:9], v[127:128]
	v_fma_f64 v[133:134], v[4:5], v[117:118], v[133:134]
	v_fma_f64 v[139:140], v[2:3], v[117:118], -v[119:120]
	scratch_load_b128 v[117:120], off, off offset:384
	ds_load_b128 v[2:5], v1 offset:656
	v_add_f64 v[23:24], v[23:24], v[137:138]
	v_add_f64 v[129:130], v[129:130], v[131:132]
	v_fma_f64 v[135:136], v[8:9], v[125:126], v[135:136]
	v_fma_f64 v[125:126], v[6:7], v[125:126], -v[127:128]
	ds_load_b128 v[6:9], v1 offset:672
	s_waitcnt vmcnt(8) lgkmcnt(1)
	v_mul_f64 v[131:132], v[2:3], v[115:116]
	v_mul_f64 v[115:116], v[4:5], v[115:116]
	v_add_f64 v[23:24], v[23:24], v[139:140]
	v_add_f64 v[127:128], v[129:130], v[133:134]
	s_waitcnt vmcnt(7) lgkmcnt(0)
	v_mul_f64 v[129:130], v[6:7], v[123:124]
	v_mul_f64 v[123:124], v[8:9], v[123:124]
	v_fma_f64 v[131:132], v[4:5], v[113:114], v[131:132]
	v_fma_f64 v[113:114], v[2:3], v[113:114], -v[115:116]
	ds_load_b128 v[2:5], v1 offset:688
	v_add_f64 v[23:24], v[23:24], v[125:126]
	v_add_f64 v[115:116], v[127:128], v[135:136]
	v_fma_f64 v[127:128], v[8:9], v[121:122], v[129:130]
	v_fma_f64 v[121:122], v[6:7], v[121:122], -v[123:124]
	ds_load_b128 v[6:9], v1 offset:704
	s_waitcnt vmcnt(5) lgkmcnt(0)
	v_mul_f64 v[129:130], v[6:7], v[16:17]
	v_mul_f64 v[16:17], v[8:9], v[16:17]
	v_add_f64 v[23:24], v[23:24], v[113:114]
	v_add_f64 v[123:124], v[115:116], v[131:132]
	scratch_load_b128 v[113:116], off, off offset:80
	v_mul_f64 v[125:126], v[2:3], v[12:13]
	v_mul_f64 v[12:13], v[4:5], v[12:13]
	s_delay_alu instid0(VALU_DEP_2) | instskip(NEXT) | instid1(VALU_DEP_2)
	v_fma_f64 v[125:126], v[4:5], v[10:11], v[125:126]
	v_fma_f64 v[10:11], v[2:3], v[10:11], -v[12:13]
	v_add_f64 v[12:13], v[23:24], v[121:122]
	v_add_f64 v[23:24], v[123:124], v[127:128]
	ds_load_b128 v[2:5], v1 offset:720
	v_fma_f64 v[123:124], v[8:9], v[14:15], v[129:130]
	v_fma_f64 v[14:15], v[6:7], v[14:15], -v[16:17]
	ds_load_b128 v[6:9], v1 offset:736
	s_waitcnt vmcnt(5) lgkmcnt(1)
	v_mul_f64 v[121:122], v[2:3], v[21:22]
	v_mul_f64 v[21:22], v[4:5], v[21:22]
	s_waitcnt vmcnt(4) lgkmcnt(0)
	v_mul_f64 v[16:17], v[6:7], v[103:104]
	v_add_f64 v[10:11], v[12:13], v[10:11]
	v_add_f64 v[12:13], v[23:24], v[125:126]
	v_mul_f64 v[23:24], v[8:9], v[103:104]
	v_fma_f64 v[103:104], v[4:5], v[19:20], v[121:122]
	v_fma_f64 v[19:20], v[2:3], v[19:20], -v[21:22]
	ds_load_b128 v[2:5], v1 offset:752
	v_fma_f64 v[16:17], v[8:9], v[101:102], v[16:17]
	v_add_f64 v[10:11], v[10:11], v[14:15]
	v_add_f64 v[12:13], v[12:13], v[123:124]
	v_fma_f64 v[23:24], v[6:7], v[101:102], -v[23:24]
	ds_load_b128 v[6:9], v1 offset:768
	s_waitcnt vmcnt(3) lgkmcnt(1)
	v_mul_f64 v[14:15], v[2:3], v[107:108]
	v_mul_f64 v[21:22], v[4:5], v[107:108]
	s_waitcnt vmcnt(2) lgkmcnt(0)
	v_mul_f64 v[101:102], v[8:9], v[111:112]
	v_add_f64 v[10:11], v[10:11], v[19:20]
	v_add_f64 v[12:13], v[12:13], v[103:104]
	v_mul_f64 v[19:20], v[6:7], v[111:112]
	v_fma_f64 v[14:15], v[4:5], v[105:106], v[14:15]
	v_fma_f64 v[21:22], v[2:3], v[105:106], -v[21:22]
	ds_load_b128 v[2:5], v1 offset:784
	v_fma_f64 v[6:7], v[6:7], v[109:110], -v[101:102]
	v_add_f64 v[10:11], v[10:11], v[23:24]
	v_add_f64 v[12:13], v[12:13], v[16:17]
	s_waitcnt vmcnt(1) lgkmcnt(0)
	v_mul_f64 v[16:17], v[2:3], v[119:120]
	v_mul_f64 v[23:24], v[4:5], v[119:120]
	v_fma_f64 v[8:9], v[8:9], v[109:110], v[19:20]
	v_add_f64 v[10:11], v[10:11], v[21:22]
	v_add_f64 v[12:13], v[12:13], v[14:15]
	v_fma_f64 v[4:5], v[4:5], v[117:118], v[16:17]
	v_fma_f64 v[2:3], v[2:3], v[117:118], -v[23:24]
	s_delay_alu instid0(VALU_DEP_4) | instskip(NEXT) | instid1(VALU_DEP_4)
	v_add_f64 v[6:7], v[10:11], v[6:7]
	v_add_f64 v[8:9], v[12:13], v[8:9]
	s_delay_alu instid0(VALU_DEP_2) | instskip(NEXT) | instid1(VALU_DEP_2)
	v_add_f64 v[2:3], v[6:7], v[2:3]
	v_add_f64 v[4:5], v[8:9], v[4:5]
	s_waitcnt vmcnt(0)
	s_delay_alu instid0(VALU_DEP_2) | instskip(NEXT) | instid1(VALU_DEP_2)
	v_add_f64 v[2:3], v[113:114], -v[2:3]
	v_add_f64 v[4:5], v[115:116], -v[4:5]
	scratch_store_b128 off, v[2:5], off offset:80
	v_cmpx_lt_u32_e32 4, v76
	s_cbranch_execz .LBB24_155
; %bb.154:
	scratch_load_b128 v[5:8], v77, off
	v_mov_b32_e32 v2, v1
	v_mov_b32_e32 v3, v1
	;; [unrolled: 1-line block ×3, first 2 shown]
	scratch_store_b128 off, v[1:4], off offset:64
	s_waitcnt vmcnt(0)
	ds_store_b128 v18, v[5:8]
.LBB24_155:
	s_or_b32 exec_lo, exec_lo, s2
	s_waitcnt lgkmcnt(0)
	s_waitcnt_vscnt null, 0x0
	s_barrier
	buffer_gl0_inv
	s_clause 0x7
	scratch_load_b128 v[2:5], off, off offset:80
	scratch_load_b128 v[6:9], off, off offset:96
	;; [unrolled: 1-line block ×8, first 2 shown]
	ds_load_b128 v[113:116], v1 offset:480
	ds_load_b128 v[121:124], v1 offset:496
	s_clause 0x1
	scratch_load_b128 v[117:120], off, off offset:208
	scratch_load_b128 v[125:128], off, off offset:224
	s_mov_b32 s2, exec_lo
	s_waitcnt vmcnt(9) lgkmcnt(1)
	v_mul_f64 v[23:24], v[115:116], v[4:5]
	v_mul_f64 v[4:5], v[113:114], v[4:5]
	s_waitcnt vmcnt(8) lgkmcnt(0)
	v_mul_f64 v[129:130], v[121:122], v[8:9]
	v_mul_f64 v[8:9], v[123:124], v[8:9]
	s_delay_alu instid0(VALU_DEP_4) | instskip(NEXT) | instid1(VALU_DEP_4)
	v_fma_f64 v[23:24], v[113:114], v[2:3], -v[23:24]
	v_fma_f64 v[131:132], v[115:116], v[2:3], v[4:5]
	ds_load_b128 v[2:5], v1 offset:512
	scratch_load_b128 v[113:116], off, off offset:240
	v_fma_f64 v[129:130], v[123:124], v[6:7], v[129:130]
	v_fma_f64 v[135:136], v[121:122], v[6:7], -v[8:9]
	scratch_load_b128 v[121:124], off, off offset:256
	ds_load_b128 v[6:9], v1 offset:528
	s_waitcnt vmcnt(9) lgkmcnt(1)
	v_mul_f64 v[133:134], v[2:3], v[12:13]
	v_mul_f64 v[12:13], v[4:5], v[12:13]
	s_waitcnt vmcnt(8) lgkmcnt(0)
	v_mul_f64 v[137:138], v[6:7], v[16:17]
	v_mul_f64 v[16:17], v[8:9], v[16:17]
	v_add_f64 v[23:24], v[23:24], 0
	v_add_f64 v[131:132], v[131:132], 0
	v_fma_f64 v[133:134], v[4:5], v[10:11], v[133:134]
	v_fma_f64 v[139:140], v[2:3], v[10:11], -v[12:13]
	ds_load_b128 v[2:5], v1 offset:544
	scratch_load_b128 v[10:13], off, off offset:272
	v_add_f64 v[23:24], v[23:24], v[135:136]
	v_add_f64 v[129:130], v[131:132], v[129:130]
	v_fma_f64 v[135:136], v[8:9], v[14:15], v[137:138]
	v_fma_f64 v[137:138], v[6:7], v[14:15], -v[16:17]
	ds_load_b128 v[6:9], v1 offset:560
	scratch_load_b128 v[14:17], off, off offset:288
	s_waitcnt vmcnt(9) lgkmcnt(1)
	v_mul_f64 v[131:132], v[2:3], v[21:22]
	v_mul_f64 v[21:22], v[4:5], v[21:22]
	v_add_f64 v[23:24], v[23:24], v[139:140]
	v_add_f64 v[129:130], v[129:130], v[133:134]
	s_waitcnt vmcnt(8) lgkmcnt(0)
	v_mul_f64 v[133:134], v[6:7], v[103:104]
	v_mul_f64 v[103:104], v[8:9], v[103:104]
	v_fma_f64 v[131:132], v[4:5], v[19:20], v[131:132]
	v_fma_f64 v[139:140], v[2:3], v[19:20], -v[21:22]
	ds_load_b128 v[2:5], v1 offset:576
	scratch_load_b128 v[19:22], off, off offset:304
	v_add_f64 v[23:24], v[23:24], v[137:138]
	v_add_f64 v[129:130], v[129:130], v[135:136]
	v_fma_f64 v[133:134], v[8:9], v[101:102], v[133:134]
	v_fma_f64 v[137:138], v[6:7], v[101:102], -v[103:104]
	ds_load_b128 v[6:9], v1 offset:592
	s_waitcnt vmcnt(8) lgkmcnt(1)
	v_mul_f64 v[135:136], v[2:3], v[107:108]
	v_mul_f64 v[107:108], v[4:5], v[107:108]
	scratch_load_b128 v[101:104], off, off offset:320
	v_add_f64 v[23:24], v[23:24], v[139:140]
	v_add_f64 v[129:130], v[129:130], v[131:132]
	s_waitcnt vmcnt(8) lgkmcnt(0)
	v_mul_f64 v[131:132], v[6:7], v[111:112]
	v_mul_f64 v[111:112], v[8:9], v[111:112]
	v_fma_f64 v[135:136], v[4:5], v[105:106], v[135:136]
	v_fma_f64 v[139:140], v[2:3], v[105:106], -v[107:108]
	scratch_load_b128 v[105:108], off, off offset:336
	ds_load_b128 v[2:5], v1 offset:608
	v_add_f64 v[23:24], v[23:24], v[137:138]
	v_add_f64 v[129:130], v[129:130], v[133:134]
	v_fma_f64 v[131:132], v[8:9], v[109:110], v[131:132]
	v_fma_f64 v[137:138], v[6:7], v[109:110], -v[111:112]
	ds_load_b128 v[6:9], v1 offset:624
	s_waitcnt vmcnt(8) lgkmcnt(1)
	v_mul_f64 v[133:134], v[2:3], v[119:120]
	v_mul_f64 v[119:120], v[4:5], v[119:120]
	scratch_load_b128 v[109:112], off, off offset:352
	v_add_f64 v[23:24], v[23:24], v[139:140]
	v_add_f64 v[129:130], v[129:130], v[135:136]
	s_waitcnt vmcnt(8) lgkmcnt(0)
	v_mul_f64 v[135:136], v[6:7], v[127:128]
	v_mul_f64 v[127:128], v[8:9], v[127:128]
	v_fma_f64 v[133:134], v[4:5], v[117:118], v[133:134]
	v_fma_f64 v[139:140], v[2:3], v[117:118], -v[119:120]
	scratch_load_b128 v[117:120], off, off offset:368
	ds_load_b128 v[2:5], v1 offset:640
	v_add_f64 v[23:24], v[23:24], v[137:138]
	v_add_f64 v[129:130], v[129:130], v[131:132]
	v_fma_f64 v[135:136], v[8:9], v[125:126], v[135:136]
	v_fma_f64 v[137:138], v[6:7], v[125:126], -v[127:128]
	ds_load_b128 v[6:9], v1 offset:656
	scratch_load_b128 v[125:128], off, off offset:384
	s_waitcnt vmcnt(9) lgkmcnt(1)
	v_mul_f64 v[131:132], v[2:3], v[115:116]
	v_mul_f64 v[115:116], v[4:5], v[115:116]
	v_add_f64 v[23:24], v[23:24], v[139:140]
	v_add_f64 v[129:130], v[129:130], v[133:134]
	s_waitcnt vmcnt(8) lgkmcnt(0)
	v_mul_f64 v[133:134], v[6:7], v[123:124]
	v_mul_f64 v[123:124], v[8:9], v[123:124]
	v_fma_f64 v[131:132], v[4:5], v[113:114], v[131:132]
	v_fma_f64 v[113:114], v[2:3], v[113:114], -v[115:116]
	ds_load_b128 v[2:5], v1 offset:672
	v_add_f64 v[23:24], v[23:24], v[137:138]
	v_add_f64 v[115:116], v[129:130], v[135:136]
	v_fma_f64 v[133:134], v[8:9], v[121:122], v[133:134]
	v_fma_f64 v[121:122], v[6:7], v[121:122], -v[123:124]
	ds_load_b128 v[6:9], v1 offset:688
	s_waitcnt vmcnt(7) lgkmcnt(1)
	v_mul_f64 v[129:130], v[2:3], v[12:13]
	v_mul_f64 v[12:13], v[4:5], v[12:13]
	v_add_f64 v[23:24], v[23:24], v[113:114]
	v_add_f64 v[113:114], v[115:116], v[131:132]
	s_delay_alu instid0(VALU_DEP_4) | instskip(NEXT) | instid1(VALU_DEP_4)
	v_fma_f64 v[123:124], v[4:5], v[10:11], v[129:130]
	v_fma_f64 v[129:130], v[2:3], v[10:11], -v[12:13]
	scratch_load_b128 v[10:13], off, off offset:64
	s_waitcnt vmcnt(7) lgkmcnt(0)
	v_mul_f64 v[115:116], v[6:7], v[16:17]
	v_mul_f64 v[16:17], v[8:9], v[16:17]
	ds_load_b128 v[2:5], v1 offset:704
	v_add_f64 v[23:24], v[23:24], v[121:122]
	v_add_f64 v[113:114], v[113:114], v[133:134]
	v_fma_f64 v[115:116], v[8:9], v[14:15], v[115:116]
	v_fma_f64 v[14:15], v[6:7], v[14:15], -v[16:17]
	ds_load_b128 v[6:9], v1 offset:720
	s_waitcnt vmcnt(6) lgkmcnt(1)
	v_mul_f64 v[121:122], v[2:3], v[21:22]
	v_mul_f64 v[21:22], v[4:5], v[21:22]
	v_add_f64 v[16:17], v[23:24], v[129:130]
	v_add_f64 v[23:24], v[113:114], v[123:124]
	s_waitcnt vmcnt(5) lgkmcnt(0)
	v_mul_f64 v[113:114], v[6:7], v[103:104]
	v_mul_f64 v[103:104], v[8:9], v[103:104]
	v_fma_f64 v[121:122], v[4:5], v[19:20], v[121:122]
	v_fma_f64 v[19:20], v[2:3], v[19:20], -v[21:22]
	ds_load_b128 v[2:5], v1 offset:736
	s_waitcnt vmcnt(4) lgkmcnt(0)
	v_mul_f64 v[21:22], v[2:3], v[107:108]
	v_add_f64 v[14:15], v[16:17], v[14:15]
	v_add_f64 v[16:17], v[23:24], v[115:116]
	v_mul_f64 v[23:24], v[4:5], v[107:108]
	v_fma_f64 v[107:108], v[8:9], v[101:102], v[113:114]
	v_fma_f64 v[101:102], v[6:7], v[101:102], -v[103:104]
	ds_load_b128 v[6:9], v1 offset:752
	v_fma_f64 v[21:22], v[4:5], v[105:106], v[21:22]
	v_add_f64 v[14:15], v[14:15], v[19:20]
	v_add_f64 v[16:17], v[16:17], v[121:122]
	v_fma_f64 v[23:24], v[2:3], v[105:106], -v[23:24]
	ds_load_b128 v[2:5], v1 offset:768
	s_waitcnt vmcnt(3) lgkmcnt(1)
	v_mul_f64 v[19:20], v[6:7], v[111:112]
	v_mul_f64 v[103:104], v[8:9], v[111:112]
	s_waitcnt vmcnt(2) lgkmcnt(0)
	v_mul_f64 v[105:106], v[4:5], v[119:120]
	v_add_f64 v[14:15], v[14:15], v[101:102]
	v_add_f64 v[16:17], v[16:17], v[107:108]
	v_mul_f64 v[101:102], v[2:3], v[119:120]
	v_fma_f64 v[19:20], v[8:9], v[109:110], v[19:20]
	v_fma_f64 v[103:104], v[6:7], v[109:110], -v[103:104]
	ds_load_b128 v[6:9], v1 offset:784
	v_fma_f64 v[1:2], v[2:3], v[117:118], -v[105:106]
	v_add_f64 v[14:15], v[14:15], v[23:24]
	v_add_f64 v[16:17], v[16:17], v[21:22]
	s_waitcnt vmcnt(1) lgkmcnt(0)
	v_mul_f64 v[21:22], v[6:7], v[127:128]
	v_mul_f64 v[23:24], v[8:9], v[127:128]
	v_fma_f64 v[4:5], v[4:5], v[117:118], v[101:102]
	v_add_f64 v[14:15], v[14:15], v[103:104]
	v_add_f64 v[16:17], v[16:17], v[19:20]
	v_fma_f64 v[8:9], v[8:9], v[125:126], v[21:22]
	v_fma_f64 v[6:7], v[6:7], v[125:126], -v[23:24]
	s_delay_alu instid0(VALU_DEP_4) | instskip(NEXT) | instid1(VALU_DEP_4)
	v_add_f64 v[1:2], v[14:15], v[1:2]
	v_add_f64 v[3:4], v[16:17], v[4:5]
	s_delay_alu instid0(VALU_DEP_2) | instskip(NEXT) | instid1(VALU_DEP_2)
	v_add_f64 v[1:2], v[1:2], v[6:7]
	v_add_f64 v[3:4], v[3:4], v[8:9]
	s_waitcnt vmcnt(0)
	s_delay_alu instid0(VALU_DEP_2) | instskip(NEXT) | instid1(VALU_DEP_2)
	v_add_f64 v[1:2], v[10:11], -v[1:2]
	v_add_f64 v[3:4], v[12:13], -v[3:4]
	scratch_store_b128 off, v[1:4], off offset:64
	v_cmpx_lt_u32_e32 3, v76
	s_cbranch_execz .LBB24_157
; %bb.156:
	scratch_load_b128 v[1:4], v78, off
	v_mov_b32_e32 v5, 0
	s_delay_alu instid0(VALU_DEP_1)
	v_mov_b32_e32 v6, v5
	v_mov_b32_e32 v7, v5
	;; [unrolled: 1-line block ×3, first 2 shown]
	scratch_store_b128 off, v[5:8], off offset:48
	s_waitcnt vmcnt(0)
	ds_store_b128 v18, v[1:4]
.LBB24_157:
	s_or_b32 exec_lo, exec_lo, s2
	s_waitcnt lgkmcnt(0)
	s_waitcnt_vscnt null, 0x0
	s_barrier
	buffer_gl0_inv
	s_clause 0x7
	scratch_load_b128 v[2:5], off, off offset:64
	scratch_load_b128 v[6:9], off, off offset:80
	;; [unrolled: 1-line block ×8, first 2 shown]
	v_mov_b32_e32 v1, 0
	s_clause 0x1
	scratch_load_b128 v[117:120], off, off offset:192
	scratch_load_b128 v[125:128], off, off offset:208
	s_mov_b32 s2, exec_lo
	ds_load_b128 v[113:116], v1 offset:464
	ds_load_b128 v[121:124], v1 offset:480
	s_waitcnt vmcnt(9) lgkmcnt(1)
	v_mul_f64 v[23:24], v[115:116], v[4:5]
	v_mul_f64 v[4:5], v[113:114], v[4:5]
	s_waitcnt vmcnt(8) lgkmcnt(0)
	v_mul_f64 v[129:130], v[121:122], v[8:9]
	v_mul_f64 v[8:9], v[123:124], v[8:9]
	s_delay_alu instid0(VALU_DEP_4) | instskip(NEXT) | instid1(VALU_DEP_4)
	v_fma_f64 v[23:24], v[113:114], v[2:3], -v[23:24]
	v_fma_f64 v[131:132], v[115:116], v[2:3], v[4:5]
	ds_load_b128 v[2:5], v1 offset:496
	scratch_load_b128 v[113:116], off, off offset:224
	v_fma_f64 v[129:130], v[123:124], v[6:7], v[129:130]
	v_fma_f64 v[135:136], v[121:122], v[6:7], -v[8:9]
	scratch_load_b128 v[121:124], off, off offset:240
	ds_load_b128 v[6:9], v1 offset:512
	s_waitcnt vmcnt(9) lgkmcnt(1)
	v_mul_f64 v[133:134], v[2:3], v[12:13]
	v_mul_f64 v[12:13], v[4:5], v[12:13]
	s_waitcnt vmcnt(8) lgkmcnt(0)
	v_mul_f64 v[137:138], v[6:7], v[16:17]
	v_mul_f64 v[16:17], v[8:9], v[16:17]
	v_add_f64 v[23:24], v[23:24], 0
	v_add_f64 v[131:132], v[131:132], 0
	v_fma_f64 v[133:134], v[4:5], v[10:11], v[133:134]
	v_fma_f64 v[139:140], v[2:3], v[10:11], -v[12:13]
	ds_load_b128 v[2:5], v1 offset:528
	scratch_load_b128 v[10:13], off, off offset:256
	v_add_f64 v[23:24], v[23:24], v[135:136]
	v_add_f64 v[129:130], v[131:132], v[129:130]
	v_fma_f64 v[135:136], v[8:9], v[14:15], v[137:138]
	v_fma_f64 v[137:138], v[6:7], v[14:15], -v[16:17]
	scratch_load_b128 v[14:17], off, off offset:272
	ds_load_b128 v[6:9], v1 offset:544
	s_waitcnt vmcnt(9) lgkmcnt(1)
	v_mul_f64 v[131:132], v[2:3], v[21:22]
	v_mul_f64 v[21:22], v[4:5], v[21:22]
	v_add_f64 v[23:24], v[23:24], v[139:140]
	v_add_f64 v[129:130], v[129:130], v[133:134]
	s_waitcnt vmcnt(8) lgkmcnt(0)
	v_mul_f64 v[133:134], v[6:7], v[103:104]
	v_mul_f64 v[103:104], v[8:9], v[103:104]
	v_fma_f64 v[131:132], v[4:5], v[19:20], v[131:132]
	v_fma_f64 v[139:140], v[2:3], v[19:20], -v[21:22]
	ds_load_b128 v[2:5], v1 offset:560
	scratch_load_b128 v[19:22], off, off offset:288
	v_add_f64 v[23:24], v[23:24], v[137:138]
	v_add_f64 v[129:130], v[129:130], v[135:136]
	v_fma_f64 v[133:134], v[8:9], v[101:102], v[133:134]
	v_fma_f64 v[137:138], v[6:7], v[101:102], -v[103:104]
	ds_load_b128 v[6:9], v1 offset:576
	s_waitcnt vmcnt(8) lgkmcnt(1)
	v_mul_f64 v[135:136], v[2:3], v[107:108]
	v_mul_f64 v[107:108], v[4:5], v[107:108]
	scratch_load_b128 v[101:104], off, off offset:304
	v_add_f64 v[23:24], v[23:24], v[139:140]
	v_add_f64 v[129:130], v[129:130], v[131:132]
	s_waitcnt vmcnt(8) lgkmcnt(0)
	v_mul_f64 v[131:132], v[6:7], v[111:112]
	v_mul_f64 v[111:112], v[8:9], v[111:112]
	v_fma_f64 v[135:136], v[4:5], v[105:106], v[135:136]
	v_fma_f64 v[139:140], v[2:3], v[105:106], -v[107:108]
	scratch_load_b128 v[105:108], off, off offset:320
	ds_load_b128 v[2:5], v1 offset:592
	v_add_f64 v[23:24], v[23:24], v[137:138]
	v_add_f64 v[129:130], v[129:130], v[133:134]
	v_fma_f64 v[131:132], v[8:9], v[109:110], v[131:132]
	v_fma_f64 v[137:138], v[6:7], v[109:110], -v[111:112]
	ds_load_b128 v[6:9], v1 offset:608
	s_waitcnt vmcnt(8) lgkmcnt(1)
	v_mul_f64 v[133:134], v[2:3], v[119:120]
	v_mul_f64 v[119:120], v[4:5], v[119:120]
	scratch_load_b128 v[109:112], off, off offset:336
	v_add_f64 v[23:24], v[23:24], v[139:140]
	v_add_f64 v[129:130], v[129:130], v[135:136]
	s_waitcnt vmcnt(8) lgkmcnt(0)
	v_mul_f64 v[135:136], v[6:7], v[127:128]
	v_mul_f64 v[127:128], v[8:9], v[127:128]
	v_fma_f64 v[133:134], v[4:5], v[117:118], v[133:134]
	v_fma_f64 v[139:140], v[2:3], v[117:118], -v[119:120]
	scratch_load_b128 v[117:120], off, off offset:352
	ds_load_b128 v[2:5], v1 offset:624
	v_add_f64 v[23:24], v[23:24], v[137:138]
	v_add_f64 v[129:130], v[129:130], v[131:132]
	v_fma_f64 v[135:136], v[8:9], v[125:126], v[135:136]
	v_fma_f64 v[137:138], v[6:7], v[125:126], -v[127:128]
	ds_load_b128 v[6:9], v1 offset:640
	scratch_load_b128 v[125:128], off, off offset:368
	s_waitcnt vmcnt(9) lgkmcnt(1)
	v_mul_f64 v[131:132], v[2:3], v[115:116]
	v_mul_f64 v[115:116], v[4:5], v[115:116]
	v_add_f64 v[23:24], v[23:24], v[139:140]
	v_add_f64 v[129:130], v[129:130], v[133:134]
	s_waitcnt vmcnt(8) lgkmcnt(0)
	v_mul_f64 v[133:134], v[6:7], v[123:124]
	v_mul_f64 v[123:124], v[8:9], v[123:124]
	v_fma_f64 v[131:132], v[4:5], v[113:114], v[131:132]
	v_fma_f64 v[139:140], v[2:3], v[113:114], -v[115:116]
	scratch_load_b128 v[113:116], off, off offset:384
	ds_load_b128 v[2:5], v1 offset:656
	v_add_f64 v[23:24], v[23:24], v[137:138]
	v_add_f64 v[129:130], v[129:130], v[135:136]
	v_fma_f64 v[133:134], v[8:9], v[121:122], v[133:134]
	v_fma_f64 v[121:122], v[6:7], v[121:122], -v[123:124]
	ds_load_b128 v[6:9], v1 offset:672
	s_waitcnt vmcnt(8) lgkmcnt(1)
	v_mul_f64 v[135:136], v[2:3], v[12:13]
	v_mul_f64 v[12:13], v[4:5], v[12:13]
	v_add_f64 v[23:24], v[23:24], v[139:140]
	v_add_f64 v[123:124], v[129:130], v[131:132]
	s_waitcnt vmcnt(7) lgkmcnt(0)
	v_mul_f64 v[129:130], v[6:7], v[16:17]
	v_mul_f64 v[16:17], v[8:9], v[16:17]
	v_fma_f64 v[131:132], v[4:5], v[10:11], v[135:136]
	v_fma_f64 v[10:11], v[2:3], v[10:11], -v[12:13]
	ds_load_b128 v[2:5], v1 offset:688
	v_add_f64 v[12:13], v[23:24], v[121:122]
	v_add_f64 v[23:24], v[123:124], v[133:134]
	v_fma_f64 v[123:124], v[8:9], v[14:15], v[129:130]
	v_fma_f64 v[14:15], v[6:7], v[14:15], -v[16:17]
	ds_load_b128 v[6:9], v1 offset:704
	s_waitcnt vmcnt(5) lgkmcnt(0)
	v_mul_f64 v[129:130], v[6:7], v[103:104]
	v_mul_f64 v[103:104], v[8:9], v[103:104]
	v_add_f64 v[16:17], v[12:13], v[10:11]
	v_add_f64 v[23:24], v[23:24], v[131:132]
	scratch_load_b128 v[10:13], off, off offset:48
	v_mul_f64 v[121:122], v[2:3], v[21:22]
	v_mul_f64 v[21:22], v[4:5], v[21:22]
	v_add_f64 v[14:15], v[16:17], v[14:15]
	v_add_f64 v[16:17], v[23:24], v[123:124]
	s_delay_alu instid0(VALU_DEP_4) | instskip(NEXT) | instid1(VALU_DEP_4)
	v_fma_f64 v[121:122], v[4:5], v[19:20], v[121:122]
	v_fma_f64 v[19:20], v[2:3], v[19:20], -v[21:22]
	ds_load_b128 v[2:5], v1 offset:720
	s_waitcnt vmcnt(5) lgkmcnt(0)
	v_mul_f64 v[21:22], v[2:3], v[107:108]
	v_mul_f64 v[23:24], v[4:5], v[107:108]
	v_fma_f64 v[107:108], v[8:9], v[101:102], v[129:130]
	v_fma_f64 v[101:102], v[6:7], v[101:102], -v[103:104]
	ds_load_b128 v[6:9], v1 offset:736
	v_add_f64 v[16:17], v[16:17], v[121:122]
	v_add_f64 v[14:15], v[14:15], v[19:20]
	v_fma_f64 v[21:22], v[4:5], v[105:106], v[21:22]
	v_fma_f64 v[23:24], v[2:3], v[105:106], -v[23:24]
	ds_load_b128 v[2:5], v1 offset:752
	s_waitcnt vmcnt(4) lgkmcnt(1)
	v_mul_f64 v[19:20], v[6:7], v[111:112]
	v_mul_f64 v[103:104], v[8:9], v[111:112]
	v_add_f64 v[16:17], v[16:17], v[107:108]
	v_add_f64 v[14:15], v[14:15], v[101:102]
	s_waitcnt vmcnt(3) lgkmcnt(0)
	v_mul_f64 v[101:102], v[2:3], v[119:120]
	v_mul_f64 v[105:106], v[4:5], v[119:120]
	v_fma_f64 v[19:20], v[8:9], v[109:110], v[19:20]
	v_fma_f64 v[103:104], v[6:7], v[109:110], -v[103:104]
	ds_load_b128 v[6:9], v1 offset:768
	v_add_f64 v[16:17], v[16:17], v[21:22]
	v_add_f64 v[14:15], v[14:15], v[23:24]
	v_fma_f64 v[101:102], v[4:5], v[117:118], v[101:102]
	v_fma_f64 v[105:106], v[2:3], v[117:118], -v[105:106]
	ds_load_b128 v[2:5], v1 offset:784
	s_waitcnt vmcnt(2) lgkmcnt(1)
	v_mul_f64 v[21:22], v[6:7], v[127:128]
	v_mul_f64 v[23:24], v[8:9], v[127:128]
	v_add_f64 v[16:17], v[16:17], v[19:20]
	v_add_f64 v[14:15], v[14:15], v[103:104]
	s_waitcnt vmcnt(1) lgkmcnt(0)
	v_mul_f64 v[19:20], v[2:3], v[115:116]
	v_mul_f64 v[103:104], v[4:5], v[115:116]
	v_fma_f64 v[8:9], v[8:9], v[125:126], v[21:22]
	v_fma_f64 v[6:7], v[6:7], v[125:126], -v[23:24]
	v_add_f64 v[16:17], v[16:17], v[101:102]
	v_add_f64 v[14:15], v[14:15], v[105:106]
	v_fma_f64 v[4:5], v[4:5], v[113:114], v[19:20]
	v_fma_f64 v[2:3], v[2:3], v[113:114], -v[103:104]
	s_delay_alu instid0(VALU_DEP_4) | instskip(NEXT) | instid1(VALU_DEP_4)
	v_add_f64 v[8:9], v[16:17], v[8:9]
	v_add_f64 v[6:7], v[14:15], v[6:7]
	s_delay_alu instid0(VALU_DEP_2) | instskip(NEXT) | instid1(VALU_DEP_2)
	v_add_f64 v[4:5], v[8:9], v[4:5]
	v_add_f64 v[2:3], v[6:7], v[2:3]
	s_waitcnt vmcnt(0)
	s_delay_alu instid0(VALU_DEP_2) | instskip(NEXT) | instid1(VALU_DEP_2)
	v_add_f64 v[4:5], v[12:13], -v[4:5]
	v_add_f64 v[2:3], v[10:11], -v[2:3]
	scratch_store_b128 off, v[2:5], off offset:48
	v_cmpx_lt_u32_e32 2, v76
	s_cbranch_execz .LBB24_159
; %bb.158:
	scratch_load_b128 v[5:8], v79, off
	v_mov_b32_e32 v2, v1
	v_mov_b32_e32 v3, v1
	;; [unrolled: 1-line block ×3, first 2 shown]
	scratch_store_b128 off, v[1:4], off offset:32
	s_waitcnt vmcnt(0)
	ds_store_b128 v18, v[5:8]
.LBB24_159:
	s_or_b32 exec_lo, exec_lo, s2
	s_waitcnt lgkmcnt(0)
	s_waitcnt_vscnt null, 0x0
	s_barrier
	buffer_gl0_inv
	s_clause 0x7
	scratch_load_b128 v[2:5], off, off offset:48
	scratch_load_b128 v[6:9], off, off offset:64
	;; [unrolled: 1-line block ×8, first 2 shown]
	ds_load_b128 v[113:116], v1 offset:448
	ds_load_b128 v[121:124], v1 offset:464
	s_clause 0x1
	scratch_load_b128 v[117:120], off, off offset:176
	scratch_load_b128 v[125:128], off, off offset:192
	s_mov_b32 s2, exec_lo
	s_waitcnt vmcnt(9) lgkmcnt(1)
	v_mul_f64 v[23:24], v[115:116], v[4:5]
	v_mul_f64 v[4:5], v[113:114], v[4:5]
	s_waitcnt vmcnt(8) lgkmcnt(0)
	v_mul_f64 v[129:130], v[121:122], v[8:9]
	v_mul_f64 v[8:9], v[123:124], v[8:9]
	s_delay_alu instid0(VALU_DEP_4) | instskip(NEXT) | instid1(VALU_DEP_4)
	v_fma_f64 v[23:24], v[113:114], v[2:3], -v[23:24]
	v_fma_f64 v[131:132], v[115:116], v[2:3], v[4:5]
	ds_load_b128 v[2:5], v1 offset:480
	scratch_load_b128 v[113:116], off, off offset:208
	v_fma_f64 v[129:130], v[123:124], v[6:7], v[129:130]
	v_fma_f64 v[135:136], v[121:122], v[6:7], -v[8:9]
	scratch_load_b128 v[121:124], off, off offset:224
	ds_load_b128 v[6:9], v1 offset:496
	s_waitcnt vmcnt(9) lgkmcnt(1)
	v_mul_f64 v[133:134], v[2:3], v[12:13]
	v_mul_f64 v[12:13], v[4:5], v[12:13]
	s_waitcnt vmcnt(8) lgkmcnt(0)
	v_mul_f64 v[137:138], v[6:7], v[16:17]
	v_mul_f64 v[16:17], v[8:9], v[16:17]
	v_add_f64 v[23:24], v[23:24], 0
	v_add_f64 v[131:132], v[131:132], 0
	v_fma_f64 v[133:134], v[4:5], v[10:11], v[133:134]
	v_fma_f64 v[139:140], v[2:3], v[10:11], -v[12:13]
	ds_load_b128 v[2:5], v1 offset:512
	scratch_load_b128 v[10:13], off, off offset:240
	v_add_f64 v[23:24], v[23:24], v[135:136]
	v_add_f64 v[129:130], v[131:132], v[129:130]
	v_fma_f64 v[135:136], v[8:9], v[14:15], v[137:138]
	v_fma_f64 v[137:138], v[6:7], v[14:15], -v[16:17]
	scratch_load_b128 v[14:17], off, off offset:256
	ds_load_b128 v[6:9], v1 offset:528
	s_waitcnt vmcnt(9) lgkmcnt(1)
	v_mul_f64 v[131:132], v[2:3], v[21:22]
	v_mul_f64 v[21:22], v[4:5], v[21:22]
	v_add_f64 v[23:24], v[23:24], v[139:140]
	v_add_f64 v[129:130], v[129:130], v[133:134]
	s_waitcnt vmcnt(8) lgkmcnt(0)
	v_mul_f64 v[133:134], v[6:7], v[103:104]
	v_mul_f64 v[103:104], v[8:9], v[103:104]
	v_fma_f64 v[131:132], v[4:5], v[19:20], v[131:132]
	v_fma_f64 v[139:140], v[2:3], v[19:20], -v[21:22]
	ds_load_b128 v[2:5], v1 offset:544
	scratch_load_b128 v[19:22], off, off offset:272
	v_add_f64 v[23:24], v[23:24], v[137:138]
	v_add_f64 v[129:130], v[129:130], v[135:136]
	v_fma_f64 v[133:134], v[8:9], v[101:102], v[133:134]
	v_fma_f64 v[137:138], v[6:7], v[101:102], -v[103:104]
	scratch_load_b128 v[101:104], off, off offset:288
	ds_load_b128 v[6:9], v1 offset:560
	s_waitcnt vmcnt(9) lgkmcnt(1)
	v_mul_f64 v[135:136], v[2:3], v[107:108]
	v_mul_f64 v[107:108], v[4:5], v[107:108]
	v_add_f64 v[23:24], v[23:24], v[139:140]
	v_add_f64 v[129:130], v[129:130], v[131:132]
	s_waitcnt vmcnt(8) lgkmcnt(0)
	v_mul_f64 v[131:132], v[6:7], v[111:112]
	v_mul_f64 v[111:112], v[8:9], v[111:112]
	v_fma_f64 v[135:136], v[4:5], v[105:106], v[135:136]
	v_fma_f64 v[139:140], v[2:3], v[105:106], -v[107:108]
	ds_load_b128 v[2:5], v1 offset:576
	scratch_load_b128 v[105:108], off, off offset:304
	v_add_f64 v[23:24], v[23:24], v[137:138]
	v_add_f64 v[129:130], v[129:130], v[133:134]
	v_fma_f64 v[131:132], v[8:9], v[109:110], v[131:132]
	v_fma_f64 v[137:138], v[6:7], v[109:110], -v[111:112]
	ds_load_b128 v[6:9], v1 offset:592
	s_waitcnt vmcnt(8) lgkmcnt(1)
	v_mul_f64 v[133:134], v[2:3], v[119:120]
	v_mul_f64 v[119:120], v[4:5], v[119:120]
	scratch_load_b128 v[109:112], off, off offset:320
	v_add_f64 v[23:24], v[23:24], v[139:140]
	v_add_f64 v[129:130], v[129:130], v[135:136]
	s_waitcnt vmcnt(8) lgkmcnt(0)
	v_mul_f64 v[135:136], v[6:7], v[127:128]
	v_mul_f64 v[127:128], v[8:9], v[127:128]
	v_fma_f64 v[133:134], v[4:5], v[117:118], v[133:134]
	v_fma_f64 v[139:140], v[2:3], v[117:118], -v[119:120]
	scratch_load_b128 v[117:120], off, off offset:336
	ds_load_b128 v[2:5], v1 offset:608
	v_add_f64 v[23:24], v[23:24], v[137:138]
	v_add_f64 v[129:130], v[129:130], v[131:132]
	v_fma_f64 v[135:136], v[8:9], v[125:126], v[135:136]
	v_fma_f64 v[137:138], v[6:7], v[125:126], -v[127:128]
	ds_load_b128 v[6:9], v1 offset:624
	scratch_load_b128 v[125:128], off, off offset:352
	s_waitcnt vmcnt(9) lgkmcnt(1)
	v_mul_f64 v[131:132], v[2:3], v[115:116]
	v_mul_f64 v[115:116], v[4:5], v[115:116]
	v_add_f64 v[23:24], v[23:24], v[139:140]
	v_add_f64 v[129:130], v[129:130], v[133:134]
	s_waitcnt vmcnt(8) lgkmcnt(0)
	v_mul_f64 v[133:134], v[6:7], v[123:124]
	v_mul_f64 v[123:124], v[8:9], v[123:124]
	v_fma_f64 v[131:132], v[4:5], v[113:114], v[131:132]
	v_fma_f64 v[139:140], v[2:3], v[113:114], -v[115:116]
	scratch_load_b128 v[113:116], off, off offset:368
	ds_load_b128 v[2:5], v1 offset:640
	v_add_f64 v[23:24], v[23:24], v[137:138]
	v_add_f64 v[129:130], v[129:130], v[135:136]
	v_fma_f64 v[133:134], v[8:9], v[121:122], v[133:134]
	v_fma_f64 v[137:138], v[6:7], v[121:122], -v[123:124]
	ds_load_b128 v[6:9], v1 offset:656
	s_waitcnt vmcnt(8) lgkmcnt(1)
	v_mul_f64 v[135:136], v[2:3], v[12:13]
	v_mul_f64 v[12:13], v[4:5], v[12:13]
	scratch_load_b128 v[121:124], off, off offset:384
	v_add_f64 v[23:24], v[23:24], v[139:140]
	v_add_f64 v[129:130], v[129:130], v[131:132]
	s_waitcnt vmcnt(8) lgkmcnt(0)
	v_mul_f64 v[131:132], v[6:7], v[16:17]
	v_mul_f64 v[16:17], v[8:9], v[16:17]
	v_fma_f64 v[135:136], v[4:5], v[10:11], v[135:136]
	v_fma_f64 v[10:11], v[2:3], v[10:11], -v[12:13]
	ds_load_b128 v[2:5], v1 offset:672
	v_add_f64 v[12:13], v[23:24], v[137:138]
	v_add_f64 v[23:24], v[129:130], v[133:134]
	v_fma_f64 v[131:132], v[8:9], v[14:15], v[131:132]
	v_fma_f64 v[14:15], v[6:7], v[14:15], -v[16:17]
	ds_load_b128 v[6:9], v1 offset:688
	s_waitcnt vmcnt(7) lgkmcnt(1)
	v_mul_f64 v[129:130], v[2:3], v[21:22]
	v_mul_f64 v[21:22], v[4:5], v[21:22]
	s_waitcnt vmcnt(6) lgkmcnt(0)
	v_mul_f64 v[16:17], v[6:7], v[103:104]
	v_add_f64 v[10:11], v[12:13], v[10:11]
	v_add_f64 v[12:13], v[23:24], v[135:136]
	v_mul_f64 v[23:24], v[8:9], v[103:104]
	v_fma_f64 v[103:104], v[4:5], v[19:20], v[129:130]
	v_fma_f64 v[19:20], v[2:3], v[19:20], -v[21:22]
	ds_load_b128 v[2:5], v1 offset:704
	v_fma_f64 v[16:17], v[8:9], v[101:102], v[16:17]
	v_add_f64 v[14:15], v[10:11], v[14:15]
	v_add_f64 v[21:22], v[12:13], v[131:132]
	scratch_load_b128 v[10:13], off, off offset:32
	v_fma_f64 v[23:24], v[6:7], v[101:102], -v[23:24]
	ds_load_b128 v[6:9], v1 offset:720
	s_waitcnt vmcnt(6) lgkmcnt(1)
	v_mul_f64 v[129:130], v[2:3], v[107:108]
	v_mul_f64 v[107:108], v[4:5], v[107:108]
	s_waitcnt vmcnt(5) lgkmcnt(0)
	v_mul_f64 v[101:102], v[8:9], v[111:112]
	v_add_f64 v[14:15], v[14:15], v[19:20]
	v_add_f64 v[19:20], v[21:22], v[103:104]
	v_mul_f64 v[21:22], v[6:7], v[111:112]
	v_fma_f64 v[103:104], v[4:5], v[105:106], v[129:130]
	v_fma_f64 v[105:106], v[2:3], v[105:106], -v[107:108]
	ds_load_b128 v[2:5], v1 offset:736
	v_fma_f64 v[101:102], v[6:7], v[109:110], -v[101:102]
	v_add_f64 v[14:15], v[14:15], v[23:24]
	v_add_f64 v[16:17], v[19:20], v[16:17]
	v_fma_f64 v[21:22], v[8:9], v[109:110], v[21:22]
	ds_load_b128 v[6:9], v1 offset:752
	s_waitcnt vmcnt(4) lgkmcnt(1)
	v_mul_f64 v[19:20], v[2:3], v[119:120]
	v_mul_f64 v[23:24], v[4:5], v[119:120]
	v_add_f64 v[14:15], v[14:15], v[105:106]
	v_add_f64 v[16:17], v[16:17], v[103:104]
	s_waitcnt vmcnt(3) lgkmcnt(0)
	v_mul_f64 v[103:104], v[6:7], v[127:128]
	v_mul_f64 v[105:106], v[8:9], v[127:128]
	v_fma_f64 v[19:20], v[4:5], v[117:118], v[19:20]
	v_fma_f64 v[23:24], v[2:3], v[117:118], -v[23:24]
	ds_load_b128 v[2:5], v1 offset:768
	v_add_f64 v[14:15], v[14:15], v[101:102]
	v_add_f64 v[16:17], v[16:17], v[21:22]
	v_fma_f64 v[103:104], v[8:9], v[125:126], v[103:104]
	v_fma_f64 v[105:106], v[6:7], v[125:126], -v[105:106]
	ds_load_b128 v[6:9], v1 offset:784
	s_waitcnt vmcnt(2) lgkmcnt(1)
	v_mul_f64 v[21:22], v[2:3], v[115:116]
	v_mul_f64 v[101:102], v[4:5], v[115:116]
	v_add_f64 v[14:15], v[14:15], v[23:24]
	v_add_f64 v[16:17], v[16:17], v[19:20]
	s_waitcnt vmcnt(1) lgkmcnt(0)
	v_mul_f64 v[19:20], v[6:7], v[123:124]
	v_mul_f64 v[23:24], v[8:9], v[123:124]
	v_fma_f64 v[4:5], v[4:5], v[113:114], v[21:22]
	v_fma_f64 v[1:2], v[2:3], v[113:114], -v[101:102]
	v_add_f64 v[14:15], v[14:15], v[105:106]
	v_add_f64 v[16:17], v[16:17], v[103:104]
	v_fma_f64 v[8:9], v[8:9], v[121:122], v[19:20]
	v_fma_f64 v[6:7], v[6:7], v[121:122], -v[23:24]
	s_delay_alu instid0(VALU_DEP_4) | instskip(NEXT) | instid1(VALU_DEP_4)
	v_add_f64 v[1:2], v[14:15], v[1:2]
	v_add_f64 v[3:4], v[16:17], v[4:5]
	s_delay_alu instid0(VALU_DEP_2) | instskip(NEXT) | instid1(VALU_DEP_2)
	v_add_f64 v[1:2], v[1:2], v[6:7]
	v_add_f64 v[3:4], v[3:4], v[8:9]
	s_waitcnt vmcnt(0)
	s_delay_alu instid0(VALU_DEP_2) | instskip(NEXT) | instid1(VALU_DEP_2)
	v_add_f64 v[1:2], v[10:11], -v[1:2]
	v_add_f64 v[3:4], v[12:13], -v[3:4]
	scratch_store_b128 off, v[1:4], off offset:32
	v_cmpx_lt_u32_e32 1, v76
	s_cbranch_execz .LBB24_161
; %bb.160:
	scratch_load_b128 v[1:4], v80, off
	v_mov_b32_e32 v5, 0
	s_delay_alu instid0(VALU_DEP_1)
	v_mov_b32_e32 v6, v5
	v_mov_b32_e32 v7, v5
	;; [unrolled: 1-line block ×3, first 2 shown]
	scratch_store_b128 off, v[5:8], off offset:16
	s_waitcnt vmcnt(0)
	ds_store_b128 v18, v[1:4]
.LBB24_161:
	s_or_b32 exec_lo, exec_lo, s2
	s_waitcnt lgkmcnt(0)
	s_waitcnt_vscnt null, 0x0
	s_barrier
	buffer_gl0_inv
	s_clause 0x7
	scratch_load_b128 v[2:5], off, off offset:32
	scratch_load_b128 v[6:9], off, off offset:48
	;; [unrolled: 1-line block ×8, first 2 shown]
	v_mov_b32_e32 v1, 0
	s_clause 0x1
	scratch_load_b128 v[117:120], off, off offset:160
	scratch_load_b128 v[125:128], off, off offset:176
	s_mov_b32 s2, exec_lo
	ds_load_b128 v[113:116], v1 offset:432
	ds_load_b128 v[121:124], v1 offset:448
	s_waitcnt vmcnt(9) lgkmcnt(1)
	v_mul_f64 v[23:24], v[115:116], v[4:5]
	v_mul_f64 v[4:5], v[113:114], v[4:5]
	s_waitcnt vmcnt(8) lgkmcnt(0)
	v_mul_f64 v[129:130], v[121:122], v[8:9]
	v_mul_f64 v[8:9], v[123:124], v[8:9]
	s_delay_alu instid0(VALU_DEP_4) | instskip(NEXT) | instid1(VALU_DEP_4)
	v_fma_f64 v[23:24], v[113:114], v[2:3], -v[23:24]
	v_fma_f64 v[131:132], v[115:116], v[2:3], v[4:5]
	ds_load_b128 v[2:5], v1 offset:464
	scratch_load_b128 v[113:116], off, off offset:192
	v_fma_f64 v[129:130], v[123:124], v[6:7], v[129:130]
	v_fma_f64 v[135:136], v[121:122], v[6:7], -v[8:9]
	scratch_load_b128 v[121:124], off, off offset:208
	ds_load_b128 v[6:9], v1 offset:480
	s_waitcnt vmcnt(9) lgkmcnt(1)
	v_mul_f64 v[133:134], v[2:3], v[12:13]
	v_mul_f64 v[12:13], v[4:5], v[12:13]
	s_waitcnt vmcnt(8) lgkmcnt(0)
	v_mul_f64 v[137:138], v[6:7], v[16:17]
	v_mul_f64 v[16:17], v[8:9], v[16:17]
	v_add_f64 v[23:24], v[23:24], 0
	v_add_f64 v[131:132], v[131:132], 0
	v_fma_f64 v[133:134], v[4:5], v[10:11], v[133:134]
	v_fma_f64 v[139:140], v[2:3], v[10:11], -v[12:13]
	ds_load_b128 v[2:5], v1 offset:496
	scratch_load_b128 v[10:13], off, off offset:224
	v_add_f64 v[23:24], v[23:24], v[135:136]
	v_add_f64 v[129:130], v[131:132], v[129:130]
	v_fma_f64 v[135:136], v[8:9], v[14:15], v[137:138]
	v_fma_f64 v[137:138], v[6:7], v[14:15], -v[16:17]
	scratch_load_b128 v[14:17], off, off offset:240
	ds_load_b128 v[6:9], v1 offset:512
	s_waitcnt vmcnt(9) lgkmcnt(1)
	v_mul_f64 v[131:132], v[2:3], v[21:22]
	v_mul_f64 v[21:22], v[4:5], v[21:22]
	v_add_f64 v[23:24], v[23:24], v[139:140]
	v_add_f64 v[129:130], v[129:130], v[133:134]
	s_waitcnt vmcnt(8) lgkmcnt(0)
	v_mul_f64 v[133:134], v[6:7], v[103:104]
	v_mul_f64 v[103:104], v[8:9], v[103:104]
	v_fma_f64 v[131:132], v[4:5], v[19:20], v[131:132]
	v_fma_f64 v[139:140], v[2:3], v[19:20], -v[21:22]
	ds_load_b128 v[2:5], v1 offset:528
	scratch_load_b128 v[19:22], off, off offset:256
	v_add_f64 v[23:24], v[23:24], v[137:138]
	v_add_f64 v[129:130], v[129:130], v[135:136]
	v_fma_f64 v[133:134], v[8:9], v[101:102], v[133:134]
	v_fma_f64 v[137:138], v[6:7], v[101:102], -v[103:104]
	scratch_load_b128 v[101:104], off, off offset:272
	ds_load_b128 v[6:9], v1 offset:544
	s_waitcnt vmcnt(9) lgkmcnt(1)
	v_mul_f64 v[135:136], v[2:3], v[107:108]
	v_mul_f64 v[107:108], v[4:5], v[107:108]
	v_add_f64 v[23:24], v[23:24], v[139:140]
	v_add_f64 v[129:130], v[129:130], v[131:132]
	s_waitcnt vmcnt(8) lgkmcnt(0)
	v_mul_f64 v[131:132], v[6:7], v[111:112]
	v_mul_f64 v[111:112], v[8:9], v[111:112]
	v_fma_f64 v[135:136], v[4:5], v[105:106], v[135:136]
	v_fma_f64 v[139:140], v[2:3], v[105:106], -v[107:108]
	ds_load_b128 v[2:5], v1 offset:560
	scratch_load_b128 v[105:108], off, off offset:288
	v_add_f64 v[23:24], v[23:24], v[137:138]
	v_add_f64 v[129:130], v[129:130], v[133:134]
	v_fma_f64 v[131:132], v[8:9], v[109:110], v[131:132]
	v_fma_f64 v[137:138], v[6:7], v[109:110], -v[111:112]
	ds_load_b128 v[6:9], v1 offset:576
	s_waitcnt vmcnt(8) lgkmcnt(1)
	v_mul_f64 v[133:134], v[2:3], v[119:120]
	v_mul_f64 v[119:120], v[4:5], v[119:120]
	scratch_load_b128 v[109:112], off, off offset:304
	v_add_f64 v[23:24], v[23:24], v[139:140]
	v_add_f64 v[129:130], v[129:130], v[135:136]
	s_waitcnt vmcnt(8) lgkmcnt(0)
	v_mul_f64 v[135:136], v[6:7], v[127:128]
	v_mul_f64 v[127:128], v[8:9], v[127:128]
	v_fma_f64 v[133:134], v[4:5], v[117:118], v[133:134]
	v_fma_f64 v[139:140], v[2:3], v[117:118], -v[119:120]
	ds_load_b128 v[2:5], v1 offset:592
	scratch_load_b128 v[117:120], off, off offset:320
	v_add_f64 v[23:24], v[23:24], v[137:138]
	v_add_f64 v[129:130], v[129:130], v[131:132]
	v_fma_f64 v[135:136], v[8:9], v[125:126], v[135:136]
	v_fma_f64 v[137:138], v[6:7], v[125:126], -v[127:128]
	ds_load_b128 v[6:9], v1 offset:608
	scratch_load_b128 v[125:128], off, off offset:336
	s_waitcnt vmcnt(9) lgkmcnt(1)
	v_mul_f64 v[131:132], v[2:3], v[115:116]
	v_mul_f64 v[115:116], v[4:5], v[115:116]
	v_add_f64 v[23:24], v[23:24], v[139:140]
	v_add_f64 v[129:130], v[129:130], v[133:134]
	s_waitcnt vmcnt(8) lgkmcnt(0)
	v_mul_f64 v[133:134], v[6:7], v[123:124]
	v_mul_f64 v[123:124], v[8:9], v[123:124]
	v_fma_f64 v[131:132], v[4:5], v[113:114], v[131:132]
	v_fma_f64 v[139:140], v[2:3], v[113:114], -v[115:116]
	scratch_load_b128 v[113:116], off, off offset:352
	ds_load_b128 v[2:5], v1 offset:624
	v_add_f64 v[23:24], v[23:24], v[137:138]
	v_add_f64 v[129:130], v[129:130], v[135:136]
	v_fma_f64 v[133:134], v[8:9], v[121:122], v[133:134]
	v_fma_f64 v[137:138], v[6:7], v[121:122], -v[123:124]
	ds_load_b128 v[6:9], v1 offset:640
	s_waitcnt vmcnt(8) lgkmcnt(1)
	v_mul_f64 v[135:136], v[2:3], v[12:13]
	v_mul_f64 v[12:13], v[4:5], v[12:13]
	scratch_load_b128 v[121:124], off, off offset:368
	v_add_f64 v[23:24], v[23:24], v[139:140]
	v_add_f64 v[129:130], v[129:130], v[131:132]
	s_waitcnt vmcnt(8) lgkmcnt(0)
	v_mul_f64 v[131:132], v[6:7], v[16:17]
	v_mul_f64 v[16:17], v[8:9], v[16:17]
	v_fma_f64 v[135:136], v[4:5], v[10:11], v[135:136]
	v_fma_f64 v[139:140], v[2:3], v[10:11], -v[12:13]
	scratch_load_b128 v[10:13], off, off offset:384
	ds_load_b128 v[2:5], v1 offset:656
	v_add_f64 v[23:24], v[23:24], v[137:138]
	v_add_f64 v[129:130], v[129:130], v[133:134]
	v_fma_f64 v[131:132], v[8:9], v[14:15], v[131:132]
	v_fma_f64 v[14:15], v[6:7], v[14:15], -v[16:17]
	ds_load_b128 v[6:9], v1 offset:672
	s_waitcnt vmcnt(8) lgkmcnt(1)
	v_mul_f64 v[133:134], v[2:3], v[21:22]
	v_mul_f64 v[21:22], v[4:5], v[21:22]
	v_add_f64 v[16:17], v[23:24], v[139:140]
	v_add_f64 v[23:24], v[129:130], v[135:136]
	s_waitcnt vmcnt(7) lgkmcnt(0)
	v_mul_f64 v[129:130], v[6:7], v[103:104]
	v_mul_f64 v[103:104], v[8:9], v[103:104]
	v_fma_f64 v[133:134], v[4:5], v[19:20], v[133:134]
	v_fma_f64 v[19:20], v[2:3], v[19:20], -v[21:22]
	ds_load_b128 v[2:5], v1 offset:688
	s_waitcnt vmcnt(6) lgkmcnt(0)
	v_mul_f64 v[21:22], v[2:3], v[107:108]
	v_add_f64 v[14:15], v[16:17], v[14:15]
	v_add_f64 v[16:17], v[23:24], v[131:132]
	v_mul_f64 v[23:24], v[4:5], v[107:108]
	v_fma_f64 v[107:108], v[8:9], v[101:102], v[129:130]
	v_fma_f64 v[101:102], v[6:7], v[101:102], -v[103:104]
	ds_load_b128 v[6:9], v1 offset:704
	v_fma_f64 v[21:22], v[4:5], v[105:106], v[21:22]
	v_add_f64 v[19:20], v[14:15], v[19:20]
	v_add_f64 v[103:104], v[16:17], v[133:134]
	scratch_load_b128 v[14:17], off, off offset:16
	v_fma_f64 v[23:24], v[2:3], v[105:106], -v[23:24]
	ds_load_b128 v[2:5], v1 offset:720
	s_waitcnt vmcnt(6) lgkmcnt(1)
	v_mul_f64 v[129:130], v[6:7], v[111:112]
	v_mul_f64 v[111:112], v[8:9], v[111:112]
	s_waitcnt vmcnt(5) lgkmcnt(0)
	v_mul_f64 v[105:106], v[4:5], v[119:120]
	v_add_f64 v[19:20], v[19:20], v[101:102]
	v_add_f64 v[101:102], v[103:104], v[107:108]
	v_mul_f64 v[103:104], v[2:3], v[119:120]
	v_fma_f64 v[107:108], v[8:9], v[109:110], v[129:130]
	v_fma_f64 v[109:110], v[6:7], v[109:110], -v[111:112]
	ds_load_b128 v[6:9], v1 offset:736
	v_fma_f64 v[105:106], v[2:3], v[117:118], -v[105:106]
	v_add_f64 v[19:20], v[19:20], v[23:24]
	v_add_f64 v[21:22], v[101:102], v[21:22]
	v_fma_f64 v[103:104], v[4:5], v[117:118], v[103:104]
	ds_load_b128 v[2:5], v1 offset:752
	s_waitcnt vmcnt(4) lgkmcnt(1)
	v_mul_f64 v[23:24], v[6:7], v[127:128]
	v_mul_f64 v[101:102], v[8:9], v[127:128]
	v_add_f64 v[19:20], v[19:20], v[109:110]
	v_add_f64 v[21:22], v[21:22], v[107:108]
	s_waitcnt vmcnt(3) lgkmcnt(0)
	v_mul_f64 v[107:108], v[2:3], v[115:116]
	v_mul_f64 v[109:110], v[4:5], v[115:116]
	v_fma_f64 v[23:24], v[8:9], v[125:126], v[23:24]
	v_fma_f64 v[101:102], v[6:7], v[125:126], -v[101:102]
	ds_load_b128 v[6:9], v1 offset:768
	v_add_f64 v[19:20], v[19:20], v[105:106]
	v_add_f64 v[21:22], v[21:22], v[103:104]
	v_fma_f64 v[107:108], v[4:5], v[113:114], v[107:108]
	v_fma_f64 v[109:110], v[2:3], v[113:114], -v[109:110]
	ds_load_b128 v[2:5], v1 offset:784
	s_waitcnt vmcnt(2) lgkmcnt(1)
	v_mul_f64 v[103:104], v[6:7], v[123:124]
	v_mul_f64 v[105:106], v[8:9], v[123:124]
	v_add_f64 v[19:20], v[19:20], v[101:102]
	v_add_f64 v[21:22], v[21:22], v[23:24]
	s_waitcnt vmcnt(1) lgkmcnt(0)
	v_mul_f64 v[23:24], v[2:3], v[12:13]
	v_mul_f64 v[12:13], v[4:5], v[12:13]
	v_fma_f64 v[8:9], v[8:9], v[121:122], v[103:104]
	v_fma_f64 v[6:7], v[6:7], v[121:122], -v[105:106]
	v_add_f64 v[19:20], v[19:20], v[109:110]
	v_add_f64 v[21:22], v[21:22], v[107:108]
	v_fma_f64 v[4:5], v[4:5], v[10:11], v[23:24]
	v_fma_f64 v[2:3], v[2:3], v[10:11], -v[12:13]
	s_delay_alu instid0(VALU_DEP_4) | instskip(NEXT) | instid1(VALU_DEP_4)
	v_add_f64 v[6:7], v[19:20], v[6:7]
	v_add_f64 v[8:9], v[21:22], v[8:9]
	s_delay_alu instid0(VALU_DEP_2) | instskip(NEXT) | instid1(VALU_DEP_2)
	v_add_f64 v[2:3], v[6:7], v[2:3]
	v_add_f64 v[4:5], v[8:9], v[4:5]
	s_waitcnt vmcnt(0)
	s_delay_alu instid0(VALU_DEP_2) | instskip(NEXT) | instid1(VALU_DEP_2)
	v_add_f64 v[2:3], v[14:15], -v[2:3]
	v_add_f64 v[4:5], v[16:17], -v[4:5]
	scratch_store_b128 off, v[2:5], off offset:16
	v_cmpx_ne_u32_e32 0, v76
	s_cbranch_execz .LBB24_163
; %bb.162:
	scratch_load_b128 v[5:8], off, off
	v_mov_b32_e32 v2, v1
	v_mov_b32_e32 v3, v1
	;; [unrolled: 1-line block ×3, first 2 shown]
	scratch_store_b128 off, v[1:4], off
	s_waitcnt vmcnt(0)
	ds_store_b128 v18, v[5:8]
.LBB24_163:
	s_or_b32 exec_lo, exec_lo, s2
	s_waitcnt lgkmcnt(0)
	s_waitcnt_vscnt null, 0x0
	s_barrier
	buffer_gl0_inv
	s_clause 0x7
	scratch_load_b128 v[2:5], off, off offset:16
	scratch_load_b128 v[6:9], off, off offset:32
	;; [unrolled: 1-line block ×8, first 2 shown]
	ds_load_b128 v[109:112], v1 offset:416
	ds_load_b128 v[117:120], v1 offset:432
	s_clause 0x1
	scratch_load_b128 v[113:116], off, off offset:144
	scratch_load_b128 v[121:124], off, off offset:160
	s_and_b32 vcc_lo, exec_lo, s20
	s_waitcnt vmcnt(9) lgkmcnt(1)
	v_mul_f64 v[125:126], v[111:112], v[4:5]
	v_mul_f64 v[4:5], v[109:110], v[4:5]
	s_waitcnt vmcnt(8) lgkmcnt(0)
	v_mul_f64 v[127:128], v[117:118], v[8:9]
	v_mul_f64 v[8:9], v[119:120], v[8:9]
	s_delay_alu instid0(VALU_DEP_4) | instskip(NEXT) | instid1(VALU_DEP_4)
	v_fma_f64 v[125:126], v[109:110], v[2:3], -v[125:126]
	v_fma_f64 v[129:130], v[111:112], v[2:3], v[4:5]
	ds_load_b128 v[2:5], v1 offset:448
	scratch_load_b128 v[109:112], off, off offset:176
	v_fma_f64 v[127:128], v[119:120], v[6:7], v[127:128]
	v_fma_f64 v[133:134], v[117:118], v[6:7], -v[8:9]
	scratch_load_b128 v[117:120], off, off offset:192
	ds_load_b128 v[6:9], v1 offset:464
	s_waitcnt vmcnt(9) lgkmcnt(1)
	v_mul_f64 v[131:132], v[2:3], v[12:13]
	v_mul_f64 v[12:13], v[4:5], v[12:13]
	s_waitcnt vmcnt(8) lgkmcnt(0)
	v_mul_f64 v[135:136], v[6:7], v[16:17]
	v_mul_f64 v[16:17], v[8:9], v[16:17]
	v_add_f64 v[125:126], v[125:126], 0
	v_add_f64 v[129:130], v[129:130], 0
	v_fma_f64 v[131:132], v[4:5], v[10:11], v[131:132]
	v_fma_f64 v[137:138], v[2:3], v[10:11], -v[12:13]
	ds_load_b128 v[2:5], v1 offset:480
	scratch_load_b128 v[10:13], off, off offset:208
	v_add_f64 v[125:126], v[125:126], v[133:134]
	v_add_f64 v[127:128], v[129:130], v[127:128]
	v_fma_f64 v[133:134], v[8:9], v[14:15], v[135:136]
	v_fma_f64 v[135:136], v[6:7], v[14:15], -v[16:17]
	scratch_load_b128 v[14:17], off, off offset:224
	ds_load_b128 v[6:9], v1 offset:496
	s_waitcnt vmcnt(9) lgkmcnt(1)
	v_mul_f64 v[129:130], v[2:3], v[20:21]
	v_mul_f64 v[20:21], v[4:5], v[20:21]
	v_add_f64 v[125:126], v[125:126], v[137:138]
	v_add_f64 v[127:128], v[127:128], v[131:132]
	s_waitcnt vmcnt(8) lgkmcnt(0)
	v_mul_f64 v[131:132], v[6:7], v[24:25]
	v_mul_f64 v[24:25], v[8:9], v[24:25]
	v_fma_f64 v[129:130], v[4:5], v[18:19], v[129:130]
	v_fma_f64 v[137:138], v[2:3], v[18:19], -v[20:21]
	ds_load_b128 v[2:5], v1 offset:512
	scratch_load_b128 v[18:21], off, off offset:240
	v_add_f64 v[125:126], v[125:126], v[135:136]
	v_add_f64 v[127:128], v[127:128], v[133:134]
	v_fma_f64 v[131:132], v[8:9], v[22:23], v[131:132]
	v_fma_f64 v[135:136], v[6:7], v[22:23], -v[24:25]
	scratch_load_b128 v[22:25], off, off offset:256
	ds_load_b128 v[6:9], v1 offset:528
	s_waitcnt vmcnt(9) lgkmcnt(1)
	v_mul_f64 v[133:134], v[2:3], v[103:104]
	v_mul_f64 v[103:104], v[4:5], v[103:104]
	v_add_f64 v[125:126], v[125:126], v[137:138]
	v_add_f64 v[127:128], v[127:128], v[129:130]
	s_waitcnt vmcnt(8) lgkmcnt(0)
	v_mul_f64 v[129:130], v[6:7], v[107:108]
	v_mul_f64 v[107:108], v[8:9], v[107:108]
	v_fma_f64 v[133:134], v[4:5], v[101:102], v[133:134]
	v_fma_f64 v[137:138], v[2:3], v[101:102], -v[103:104]
	ds_load_b128 v[2:5], v1 offset:544
	scratch_load_b128 v[101:104], off, off offset:272
	v_add_f64 v[125:126], v[125:126], v[135:136]
	v_add_f64 v[127:128], v[127:128], v[131:132]
	v_fma_f64 v[129:130], v[8:9], v[105:106], v[129:130]
	v_fma_f64 v[135:136], v[6:7], v[105:106], -v[107:108]
	ds_load_b128 v[6:9], v1 offset:560
	s_waitcnt vmcnt(8) lgkmcnt(1)
	v_mul_f64 v[131:132], v[2:3], v[115:116]
	v_mul_f64 v[115:116], v[4:5], v[115:116]
	scratch_load_b128 v[105:108], off, off offset:288
	v_add_f64 v[125:126], v[125:126], v[137:138]
	v_add_f64 v[127:128], v[127:128], v[133:134]
	s_waitcnt vmcnt(8) lgkmcnt(0)
	v_mul_f64 v[133:134], v[6:7], v[123:124]
	v_mul_f64 v[123:124], v[8:9], v[123:124]
	v_fma_f64 v[131:132], v[4:5], v[113:114], v[131:132]
	v_fma_f64 v[137:138], v[2:3], v[113:114], -v[115:116]
	ds_load_b128 v[2:5], v1 offset:576
	scratch_load_b128 v[113:116], off, off offset:304
	v_add_f64 v[125:126], v[125:126], v[135:136]
	v_add_f64 v[127:128], v[127:128], v[129:130]
	v_fma_f64 v[133:134], v[8:9], v[121:122], v[133:134]
	v_fma_f64 v[135:136], v[6:7], v[121:122], -v[123:124]
	ds_load_b128 v[6:9], v1 offset:592
	scratch_load_b128 v[121:124], off, off offset:320
	s_waitcnt vmcnt(9) lgkmcnt(1)
	v_mul_f64 v[129:130], v[2:3], v[111:112]
	v_mul_f64 v[111:112], v[4:5], v[111:112]
	v_add_f64 v[125:126], v[125:126], v[137:138]
	v_add_f64 v[127:128], v[127:128], v[131:132]
	s_waitcnt vmcnt(8) lgkmcnt(0)
	v_mul_f64 v[131:132], v[6:7], v[119:120]
	v_mul_f64 v[119:120], v[8:9], v[119:120]
	v_fma_f64 v[129:130], v[4:5], v[109:110], v[129:130]
	v_fma_f64 v[137:138], v[2:3], v[109:110], -v[111:112]
	scratch_load_b128 v[109:112], off, off offset:336
	ds_load_b128 v[2:5], v1 offset:608
	v_add_f64 v[125:126], v[125:126], v[135:136]
	v_add_f64 v[127:128], v[127:128], v[133:134]
	v_fma_f64 v[131:132], v[8:9], v[117:118], v[131:132]
	v_fma_f64 v[135:136], v[6:7], v[117:118], -v[119:120]
	ds_load_b128 v[6:9], v1 offset:624
	s_waitcnt vmcnt(8) lgkmcnt(1)
	v_mul_f64 v[133:134], v[2:3], v[12:13]
	v_mul_f64 v[12:13], v[4:5], v[12:13]
	scratch_load_b128 v[117:120], off, off offset:352
	v_add_f64 v[125:126], v[125:126], v[137:138]
	v_add_f64 v[127:128], v[127:128], v[129:130]
	s_waitcnt vmcnt(8) lgkmcnt(0)
	v_mul_f64 v[129:130], v[6:7], v[16:17]
	v_mul_f64 v[16:17], v[8:9], v[16:17]
	v_fma_f64 v[133:134], v[4:5], v[10:11], v[133:134]
	v_fma_f64 v[137:138], v[2:3], v[10:11], -v[12:13]
	scratch_load_b128 v[10:13], off, off offset:368
	ds_load_b128 v[2:5], v1 offset:640
	v_add_f64 v[125:126], v[125:126], v[135:136]
	v_add_f64 v[127:128], v[127:128], v[131:132]
	v_fma_f64 v[129:130], v[8:9], v[14:15], v[129:130]
	v_fma_f64 v[135:136], v[6:7], v[14:15], -v[16:17]
	ds_load_b128 v[6:9], v1 offset:656
	s_waitcnt vmcnt(8) lgkmcnt(1)
	v_mul_f64 v[131:132], v[2:3], v[20:21]
	v_mul_f64 v[20:21], v[4:5], v[20:21]
	scratch_load_b128 v[14:17], off, off offset:384
	v_add_f64 v[125:126], v[125:126], v[137:138]
	v_add_f64 v[127:128], v[127:128], v[133:134]
	s_waitcnt vmcnt(8) lgkmcnt(0)
	v_mul_f64 v[133:134], v[6:7], v[24:25]
	v_mul_f64 v[24:25], v[8:9], v[24:25]
	v_fma_f64 v[131:132], v[4:5], v[18:19], v[131:132]
	v_fma_f64 v[18:19], v[2:3], v[18:19], -v[20:21]
	ds_load_b128 v[2:5], v1 offset:672
	v_add_f64 v[20:21], v[125:126], v[135:136]
	v_add_f64 v[125:126], v[127:128], v[129:130]
	v_fma_f64 v[129:130], v[8:9], v[22:23], v[133:134]
	v_fma_f64 v[22:23], v[6:7], v[22:23], -v[24:25]
	ds_load_b128 v[6:9], v1 offset:688
	s_waitcnt vmcnt(7) lgkmcnt(1)
	v_mul_f64 v[127:128], v[2:3], v[103:104]
	v_mul_f64 v[103:104], v[4:5], v[103:104]
	v_add_f64 v[18:19], v[20:21], v[18:19]
	v_add_f64 v[20:21], v[125:126], v[131:132]
	s_delay_alu instid0(VALU_DEP_4) | instskip(NEXT) | instid1(VALU_DEP_4)
	v_fma_f64 v[125:126], v[4:5], v[101:102], v[127:128]
	v_fma_f64 v[101:102], v[2:3], v[101:102], -v[103:104]
	ds_load_b128 v[2:5], v1 offset:704
	v_add_f64 v[22:23], v[18:19], v[22:23]
	v_add_f64 v[103:104], v[20:21], v[129:130]
	scratch_load_b128 v[18:21], off, off
	s_waitcnt vmcnt(7) lgkmcnt(1)
	v_mul_f64 v[24:25], v[6:7], v[107:108]
	v_mul_f64 v[107:108], v[8:9], v[107:108]
	v_add_f64 v[22:23], v[22:23], v[101:102]
	v_add_f64 v[101:102], v[103:104], v[125:126]
	s_delay_alu instid0(VALU_DEP_4) | instskip(NEXT) | instid1(VALU_DEP_4)
	v_fma_f64 v[24:25], v[8:9], v[105:106], v[24:25]
	v_fma_f64 v[105:106], v[6:7], v[105:106], -v[107:108]
	ds_load_b128 v[6:9], v1 offset:720
	s_waitcnt vmcnt(6) lgkmcnt(1)
	v_mul_f64 v[127:128], v[2:3], v[115:116]
	v_mul_f64 v[115:116], v[4:5], v[115:116]
	s_waitcnt vmcnt(5) lgkmcnt(0)
	v_mul_f64 v[103:104], v[6:7], v[123:124]
	v_mul_f64 v[107:108], v[8:9], v[123:124]
	v_add_f64 v[24:25], v[101:102], v[24:25]
	v_add_f64 v[22:23], v[22:23], v[105:106]
	v_fma_f64 v[123:124], v[4:5], v[113:114], v[127:128]
	v_fma_f64 v[113:114], v[2:3], v[113:114], -v[115:116]
	ds_load_b128 v[2:5], v1 offset:736
	v_fma_f64 v[103:104], v[8:9], v[121:122], v[103:104]
	v_fma_f64 v[107:108], v[6:7], v[121:122], -v[107:108]
	ds_load_b128 v[6:9], v1 offset:752
	s_waitcnt vmcnt(4) lgkmcnt(1)
	v_mul_f64 v[101:102], v[2:3], v[111:112]
	v_mul_f64 v[105:106], v[4:5], v[111:112]
	v_add_f64 v[24:25], v[24:25], v[123:124]
	v_add_f64 v[22:23], v[22:23], v[113:114]
	s_waitcnt vmcnt(3) lgkmcnt(0)
	v_mul_f64 v[111:112], v[6:7], v[119:120]
	v_mul_f64 v[113:114], v[8:9], v[119:120]
	v_fma_f64 v[101:102], v[4:5], v[109:110], v[101:102]
	v_fma_f64 v[105:106], v[2:3], v[109:110], -v[105:106]
	ds_load_b128 v[2:5], v1 offset:768
	v_add_f64 v[24:25], v[24:25], v[103:104]
	v_add_f64 v[22:23], v[22:23], v[107:108]
	v_fma_f64 v[107:108], v[8:9], v[117:118], v[111:112]
	v_fma_f64 v[109:110], v[6:7], v[117:118], -v[113:114]
	ds_load_b128 v[6:9], v1 offset:784
	s_waitcnt vmcnt(2) lgkmcnt(1)
	v_mul_f64 v[103:104], v[2:3], v[12:13]
	v_mul_f64 v[12:13], v[4:5], v[12:13]
	v_add_f64 v[24:25], v[24:25], v[101:102]
	v_add_f64 v[22:23], v[22:23], v[105:106]
	s_waitcnt vmcnt(1) lgkmcnt(0)
	v_mul_f64 v[101:102], v[6:7], v[16:17]
	v_mul_f64 v[16:17], v[8:9], v[16:17]
	v_fma_f64 v[4:5], v[4:5], v[10:11], v[103:104]
	v_fma_f64 v[1:2], v[2:3], v[10:11], -v[12:13]
	v_add_f64 v[12:13], v[24:25], v[107:108]
	v_add_f64 v[10:11], v[22:23], v[109:110]
	v_fma_f64 v[8:9], v[8:9], v[14:15], v[101:102]
	v_fma_f64 v[6:7], v[6:7], v[14:15], -v[16:17]
	s_delay_alu instid0(VALU_DEP_4) | instskip(NEXT) | instid1(VALU_DEP_4)
	v_add_f64 v[3:4], v[12:13], v[4:5]
	v_add_f64 v[1:2], v[10:11], v[1:2]
	s_delay_alu instid0(VALU_DEP_2) | instskip(NEXT) | instid1(VALU_DEP_2)
	v_add_f64 v[3:4], v[3:4], v[8:9]
	v_add_f64 v[1:2], v[1:2], v[6:7]
	s_waitcnt vmcnt(0)
	s_delay_alu instid0(VALU_DEP_2) | instskip(NEXT) | instid1(VALU_DEP_2)
	v_add_f64 v[3:4], v[20:21], -v[3:4]
	v_add_f64 v[1:2], v[18:19], -v[1:2]
	scratch_store_b128 off, v[1:4], off
	s_cbranch_vccz .LBB24_213
; %bb.164:
	v_dual_mov_b32 v1, s16 :: v_dual_mov_b32 v2, s17
	s_load_b64 s[0:1], s[0:1], 0x4
	flat_load_b32 v1, v[1:2] offset:92
	v_bfe_u32 v2, v0, 10, 10
	v_bfe_u32 v0, v0, 20, 10
	s_waitcnt lgkmcnt(0)
	s_lshr_b32 s0, s0, 16
	s_delay_alu instid0(VALU_DEP_2) | instskip(SKIP_1) | instid1(SALU_CYCLE_1)
	v_mul_u32_u24_e32 v2, s1, v2
	s_mul_i32 s0, s0, s1
	v_mul_u32_u24_e32 v3, s0, v76
	s_mov_b32 s0, exec_lo
	s_delay_alu instid0(VALU_DEP_1) | instskip(NEXT) | instid1(VALU_DEP_1)
	v_add3_u32 v0, v3, v2, v0
	v_lshl_add_u32 v0, v0, 4, 0x328
	s_waitcnt vmcnt(0)
	v_cmpx_ne_u32_e32 24, v1
	s_cbranch_execz .LBB24_166
; %bb.165:
	v_lshl_add_u32 v9, v1, 4, 0
	s_clause 0x1
	scratch_load_b128 v[1:4], v91, off
	scratch_load_b128 v[5:8], v9, off offset:-16
	s_waitcnt vmcnt(1)
	ds_store_2addr_b64 v0, v[1:2], v[3:4] offset1:1
	s_waitcnt vmcnt(0)
	s_clause 0x1
	scratch_store_b128 v91, v[5:8], off
	scratch_store_b128 v9, v[1:4], off offset:-16
.LBB24_166:
	s_or_b32 exec_lo, exec_lo, s0
	v_dual_mov_b32 v1, s16 :: v_dual_mov_b32 v2, s17
	s_mov_b32 s0, exec_lo
	flat_load_b32 v1, v[1:2] offset:88
	s_waitcnt vmcnt(0) lgkmcnt(0)
	v_cmpx_ne_u32_e32 23, v1
	s_cbranch_execz .LBB24_168
; %bb.167:
	v_lshl_add_u32 v9, v1, 4, 0
	s_clause 0x1
	scratch_load_b128 v[1:4], v92, off
	scratch_load_b128 v[5:8], v9, off offset:-16
	s_waitcnt vmcnt(1)
	ds_store_2addr_b64 v0, v[1:2], v[3:4] offset1:1
	s_waitcnt vmcnt(0)
	s_clause 0x1
	scratch_store_b128 v92, v[5:8], off
	scratch_store_b128 v9, v[1:4], off offset:-16
.LBB24_168:
	s_or_b32 exec_lo, exec_lo, s0
	v_dual_mov_b32 v1, s16 :: v_dual_mov_b32 v2, s17
	s_mov_b32 s0, exec_lo
	flat_load_b32 v1, v[1:2] offset:84
	s_waitcnt vmcnt(0) lgkmcnt(0)
	;; [unrolled: 19-line block ×22, first 2 shown]
	v_cmpx_ne_u32_e32 2, v1
	s_cbranch_execz .LBB24_210
; %bb.209:
	v_lshl_add_u32 v9, v1, 4, 0
	s_clause 0x1
	scratch_load_b128 v[1:4], v80, off
	scratch_load_b128 v[5:8], v9, off offset:-16
	s_waitcnt vmcnt(1)
	ds_store_2addr_b64 v0, v[1:2], v[3:4] offset1:1
	s_waitcnt vmcnt(0)
	s_clause 0x1
	scratch_store_b128 v80, v[5:8], off
	scratch_store_b128 v9, v[1:4], off offset:-16
.LBB24_210:
	s_or_b32 exec_lo, exec_lo, s0
	v_dual_mov_b32 v1, s16 :: v_dual_mov_b32 v2, s17
	s_mov_b32 s0, exec_lo
	flat_load_b32 v1, v[1:2]
	s_waitcnt vmcnt(0) lgkmcnt(0)
	v_cmpx_ne_u32_e32 1, v1
	s_cbranch_execz .LBB24_212
; %bb.211:
	v_lshl_add_u32 v9, v1, 4, 0
	scratch_load_b128 v[1:4], off, off
	scratch_load_b128 v[5:8], v9, off offset:-16
	s_waitcnt vmcnt(1)
	ds_store_2addr_b64 v0, v[1:2], v[3:4] offset1:1
	s_waitcnt vmcnt(0)
	scratch_store_b128 off, v[5:8], off
	scratch_store_b128 v9, v[1:4], off offset:-16
.LBB24_212:
	s_or_b32 exec_lo, exec_lo, s0
.LBB24_213:
	scratch_load_b128 v[0:3], off, off
	s_clause 0x13
	scratch_load_b128 v[4:7], v80, off
	scratch_load_b128 v[8:11], v79, off
	;; [unrolled: 1-line block ×20, first 2 shown]
	s_waitcnt vmcnt(20)
	global_store_b128 v[26:27], v[0:3], off
	s_clause 0x1
	scratch_load_b128 v[0:3], v88, off
	scratch_load_b128 v[24:27], v92, off
	s_waitcnt vmcnt(21)
	global_store_b128 v[30:31], v[4:7], off
	s_clause 0x1
	scratch_load_b128 v[4:7], v91, off
	scratch_load_b128 v[86:89], v90, off
	s_waitcnt vmcnt(22)
	global_store_b128 v[28:29], v[8:11], off
	s_waitcnt vmcnt(21)
	global_store_b128 v[32:33], v[12:15], off
	;; [unrolled: 2-line block ×23, first 2 shown]
	s_endpgm
	.section	.rodata,"a",@progbits
	.p2align	6, 0x0
	.amdhsa_kernel _ZN9rocsolver6v33100L18getri_kernel_smallILi25E19rocblas_complex_numIdEPS3_EEvT1_iilPiilS6_bb
		.amdhsa_group_segment_fixed_size 1832
		.amdhsa_private_segment_fixed_size 416
		.amdhsa_kernarg_size 60
		.amdhsa_user_sgpr_count 15
		.amdhsa_user_sgpr_dispatch_ptr 1
		.amdhsa_user_sgpr_queue_ptr 0
		.amdhsa_user_sgpr_kernarg_segment_ptr 1
		.amdhsa_user_sgpr_dispatch_id 0
		.amdhsa_user_sgpr_private_segment_size 0
		.amdhsa_wavefront_size32 1
		.amdhsa_uses_dynamic_stack 0
		.amdhsa_enable_private_segment 1
		.amdhsa_system_sgpr_workgroup_id_x 1
		.amdhsa_system_sgpr_workgroup_id_y 0
		.amdhsa_system_sgpr_workgroup_id_z 0
		.amdhsa_system_sgpr_workgroup_info 0
		.amdhsa_system_vgpr_workitem_id 2
		.amdhsa_next_free_vgpr 152
		.amdhsa_next_free_sgpr 22
		.amdhsa_reserve_vcc 1
		.amdhsa_float_round_mode_32 0
		.amdhsa_float_round_mode_16_64 0
		.amdhsa_float_denorm_mode_32 3
		.amdhsa_float_denorm_mode_16_64 3
		.amdhsa_dx10_clamp 1
		.amdhsa_ieee_mode 1
		.amdhsa_fp16_overflow 0
		.amdhsa_workgroup_processor_mode 1
		.amdhsa_memory_ordered 1
		.amdhsa_forward_progress 0
		.amdhsa_shared_vgpr_count 0
		.amdhsa_exception_fp_ieee_invalid_op 0
		.amdhsa_exception_fp_denorm_src 0
		.amdhsa_exception_fp_ieee_div_zero 0
		.amdhsa_exception_fp_ieee_overflow 0
		.amdhsa_exception_fp_ieee_underflow 0
		.amdhsa_exception_fp_ieee_inexact 0
		.amdhsa_exception_int_div_zero 0
	.end_amdhsa_kernel
	.section	.text._ZN9rocsolver6v33100L18getri_kernel_smallILi25E19rocblas_complex_numIdEPS3_EEvT1_iilPiilS6_bb,"axG",@progbits,_ZN9rocsolver6v33100L18getri_kernel_smallILi25E19rocblas_complex_numIdEPS3_EEvT1_iilPiilS6_bb,comdat
.Lfunc_end24:
	.size	_ZN9rocsolver6v33100L18getri_kernel_smallILi25E19rocblas_complex_numIdEPS3_EEvT1_iilPiilS6_bb, .Lfunc_end24-_ZN9rocsolver6v33100L18getri_kernel_smallILi25E19rocblas_complex_numIdEPS3_EEvT1_iilPiilS6_bb
                                        ; -- End function
	.section	.AMDGPU.csdata,"",@progbits
; Kernel info:
; codeLenInByte = 36216
; NumSgprs: 24
; NumVgprs: 152
; ScratchSize: 416
; MemoryBound: 0
; FloatMode: 240
; IeeeMode: 1
; LDSByteSize: 1832 bytes/workgroup (compile time only)
; SGPRBlocks: 2
; VGPRBlocks: 18
; NumSGPRsForWavesPerEU: 24
; NumVGPRsForWavesPerEU: 152
; Occupancy: 9
; WaveLimiterHint : 1
; COMPUTE_PGM_RSRC2:SCRATCH_EN: 1
; COMPUTE_PGM_RSRC2:USER_SGPR: 15
; COMPUTE_PGM_RSRC2:TRAP_HANDLER: 0
; COMPUTE_PGM_RSRC2:TGID_X_EN: 1
; COMPUTE_PGM_RSRC2:TGID_Y_EN: 0
; COMPUTE_PGM_RSRC2:TGID_Z_EN: 0
; COMPUTE_PGM_RSRC2:TIDIG_COMP_CNT: 2
	.section	.text._ZN9rocsolver6v33100L18getri_kernel_smallILi26E19rocblas_complex_numIdEPS3_EEvT1_iilPiilS6_bb,"axG",@progbits,_ZN9rocsolver6v33100L18getri_kernel_smallILi26E19rocblas_complex_numIdEPS3_EEvT1_iilPiilS6_bb,comdat
	.globl	_ZN9rocsolver6v33100L18getri_kernel_smallILi26E19rocblas_complex_numIdEPS3_EEvT1_iilPiilS6_bb ; -- Begin function _ZN9rocsolver6v33100L18getri_kernel_smallILi26E19rocblas_complex_numIdEPS3_EEvT1_iilPiilS6_bb
	.p2align	8
	.type	_ZN9rocsolver6v33100L18getri_kernel_smallILi26E19rocblas_complex_numIdEPS3_EEvT1_iilPiilS6_bb,@function
_ZN9rocsolver6v33100L18getri_kernel_smallILi26E19rocblas_complex_numIdEPS3_EEvT1_iilPiilS6_bb: ; @_ZN9rocsolver6v33100L18getri_kernel_smallILi26E19rocblas_complex_numIdEPS3_EEvT1_iilPiilS6_bb
; %bb.0:
	v_and_b32_e32 v85, 0x3ff, v0
	s_mov_b32 s4, exec_lo
	s_delay_alu instid0(VALU_DEP_1)
	v_cmpx_gt_u32_e32 26, v85
	s_cbranch_execz .LBB25_118
; %bb.1:
	s_mov_b32 s18, s15
	s_clause 0x2
	s_load_b32 s21, s[2:3], 0x38
	s_load_b128 s[12:15], s[2:3], 0x10
	s_load_b128 s[4:7], s[2:3], 0x28
                                        ; implicit-def: $sgpr16_sgpr17
	s_waitcnt lgkmcnt(0)
	s_bitcmp1_b32 s21, 8
	s_cselect_b32 s20, -1, 0
	s_bfe_u32 s8, s21, 0x10008
	s_ashr_i32 s19, s18, 31
	s_cmp_eq_u32 s8, 0
	s_cbranch_scc1 .LBB25_3
; %bb.2:
	s_load_b32 s8, s[2:3], 0x20
	s_mul_i32 s5, s18, s5
	s_mul_hi_u32 s9, s18, s4
	s_mul_i32 s10, s19, s4
	s_add_i32 s5, s9, s5
	s_mul_i32 s4, s18, s4
	s_add_i32 s5, s5, s10
	s_delay_alu instid0(SALU_CYCLE_1)
	s_lshl_b64 s[4:5], s[4:5], 2
	s_waitcnt lgkmcnt(0)
	s_ashr_i32 s9, s8, 31
	s_add_u32 s10, s14, s4
	s_addc_u32 s11, s15, s5
	s_lshl_b64 s[4:5], s[8:9], 2
	s_delay_alu instid0(SALU_CYCLE_1)
	s_add_u32 s16, s10, s4
	s_addc_u32 s17, s11, s5
.LBB25_3:
	s_load_b128 s[8:11], s[2:3], 0x0
	s_mul_i32 s2, s18, s13
	s_mul_hi_u32 s3, s18, s12
	s_mul_i32 s4, s19, s12
	s_add_i32 s3, s3, s2
	s_mul_i32 s2, s18, s12
	s_add_i32 s3, s3, s4
	v_lshlrev_b32_e32 v13, 4, v85
	s_lshl_b64 s[2:3], s[2:3], 4
	s_movk_i32 s12, 0xd0
	s_movk_i32 s13, 0xe0
	;; [unrolled: 1-line block ×4, first 2 shown]
	v_add_nc_u32_e64 v90, 0, 16
	v_add_nc_u32_e64 v87, 0, 32
	;; [unrolled: 1-line block ×4, first 2 shown]
	s_waitcnt lgkmcnt(0)
	v_add3_u32 v5, s11, s11, v85
	s_ashr_i32 s5, s10, 31
	s_mov_b32 s4, s10
	s_add_u32 s8, s8, s2
	s_addc_u32 s9, s9, s3
	v_add_nc_u32_e32 v7, s11, v5
	s_lshl_b64 s[2:3], s[4:5], 4
	v_ashrrev_i32_e32 v6, 31, v5
	s_add_u32 s2, s8, s2
	s_addc_u32 s3, s9, s3
	v_add_nc_u32_e32 v22, s11, v7
	v_add_co_u32 v33, s8, s2, v13
	v_ashrrev_i32_e32 v8, 31, v7
	s_mov_b32 s4, s11
	s_ashr_i32 s5, s11, 31
	v_add_co_ci_u32_e64 v34, null, s3, 0, s8
	v_lshlrev_b64 v[9:10], 4, v[5:6]
	s_lshl_b64 s[4:5], s[4:5], 4
	v_ashrrev_i32_e32 v23, 31, v22
	v_add_co_u32 v35, vcc_lo, v33, s4
	v_lshlrev_b64 v[11:12], 4, v[7:8]
	v_add_co_ci_u32_e32 v36, vcc_lo, s5, v34, vcc_lo
	v_add_co_u32 v37, vcc_lo, s2, v9
	v_lshlrev_b64 v[18:19], 4, v[22:23]
	v_add_co_ci_u32_e32 v38, vcc_lo, s3, v10, vcc_lo
	v_add_co_u32 v39, vcc_lo, s2, v11
	v_add_co_ci_u32_e32 v40, vcc_lo, s3, v12, vcc_lo
	s_delay_alu instid0(VALU_DEP_4)
	v_add_co_u32 v41, vcc_lo, s2, v18
	v_add_co_ci_u32_e32 v42, vcc_lo, s3, v19, vcc_lo
	s_clause 0x4
	global_load_b128 v[1:4], v13, s[2:3]
	global_load_b128 v[5:8], v[35:36], off
	global_load_b128 v[9:12], v[37:38], off
	;; [unrolled: 1-line block ×4, first 2 shown]
	v_add_nc_u32_e32 v22, s11, v22
	s_movk_i32 s4, 0x70
	s_movk_i32 s5, 0x80
	;; [unrolled: 1-line block ×4, first 2 shown]
	v_add_nc_u32_e32 v24, s11, v22
	v_ashrrev_i32_e32 v23, 31, v22
	s_movk_i32 s10, 0xb0
	v_add_nc_u32_e64 v103, s4, 0
	v_add_nc_u32_e64 v101, s5, 0
	v_add_nc_u32_e32 v26, s11, v24
	v_ashrrev_i32_e32 v25, 31, v24
	v_lshlrev_b64 v[22:23], 4, v[22:23]
	v_add_nc_u32_e64 v100, s8, 0
	v_add_nc_u32_e64 v98, s9, 0
	v_add_nc_u32_e32 v28, s11, v26
	v_ashrrev_i32_e32 v27, 31, v26
	v_lshlrev_b64 v[24:25], 4, v[24:25]
	v_add_co_u32 v43, vcc_lo, s2, v22
	s_delay_alu instid0(VALU_DEP_4) | instskip(SKIP_3) | instid1(VALU_DEP_4)
	v_add_nc_u32_e32 v30, s11, v28
	v_ashrrev_i32_e32 v29, 31, v28
	v_add_co_ci_u32_e32 v44, vcc_lo, s3, v23, vcc_lo
	v_lshlrev_b64 v[22:23], 4, v[26:27]
	v_add_nc_u32_e32 v51, s11, v30
	v_ashrrev_i32_e32 v31, 31, v30
	v_add_co_u32 v45, vcc_lo, s2, v24
	v_lshlrev_b64 v[49:50], 4, v[28:29]
	s_delay_alu instid0(VALU_DEP_4)
	v_add_nc_u32_e32 v53, s11, v51
	v_add_co_ci_u32_e32 v46, vcc_lo, s3, v25, vcc_lo
	v_add_co_u32 v47, vcc_lo, s2, v22
	v_lshlrev_b64 v[30:31], 4, v[30:31]
	v_ashrrev_i32_e32 v52, 31, v51
	v_add_nc_u32_e32 v55, s11, v53
	v_add_co_ci_u32_e32 v48, vcc_lo, s3, v23, vcc_lo
	v_add_co_u32 v49, vcc_lo, s2, v49
	v_add_co_ci_u32_e32 v50, vcc_lo, s3, v50, vcc_lo
	v_lshlrev_b64 v[57:58], 4, v[51:52]
	v_add_co_u32 v51, vcc_lo, s2, v30
	v_add_nc_u32_e32 v30, s11, v55
	v_ashrrev_i32_e32 v54, 31, v53
	v_ashrrev_i32_e32 v56, 31, v55
	v_add_co_ci_u32_e32 v52, vcc_lo, s3, v31, vcc_lo
	s_delay_alu instid0(VALU_DEP_4) | instskip(NEXT) | instid1(VALU_DEP_4)
	v_add_nc_u32_e32 v61, s11, v30
	v_lshlrev_b64 v[59:60], 4, v[53:54]
	v_add_co_u32 v53, vcc_lo, s2, v57
	v_ashrrev_i32_e32 v31, 31, v30
	s_delay_alu instid0(VALU_DEP_4)
	v_add_nc_u32_e32 v63, s11, v61
	v_add_co_ci_u32_e32 v54, vcc_lo, s3, v58, vcc_lo
	v_lshlrev_b64 v[57:58], 4, v[55:56]
	v_add_co_u32 v55, vcc_lo, s2, v59
	v_lshlrev_b64 v[30:31], 4, v[30:31]
	v_add_nc_u32_e32 v65, s11, v63
	v_add_co_ci_u32_e32 v56, vcc_lo, s3, v60, vcc_lo
	v_add_co_u32 v57, vcc_lo, s2, v57
	v_add_co_ci_u32_e32 v58, vcc_lo, s3, v58, vcc_lo
	v_add_co_u32 v59, vcc_lo, s2, v30
	v_add_nc_u32_e32 v30, s11, v65
	v_ashrrev_i32_e32 v62, 31, v61
	v_ashrrev_i32_e32 v64, 31, v63
	;; [unrolled: 1-line block ×3, first 2 shown]
	v_add_co_ci_u32_e32 v60, vcc_lo, s3, v31, vcc_lo
	v_add_nc_u32_e32 v67, s11, v30
	v_lshlrev_b64 v[61:62], 4, v[61:62]
	v_lshlrev_b64 v[63:64], 4, v[63:64]
	v_ashrrev_i32_e32 v31, 31, v30
	v_lshlrev_b64 v[65:66], 4, v[65:66]
	v_add_nc_u32_e32 v69, s11, v67
	v_ashrrev_i32_e32 v68, 31, v67
	v_add_co_u32 v61, vcc_lo, s2, v61
	v_add_co_ci_u32_e32 v62, vcc_lo, s3, v62, vcc_lo
	s_delay_alu instid0(VALU_DEP_4) | instskip(SKIP_3) | instid1(VALU_DEP_4)
	v_add_nc_u32_e32 v71, s11, v69
	v_add_co_u32 v63, vcc_lo, s2, v63
	v_lshlrev_b64 v[30:31], 4, v[30:31]
	v_add_co_ci_u32_e32 v64, vcc_lo, s3, v64, vcc_lo
	v_add_nc_u32_e32 v73, s11, v71
	v_add_co_u32 v65, vcc_lo, s2, v65
	v_ashrrev_i32_e32 v70, 31, v69
	v_add_co_ci_u32_e32 v66, vcc_lo, s3, v66, vcc_lo
	s_delay_alu instid0(VALU_DEP_4) | instskip(SKIP_3) | instid1(VALU_DEP_4)
	v_add_nc_u32_e32 v77, s11, v73
	v_lshlrev_b64 v[74:75], 4, v[67:68]
	v_add_co_u32 v67, vcc_lo, s2, v30
	v_add_co_ci_u32_e32 v68, vcc_lo, s3, v31, vcc_lo
	v_add_nc_u32_e32 v79, s11, v77
	v_lshlrev_b64 v[30:31], 4, v[69:70]
	v_ashrrev_i32_e32 v72, 31, v71
	v_add_co_u32 v69, vcc_lo, s2, v74
	s_delay_alu instid0(VALU_DEP_4) | instskip(SKIP_3) | instid1(VALU_DEP_4)
	v_add_nc_u32_e32 v83, s11, v79
	v_ashrrev_i32_e32 v74, 31, v73
	v_add_co_ci_u32_e32 v70, vcc_lo, s3, v75, vcc_lo
	v_lshlrev_b64 v[75:76], 4, v[71:72]
	v_add_nc_u32_e32 v80, s11, v83
	v_add_co_u32 v71, vcc_lo, s2, v30
	v_add_co_ci_u32_e32 v72, vcc_lo, s3, v31, vcc_lo
	s_delay_alu instid0(VALU_DEP_3) | instskip(SKIP_3) | instid1(VALU_DEP_4)
	v_ashrrev_i32_e32 v81, 31, v80
	v_lshlrev_b64 v[30:31], 4, v[73:74]
	v_ashrrev_i32_e32 v78, 31, v77
	v_add_co_u32 v75, vcc_lo, s2, v75
	v_lshlrev_b64 v[73:74], 4, v[80:81]
	v_add_co_ci_u32_e32 v76, vcc_lo, s3, v76, vcc_lo
	v_ashrrev_i32_e32 v80, 31, v79
	v_lshlrev_b64 v[81:82], 4, v[77:78]
	v_ashrrev_i32_e32 v84, 31, v83
	v_add_co_u32 v73, vcc_lo, s2, v73
	v_add_co_ci_u32_e32 v74, vcc_lo, s3, v74, vcc_lo
	v_add_co_u32 v77, vcc_lo, s2, v30
	v_add_co_ci_u32_e32 v78, vcc_lo, s3, v31, vcc_lo
	v_lshlrev_b64 v[30:31], 4, v[79:80]
	v_add_co_u32 v79, vcc_lo, s2, v81
	v_add_co_ci_u32_e32 v80, vcc_lo, s3, v82, vcc_lo
	s_clause 0x1
	global_load_b128 v[22:25], v[43:44], off
	global_load_b128 v[26:29], v[45:46], off
	v_add_co_u32 v81, vcc_lo, s2, v30
	s_clause 0xb
	global_load_b128 v[91:94], v[47:48], off
	global_load_b128 v[105:108], v[49:50], off
	;; [unrolled: 1-line block ×12, first 2 shown]
	v_add_co_ci_u32_e32 v82, vcc_lo, s3, v31, vcc_lo
	v_lshlrev_b64 v[30:31], 4, v[83:84]
	s_clause 0x1
	global_load_b128 v[149:152], v[71:72], off
	global_load_b128 v[153:156], v[73:74], off
	s_movk_i32 s11, 0xc0
	v_add_nc_u32_e64 v99, s10, 0
	s_bitcmp0_b32 s21, 0
	v_add_co_u32 v83, vcc_lo, s2, v30
	v_add_co_ci_u32_e32 v84, vcc_lo, s3, v31, vcc_lo
	s_movk_i32 s2, 0x50
	s_movk_i32 s3, 0x60
	v_add_nc_u32_e64 v104, s2, 0
	s_movk_i32 s2, 0x110
	v_add_nc_u32_e64 v102, s3, 0
	s_movk_i32 s3, 0x120
	s_delay_alu instid0(SALU_CYCLE_1)
	v_add_nc_u32_e64 v88, s3, 0
	s_movk_i32 s3, 0x140
	s_waitcnt vmcnt(20)
	scratch_store_b128 off, v[1:4], off
	s_waitcnt vmcnt(19)
	scratch_store_b128 off, v[5:8], off offset:16
	s_clause 0x1
	global_load_b128 v[1:4], v[75:76], off
	global_load_b128 v[5:8], v[77:78], off
	s_waitcnt vmcnt(20)
	scratch_store_b128 off, v[9:12], off offset:32
	s_waitcnt vmcnt(19)
	scratch_store_b128 off, v[14:17], off offset:48
	s_clause 0x1
	global_load_b128 v[9:12], v[79:80], off
	global_load_b128 v[14:17], v[81:82], off
	s_waitcnt vmcnt(20)
	scratch_store_b128 off, v[18:21], off offset:64
	global_load_b128 v[18:21], v[83:84], off
	s_waitcnt vmcnt(20)
	scratch_store_b128 off, v[22:25], off offset:80
	s_waitcnt vmcnt(19)
	scratch_store_b128 off, v[26:29], off offset:96
	;; [unrolled: 2-line block ×15, first 2 shown]
	v_add_nc_u32_e64 v106, s2, 0
	s_movk_i32 s2, 0x130
	v_add_nc_u32_e64 v91, s3, 0
	v_add_nc_u32_e64 v94, s2, 0
	s_movk_i32 s2, 0x150
	s_movk_i32 s3, 0x160
	v_add_nc_u32_e64 v93, s2, 0
	s_movk_i32 s2, 0x170
	v_add_nc_u32_e64 v92, s3, 0
	v_add_nc_u32_e64 v95, s2, 0
	s_movk_i32 s2, 0x180
	s_movk_i32 s3, 0x190
	v_add_nc_u32_e64 v110, s11, 0
	v_add_nc_u32_e64 v109, s12, 0
	v_add_nc_u32_e64 v108, s13, 0
	v_add_nc_u32_e64 v107, s14, 0
	v_add_nc_u32_e64 v105, s15, 0
	v_add_nc_u32_e64 v97, s2, 0
	v_add_nc_u32_e64 v96, s3, 0
	s_mov_b32 s3, -1
	s_waitcnt vmcnt(4)
	scratch_store_b128 off, v[1:4], off offset:320
	s_waitcnt vmcnt(3)
	scratch_store_b128 off, v[5:8], off offset:336
	s_waitcnt vmcnt(2)
	scratch_store_b128 off, v[9:12], off offset:352
	s_waitcnt vmcnt(1)
	scratch_store_b128 off, v[14:17], off offset:368
	s_waitcnt vmcnt(0)
	s_clause 0x1
	scratch_store_b128 off, v[18:21], off offset:384
	scratch_store_b128 off, v[153:156], off offset:400
	s_cbranch_scc1 .LBB25_116
; %bb.4:
	v_cmp_eq_u32_e64 s2, 0, v85
	s_delay_alu instid0(VALU_DEP_1)
	s_and_saveexec_b32 s3, s2
	s_cbranch_execz .LBB25_6
; %bb.5:
	v_mov_b32_e32 v1, 0
	ds_store_b32 v1, v1 offset:832
.LBB25_6:
	s_or_b32 exec_lo, exec_lo, s3
	s_waitcnt lgkmcnt(0)
	s_waitcnt_vscnt null, 0x0
	s_barrier
	buffer_gl0_inv
	scratch_load_b128 v[1:4], v13, off
	s_waitcnt vmcnt(0)
	v_cmp_eq_f64_e32 vcc_lo, 0, v[1:2]
	v_cmp_eq_f64_e64 s3, 0, v[3:4]
	s_delay_alu instid0(VALU_DEP_1) | instskip(NEXT) | instid1(SALU_CYCLE_1)
	s_and_b32 s3, vcc_lo, s3
	s_and_saveexec_b32 s4, s3
	s_cbranch_execz .LBB25_10
; %bb.7:
	v_mov_b32_e32 v1, 0
	s_mov_b32 s5, 0
	ds_load_b32 v2, v1 offset:832
	s_waitcnt lgkmcnt(0)
	v_readfirstlane_b32 s3, v2
	v_add_nc_u32_e32 v2, 1, v85
	s_delay_alu instid0(VALU_DEP_2) | instskip(NEXT) | instid1(VALU_DEP_1)
	s_cmp_eq_u32 s3, 0
	v_cmp_gt_i32_e32 vcc_lo, s3, v2
	s_cselect_b32 s8, -1, 0
	s_delay_alu instid0(SALU_CYCLE_1) | instskip(NEXT) | instid1(SALU_CYCLE_1)
	s_or_b32 s8, s8, vcc_lo
	s_and_b32 exec_lo, exec_lo, s8
	s_cbranch_execz .LBB25_10
; %bb.8:
	v_mov_b32_e32 v3, s3
.LBB25_9:                               ; =>This Inner Loop Header: Depth=1
	ds_cmpstore_rtn_b32 v3, v1, v2, v3 offset:832
	s_waitcnt lgkmcnt(0)
	v_cmp_ne_u32_e32 vcc_lo, 0, v3
	v_cmp_le_i32_e64 s3, v3, v2
	s_delay_alu instid0(VALU_DEP_1) | instskip(NEXT) | instid1(SALU_CYCLE_1)
	s_and_b32 s3, vcc_lo, s3
	s_and_b32 s3, exec_lo, s3
	s_delay_alu instid0(SALU_CYCLE_1) | instskip(NEXT) | instid1(SALU_CYCLE_1)
	s_or_b32 s5, s3, s5
	s_and_not1_b32 exec_lo, exec_lo, s5
	s_cbranch_execnz .LBB25_9
.LBB25_10:
	s_or_b32 exec_lo, exec_lo, s4
	v_mov_b32_e32 v1, 0
	s_barrier
	buffer_gl0_inv
	ds_load_b32 v2, v1 offset:832
	s_and_saveexec_b32 s3, s2
	s_cbranch_execz .LBB25_12
; %bb.11:
	s_lshl_b64 s[4:5], s[18:19], 2
	s_delay_alu instid0(SALU_CYCLE_1)
	s_add_u32 s4, s6, s4
	s_addc_u32 s5, s7, s5
	s_waitcnt lgkmcnt(0)
	global_store_b32 v1, v2, s[4:5]
.LBB25_12:
	s_or_b32 exec_lo, exec_lo, s3
	s_waitcnt lgkmcnt(0)
	v_cmp_ne_u32_e32 vcc_lo, 0, v2
	s_mov_b32 s3, 0
	s_cbranch_vccnz .LBB25_116
; %bb.13:
	v_add_nc_u32_e32 v14, 0, v13
                                        ; implicit-def: $vgpr9_vgpr10
	scratch_load_b128 v[1:4], v14, off
	s_waitcnt vmcnt(0)
	v_mov_b32_e32 v5, v1
	v_cmp_gt_f64_e32 vcc_lo, 0, v[1:2]
	v_xor_b32_e32 v6, 0x80000000, v2
	v_xor_b32_e32 v7, 0x80000000, v4
	s_delay_alu instid0(VALU_DEP_2) | instskip(SKIP_1) | instid1(VALU_DEP_3)
	v_cndmask_b32_e32 v6, v2, v6, vcc_lo
	v_cmp_gt_f64_e32 vcc_lo, 0, v[3:4]
	v_dual_cndmask_b32 v8, v4, v7 :: v_dual_mov_b32 v7, v3
	s_delay_alu instid0(VALU_DEP_1) | instskip(SKIP_1) | instid1(SALU_CYCLE_1)
	v_cmp_ngt_f64_e32 vcc_lo, v[5:6], v[7:8]
                                        ; implicit-def: $vgpr5_vgpr6
	s_and_saveexec_b32 s3, vcc_lo
	s_xor_b32 s3, exec_lo, s3
	s_cbranch_execz .LBB25_15
; %bb.14:
	v_div_scale_f64 v[5:6], null, v[3:4], v[3:4], v[1:2]
	v_div_scale_f64 v[11:12], vcc_lo, v[1:2], v[3:4], v[1:2]
	s_delay_alu instid0(VALU_DEP_2) | instskip(SKIP_2) | instid1(VALU_DEP_1)
	v_rcp_f64_e32 v[7:8], v[5:6]
	s_waitcnt_depctr 0xfff
	v_fma_f64 v[9:10], -v[5:6], v[7:8], 1.0
	v_fma_f64 v[7:8], v[7:8], v[9:10], v[7:8]
	s_delay_alu instid0(VALU_DEP_1) | instskip(NEXT) | instid1(VALU_DEP_1)
	v_fma_f64 v[9:10], -v[5:6], v[7:8], 1.0
	v_fma_f64 v[7:8], v[7:8], v[9:10], v[7:8]
	s_delay_alu instid0(VALU_DEP_1) | instskip(NEXT) | instid1(VALU_DEP_1)
	v_mul_f64 v[9:10], v[11:12], v[7:8]
	v_fma_f64 v[5:6], -v[5:6], v[9:10], v[11:12]
	s_delay_alu instid0(VALU_DEP_1) | instskip(NEXT) | instid1(VALU_DEP_1)
	v_div_fmas_f64 v[5:6], v[5:6], v[7:8], v[9:10]
	v_div_fixup_f64 v[5:6], v[5:6], v[3:4], v[1:2]
	s_delay_alu instid0(VALU_DEP_1) | instskip(NEXT) | instid1(VALU_DEP_1)
	v_fma_f64 v[1:2], v[1:2], v[5:6], v[3:4]
	v_div_scale_f64 v[3:4], null, v[1:2], v[1:2], 1.0
	v_div_scale_f64 v[11:12], vcc_lo, 1.0, v[1:2], 1.0
	s_delay_alu instid0(VALU_DEP_2) | instskip(SKIP_2) | instid1(VALU_DEP_1)
	v_rcp_f64_e32 v[7:8], v[3:4]
	s_waitcnt_depctr 0xfff
	v_fma_f64 v[9:10], -v[3:4], v[7:8], 1.0
	v_fma_f64 v[7:8], v[7:8], v[9:10], v[7:8]
	s_delay_alu instid0(VALU_DEP_1) | instskip(NEXT) | instid1(VALU_DEP_1)
	v_fma_f64 v[9:10], -v[3:4], v[7:8], 1.0
	v_fma_f64 v[7:8], v[7:8], v[9:10], v[7:8]
	s_delay_alu instid0(VALU_DEP_1) | instskip(NEXT) | instid1(VALU_DEP_1)
	v_mul_f64 v[9:10], v[11:12], v[7:8]
	v_fma_f64 v[3:4], -v[3:4], v[9:10], v[11:12]
	s_delay_alu instid0(VALU_DEP_1) | instskip(NEXT) | instid1(VALU_DEP_1)
	v_div_fmas_f64 v[3:4], v[3:4], v[7:8], v[9:10]
	v_div_fixup_f64 v[7:8], v[3:4], v[1:2], 1.0
                                        ; implicit-def: $vgpr1_vgpr2
	s_delay_alu instid0(VALU_DEP_1) | instskip(SKIP_1) | instid1(VALU_DEP_2)
	v_mul_f64 v[5:6], v[5:6], v[7:8]
	v_xor_b32_e32 v8, 0x80000000, v8
	v_xor_b32_e32 v10, 0x80000000, v6
	s_delay_alu instid0(VALU_DEP_3)
	v_mov_b32_e32 v9, v5
.LBB25_15:
	s_and_not1_saveexec_b32 s3, s3
	s_cbranch_execz .LBB25_17
; %bb.16:
	v_div_scale_f64 v[5:6], null, v[1:2], v[1:2], v[3:4]
	v_div_scale_f64 v[11:12], vcc_lo, v[3:4], v[1:2], v[3:4]
	s_delay_alu instid0(VALU_DEP_2) | instskip(SKIP_2) | instid1(VALU_DEP_1)
	v_rcp_f64_e32 v[7:8], v[5:6]
	s_waitcnt_depctr 0xfff
	v_fma_f64 v[9:10], -v[5:6], v[7:8], 1.0
	v_fma_f64 v[7:8], v[7:8], v[9:10], v[7:8]
	s_delay_alu instid0(VALU_DEP_1) | instskip(NEXT) | instid1(VALU_DEP_1)
	v_fma_f64 v[9:10], -v[5:6], v[7:8], 1.0
	v_fma_f64 v[7:8], v[7:8], v[9:10], v[7:8]
	s_delay_alu instid0(VALU_DEP_1) | instskip(NEXT) | instid1(VALU_DEP_1)
	v_mul_f64 v[9:10], v[11:12], v[7:8]
	v_fma_f64 v[5:6], -v[5:6], v[9:10], v[11:12]
	s_delay_alu instid0(VALU_DEP_1) | instskip(NEXT) | instid1(VALU_DEP_1)
	v_div_fmas_f64 v[5:6], v[5:6], v[7:8], v[9:10]
	v_div_fixup_f64 v[7:8], v[5:6], v[1:2], v[3:4]
	s_delay_alu instid0(VALU_DEP_1) | instskip(NEXT) | instid1(VALU_DEP_1)
	v_fma_f64 v[1:2], v[3:4], v[7:8], v[1:2]
	v_div_scale_f64 v[3:4], null, v[1:2], v[1:2], 1.0
	s_delay_alu instid0(VALU_DEP_1) | instskip(SKIP_2) | instid1(VALU_DEP_1)
	v_rcp_f64_e32 v[5:6], v[3:4]
	s_waitcnt_depctr 0xfff
	v_fma_f64 v[9:10], -v[3:4], v[5:6], 1.0
	v_fma_f64 v[5:6], v[5:6], v[9:10], v[5:6]
	s_delay_alu instid0(VALU_DEP_1) | instskip(NEXT) | instid1(VALU_DEP_1)
	v_fma_f64 v[9:10], -v[3:4], v[5:6], 1.0
	v_fma_f64 v[5:6], v[5:6], v[9:10], v[5:6]
	v_div_scale_f64 v[9:10], vcc_lo, 1.0, v[1:2], 1.0
	s_delay_alu instid0(VALU_DEP_1) | instskip(NEXT) | instid1(VALU_DEP_1)
	v_mul_f64 v[11:12], v[9:10], v[5:6]
	v_fma_f64 v[3:4], -v[3:4], v[11:12], v[9:10]
	s_delay_alu instid0(VALU_DEP_1) | instskip(NEXT) | instid1(VALU_DEP_1)
	v_div_fmas_f64 v[3:4], v[3:4], v[5:6], v[11:12]
	v_div_fixup_f64 v[5:6], v[3:4], v[1:2], 1.0
	s_delay_alu instid0(VALU_DEP_1)
	v_mul_f64 v[7:8], v[7:8], -v[5:6]
	v_xor_b32_e32 v10, 0x80000000, v6
	v_mov_b32_e32 v9, v5
.LBB25_17:
	s_or_b32 exec_lo, exec_lo, s3
	scratch_store_b128 v14, v[5:8], off
	scratch_load_b128 v[1:4], v90, off
	v_xor_b32_e32 v12, 0x80000000, v8
	v_mov_b32_e32 v11, v7
	v_add_nc_u32_e32 v5, 0x1a0, v13
	ds_store_b128 v13, v[9:12]
	s_waitcnt vmcnt(0)
	ds_store_b128 v13, v[1:4] offset:416
	s_waitcnt lgkmcnt(0)
	s_waitcnt_vscnt null, 0x0
	s_barrier
	buffer_gl0_inv
	s_and_saveexec_b32 s3, s2
	s_cbranch_execz .LBB25_19
; %bb.18:
	scratch_load_b128 v[1:4], v14, off
	ds_load_b128 v[6:9], v5
	v_mov_b32_e32 v10, 0
	ds_load_b128 v[15:18], v10 offset:16
	s_waitcnt vmcnt(0) lgkmcnt(1)
	v_mul_f64 v[10:11], v[6:7], v[3:4]
	v_mul_f64 v[3:4], v[8:9], v[3:4]
	s_delay_alu instid0(VALU_DEP_2) | instskip(NEXT) | instid1(VALU_DEP_2)
	v_fma_f64 v[8:9], v[8:9], v[1:2], v[10:11]
	v_fma_f64 v[1:2], v[6:7], v[1:2], -v[3:4]
	s_delay_alu instid0(VALU_DEP_2) | instskip(NEXT) | instid1(VALU_DEP_2)
	v_add_f64 v[3:4], v[8:9], 0
	v_add_f64 v[1:2], v[1:2], 0
	s_waitcnt lgkmcnt(0)
	s_delay_alu instid0(VALU_DEP_2) | instskip(NEXT) | instid1(VALU_DEP_2)
	v_mul_f64 v[6:7], v[3:4], v[17:18]
	v_mul_f64 v[8:9], v[1:2], v[17:18]
	s_delay_alu instid0(VALU_DEP_2) | instskip(NEXT) | instid1(VALU_DEP_2)
	v_fma_f64 v[1:2], v[1:2], v[15:16], -v[6:7]
	v_fma_f64 v[3:4], v[3:4], v[15:16], v[8:9]
	scratch_store_b128 off, v[1:4], off offset:16
.LBB25_19:
	s_or_b32 exec_lo, exec_lo, s3
	s_waitcnt_vscnt null, 0x0
	s_barrier
	buffer_gl0_inv
	scratch_load_b128 v[1:4], v87, off
	s_mov_b32 s3, exec_lo
	s_waitcnt vmcnt(0)
	ds_store_b128 v5, v[1:4]
	s_waitcnt lgkmcnt(0)
	s_barrier
	buffer_gl0_inv
	v_cmpx_gt_u32_e32 2, v85
	s_cbranch_execz .LBB25_23
; %bb.20:
	scratch_load_b128 v[1:4], v14, off
	ds_load_b128 v[6:9], v5
	s_waitcnt vmcnt(0) lgkmcnt(0)
	v_mul_f64 v[10:11], v[8:9], v[3:4]
	v_mul_f64 v[3:4], v[6:7], v[3:4]
	s_delay_alu instid0(VALU_DEP_2) | instskip(NEXT) | instid1(VALU_DEP_2)
	v_fma_f64 v[6:7], v[6:7], v[1:2], -v[10:11]
	v_fma_f64 v[3:4], v[8:9], v[1:2], v[3:4]
	s_delay_alu instid0(VALU_DEP_2) | instskip(NEXT) | instid1(VALU_DEP_2)
	v_add_f64 v[1:2], v[6:7], 0
	v_add_f64 v[3:4], v[3:4], 0
	s_and_saveexec_b32 s4, s2
	s_cbranch_execz .LBB25_22
; %bb.21:
	scratch_load_b128 v[6:9], off, off offset:16
	v_mov_b32_e32 v10, 0
	ds_load_b128 v[15:18], v10 offset:432
	s_waitcnt vmcnt(0) lgkmcnt(0)
	v_mul_f64 v[10:11], v[15:16], v[8:9]
	v_mul_f64 v[8:9], v[17:18], v[8:9]
	s_delay_alu instid0(VALU_DEP_2) | instskip(NEXT) | instid1(VALU_DEP_2)
	v_fma_f64 v[10:11], v[17:18], v[6:7], v[10:11]
	v_fma_f64 v[6:7], v[15:16], v[6:7], -v[8:9]
	s_delay_alu instid0(VALU_DEP_2) | instskip(NEXT) | instid1(VALU_DEP_2)
	v_add_f64 v[3:4], v[3:4], v[10:11]
	v_add_f64 v[1:2], v[1:2], v[6:7]
.LBB25_22:
	s_or_b32 exec_lo, exec_lo, s4
	v_mov_b32_e32 v6, 0
	ds_load_b128 v[6:9], v6 offset:32
	s_waitcnt lgkmcnt(0)
	v_mul_f64 v[10:11], v[3:4], v[8:9]
	v_mul_f64 v[8:9], v[1:2], v[8:9]
	s_delay_alu instid0(VALU_DEP_2) | instskip(NEXT) | instid1(VALU_DEP_2)
	v_fma_f64 v[1:2], v[1:2], v[6:7], -v[10:11]
	v_fma_f64 v[3:4], v[3:4], v[6:7], v[8:9]
	scratch_store_b128 off, v[1:4], off offset:32
.LBB25_23:
	s_or_b32 exec_lo, exec_lo, s3
	s_waitcnt_vscnt null, 0x0
	s_barrier
	buffer_gl0_inv
	scratch_load_b128 v[1:4], v89, off
	v_add_nc_u32_e32 v6, -1, v85
	s_mov_b32 s2, exec_lo
	s_waitcnt vmcnt(0)
	ds_store_b128 v5, v[1:4]
	s_waitcnt lgkmcnt(0)
	s_barrier
	buffer_gl0_inv
	v_cmpx_gt_u32_e32 3, v85
	s_cbranch_execz .LBB25_27
; %bb.24:
	v_dual_mov_b32 v1, 0 :: v_dual_add_nc_u32 v8, 0x1a0, v13
	v_dual_mov_b32 v2, 0 :: v_dual_add_nc_u32 v7, -1, v85
	v_or_b32_e32 v9, 8, v14
	s_mov_b32 s3, 0
	s_delay_alu instid0(VALU_DEP_2)
	v_dual_mov_b32 v4, v2 :: v_dual_mov_b32 v3, v1
	.p2align	6
.LBB25_25:                              ; =>This Inner Loop Header: Depth=1
	scratch_load_b128 v[15:18], v9, off offset:-8
	ds_load_b128 v[19:22], v8
	v_add_nc_u32_e32 v7, 1, v7
	v_add_nc_u32_e32 v8, 16, v8
	;; [unrolled: 1-line block ×3, first 2 shown]
	s_delay_alu instid0(VALU_DEP_3) | instskip(SKIP_4) | instid1(VALU_DEP_2)
	v_cmp_lt_u32_e32 vcc_lo, 1, v7
	s_or_b32 s3, vcc_lo, s3
	s_waitcnt vmcnt(0) lgkmcnt(0)
	v_mul_f64 v[10:11], v[21:22], v[17:18]
	v_mul_f64 v[17:18], v[19:20], v[17:18]
	v_fma_f64 v[10:11], v[19:20], v[15:16], -v[10:11]
	s_delay_alu instid0(VALU_DEP_2) | instskip(NEXT) | instid1(VALU_DEP_2)
	v_fma_f64 v[15:16], v[21:22], v[15:16], v[17:18]
	v_add_f64 v[3:4], v[3:4], v[10:11]
	s_delay_alu instid0(VALU_DEP_2)
	v_add_f64 v[1:2], v[1:2], v[15:16]
	s_and_not1_b32 exec_lo, exec_lo, s3
	s_cbranch_execnz .LBB25_25
; %bb.26:
	s_or_b32 exec_lo, exec_lo, s3
	v_mov_b32_e32 v7, 0
	ds_load_b128 v[7:10], v7 offset:48
	s_waitcnt lgkmcnt(0)
	v_mul_f64 v[11:12], v[1:2], v[9:10]
	v_mul_f64 v[15:16], v[3:4], v[9:10]
	s_delay_alu instid0(VALU_DEP_2) | instskip(NEXT) | instid1(VALU_DEP_2)
	v_fma_f64 v[9:10], v[3:4], v[7:8], -v[11:12]
	v_fma_f64 v[11:12], v[1:2], v[7:8], v[15:16]
	scratch_store_b128 off, v[9:12], off offset:48
.LBB25_27:
	s_or_b32 exec_lo, exec_lo, s2
	s_waitcnt_vscnt null, 0x0
	s_barrier
	buffer_gl0_inv
	scratch_load_b128 v[1:4], v86, off
	s_mov_b32 s2, exec_lo
	s_waitcnt vmcnt(0)
	ds_store_b128 v5, v[1:4]
	s_waitcnt lgkmcnt(0)
	s_barrier
	buffer_gl0_inv
	v_cmpx_gt_u32_e32 4, v85
	s_cbranch_execz .LBB25_31
; %bb.28:
	v_dual_mov_b32 v1, 0 :: v_dual_add_nc_u32 v8, 0x1a0, v13
	v_dual_mov_b32 v2, 0 :: v_dual_add_nc_u32 v7, -1, v85
	v_or_b32_e32 v9, 8, v14
	s_mov_b32 s3, 0
	s_delay_alu instid0(VALU_DEP_2)
	v_dual_mov_b32 v4, v2 :: v_dual_mov_b32 v3, v1
	.p2align	6
.LBB25_29:                              ; =>This Inner Loop Header: Depth=1
	scratch_load_b128 v[15:18], v9, off offset:-8
	ds_load_b128 v[19:22], v8
	v_add_nc_u32_e32 v7, 1, v7
	v_add_nc_u32_e32 v8, 16, v8
	;; [unrolled: 1-line block ×3, first 2 shown]
	s_delay_alu instid0(VALU_DEP_3) | instskip(SKIP_4) | instid1(VALU_DEP_2)
	v_cmp_lt_u32_e32 vcc_lo, 2, v7
	s_or_b32 s3, vcc_lo, s3
	s_waitcnt vmcnt(0) lgkmcnt(0)
	v_mul_f64 v[10:11], v[21:22], v[17:18]
	v_mul_f64 v[17:18], v[19:20], v[17:18]
	v_fma_f64 v[10:11], v[19:20], v[15:16], -v[10:11]
	s_delay_alu instid0(VALU_DEP_2) | instskip(NEXT) | instid1(VALU_DEP_2)
	v_fma_f64 v[15:16], v[21:22], v[15:16], v[17:18]
	v_add_f64 v[3:4], v[3:4], v[10:11]
	s_delay_alu instid0(VALU_DEP_2)
	v_add_f64 v[1:2], v[1:2], v[15:16]
	s_and_not1_b32 exec_lo, exec_lo, s3
	s_cbranch_execnz .LBB25_29
; %bb.30:
	s_or_b32 exec_lo, exec_lo, s3
	v_mov_b32_e32 v7, 0
	ds_load_b128 v[7:10], v7 offset:64
	s_waitcnt lgkmcnt(0)
	v_mul_f64 v[11:12], v[1:2], v[9:10]
	v_mul_f64 v[15:16], v[3:4], v[9:10]
	s_delay_alu instid0(VALU_DEP_2) | instskip(NEXT) | instid1(VALU_DEP_2)
	v_fma_f64 v[9:10], v[3:4], v[7:8], -v[11:12]
	v_fma_f64 v[11:12], v[1:2], v[7:8], v[15:16]
	scratch_store_b128 off, v[9:12], off offset:64
.LBB25_31:
	s_or_b32 exec_lo, exec_lo, s2
	s_waitcnt_vscnt null, 0x0
	s_barrier
	buffer_gl0_inv
	scratch_load_b128 v[1:4], v104, off
	s_mov_b32 s2, exec_lo
	s_waitcnt vmcnt(0)
	ds_store_b128 v5, v[1:4]
	s_waitcnt lgkmcnt(0)
	s_barrier
	buffer_gl0_inv
	v_cmpx_gt_u32_e32 5, v85
	s_cbranch_execz .LBB25_35
; %bb.32:
	v_dual_mov_b32 v1, 0 :: v_dual_add_nc_u32 v8, 0x1a0, v13
	v_dual_mov_b32 v2, 0 :: v_dual_add_nc_u32 v7, -1, v85
	v_or_b32_e32 v9, 8, v14
	s_mov_b32 s3, 0
	s_delay_alu instid0(VALU_DEP_2)
	v_dual_mov_b32 v4, v2 :: v_dual_mov_b32 v3, v1
	.p2align	6
.LBB25_33:                              ; =>This Inner Loop Header: Depth=1
	scratch_load_b128 v[15:18], v9, off offset:-8
	ds_load_b128 v[19:22], v8
	v_add_nc_u32_e32 v7, 1, v7
	v_add_nc_u32_e32 v8, 16, v8
	v_add_nc_u32_e32 v9, 16, v9
	s_delay_alu instid0(VALU_DEP_3) | instskip(SKIP_4) | instid1(VALU_DEP_2)
	v_cmp_lt_u32_e32 vcc_lo, 3, v7
	s_or_b32 s3, vcc_lo, s3
	s_waitcnt vmcnt(0) lgkmcnt(0)
	v_mul_f64 v[10:11], v[21:22], v[17:18]
	v_mul_f64 v[17:18], v[19:20], v[17:18]
	v_fma_f64 v[10:11], v[19:20], v[15:16], -v[10:11]
	s_delay_alu instid0(VALU_DEP_2) | instskip(NEXT) | instid1(VALU_DEP_2)
	v_fma_f64 v[15:16], v[21:22], v[15:16], v[17:18]
	v_add_f64 v[3:4], v[3:4], v[10:11]
	s_delay_alu instid0(VALU_DEP_2)
	v_add_f64 v[1:2], v[1:2], v[15:16]
	s_and_not1_b32 exec_lo, exec_lo, s3
	s_cbranch_execnz .LBB25_33
; %bb.34:
	s_or_b32 exec_lo, exec_lo, s3
	v_mov_b32_e32 v7, 0
	ds_load_b128 v[7:10], v7 offset:80
	s_waitcnt lgkmcnt(0)
	v_mul_f64 v[11:12], v[1:2], v[9:10]
	v_mul_f64 v[15:16], v[3:4], v[9:10]
	s_delay_alu instid0(VALU_DEP_2) | instskip(NEXT) | instid1(VALU_DEP_2)
	v_fma_f64 v[9:10], v[3:4], v[7:8], -v[11:12]
	v_fma_f64 v[11:12], v[1:2], v[7:8], v[15:16]
	scratch_store_b128 off, v[9:12], off offset:80
.LBB25_35:
	s_or_b32 exec_lo, exec_lo, s2
	s_waitcnt_vscnt null, 0x0
	s_barrier
	buffer_gl0_inv
	scratch_load_b128 v[1:4], v102, off
	s_mov_b32 s2, exec_lo
	s_waitcnt vmcnt(0)
	ds_store_b128 v5, v[1:4]
	s_waitcnt lgkmcnt(0)
	s_barrier
	buffer_gl0_inv
	v_cmpx_gt_u32_e32 6, v85
	s_cbranch_execz .LBB25_39
; %bb.36:
	v_dual_mov_b32 v1, 0 :: v_dual_add_nc_u32 v8, 0x1a0, v13
	v_dual_mov_b32 v2, 0 :: v_dual_add_nc_u32 v7, -1, v85
	v_or_b32_e32 v9, 8, v14
	s_mov_b32 s3, 0
	s_delay_alu instid0(VALU_DEP_2)
	v_dual_mov_b32 v4, v2 :: v_dual_mov_b32 v3, v1
	.p2align	6
.LBB25_37:                              ; =>This Inner Loop Header: Depth=1
	scratch_load_b128 v[15:18], v9, off offset:-8
	ds_load_b128 v[19:22], v8
	v_add_nc_u32_e32 v7, 1, v7
	v_add_nc_u32_e32 v8, 16, v8
	;; [unrolled: 1-line block ×3, first 2 shown]
	s_delay_alu instid0(VALU_DEP_3) | instskip(SKIP_4) | instid1(VALU_DEP_2)
	v_cmp_lt_u32_e32 vcc_lo, 4, v7
	s_or_b32 s3, vcc_lo, s3
	s_waitcnt vmcnt(0) lgkmcnt(0)
	v_mul_f64 v[10:11], v[21:22], v[17:18]
	v_mul_f64 v[17:18], v[19:20], v[17:18]
	v_fma_f64 v[10:11], v[19:20], v[15:16], -v[10:11]
	s_delay_alu instid0(VALU_DEP_2) | instskip(NEXT) | instid1(VALU_DEP_2)
	v_fma_f64 v[15:16], v[21:22], v[15:16], v[17:18]
	v_add_f64 v[3:4], v[3:4], v[10:11]
	s_delay_alu instid0(VALU_DEP_2)
	v_add_f64 v[1:2], v[1:2], v[15:16]
	s_and_not1_b32 exec_lo, exec_lo, s3
	s_cbranch_execnz .LBB25_37
; %bb.38:
	s_or_b32 exec_lo, exec_lo, s3
	v_mov_b32_e32 v7, 0
	ds_load_b128 v[7:10], v7 offset:96
	s_waitcnt lgkmcnt(0)
	v_mul_f64 v[11:12], v[1:2], v[9:10]
	v_mul_f64 v[15:16], v[3:4], v[9:10]
	s_delay_alu instid0(VALU_DEP_2) | instskip(NEXT) | instid1(VALU_DEP_2)
	v_fma_f64 v[9:10], v[3:4], v[7:8], -v[11:12]
	v_fma_f64 v[11:12], v[1:2], v[7:8], v[15:16]
	scratch_store_b128 off, v[9:12], off offset:96
.LBB25_39:
	s_or_b32 exec_lo, exec_lo, s2
	s_waitcnt_vscnt null, 0x0
	s_barrier
	buffer_gl0_inv
	scratch_load_b128 v[1:4], v103, off
	s_mov_b32 s2, exec_lo
	s_waitcnt vmcnt(0)
	ds_store_b128 v5, v[1:4]
	s_waitcnt lgkmcnt(0)
	s_barrier
	buffer_gl0_inv
	v_cmpx_gt_u32_e32 7, v85
	s_cbranch_execz .LBB25_43
; %bb.40:
	v_dual_mov_b32 v1, 0 :: v_dual_add_nc_u32 v8, 0x1a0, v13
	v_dual_mov_b32 v2, 0 :: v_dual_add_nc_u32 v7, -1, v85
	v_or_b32_e32 v9, 8, v14
	s_mov_b32 s3, 0
	s_delay_alu instid0(VALU_DEP_2)
	v_dual_mov_b32 v4, v2 :: v_dual_mov_b32 v3, v1
	.p2align	6
.LBB25_41:                              ; =>This Inner Loop Header: Depth=1
	scratch_load_b128 v[15:18], v9, off offset:-8
	ds_load_b128 v[19:22], v8
	v_add_nc_u32_e32 v7, 1, v7
	v_add_nc_u32_e32 v8, 16, v8
	;; [unrolled: 1-line block ×3, first 2 shown]
	s_delay_alu instid0(VALU_DEP_3) | instskip(SKIP_4) | instid1(VALU_DEP_2)
	v_cmp_lt_u32_e32 vcc_lo, 5, v7
	s_or_b32 s3, vcc_lo, s3
	s_waitcnt vmcnt(0) lgkmcnt(0)
	v_mul_f64 v[10:11], v[21:22], v[17:18]
	v_mul_f64 v[17:18], v[19:20], v[17:18]
	v_fma_f64 v[10:11], v[19:20], v[15:16], -v[10:11]
	s_delay_alu instid0(VALU_DEP_2) | instskip(NEXT) | instid1(VALU_DEP_2)
	v_fma_f64 v[15:16], v[21:22], v[15:16], v[17:18]
	v_add_f64 v[3:4], v[3:4], v[10:11]
	s_delay_alu instid0(VALU_DEP_2)
	v_add_f64 v[1:2], v[1:2], v[15:16]
	s_and_not1_b32 exec_lo, exec_lo, s3
	s_cbranch_execnz .LBB25_41
; %bb.42:
	s_or_b32 exec_lo, exec_lo, s3
	v_mov_b32_e32 v7, 0
	ds_load_b128 v[7:10], v7 offset:112
	s_waitcnt lgkmcnt(0)
	v_mul_f64 v[11:12], v[1:2], v[9:10]
	v_mul_f64 v[15:16], v[3:4], v[9:10]
	s_delay_alu instid0(VALU_DEP_2) | instskip(NEXT) | instid1(VALU_DEP_2)
	v_fma_f64 v[9:10], v[3:4], v[7:8], -v[11:12]
	v_fma_f64 v[11:12], v[1:2], v[7:8], v[15:16]
	scratch_store_b128 off, v[9:12], off offset:112
.LBB25_43:
	s_or_b32 exec_lo, exec_lo, s2
	s_waitcnt_vscnt null, 0x0
	s_barrier
	buffer_gl0_inv
	scratch_load_b128 v[1:4], v101, off
	s_mov_b32 s2, exec_lo
	s_waitcnt vmcnt(0)
	ds_store_b128 v5, v[1:4]
	s_waitcnt lgkmcnt(0)
	s_barrier
	buffer_gl0_inv
	v_cmpx_gt_u32_e32 8, v85
	s_cbranch_execz .LBB25_47
; %bb.44:
	v_dual_mov_b32 v1, 0 :: v_dual_add_nc_u32 v8, 0x1a0, v13
	v_dual_mov_b32 v2, 0 :: v_dual_add_nc_u32 v7, -1, v85
	v_or_b32_e32 v9, 8, v14
	s_mov_b32 s3, 0
	s_delay_alu instid0(VALU_DEP_2)
	v_dual_mov_b32 v4, v2 :: v_dual_mov_b32 v3, v1
	.p2align	6
.LBB25_45:                              ; =>This Inner Loop Header: Depth=1
	scratch_load_b128 v[15:18], v9, off offset:-8
	ds_load_b128 v[19:22], v8
	v_add_nc_u32_e32 v7, 1, v7
	v_add_nc_u32_e32 v8, 16, v8
	;; [unrolled: 1-line block ×3, first 2 shown]
	s_delay_alu instid0(VALU_DEP_3) | instskip(SKIP_4) | instid1(VALU_DEP_2)
	v_cmp_lt_u32_e32 vcc_lo, 6, v7
	s_or_b32 s3, vcc_lo, s3
	s_waitcnt vmcnt(0) lgkmcnt(0)
	v_mul_f64 v[10:11], v[21:22], v[17:18]
	v_mul_f64 v[17:18], v[19:20], v[17:18]
	v_fma_f64 v[10:11], v[19:20], v[15:16], -v[10:11]
	s_delay_alu instid0(VALU_DEP_2) | instskip(NEXT) | instid1(VALU_DEP_2)
	v_fma_f64 v[15:16], v[21:22], v[15:16], v[17:18]
	v_add_f64 v[3:4], v[3:4], v[10:11]
	s_delay_alu instid0(VALU_DEP_2)
	v_add_f64 v[1:2], v[1:2], v[15:16]
	s_and_not1_b32 exec_lo, exec_lo, s3
	s_cbranch_execnz .LBB25_45
; %bb.46:
	s_or_b32 exec_lo, exec_lo, s3
	v_mov_b32_e32 v7, 0
	ds_load_b128 v[7:10], v7 offset:128
	s_waitcnt lgkmcnt(0)
	v_mul_f64 v[11:12], v[1:2], v[9:10]
	v_mul_f64 v[15:16], v[3:4], v[9:10]
	s_delay_alu instid0(VALU_DEP_2) | instskip(NEXT) | instid1(VALU_DEP_2)
	v_fma_f64 v[9:10], v[3:4], v[7:8], -v[11:12]
	v_fma_f64 v[11:12], v[1:2], v[7:8], v[15:16]
	scratch_store_b128 off, v[9:12], off offset:128
.LBB25_47:
	s_or_b32 exec_lo, exec_lo, s2
	s_waitcnt_vscnt null, 0x0
	s_barrier
	buffer_gl0_inv
	scratch_load_b128 v[1:4], v100, off
	s_mov_b32 s2, exec_lo
	s_waitcnt vmcnt(0)
	ds_store_b128 v5, v[1:4]
	s_waitcnt lgkmcnt(0)
	s_barrier
	buffer_gl0_inv
	v_cmpx_gt_u32_e32 9, v85
	s_cbranch_execz .LBB25_51
; %bb.48:
	v_dual_mov_b32 v1, 0 :: v_dual_add_nc_u32 v8, 0x1a0, v13
	v_dual_mov_b32 v2, 0 :: v_dual_add_nc_u32 v7, -1, v85
	v_or_b32_e32 v9, 8, v14
	s_mov_b32 s3, 0
	s_delay_alu instid0(VALU_DEP_2)
	v_dual_mov_b32 v4, v2 :: v_dual_mov_b32 v3, v1
	.p2align	6
.LBB25_49:                              ; =>This Inner Loop Header: Depth=1
	scratch_load_b128 v[15:18], v9, off offset:-8
	ds_load_b128 v[19:22], v8
	v_add_nc_u32_e32 v7, 1, v7
	v_add_nc_u32_e32 v8, 16, v8
	;; [unrolled: 1-line block ×3, first 2 shown]
	s_delay_alu instid0(VALU_DEP_3) | instskip(SKIP_4) | instid1(VALU_DEP_2)
	v_cmp_lt_u32_e32 vcc_lo, 7, v7
	s_or_b32 s3, vcc_lo, s3
	s_waitcnt vmcnt(0) lgkmcnt(0)
	v_mul_f64 v[10:11], v[21:22], v[17:18]
	v_mul_f64 v[17:18], v[19:20], v[17:18]
	v_fma_f64 v[10:11], v[19:20], v[15:16], -v[10:11]
	s_delay_alu instid0(VALU_DEP_2) | instskip(NEXT) | instid1(VALU_DEP_2)
	v_fma_f64 v[15:16], v[21:22], v[15:16], v[17:18]
	v_add_f64 v[3:4], v[3:4], v[10:11]
	s_delay_alu instid0(VALU_DEP_2)
	v_add_f64 v[1:2], v[1:2], v[15:16]
	s_and_not1_b32 exec_lo, exec_lo, s3
	s_cbranch_execnz .LBB25_49
; %bb.50:
	s_or_b32 exec_lo, exec_lo, s3
	v_mov_b32_e32 v7, 0
	ds_load_b128 v[7:10], v7 offset:144
	s_waitcnt lgkmcnt(0)
	v_mul_f64 v[11:12], v[1:2], v[9:10]
	v_mul_f64 v[15:16], v[3:4], v[9:10]
	s_delay_alu instid0(VALU_DEP_2) | instskip(NEXT) | instid1(VALU_DEP_2)
	v_fma_f64 v[9:10], v[3:4], v[7:8], -v[11:12]
	v_fma_f64 v[11:12], v[1:2], v[7:8], v[15:16]
	scratch_store_b128 off, v[9:12], off offset:144
.LBB25_51:
	s_or_b32 exec_lo, exec_lo, s2
	s_waitcnt_vscnt null, 0x0
	s_barrier
	buffer_gl0_inv
	scratch_load_b128 v[1:4], v98, off
	s_mov_b32 s2, exec_lo
	s_waitcnt vmcnt(0)
	ds_store_b128 v5, v[1:4]
	s_waitcnt lgkmcnt(0)
	s_barrier
	buffer_gl0_inv
	v_cmpx_gt_u32_e32 10, v85
	s_cbranch_execz .LBB25_55
; %bb.52:
	v_dual_mov_b32 v1, 0 :: v_dual_add_nc_u32 v8, 0x1a0, v13
	v_dual_mov_b32 v2, 0 :: v_dual_add_nc_u32 v7, -1, v85
	v_or_b32_e32 v9, 8, v14
	s_mov_b32 s3, 0
	s_delay_alu instid0(VALU_DEP_2)
	v_dual_mov_b32 v4, v2 :: v_dual_mov_b32 v3, v1
	.p2align	6
.LBB25_53:                              ; =>This Inner Loop Header: Depth=1
	scratch_load_b128 v[15:18], v9, off offset:-8
	ds_load_b128 v[19:22], v8
	v_add_nc_u32_e32 v7, 1, v7
	v_add_nc_u32_e32 v8, 16, v8
	;; [unrolled: 1-line block ×3, first 2 shown]
	s_delay_alu instid0(VALU_DEP_3) | instskip(SKIP_4) | instid1(VALU_DEP_2)
	v_cmp_lt_u32_e32 vcc_lo, 8, v7
	s_or_b32 s3, vcc_lo, s3
	s_waitcnt vmcnt(0) lgkmcnt(0)
	v_mul_f64 v[10:11], v[21:22], v[17:18]
	v_mul_f64 v[17:18], v[19:20], v[17:18]
	v_fma_f64 v[10:11], v[19:20], v[15:16], -v[10:11]
	s_delay_alu instid0(VALU_DEP_2) | instskip(NEXT) | instid1(VALU_DEP_2)
	v_fma_f64 v[15:16], v[21:22], v[15:16], v[17:18]
	v_add_f64 v[3:4], v[3:4], v[10:11]
	s_delay_alu instid0(VALU_DEP_2)
	v_add_f64 v[1:2], v[1:2], v[15:16]
	s_and_not1_b32 exec_lo, exec_lo, s3
	s_cbranch_execnz .LBB25_53
; %bb.54:
	s_or_b32 exec_lo, exec_lo, s3
	v_mov_b32_e32 v7, 0
	ds_load_b128 v[7:10], v7 offset:160
	s_waitcnt lgkmcnt(0)
	v_mul_f64 v[11:12], v[1:2], v[9:10]
	v_mul_f64 v[15:16], v[3:4], v[9:10]
	s_delay_alu instid0(VALU_DEP_2) | instskip(NEXT) | instid1(VALU_DEP_2)
	v_fma_f64 v[9:10], v[3:4], v[7:8], -v[11:12]
	v_fma_f64 v[11:12], v[1:2], v[7:8], v[15:16]
	scratch_store_b128 off, v[9:12], off offset:160
.LBB25_55:
	s_or_b32 exec_lo, exec_lo, s2
	s_waitcnt_vscnt null, 0x0
	s_barrier
	buffer_gl0_inv
	scratch_load_b128 v[1:4], v99, off
	s_mov_b32 s2, exec_lo
	s_waitcnt vmcnt(0)
	ds_store_b128 v5, v[1:4]
	s_waitcnt lgkmcnt(0)
	s_barrier
	buffer_gl0_inv
	v_cmpx_gt_u32_e32 11, v85
	s_cbranch_execz .LBB25_59
; %bb.56:
	v_dual_mov_b32 v1, 0 :: v_dual_add_nc_u32 v8, 0x1a0, v13
	v_dual_mov_b32 v2, 0 :: v_dual_add_nc_u32 v7, -1, v85
	v_or_b32_e32 v9, 8, v14
	s_mov_b32 s3, 0
	s_delay_alu instid0(VALU_DEP_2)
	v_dual_mov_b32 v4, v2 :: v_dual_mov_b32 v3, v1
	.p2align	6
.LBB25_57:                              ; =>This Inner Loop Header: Depth=1
	scratch_load_b128 v[15:18], v9, off offset:-8
	ds_load_b128 v[19:22], v8
	v_add_nc_u32_e32 v7, 1, v7
	v_add_nc_u32_e32 v8, 16, v8
	;; [unrolled: 1-line block ×3, first 2 shown]
	s_delay_alu instid0(VALU_DEP_3) | instskip(SKIP_4) | instid1(VALU_DEP_2)
	v_cmp_lt_u32_e32 vcc_lo, 9, v7
	s_or_b32 s3, vcc_lo, s3
	s_waitcnt vmcnt(0) lgkmcnt(0)
	v_mul_f64 v[10:11], v[21:22], v[17:18]
	v_mul_f64 v[17:18], v[19:20], v[17:18]
	v_fma_f64 v[10:11], v[19:20], v[15:16], -v[10:11]
	s_delay_alu instid0(VALU_DEP_2) | instskip(NEXT) | instid1(VALU_DEP_2)
	v_fma_f64 v[15:16], v[21:22], v[15:16], v[17:18]
	v_add_f64 v[3:4], v[3:4], v[10:11]
	s_delay_alu instid0(VALU_DEP_2)
	v_add_f64 v[1:2], v[1:2], v[15:16]
	s_and_not1_b32 exec_lo, exec_lo, s3
	s_cbranch_execnz .LBB25_57
; %bb.58:
	s_or_b32 exec_lo, exec_lo, s3
	v_mov_b32_e32 v7, 0
	ds_load_b128 v[7:10], v7 offset:176
	s_waitcnt lgkmcnt(0)
	v_mul_f64 v[11:12], v[1:2], v[9:10]
	v_mul_f64 v[15:16], v[3:4], v[9:10]
	s_delay_alu instid0(VALU_DEP_2) | instskip(NEXT) | instid1(VALU_DEP_2)
	v_fma_f64 v[9:10], v[3:4], v[7:8], -v[11:12]
	v_fma_f64 v[11:12], v[1:2], v[7:8], v[15:16]
	scratch_store_b128 off, v[9:12], off offset:176
.LBB25_59:
	s_or_b32 exec_lo, exec_lo, s2
	s_waitcnt_vscnt null, 0x0
	s_barrier
	buffer_gl0_inv
	scratch_load_b128 v[1:4], v110, off
	s_mov_b32 s2, exec_lo
	s_waitcnt vmcnt(0)
	ds_store_b128 v5, v[1:4]
	s_waitcnt lgkmcnt(0)
	s_barrier
	buffer_gl0_inv
	v_cmpx_gt_u32_e32 12, v85
	s_cbranch_execz .LBB25_63
; %bb.60:
	v_dual_mov_b32 v1, 0 :: v_dual_add_nc_u32 v8, 0x1a0, v13
	v_dual_mov_b32 v2, 0 :: v_dual_add_nc_u32 v7, -1, v85
	v_or_b32_e32 v9, 8, v14
	s_mov_b32 s3, 0
	s_delay_alu instid0(VALU_DEP_2)
	v_dual_mov_b32 v4, v2 :: v_dual_mov_b32 v3, v1
	.p2align	6
.LBB25_61:                              ; =>This Inner Loop Header: Depth=1
	scratch_load_b128 v[15:18], v9, off offset:-8
	ds_load_b128 v[19:22], v8
	v_add_nc_u32_e32 v7, 1, v7
	v_add_nc_u32_e32 v8, 16, v8
	;; [unrolled: 1-line block ×3, first 2 shown]
	s_delay_alu instid0(VALU_DEP_3) | instskip(SKIP_4) | instid1(VALU_DEP_2)
	v_cmp_lt_u32_e32 vcc_lo, 10, v7
	s_or_b32 s3, vcc_lo, s3
	s_waitcnt vmcnt(0) lgkmcnt(0)
	v_mul_f64 v[10:11], v[21:22], v[17:18]
	v_mul_f64 v[17:18], v[19:20], v[17:18]
	v_fma_f64 v[10:11], v[19:20], v[15:16], -v[10:11]
	s_delay_alu instid0(VALU_DEP_2) | instskip(NEXT) | instid1(VALU_DEP_2)
	v_fma_f64 v[15:16], v[21:22], v[15:16], v[17:18]
	v_add_f64 v[3:4], v[3:4], v[10:11]
	s_delay_alu instid0(VALU_DEP_2)
	v_add_f64 v[1:2], v[1:2], v[15:16]
	s_and_not1_b32 exec_lo, exec_lo, s3
	s_cbranch_execnz .LBB25_61
; %bb.62:
	s_or_b32 exec_lo, exec_lo, s3
	v_mov_b32_e32 v7, 0
	ds_load_b128 v[7:10], v7 offset:192
	s_waitcnt lgkmcnt(0)
	v_mul_f64 v[11:12], v[1:2], v[9:10]
	v_mul_f64 v[15:16], v[3:4], v[9:10]
	s_delay_alu instid0(VALU_DEP_2) | instskip(NEXT) | instid1(VALU_DEP_2)
	v_fma_f64 v[9:10], v[3:4], v[7:8], -v[11:12]
	v_fma_f64 v[11:12], v[1:2], v[7:8], v[15:16]
	scratch_store_b128 off, v[9:12], off offset:192
.LBB25_63:
	s_or_b32 exec_lo, exec_lo, s2
	s_waitcnt_vscnt null, 0x0
	s_barrier
	buffer_gl0_inv
	scratch_load_b128 v[1:4], v109, off
	s_mov_b32 s2, exec_lo
	s_waitcnt vmcnt(0)
	ds_store_b128 v5, v[1:4]
	s_waitcnt lgkmcnt(0)
	s_barrier
	buffer_gl0_inv
	v_cmpx_gt_u32_e32 13, v85
	s_cbranch_execz .LBB25_67
; %bb.64:
	v_dual_mov_b32 v1, 0 :: v_dual_add_nc_u32 v8, 0x1a0, v13
	v_dual_mov_b32 v2, 0 :: v_dual_add_nc_u32 v7, -1, v85
	v_or_b32_e32 v9, 8, v14
	s_mov_b32 s3, 0
	s_delay_alu instid0(VALU_DEP_2)
	v_dual_mov_b32 v4, v2 :: v_dual_mov_b32 v3, v1
	.p2align	6
.LBB25_65:                              ; =>This Inner Loop Header: Depth=1
	scratch_load_b128 v[15:18], v9, off offset:-8
	ds_load_b128 v[19:22], v8
	v_add_nc_u32_e32 v7, 1, v7
	v_add_nc_u32_e32 v8, 16, v8
	;; [unrolled: 1-line block ×3, first 2 shown]
	s_delay_alu instid0(VALU_DEP_3) | instskip(SKIP_4) | instid1(VALU_DEP_2)
	v_cmp_lt_u32_e32 vcc_lo, 11, v7
	s_or_b32 s3, vcc_lo, s3
	s_waitcnt vmcnt(0) lgkmcnt(0)
	v_mul_f64 v[10:11], v[21:22], v[17:18]
	v_mul_f64 v[17:18], v[19:20], v[17:18]
	v_fma_f64 v[10:11], v[19:20], v[15:16], -v[10:11]
	s_delay_alu instid0(VALU_DEP_2) | instskip(NEXT) | instid1(VALU_DEP_2)
	v_fma_f64 v[15:16], v[21:22], v[15:16], v[17:18]
	v_add_f64 v[3:4], v[3:4], v[10:11]
	s_delay_alu instid0(VALU_DEP_2)
	v_add_f64 v[1:2], v[1:2], v[15:16]
	s_and_not1_b32 exec_lo, exec_lo, s3
	s_cbranch_execnz .LBB25_65
; %bb.66:
	s_or_b32 exec_lo, exec_lo, s3
	v_mov_b32_e32 v7, 0
	ds_load_b128 v[7:10], v7 offset:208
	s_waitcnt lgkmcnt(0)
	v_mul_f64 v[11:12], v[1:2], v[9:10]
	v_mul_f64 v[15:16], v[3:4], v[9:10]
	s_delay_alu instid0(VALU_DEP_2) | instskip(NEXT) | instid1(VALU_DEP_2)
	v_fma_f64 v[9:10], v[3:4], v[7:8], -v[11:12]
	v_fma_f64 v[11:12], v[1:2], v[7:8], v[15:16]
	scratch_store_b128 off, v[9:12], off offset:208
.LBB25_67:
	s_or_b32 exec_lo, exec_lo, s2
	s_waitcnt_vscnt null, 0x0
	s_barrier
	buffer_gl0_inv
	scratch_load_b128 v[1:4], v108, off
	s_mov_b32 s2, exec_lo
	s_waitcnt vmcnt(0)
	ds_store_b128 v5, v[1:4]
	s_waitcnt lgkmcnt(0)
	s_barrier
	buffer_gl0_inv
	v_cmpx_gt_u32_e32 14, v85
	s_cbranch_execz .LBB25_71
; %bb.68:
	v_dual_mov_b32 v1, 0 :: v_dual_add_nc_u32 v8, 0x1a0, v13
	v_dual_mov_b32 v2, 0 :: v_dual_add_nc_u32 v7, -1, v85
	v_or_b32_e32 v9, 8, v14
	s_mov_b32 s3, 0
	s_delay_alu instid0(VALU_DEP_2)
	v_dual_mov_b32 v4, v2 :: v_dual_mov_b32 v3, v1
	.p2align	6
.LBB25_69:                              ; =>This Inner Loop Header: Depth=1
	scratch_load_b128 v[15:18], v9, off offset:-8
	ds_load_b128 v[19:22], v8
	v_add_nc_u32_e32 v7, 1, v7
	v_add_nc_u32_e32 v8, 16, v8
	;; [unrolled: 1-line block ×3, first 2 shown]
	s_delay_alu instid0(VALU_DEP_3) | instskip(SKIP_4) | instid1(VALU_DEP_2)
	v_cmp_lt_u32_e32 vcc_lo, 12, v7
	s_or_b32 s3, vcc_lo, s3
	s_waitcnt vmcnt(0) lgkmcnt(0)
	v_mul_f64 v[10:11], v[21:22], v[17:18]
	v_mul_f64 v[17:18], v[19:20], v[17:18]
	v_fma_f64 v[10:11], v[19:20], v[15:16], -v[10:11]
	s_delay_alu instid0(VALU_DEP_2) | instskip(NEXT) | instid1(VALU_DEP_2)
	v_fma_f64 v[15:16], v[21:22], v[15:16], v[17:18]
	v_add_f64 v[3:4], v[3:4], v[10:11]
	s_delay_alu instid0(VALU_DEP_2)
	v_add_f64 v[1:2], v[1:2], v[15:16]
	s_and_not1_b32 exec_lo, exec_lo, s3
	s_cbranch_execnz .LBB25_69
; %bb.70:
	s_or_b32 exec_lo, exec_lo, s3
	v_mov_b32_e32 v7, 0
	ds_load_b128 v[7:10], v7 offset:224
	s_waitcnt lgkmcnt(0)
	v_mul_f64 v[11:12], v[1:2], v[9:10]
	v_mul_f64 v[15:16], v[3:4], v[9:10]
	s_delay_alu instid0(VALU_DEP_2) | instskip(NEXT) | instid1(VALU_DEP_2)
	v_fma_f64 v[9:10], v[3:4], v[7:8], -v[11:12]
	v_fma_f64 v[11:12], v[1:2], v[7:8], v[15:16]
	scratch_store_b128 off, v[9:12], off offset:224
.LBB25_71:
	s_or_b32 exec_lo, exec_lo, s2
	s_waitcnt_vscnt null, 0x0
	s_barrier
	buffer_gl0_inv
	scratch_load_b128 v[1:4], v107, off
	s_mov_b32 s2, exec_lo
	s_waitcnt vmcnt(0)
	ds_store_b128 v5, v[1:4]
	s_waitcnt lgkmcnt(0)
	s_barrier
	buffer_gl0_inv
	v_cmpx_gt_u32_e32 15, v85
	s_cbranch_execz .LBB25_75
; %bb.72:
	v_dual_mov_b32 v1, 0 :: v_dual_add_nc_u32 v8, 0x1a0, v13
	v_dual_mov_b32 v2, 0 :: v_dual_add_nc_u32 v7, -1, v85
	v_or_b32_e32 v9, 8, v14
	s_mov_b32 s3, 0
	s_delay_alu instid0(VALU_DEP_2)
	v_dual_mov_b32 v4, v2 :: v_dual_mov_b32 v3, v1
	.p2align	6
.LBB25_73:                              ; =>This Inner Loop Header: Depth=1
	scratch_load_b128 v[15:18], v9, off offset:-8
	ds_load_b128 v[19:22], v8
	v_add_nc_u32_e32 v7, 1, v7
	v_add_nc_u32_e32 v8, 16, v8
	;; [unrolled: 1-line block ×3, first 2 shown]
	s_delay_alu instid0(VALU_DEP_3) | instskip(SKIP_4) | instid1(VALU_DEP_2)
	v_cmp_lt_u32_e32 vcc_lo, 13, v7
	s_or_b32 s3, vcc_lo, s3
	s_waitcnt vmcnt(0) lgkmcnt(0)
	v_mul_f64 v[10:11], v[21:22], v[17:18]
	v_mul_f64 v[17:18], v[19:20], v[17:18]
	v_fma_f64 v[10:11], v[19:20], v[15:16], -v[10:11]
	s_delay_alu instid0(VALU_DEP_2) | instskip(NEXT) | instid1(VALU_DEP_2)
	v_fma_f64 v[15:16], v[21:22], v[15:16], v[17:18]
	v_add_f64 v[3:4], v[3:4], v[10:11]
	s_delay_alu instid0(VALU_DEP_2)
	v_add_f64 v[1:2], v[1:2], v[15:16]
	s_and_not1_b32 exec_lo, exec_lo, s3
	s_cbranch_execnz .LBB25_73
; %bb.74:
	s_or_b32 exec_lo, exec_lo, s3
	v_mov_b32_e32 v7, 0
	ds_load_b128 v[7:10], v7 offset:240
	s_waitcnt lgkmcnt(0)
	v_mul_f64 v[11:12], v[1:2], v[9:10]
	v_mul_f64 v[15:16], v[3:4], v[9:10]
	s_delay_alu instid0(VALU_DEP_2) | instskip(NEXT) | instid1(VALU_DEP_2)
	v_fma_f64 v[9:10], v[3:4], v[7:8], -v[11:12]
	v_fma_f64 v[11:12], v[1:2], v[7:8], v[15:16]
	scratch_store_b128 off, v[9:12], off offset:240
.LBB25_75:
	s_or_b32 exec_lo, exec_lo, s2
	s_waitcnt_vscnt null, 0x0
	s_barrier
	buffer_gl0_inv
	scratch_load_b128 v[1:4], v105, off
	s_mov_b32 s2, exec_lo
	s_waitcnt vmcnt(0)
	ds_store_b128 v5, v[1:4]
	s_waitcnt lgkmcnt(0)
	s_barrier
	buffer_gl0_inv
	v_cmpx_gt_u32_e32 16, v85
	s_cbranch_execz .LBB25_79
; %bb.76:
	v_dual_mov_b32 v1, 0 :: v_dual_add_nc_u32 v8, 0x1a0, v13
	v_dual_mov_b32 v2, 0 :: v_dual_add_nc_u32 v7, -1, v85
	v_or_b32_e32 v9, 8, v14
	s_mov_b32 s3, 0
	s_delay_alu instid0(VALU_DEP_2)
	v_dual_mov_b32 v4, v2 :: v_dual_mov_b32 v3, v1
	.p2align	6
.LBB25_77:                              ; =>This Inner Loop Header: Depth=1
	scratch_load_b128 v[15:18], v9, off offset:-8
	ds_load_b128 v[19:22], v8
	v_add_nc_u32_e32 v7, 1, v7
	v_add_nc_u32_e32 v8, 16, v8
	;; [unrolled: 1-line block ×3, first 2 shown]
	s_delay_alu instid0(VALU_DEP_3) | instskip(SKIP_4) | instid1(VALU_DEP_2)
	v_cmp_lt_u32_e32 vcc_lo, 14, v7
	s_or_b32 s3, vcc_lo, s3
	s_waitcnt vmcnt(0) lgkmcnt(0)
	v_mul_f64 v[10:11], v[21:22], v[17:18]
	v_mul_f64 v[17:18], v[19:20], v[17:18]
	v_fma_f64 v[10:11], v[19:20], v[15:16], -v[10:11]
	s_delay_alu instid0(VALU_DEP_2) | instskip(NEXT) | instid1(VALU_DEP_2)
	v_fma_f64 v[15:16], v[21:22], v[15:16], v[17:18]
	v_add_f64 v[3:4], v[3:4], v[10:11]
	s_delay_alu instid0(VALU_DEP_2)
	v_add_f64 v[1:2], v[1:2], v[15:16]
	s_and_not1_b32 exec_lo, exec_lo, s3
	s_cbranch_execnz .LBB25_77
; %bb.78:
	s_or_b32 exec_lo, exec_lo, s3
	v_mov_b32_e32 v7, 0
	ds_load_b128 v[7:10], v7 offset:256
	s_waitcnt lgkmcnt(0)
	v_mul_f64 v[11:12], v[1:2], v[9:10]
	v_mul_f64 v[15:16], v[3:4], v[9:10]
	s_delay_alu instid0(VALU_DEP_2) | instskip(NEXT) | instid1(VALU_DEP_2)
	v_fma_f64 v[9:10], v[3:4], v[7:8], -v[11:12]
	v_fma_f64 v[11:12], v[1:2], v[7:8], v[15:16]
	scratch_store_b128 off, v[9:12], off offset:256
.LBB25_79:
	s_or_b32 exec_lo, exec_lo, s2
	s_waitcnt_vscnt null, 0x0
	s_barrier
	buffer_gl0_inv
	scratch_load_b128 v[1:4], v106, off
	s_mov_b32 s2, exec_lo
	s_waitcnt vmcnt(0)
	ds_store_b128 v5, v[1:4]
	s_waitcnt lgkmcnt(0)
	s_barrier
	buffer_gl0_inv
	v_cmpx_gt_u32_e32 17, v85
	s_cbranch_execz .LBB25_83
; %bb.80:
	v_dual_mov_b32 v1, 0 :: v_dual_add_nc_u32 v8, 0x1a0, v13
	v_dual_mov_b32 v2, 0 :: v_dual_add_nc_u32 v7, -1, v85
	v_or_b32_e32 v9, 8, v14
	s_mov_b32 s3, 0
	s_delay_alu instid0(VALU_DEP_2)
	v_dual_mov_b32 v4, v2 :: v_dual_mov_b32 v3, v1
	.p2align	6
.LBB25_81:                              ; =>This Inner Loop Header: Depth=1
	scratch_load_b128 v[15:18], v9, off offset:-8
	ds_load_b128 v[19:22], v8
	v_add_nc_u32_e32 v7, 1, v7
	v_add_nc_u32_e32 v8, 16, v8
	;; [unrolled: 1-line block ×3, first 2 shown]
	s_delay_alu instid0(VALU_DEP_3) | instskip(SKIP_4) | instid1(VALU_DEP_2)
	v_cmp_lt_u32_e32 vcc_lo, 15, v7
	s_or_b32 s3, vcc_lo, s3
	s_waitcnt vmcnt(0) lgkmcnt(0)
	v_mul_f64 v[10:11], v[21:22], v[17:18]
	v_mul_f64 v[17:18], v[19:20], v[17:18]
	v_fma_f64 v[10:11], v[19:20], v[15:16], -v[10:11]
	s_delay_alu instid0(VALU_DEP_2) | instskip(NEXT) | instid1(VALU_DEP_2)
	v_fma_f64 v[15:16], v[21:22], v[15:16], v[17:18]
	v_add_f64 v[3:4], v[3:4], v[10:11]
	s_delay_alu instid0(VALU_DEP_2)
	v_add_f64 v[1:2], v[1:2], v[15:16]
	s_and_not1_b32 exec_lo, exec_lo, s3
	s_cbranch_execnz .LBB25_81
; %bb.82:
	s_or_b32 exec_lo, exec_lo, s3
	v_mov_b32_e32 v7, 0
	ds_load_b128 v[7:10], v7 offset:272
	s_waitcnt lgkmcnt(0)
	v_mul_f64 v[11:12], v[1:2], v[9:10]
	v_mul_f64 v[15:16], v[3:4], v[9:10]
	s_delay_alu instid0(VALU_DEP_2) | instskip(NEXT) | instid1(VALU_DEP_2)
	v_fma_f64 v[9:10], v[3:4], v[7:8], -v[11:12]
	v_fma_f64 v[11:12], v[1:2], v[7:8], v[15:16]
	scratch_store_b128 off, v[9:12], off offset:272
.LBB25_83:
	s_or_b32 exec_lo, exec_lo, s2
	s_waitcnt_vscnt null, 0x0
	s_barrier
	buffer_gl0_inv
	scratch_load_b128 v[1:4], v88, off
	s_mov_b32 s2, exec_lo
	s_waitcnt vmcnt(0)
	ds_store_b128 v5, v[1:4]
	s_waitcnt lgkmcnt(0)
	s_barrier
	buffer_gl0_inv
	v_cmpx_gt_u32_e32 18, v85
	s_cbranch_execz .LBB25_87
; %bb.84:
	v_dual_mov_b32 v1, 0 :: v_dual_add_nc_u32 v8, 0x1a0, v13
	v_dual_mov_b32 v2, 0 :: v_dual_add_nc_u32 v7, -1, v85
	v_or_b32_e32 v9, 8, v14
	s_mov_b32 s3, 0
	s_delay_alu instid0(VALU_DEP_2)
	v_dual_mov_b32 v4, v2 :: v_dual_mov_b32 v3, v1
	.p2align	6
.LBB25_85:                              ; =>This Inner Loop Header: Depth=1
	scratch_load_b128 v[15:18], v9, off offset:-8
	ds_load_b128 v[19:22], v8
	v_add_nc_u32_e32 v7, 1, v7
	v_add_nc_u32_e32 v8, 16, v8
	;; [unrolled: 1-line block ×3, first 2 shown]
	s_delay_alu instid0(VALU_DEP_3) | instskip(SKIP_4) | instid1(VALU_DEP_2)
	v_cmp_lt_u32_e32 vcc_lo, 16, v7
	s_or_b32 s3, vcc_lo, s3
	s_waitcnt vmcnt(0) lgkmcnt(0)
	v_mul_f64 v[10:11], v[21:22], v[17:18]
	v_mul_f64 v[17:18], v[19:20], v[17:18]
	v_fma_f64 v[10:11], v[19:20], v[15:16], -v[10:11]
	s_delay_alu instid0(VALU_DEP_2) | instskip(NEXT) | instid1(VALU_DEP_2)
	v_fma_f64 v[15:16], v[21:22], v[15:16], v[17:18]
	v_add_f64 v[3:4], v[3:4], v[10:11]
	s_delay_alu instid0(VALU_DEP_2)
	v_add_f64 v[1:2], v[1:2], v[15:16]
	s_and_not1_b32 exec_lo, exec_lo, s3
	s_cbranch_execnz .LBB25_85
; %bb.86:
	s_or_b32 exec_lo, exec_lo, s3
	v_mov_b32_e32 v7, 0
	ds_load_b128 v[7:10], v7 offset:288
	s_waitcnt lgkmcnt(0)
	v_mul_f64 v[11:12], v[1:2], v[9:10]
	v_mul_f64 v[15:16], v[3:4], v[9:10]
	s_delay_alu instid0(VALU_DEP_2) | instskip(NEXT) | instid1(VALU_DEP_2)
	v_fma_f64 v[9:10], v[3:4], v[7:8], -v[11:12]
	v_fma_f64 v[11:12], v[1:2], v[7:8], v[15:16]
	scratch_store_b128 off, v[9:12], off offset:288
.LBB25_87:
	s_or_b32 exec_lo, exec_lo, s2
	s_waitcnt_vscnt null, 0x0
	s_barrier
	buffer_gl0_inv
	scratch_load_b128 v[1:4], v94, off
	s_mov_b32 s2, exec_lo
	s_waitcnt vmcnt(0)
	ds_store_b128 v5, v[1:4]
	s_waitcnt lgkmcnt(0)
	s_barrier
	buffer_gl0_inv
	v_cmpx_gt_u32_e32 19, v85
	s_cbranch_execz .LBB25_91
; %bb.88:
	v_dual_mov_b32 v1, 0 :: v_dual_add_nc_u32 v8, 0x1a0, v13
	v_dual_mov_b32 v2, 0 :: v_dual_add_nc_u32 v7, -1, v85
	v_or_b32_e32 v9, 8, v14
	s_mov_b32 s3, 0
	s_delay_alu instid0(VALU_DEP_2)
	v_dual_mov_b32 v4, v2 :: v_dual_mov_b32 v3, v1
	.p2align	6
.LBB25_89:                              ; =>This Inner Loop Header: Depth=1
	scratch_load_b128 v[15:18], v9, off offset:-8
	ds_load_b128 v[19:22], v8
	v_add_nc_u32_e32 v7, 1, v7
	v_add_nc_u32_e32 v8, 16, v8
	v_add_nc_u32_e32 v9, 16, v9
	s_delay_alu instid0(VALU_DEP_3) | instskip(SKIP_4) | instid1(VALU_DEP_2)
	v_cmp_lt_u32_e32 vcc_lo, 17, v7
	s_or_b32 s3, vcc_lo, s3
	s_waitcnt vmcnt(0) lgkmcnt(0)
	v_mul_f64 v[10:11], v[21:22], v[17:18]
	v_mul_f64 v[17:18], v[19:20], v[17:18]
	v_fma_f64 v[10:11], v[19:20], v[15:16], -v[10:11]
	s_delay_alu instid0(VALU_DEP_2) | instskip(NEXT) | instid1(VALU_DEP_2)
	v_fma_f64 v[15:16], v[21:22], v[15:16], v[17:18]
	v_add_f64 v[3:4], v[3:4], v[10:11]
	s_delay_alu instid0(VALU_DEP_2)
	v_add_f64 v[1:2], v[1:2], v[15:16]
	s_and_not1_b32 exec_lo, exec_lo, s3
	s_cbranch_execnz .LBB25_89
; %bb.90:
	s_or_b32 exec_lo, exec_lo, s3
	v_mov_b32_e32 v7, 0
	ds_load_b128 v[7:10], v7 offset:304
	s_waitcnt lgkmcnt(0)
	v_mul_f64 v[11:12], v[1:2], v[9:10]
	v_mul_f64 v[15:16], v[3:4], v[9:10]
	s_delay_alu instid0(VALU_DEP_2) | instskip(NEXT) | instid1(VALU_DEP_2)
	v_fma_f64 v[9:10], v[3:4], v[7:8], -v[11:12]
	v_fma_f64 v[11:12], v[1:2], v[7:8], v[15:16]
	scratch_store_b128 off, v[9:12], off offset:304
.LBB25_91:
	s_or_b32 exec_lo, exec_lo, s2
	s_waitcnt_vscnt null, 0x0
	s_barrier
	buffer_gl0_inv
	scratch_load_b128 v[1:4], v91, off
	s_mov_b32 s2, exec_lo
	s_waitcnt vmcnt(0)
	ds_store_b128 v5, v[1:4]
	s_waitcnt lgkmcnt(0)
	s_barrier
	buffer_gl0_inv
	v_cmpx_gt_u32_e32 20, v85
	s_cbranch_execz .LBB25_95
; %bb.92:
	v_dual_mov_b32 v1, 0 :: v_dual_add_nc_u32 v8, 0x1a0, v13
	v_dual_mov_b32 v2, 0 :: v_dual_add_nc_u32 v7, -1, v85
	v_or_b32_e32 v9, 8, v14
	s_mov_b32 s3, 0
	s_delay_alu instid0(VALU_DEP_2)
	v_dual_mov_b32 v4, v2 :: v_dual_mov_b32 v3, v1
	.p2align	6
.LBB25_93:                              ; =>This Inner Loop Header: Depth=1
	scratch_load_b128 v[15:18], v9, off offset:-8
	ds_load_b128 v[19:22], v8
	v_add_nc_u32_e32 v7, 1, v7
	v_add_nc_u32_e32 v8, 16, v8
	;; [unrolled: 1-line block ×3, first 2 shown]
	s_delay_alu instid0(VALU_DEP_3) | instskip(SKIP_4) | instid1(VALU_DEP_2)
	v_cmp_lt_u32_e32 vcc_lo, 18, v7
	s_or_b32 s3, vcc_lo, s3
	s_waitcnt vmcnt(0) lgkmcnt(0)
	v_mul_f64 v[10:11], v[21:22], v[17:18]
	v_mul_f64 v[17:18], v[19:20], v[17:18]
	v_fma_f64 v[10:11], v[19:20], v[15:16], -v[10:11]
	s_delay_alu instid0(VALU_DEP_2) | instskip(NEXT) | instid1(VALU_DEP_2)
	v_fma_f64 v[15:16], v[21:22], v[15:16], v[17:18]
	v_add_f64 v[3:4], v[3:4], v[10:11]
	s_delay_alu instid0(VALU_DEP_2)
	v_add_f64 v[1:2], v[1:2], v[15:16]
	s_and_not1_b32 exec_lo, exec_lo, s3
	s_cbranch_execnz .LBB25_93
; %bb.94:
	s_or_b32 exec_lo, exec_lo, s3
	v_mov_b32_e32 v7, 0
	ds_load_b128 v[7:10], v7 offset:320
	s_waitcnt lgkmcnt(0)
	v_mul_f64 v[11:12], v[1:2], v[9:10]
	v_mul_f64 v[15:16], v[3:4], v[9:10]
	s_delay_alu instid0(VALU_DEP_2) | instskip(NEXT) | instid1(VALU_DEP_2)
	v_fma_f64 v[9:10], v[3:4], v[7:8], -v[11:12]
	v_fma_f64 v[11:12], v[1:2], v[7:8], v[15:16]
	scratch_store_b128 off, v[9:12], off offset:320
.LBB25_95:
	s_or_b32 exec_lo, exec_lo, s2
	s_waitcnt_vscnt null, 0x0
	s_barrier
	buffer_gl0_inv
	scratch_load_b128 v[1:4], v93, off
	s_mov_b32 s2, exec_lo
	s_waitcnt vmcnt(0)
	ds_store_b128 v5, v[1:4]
	s_waitcnt lgkmcnt(0)
	s_barrier
	buffer_gl0_inv
	v_cmpx_gt_u32_e32 21, v85
	s_cbranch_execz .LBB25_99
; %bb.96:
	v_dual_mov_b32 v1, 0 :: v_dual_add_nc_u32 v8, 0x1a0, v13
	v_dual_mov_b32 v2, 0 :: v_dual_add_nc_u32 v7, -1, v85
	v_or_b32_e32 v9, 8, v14
	s_mov_b32 s3, 0
	s_delay_alu instid0(VALU_DEP_2)
	v_dual_mov_b32 v4, v2 :: v_dual_mov_b32 v3, v1
	.p2align	6
.LBB25_97:                              ; =>This Inner Loop Header: Depth=1
	scratch_load_b128 v[15:18], v9, off offset:-8
	ds_load_b128 v[19:22], v8
	v_add_nc_u32_e32 v7, 1, v7
	v_add_nc_u32_e32 v8, 16, v8
	;; [unrolled: 1-line block ×3, first 2 shown]
	s_delay_alu instid0(VALU_DEP_3) | instskip(SKIP_4) | instid1(VALU_DEP_2)
	v_cmp_lt_u32_e32 vcc_lo, 19, v7
	s_or_b32 s3, vcc_lo, s3
	s_waitcnt vmcnt(0) lgkmcnt(0)
	v_mul_f64 v[10:11], v[21:22], v[17:18]
	v_mul_f64 v[17:18], v[19:20], v[17:18]
	v_fma_f64 v[10:11], v[19:20], v[15:16], -v[10:11]
	s_delay_alu instid0(VALU_DEP_2) | instskip(NEXT) | instid1(VALU_DEP_2)
	v_fma_f64 v[15:16], v[21:22], v[15:16], v[17:18]
	v_add_f64 v[3:4], v[3:4], v[10:11]
	s_delay_alu instid0(VALU_DEP_2)
	v_add_f64 v[1:2], v[1:2], v[15:16]
	s_and_not1_b32 exec_lo, exec_lo, s3
	s_cbranch_execnz .LBB25_97
; %bb.98:
	s_or_b32 exec_lo, exec_lo, s3
	v_mov_b32_e32 v7, 0
	ds_load_b128 v[7:10], v7 offset:336
	s_waitcnt lgkmcnt(0)
	v_mul_f64 v[11:12], v[1:2], v[9:10]
	v_mul_f64 v[15:16], v[3:4], v[9:10]
	s_delay_alu instid0(VALU_DEP_2) | instskip(NEXT) | instid1(VALU_DEP_2)
	v_fma_f64 v[9:10], v[3:4], v[7:8], -v[11:12]
	v_fma_f64 v[11:12], v[1:2], v[7:8], v[15:16]
	scratch_store_b128 off, v[9:12], off offset:336
.LBB25_99:
	s_or_b32 exec_lo, exec_lo, s2
	s_waitcnt_vscnt null, 0x0
	s_barrier
	buffer_gl0_inv
	scratch_load_b128 v[1:4], v92, off
	s_mov_b32 s2, exec_lo
	s_waitcnt vmcnt(0)
	ds_store_b128 v5, v[1:4]
	s_waitcnt lgkmcnt(0)
	s_barrier
	buffer_gl0_inv
	v_cmpx_gt_u32_e32 22, v85
	s_cbranch_execz .LBB25_103
; %bb.100:
	v_dual_mov_b32 v1, 0 :: v_dual_add_nc_u32 v8, 0x1a0, v13
	v_dual_mov_b32 v2, 0 :: v_dual_add_nc_u32 v7, -1, v85
	v_or_b32_e32 v9, 8, v14
	s_mov_b32 s3, 0
	s_delay_alu instid0(VALU_DEP_2)
	v_dual_mov_b32 v4, v2 :: v_dual_mov_b32 v3, v1
	.p2align	6
.LBB25_101:                             ; =>This Inner Loop Header: Depth=1
	scratch_load_b128 v[15:18], v9, off offset:-8
	ds_load_b128 v[19:22], v8
	v_add_nc_u32_e32 v7, 1, v7
	v_add_nc_u32_e32 v8, 16, v8
	;; [unrolled: 1-line block ×3, first 2 shown]
	s_delay_alu instid0(VALU_DEP_3) | instskip(SKIP_4) | instid1(VALU_DEP_2)
	v_cmp_lt_u32_e32 vcc_lo, 20, v7
	s_or_b32 s3, vcc_lo, s3
	s_waitcnt vmcnt(0) lgkmcnt(0)
	v_mul_f64 v[10:11], v[21:22], v[17:18]
	v_mul_f64 v[17:18], v[19:20], v[17:18]
	v_fma_f64 v[10:11], v[19:20], v[15:16], -v[10:11]
	s_delay_alu instid0(VALU_DEP_2) | instskip(NEXT) | instid1(VALU_DEP_2)
	v_fma_f64 v[15:16], v[21:22], v[15:16], v[17:18]
	v_add_f64 v[3:4], v[3:4], v[10:11]
	s_delay_alu instid0(VALU_DEP_2)
	v_add_f64 v[1:2], v[1:2], v[15:16]
	s_and_not1_b32 exec_lo, exec_lo, s3
	s_cbranch_execnz .LBB25_101
; %bb.102:
	s_or_b32 exec_lo, exec_lo, s3
	v_mov_b32_e32 v7, 0
	ds_load_b128 v[7:10], v7 offset:352
	s_waitcnt lgkmcnt(0)
	v_mul_f64 v[11:12], v[1:2], v[9:10]
	v_mul_f64 v[15:16], v[3:4], v[9:10]
	s_delay_alu instid0(VALU_DEP_2) | instskip(NEXT) | instid1(VALU_DEP_2)
	v_fma_f64 v[9:10], v[3:4], v[7:8], -v[11:12]
	v_fma_f64 v[11:12], v[1:2], v[7:8], v[15:16]
	scratch_store_b128 off, v[9:12], off offset:352
.LBB25_103:
	s_or_b32 exec_lo, exec_lo, s2
	s_waitcnt_vscnt null, 0x0
	s_barrier
	buffer_gl0_inv
	scratch_load_b128 v[1:4], v95, off
	s_mov_b32 s2, exec_lo
	s_waitcnt vmcnt(0)
	ds_store_b128 v5, v[1:4]
	s_waitcnt lgkmcnt(0)
	s_barrier
	buffer_gl0_inv
	v_cmpx_gt_u32_e32 23, v85
	s_cbranch_execz .LBB25_107
; %bb.104:
	v_dual_mov_b32 v1, 0 :: v_dual_add_nc_u32 v8, 0x1a0, v13
	v_dual_mov_b32 v2, 0 :: v_dual_add_nc_u32 v7, -1, v85
	v_or_b32_e32 v9, 8, v14
	s_mov_b32 s3, 0
	s_delay_alu instid0(VALU_DEP_2)
	v_dual_mov_b32 v4, v2 :: v_dual_mov_b32 v3, v1
	.p2align	6
.LBB25_105:                             ; =>This Inner Loop Header: Depth=1
	scratch_load_b128 v[15:18], v9, off offset:-8
	ds_load_b128 v[19:22], v8
	v_add_nc_u32_e32 v7, 1, v7
	v_add_nc_u32_e32 v8, 16, v8
	;; [unrolled: 1-line block ×3, first 2 shown]
	s_delay_alu instid0(VALU_DEP_3) | instskip(SKIP_4) | instid1(VALU_DEP_2)
	v_cmp_lt_u32_e32 vcc_lo, 21, v7
	s_or_b32 s3, vcc_lo, s3
	s_waitcnt vmcnt(0) lgkmcnt(0)
	v_mul_f64 v[10:11], v[21:22], v[17:18]
	v_mul_f64 v[17:18], v[19:20], v[17:18]
	v_fma_f64 v[10:11], v[19:20], v[15:16], -v[10:11]
	s_delay_alu instid0(VALU_DEP_2) | instskip(NEXT) | instid1(VALU_DEP_2)
	v_fma_f64 v[15:16], v[21:22], v[15:16], v[17:18]
	v_add_f64 v[3:4], v[3:4], v[10:11]
	s_delay_alu instid0(VALU_DEP_2)
	v_add_f64 v[1:2], v[1:2], v[15:16]
	s_and_not1_b32 exec_lo, exec_lo, s3
	s_cbranch_execnz .LBB25_105
; %bb.106:
	s_or_b32 exec_lo, exec_lo, s3
	v_mov_b32_e32 v7, 0
	ds_load_b128 v[7:10], v7 offset:368
	s_waitcnt lgkmcnt(0)
	v_mul_f64 v[11:12], v[1:2], v[9:10]
	v_mul_f64 v[15:16], v[3:4], v[9:10]
	s_delay_alu instid0(VALU_DEP_2) | instskip(NEXT) | instid1(VALU_DEP_2)
	v_fma_f64 v[9:10], v[3:4], v[7:8], -v[11:12]
	v_fma_f64 v[11:12], v[1:2], v[7:8], v[15:16]
	scratch_store_b128 off, v[9:12], off offset:368
.LBB25_107:
	s_or_b32 exec_lo, exec_lo, s2
	s_waitcnt_vscnt null, 0x0
	s_barrier
	buffer_gl0_inv
	scratch_load_b128 v[1:4], v97, off
	s_mov_b32 s2, exec_lo
	s_waitcnt vmcnt(0)
	ds_store_b128 v5, v[1:4]
	s_waitcnt lgkmcnt(0)
	s_barrier
	buffer_gl0_inv
	v_cmpx_gt_u32_e32 24, v85
	s_cbranch_execz .LBB25_111
; %bb.108:
	v_dual_mov_b32 v1, 0 :: v_dual_add_nc_u32 v8, 0x1a0, v13
	v_dual_mov_b32 v2, 0 :: v_dual_add_nc_u32 v7, -1, v85
	v_or_b32_e32 v9, 8, v14
	s_mov_b32 s3, 0
	s_delay_alu instid0(VALU_DEP_2)
	v_dual_mov_b32 v4, v2 :: v_dual_mov_b32 v3, v1
	.p2align	6
.LBB25_109:                             ; =>This Inner Loop Header: Depth=1
	scratch_load_b128 v[10:13], v9, off offset:-8
	ds_load_b128 v[15:18], v8
	v_add_nc_u32_e32 v7, 1, v7
	v_add_nc_u32_e32 v8, 16, v8
	;; [unrolled: 1-line block ×3, first 2 shown]
	s_delay_alu instid0(VALU_DEP_3) | instskip(SKIP_4) | instid1(VALU_DEP_2)
	v_cmp_lt_u32_e32 vcc_lo, 22, v7
	s_or_b32 s3, vcc_lo, s3
	s_waitcnt vmcnt(0) lgkmcnt(0)
	v_mul_f64 v[19:20], v[17:18], v[12:13]
	v_mul_f64 v[12:13], v[15:16], v[12:13]
	v_fma_f64 v[15:16], v[15:16], v[10:11], -v[19:20]
	s_delay_alu instid0(VALU_DEP_2) | instskip(NEXT) | instid1(VALU_DEP_2)
	v_fma_f64 v[10:11], v[17:18], v[10:11], v[12:13]
	v_add_f64 v[3:4], v[3:4], v[15:16]
	s_delay_alu instid0(VALU_DEP_2)
	v_add_f64 v[1:2], v[1:2], v[10:11]
	s_and_not1_b32 exec_lo, exec_lo, s3
	s_cbranch_execnz .LBB25_109
; %bb.110:
	s_or_b32 exec_lo, exec_lo, s3
	v_mov_b32_e32 v7, 0
	ds_load_b128 v[7:10], v7 offset:384
	s_waitcnt lgkmcnt(0)
	v_mul_f64 v[11:12], v[1:2], v[9:10]
	v_mul_f64 v[15:16], v[3:4], v[9:10]
	s_delay_alu instid0(VALU_DEP_2) | instskip(NEXT) | instid1(VALU_DEP_2)
	v_fma_f64 v[9:10], v[3:4], v[7:8], -v[11:12]
	v_fma_f64 v[11:12], v[1:2], v[7:8], v[15:16]
	scratch_store_b128 off, v[9:12], off offset:384
.LBB25_111:
	s_or_b32 exec_lo, exec_lo, s2
	s_waitcnt_vscnt null, 0x0
	s_barrier
	buffer_gl0_inv
	scratch_load_b128 v[1:4], v96, off
	s_mov_b32 s2, exec_lo
	s_waitcnt vmcnt(0)
	ds_store_b128 v5, v[1:4]
	s_waitcnt lgkmcnt(0)
	s_barrier
	buffer_gl0_inv
	v_cmpx_ne_u32_e32 25, v85
	s_cbranch_execz .LBB25_115
; %bb.112:
	v_mov_b32_e32 v1, 0
	v_mov_b32_e32 v2, 0
	v_or_b32_e32 v7, 8, v14
	s_mov_b32 s3, 0
	s_delay_alu instid0(VALU_DEP_2)
	v_dual_mov_b32 v4, v2 :: v_dual_mov_b32 v3, v1
	.p2align	6
.LBB25_113:                             ; =>This Inner Loop Header: Depth=1
	scratch_load_b128 v[8:11], v7, off offset:-8
	ds_load_b128 v[12:15], v5
	v_add_nc_u32_e32 v6, 1, v6
	v_add_nc_u32_e32 v5, 16, v5
	;; [unrolled: 1-line block ×3, first 2 shown]
	s_delay_alu instid0(VALU_DEP_3) | instskip(SKIP_4) | instid1(VALU_DEP_2)
	v_cmp_lt_u32_e32 vcc_lo, 23, v6
	s_or_b32 s3, vcc_lo, s3
	s_waitcnt vmcnt(0) lgkmcnt(0)
	v_mul_f64 v[16:17], v[14:15], v[10:11]
	v_mul_f64 v[10:11], v[12:13], v[10:11]
	v_fma_f64 v[12:13], v[12:13], v[8:9], -v[16:17]
	s_delay_alu instid0(VALU_DEP_2) | instskip(NEXT) | instid1(VALU_DEP_2)
	v_fma_f64 v[8:9], v[14:15], v[8:9], v[10:11]
	v_add_f64 v[3:4], v[3:4], v[12:13]
	s_delay_alu instid0(VALU_DEP_2)
	v_add_f64 v[1:2], v[1:2], v[8:9]
	s_and_not1_b32 exec_lo, exec_lo, s3
	s_cbranch_execnz .LBB25_113
; %bb.114:
	s_or_b32 exec_lo, exec_lo, s3
	v_mov_b32_e32 v5, 0
	ds_load_b128 v[5:8], v5 offset:400
	s_waitcnt lgkmcnt(0)
	v_mul_f64 v[9:10], v[1:2], v[7:8]
	v_mul_f64 v[7:8], v[3:4], v[7:8]
	s_delay_alu instid0(VALU_DEP_2) | instskip(NEXT) | instid1(VALU_DEP_2)
	v_fma_f64 v[3:4], v[3:4], v[5:6], -v[9:10]
	v_fma_f64 v[5:6], v[1:2], v[5:6], v[7:8]
	scratch_store_b128 off, v[3:6], off offset:400
.LBB25_115:
	s_or_b32 exec_lo, exec_lo, s2
	s_mov_b32 s3, -1
	s_waitcnt_vscnt null, 0x0
	s_barrier
	buffer_gl0_inv
.LBB25_116:
	s_and_b32 vcc_lo, exec_lo, s3
	s_cbranch_vccz .LBB25_118
; %bb.117:
	s_lshl_b64 s[2:3], s[18:19], 2
	v_mov_b32_e32 v1, 0
	s_add_u32 s2, s6, s2
	s_addc_u32 s3, s7, s3
	global_load_b32 v1, v1, s[2:3]
	s_waitcnt vmcnt(0)
	v_cmp_ne_u32_e32 vcc_lo, 0, v1
	s_cbranch_vccz .LBB25_119
.LBB25_118:
	s_endpgm
.LBB25_119:
	v_lshl_add_u32 v26, v85, 4, 0x1a0
	s_mov_b32 s2, exec_lo
	v_cmpx_eq_u32_e32 25, v85
	s_cbranch_execz .LBB25_121
; %bb.120:
	scratch_load_b128 v[1:4], v97, off
	v_mov_b32_e32 v5, 0
	s_delay_alu instid0(VALU_DEP_1)
	v_mov_b32_e32 v6, v5
	v_mov_b32_e32 v7, v5
	;; [unrolled: 1-line block ×3, first 2 shown]
	scratch_store_b128 off, v[5:8], off offset:384
	s_waitcnt vmcnt(0)
	ds_store_b128 v26, v[1:4]
.LBB25_121:
	s_or_b32 exec_lo, exec_lo, s2
	s_waitcnt lgkmcnt(0)
	s_waitcnt_vscnt null, 0x0
	s_barrier
	buffer_gl0_inv
	s_clause 0x1
	scratch_load_b128 v[2:5], off, off offset:400
	scratch_load_b128 v[6:9], off, off offset:384
	v_mov_b32_e32 v1, 0
	s_mov_b32 s2, exec_lo
	ds_load_b128 v[10:13], v1 offset:816
	s_waitcnt vmcnt(1) lgkmcnt(0)
	v_mul_f64 v[14:15], v[12:13], v[4:5]
	v_mul_f64 v[4:5], v[10:11], v[4:5]
	s_delay_alu instid0(VALU_DEP_2) | instskip(NEXT) | instid1(VALU_DEP_2)
	v_fma_f64 v[10:11], v[10:11], v[2:3], -v[14:15]
	v_fma_f64 v[2:3], v[12:13], v[2:3], v[4:5]
	s_delay_alu instid0(VALU_DEP_2) | instskip(NEXT) | instid1(VALU_DEP_2)
	v_add_f64 v[4:5], v[10:11], 0
	v_add_f64 v[10:11], v[2:3], 0
	s_waitcnt vmcnt(0)
	s_delay_alu instid0(VALU_DEP_2) | instskip(NEXT) | instid1(VALU_DEP_2)
	v_add_f64 v[2:3], v[6:7], -v[4:5]
	v_add_f64 v[4:5], v[8:9], -v[10:11]
	scratch_store_b128 off, v[2:5], off offset:384
	v_cmpx_lt_u32_e32 23, v85
	s_cbranch_execz .LBB25_123
; %bb.122:
	scratch_load_b128 v[5:8], v95, off
	v_mov_b32_e32 v2, v1
	v_mov_b32_e32 v3, v1
	;; [unrolled: 1-line block ×3, first 2 shown]
	scratch_store_b128 off, v[1:4], off offset:368
	s_waitcnt vmcnt(0)
	ds_store_b128 v26, v[5:8]
.LBB25_123:
	s_or_b32 exec_lo, exec_lo, s2
	s_waitcnt lgkmcnt(0)
	s_waitcnt_vscnt null, 0x0
	s_barrier
	buffer_gl0_inv
	s_clause 0x2
	scratch_load_b128 v[2:5], off, off offset:384
	scratch_load_b128 v[6:9], off, off offset:400
	;; [unrolled: 1-line block ×3, first 2 shown]
	ds_load_b128 v[14:17], v1 offset:800
	ds_load_b128 v[18:21], v1 offset:816
	s_mov_b32 s2, exec_lo
	s_waitcnt vmcnt(2) lgkmcnt(1)
	v_mul_f64 v[22:23], v[16:17], v[4:5]
	v_mul_f64 v[4:5], v[14:15], v[4:5]
	s_waitcnt vmcnt(1) lgkmcnt(0)
	v_mul_f64 v[24:25], v[18:19], v[8:9]
	v_mul_f64 v[8:9], v[20:21], v[8:9]
	s_delay_alu instid0(VALU_DEP_4) | instskip(NEXT) | instid1(VALU_DEP_4)
	v_fma_f64 v[14:15], v[14:15], v[2:3], -v[22:23]
	v_fma_f64 v[1:2], v[16:17], v[2:3], v[4:5]
	s_delay_alu instid0(VALU_DEP_4) | instskip(NEXT) | instid1(VALU_DEP_4)
	v_fma_f64 v[3:4], v[20:21], v[6:7], v[24:25]
	v_fma_f64 v[5:6], v[18:19], v[6:7], -v[8:9]
	s_delay_alu instid0(VALU_DEP_4) | instskip(NEXT) | instid1(VALU_DEP_4)
	v_add_f64 v[7:8], v[14:15], 0
	v_add_f64 v[1:2], v[1:2], 0
	s_delay_alu instid0(VALU_DEP_2) | instskip(NEXT) | instid1(VALU_DEP_2)
	v_add_f64 v[5:6], v[7:8], v[5:6]
	v_add_f64 v[3:4], v[1:2], v[3:4]
	s_waitcnt vmcnt(0)
	s_delay_alu instid0(VALU_DEP_2) | instskip(NEXT) | instid1(VALU_DEP_2)
	v_add_f64 v[1:2], v[10:11], -v[5:6]
	v_add_f64 v[3:4], v[12:13], -v[3:4]
	scratch_store_b128 off, v[1:4], off offset:368
	v_cmpx_lt_u32_e32 22, v85
	s_cbranch_execz .LBB25_125
; %bb.124:
	scratch_load_b128 v[1:4], v92, off
	v_mov_b32_e32 v5, 0
	s_delay_alu instid0(VALU_DEP_1)
	v_mov_b32_e32 v6, v5
	v_mov_b32_e32 v7, v5
	;; [unrolled: 1-line block ×3, first 2 shown]
	scratch_store_b128 off, v[5:8], off offset:352
	s_waitcnt vmcnt(0)
	ds_store_b128 v26, v[1:4]
.LBB25_125:
	s_or_b32 exec_lo, exec_lo, s2
	s_waitcnt lgkmcnt(0)
	s_waitcnt_vscnt null, 0x0
	s_barrier
	buffer_gl0_inv
	s_clause 0x3
	scratch_load_b128 v[2:5], off, off offset:368
	scratch_load_b128 v[6:9], off, off offset:384
	;; [unrolled: 1-line block ×4, first 2 shown]
	v_mov_b32_e32 v1, 0
	ds_load_b128 v[18:21], v1 offset:784
	ds_load_b128 v[22:25], v1 offset:800
	s_mov_b32 s2, exec_lo
	s_waitcnt vmcnt(3) lgkmcnt(1)
	v_mul_f64 v[27:28], v[20:21], v[4:5]
	v_mul_f64 v[4:5], v[18:19], v[4:5]
	s_waitcnt vmcnt(2) lgkmcnt(0)
	v_mul_f64 v[29:30], v[22:23], v[8:9]
	v_mul_f64 v[8:9], v[24:25], v[8:9]
	s_delay_alu instid0(VALU_DEP_4) | instskip(NEXT) | instid1(VALU_DEP_4)
	v_fma_f64 v[18:19], v[18:19], v[2:3], -v[27:28]
	v_fma_f64 v[20:21], v[20:21], v[2:3], v[4:5]
	ds_load_b128 v[2:5], v1 offset:816
	v_fma_f64 v[24:25], v[24:25], v[6:7], v[29:30]
	v_fma_f64 v[6:7], v[22:23], v[6:7], -v[8:9]
	s_waitcnt vmcnt(1) lgkmcnt(0)
	v_mul_f64 v[27:28], v[2:3], v[12:13]
	v_mul_f64 v[12:13], v[4:5], v[12:13]
	v_add_f64 v[8:9], v[18:19], 0
	v_add_f64 v[18:19], v[20:21], 0
	s_delay_alu instid0(VALU_DEP_4) | instskip(NEXT) | instid1(VALU_DEP_4)
	v_fma_f64 v[4:5], v[4:5], v[10:11], v[27:28]
	v_fma_f64 v[2:3], v[2:3], v[10:11], -v[12:13]
	s_delay_alu instid0(VALU_DEP_4) | instskip(NEXT) | instid1(VALU_DEP_4)
	v_add_f64 v[6:7], v[8:9], v[6:7]
	v_add_f64 v[8:9], v[18:19], v[24:25]
	s_delay_alu instid0(VALU_DEP_2) | instskip(NEXT) | instid1(VALU_DEP_2)
	v_add_f64 v[2:3], v[6:7], v[2:3]
	v_add_f64 v[4:5], v[8:9], v[4:5]
	s_waitcnt vmcnt(0)
	s_delay_alu instid0(VALU_DEP_2) | instskip(NEXT) | instid1(VALU_DEP_2)
	v_add_f64 v[2:3], v[14:15], -v[2:3]
	v_add_f64 v[4:5], v[16:17], -v[4:5]
	scratch_store_b128 off, v[2:5], off offset:352
	v_cmpx_lt_u32_e32 21, v85
	s_cbranch_execz .LBB25_127
; %bb.126:
	scratch_load_b128 v[5:8], v93, off
	v_mov_b32_e32 v2, v1
	v_mov_b32_e32 v3, v1
	;; [unrolled: 1-line block ×3, first 2 shown]
	scratch_store_b128 off, v[1:4], off offset:336
	s_waitcnt vmcnt(0)
	ds_store_b128 v26, v[5:8]
.LBB25_127:
	s_or_b32 exec_lo, exec_lo, s2
	s_waitcnt lgkmcnt(0)
	s_waitcnt_vscnt null, 0x0
	s_barrier
	buffer_gl0_inv
	s_clause 0x4
	scratch_load_b128 v[2:5], off, off offset:352
	scratch_load_b128 v[6:9], off, off offset:368
	;; [unrolled: 1-line block ×5, first 2 shown]
	ds_load_b128 v[22:25], v1 offset:768
	ds_load_b128 v[27:30], v1 offset:784
	s_mov_b32 s2, exec_lo
	s_waitcnt vmcnt(4) lgkmcnt(1)
	v_mul_f64 v[31:32], v[24:25], v[4:5]
	v_mul_f64 v[4:5], v[22:23], v[4:5]
	s_waitcnt vmcnt(3) lgkmcnt(0)
	v_mul_f64 v[111:112], v[27:28], v[8:9]
	v_mul_f64 v[8:9], v[29:30], v[8:9]
	s_delay_alu instid0(VALU_DEP_4) | instskip(NEXT) | instid1(VALU_DEP_4)
	v_fma_f64 v[31:32], v[22:23], v[2:3], -v[31:32]
	v_fma_f64 v[113:114], v[24:25], v[2:3], v[4:5]
	ds_load_b128 v[2:5], v1 offset:800
	ds_load_b128 v[22:25], v1 offset:816
	v_fma_f64 v[29:30], v[29:30], v[6:7], v[111:112]
	v_fma_f64 v[6:7], v[27:28], v[6:7], -v[8:9]
	s_waitcnt vmcnt(2) lgkmcnt(1)
	v_mul_f64 v[115:116], v[2:3], v[12:13]
	v_mul_f64 v[12:13], v[4:5], v[12:13]
	v_add_f64 v[8:9], v[31:32], 0
	v_add_f64 v[27:28], v[113:114], 0
	s_waitcnt vmcnt(1) lgkmcnt(0)
	v_mul_f64 v[31:32], v[22:23], v[16:17]
	v_mul_f64 v[16:17], v[24:25], v[16:17]
	v_fma_f64 v[4:5], v[4:5], v[10:11], v[115:116]
	v_fma_f64 v[1:2], v[2:3], v[10:11], -v[12:13]
	v_add_f64 v[6:7], v[8:9], v[6:7]
	v_add_f64 v[8:9], v[27:28], v[29:30]
	v_fma_f64 v[10:11], v[24:25], v[14:15], v[31:32]
	v_fma_f64 v[12:13], v[22:23], v[14:15], -v[16:17]
	s_delay_alu instid0(VALU_DEP_4) | instskip(NEXT) | instid1(VALU_DEP_4)
	v_add_f64 v[1:2], v[6:7], v[1:2]
	v_add_f64 v[3:4], v[8:9], v[4:5]
	s_delay_alu instid0(VALU_DEP_2) | instskip(NEXT) | instid1(VALU_DEP_2)
	v_add_f64 v[1:2], v[1:2], v[12:13]
	v_add_f64 v[3:4], v[3:4], v[10:11]
	s_waitcnt vmcnt(0)
	s_delay_alu instid0(VALU_DEP_2) | instskip(NEXT) | instid1(VALU_DEP_2)
	v_add_f64 v[1:2], v[18:19], -v[1:2]
	v_add_f64 v[3:4], v[20:21], -v[3:4]
	scratch_store_b128 off, v[1:4], off offset:336
	v_cmpx_lt_u32_e32 20, v85
	s_cbranch_execz .LBB25_129
; %bb.128:
	scratch_load_b128 v[1:4], v91, off
	v_mov_b32_e32 v5, 0
	s_delay_alu instid0(VALU_DEP_1)
	v_mov_b32_e32 v6, v5
	v_mov_b32_e32 v7, v5
	;; [unrolled: 1-line block ×3, first 2 shown]
	scratch_store_b128 off, v[5:8], off offset:320
	s_waitcnt vmcnt(0)
	ds_store_b128 v26, v[1:4]
.LBB25_129:
	s_or_b32 exec_lo, exec_lo, s2
	s_waitcnt lgkmcnt(0)
	s_waitcnt_vscnt null, 0x0
	s_barrier
	buffer_gl0_inv
	s_clause 0x5
	scratch_load_b128 v[2:5], off, off offset:336
	scratch_load_b128 v[6:9], off, off offset:352
	;; [unrolled: 1-line block ×6, first 2 shown]
	v_mov_b32_e32 v1, 0
	ds_load_b128 v[27:30], v1 offset:752
	ds_load_b128 v[111:114], v1 offset:768
	s_mov_b32 s2, exec_lo
	s_waitcnt vmcnt(5) lgkmcnt(1)
	v_mul_f64 v[31:32], v[29:30], v[4:5]
	v_mul_f64 v[4:5], v[27:28], v[4:5]
	s_waitcnt vmcnt(4) lgkmcnt(0)
	v_mul_f64 v[115:116], v[111:112], v[8:9]
	v_mul_f64 v[8:9], v[113:114], v[8:9]
	s_delay_alu instid0(VALU_DEP_4) | instskip(NEXT) | instid1(VALU_DEP_4)
	v_fma_f64 v[31:32], v[27:28], v[2:3], -v[31:32]
	v_fma_f64 v[117:118], v[29:30], v[2:3], v[4:5]
	ds_load_b128 v[2:5], v1 offset:784
	ds_load_b128 v[27:30], v1 offset:800
	v_fma_f64 v[113:114], v[113:114], v[6:7], v[115:116]
	v_fma_f64 v[6:7], v[111:112], v[6:7], -v[8:9]
	s_waitcnt vmcnt(3) lgkmcnt(1)
	v_mul_f64 v[119:120], v[2:3], v[12:13]
	v_mul_f64 v[12:13], v[4:5], v[12:13]
	s_waitcnt vmcnt(2) lgkmcnt(0)
	v_mul_f64 v[111:112], v[27:28], v[16:17]
	v_mul_f64 v[16:17], v[29:30], v[16:17]
	v_add_f64 v[8:9], v[31:32], 0
	v_add_f64 v[31:32], v[117:118], 0
	v_fma_f64 v[115:116], v[4:5], v[10:11], v[119:120]
	v_fma_f64 v[10:11], v[2:3], v[10:11], -v[12:13]
	ds_load_b128 v[2:5], v1 offset:816
	v_fma_f64 v[29:30], v[29:30], v[14:15], v[111:112]
	v_fma_f64 v[14:15], v[27:28], v[14:15], -v[16:17]
	v_add_f64 v[6:7], v[8:9], v[6:7]
	v_add_f64 v[8:9], v[31:32], v[113:114]
	s_waitcnt vmcnt(1) lgkmcnt(0)
	v_mul_f64 v[12:13], v[2:3], v[20:21]
	v_mul_f64 v[20:21], v[4:5], v[20:21]
	s_delay_alu instid0(VALU_DEP_4) | instskip(NEXT) | instid1(VALU_DEP_4)
	v_add_f64 v[6:7], v[6:7], v[10:11]
	v_add_f64 v[8:9], v[8:9], v[115:116]
	s_delay_alu instid0(VALU_DEP_4) | instskip(NEXT) | instid1(VALU_DEP_4)
	v_fma_f64 v[4:5], v[4:5], v[18:19], v[12:13]
	v_fma_f64 v[2:3], v[2:3], v[18:19], -v[20:21]
	s_delay_alu instid0(VALU_DEP_4) | instskip(NEXT) | instid1(VALU_DEP_4)
	v_add_f64 v[6:7], v[6:7], v[14:15]
	v_add_f64 v[8:9], v[8:9], v[29:30]
	s_delay_alu instid0(VALU_DEP_2) | instskip(NEXT) | instid1(VALU_DEP_2)
	v_add_f64 v[2:3], v[6:7], v[2:3]
	v_add_f64 v[4:5], v[8:9], v[4:5]
	s_waitcnt vmcnt(0)
	s_delay_alu instid0(VALU_DEP_2) | instskip(NEXT) | instid1(VALU_DEP_2)
	v_add_f64 v[2:3], v[22:23], -v[2:3]
	v_add_f64 v[4:5], v[24:25], -v[4:5]
	scratch_store_b128 off, v[2:5], off offset:320
	v_cmpx_lt_u32_e32 19, v85
	s_cbranch_execz .LBB25_131
; %bb.130:
	scratch_load_b128 v[5:8], v94, off
	v_mov_b32_e32 v2, v1
	v_mov_b32_e32 v3, v1
	;; [unrolled: 1-line block ×3, first 2 shown]
	scratch_store_b128 off, v[1:4], off offset:304
	s_waitcnt vmcnt(0)
	ds_store_b128 v26, v[5:8]
.LBB25_131:
	s_or_b32 exec_lo, exec_lo, s2
	s_waitcnt lgkmcnt(0)
	s_waitcnt_vscnt null, 0x0
	s_barrier
	buffer_gl0_inv
	s_clause 0x5
	scratch_load_b128 v[2:5], off, off offset:320
	scratch_load_b128 v[6:9], off, off offset:336
	;; [unrolled: 1-line block ×6, first 2 shown]
	ds_load_b128 v[27:30], v1 offset:736
	ds_load_b128 v[115:118], v1 offset:752
	scratch_load_b128 v[111:114], off, off offset:304
	s_mov_b32 s2, exec_lo
	s_waitcnt vmcnt(6) lgkmcnt(1)
	v_mul_f64 v[31:32], v[29:30], v[4:5]
	v_mul_f64 v[4:5], v[27:28], v[4:5]
	s_waitcnt vmcnt(5) lgkmcnt(0)
	v_mul_f64 v[119:120], v[115:116], v[8:9]
	v_mul_f64 v[8:9], v[117:118], v[8:9]
	s_delay_alu instid0(VALU_DEP_4) | instskip(NEXT) | instid1(VALU_DEP_4)
	v_fma_f64 v[31:32], v[27:28], v[2:3], -v[31:32]
	v_fma_f64 v[121:122], v[29:30], v[2:3], v[4:5]
	ds_load_b128 v[2:5], v1 offset:768
	ds_load_b128 v[27:30], v1 offset:784
	v_fma_f64 v[117:118], v[117:118], v[6:7], v[119:120]
	v_fma_f64 v[6:7], v[115:116], v[6:7], -v[8:9]
	s_waitcnt vmcnt(4) lgkmcnt(1)
	v_mul_f64 v[123:124], v[2:3], v[12:13]
	v_mul_f64 v[12:13], v[4:5], v[12:13]
	s_waitcnt vmcnt(3) lgkmcnt(0)
	v_mul_f64 v[115:116], v[27:28], v[16:17]
	v_mul_f64 v[16:17], v[29:30], v[16:17]
	v_add_f64 v[8:9], v[31:32], 0
	v_add_f64 v[31:32], v[121:122], 0
	v_fma_f64 v[119:120], v[4:5], v[10:11], v[123:124]
	v_fma_f64 v[10:11], v[2:3], v[10:11], -v[12:13]
	v_fma_f64 v[29:30], v[29:30], v[14:15], v[115:116]
	v_fma_f64 v[14:15], v[27:28], v[14:15], -v[16:17]
	v_add_f64 v[12:13], v[8:9], v[6:7]
	v_add_f64 v[31:32], v[31:32], v[117:118]
	ds_load_b128 v[2:5], v1 offset:800
	ds_load_b128 v[6:9], v1 offset:816
	s_waitcnt vmcnt(2) lgkmcnt(1)
	v_mul_f64 v[117:118], v[2:3], v[20:21]
	v_mul_f64 v[20:21], v[4:5], v[20:21]
	s_waitcnt vmcnt(1) lgkmcnt(0)
	v_mul_f64 v[16:17], v[6:7], v[24:25]
	v_mul_f64 v[24:25], v[8:9], v[24:25]
	v_add_f64 v[10:11], v[12:13], v[10:11]
	v_add_f64 v[12:13], v[31:32], v[119:120]
	v_fma_f64 v[4:5], v[4:5], v[18:19], v[117:118]
	v_fma_f64 v[1:2], v[2:3], v[18:19], -v[20:21]
	v_fma_f64 v[8:9], v[8:9], v[22:23], v[16:17]
	v_fma_f64 v[6:7], v[6:7], v[22:23], -v[24:25]
	v_add_f64 v[10:11], v[10:11], v[14:15]
	v_add_f64 v[12:13], v[12:13], v[29:30]
	s_delay_alu instid0(VALU_DEP_2) | instskip(NEXT) | instid1(VALU_DEP_2)
	v_add_f64 v[1:2], v[10:11], v[1:2]
	v_add_f64 v[3:4], v[12:13], v[4:5]
	s_delay_alu instid0(VALU_DEP_2) | instskip(NEXT) | instid1(VALU_DEP_2)
	v_add_f64 v[1:2], v[1:2], v[6:7]
	v_add_f64 v[3:4], v[3:4], v[8:9]
	s_waitcnt vmcnt(0)
	s_delay_alu instid0(VALU_DEP_2) | instskip(NEXT) | instid1(VALU_DEP_2)
	v_add_f64 v[1:2], v[111:112], -v[1:2]
	v_add_f64 v[3:4], v[113:114], -v[3:4]
	scratch_store_b128 off, v[1:4], off offset:304
	v_cmpx_lt_u32_e32 18, v85
	s_cbranch_execz .LBB25_133
; %bb.132:
	scratch_load_b128 v[1:4], v88, off
	v_mov_b32_e32 v5, 0
	s_delay_alu instid0(VALU_DEP_1)
	v_mov_b32_e32 v6, v5
	v_mov_b32_e32 v7, v5
	;; [unrolled: 1-line block ×3, first 2 shown]
	scratch_store_b128 off, v[5:8], off offset:288
	s_waitcnt vmcnt(0)
	ds_store_b128 v26, v[1:4]
.LBB25_133:
	s_or_b32 exec_lo, exec_lo, s2
	s_waitcnt lgkmcnt(0)
	s_waitcnt_vscnt null, 0x0
	s_barrier
	buffer_gl0_inv
	s_clause 0x6
	scratch_load_b128 v[2:5], off, off offset:304
	scratch_load_b128 v[6:9], off, off offset:320
	;; [unrolled: 1-line block ×7, first 2 shown]
	v_mov_b32_e32 v1, 0
	scratch_load_b128 v[115:118], off, off offset:288
	s_mov_b32 s2, exec_lo
	ds_load_b128 v[111:114], v1 offset:720
	ds_load_b128 v[119:122], v1 offset:736
	s_waitcnt vmcnt(7) lgkmcnt(1)
	v_mul_f64 v[31:32], v[113:114], v[4:5]
	v_mul_f64 v[4:5], v[111:112], v[4:5]
	s_waitcnt vmcnt(6) lgkmcnt(0)
	v_mul_f64 v[123:124], v[119:120], v[8:9]
	v_mul_f64 v[8:9], v[121:122], v[8:9]
	s_delay_alu instid0(VALU_DEP_4) | instskip(NEXT) | instid1(VALU_DEP_4)
	v_fma_f64 v[31:32], v[111:112], v[2:3], -v[31:32]
	v_fma_f64 v[125:126], v[113:114], v[2:3], v[4:5]
	ds_load_b128 v[2:5], v1 offset:752
	ds_load_b128 v[111:114], v1 offset:768
	v_fma_f64 v[121:122], v[121:122], v[6:7], v[123:124]
	v_fma_f64 v[6:7], v[119:120], v[6:7], -v[8:9]
	s_waitcnt vmcnt(5) lgkmcnt(1)
	v_mul_f64 v[127:128], v[2:3], v[12:13]
	v_mul_f64 v[12:13], v[4:5], v[12:13]
	s_waitcnt vmcnt(4) lgkmcnt(0)
	v_mul_f64 v[119:120], v[111:112], v[16:17]
	v_mul_f64 v[16:17], v[113:114], v[16:17]
	v_add_f64 v[8:9], v[31:32], 0
	v_add_f64 v[31:32], v[125:126], 0
	v_fma_f64 v[123:124], v[4:5], v[10:11], v[127:128]
	v_fma_f64 v[10:11], v[2:3], v[10:11], -v[12:13]
	v_fma_f64 v[113:114], v[113:114], v[14:15], v[119:120]
	v_fma_f64 v[14:15], v[111:112], v[14:15], -v[16:17]
	v_add_f64 v[12:13], v[8:9], v[6:7]
	v_add_f64 v[31:32], v[31:32], v[121:122]
	ds_load_b128 v[2:5], v1 offset:784
	ds_load_b128 v[6:9], v1 offset:800
	s_waitcnt vmcnt(3) lgkmcnt(1)
	v_mul_f64 v[121:122], v[2:3], v[20:21]
	v_mul_f64 v[20:21], v[4:5], v[20:21]
	s_waitcnt vmcnt(2) lgkmcnt(0)
	v_mul_f64 v[16:17], v[6:7], v[24:25]
	v_mul_f64 v[24:25], v[8:9], v[24:25]
	v_add_f64 v[10:11], v[12:13], v[10:11]
	v_add_f64 v[12:13], v[31:32], v[123:124]
	v_fma_f64 v[31:32], v[4:5], v[18:19], v[121:122]
	v_fma_f64 v[18:19], v[2:3], v[18:19], -v[20:21]
	ds_load_b128 v[2:5], v1 offset:816
	v_fma_f64 v[8:9], v[8:9], v[22:23], v[16:17]
	v_fma_f64 v[6:7], v[6:7], v[22:23], -v[24:25]
	v_add_f64 v[10:11], v[10:11], v[14:15]
	v_add_f64 v[12:13], v[12:13], v[113:114]
	s_waitcnt vmcnt(1) lgkmcnt(0)
	v_mul_f64 v[14:15], v[2:3], v[29:30]
	v_mul_f64 v[20:21], v[4:5], v[29:30]
	s_delay_alu instid0(VALU_DEP_4) | instskip(NEXT) | instid1(VALU_DEP_4)
	v_add_f64 v[10:11], v[10:11], v[18:19]
	v_add_f64 v[12:13], v[12:13], v[31:32]
	s_delay_alu instid0(VALU_DEP_4) | instskip(NEXT) | instid1(VALU_DEP_4)
	v_fma_f64 v[4:5], v[4:5], v[27:28], v[14:15]
	v_fma_f64 v[2:3], v[2:3], v[27:28], -v[20:21]
	s_delay_alu instid0(VALU_DEP_4) | instskip(NEXT) | instid1(VALU_DEP_4)
	v_add_f64 v[6:7], v[10:11], v[6:7]
	v_add_f64 v[8:9], v[12:13], v[8:9]
	s_delay_alu instid0(VALU_DEP_2) | instskip(NEXT) | instid1(VALU_DEP_2)
	v_add_f64 v[2:3], v[6:7], v[2:3]
	v_add_f64 v[4:5], v[8:9], v[4:5]
	s_waitcnt vmcnt(0)
	s_delay_alu instid0(VALU_DEP_2) | instskip(NEXT) | instid1(VALU_DEP_2)
	v_add_f64 v[2:3], v[115:116], -v[2:3]
	v_add_f64 v[4:5], v[117:118], -v[4:5]
	scratch_store_b128 off, v[2:5], off offset:288
	v_cmpx_lt_u32_e32 17, v85
	s_cbranch_execz .LBB25_135
; %bb.134:
	scratch_load_b128 v[5:8], v106, off
	v_mov_b32_e32 v2, v1
	v_mov_b32_e32 v3, v1
	;; [unrolled: 1-line block ×3, first 2 shown]
	scratch_store_b128 off, v[1:4], off offset:272
	s_waitcnt vmcnt(0)
	ds_store_b128 v26, v[5:8]
.LBB25_135:
	s_or_b32 exec_lo, exec_lo, s2
	s_waitcnt lgkmcnt(0)
	s_waitcnt_vscnt null, 0x0
	s_barrier
	buffer_gl0_inv
	s_clause 0x7
	scratch_load_b128 v[2:5], off, off offset:288
	scratch_load_b128 v[6:9], off, off offset:304
	;; [unrolled: 1-line block ×8, first 2 shown]
	ds_load_b128 v[115:118], v1 offset:704
	ds_load_b128 v[119:122], v1 offset:720
	scratch_load_b128 v[123:126], off, off offset:272
	s_mov_b32 s2, exec_lo
	s_waitcnt vmcnt(8) lgkmcnt(1)
	v_mul_f64 v[31:32], v[117:118], v[4:5]
	v_mul_f64 v[4:5], v[115:116], v[4:5]
	s_waitcnt vmcnt(7) lgkmcnt(0)
	v_mul_f64 v[127:128], v[119:120], v[8:9]
	v_mul_f64 v[8:9], v[121:122], v[8:9]
	s_delay_alu instid0(VALU_DEP_4) | instskip(NEXT) | instid1(VALU_DEP_4)
	v_fma_f64 v[31:32], v[115:116], v[2:3], -v[31:32]
	v_fma_f64 v[129:130], v[117:118], v[2:3], v[4:5]
	ds_load_b128 v[2:5], v1 offset:736
	ds_load_b128 v[115:118], v1 offset:752
	v_fma_f64 v[121:122], v[121:122], v[6:7], v[127:128]
	v_fma_f64 v[6:7], v[119:120], v[6:7], -v[8:9]
	s_waitcnt vmcnt(6) lgkmcnt(1)
	v_mul_f64 v[131:132], v[2:3], v[12:13]
	v_mul_f64 v[12:13], v[4:5], v[12:13]
	s_waitcnt vmcnt(5) lgkmcnt(0)
	v_mul_f64 v[119:120], v[115:116], v[16:17]
	v_mul_f64 v[16:17], v[117:118], v[16:17]
	v_add_f64 v[8:9], v[31:32], 0
	v_add_f64 v[31:32], v[129:130], 0
	v_fma_f64 v[127:128], v[4:5], v[10:11], v[131:132]
	v_fma_f64 v[10:11], v[2:3], v[10:11], -v[12:13]
	v_fma_f64 v[117:118], v[117:118], v[14:15], v[119:120]
	v_fma_f64 v[14:15], v[115:116], v[14:15], -v[16:17]
	v_add_f64 v[12:13], v[8:9], v[6:7]
	v_add_f64 v[31:32], v[31:32], v[121:122]
	ds_load_b128 v[2:5], v1 offset:768
	ds_load_b128 v[6:9], v1 offset:784
	s_waitcnt vmcnt(4) lgkmcnt(1)
	v_mul_f64 v[121:122], v[2:3], v[20:21]
	v_mul_f64 v[20:21], v[4:5], v[20:21]
	s_waitcnt vmcnt(3) lgkmcnt(0)
	v_mul_f64 v[16:17], v[6:7], v[24:25]
	v_mul_f64 v[24:25], v[8:9], v[24:25]
	v_add_f64 v[10:11], v[12:13], v[10:11]
	v_add_f64 v[12:13], v[31:32], v[127:128]
	v_fma_f64 v[31:32], v[4:5], v[18:19], v[121:122]
	v_fma_f64 v[18:19], v[2:3], v[18:19], -v[20:21]
	v_fma_f64 v[8:9], v[8:9], v[22:23], v[16:17]
	v_fma_f64 v[6:7], v[6:7], v[22:23], -v[24:25]
	v_add_f64 v[14:15], v[10:11], v[14:15]
	v_add_f64 v[20:21], v[12:13], v[117:118]
	ds_load_b128 v[2:5], v1 offset:800
	ds_load_b128 v[10:13], v1 offset:816
	s_waitcnt vmcnt(2) lgkmcnt(1)
	v_mul_f64 v[115:116], v[2:3], v[29:30]
	v_mul_f64 v[29:30], v[4:5], v[29:30]
	v_add_f64 v[14:15], v[14:15], v[18:19]
	v_add_f64 v[16:17], v[20:21], v[31:32]
	s_waitcnt vmcnt(1) lgkmcnt(0)
	v_mul_f64 v[18:19], v[10:11], v[113:114]
	v_mul_f64 v[20:21], v[12:13], v[113:114]
	v_fma_f64 v[4:5], v[4:5], v[27:28], v[115:116]
	v_fma_f64 v[1:2], v[2:3], v[27:28], -v[29:30]
	v_add_f64 v[6:7], v[14:15], v[6:7]
	v_add_f64 v[8:9], v[16:17], v[8:9]
	v_fma_f64 v[12:13], v[12:13], v[111:112], v[18:19]
	v_fma_f64 v[10:11], v[10:11], v[111:112], -v[20:21]
	s_delay_alu instid0(VALU_DEP_4) | instskip(NEXT) | instid1(VALU_DEP_4)
	v_add_f64 v[1:2], v[6:7], v[1:2]
	v_add_f64 v[3:4], v[8:9], v[4:5]
	s_delay_alu instid0(VALU_DEP_2) | instskip(NEXT) | instid1(VALU_DEP_2)
	v_add_f64 v[1:2], v[1:2], v[10:11]
	v_add_f64 v[3:4], v[3:4], v[12:13]
	s_waitcnt vmcnt(0)
	s_delay_alu instid0(VALU_DEP_2) | instskip(NEXT) | instid1(VALU_DEP_2)
	v_add_f64 v[1:2], v[123:124], -v[1:2]
	v_add_f64 v[3:4], v[125:126], -v[3:4]
	scratch_store_b128 off, v[1:4], off offset:272
	v_cmpx_lt_u32_e32 16, v85
	s_cbranch_execz .LBB25_137
; %bb.136:
	scratch_load_b128 v[1:4], v105, off
	v_mov_b32_e32 v5, 0
	s_delay_alu instid0(VALU_DEP_1)
	v_mov_b32_e32 v6, v5
	v_mov_b32_e32 v7, v5
	;; [unrolled: 1-line block ×3, first 2 shown]
	scratch_store_b128 off, v[5:8], off offset:256
	s_waitcnt vmcnt(0)
	ds_store_b128 v26, v[1:4]
.LBB25_137:
	s_or_b32 exec_lo, exec_lo, s2
	s_waitcnt lgkmcnt(0)
	s_waitcnt_vscnt null, 0x0
	s_barrier
	buffer_gl0_inv
	s_clause 0x7
	scratch_load_b128 v[2:5], off, off offset:272
	scratch_load_b128 v[6:9], off, off offset:288
	;; [unrolled: 1-line block ×8, first 2 shown]
	v_mov_b32_e32 v1, 0
	s_mov_b32 s2, exec_lo
	ds_load_b128 v[115:118], v1 offset:688
	s_clause 0x1
	scratch_load_b128 v[119:122], off, off offset:400
	scratch_load_b128 v[123:126], off, off offset:256
	ds_load_b128 v[127:130], v1 offset:704
	s_waitcnt vmcnt(9) lgkmcnt(1)
	v_mul_f64 v[31:32], v[117:118], v[4:5]
	v_mul_f64 v[4:5], v[115:116], v[4:5]
	s_waitcnt vmcnt(8) lgkmcnt(0)
	v_mul_f64 v[131:132], v[127:128], v[8:9]
	v_mul_f64 v[8:9], v[129:130], v[8:9]
	s_delay_alu instid0(VALU_DEP_4) | instskip(NEXT) | instid1(VALU_DEP_4)
	v_fma_f64 v[31:32], v[115:116], v[2:3], -v[31:32]
	v_fma_f64 v[133:134], v[117:118], v[2:3], v[4:5]
	ds_load_b128 v[2:5], v1 offset:720
	ds_load_b128 v[115:118], v1 offset:736
	v_fma_f64 v[129:130], v[129:130], v[6:7], v[131:132]
	v_fma_f64 v[6:7], v[127:128], v[6:7], -v[8:9]
	s_waitcnt vmcnt(7) lgkmcnt(1)
	v_mul_f64 v[135:136], v[2:3], v[12:13]
	v_mul_f64 v[12:13], v[4:5], v[12:13]
	s_waitcnt vmcnt(6) lgkmcnt(0)
	v_mul_f64 v[127:128], v[115:116], v[16:17]
	v_mul_f64 v[16:17], v[117:118], v[16:17]
	v_add_f64 v[8:9], v[31:32], 0
	v_add_f64 v[31:32], v[133:134], 0
	v_fma_f64 v[131:132], v[4:5], v[10:11], v[135:136]
	v_fma_f64 v[10:11], v[2:3], v[10:11], -v[12:13]
	v_fma_f64 v[117:118], v[117:118], v[14:15], v[127:128]
	v_fma_f64 v[14:15], v[115:116], v[14:15], -v[16:17]
	v_add_f64 v[12:13], v[8:9], v[6:7]
	v_add_f64 v[31:32], v[31:32], v[129:130]
	ds_load_b128 v[2:5], v1 offset:752
	ds_load_b128 v[6:9], v1 offset:768
	s_waitcnt vmcnt(5) lgkmcnt(1)
	v_mul_f64 v[129:130], v[2:3], v[20:21]
	v_mul_f64 v[20:21], v[4:5], v[20:21]
	s_waitcnt vmcnt(4) lgkmcnt(0)
	v_mul_f64 v[16:17], v[6:7], v[24:25]
	v_mul_f64 v[24:25], v[8:9], v[24:25]
	v_add_f64 v[10:11], v[12:13], v[10:11]
	v_add_f64 v[12:13], v[31:32], v[131:132]
	v_fma_f64 v[31:32], v[4:5], v[18:19], v[129:130]
	v_fma_f64 v[18:19], v[2:3], v[18:19], -v[20:21]
	v_fma_f64 v[8:9], v[8:9], v[22:23], v[16:17]
	v_fma_f64 v[6:7], v[6:7], v[22:23], -v[24:25]
	v_add_f64 v[14:15], v[10:11], v[14:15]
	v_add_f64 v[20:21], v[12:13], v[117:118]
	ds_load_b128 v[2:5], v1 offset:784
	ds_load_b128 v[10:13], v1 offset:800
	s_waitcnt vmcnt(3) lgkmcnt(1)
	v_mul_f64 v[115:116], v[2:3], v[29:30]
	v_mul_f64 v[29:30], v[4:5], v[29:30]
	v_add_f64 v[14:15], v[14:15], v[18:19]
	v_add_f64 v[16:17], v[20:21], v[31:32]
	s_waitcnt vmcnt(2) lgkmcnt(0)
	v_mul_f64 v[18:19], v[10:11], v[113:114]
	v_mul_f64 v[20:21], v[12:13], v[113:114]
	v_fma_f64 v[22:23], v[4:5], v[27:28], v[115:116]
	v_fma_f64 v[24:25], v[2:3], v[27:28], -v[29:30]
	ds_load_b128 v[2:5], v1 offset:816
	v_add_f64 v[6:7], v[14:15], v[6:7]
	v_add_f64 v[8:9], v[16:17], v[8:9]
	v_fma_f64 v[12:13], v[12:13], v[111:112], v[18:19]
	v_fma_f64 v[10:11], v[10:11], v[111:112], -v[20:21]
	s_waitcnt vmcnt(1) lgkmcnt(0)
	v_mul_f64 v[14:15], v[2:3], v[121:122]
	v_mul_f64 v[16:17], v[4:5], v[121:122]
	v_add_f64 v[6:7], v[6:7], v[24:25]
	v_add_f64 v[8:9], v[8:9], v[22:23]
	s_delay_alu instid0(VALU_DEP_4) | instskip(NEXT) | instid1(VALU_DEP_4)
	v_fma_f64 v[4:5], v[4:5], v[119:120], v[14:15]
	v_fma_f64 v[2:3], v[2:3], v[119:120], -v[16:17]
	s_delay_alu instid0(VALU_DEP_4) | instskip(NEXT) | instid1(VALU_DEP_4)
	v_add_f64 v[6:7], v[6:7], v[10:11]
	v_add_f64 v[8:9], v[8:9], v[12:13]
	s_delay_alu instid0(VALU_DEP_2) | instskip(NEXT) | instid1(VALU_DEP_2)
	v_add_f64 v[2:3], v[6:7], v[2:3]
	v_add_f64 v[4:5], v[8:9], v[4:5]
	s_waitcnt vmcnt(0)
	s_delay_alu instid0(VALU_DEP_2) | instskip(NEXT) | instid1(VALU_DEP_2)
	v_add_f64 v[2:3], v[123:124], -v[2:3]
	v_add_f64 v[4:5], v[125:126], -v[4:5]
	scratch_store_b128 off, v[2:5], off offset:256
	v_cmpx_lt_u32_e32 15, v85
	s_cbranch_execz .LBB25_139
; %bb.138:
	scratch_load_b128 v[5:8], v107, off
	v_mov_b32_e32 v2, v1
	v_mov_b32_e32 v3, v1
	v_mov_b32_e32 v4, v1
	scratch_store_b128 off, v[1:4], off offset:240
	s_waitcnt vmcnt(0)
	ds_store_b128 v26, v[5:8]
.LBB25_139:
	s_or_b32 exec_lo, exec_lo, s2
	s_waitcnt lgkmcnt(0)
	s_waitcnt_vscnt null, 0x0
	s_barrier
	buffer_gl0_inv
	s_clause 0x8
	scratch_load_b128 v[2:5], off, off offset:256
	scratch_load_b128 v[6:9], off, off offset:272
	;; [unrolled: 1-line block ×9, first 2 shown]
	ds_load_b128 v[119:122], v1 offset:672
	ds_load_b128 v[123:126], v1 offset:688
	s_clause 0x1
	scratch_load_b128 v[127:130], off, off offset:240
	scratch_load_b128 v[131:134], off, off offset:400
	s_mov_b32 s2, exec_lo
	s_waitcnt vmcnt(10) lgkmcnt(1)
	v_mul_f64 v[31:32], v[121:122], v[4:5]
	v_mul_f64 v[4:5], v[119:120], v[4:5]
	s_waitcnt vmcnt(9) lgkmcnt(0)
	v_mul_f64 v[135:136], v[123:124], v[8:9]
	v_mul_f64 v[8:9], v[125:126], v[8:9]
	s_delay_alu instid0(VALU_DEP_4) | instskip(NEXT) | instid1(VALU_DEP_4)
	v_fma_f64 v[31:32], v[119:120], v[2:3], -v[31:32]
	v_fma_f64 v[137:138], v[121:122], v[2:3], v[4:5]
	ds_load_b128 v[2:5], v1 offset:704
	ds_load_b128 v[119:122], v1 offset:720
	v_fma_f64 v[125:126], v[125:126], v[6:7], v[135:136]
	v_fma_f64 v[6:7], v[123:124], v[6:7], -v[8:9]
	s_waitcnt vmcnt(8) lgkmcnt(1)
	v_mul_f64 v[139:140], v[2:3], v[12:13]
	v_mul_f64 v[12:13], v[4:5], v[12:13]
	s_waitcnt vmcnt(7) lgkmcnt(0)
	v_mul_f64 v[123:124], v[119:120], v[16:17]
	v_mul_f64 v[16:17], v[121:122], v[16:17]
	v_add_f64 v[8:9], v[31:32], 0
	v_add_f64 v[31:32], v[137:138], 0
	v_fma_f64 v[135:136], v[4:5], v[10:11], v[139:140]
	v_fma_f64 v[10:11], v[2:3], v[10:11], -v[12:13]
	v_fma_f64 v[121:122], v[121:122], v[14:15], v[123:124]
	v_fma_f64 v[14:15], v[119:120], v[14:15], -v[16:17]
	v_add_f64 v[12:13], v[8:9], v[6:7]
	v_add_f64 v[31:32], v[31:32], v[125:126]
	ds_load_b128 v[2:5], v1 offset:736
	ds_load_b128 v[6:9], v1 offset:752
	s_waitcnt vmcnt(6) lgkmcnt(1)
	v_mul_f64 v[125:126], v[2:3], v[20:21]
	v_mul_f64 v[20:21], v[4:5], v[20:21]
	s_waitcnt vmcnt(5) lgkmcnt(0)
	v_mul_f64 v[16:17], v[6:7], v[24:25]
	v_mul_f64 v[24:25], v[8:9], v[24:25]
	v_add_f64 v[10:11], v[12:13], v[10:11]
	v_add_f64 v[12:13], v[31:32], v[135:136]
	v_fma_f64 v[31:32], v[4:5], v[18:19], v[125:126]
	v_fma_f64 v[18:19], v[2:3], v[18:19], -v[20:21]
	v_fma_f64 v[8:9], v[8:9], v[22:23], v[16:17]
	v_fma_f64 v[6:7], v[6:7], v[22:23], -v[24:25]
	v_add_f64 v[14:15], v[10:11], v[14:15]
	v_add_f64 v[20:21], v[12:13], v[121:122]
	ds_load_b128 v[2:5], v1 offset:768
	ds_load_b128 v[10:13], v1 offset:784
	s_waitcnt vmcnt(4) lgkmcnt(1)
	v_mul_f64 v[119:120], v[2:3], v[29:30]
	v_mul_f64 v[29:30], v[4:5], v[29:30]
	v_add_f64 v[14:15], v[14:15], v[18:19]
	v_add_f64 v[16:17], v[20:21], v[31:32]
	s_waitcnt vmcnt(3) lgkmcnt(0)
	v_mul_f64 v[18:19], v[10:11], v[113:114]
	v_mul_f64 v[20:21], v[12:13], v[113:114]
	v_fma_f64 v[22:23], v[4:5], v[27:28], v[119:120]
	v_fma_f64 v[24:25], v[2:3], v[27:28], -v[29:30]
	v_add_f64 v[14:15], v[14:15], v[6:7]
	v_add_f64 v[16:17], v[16:17], v[8:9]
	ds_load_b128 v[2:5], v1 offset:800
	ds_load_b128 v[6:9], v1 offset:816
	v_fma_f64 v[12:13], v[12:13], v[111:112], v[18:19]
	v_fma_f64 v[10:11], v[10:11], v[111:112], -v[20:21]
	s_waitcnt vmcnt(2) lgkmcnt(1)
	v_mul_f64 v[27:28], v[2:3], v[117:118]
	v_mul_f64 v[29:30], v[4:5], v[117:118]
	s_waitcnt vmcnt(0) lgkmcnt(0)
	v_mul_f64 v[18:19], v[6:7], v[133:134]
	v_mul_f64 v[20:21], v[8:9], v[133:134]
	v_add_f64 v[14:15], v[14:15], v[24:25]
	v_add_f64 v[16:17], v[16:17], v[22:23]
	v_fma_f64 v[4:5], v[4:5], v[115:116], v[27:28]
	v_fma_f64 v[1:2], v[2:3], v[115:116], -v[29:30]
	v_fma_f64 v[8:9], v[8:9], v[131:132], v[18:19]
	v_fma_f64 v[6:7], v[6:7], v[131:132], -v[20:21]
	v_add_f64 v[10:11], v[14:15], v[10:11]
	v_add_f64 v[12:13], v[16:17], v[12:13]
	s_delay_alu instid0(VALU_DEP_2) | instskip(NEXT) | instid1(VALU_DEP_2)
	v_add_f64 v[1:2], v[10:11], v[1:2]
	v_add_f64 v[3:4], v[12:13], v[4:5]
	s_delay_alu instid0(VALU_DEP_2) | instskip(NEXT) | instid1(VALU_DEP_2)
	v_add_f64 v[1:2], v[1:2], v[6:7]
	v_add_f64 v[3:4], v[3:4], v[8:9]
	s_delay_alu instid0(VALU_DEP_2) | instskip(NEXT) | instid1(VALU_DEP_2)
	v_add_f64 v[1:2], v[127:128], -v[1:2]
	v_add_f64 v[3:4], v[129:130], -v[3:4]
	scratch_store_b128 off, v[1:4], off offset:240
	v_cmpx_lt_u32_e32 14, v85
	s_cbranch_execz .LBB25_141
; %bb.140:
	scratch_load_b128 v[1:4], v108, off
	v_mov_b32_e32 v5, 0
	s_delay_alu instid0(VALU_DEP_1)
	v_mov_b32_e32 v6, v5
	v_mov_b32_e32 v7, v5
	;; [unrolled: 1-line block ×3, first 2 shown]
	scratch_store_b128 off, v[5:8], off offset:224
	s_waitcnt vmcnt(0)
	ds_store_b128 v26, v[1:4]
.LBB25_141:
	s_or_b32 exec_lo, exec_lo, s2
	s_waitcnt lgkmcnt(0)
	s_waitcnt_vscnt null, 0x0
	s_barrier
	buffer_gl0_inv
	s_clause 0x7
	scratch_load_b128 v[2:5], off, off offset:240
	scratch_load_b128 v[6:9], off, off offset:256
	;; [unrolled: 1-line block ×8, first 2 shown]
	v_mov_b32_e32 v1, 0
	s_clause 0x1
	scratch_load_b128 v[119:122], off, off offset:368
	scratch_load_b128 v[127:130], off, off offset:384
	s_mov_b32 s2, exec_lo
	ds_load_b128 v[115:118], v1 offset:656
	ds_load_b128 v[123:126], v1 offset:672
	s_waitcnt vmcnt(9) lgkmcnt(1)
	v_mul_f64 v[31:32], v[117:118], v[4:5]
	v_mul_f64 v[4:5], v[115:116], v[4:5]
	s_waitcnt vmcnt(8) lgkmcnt(0)
	v_mul_f64 v[131:132], v[123:124], v[8:9]
	v_mul_f64 v[8:9], v[125:126], v[8:9]
	s_delay_alu instid0(VALU_DEP_4) | instskip(NEXT) | instid1(VALU_DEP_4)
	v_fma_f64 v[31:32], v[115:116], v[2:3], -v[31:32]
	v_fma_f64 v[133:134], v[117:118], v[2:3], v[4:5]
	ds_load_b128 v[2:5], v1 offset:688
	scratch_load_b128 v[115:118], off, off offset:400
	v_fma_f64 v[125:126], v[125:126], v[6:7], v[131:132]
	v_fma_f64 v[123:124], v[123:124], v[6:7], -v[8:9]
	ds_load_b128 v[6:9], v1 offset:704
	s_waitcnt vmcnt(8) lgkmcnt(1)
	v_mul_f64 v[135:136], v[2:3], v[12:13]
	v_mul_f64 v[12:13], v[4:5], v[12:13]
	v_add_f64 v[31:32], v[31:32], 0
	v_add_f64 v[131:132], v[133:134], 0
	s_waitcnt vmcnt(7) lgkmcnt(0)
	v_mul_f64 v[133:134], v[6:7], v[16:17]
	v_mul_f64 v[16:17], v[8:9], v[16:17]
	v_fma_f64 v[135:136], v[4:5], v[10:11], v[135:136]
	v_fma_f64 v[10:11], v[2:3], v[10:11], -v[12:13]
	ds_load_b128 v[2:5], v1 offset:720
	v_add_f64 v[12:13], v[31:32], v[123:124]
	v_add_f64 v[31:32], v[131:132], v[125:126]
	v_fma_f64 v[125:126], v[8:9], v[14:15], v[133:134]
	v_fma_f64 v[14:15], v[6:7], v[14:15], -v[16:17]
	ds_load_b128 v[6:9], v1 offset:736
	s_waitcnt vmcnt(6) lgkmcnt(1)
	v_mul_f64 v[123:124], v[2:3], v[20:21]
	v_mul_f64 v[20:21], v[4:5], v[20:21]
	s_waitcnt vmcnt(5) lgkmcnt(0)
	v_mul_f64 v[131:132], v[6:7], v[24:25]
	v_mul_f64 v[24:25], v[8:9], v[24:25]
	v_add_f64 v[16:17], v[12:13], v[10:11]
	v_add_f64 v[31:32], v[31:32], v[135:136]
	scratch_load_b128 v[10:13], off, off offset:224
	v_fma_f64 v[123:124], v[4:5], v[18:19], v[123:124]
	v_fma_f64 v[18:19], v[2:3], v[18:19], -v[20:21]
	ds_load_b128 v[2:5], v1 offset:752
	v_add_f64 v[14:15], v[16:17], v[14:15]
	v_add_f64 v[16:17], v[31:32], v[125:126]
	v_fma_f64 v[31:32], v[8:9], v[22:23], v[131:132]
	v_fma_f64 v[22:23], v[6:7], v[22:23], -v[24:25]
	ds_load_b128 v[6:9], v1 offset:768
	s_waitcnt vmcnt(5) lgkmcnt(1)
	v_mul_f64 v[20:21], v[2:3], v[29:30]
	v_mul_f64 v[29:30], v[4:5], v[29:30]
	s_waitcnt vmcnt(4) lgkmcnt(0)
	v_mul_f64 v[24:25], v[8:9], v[113:114]
	v_add_f64 v[14:15], v[14:15], v[18:19]
	v_add_f64 v[16:17], v[16:17], v[123:124]
	v_mul_f64 v[18:19], v[6:7], v[113:114]
	v_fma_f64 v[20:21], v[4:5], v[27:28], v[20:21]
	v_fma_f64 v[27:28], v[2:3], v[27:28], -v[29:30]
	ds_load_b128 v[2:5], v1 offset:784
	v_fma_f64 v[24:25], v[6:7], v[111:112], -v[24:25]
	v_add_f64 v[14:15], v[14:15], v[22:23]
	v_add_f64 v[16:17], v[16:17], v[31:32]
	v_fma_f64 v[18:19], v[8:9], v[111:112], v[18:19]
	ds_load_b128 v[6:9], v1 offset:800
	s_waitcnt vmcnt(3) lgkmcnt(1)
	v_mul_f64 v[22:23], v[2:3], v[121:122]
	v_mul_f64 v[29:30], v[4:5], v[121:122]
	v_add_f64 v[14:15], v[14:15], v[27:28]
	v_add_f64 v[16:17], v[16:17], v[20:21]
	s_waitcnt vmcnt(2) lgkmcnt(0)
	v_mul_f64 v[20:21], v[6:7], v[129:130]
	v_mul_f64 v[27:28], v[8:9], v[129:130]
	v_fma_f64 v[22:23], v[4:5], v[119:120], v[22:23]
	v_fma_f64 v[29:30], v[2:3], v[119:120], -v[29:30]
	ds_load_b128 v[2:5], v1 offset:816
	v_add_f64 v[14:15], v[14:15], v[24:25]
	v_add_f64 v[16:17], v[16:17], v[18:19]
	v_fma_f64 v[8:9], v[8:9], v[127:128], v[20:21]
	v_fma_f64 v[6:7], v[6:7], v[127:128], -v[27:28]
	s_waitcnt vmcnt(1) lgkmcnt(0)
	v_mul_f64 v[18:19], v[2:3], v[117:118]
	v_mul_f64 v[24:25], v[4:5], v[117:118]
	v_add_f64 v[14:15], v[14:15], v[29:30]
	v_add_f64 v[16:17], v[16:17], v[22:23]
	s_delay_alu instid0(VALU_DEP_4) | instskip(NEXT) | instid1(VALU_DEP_4)
	v_fma_f64 v[4:5], v[4:5], v[115:116], v[18:19]
	v_fma_f64 v[2:3], v[2:3], v[115:116], -v[24:25]
	s_delay_alu instid0(VALU_DEP_4) | instskip(NEXT) | instid1(VALU_DEP_4)
	v_add_f64 v[6:7], v[14:15], v[6:7]
	v_add_f64 v[8:9], v[16:17], v[8:9]
	s_delay_alu instid0(VALU_DEP_2) | instskip(NEXT) | instid1(VALU_DEP_2)
	v_add_f64 v[2:3], v[6:7], v[2:3]
	v_add_f64 v[4:5], v[8:9], v[4:5]
	s_waitcnt vmcnt(0)
	s_delay_alu instid0(VALU_DEP_2) | instskip(NEXT) | instid1(VALU_DEP_2)
	v_add_f64 v[2:3], v[10:11], -v[2:3]
	v_add_f64 v[4:5], v[12:13], -v[4:5]
	scratch_store_b128 off, v[2:5], off offset:224
	v_cmpx_lt_u32_e32 13, v85
	s_cbranch_execz .LBB25_143
; %bb.142:
	scratch_load_b128 v[5:8], v109, off
	v_mov_b32_e32 v2, v1
	v_mov_b32_e32 v3, v1
	;; [unrolled: 1-line block ×3, first 2 shown]
	scratch_store_b128 off, v[1:4], off offset:208
	s_waitcnt vmcnt(0)
	ds_store_b128 v26, v[5:8]
.LBB25_143:
	s_or_b32 exec_lo, exec_lo, s2
	s_waitcnt lgkmcnt(0)
	s_waitcnt_vscnt null, 0x0
	s_barrier
	buffer_gl0_inv
	s_clause 0x7
	scratch_load_b128 v[2:5], off, off offset:224
	scratch_load_b128 v[6:9], off, off offset:240
	;; [unrolled: 1-line block ×8, first 2 shown]
	ds_load_b128 v[115:118], v1 offset:640
	ds_load_b128 v[123:126], v1 offset:656
	s_clause 0x1
	scratch_load_b128 v[119:122], off, off offset:352
	scratch_load_b128 v[127:130], off, off offset:368
	s_mov_b32 s2, exec_lo
	s_waitcnt vmcnt(9) lgkmcnt(1)
	v_mul_f64 v[31:32], v[117:118], v[4:5]
	v_mul_f64 v[4:5], v[115:116], v[4:5]
	s_waitcnt vmcnt(8) lgkmcnt(0)
	v_mul_f64 v[131:132], v[123:124], v[8:9]
	v_mul_f64 v[8:9], v[125:126], v[8:9]
	s_delay_alu instid0(VALU_DEP_4) | instskip(NEXT) | instid1(VALU_DEP_4)
	v_fma_f64 v[31:32], v[115:116], v[2:3], -v[31:32]
	v_fma_f64 v[133:134], v[117:118], v[2:3], v[4:5]
	scratch_load_b128 v[115:118], off, off offset:384
	ds_load_b128 v[2:5], v1 offset:672
	v_fma_f64 v[131:132], v[125:126], v[6:7], v[131:132]
	v_fma_f64 v[137:138], v[123:124], v[6:7], -v[8:9]
	ds_load_b128 v[6:9], v1 offset:688
	scratch_load_b128 v[123:126], off, off offset:400
	s_waitcnt vmcnt(9) lgkmcnt(1)
	v_mul_f64 v[135:136], v[2:3], v[12:13]
	v_mul_f64 v[12:13], v[4:5], v[12:13]
	s_waitcnt vmcnt(8) lgkmcnt(0)
	v_mul_f64 v[139:140], v[6:7], v[16:17]
	v_mul_f64 v[16:17], v[8:9], v[16:17]
	v_add_f64 v[31:32], v[31:32], 0
	v_add_f64 v[133:134], v[133:134], 0
	v_fma_f64 v[135:136], v[4:5], v[10:11], v[135:136]
	v_fma_f64 v[10:11], v[2:3], v[10:11], -v[12:13]
	ds_load_b128 v[2:5], v1 offset:704
	v_add_f64 v[12:13], v[31:32], v[137:138]
	v_add_f64 v[31:32], v[133:134], v[131:132]
	v_fma_f64 v[133:134], v[8:9], v[14:15], v[139:140]
	v_fma_f64 v[14:15], v[6:7], v[14:15], -v[16:17]
	ds_load_b128 v[6:9], v1 offset:720
	s_waitcnt vmcnt(7) lgkmcnt(1)
	v_mul_f64 v[131:132], v[2:3], v[20:21]
	v_mul_f64 v[20:21], v[4:5], v[20:21]
	s_waitcnt vmcnt(6) lgkmcnt(0)
	v_mul_f64 v[16:17], v[6:7], v[24:25]
	v_mul_f64 v[24:25], v[8:9], v[24:25]
	v_add_f64 v[10:11], v[12:13], v[10:11]
	v_add_f64 v[12:13], v[31:32], v[135:136]
	v_fma_f64 v[31:32], v[4:5], v[18:19], v[131:132]
	v_fma_f64 v[18:19], v[2:3], v[18:19], -v[20:21]
	ds_load_b128 v[2:5], v1 offset:736
	v_fma_f64 v[16:17], v[8:9], v[22:23], v[16:17]
	v_fma_f64 v[22:23], v[6:7], v[22:23], -v[24:25]
	ds_load_b128 v[6:9], v1 offset:752
	s_waitcnt vmcnt(5) lgkmcnt(1)
	v_mul_f64 v[131:132], v[2:3], v[29:30]
	v_mul_f64 v[29:30], v[4:5], v[29:30]
	v_add_f64 v[14:15], v[10:11], v[14:15]
	v_add_f64 v[20:21], v[12:13], v[133:134]
	scratch_load_b128 v[10:13], off, off offset:208
	s_waitcnt vmcnt(5) lgkmcnt(0)
	v_mul_f64 v[24:25], v[8:9], v[113:114]
	v_add_f64 v[14:15], v[14:15], v[18:19]
	v_add_f64 v[18:19], v[20:21], v[31:32]
	v_mul_f64 v[20:21], v[6:7], v[113:114]
	v_fma_f64 v[31:32], v[4:5], v[27:28], v[131:132]
	v_fma_f64 v[27:28], v[2:3], v[27:28], -v[29:30]
	ds_load_b128 v[2:5], v1 offset:768
	v_fma_f64 v[24:25], v[6:7], v[111:112], -v[24:25]
	v_add_f64 v[14:15], v[14:15], v[22:23]
	v_add_f64 v[16:17], v[18:19], v[16:17]
	v_fma_f64 v[20:21], v[8:9], v[111:112], v[20:21]
	ds_load_b128 v[6:9], v1 offset:784
	s_waitcnt vmcnt(4) lgkmcnt(1)
	v_mul_f64 v[18:19], v[2:3], v[121:122]
	v_mul_f64 v[22:23], v[4:5], v[121:122]
	s_waitcnt vmcnt(3) lgkmcnt(0)
	v_mul_f64 v[29:30], v[8:9], v[129:130]
	v_add_f64 v[14:15], v[14:15], v[27:28]
	v_add_f64 v[16:17], v[16:17], v[31:32]
	v_mul_f64 v[27:28], v[6:7], v[129:130]
	v_fma_f64 v[18:19], v[4:5], v[119:120], v[18:19]
	v_fma_f64 v[22:23], v[2:3], v[119:120], -v[22:23]
	ds_load_b128 v[2:5], v1 offset:800
	v_fma_f64 v[29:30], v[6:7], v[127:128], -v[29:30]
	v_add_f64 v[14:15], v[14:15], v[24:25]
	v_add_f64 v[16:17], v[16:17], v[20:21]
	v_fma_f64 v[27:28], v[8:9], v[127:128], v[27:28]
	ds_load_b128 v[6:9], v1 offset:816
	s_waitcnt vmcnt(2) lgkmcnt(1)
	v_mul_f64 v[20:21], v[2:3], v[117:118]
	v_mul_f64 v[24:25], v[4:5], v[117:118]
	v_add_f64 v[14:15], v[14:15], v[22:23]
	v_add_f64 v[16:17], v[16:17], v[18:19]
	s_waitcnt vmcnt(1) lgkmcnt(0)
	v_mul_f64 v[18:19], v[6:7], v[125:126]
	v_mul_f64 v[22:23], v[8:9], v[125:126]
	v_fma_f64 v[4:5], v[4:5], v[115:116], v[20:21]
	v_fma_f64 v[1:2], v[2:3], v[115:116], -v[24:25]
	v_add_f64 v[14:15], v[14:15], v[29:30]
	v_add_f64 v[16:17], v[16:17], v[27:28]
	v_fma_f64 v[8:9], v[8:9], v[123:124], v[18:19]
	v_fma_f64 v[6:7], v[6:7], v[123:124], -v[22:23]
	s_delay_alu instid0(VALU_DEP_4) | instskip(NEXT) | instid1(VALU_DEP_4)
	v_add_f64 v[1:2], v[14:15], v[1:2]
	v_add_f64 v[3:4], v[16:17], v[4:5]
	s_delay_alu instid0(VALU_DEP_2) | instskip(NEXT) | instid1(VALU_DEP_2)
	v_add_f64 v[1:2], v[1:2], v[6:7]
	v_add_f64 v[3:4], v[3:4], v[8:9]
	s_waitcnt vmcnt(0)
	s_delay_alu instid0(VALU_DEP_2) | instskip(NEXT) | instid1(VALU_DEP_2)
	v_add_f64 v[1:2], v[10:11], -v[1:2]
	v_add_f64 v[3:4], v[12:13], -v[3:4]
	scratch_store_b128 off, v[1:4], off offset:208
	v_cmpx_lt_u32_e32 12, v85
	s_cbranch_execz .LBB25_145
; %bb.144:
	scratch_load_b128 v[1:4], v110, off
	v_mov_b32_e32 v5, 0
	s_delay_alu instid0(VALU_DEP_1)
	v_mov_b32_e32 v6, v5
	v_mov_b32_e32 v7, v5
	v_mov_b32_e32 v8, v5
	scratch_store_b128 off, v[5:8], off offset:192
	s_waitcnt vmcnt(0)
	ds_store_b128 v26, v[1:4]
.LBB25_145:
	s_or_b32 exec_lo, exec_lo, s2
	s_waitcnt lgkmcnt(0)
	s_waitcnt_vscnt null, 0x0
	s_barrier
	buffer_gl0_inv
	s_clause 0x7
	scratch_load_b128 v[2:5], off, off offset:208
	scratch_load_b128 v[6:9], off, off offset:224
	;; [unrolled: 1-line block ×8, first 2 shown]
	v_mov_b32_e32 v1, 0
	s_clause 0x1
	scratch_load_b128 v[119:122], off, off offset:336
	scratch_load_b128 v[127:130], off, off offset:352
	s_mov_b32 s2, exec_lo
	ds_load_b128 v[115:118], v1 offset:624
	ds_load_b128 v[123:126], v1 offset:640
	s_waitcnt vmcnt(9) lgkmcnt(1)
	v_mul_f64 v[31:32], v[117:118], v[4:5]
	v_mul_f64 v[4:5], v[115:116], v[4:5]
	s_waitcnt vmcnt(8) lgkmcnt(0)
	v_mul_f64 v[131:132], v[123:124], v[8:9]
	v_mul_f64 v[8:9], v[125:126], v[8:9]
	s_delay_alu instid0(VALU_DEP_4) | instskip(NEXT) | instid1(VALU_DEP_4)
	v_fma_f64 v[31:32], v[115:116], v[2:3], -v[31:32]
	v_fma_f64 v[133:134], v[117:118], v[2:3], v[4:5]
	ds_load_b128 v[2:5], v1 offset:656
	scratch_load_b128 v[115:118], off, off offset:368
	v_fma_f64 v[131:132], v[125:126], v[6:7], v[131:132]
	v_fma_f64 v[137:138], v[123:124], v[6:7], -v[8:9]
	ds_load_b128 v[6:9], v1 offset:672
	scratch_load_b128 v[123:126], off, off offset:384
	s_waitcnt vmcnt(9) lgkmcnt(1)
	v_mul_f64 v[135:136], v[2:3], v[12:13]
	v_mul_f64 v[12:13], v[4:5], v[12:13]
	s_waitcnt vmcnt(8) lgkmcnt(0)
	v_mul_f64 v[139:140], v[6:7], v[16:17]
	v_mul_f64 v[16:17], v[8:9], v[16:17]
	v_add_f64 v[31:32], v[31:32], 0
	v_add_f64 v[133:134], v[133:134], 0
	v_fma_f64 v[135:136], v[4:5], v[10:11], v[135:136]
	v_fma_f64 v[141:142], v[2:3], v[10:11], -v[12:13]
	scratch_load_b128 v[10:13], off, off offset:400
	ds_load_b128 v[2:5], v1 offset:688
	v_add_f64 v[31:32], v[31:32], v[137:138]
	v_add_f64 v[131:132], v[133:134], v[131:132]
	v_fma_f64 v[137:138], v[8:9], v[14:15], v[139:140]
	v_fma_f64 v[14:15], v[6:7], v[14:15], -v[16:17]
	ds_load_b128 v[6:9], v1 offset:704
	s_waitcnt vmcnt(8) lgkmcnt(1)
	v_mul_f64 v[133:134], v[2:3], v[20:21]
	v_mul_f64 v[20:21], v[4:5], v[20:21]
	v_add_f64 v[16:17], v[31:32], v[141:142]
	v_add_f64 v[31:32], v[131:132], v[135:136]
	s_waitcnt vmcnt(7) lgkmcnt(0)
	v_mul_f64 v[131:132], v[6:7], v[24:25]
	v_mul_f64 v[24:25], v[8:9], v[24:25]
	v_fma_f64 v[133:134], v[4:5], v[18:19], v[133:134]
	v_fma_f64 v[18:19], v[2:3], v[18:19], -v[20:21]
	ds_load_b128 v[2:5], v1 offset:720
	v_add_f64 v[14:15], v[16:17], v[14:15]
	v_add_f64 v[16:17], v[31:32], v[137:138]
	v_fma_f64 v[31:32], v[8:9], v[22:23], v[131:132]
	v_fma_f64 v[22:23], v[6:7], v[22:23], -v[24:25]
	ds_load_b128 v[6:9], v1 offset:736
	s_waitcnt vmcnt(6) lgkmcnt(1)
	v_mul_f64 v[20:21], v[2:3], v[29:30]
	v_mul_f64 v[29:30], v[4:5], v[29:30]
	s_waitcnt vmcnt(5) lgkmcnt(0)
	v_mul_f64 v[131:132], v[6:7], v[113:114]
	v_mul_f64 v[113:114], v[8:9], v[113:114]
	v_add_f64 v[18:19], v[14:15], v[18:19]
	v_add_f64 v[24:25], v[16:17], v[133:134]
	scratch_load_b128 v[14:17], off, off offset:192
	v_fma_f64 v[20:21], v[4:5], v[27:28], v[20:21]
	v_fma_f64 v[27:28], v[2:3], v[27:28], -v[29:30]
	ds_load_b128 v[2:5], v1 offset:752
	v_add_f64 v[18:19], v[18:19], v[22:23]
	v_add_f64 v[22:23], v[24:25], v[31:32]
	v_fma_f64 v[31:32], v[8:9], v[111:112], v[131:132]
	v_fma_f64 v[111:112], v[6:7], v[111:112], -v[113:114]
	ds_load_b128 v[6:9], v1 offset:768
	s_waitcnt vmcnt(5) lgkmcnt(1)
	v_mul_f64 v[24:25], v[2:3], v[121:122]
	v_mul_f64 v[29:30], v[4:5], v[121:122]
	v_add_f64 v[18:19], v[18:19], v[27:28]
	v_add_f64 v[20:21], v[22:23], v[20:21]
	s_waitcnt vmcnt(4) lgkmcnt(0)
	v_mul_f64 v[22:23], v[6:7], v[129:130]
	v_mul_f64 v[27:28], v[8:9], v[129:130]
	v_fma_f64 v[24:25], v[4:5], v[119:120], v[24:25]
	v_fma_f64 v[29:30], v[2:3], v[119:120], -v[29:30]
	ds_load_b128 v[2:5], v1 offset:784
	v_add_f64 v[18:19], v[18:19], v[111:112]
	v_add_f64 v[20:21], v[20:21], v[31:32]
	v_fma_f64 v[22:23], v[8:9], v[127:128], v[22:23]
	v_fma_f64 v[27:28], v[6:7], v[127:128], -v[27:28]
	ds_load_b128 v[6:9], v1 offset:800
	s_waitcnt vmcnt(3) lgkmcnt(1)
	v_mul_f64 v[31:32], v[2:3], v[117:118]
	v_mul_f64 v[111:112], v[4:5], v[117:118]
	v_add_f64 v[18:19], v[18:19], v[29:30]
	v_add_f64 v[20:21], v[20:21], v[24:25]
	s_waitcnt vmcnt(2) lgkmcnt(0)
	v_mul_f64 v[24:25], v[6:7], v[125:126]
	v_mul_f64 v[29:30], v[8:9], v[125:126]
	v_fma_f64 v[31:32], v[4:5], v[115:116], v[31:32]
	v_fma_f64 v[111:112], v[2:3], v[115:116], -v[111:112]
	ds_load_b128 v[2:5], v1 offset:816
	v_add_f64 v[18:19], v[18:19], v[27:28]
	v_add_f64 v[20:21], v[20:21], v[22:23]
	v_fma_f64 v[8:9], v[8:9], v[123:124], v[24:25]
	s_waitcnt vmcnt(1) lgkmcnt(0)
	v_mul_f64 v[22:23], v[2:3], v[12:13]
	v_mul_f64 v[12:13], v[4:5], v[12:13]
	v_fma_f64 v[6:7], v[6:7], v[123:124], -v[29:30]
	v_add_f64 v[18:19], v[18:19], v[111:112]
	v_add_f64 v[20:21], v[20:21], v[31:32]
	v_fma_f64 v[4:5], v[4:5], v[10:11], v[22:23]
	v_fma_f64 v[2:3], v[2:3], v[10:11], -v[12:13]
	s_delay_alu instid0(VALU_DEP_4) | instskip(NEXT) | instid1(VALU_DEP_4)
	v_add_f64 v[6:7], v[18:19], v[6:7]
	v_add_f64 v[8:9], v[20:21], v[8:9]
	s_delay_alu instid0(VALU_DEP_2) | instskip(NEXT) | instid1(VALU_DEP_2)
	v_add_f64 v[2:3], v[6:7], v[2:3]
	v_add_f64 v[4:5], v[8:9], v[4:5]
	s_waitcnt vmcnt(0)
	s_delay_alu instid0(VALU_DEP_2) | instskip(NEXT) | instid1(VALU_DEP_2)
	v_add_f64 v[2:3], v[14:15], -v[2:3]
	v_add_f64 v[4:5], v[16:17], -v[4:5]
	scratch_store_b128 off, v[2:5], off offset:192
	v_cmpx_lt_u32_e32 11, v85
	s_cbranch_execz .LBB25_147
; %bb.146:
	scratch_load_b128 v[5:8], v99, off
	v_mov_b32_e32 v2, v1
	v_mov_b32_e32 v3, v1
	v_mov_b32_e32 v4, v1
	scratch_store_b128 off, v[1:4], off offset:176
	s_waitcnt vmcnt(0)
	ds_store_b128 v26, v[5:8]
.LBB25_147:
	s_or_b32 exec_lo, exec_lo, s2
	s_waitcnt lgkmcnt(0)
	s_waitcnt_vscnt null, 0x0
	s_barrier
	buffer_gl0_inv
	s_clause 0x7
	scratch_load_b128 v[2:5], off, off offset:192
	scratch_load_b128 v[6:9], off, off offset:208
	;; [unrolled: 1-line block ×8, first 2 shown]
	ds_load_b128 v[115:118], v1 offset:608
	ds_load_b128 v[123:126], v1 offset:624
	s_clause 0x1
	scratch_load_b128 v[119:122], off, off offset:320
	scratch_load_b128 v[127:130], off, off offset:336
	s_mov_b32 s2, exec_lo
	s_waitcnt vmcnt(9) lgkmcnt(1)
	v_mul_f64 v[31:32], v[117:118], v[4:5]
	v_mul_f64 v[4:5], v[115:116], v[4:5]
	s_waitcnt vmcnt(8) lgkmcnt(0)
	v_mul_f64 v[131:132], v[123:124], v[8:9]
	v_mul_f64 v[8:9], v[125:126], v[8:9]
	s_delay_alu instid0(VALU_DEP_4) | instskip(NEXT) | instid1(VALU_DEP_4)
	v_fma_f64 v[31:32], v[115:116], v[2:3], -v[31:32]
	v_fma_f64 v[133:134], v[117:118], v[2:3], v[4:5]
	scratch_load_b128 v[115:118], off, off offset:352
	ds_load_b128 v[2:5], v1 offset:640
	v_fma_f64 v[131:132], v[125:126], v[6:7], v[131:132]
	v_fma_f64 v[137:138], v[123:124], v[6:7], -v[8:9]
	ds_load_b128 v[6:9], v1 offset:656
	scratch_load_b128 v[123:126], off, off offset:368
	s_waitcnt vmcnt(9) lgkmcnt(1)
	v_mul_f64 v[135:136], v[2:3], v[12:13]
	v_mul_f64 v[12:13], v[4:5], v[12:13]
	s_waitcnt vmcnt(8) lgkmcnt(0)
	v_mul_f64 v[139:140], v[6:7], v[16:17]
	v_mul_f64 v[16:17], v[8:9], v[16:17]
	v_add_f64 v[31:32], v[31:32], 0
	v_add_f64 v[133:134], v[133:134], 0
	v_fma_f64 v[135:136], v[4:5], v[10:11], v[135:136]
	v_fma_f64 v[141:142], v[2:3], v[10:11], -v[12:13]
	scratch_load_b128 v[10:13], off, off offset:384
	ds_load_b128 v[2:5], v1 offset:672
	v_add_f64 v[31:32], v[31:32], v[137:138]
	v_add_f64 v[131:132], v[133:134], v[131:132]
	v_fma_f64 v[137:138], v[8:9], v[14:15], v[139:140]
	v_fma_f64 v[139:140], v[6:7], v[14:15], -v[16:17]
	ds_load_b128 v[6:9], v1 offset:688
	scratch_load_b128 v[14:17], off, off offset:400
	s_waitcnt vmcnt(9) lgkmcnt(1)
	v_mul_f64 v[133:134], v[2:3], v[20:21]
	v_mul_f64 v[20:21], v[4:5], v[20:21]
	v_add_f64 v[31:32], v[31:32], v[141:142]
	v_add_f64 v[131:132], v[131:132], v[135:136]
	s_waitcnt vmcnt(8) lgkmcnt(0)
	v_mul_f64 v[135:136], v[6:7], v[24:25]
	v_mul_f64 v[24:25], v[8:9], v[24:25]
	v_fma_f64 v[133:134], v[4:5], v[18:19], v[133:134]
	v_fma_f64 v[18:19], v[2:3], v[18:19], -v[20:21]
	ds_load_b128 v[2:5], v1 offset:704
	v_add_f64 v[20:21], v[31:32], v[139:140]
	v_add_f64 v[31:32], v[131:132], v[137:138]
	v_fma_f64 v[135:136], v[8:9], v[22:23], v[135:136]
	v_fma_f64 v[22:23], v[6:7], v[22:23], -v[24:25]
	ds_load_b128 v[6:9], v1 offset:720
	s_waitcnt vmcnt(7) lgkmcnt(1)
	v_mul_f64 v[131:132], v[2:3], v[29:30]
	v_mul_f64 v[29:30], v[4:5], v[29:30]
	s_waitcnt vmcnt(6) lgkmcnt(0)
	v_mul_f64 v[24:25], v[6:7], v[113:114]
	v_add_f64 v[18:19], v[20:21], v[18:19]
	v_add_f64 v[20:21], v[31:32], v[133:134]
	v_mul_f64 v[31:32], v[8:9], v[113:114]
	v_fma_f64 v[113:114], v[4:5], v[27:28], v[131:132]
	v_fma_f64 v[27:28], v[2:3], v[27:28], -v[29:30]
	ds_load_b128 v[2:5], v1 offset:736
	v_fma_f64 v[24:25], v[8:9], v[111:112], v[24:25]
	v_add_f64 v[22:23], v[18:19], v[22:23]
	v_add_f64 v[29:30], v[20:21], v[135:136]
	scratch_load_b128 v[18:21], off, off offset:176
	v_fma_f64 v[31:32], v[6:7], v[111:112], -v[31:32]
	ds_load_b128 v[6:9], v1 offset:752
	s_waitcnt vmcnt(6) lgkmcnt(1)
	v_mul_f64 v[131:132], v[2:3], v[121:122]
	v_mul_f64 v[121:122], v[4:5], v[121:122]
	s_waitcnt vmcnt(5) lgkmcnt(0)
	v_mul_f64 v[111:112], v[8:9], v[129:130]
	v_add_f64 v[22:23], v[22:23], v[27:28]
	v_add_f64 v[27:28], v[29:30], v[113:114]
	v_mul_f64 v[29:30], v[6:7], v[129:130]
	v_fma_f64 v[113:114], v[4:5], v[119:120], v[131:132]
	v_fma_f64 v[119:120], v[2:3], v[119:120], -v[121:122]
	ds_load_b128 v[2:5], v1 offset:768
	v_fma_f64 v[111:112], v[6:7], v[127:128], -v[111:112]
	v_add_f64 v[22:23], v[22:23], v[31:32]
	v_add_f64 v[24:25], v[27:28], v[24:25]
	v_fma_f64 v[29:30], v[8:9], v[127:128], v[29:30]
	ds_load_b128 v[6:9], v1 offset:784
	s_waitcnt vmcnt(4) lgkmcnt(1)
	v_mul_f64 v[27:28], v[2:3], v[117:118]
	v_mul_f64 v[31:32], v[4:5], v[117:118]
	s_waitcnt vmcnt(3) lgkmcnt(0)
	v_mul_f64 v[117:118], v[8:9], v[125:126]
	v_add_f64 v[22:23], v[22:23], v[119:120]
	v_add_f64 v[24:25], v[24:25], v[113:114]
	v_mul_f64 v[113:114], v[6:7], v[125:126]
	v_fma_f64 v[27:28], v[4:5], v[115:116], v[27:28]
	v_fma_f64 v[31:32], v[2:3], v[115:116], -v[31:32]
	ds_load_b128 v[2:5], v1 offset:800
	v_add_f64 v[22:23], v[22:23], v[111:112]
	v_add_f64 v[24:25], v[24:25], v[29:30]
	v_fma_f64 v[111:112], v[8:9], v[123:124], v[113:114]
	v_fma_f64 v[113:114], v[6:7], v[123:124], -v[117:118]
	ds_load_b128 v[6:9], v1 offset:816
	s_waitcnt vmcnt(2) lgkmcnt(1)
	v_mul_f64 v[29:30], v[2:3], v[12:13]
	v_mul_f64 v[12:13], v[4:5], v[12:13]
	v_add_f64 v[22:23], v[22:23], v[31:32]
	v_add_f64 v[24:25], v[24:25], v[27:28]
	s_waitcnt vmcnt(1) lgkmcnt(0)
	v_mul_f64 v[27:28], v[6:7], v[16:17]
	v_mul_f64 v[16:17], v[8:9], v[16:17]
	v_fma_f64 v[4:5], v[4:5], v[10:11], v[29:30]
	v_fma_f64 v[1:2], v[2:3], v[10:11], -v[12:13]
	v_add_f64 v[10:11], v[22:23], v[113:114]
	v_add_f64 v[12:13], v[24:25], v[111:112]
	v_fma_f64 v[8:9], v[8:9], v[14:15], v[27:28]
	v_fma_f64 v[6:7], v[6:7], v[14:15], -v[16:17]
	s_delay_alu instid0(VALU_DEP_4) | instskip(NEXT) | instid1(VALU_DEP_4)
	v_add_f64 v[1:2], v[10:11], v[1:2]
	v_add_f64 v[3:4], v[12:13], v[4:5]
	s_delay_alu instid0(VALU_DEP_2) | instskip(NEXT) | instid1(VALU_DEP_2)
	v_add_f64 v[1:2], v[1:2], v[6:7]
	v_add_f64 v[3:4], v[3:4], v[8:9]
	s_waitcnt vmcnt(0)
	s_delay_alu instid0(VALU_DEP_2) | instskip(NEXT) | instid1(VALU_DEP_2)
	v_add_f64 v[1:2], v[18:19], -v[1:2]
	v_add_f64 v[3:4], v[20:21], -v[3:4]
	scratch_store_b128 off, v[1:4], off offset:176
	v_cmpx_lt_u32_e32 10, v85
	s_cbranch_execz .LBB25_149
; %bb.148:
	scratch_load_b128 v[1:4], v98, off
	v_mov_b32_e32 v5, 0
	s_delay_alu instid0(VALU_DEP_1)
	v_mov_b32_e32 v6, v5
	v_mov_b32_e32 v7, v5
	;; [unrolled: 1-line block ×3, first 2 shown]
	scratch_store_b128 off, v[5:8], off offset:160
	s_waitcnt vmcnt(0)
	ds_store_b128 v26, v[1:4]
.LBB25_149:
	s_or_b32 exec_lo, exec_lo, s2
	s_waitcnt lgkmcnt(0)
	s_waitcnt_vscnt null, 0x0
	s_barrier
	buffer_gl0_inv
	s_clause 0x7
	scratch_load_b128 v[2:5], off, off offset:176
	scratch_load_b128 v[6:9], off, off offset:192
	;; [unrolled: 1-line block ×8, first 2 shown]
	v_mov_b32_e32 v1, 0
	s_clause 0x1
	scratch_load_b128 v[119:122], off, off offset:304
	scratch_load_b128 v[127:130], off, off offset:320
	s_mov_b32 s2, exec_lo
	ds_load_b128 v[115:118], v1 offset:592
	ds_load_b128 v[123:126], v1 offset:608
	s_waitcnt vmcnt(9) lgkmcnt(1)
	v_mul_f64 v[31:32], v[117:118], v[4:5]
	v_mul_f64 v[4:5], v[115:116], v[4:5]
	s_waitcnt vmcnt(8) lgkmcnt(0)
	v_mul_f64 v[131:132], v[123:124], v[8:9]
	v_mul_f64 v[8:9], v[125:126], v[8:9]
	s_delay_alu instid0(VALU_DEP_4) | instskip(NEXT) | instid1(VALU_DEP_4)
	v_fma_f64 v[31:32], v[115:116], v[2:3], -v[31:32]
	v_fma_f64 v[133:134], v[117:118], v[2:3], v[4:5]
	ds_load_b128 v[2:5], v1 offset:624
	scratch_load_b128 v[115:118], off, off offset:336
	v_fma_f64 v[131:132], v[125:126], v[6:7], v[131:132]
	v_fma_f64 v[137:138], v[123:124], v[6:7], -v[8:9]
	ds_load_b128 v[6:9], v1 offset:640
	scratch_load_b128 v[123:126], off, off offset:352
	s_waitcnt vmcnt(9) lgkmcnt(1)
	v_mul_f64 v[135:136], v[2:3], v[12:13]
	v_mul_f64 v[12:13], v[4:5], v[12:13]
	s_waitcnt vmcnt(8) lgkmcnt(0)
	v_mul_f64 v[139:140], v[6:7], v[16:17]
	v_mul_f64 v[16:17], v[8:9], v[16:17]
	v_add_f64 v[31:32], v[31:32], 0
	v_add_f64 v[133:134], v[133:134], 0
	v_fma_f64 v[135:136], v[4:5], v[10:11], v[135:136]
	v_fma_f64 v[141:142], v[2:3], v[10:11], -v[12:13]
	scratch_load_b128 v[10:13], off, off offset:368
	ds_load_b128 v[2:5], v1 offset:656
	v_add_f64 v[31:32], v[31:32], v[137:138]
	v_add_f64 v[131:132], v[133:134], v[131:132]
	v_fma_f64 v[137:138], v[8:9], v[14:15], v[139:140]
	v_fma_f64 v[139:140], v[6:7], v[14:15], -v[16:17]
	ds_load_b128 v[6:9], v1 offset:672
	scratch_load_b128 v[14:17], off, off offset:384
	s_waitcnt vmcnt(9) lgkmcnt(1)
	v_mul_f64 v[133:134], v[2:3], v[20:21]
	v_mul_f64 v[20:21], v[4:5], v[20:21]
	v_add_f64 v[31:32], v[31:32], v[141:142]
	v_add_f64 v[131:132], v[131:132], v[135:136]
	s_waitcnt vmcnt(8) lgkmcnt(0)
	v_mul_f64 v[135:136], v[6:7], v[24:25]
	v_mul_f64 v[24:25], v[8:9], v[24:25]
	v_fma_f64 v[133:134], v[4:5], v[18:19], v[133:134]
	v_fma_f64 v[141:142], v[2:3], v[18:19], -v[20:21]
	scratch_load_b128 v[18:21], off, off offset:400
	ds_load_b128 v[2:5], v1 offset:688
	v_add_f64 v[31:32], v[31:32], v[139:140]
	v_add_f64 v[131:132], v[131:132], v[137:138]
	v_fma_f64 v[135:136], v[8:9], v[22:23], v[135:136]
	v_fma_f64 v[22:23], v[6:7], v[22:23], -v[24:25]
	ds_load_b128 v[6:9], v1 offset:704
	s_waitcnt vmcnt(8) lgkmcnt(1)
	v_mul_f64 v[137:138], v[2:3], v[29:30]
	v_mul_f64 v[29:30], v[4:5], v[29:30]
	v_add_f64 v[24:25], v[31:32], v[141:142]
	v_add_f64 v[31:32], v[131:132], v[133:134]
	s_waitcnt vmcnt(7) lgkmcnt(0)
	v_mul_f64 v[131:132], v[6:7], v[113:114]
	v_mul_f64 v[113:114], v[8:9], v[113:114]
	v_fma_f64 v[133:134], v[4:5], v[27:28], v[137:138]
	v_fma_f64 v[27:28], v[2:3], v[27:28], -v[29:30]
	ds_load_b128 v[2:5], v1 offset:720
	s_waitcnt vmcnt(6) lgkmcnt(0)
	v_mul_f64 v[29:30], v[2:3], v[121:122]
	v_add_f64 v[22:23], v[24:25], v[22:23]
	v_add_f64 v[24:25], v[31:32], v[135:136]
	v_mul_f64 v[31:32], v[4:5], v[121:122]
	v_fma_f64 v[121:122], v[8:9], v[111:112], v[131:132]
	v_fma_f64 v[111:112], v[6:7], v[111:112], -v[113:114]
	ds_load_b128 v[6:9], v1 offset:736
	v_fma_f64 v[29:30], v[4:5], v[119:120], v[29:30]
	v_add_f64 v[27:28], v[22:23], v[27:28]
	v_add_f64 v[113:114], v[24:25], v[133:134]
	scratch_load_b128 v[22:25], off, off offset:160
	v_fma_f64 v[31:32], v[2:3], v[119:120], -v[31:32]
	ds_load_b128 v[2:5], v1 offset:752
	s_waitcnt vmcnt(6) lgkmcnt(1)
	v_mul_f64 v[131:132], v[6:7], v[129:130]
	v_mul_f64 v[129:130], v[8:9], v[129:130]
	v_add_f64 v[27:28], v[27:28], v[111:112]
	v_add_f64 v[111:112], v[113:114], v[121:122]
	s_delay_alu instid0(VALU_DEP_4) | instskip(NEXT) | instid1(VALU_DEP_4)
	v_fma_f64 v[119:120], v[8:9], v[127:128], v[131:132]
	v_fma_f64 v[121:122], v[6:7], v[127:128], -v[129:130]
	ds_load_b128 v[6:9], v1 offset:768
	s_waitcnt vmcnt(5) lgkmcnt(1)
	v_mul_f64 v[113:114], v[2:3], v[117:118]
	v_mul_f64 v[117:118], v[4:5], v[117:118]
	v_add_f64 v[27:28], v[27:28], v[31:32]
	v_add_f64 v[29:30], v[111:112], v[29:30]
	s_delay_alu instid0(VALU_DEP_4) | instskip(NEXT) | instid1(VALU_DEP_4)
	v_fma_f64 v[113:114], v[4:5], v[115:116], v[113:114]
	v_fma_f64 v[115:116], v[2:3], v[115:116], -v[117:118]
	ds_load_b128 v[2:5], v1 offset:784
	s_waitcnt vmcnt(4) lgkmcnt(1)
	v_mul_f64 v[31:32], v[6:7], v[125:126]
	v_mul_f64 v[111:112], v[8:9], v[125:126]
	v_add_f64 v[27:28], v[27:28], v[121:122]
	v_add_f64 v[29:30], v[29:30], v[119:120]
	s_waitcnt vmcnt(3) lgkmcnt(0)
	v_mul_f64 v[117:118], v[2:3], v[12:13]
	v_mul_f64 v[12:13], v[4:5], v[12:13]
	v_fma_f64 v[31:32], v[8:9], v[123:124], v[31:32]
	v_fma_f64 v[111:112], v[6:7], v[123:124], -v[111:112]
	ds_load_b128 v[6:9], v1 offset:800
	v_add_f64 v[27:28], v[27:28], v[115:116]
	v_add_f64 v[29:30], v[29:30], v[113:114]
	v_fma_f64 v[115:116], v[4:5], v[10:11], v[117:118]
	v_fma_f64 v[10:11], v[2:3], v[10:11], -v[12:13]
	ds_load_b128 v[2:5], v1 offset:816
	s_waitcnt vmcnt(2) lgkmcnt(1)
	v_mul_f64 v[113:114], v[6:7], v[16:17]
	v_mul_f64 v[16:17], v[8:9], v[16:17]
	v_add_f64 v[12:13], v[27:28], v[111:112]
	v_add_f64 v[27:28], v[29:30], v[31:32]
	s_waitcnt vmcnt(1) lgkmcnt(0)
	v_mul_f64 v[29:30], v[2:3], v[20:21]
	v_mul_f64 v[20:21], v[4:5], v[20:21]
	v_fma_f64 v[8:9], v[8:9], v[14:15], v[113:114]
	v_fma_f64 v[6:7], v[6:7], v[14:15], -v[16:17]
	v_add_f64 v[10:11], v[12:13], v[10:11]
	v_add_f64 v[12:13], v[27:28], v[115:116]
	v_fma_f64 v[4:5], v[4:5], v[18:19], v[29:30]
	v_fma_f64 v[2:3], v[2:3], v[18:19], -v[20:21]
	s_delay_alu instid0(VALU_DEP_4) | instskip(NEXT) | instid1(VALU_DEP_4)
	v_add_f64 v[6:7], v[10:11], v[6:7]
	v_add_f64 v[8:9], v[12:13], v[8:9]
	s_delay_alu instid0(VALU_DEP_2) | instskip(NEXT) | instid1(VALU_DEP_2)
	v_add_f64 v[2:3], v[6:7], v[2:3]
	v_add_f64 v[4:5], v[8:9], v[4:5]
	s_waitcnt vmcnt(0)
	s_delay_alu instid0(VALU_DEP_2) | instskip(NEXT) | instid1(VALU_DEP_2)
	v_add_f64 v[2:3], v[22:23], -v[2:3]
	v_add_f64 v[4:5], v[24:25], -v[4:5]
	scratch_store_b128 off, v[2:5], off offset:160
	v_cmpx_lt_u32_e32 9, v85
	s_cbranch_execz .LBB25_151
; %bb.150:
	scratch_load_b128 v[5:8], v100, off
	v_mov_b32_e32 v2, v1
	v_mov_b32_e32 v3, v1
	;; [unrolled: 1-line block ×3, first 2 shown]
	scratch_store_b128 off, v[1:4], off offset:144
	s_waitcnt vmcnt(0)
	ds_store_b128 v26, v[5:8]
.LBB25_151:
	s_or_b32 exec_lo, exec_lo, s2
	s_waitcnt lgkmcnt(0)
	s_waitcnt_vscnt null, 0x0
	s_barrier
	buffer_gl0_inv
	s_clause 0x7
	scratch_load_b128 v[2:5], off, off offset:160
	scratch_load_b128 v[6:9], off, off offset:176
	;; [unrolled: 1-line block ×8, first 2 shown]
	ds_load_b128 v[115:118], v1 offset:576
	ds_load_b128 v[123:126], v1 offset:592
	s_clause 0x1
	scratch_load_b128 v[119:122], off, off offset:288
	scratch_load_b128 v[127:130], off, off offset:304
	s_mov_b32 s2, exec_lo
	s_waitcnt vmcnt(9) lgkmcnt(1)
	v_mul_f64 v[31:32], v[117:118], v[4:5]
	v_mul_f64 v[4:5], v[115:116], v[4:5]
	s_waitcnt vmcnt(8) lgkmcnt(0)
	v_mul_f64 v[131:132], v[123:124], v[8:9]
	v_mul_f64 v[8:9], v[125:126], v[8:9]
	s_delay_alu instid0(VALU_DEP_4) | instskip(NEXT) | instid1(VALU_DEP_4)
	v_fma_f64 v[31:32], v[115:116], v[2:3], -v[31:32]
	v_fma_f64 v[133:134], v[117:118], v[2:3], v[4:5]
	ds_load_b128 v[2:5], v1 offset:608
	scratch_load_b128 v[115:118], off, off offset:320
	v_fma_f64 v[131:132], v[125:126], v[6:7], v[131:132]
	v_fma_f64 v[137:138], v[123:124], v[6:7], -v[8:9]
	ds_load_b128 v[6:9], v1 offset:624
	scratch_load_b128 v[123:126], off, off offset:336
	s_waitcnt vmcnt(9) lgkmcnt(1)
	v_mul_f64 v[135:136], v[2:3], v[12:13]
	v_mul_f64 v[12:13], v[4:5], v[12:13]
	s_waitcnt vmcnt(8) lgkmcnt(0)
	v_mul_f64 v[139:140], v[6:7], v[16:17]
	v_mul_f64 v[16:17], v[8:9], v[16:17]
	v_add_f64 v[31:32], v[31:32], 0
	v_add_f64 v[133:134], v[133:134], 0
	v_fma_f64 v[135:136], v[4:5], v[10:11], v[135:136]
	v_fma_f64 v[141:142], v[2:3], v[10:11], -v[12:13]
	scratch_load_b128 v[10:13], off, off offset:352
	ds_load_b128 v[2:5], v1 offset:640
	v_add_f64 v[31:32], v[31:32], v[137:138]
	v_add_f64 v[131:132], v[133:134], v[131:132]
	v_fma_f64 v[137:138], v[8:9], v[14:15], v[139:140]
	v_fma_f64 v[139:140], v[6:7], v[14:15], -v[16:17]
	ds_load_b128 v[6:9], v1 offset:656
	scratch_load_b128 v[14:17], off, off offset:368
	s_waitcnt vmcnt(9) lgkmcnt(1)
	v_mul_f64 v[133:134], v[2:3], v[20:21]
	v_mul_f64 v[20:21], v[4:5], v[20:21]
	v_add_f64 v[31:32], v[31:32], v[141:142]
	v_add_f64 v[131:132], v[131:132], v[135:136]
	s_waitcnt vmcnt(8) lgkmcnt(0)
	v_mul_f64 v[135:136], v[6:7], v[24:25]
	v_mul_f64 v[24:25], v[8:9], v[24:25]
	v_fma_f64 v[133:134], v[4:5], v[18:19], v[133:134]
	v_fma_f64 v[141:142], v[2:3], v[18:19], -v[20:21]
	scratch_load_b128 v[18:21], off, off offset:384
	ds_load_b128 v[2:5], v1 offset:672
	v_add_f64 v[31:32], v[31:32], v[139:140]
	v_add_f64 v[131:132], v[131:132], v[137:138]
	v_fma_f64 v[135:136], v[8:9], v[22:23], v[135:136]
	v_fma_f64 v[139:140], v[6:7], v[22:23], -v[24:25]
	ds_load_b128 v[6:9], v1 offset:688
	s_waitcnt vmcnt(8) lgkmcnt(1)
	v_mul_f64 v[137:138], v[2:3], v[29:30]
	v_mul_f64 v[29:30], v[4:5], v[29:30]
	scratch_load_b128 v[22:25], off, off offset:400
	v_add_f64 v[31:32], v[31:32], v[141:142]
	v_add_f64 v[131:132], v[131:132], v[133:134]
	s_waitcnt vmcnt(8) lgkmcnt(0)
	v_mul_f64 v[133:134], v[6:7], v[113:114]
	v_mul_f64 v[113:114], v[8:9], v[113:114]
	v_fma_f64 v[137:138], v[4:5], v[27:28], v[137:138]
	v_fma_f64 v[27:28], v[2:3], v[27:28], -v[29:30]
	ds_load_b128 v[2:5], v1 offset:704
	v_add_f64 v[29:30], v[31:32], v[139:140]
	v_add_f64 v[31:32], v[131:132], v[135:136]
	v_fma_f64 v[133:134], v[8:9], v[111:112], v[133:134]
	v_fma_f64 v[111:112], v[6:7], v[111:112], -v[113:114]
	ds_load_b128 v[6:9], v1 offset:720
	s_waitcnt vmcnt(7) lgkmcnt(1)
	v_mul_f64 v[131:132], v[2:3], v[121:122]
	v_mul_f64 v[121:122], v[4:5], v[121:122]
	s_waitcnt vmcnt(6) lgkmcnt(0)
	v_mul_f64 v[113:114], v[8:9], v[129:130]
	v_add_f64 v[27:28], v[29:30], v[27:28]
	v_add_f64 v[29:30], v[31:32], v[137:138]
	v_mul_f64 v[31:32], v[6:7], v[129:130]
	v_fma_f64 v[129:130], v[4:5], v[119:120], v[131:132]
	v_fma_f64 v[119:120], v[2:3], v[119:120], -v[121:122]
	ds_load_b128 v[2:5], v1 offset:736
	v_fma_f64 v[113:114], v[6:7], v[127:128], -v[113:114]
	v_add_f64 v[111:112], v[27:28], v[111:112]
	v_add_f64 v[121:122], v[29:30], v[133:134]
	scratch_load_b128 v[27:30], off, off offset:144
	v_fma_f64 v[31:32], v[8:9], v[127:128], v[31:32]
	ds_load_b128 v[6:9], v1 offset:752
	s_waitcnt vmcnt(6) lgkmcnt(1)
	v_mul_f64 v[131:132], v[2:3], v[117:118]
	v_mul_f64 v[117:118], v[4:5], v[117:118]
	v_add_f64 v[111:112], v[111:112], v[119:120]
	v_add_f64 v[119:120], v[121:122], v[129:130]
	s_waitcnt vmcnt(5) lgkmcnt(0)
	v_mul_f64 v[121:122], v[6:7], v[125:126]
	v_mul_f64 v[125:126], v[8:9], v[125:126]
	v_fma_f64 v[127:128], v[4:5], v[115:116], v[131:132]
	v_fma_f64 v[115:116], v[2:3], v[115:116], -v[117:118]
	ds_load_b128 v[2:5], v1 offset:768
	v_add_f64 v[111:112], v[111:112], v[113:114]
	v_add_f64 v[31:32], v[119:120], v[31:32]
	v_fma_f64 v[117:118], v[8:9], v[123:124], v[121:122]
	v_fma_f64 v[119:120], v[6:7], v[123:124], -v[125:126]
	ds_load_b128 v[6:9], v1 offset:784
	s_waitcnt vmcnt(4) lgkmcnt(1)
	v_mul_f64 v[113:114], v[2:3], v[12:13]
	v_mul_f64 v[12:13], v[4:5], v[12:13]
	v_add_f64 v[111:112], v[111:112], v[115:116]
	v_add_f64 v[31:32], v[31:32], v[127:128]
	s_waitcnt vmcnt(3) lgkmcnt(0)
	v_mul_f64 v[115:116], v[6:7], v[16:17]
	v_mul_f64 v[16:17], v[8:9], v[16:17]
	v_fma_f64 v[113:114], v[4:5], v[10:11], v[113:114]
	v_fma_f64 v[10:11], v[2:3], v[10:11], -v[12:13]
	ds_load_b128 v[2:5], v1 offset:800
	v_add_f64 v[12:13], v[111:112], v[119:120]
	v_add_f64 v[31:32], v[31:32], v[117:118]
	v_fma_f64 v[115:116], v[8:9], v[14:15], v[115:116]
	v_fma_f64 v[14:15], v[6:7], v[14:15], -v[16:17]
	ds_load_b128 v[6:9], v1 offset:816
	s_waitcnt vmcnt(2) lgkmcnt(1)
	v_mul_f64 v[111:112], v[2:3], v[20:21]
	v_mul_f64 v[20:21], v[4:5], v[20:21]
	s_waitcnt vmcnt(1) lgkmcnt(0)
	v_mul_f64 v[16:17], v[6:7], v[24:25]
	v_mul_f64 v[24:25], v[8:9], v[24:25]
	v_add_f64 v[10:11], v[12:13], v[10:11]
	v_add_f64 v[12:13], v[31:32], v[113:114]
	v_fma_f64 v[4:5], v[4:5], v[18:19], v[111:112]
	v_fma_f64 v[1:2], v[2:3], v[18:19], -v[20:21]
	v_fma_f64 v[8:9], v[8:9], v[22:23], v[16:17]
	v_fma_f64 v[6:7], v[6:7], v[22:23], -v[24:25]
	v_add_f64 v[10:11], v[10:11], v[14:15]
	v_add_f64 v[12:13], v[12:13], v[115:116]
	s_delay_alu instid0(VALU_DEP_2) | instskip(NEXT) | instid1(VALU_DEP_2)
	v_add_f64 v[1:2], v[10:11], v[1:2]
	v_add_f64 v[3:4], v[12:13], v[4:5]
	s_delay_alu instid0(VALU_DEP_2) | instskip(NEXT) | instid1(VALU_DEP_2)
	v_add_f64 v[1:2], v[1:2], v[6:7]
	v_add_f64 v[3:4], v[3:4], v[8:9]
	s_waitcnt vmcnt(0)
	s_delay_alu instid0(VALU_DEP_2) | instskip(NEXT) | instid1(VALU_DEP_2)
	v_add_f64 v[1:2], v[27:28], -v[1:2]
	v_add_f64 v[3:4], v[29:30], -v[3:4]
	scratch_store_b128 off, v[1:4], off offset:144
	v_cmpx_lt_u32_e32 8, v85
	s_cbranch_execz .LBB25_153
; %bb.152:
	scratch_load_b128 v[1:4], v101, off
	v_mov_b32_e32 v5, 0
	s_delay_alu instid0(VALU_DEP_1)
	v_mov_b32_e32 v6, v5
	v_mov_b32_e32 v7, v5
	;; [unrolled: 1-line block ×3, first 2 shown]
	scratch_store_b128 off, v[5:8], off offset:128
	s_waitcnt vmcnt(0)
	ds_store_b128 v26, v[1:4]
.LBB25_153:
	s_or_b32 exec_lo, exec_lo, s2
	s_waitcnt lgkmcnt(0)
	s_waitcnt_vscnt null, 0x0
	s_barrier
	buffer_gl0_inv
	s_clause 0x7
	scratch_load_b128 v[2:5], off, off offset:144
	scratch_load_b128 v[6:9], off, off offset:160
	scratch_load_b128 v[10:13], off, off offset:176
	scratch_load_b128 v[14:17], off, off offset:192
	scratch_load_b128 v[18:21], off, off offset:208
	scratch_load_b128 v[22:25], off, off offset:224
	scratch_load_b128 v[27:30], off, off offset:240
	scratch_load_b128 v[111:114], off, off offset:256
	v_mov_b32_e32 v1, 0
	s_clause 0x1
	scratch_load_b128 v[119:122], off, off offset:272
	scratch_load_b128 v[127:130], off, off offset:288
	s_mov_b32 s2, exec_lo
	ds_load_b128 v[115:118], v1 offset:560
	ds_load_b128 v[123:126], v1 offset:576
	s_waitcnt vmcnt(9) lgkmcnt(1)
	v_mul_f64 v[31:32], v[117:118], v[4:5]
	v_mul_f64 v[4:5], v[115:116], v[4:5]
	s_waitcnt vmcnt(8) lgkmcnt(0)
	v_mul_f64 v[131:132], v[123:124], v[8:9]
	v_mul_f64 v[8:9], v[125:126], v[8:9]
	s_delay_alu instid0(VALU_DEP_4) | instskip(NEXT) | instid1(VALU_DEP_4)
	v_fma_f64 v[31:32], v[115:116], v[2:3], -v[31:32]
	v_fma_f64 v[133:134], v[117:118], v[2:3], v[4:5]
	ds_load_b128 v[2:5], v1 offset:592
	v_fma_f64 v[131:132], v[125:126], v[6:7], v[131:132]
	v_fma_f64 v[137:138], v[123:124], v[6:7], -v[8:9]
	ds_load_b128 v[6:9], v1 offset:608
	s_clause 0x1
	scratch_load_b128 v[115:118], off, off offset:304
	scratch_load_b128 v[123:126], off, off offset:320
	s_waitcnt vmcnt(9) lgkmcnt(1)
	v_mul_f64 v[135:136], v[2:3], v[12:13]
	v_mul_f64 v[12:13], v[4:5], v[12:13]
	s_waitcnt vmcnt(8) lgkmcnt(0)
	v_mul_f64 v[139:140], v[6:7], v[16:17]
	v_mul_f64 v[16:17], v[8:9], v[16:17]
	v_add_f64 v[31:32], v[31:32], 0
	v_add_f64 v[133:134], v[133:134], 0
	v_fma_f64 v[135:136], v[4:5], v[10:11], v[135:136]
	v_fma_f64 v[141:142], v[2:3], v[10:11], -v[12:13]
	scratch_load_b128 v[10:13], off, off offset:336
	ds_load_b128 v[2:5], v1 offset:624
	v_add_f64 v[31:32], v[31:32], v[137:138]
	v_add_f64 v[131:132], v[133:134], v[131:132]
	v_fma_f64 v[137:138], v[8:9], v[14:15], v[139:140]
	v_fma_f64 v[139:140], v[6:7], v[14:15], -v[16:17]
	ds_load_b128 v[6:9], v1 offset:640
	scratch_load_b128 v[14:17], off, off offset:352
	s_waitcnt vmcnt(9) lgkmcnt(1)
	v_mul_f64 v[133:134], v[2:3], v[20:21]
	v_mul_f64 v[20:21], v[4:5], v[20:21]
	v_add_f64 v[31:32], v[31:32], v[141:142]
	v_add_f64 v[131:132], v[131:132], v[135:136]
	s_waitcnt vmcnt(8) lgkmcnt(0)
	v_mul_f64 v[135:136], v[6:7], v[24:25]
	v_mul_f64 v[24:25], v[8:9], v[24:25]
	v_fma_f64 v[133:134], v[4:5], v[18:19], v[133:134]
	v_fma_f64 v[141:142], v[2:3], v[18:19], -v[20:21]
	scratch_load_b128 v[18:21], off, off offset:368
	ds_load_b128 v[2:5], v1 offset:656
	v_add_f64 v[31:32], v[31:32], v[139:140]
	v_add_f64 v[131:132], v[131:132], v[137:138]
	v_fma_f64 v[135:136], v[8:9], v[22:23], v[135:136]
	v_fma_f64 v[139:140], v[6:7], v[22:23], -v[24:25]
	ds_load_b128 v[6:9], v1 offset:672
	s_waitcnt vmcnt(8) lgkmcnt(1)
	v_mul_f64 v[137:138], v[2:3], v[29:30]
	v_mul_f64 v[29:30], v[4:5], v[29:30]
	scratch_load_b128 v[22:25], off, off offset:384
	v_add_f64 v[31:32], v[31:32], v[141:142]
	v_add_f64 v[131:132], v[131:132], v[133:134]
	s_waitcnt vmcnt(8) lgkmcnt(0)
	v_mul_f64 v[133:134], v[6:7], v[113:114]
	v_mul_f64 v[113:114], v[8:9], v[113:114]
	v_fma_f64 v[137:138], v[4:5], v[27:28], v[137:138]
	v_fma_f64 v[141:142], v[2:3], v[27:28], -v[29:30]
	scratch_load_b128 v[27:30], off, off offset:400
	ds_load_b128 v[2:5], v1 offset:688
	v_add_f64 v[31:32], v[31:32], v[139:140]
	v_add_f64 v[131:132], v[131:132], v[135:136]
	v_fma_f64 v[133:134], v[8:9], v[111:112], v[133:134]
	v_fma_f64 v[111:112], v[6:7], v[111:112], -v[113:114]
	ds_load_b128 v[6:9], v1 offset:704
	s_waitcnt vmcnt(8) lgkmcnt(1)
	v_mul_f64 v[135:136], v[2:3], v[121:122]
	v_mul_f64 v[121:122], v[4:5], v[121:122]
	v_add_f64 v[31:32], v[31:32], v[141:142]
	v_add_f64 v[113:114], v[131:132], v[137:138]
	s_delay_alu instid0(VALU_DEP_4) | instskip(NEXT) | instid1(VALU_DEP_4)
	v_fma_f64 v[135:136], v[4:5], v[119:120], v[135:136]
	v_fma_f64 v[119:120], v[2:3], v[119:120], -v[121:122]
	ds_load_b128 v[2:5], v1 offset:720
	v_add_f64 v[31:32], v[31:32], v[111:112]
	v_add_f64 v[111:112], v[113:114], v[133:134]
	s_delay_alu instid0(VALU_DEP_2) | instskip(NEXT) | instid1(VALU_DEP_2)
	v_add_f64 v[31:32], v[31:32], v[119:120]
	v_add_f64 v[119:120], v[111:112], v[135:136]
	scratch_load_b128 v[111:114], off, off offset:128
	s_waitcnt vmcnt(8) lgkmcnt(1)
	v_mul_f64 v[131:132], v[6:7], v[129:130]
	v_mul_f64 v[129:130], v[8:9], v[129:130]
	s_delay_alu instid0(VALU_DEP_2) | instskip(NEXT) | instid1(VALU_DEP_2)
	v_fma_f64 v[131:132], v[8:9], v[127:128], v[131:132]
	v_fma_f64 v[127:128], v[6:7], v[127:128], -v[129:130]
	ds_load_b128 v[6:9], v1 offset:736
	s_waitcnt vmcnt(7) lgkmcnt(1)
	v_mul_f64 v[121:122], v[2:3], v[117:118]
	v_mul_f64 v[117:118], v[4:5], v[117:118]
	s_waitcnt vmcnt(6) lgkmcnt(0)
	v_mul_f64 v[129:130], v[6:7], v[125:126]
	v_mul_f64 v[125:126], v[8:9], v[125:126]
	v_add_f64 v[31:32], v[31:32], v[127:128]
	v_fma_f64 v[121:122], v[4:5], v[115:116], v[121:122]
	v_fma_f64 v[115:116], v[2:3], v[115:116], -v[117:118]
	v_add_f64 v[117:118], v[119:120], v[131:132]
	ds_load_b128 v[2:5], v1 offset:752
	v_fma_f64 v[127:128], v[8:9], v[123:124], v[129:130]
	v_fma_f64 v[123:124], v[6:7], v[123:124], -v[125:126]
	ds_load_b128 v[6:9], v1 offset:768
	s_waitcnt vmcnt(5) lgkmcnt(1)
	v_mul_f64 v[119:120], v[2:3], v[12:13]
	v_mul_f64 v[12:13], v[4:5], v[12:13]
	v_add_f64 v[31:32], v[31:32], v[115:116]
	v_add_f64 v[115:116], v[117:118], v[121:122]
	s_waitcnt vmcnt(4) lgkmcnt(0)
	v_mul_f64 v[117:118], v[6:7], v[16:17]
	v_mul_f64 v[16:17], v[8:9], v[16:17]
	v_fma_f64 v[119:120], v[4:5], v[10:11], v[119:120]
	v_fma_f64 v[10:11], v[2:3], v[10:11], -v[12:13]
	ds_load_b128 v[2:5], v1 offset:784
	v_add_f64 v[12:13], v[31:32], v[123:124]
	v_add_f64 v[31:32], v[115:116], v[127:128]
	v_fma_f64 v[117:118], v[8:9], v[14:15], v[117:118]
	v_fma_f64 v[14:15], v[6:7], v[14:15], -v[16:17]
	ds_load_b128 v[6:9], v1 offset:800
	s_waitcnt vmcnt(3) lgkmcnt(1)
	v_mul_f64 v[115:116], v[2:3], v[20:21]
	v_mul_f64 v[20:21], v[4:5], v[20:21]
	s_waitcnt vmcnt(2) lgkmcnt(0)
	v_mul_f64 v[16:17], v[6:7], v[24:25]
	v_mul_f64 v[24:25], v[8:9], v[24:25]
	v_add_f64 v[10:11], v[12:13], v[10:11]
	v_add_f64 v[12:13], v[31:32], v[119:120]
	v_fma_f64 v[31:32], v[4:5], v[18:19], v[115:116]
	v_fma_f64 v[18:19], v[2:3], v[18:19], -v[20:21]
	ds_load_b128 v[2:5], v1 offset:816
	v_fma_f64 v[8:9], v[8:9], v[22:23], v[16:17]
	v_fma_f64 v[6:7], v[6:7], v[22:23], -v[24:25]
	s_waitcnt vmcnt(1) lgkmcnt(0)
	v_mul_f64 v[20:21], v[4:5], v[29:30]
	v_add_f64 v[10:11], v[10:11], v[14:15]
	v_add_f64 v[12:13], v[12:13], v[117:118]
	v_mul_f64 v[14:15], v[2:3], v[29:30]
	s_delay_alu instid0(VALU_DEP_4) | instskip(NEXT) | instid1(VALU_DEP_4)
	v_fma_f64 v[2:3], v[2:3], v[27:28], -v[20:21]
	v_add_f64 v[10:11], v[10:11], v[18:19]
	s_delay_alu instid0(VALU_DEP_4) | instskip(NEXT) | instid1(VALU_DEP_4)
	v_add_f64 v[12:13], v[12:13], v[31:32]
	v_fma_f64 v[4:5], v[4:5], v[27:28], v[14:15]
	s_delay_alu instid0(VALU_DEP_3) | instskip(NEXT) | instid1(VALU_DEP_3)
	v_add_f64 v[6:7], v[10:11], v[6:7]
	v_add_f64 v[8:9], v[12:13], v[8:9]
	s_delay_alu instid0(VALU_DEP_2) | instskip(NEXT) | instid1(VALU_DEP_2)
	v_add_f64 v[2:3], v[6:7], v[2:3]
	v_add_f64 v[4:5], v[8:9], v[4:5]
	s_waitcnt vmcnt(0)
	s_delay_alu instid0(VALU_DEP_2) | instskip(NEXT) | instid1(VALU_DEP_2)
	v_add_f64 v[2:3], v[111:112], -v[2:3]
	v_add_f64 v[4:5], v[113:114], -v[4:5]
	scratch_store_b128 off, v[2:5], off offset:128
	v_cmpx_lt_u32_e32 7, v85
	s_cbranch_execz .LBB25_155
; %bb.154:
	scratch_load_b128 v[5:8], v103, off
	v_mov_b32_e32 v2, v1
	v_mov_b32_e32 v3, v1
	;; [unrolled: 1-line block ×3, first 2 shown]
	scratch_store_b128 off, v[1:4], off offset:112
	s_waitcnt vmcnt(0)
	ds_store_b128 v26, v[5:8]
.LBB25_155:
	s_or_b32 exec_lo, exec_lo, s2
	s_waitcnt lgkmcnt(0)
	s_waitcnt_vscnt null, 0x0
	s_barrier
	buffer_gl0_inv
	s_clause 0x7
	scratch_load_b128 v[2:5], off, off offset:128
	scratch_load_b128 v[6:9], off, off offset:144
	;; [unrolled: 1-line block ×8, first 2 shown]
	ds_load_b128 v[115:118], v1 offset:544
	ds_load_b128 v[123:126], v1 offset:560
	s_clause 0x1
	scratch_load_b128 v[119:122], off, off offset:256
	scratch_load_b128 v[127:130], off, off offset:272
	s_mov_b32 s2, exec_lo
	s_waitcnt vmcnt(9) lgkmcnt(1)
	v_mul_f64 v[31:32], v[117:118], v[4:5]
	v_mul_f64 v[4:5], v[115:116], v[4:5]
	s_waitcnt vmcnt(8) lgkmcnt(0)
	v_mul_f64 v[131:132], v[123:124], v[8:9]
	v_mul_f64 v[8:9], v[125:126], v[8:9]
	s_delay_alu instid0(VALU_DEP_4) | instskip(NEXT) | instid1(VALU_DEP_4)
	v_fma_f64 v[31:32], v[115:116], v[2:3], -v[31:32]
	v_fma_f64 v[133:134], v[117:118], v[2:3], v[4:5]
	ds_load_b128 v[2:5], v1 offset:576
	scratch_load_b128 v[115:118], off, off offset:288
	v_fma_f64 v[131:132], v[125:126], v[6:7], v[131:132]
	v_fma_f64 v[137:138], v[123:124], v[6:7], -v[8:9]
	ds_load_b128 v[6:9], v1 offset:592
	scratch_load_b128 v[123:126], off, off offset:304
	s_waitcnt vmcnt(9) lgkmcnt(1)
	v_mul_f64 v[135:136], v[2:3], v[12:13]
	v_mul_f64 v[12:13], v[4:5], v[12:13]
	s_waitcnt vmcnt(8) lgkmcnt(0)
	v_mul_f64 v[139:140], v[6:7], v[16:17]
	v_mul_f64 v[16:17], v[8:9], v[16:17]
	v_add_f64 v[31:32], v[31:32], 0
	v_add_f64 v[133:134], v[133:134], 0
	v_fma_f64 v[135:136], v[4:5], v[10:11], v[135:136]
	v_fma_f64 v[141:142], v[2:3], v[10:11], -v[12:13]
	ds_load_b128 v[2:5], v1 offset:608
	scratch_load_b128 v[10:13], off, off offset:320
	v_add_f64 v[31:32], v[31:32], v[137:138]
	v_add_f64 v[131:132], v[133:134], v[131:132]
	v_fma_f64 v[137:138], v[8:9], v[14:15], v[139:140]
	v_fma_f64 v[139:140], v[6:7], v[14:15], -v[16:17]
	ds_load_b128 v[6:9], v1 offset:624
	scratch_load_b128 v[14:17], off, off offset:336
	s_waitcnt vmcnt(9) lgkmcnt(1)
	v_mul_f64 v[133:134], v[2:3], v[20:21]
	v_mul_f64 v[20:21], v[4:5], v[20:21]
	v_add_f64 v[31:32], v[31:32], v[141:142]
	v_add_f64 v[131:132], v[131:132], v[135:136]
	s_waitcnt vmcnt(8) lgkmcnt(0)
	v_mul_f64 v[135:136], v[6:7], v[24:25]
	v_mul_f64 v[24:25], v[8:9], v[24:25]
	v_fma_f64 v[133:134], v[4:5], v[18:19], v[133:134]
	v_fma_f64 v[141:142], v[2:3], v[18:19], -v[20:21]
	scratch_load_b128 v[18:21], off, off offset:352
	ds_load_b128 v[2:5], v1 offset:640
	v_add_f64 v[31:32], v[31:32], v[139:140]
	v_add_f64 v[131:132], v[131:132], v[137:138]
	v_fma_f64 v[135:136], v[8:9], v[22:23], v[135:136]
	v_fma_f64 v[139:140], v[6:7], v[22:23], -v[24:25]
	ds_load_b128 v[6:9], v1 offset:656
	s_waitcnt vmcnt(8) lgkmcnt(1)
	v_mul_f64 v[137:138], v[2:3], v[29:30]
	v_mul_f64 v[29:30], v[4:5], v[29:30]
	scratch_load_b128 v[22:25], off, off offset:368
	v_add_f64 v[31:32], v[31:32], v[141:142]
	v_add_f64 v[131:132], v[131:132], v[133:134]
	s_waitcnt vmcnt(8) lgkmcnt(0)
	v_mul_f64 v[133:134], v[6:7], v[113:114]
	v_mul_f64 v[113:114], v[8:9], v[113:114]
	v_fma_f64 v[137:138], v[4:5], v[27:28], v[137:138]
	v_fma_f64 v[141:142], v[2:3], v[27:28], -v[29:30]
	scratch_load_b128 v[27:30], off, off offset:384
	ds_load_b128 v[2:5], v1 offset:672
	v_add_f64 v[31:32], v[31:32], v[139:140]
	v_add_f64 v[131:132], v[131:132], v[135:136]
	v_fma_f64 v[133:134], v[8:9], v[111:112], v[133:134]
	v_fma_f64 v[139:140], v[6:7], v[111:112], -v[113:114]
	ds_load_b128 v[6:9], v1 offset:688
	s_waitcnt vmcnt(8) lgkmcnt(1)
	v_mul_f64 v[135:136], v[2:3], v[121:122]
	v_mul_f64 v[121:122], v[4:5], v[121:122]
	scratch_load_b128 v[111:114], off, off offset:400
	v_add_f64 v[31:32], v[31:32], v[141:142]
	v_add_f64 v[131:132], v[131:132], v[137:138]
	s_waitcnt vmcnt(8) lgkmcnt(0)
	v_mul_f64 v[137:138], v[6:7], v[129:130]
	v_mul_f64 v[129:130], v[8:9], v[129:130]
	v_fma_f64 v[135:136], v[4:5], v[119:120], v[135:136]
	v_fma_f64 v[119:120], v[2:3], v[119:120], -v[121:122]
	ds_load_b128 v[2:5], v1 offset:704
	v_add_f64 v[31:32], v[31:32], v[139:140]
	v_add_f64 v[121:122], v[131:132], v[133:134]
	v_fma_f64 v[133:134], v[8:9], v[127:128], v[137:138]
	v_fma_f64 v[127:128], v[6:7], v[127:128], -v[129:130]
	ds_load_b128 v[6:9], v1 offset:720
	s_waitcnt vmcnt(7) lgkmcnt(1)
	v_mul_f64 v[131:132], v[2:3], v[117:118]
	v_mul_f64 v[117:118], v[4:5], v[117:118]
	v_add_f64 v[31:32], v[31:32], v[119:120]
	v_add_f64 v[119:120], v[121:122], v[135:136]
	s_delay_alu instid0(VALU_DEP_4) | instskip(NEXT) | instid1(VALU_DEP_4)
	v_fma_f64 v[129:130], v[4:5], v[115:116], v[131:132]
	v_fma_f64 v[131:132], v[2:3], v[115:116], -v[117:118]
	scratch_load_b128 v[115:118], off, off offset:112
	s_waitcnt vmcnt(7) lgkmcnt(0)
	v_mul_f64 v[121:122], v[6:7], v[125:126]
	v_mul_f64 v[125:126], v[8:9], v[125:126]
	ds_load_b128 v[2:5], v1 offset:736
	v_add_f64 v[31:32], v[31:32], v[127:128]
	v_add_f64 v[119:120], v[119:120], v[133:134]
	v_fma_f64 v[121:122], v[8:9], v[123:124], v[121:122]
	v_fma_f64 v[123:124], v[6:7], v[123:124], -v[125:126]
	ds_load_b128 v[6:9], v1 offset:752
	s_waitcnt vmcnt(6) lgkmcnt(1)
	v_mul_f64 v[127:128], v[2:3], v[12:13]
	v_mul_f64 v[12:13], v[4:5], v[12:13]
	v_add_f64 v[31:32], v[31:32], v[131:132]
	v_add_f64 v[119:120], v[119:120], v[129:130]
	s_waitcnt vmcnt(5) lgkmcnt(0)
	v_mul_f64 v[125:126], v[6:7], v[16:17]
	v_mul_f64 v[16:17], v[8:9], v[16:17]
	v_fma_f64 v[127:128], v[4:5], v[10:11], v[127:128]
	v_fma_f64 v[10:11], v[2:3], v[10:11], -v[12:13]
	ds_load_b128 v[2:5], v1 offset:768
	v_add_f64 v[12:13], v[31:32], v[123:124]
	v_add_f64 v[31:32], v[119:120], v[121:122]
	v_fma_f64 v[121:122], v[8:9], v[14:15], v[125:126]
	v_fma_f64 v[14:15], v[6:7], v[14:15], -v[16:17]
	ds_load_b128 v[6:9], v1 offset:784
	s_waitcnt vmcnt(4) lgkmcnt(1)
	v_mul_f64 v[119:120], v[2:3], v[20:21]
	v_mul_f64 v[20:21], v[4:5], v[20:21]
	s_waitcnt vmcnt(3) lgkmcnt(0)
	v_mul_f64 v[16:17], v[6:7], v[24:25]
	v_mul_f64 v[24:25], v[8:9], v[24:25]
	v_add_f64 v[10:11], v[12:13], v[10:11]
	v_add_f64 v[12:13], v[31:32], v[127:128]
	v_fma_f64 v[31:32], v[4:5], v[18:19], v[119:120]
	v_fma_f64 v[18:19], v[2:3], v[18:19], -v[20:21]
	ds_load_b128 v[2:5], v1 offset:800
	v_fma_f64 v[16:17], v[8:9], v[22:23], v[16:17]
	v_fma_f64 v[22:23], v[6:7], v[22:23], -v[24:25]
	ds_load_b128 v[6:9], v1 offset:816
	s_waitcnt vmcnt(2) lgkmcnt(1)
	v_mul_f64 v[20:21], v[4:5], v[29:30]
	v_add_f64 v[10:11], v[10:11], v[14:15]
	v_add_f64 v[12:13], v[12:13], v[121:122]
	v_mul_f64 v[14:15], v[2:3], v[29:30]
	s_waitcnt vmcnt(1) lgkmcnt(0)
	v_mul_f64 v[24:25], v[8:9], v[113:114]
	v_fma_f64 v[1:2], v[2:3], v[27:28], -v[20:21]
	v_add_f64 v[10:11], v[10:11], v[18:19]
	v_add_f64 v[12:13], v[12:13], v[31:32]
	v_mul_f64 v[18:19], v[6:7], v[113:114]
	v_fma_f64 v[4:5], v[4:5], v[27:28], v[14:15]
	v_fma_f64 v[6:7], v[6:7], v[111:112], -v[24:25]
	v_add_f64 v[10:11], v[10:11], v[22:23]
	v_add_f64 v[12:13], v[12:13], v[16:17]
	v_fma_f64 v[8:9], v[8:9], v[111:112], v[18:19]
	s_delay_alu instid0(VALU_DEP_3) | instskip(NEXT) | instid1(VALU_DEP_3)
	v_add_f64 v[1:2], v[10:11], v[1:2]
	v_add_f64 v[3:4], v[12:13], v[4:5]
	s_delay_alu instid0(VALU_DEP_2) | instskip(NEXT) | instid1(VALU_DEP_2)
	v_add_f64 v[1:2], v[1:2], v[6:7]
	v_add_f64 v[3:4], v[3:4], v[8:9]
	s_waitcnt vmcnt(0)
	s_delay_alu instid0(VALU_DEP_2) | instskip(NEXT) | instid1(VALU_DEP_2)
	v_add_f64 v[1:2], v[115:116], -v[1:2]
	v_add_f64 v[3:4], v[117:118], -v[3:4]
	scratch_store_b128 off, v[1:4], off offset:112
	v_cmpx_lt_u32_e32 6, v85
	s_cbranch_execz .LBB25_157
; %bb.156:
	scratch_load_b128 v[1:4], v102, off
	v_mov_b32_e32 v5, 0
	s_delay_alu instid0(VALU_DEP_1)
	v_mov_b32_e32 v6, v5
	v_mov_b32_e32 v7, v5
	;; [unrolled: 1-line block ×3, first 2 shown]
	scratch_store_b128 off, v[5:8], off offset:96
	s_waitcnt vmcnt(0)
	ds_store_b128 v26, v[1:4]
.LBB25_157:
	s_or_b32 exec_lo, exec_lo, s2
	s_waitcnt lgkmcnt(0)
	s_waitcnt_vscnt null, 0x0
	s_barrier
	buffer_gl0_inv
	s_clause 0x7
	scratch_load_b128 v[2:5], off, off offset:112
	scratch_load_b128 v[6:9], off, off offset:128
	;; [unrolled: 1-line block ×8, first 2 shown]
	v_mov_b32_e32 v1, 0
	s_clause 0x1
	scratch_load_b128 v[119:122], off, off offset:240
	scratch_load_b128 v[127:130], off, off offset:256
	s_mov_b32 s2, exec_lo
	ds_load_b128 v[115:118], v1 offset:528
	ds_load_b128 v[123:126], v1 offset:544
	s_waitcnt vmcnt(9) lgkmcnt(1)
	v_mul_f64 v[31:32], v[117:118], v[4:5]
	v_mul_f64 v[4:5], v[115:116], v[4:5]
	s_waitcnt vmcnt(8) lgkmcnt(0)
	v_mul_f64 v[131:132], v[123:124], v[8:9]
	v_mul_f64 v[8:9], v[125:126], v[8:9]
	s_delay_alu instid0(VALU_DEP_4) | instskip(NEXT) | instid1(VALU_DEP_4)
	v_fma_f64 v[31:32], v[115:116], v[2:3], -v[31:32]
	v_fma_f64 v[133:134], v[117:118], v[2:3], v[4:5]
	ds_load_b128 v[2:5], v1 offset:560
	scratch_load_b128 v[115:118], off, off offset:272
	v_fma_f64 v[131:132], v[125:126], v[6:7], v[131:132]
	v_fma_f64 v[137:138], v[123:124], v[6:7], -v[8:9]
	scratch_load_b128 v[123:126], off, off offset:288
	ds_load_b128 v[6:9], v1 offset:576
	s_waitcnt vmcnt(9) lgkmcnt(1)
	v_mul_f64 v[135:136], v[2:3], v[12:13]
	v_mul_f64 v[12:13], v[4:5], v[12:13]
	s_waitcnt vmcnt(8) lgkmcnt(0)
	v_mul_f64 v[139:140], v[6:7], v[16:17]
	v_mul_f64 v[16:17], v[8:9], v[16:17]
	v_add_f64 v[31:32], v[31:32], 0
	v_add_f64 v[133:134], v[133:134], 0
	v_fma_f64 v[135:136], v[4:5], v[10:11], v[135:136]
	v_fma_f64 v[141:142], v[2:3], v[10:11], -v[12:13]
	ds_load_b128 v[2:5], v1 offset:592
	scratch_load_b128 v[10:13], off, off offset:304
	v_add_f64 v[31:32], v[31:32], v[137:138]
	v_add_f64 v[131:132], v[133:134], v[131:132]
	v_fma_f64 v[137:138], v[8:9], v[14:15], v[139:140]
	v_fma_f64 v[139:140], v[6:7], v[14:15], -v[16:17]
	ds_load_b128 v[6:9], v1 offset:608
	scratch_load_b128 v[14:17], off, off offset:320
	s_waitcnt vmcnt(9) lgkmcnt(1)
	v_mul_f64 v[133:134], v[2:3], v[20:21]
	v_mul_f64 v[20:21], v[4:5], v[20:21]
	v_add_f64 v[31:32], v[31:32], v[141:142]
	v_add_f64 v[131:132], v[131:132], v[135:136]
	s_waitcnt vmcnt(8) lgkmcnt(0)
	v_mul_f64 v[135:136], v[6:7], v[24:25]
	v_mul_f64 v[24:25], v[8:9], v[24:25]
	v_fma_f64 v[133:134], v[4:5], v[18:19], v[133:134]
	v_fma_f64 v[141:142], v[2:3], v[18:19], -v[20:21]
	scratch_load_b128 v[18:21], off, off offset:336
	ds_load_b128 v[2:5], v1 offset:624
	v_add_f64 v[31:32], v[31:32], v[139:140]
	v_add_f64 v[131:132], v[131:132], v[137:138]
	v_fma_f64 v[135:136], v[8:9], v[22:23], v[135:136]
	v_fma_f64 v[139:140], v[6:7], v[22:23], -v[24:25]
	ds_load_b128 v[6:9], v1 offset:640
	s_waitcnt vmcnt(8) lgkmcnt(1)
	v_mul_f64 v[137:138], v[2:3], v[29:30]
	v_mul_f64 v[29:30], v[4:5], v[29:30]
	scratch_load_b128 v[22:25], off, off offset:352
	v_add_f64 v[31:32], v[31:32], v[141:142]
	v_add_f64 v[131:132], v[131:132], v[133:134]
	s_waitcnt vmcnt(8) lgkmcnt(0)
	v_mul_f64 v[133:134], v[6:7], v[113:114]
	v_mul_f64 v[113:114], v[8:9], v[113:114]
	v_fma_f64 v[137:138], v[4:5], v[27:28], v[137:138]
	v_fma_f64 v[141:142], v[2:3], v[27:28], -v[29:30]
	scratch_load_b128 v[27:30], off, off offset:368
	ds_load_b128 v[2:5], v1 offset:656
	v_add_f64 v[31:32], v[31:32], v[139:140]
	v_add_f64 v[131:132], v[131:132], v[135:136]
	v_fma_f64 v[133:134], v[8:9], v[111:112], v[133:134]
	v_fma_f64 v[139:140], v[6:7], v[111:112], -v[113:114]
	ds_load_b128 v[6:9], v1 offset:672
	s_waitcnt vmcnt(8) lgkmcnt(1)
	v_mul_f64 v[135:136], v[2:3], v[121:122]
	v_mul_f64 v[121:122], v[4:5], v[121:122]
	scratch_load_b128 v[111:114], off, off offset:384
	v_add_f64 v[31:32], v[31:32], v[141:142]
	v_add_f64 v[131:132], v[131:132], v[137:138]
	s_waitcnt vmcnt(8) lgkmcnt(0)
	v_mul_f64 v[137:138], v[6:7], v[129:130]
	v_mul_f64 v[129:130], v[8:9], v[129:130]
	v_fma_f64 v[135:136], v[4:5], v[119:120], v[135:136]
	v_fma_f64 v[141:142], v[2:3], v[119:120], -v[121:122]
	scratch_load_b128 v[119:122], off, off offset:400
	ds_load_b128 v[2:5], v1 offset:688
	v_add_f64 v[31:32], v[31:32], v[139:140]
	v_add_f64 v[131:132], v[131:132], v[133:134]
	v_fma_f64 v[137:138], v[8:9], v[127:128], v[137:138]
	v_fma_f64 v[127:128], v[6:7], v[127:128], -v[129:130]
	ds_load_b128 v[6:9], v1 offset:704
	s_waitcnt vmcnt(8) lgkmcnt(1)
	v_mul_f64 v[133:134], v[2:3], v[117:118]
	v_mul_f64 v[117:118], v[4:5], v[117:118]
	v_add_f64 v[31:32], v[31:32], v[141:142]
	v_add_f64 v[129:130], v[131:132], v[135:136]
	s_waitcnt vmcnt(7) lgkmcnt(0)
	v_mul_f64 v[131:132], v[6:7], v[125:126]
	v_mul_f64 v[125:126], v[8:9], v[125:126]
	v_fma_f64 v[133:134], v[4:5], v[115:116], v[133:134]
	v_fma_f64 v[115:116], v[2:3], v[115:116], -v[117:118]
	ds_load_b128 v[2:5], v1 offset:720
	v_add_f64 v[31:32], v[31:32], v[127:128]
	v_add_f64 v[117:118], v[129:130], v[137:138]
	v_fma_f64 v[129:130], v[8:9], v[123:124], v[131:132]
	v_fma_f64 v[123:124], v[6:7], v[123:124], -v[125:126]
	ds_load_b128 v[6:9], v1 offset:736
	s_waitcnt vmcnt(5) lgkmcnt(0)
	v_mul_f64 v[131:132], v[6:7], v[16:17]
	v_mul_f64 v[16:17], v[8:9], v[16:17]
	v_add_f64 v[31:32], v[31:32], v[115:116]
	v_add_f64 v[125:126], v[117:118], v[133:134]
	scratch_load_b128 v[115:118], off, off offset:96
	v_mul_f64 v[127:128], v[2:3], v[12:13]
	v_mul_f64 v[12:13], v[4:5], v[12:13]
	s_delay_alu instid0(VALU_DEP_2) | instskip(NEXT) | instid1(VALU_DEP_2)
	v_fma_f64 v[127:128], v[4:5], v[10:11], v[127:128]
	v_fma_f64 v[10:11], v[2:3], v[10:11], -v[12:13]
	v_add_f64 v[12:13], v[31:32], v[123:124]
	v_add_f64 v[31:32], v[125:126], v[129:130]
	ds_load_b128 v[2:5], v1 offset:752
	v_fma_f64 v[125:126], v[8:9], v[14:15], v[131:132]
	v_fma_f64 v[14:15], v[6:7], v[14:15], -v[16:17]
	ds_load_b128 v[6:9], v1 offset:768
	s_waitcnt vmcnt(5) lgkmcnt(1)
	v_mul_f64 v[123:124], v[2:3], v[20:21]
	v_mul_f64 v[20:21], v[4:5], v[20:21]
	s_waitcnt vmcnt(4) lgkmcnt(0)
	v_mul_f64 v[16:17], v[6:7], v[24:25]
	v_mul_f64 v[24:25], v[8:9], v[24:25]
	v_add_f64 v[10:11], v[12:13], v[10:11]
	v_add_f64 v[12:13], v[31:32], v[127:128]
	v_fma_f64 v[31:32], v[4:5], v[18:19], v[123:124]
	v_fma_f64 v[18:19], v[2:3], v[18:19], -v[20:21]
	ds_load_b128 v[2:5], v1 offset:784
	v_fma_f64 v[16:17], v[8:9], v[22:23], v[16:17]
	v_fma_f64 v[22:23], v[6:7], v[22:23], -v[24:25]
	ds_load_b128 v[6:9], v1 offset:800
	v_add_f64 v[10:11], v[10:11], v[14:15]
	v_add_f64 v[12:13], v[12:13], v[125:126]
	s_waitcnt vmcnt(3) lgkmcnt(1)
	v_mul_f64 v[14:15], v[2:3], v[29:30]
	v_mul_f64 v[20:21], v[4:5], v[29:30]
	s_waitcnt vmcnt(2) lgkmcnt(0)
	v_mul_f64 v[24:25], v[8:9], v[113:114]
	v_add_f64 v[10:11], v[10:11], v[18:19]
	v_add_f64 v[12:13], v[12:13], v[31:32]
	v_mul_f64 v[18:19], v[6:7], v[113:114]
	v_fma_f64 v[14:15], v[4:5], v[27:28], v[14:15]
	v_fma_f64 v[20:21], v[2:3], v[27:28], -v[20:21]
	ds_load_b128 v[2:5], v1 offset:816
	v_fma_f64 v[6:7], v[6:7], v[111:112], -v[24:25]
	v_add_f64 v[10:11], v[10:11], v[22:23]
	v_add_f64 v[12:13], v[12:13], v[16:17]
	s_waitcnt vmcnt(1) lgkmcnt(0)
	v_mul_f64 v[16:17], v[2:3], v[121:122]
	v_mul_f64 v[22:23], v[4:5], v[121:122]
	v_fma_f64 v[8:9], v[8:9], v[111:112], v[18:19]
	v_add_f64 v[10:11], v[10:11], v[20:21]
	v_add_f64 v[12:13], v[12:13], v[14:15]
	v_fma_f64 v[4:5], v[4:5], v[119:120], v[16:17]
	v_fma_f64 v[2:3], v[2:3], v[119:120], -v[22:23]
	s_delay_alu instid0(VALU_DEP_4) | instskip(NEXT) | instid1(VALU_DEP_4)
	v_add_f64 v[6:7], v[10:11], v[6:7]
	v_add_f64 v[8:9], v[12:13], v[8:9]
	s_delay_alu instid0(VALU_DEP_2) | instskip(NEXT) | instid1(VALU_DEP_2)
	v_add_f64 v[2:3], v[6:7], v[2:3]
	v_add_f64 v[4:5], v[8:9], v[4:5]
	s_waitcnt vmcnt(0)
	s_delay_alu instid0(VALU_DEP_2) | instskip(NEXT) | instid1(VALU_DEP_2)
	v_add_f64 v[2:3], v[115:116], -v[2:3]
	v_add_f64 v[4:5], v[117:118], -v[4:5]
	scratch_store_b128 off, v[2:5], off offset:96
	v_cmpx_lt_u32_e32 5, v85
	s_cbranch_execz .LBB25_159
; %bb.158:
	scratch_load_b128 v[5:8], v104, off
	v_mov_b32_e32 v2, v1
	v_mov_b32_e32 v3, v1
	;; [unrolled: 1-line block ×3, first 2 shown]
	scratch_store_b128 off, v[1:4], off offset:80
	s_waitcnt vmcnt(0)
	ds_store_b128 v26, v[5:8]
.LBB25_159:
	s_or_b32 exec_lo, exec_lo, s2
	s_waitcnt lgkmcnt(0)
	s_waitcnt_vscnt null, 0x0
	s_barrier
	buffer_gl0_inv
	s_clause 0x7
	scratch_load_b128 v[2:5], off, off offset:96
	scratch_load_b128 v[6:9], off, off offset:112
	;; [unrolled: 1-line block ×8, first 2 shown]
	ds_load_b128 v[115:118], v1 offset:512
	ds_load_b128 v[123:126], v1 offset:528
	s_clause 0x1
	scratch_load_b128 v[119:122], off, off offset:224
	scratch_load_b128 v[127:130], off, off offset:240
	s_mov_b32 s2, exec_lo
	s_waitcnt vmcnt(9) lgkmcnt(1)
	v_mul_f64 v[31:32], v[117:118], v[4:5]
	v_mul_f64 v[4:5], v[115:116], v[4:5]
	s_waitcnt vmcnt(8) lgkmcnt(0)
	v_mul_f64 v[131:132], v[123:124], v[8:9]
	v_mul_f64 v[8:9], v[125:126], v[8:9]
	s_delay_alu instid0(VALU_DEP_4) | instskip(NEXT) | instid1(VALU_DEP_4)
	v_fma_f64 v[31:32], v[115:116], v[2:3], -v[31:32]
	v_fma_f64 v[133:134], v[117:118], v[2:3], v[4:5]
	ds_load_b128 v[2:5], v1 offset:544
	scratch_load_b128 v[115:118], off, off offset:256
	v_fma_f64 v[131:132], v[125:126], v[6:7], v[131:132]
	v_fma_f64 v[137:138], v[123:124], v[6:7], -v[8:9]
	scratch_load_b128 v[123:126], off, off offset:272
	ds_load_b128 v[6:9], v1 offset:560
	s_waitcnt vmcnt(9) lgkmcnt(1)
	v_mul_f64 v[135:136], v[2:3], v[12:13]
	v_mul_f64 v[12:13], v[4:5], v[12:13]
	s_waitcnt vmcnt(8) lgkmcnt(0)
	v_mul_f64 v[139:140], v[6:7], v[16:17]
	v_mul_f64 v[16:17], v[8:9], v[16:17]
	v_add_f64 v[31:32], v[31:32], 0
	v_add_f64 v[133:134], v[133:134], 0
	v_fma_f64 v[135:136], v[4:5], v[10:11], v[135:136]
	v_fma_f64 v[141:142], v[2:3], v[10:11], -v[12:13]
	ds_load_b128 v[2:5], v1 offset:576
	scratch_load_b128 v[10:13], off, off offset:288
	v_add_f64 v[31:32], v[31:32], v[137:138]
	v_add_f64 v[131:132], v[133:134], v[131:132]
	v_fma_f64 v[137:138], v[8:9], v[14:15], v[139:140]
	v_fma_f64 v[139:140], v[6:7], v[14:15], -v[16:17]
	ds_load_b128 v[6:9], v1 offset:592
	scratch_load_b128 v[14:17], off, off offset:304
	s_waitcnt vmcnt(9) lgkmcnt(1)
	v_mul_f64 v[133:134], v[2:3], v[20:21]
	v_mul_f64 v[20:21], v[4:5], v[20:21]
	v_add_f64 v[31:32], v[31:32], v[141:142]
	v_add_f64 v[131:132], v[131:132], v[135:136]
	s_waitcnt vmcnt(8) lgkmcnt(0)
	v_mul_f64 v[135:136], v[6:7], v[24:25]
	v_mul_f64 v[24:25], v[8:9], v[24:25]
	v_fma_f64 v[133:134], v[4:5], v[18:19], v[133:134]
	v_fma_f64 v[141:142], v[2:3], v[18:19], -v[20:21]
	ds_load_b128 v[2:5], v1 offset:608
	scratch_load_b128 v[18:21], off, off offset:320
	v_add_f64 v[31:32], v[31:32], v[139:140]
	v_add_f64 v[131:132], v[131:132], v[137:138]
	v_fma_f64 v[135:136], v[8:9], v[22:23], v[135:136]
	v_fma_f64 v[139:140], v[6:7], v[22:23], -v[24:25]
	ds_load_b128 v[6:9], v1 offset:624
	s_waitcnt vmcnt(8) lgkmcnt(1)
	v_mul_f64 v[137:138], v[2:3], v[29:30]
	v_mul_f64 v[29:30], v[4:5], v[29:30]
	scratch_load_b128 v[22:25], off, off offset:336
	v_add_f64 v[31:32], v[31:32], v[141:142]
	v_add_f64 v[131:132], v[131:132], v[133:134]
	s_waitcnt vmcnt(8) lgkmcnt(0)
	v_mul_f64 v[133:134], v[6:7], v[113:114]
	v_mul_f64 v[113:114], v[8:9], v[113:114]
	v_fma_f64 v[137:138], v[4:5], v[27:28], v[137:138]
	v_fma_f64 v[141:142], v[2:3], v[27:28], -v[29:30]
	scratch_load_b128 v[27:30], off, off offset:352
	ds_load_b128 v[2:5], v1 offset:640
	v_add_f64 v[31:32], v[31:32], v[139:140]
	v_add_f64 v[131:132], v[131:132], v[135:136]
	v_fma_f64 v[133:134], v[8:9], v[111:112], v[133:134]
	v_fma_f64 v[139:140], v[6:7], v[111:112], -v[113:114]
	ds_load_b128 v[6:9], v1 offset:656
	s_waitcnt vmcnt(8) lgkmcnt(1)
	v_mul_f64 v[135:136], v[2:3], v[121:122]
	v_mul_f64 v[121:122], v[4:5], v[121:122]
	scratch_load_b128 v[111:114], off, off offset:368
	v_add_f64 v[31:32], v[31:32], v[141:142]
	v_add_f64 v[131:132], v[131:132], v[137:138]
	s_waitcnt vmcnt(8) lgkmcnt(0)
	v_mul_f64 v[137:138], v[6:7], v[129:130]
	v_mul_f64 v[129:130], v[8:9], v[129:130]
	v_fma_f64 v[135:136], v[4:5], v[119:120], v[135:136]
	v_fma_f64 v[141:142], v[2:3], v[119:120], -v[121:122]
	scratch_load_b128 v[119:122], off, off offset:384
	ds_load_b128 v[2:5], v1 offset:672
	v_add_f64 v[31:32], v[31:32], v[139:140]
	v_add_f64 v[131:132], v[131:132], v[133:134]
	v_fma_f64 v[137:138], v[8:9], v[127:128], v[137:138]
	v_fma_f64 v[139:140], v[6:7], v[127:128], -v[129:130]
	ds_load_b128 v[6:9], v1 offset:688
	scratch_load_b128 v[127:130], off, off offset:400
	s_waitcnt vmcnt(9) lgkmcnt(1)
	v_mul_f64 v[133:134], v[2:3], v[117:118]
	v_mul_f64 v[117:118], v[4:5], v[117:118]
	v_add_f64 v[31:32], v[31:32], v[141:142]
	v_add_f64 v[131:132], v[131:132], v[135:136]
	s_waitcnt vmcnt(8) lgkmcnt(0)
	v_mul_f64 v[135:136], v[6:7], v[125:126]
	v_mul_f64 v[125:126], v[8:9], v[125:126]
	v_fma_f64 v[133:134], v[4:5], v[115:116], v[133:134]
	v_fma_f64 v[115:116], v[2:3], v[115:116], -v[117:118]
	ds_load_b128 v[2:5], v1 offset:704
	v_add_f64 v[31:32], v[31:32], v[139:140]
	v_add_f64 v[117:118], v[131:132], v[137:138]
	v_fma_f64 v[135:136], v[8:9], v[123:124], v[135:136]
	v_fma_f64 v[123:124], v[6:7], v[123:124], -v[125:126]
	ds_load_b128 v[6:9], v1 offset:720
	s_waitcnt vmcnt(7) lgkmcnt(1)
	v_mul_f64 v[131:132], v[2:3], v[12:13]
	v_mul_f64 v[12:13], v[4:5], v[12:13]
	v_add_f64 v[31:32], v[31:32], v[115:116]
	v_add_f64 v[115:116], v[117:118], v[133:134]
	s_delay_alu instid0(VALU_DEP_4) | instskip(NEXT) | instid1(VALU_DEP_4)
	v_fma_f64 v[125:126], v[4:5], v[10:11], v[131:132]
	v_fma_f64 v[131:132], v[2:3], v[10:11], -v[12:13]
	scratch_load_b128 v[10:13], off, off offset:80
	s_waitcnt vmcnt(7) lgkmcnt(0)
	v_mul_f64 v[117:118], v[6:7], v[16:17]
	v_mul_f64 v[16:17], v[8:9], v[16:17]
	ds_load_b128 v[2:5], v1 offset:736
	v_add_f64 v[31:32], v[31:32], v[123:124]
	v_add_f64 v[115:116], v[115:116], v[135:136]
	v_fma_f64 v[117:118], v[8:9], v[14:15], v[117:118]
	v_fma_f64 v[14:15], v[6:7], v[14:15], -v[16:17]
	ds_load_b128 v[6:9], v1 offset:752
	s_waitcnt vmcnt(6) lgkmcnt(1)
	v_mul_f64 v[123:124], v[2:3], v[20:21]
	v_mul_f64 v[20:21], v[4:5], v[20:21]
	v_add_f64 v[16:17], v[31:32], v[131:132]
	v_add_f64 v[31:32], v[115:116], v[125:126]
	s_waitcnt vmcnt(5) lgkmcnt(0)
	v_mul_f64 v[115:116], v[6:7], v[24:25]
	v_mul_f64 v[24:25], v[8:9], v[24:25]
	v_fma_f64 v[123:124], v[4:5], v[18:19], v[123:124]
	v_fma_f64 v[18:19], v[2:3], v[18:19], -v[20:21]
	ds_load_b128 v[2:5], v1 offset:768
	v_add_f64 v[14:15], v[16:17], v[14:15]
	v_add_f64 v[16:17], v[31:32], v[117:118]
	v_fma_f64 v[31:32], v[8:9], v[22:23], v[115:116]
	v_fma_f64 v[22:23], v[6:7], v[22:23], -v[24:25]
	ds_load_b128 v[6:9], v1 offset:784
	s_waitcnt vmcnt(4) lgkmcnt(1)
	v_mul_f64 v[20:21], v[2:3], v[29:30]
	v_mul_f64 v[29:30], v[4:5], v[29:30]
	s_waitcnt vmcnt(3) lgkmcnt(0)
	v_mul_f64 v[24:25], v[8:9], v[113:114]
	v_add_f64 v[14:15], v[14:15], v[18:19]
	v_add_f64 v[16:17], v[16:17], v[123:124]
	v_mul_f64 v[18:19], v[6:7], v[113:114]
	v_fma_f64 v[20:21], v[4:5], v[27:28], v[20:21]
	v_fma_f64 v[27:28], v[2:3], v[27:28], -v[29:30]
	ds_load_b128 v[2:5], v1 offset:800
	v_fma_f64 v[24:25], v[6:7], v[111:112], -v[24:25]
	v_add_f64 v[14:15], v[14:15], v[22:23]
	v_add_f64 v[16:17], v[16:17], v[31:32]
	v_fma_f64 v[18:19], v[8:9], v[111:112], v[18:19]
	ds_load_b128 v[6:9], v1 offset:816
	s_waitcnt vmcnt(2) lgkmcnt(1)
	v_mul_f64 v[22:23], v[2:3], v[121:122]
	v_mul_f64 v[29:30], v[4:5], v[121:122]
	v_add_f64 v[14:15], v[14:15], v[27:28]
	v_add_f64 v[16:17], v[16:17], v[20:21]
	s_waitcnt vmcnt(1) lgkmcnt(0)
	v_mul_f64 v[20:21], v[6:7], v[129:130]
	v_mul_f64 v[27:28], v[8:9], v[129:130]
	v_fma_f64 v[4:5], v[4:5], v[119:120], v[22:23]
	v_fma_f64 v[1:2], v[2:3], v[119:120], -v[29:30]
	v_add_f64 v[14:15], v[14:15], v[24:25]
	v_add_f64 v[16:17], v[16:17], v[18:19]
	v_fma_f64 v[8:9], v[8:9], v[127:128], v[20:21]
	v_fma_f64 v[6:7], v[6:7], v[127:128], -v[27:28]
	s_delay_alu instid0(VALU_DEP_4) | instskip(NEXT) | instid1(VALU_DEP_4)
	v_add_f64 v[1:2], v[14:15], v[1:2]
	v_add_f64 v[3:4], v[16:17], v[4:5]
	s_delay_alu instid0(VALU_DEP_2) | instskip(NEXT) | instid1(VALU_DEP_2)
	v_add_f64 v[1:2], v[1:2], v[6:7]
	v_add_f64 v[3:4], v[3:4], v[8:9]
	s_waitcnt vmcnt(0)
	s_delay_alu instid0(VALU_DEP_2) | instskip(NEXT) | instid1(VALU_DEP_2)
	v_add_f64 v[1:2], v[10:11], -v[1:2]
	v_add_f64 v[3:4], v[12:13], -v[3:4]
	scratch_store_b128 off, v[1:4], off offset:80
	v_cmpx_lt_u32_e32 4, v85
	s_cbranch_execz .LBB25_161
; %bb.160:
	scratch_load_b128 v[1:4], v86, off
	v_mov_b32_e32 v5, 0
	s_delay_alu instid0(VALU_DEP_1)
	v_mov_b32_e32 v6, v5
	v_mov_b32_e32 v7, v5
	;; [unrolled: 1-line block ×3, first 2 shown]
	scratch_store_b128 off, v[5:8], off offset:64
	s_waitcnt vmcnt(0)
	ds_store_b128 v26, v[1:4]
.LBB25_161:
	s_or_b32 exec_lo, exec_lo, s2
	s_waitcnt lgkmcnt(0)
	s_waitcnt_vscnt null, 0x0
	s_barrier
	buffer_gl0_inv
	s_clause 0x7
	scratch_load_b128 v[2:5], off, off offset:80
	scratch_load_b128 v[6:9], off, off offset:96
	;; [unrolled: 1-line block ×8, first 2 shown]
	v_mov_b32_e32 v1, 0
	s_clause 0x1
	scratch_load_b128 v[119:122], off, off offset:208
	scratch_load_b128 v[127:130], off, off offset:224
	s_mov_b32 s2, exec_lo
	ds_load_b128 v[115:118], v1 offset:496
	ds_load_b128 v[123:126], v1 offset:512
	s_waitcnt vmcnt(9) lgkmcnt(1)
	v_mul_f64 v[31:32], v[117:118], v[4:5]
	v_mul_f64 v[4:5], v[115:116], v[4:5]
	s_waitcnt vmcnt(8) lgkmcnt(0)
	v_mul_f64 v[131:132], v[123:124], v[8:9]
	v_mul_f64 v[8:9], v[125:126], v[8:9]
	s_delay_alu instid0(VALU_DEP_4) | instskip(NEXT) | instid1(VALU_DEP_4)
	v_fma_f64 v[31:32], v[115:116], v[2:3], -v[31:32]
	v_fma_f64 v[133:134], v[117:118], v[2:3], v[4:5]
	ds_load_b128 v[2:5], v1 offset:528
	scratch_load_b128 v[115:118], off, off offset:240
	v_fma_f64 v[131:132], v[125:126], v[6:7], v[131:132]
	v_fma_f64 v[137:138], v[123:124], v[6:7], -v[8:9]
	scratch_load_b128 v[123:126], off, off offset:256
	ds_load_b128 v[6:9], v1 offset:544
	s_waitcnt vmcnt(9) lgkmcnt(1)
	v_mul_f64 v[135:136], v[2:3], v[12:13]
	v_mul_f64 v[12:13], v[4:5], v[12:13]
	s_waitcnt vmcnt(8) lgkmcnt(0)
	v_mul_f64 v[139:140], v[6:7], v[16:17]
	v_mul_f64 v[16:17], v[8:9], v[16:17]
	v_add_f64 v[31:32], v[31:32], 0
	v_add_f64 v[133:134], v[133:134], 0
	v_fma_f64 v[135:136], v[4:5], v[10:11], v[135:136]
	v_fma_f64 v[141:142], v[2:3], v[10:11], -v[12:13]
	ds_load_b128 v[2:5], v1 offset:560
	scratch_load_b128 v[10:13], off, off offset:272
	v_add_f64 v[31:32], v[31:32], v[137:138]
	v_add_f64 v[131:132], v[133:134], v[131:132]
	v_fma_f64 v[137:138], v[8:9], v[14:15], v[139:140]
	v_fma_f64 v[139:140], v[6:7], v[14:15], -v[16:17]
	scratch_load_b128 v[14:17], off, off offset:288
	ds_load_b128 v[6:9], v1 offset:576
	s_waitcnt vmcnt(9) lgkmcnt(1)
	v_mul_f64 v[133:134], v[2:3], v[20:21]
	v_mul_f64 v[20:21], v[4:5], v[20:21]
	v_add_f64 v[31:32], v[31:32], v[141:142]
	v_add_f64 v[131:132], v[131:132], v[135:136]
	s_waitcnt vmcnt(8) lgkmcnt(0)
	v_mul_f64 v[135:136], v[6:7], v[24:25]
	v_mul_f64 v[24:25], v[8:9], v[24:25]
	v_fma_f64 v[133:134], v[4:5], v[18:19], v[133:134]
	v_fma_f64 v[141:142], v[2:3], v[18:19], -v[20:21]
	ds_load_b128 v[2:5], v1 offset:592
	scratch_load_b128 v[18:21], off, off offset:304
	v_add_f64 v[31:32], v[31:32], v[139:140]
	v_add_f64 v[131:132], v[131:132], v[137:138]
	v_fma_f64 v[135:136], v[8:9], v[22:23], v[135:136]
	v_fma_f64 v[139:140], v[6:7], v[22:23], -v[24:25]
	ds_load_b128 v[6:9], v1 offset:608
	s_waitcnt vmcnt(8) lgkmcnt(1)
	v_mul_f64 v[137:138], v[2:3], v[29:30]
	v_mul_f64 v[29:30], v[4:5], v[29:30]
	scratch_load_b128 v[22:25], off, off offset:320
	v_add_f64 v[31:32], v[31:32], v[141:142]
	v_add_f64 v[131:132], v[131:132], v[133:134]
	s_waitcnt vmcnt(8) lgkmcnt(0)
	v_mul_f64 v[133:134], v[6:7], v[113:114]
	v_mul_f64 v[113:114], v[8:9], v[113:114]
	v_fma_f64 v[137:138], v[4:5], v[27:28], v[137:138]
	v_fma_f64 v[141:142], v[2:3], v[27:28], -v[29:30]
	scratch_load_b128 v[27:30], off, off offset:336
	ds_load_b128 v[2:5], v1 offset:624
	v_add_f64 v[31:32], v[31:32], v[139:140]
	v_add_f64 v[131:132], v[131:132], v[135:136]
	v_fma_f64 v[133:134], v[8:9], v[111:112], v[133:134]
	v_fma_f64 v[139:140], v[6:7], v[111:112], -v[113:114]
	ds_load_b128 v[6:9], v1 offset:640
	s_waitcnt vmcnt(8) lgkmcnt(1)
	v_mul_f64 v[135:136], v[2:3], v[121:122]
	v_mul_f64 v[121:122], v[4:5], v[121:122]
	scratch_load_b128 v[111:114], off, off offset:352
	v_add_f64 v[31:32], v[31:32], v[141:142]
	v_add_f64 v[131:132], v[131:132], v[137:138]
	s_waitcnt vmcnt(8) lgkmcnt(0)
	v_mul_f64 v[137:138], v[6:7], v[129:130]
	v_mul_f64 v[129:130], v[8:9], v[129:130]
	v_fma_f64 v[135:136], v[4:5], v[119:120], v[135:136]
	v_fma_f64 v[141:142], v[2:3], v[119:120], -v[121:122]
	scratch_load_b128 v[119:122], off, off offset:368
	ds_load_b128 v[2:5], v1 offset:656
	v_add_f64 v[31:32], v[31:32], v[139:140]
	v_add_f64 v[131:132], v[131:132], v[133:134]
	v_fma_f64 v[137:138], v[8:9], v[127:128], v[137:138]
	v_fma_f64 v[139:140], v[6:7], v[127:128], -v[129:130]
	ds_load_b128 v[6:9], v1 offset:672
	scratch_load_b128 v[127:130], off, off offset:384
	s_waitcnt vmcnt(9) lgkmcnt(1)
	v_mul_f64 v[133:134], v[2:3], v[117:118]
	v_mul_f64 v[117:118], v[4:5], v[117:118]
	v_add_f64 v[31:32], v[31:32], v[141:142]
	v_add_f64 v[131:132], v[131:132], v[135:136]
	s_waitcnt vmcnt(8) lgkmcnt(0)
	v_mul_f64 v[135:136], v[6:7], v[125:126]
	v_mul_f64 v[125:126], v[8:9], v[125:126]
	v_fma_f64 v[133:134], v[4:5], v[115:116], v[133:134]
	v_fma_f64 v[141:142], v[2:3], v[115:116], -v[117:118]
	scratch_load_b128 v[115:118], off, off offset:400
	ds_load_b128 v[2:5], v1 offset:688
	v_add_f64 v[31:32], v[31:32], v[139:140]
	v_add_f64 v[131:132], v[131:132], v[137:138]
	v_fma_f64 v[135:136], v[8:9], v[123:124], v[135:136]
	v_fma_f64 v[123:124], v[6:7], v[123:124], -v[125:126]
	ds_load_b128 v[6:9], v1 offset:704
	s_waitcnt vmcnt(8) lgkmcnt(1)
	v_mul_f64 v[137:138], v[2:3], v[12:13]
	v_mul_f64 v[12:13], v[4:5], v[12:13]
	v_add_f64 v[31:32], v[31:32], v[141:142]
	v_add_f64 v[125:126], v[131:132], v[133:134]
	s_waitcnt vmcnt(7) lgkmcnt(0)
	v_mul_f64 v[131:132], v[6:7], v[16:17]
	v_mul_f64 v[16:17], v[8:9], v[16:17]
	v_fma_f64 v[133:134], v[4:5], v[10:11], v[137:138]
	v_fma_f64 v[10:11], v[2:3], v[10:11], -v[12:13]
	ds_load_b128 v[2:5], v1 offset:720
	v_add_f64 v[12:13], v[31:32], v[123:124]
	v_add_f64 v[31:32], v[125:126], v[135:136]
	v_fma_f64 v[125:126], v[8:9], v[14:15], v[131:132]
	v_fma_f64 v[14:15], v[6:7], v[14:15], -v[16:17]
	ds_load_b128 v[6:9], v1 offset:736
	s_waitcnt vmcnt(5) lgkmcnt(0)
	v_mul_f64 v[131:132], v[6:7], v[24:25]
	v_mul_f64 v[24:25], v[8:9], v[24:25]
	v_add_f64 v[16:17], v[12:13], v[10:11]
	v_add_f64 v[31:32], v[31:32], v[133:134]
	scratch_load_b128 v[10:13], off, off offset:64
	v_mul_f64 v[123:124], v[2:3], v[20:21]
	v_mul_f64 v[20:21], v[4:5], v[20:21]
	v_add_f64 v[14:15], v[16:17], v[14:15]
	v_add_f64 v[16:17], v[31:32], v[125:126]
	v_fma_f64 v[31:32], v[8:9], v[22:23], v[131:132]
	v_fma_f64 v[123:124], v[4:5], v[18:19], v[123:124]
	v_fma_f64 v[18:19], v[2:3], v[18:19], -v[20:21]
	ds_load_b128 v[2:5], v1 offset:752
	v_fma_f64 v[22:23], v[6:7], v[22:23], -v[24:25]
	ds_load_b128 v[6:9], v1 offset:768
	s_waitcnt vmcnt(5) lgkmcnt(1)
	v_mul_f64 v[20:21], v[2:3], v[29:30]
	v_mul_f64 v[29:30], v[4:5], v[29:30]
	s_waitcnt vmcnt(4) lgkmcnt(0)
	v_mul_f64 v[24:25], v[8:9], v[113:114]
	v_add_f64 v[16:17], v[16:17], v[123:124]
	v_add_f64 v[14:15], v[14:15], v[18:19]
	v_mul_f64 v[18:19], v[6:7], v[113:114]
	v_fma_f64 v[20:21], v[4:5], v[27:28], v[20:21]
	v_fma_f64 v[27:28], v[2:3], v[27:28], -v[29:30]
	ds_load_b128 v[2:5], v1 offset:784
	v_fma_f64 v[24:25], v[6:7], v[111:112], -v[24:25]
	v_add_f64 v[16:17], v[16:17], v[31:32]
	v_add_f64 v[14:15], v[14:15], v[22:23]
	v_fma_f64 v[18:19], v[8:9], v[111:112], v[18:19]
	ds_load_b128 v[6:9], v1 offset:800
	s_waitcnt vmcnt(3) lgkmcnt(1)
	v_mul_f64 v[22:23], v[2:3], v[121:122]
	v_mul_f64 v[29:30], v[4:5], v[121:122]
	v_add_f64 v[16:17], v[16:17], v[20:21]
	v_add_f64 v[14:15], v[14:15], v[27:28]
	s_waitcnt vmcnt(2) lgkmcnt(0)
	v_mul_f64 v[20:21], v[6:7], v[129:130]
	v_mul_f64 v[27:28], v[8:9], v[129:130]
	v_fma_f64 v[22:23], v[4:5], v[119:120], v[22:23]
	v_fma_f64 v[29:30], v[2:3], v[119:120], -v[29:30]
	ds_load_b128 v[2:5], v1 offset:816
	v_add_f64 v[16:17], v[16:17], v[18:19]
	v_add_f64 v[14:15], v[14:15], v[24:25]
	s_waitcnt vmcnt(1) lgkmcnt(0)
	v_mul_f64 v[18:19], v[2:3], v[117:118]
	v_mul_f64 v[24:25], v[4:5], v[117:118]
	v_fma_f64 v[8:9], v[8:9], v[127:128], v[20:21]
	v_fma_f64 v[6:7], v[6:7], v[127:128], -v[27:28]
	v_add_f64 v[16:17], v[16:17], v[22:23]
	v_add_f64 v[14:15], v[14:15], v[29:30]
	v_fma_f64 v[4:5], v[4:5], v[115:116], v[18:19]
	v_fma_f64 v[2:3], v[2:3], v[115:116], -v[24:25]
	s_delay_alu instid0(VALU_DEP_4) | instskip(NEXT) | instid1(VALU_DEP_4)
	v_add_f64 v[8:9], v[16:17], v[8:9]
	v_add_f64 v[6:7], v[14:15], v[6:7]
	s_delay_alu instid0(VALU_DEP_2) | instskip(NEXT) | instid1(VALU_DEP_2)
	v_add_f64 v[4:5], v[8:9], v[4:5]
	v_add_f64 v[2:3], v[6:7], v[2:3]
	s_waitcnt vmcnt(0)
	s_delay_alu instid0(VALU_DEP_2) | instskip(NEXT) | instid1(VALU_DEP_2)
	v_add_f64 v[4:5], v[12:13], -v[4:5]
	v_add_f64 v[2:3], v[10:11], -v[2:3]
	scratch_store_b128 off, v[2:5], off offset:64
	v_cmpx_lt_u32_e32 3, v85
	s_cbranch_execz .LBB25_163
; %bb.162:
	scratch_load_b128 v[5:8], v89, off
	v_mov_b32_e32 v2, v1
	v_mov_b32_e32 v3, v1
	;; [unrolled: 1-line block ×3, first 2 shown]
	scratch_store_b128 off, v[1:4], off offset:48
	s_waitcnt vmcnt(0)
	ds_store_b128 v26, v[5:8]
.LBB25_163:
	s_or_b32 exec_lo, exec_lo, s2
	s_waitcnt lgkmcnt(0)
	s_waitcnt_vscnt null, 0x0
	s_barrier
	buffer_gl0_inv
	s_clause 0x7
	scratch_load_b128 v[2:5], off, off offset:64
	scratch_load_b128 v[6:9], off, off offset:80
	;; [unrolled: 1-line block ×8, first 2 shown]
	ds_load_b128 v[115:118], v1 offset:480
	ds_load_b128 v[123:126], v1 offset:496
	s_clause 0x1
	scratch_load_b128 v[119:122], off, off offset:192
	scratch_load_b128 v[127:130], off, off offset:208
	s_mov_b32 s2, exec_lo
	s_waitcnt vmcnt(9) lgkmcnt(1)
	v_mul_f64 v[31:32], v[117:118], v[4:5]
	v_mul_f64 v[4:5], v[115:116], v[4:5]
	s_waitcnt vmcnt(8) lgkmcnt(0)
	v_mul_f64 v[131:132], v[123:124], v[8:9]
	v_mul_f64 v[8:9], v[125:126], v[8:9]
	s_delay_alu instid0(VALU_DEP_4) | instskip(NEXT) | instid1(VALU_DEP_4)
	v_fma_f64 v[31:32], v[115:116], v[2:3], -v[31:32]
	v_fma_f64 v[133:134], v[117:118], v[2:3], v[4:5]
	ds_load_b128 v[2:5], v1 offset:512
	scratch_load_b128 v[115:118], off, off offset:224
	v_fma_f64 v[131:132], v[125:126], v[6:7], v[131:132]
	v_fma_f64 v[137:138], v[123:124], v[6:7], -v[8:9]
	scratch_load_b128 v[123:126], off, off offset:240
	ds_load_b128 v[6:9], v1 offset:528
	s_waitcnt vmcnt(9) lgkmcnt(1)
	v_mul_f64 v[135:136], v[2:3], v[12:13]
	v_mul_f64 v[12:13], v[4:5], v[12:13]
	s_waitcnt vmcnt(8) lgkmcnt(0)
	v_mul_f64 v[139:140], v[6:7], v[16:17]
	v_mul_f64 v[16:17], v[8:9], v[16:17]
	v_add_f64 v[31:32], v[31:32], 0
	v_add_f64 v[133:134], v[133:134], 0
	v_fma_f64 v[135:136], v[4:5], v[10:11], v[135:136]
	v_fma_f64 v[141:142], v[2:3], v[10:11], -v[12:13]
	ds_load_b128 v[2:5], v1 offset:544
	scratch_load_b128 v[10:13], off, off offset:256
	v_add_f64 v[31:32], v[31:32], v[137:138]
	v_add_f64 v[131:132], v[133:134], v[131:132]
	v_fma_f64 v[137:138], v[8:9], v[14:15], v[139:140]
	v_fma_f64 v[139:140], v[6:7], v[14:15], -v[16:17]
	scratch_load_b128 v[14:17], off, off offset:272
	ds_load_b128 v[6:9], v1 offset:560
	s_waitcnt vmcnt(9) lgkmcnt(1)
	v_mul_f64 v[133:134], v[2:3], v[20:21]
	v_mul_f64 v[20:21], v[4:5], v[20:21]
	v_add_f64 v[31:32], v[31:32], v[141:142]
	v_add_f64 v[131:132], v[131:132], v[135:136]
	s_waitcnt vmcnt(8) lgkmcnt(0)
	v_mul_f64 v[135:136], v[6:7], v[24:25]
	v_mul_f64 v[24:25], v[8:9], v[24:25]
	v_fma_f64 v[133:134], v[4:5], v[18:19], v[133:134]
	v_fma_f64 v[141:142], v[2:3], v[18:19], -v[20:21]
	ds_load_b128 v[2:5], v1 offset:576
	scratch_load_b128 v[18:21], off, off offset:288
	v_add_f64 v[31:32], v[31:32], v[139:140]
	v_add_f64 v[131:132], v[131:132], v[137:138]
	v_fma_f64 v[135:136], v[8:9], v[22:23], v[135:136]
	v_fma_f64 v[139:140], v[6:7], v[22:23], -v[24:25]
	ds_load_b128 v[6:9], v1 offset:592
	s_waitcnt vmcnt(8) lgkmcnt(1)
	v_mul_f64 v[137:138], v[2:3], v[29:30]
	v_mul_f64 v[29:30], v[4:5], v[29:30]
	scratch_load_b128 v[22:25], off, off offset:304
	v_add_f64 v[31:32], v[31:32], v[141:142]
	v_add_f64 v[131:132], v[131:132], v[133:134]
	s_waitcnt vmcnt(8) lgkmcnt(0)
	v_mul_f64 v[133:134], v[6:7], v[113:114]
	v_mul_f64 v[113:114], v[8:9], v[113:114]
	v_fma_f64 v[137:138], v[4:5], v[27:28], v[137:138]
	v_fma_f64 v[141:142], v[2:3], v[27:28], -v[29:30]
	ds_load_b128 v[2:5], v1 offset:608
	scratch_load_b128 v[27:30], off, off offset:320
	v_add_f64 v[31:32], v[31:32], v[139:140]
	v_add_f64 v[131:132], v[131:132], v[135:136]
	v_fma_f64 v[133:134], v[8:9], v[111:112], v[133:134]
	v_fma_f64 v[139:140], v[6:7], v[111:112], -v[113:114]
	ds_load_b128 v[6:9], v1 offset:624
	s_waitcnt vmcnt(8) lgkmcnt(1)
	v_mul_f64 v[135:136], v[2:3], v[121:122]
	v_mul_f64 v[121:122], v[4:5], v[121:122]
	scratch_load_b128 v[111:114], off, off offset:336
	v_add_f64 v[31:32], v[31:32], v[141:142]
	v_add_f64 v[131:132], v[131:132], v[137:138]
	s_waitcnt vmcnt(8) lgkmcnt(0)
	v_mul_f64 v[137:138], v[6:7], v[129:130]
	v_mul_f64 v[129:130], v[8:9], v[129:130]
	v_fma_f64 v[135:136], v[4:5], v[119:120], v[135:136]
	v_fma_f64 v[141:142], v[2:3], v[119:120], -v[121:122]
	scratch_load_b128 v[119:122], off, off offset:352
	ds_load_b128 v[2:5], v1 offset:640
	v_add_f64 v[31:32], v[31:32], v[139:140]
	v_add_f64 v[131:132], v[131:132], v[133:134]
	v_fma_f64 v[137:138], v[8:9], v[127:128], v[137:138]
	v_fma_f64 v[139:140], v[6:7], v[127:128], -v[129:130]
	ds_load_b128 v[6:9], v1 offset:656
	scratch_load_b128 v[127:130], off, off offset:368
	s_waitcnt vmcnt(9) lgkmcnt(1)
	v_mul_f64 v[133:134], v[2:3], v[117:118]
	v_mul_f64 v[117:118], v[4:5], v[117:118]
	v_add_f64 v[31:32], v[31:32], v[141:142]
	v_add_f64 v[131:132], v[131:132], v[135:136]
	s_waitcnt vmcnt(8) lgkmcnt(0)
	v_mul_f64 v[135:136], v[6:7], v[125:126]
	v_mul_f64 v[125:126], v[8:9], v[125:126]
	v_fma_f64 v[133:134], v[4:5], v[115:116], v[133:134]
	v_fma_f64 v[141:142], v[2:3], v[115:116], -v[117:118]
	scratch_load_b128 v[115:118], off, off offset:384
	ds_load_b128 v[2:5], v1 offset:672
	v_add_f64 v[31:32], v[31:32], v[139:140]
	v_add_f64 v[131:132], v[131:132], v[137:138]
	v_fma_f64 v[135:136], v[8:9], v[123:124], v[135:136]
	v_fma_f64 v[139:140], v[6:7], v[123:124], -v[125:126]
	ds_load_b128 v[6:9], v1 offset:688
	s_waitcnt vmcnt(8) lgkmcnt(1)
	v_mul_f64 v[137:138], v[2:3], v[12:13]
	v_mul_f64 v[12:13], v[4:5], v[12:13]
	scratch_load_b128 v[123:126], off, off offset:400
	v_add_f64 v[31:32], v[31:32], v[141:142]
	v_add_f64 v[131:132], v[131:132], v[133:134]
	s_waitcnt vmcnt(8) lgkmcnt(0)
	v_mul_f64 v[133:134], v[6:7], v[16:17]
	v_mul_f64 v[16:17], v[8:9], v[16:17]
	v_fma_f64 v[137:138], v[4:5], v[10:11], v[137:138]
	v_fma_f64 v[10:11], v[2:3], v[10:11], -v[12:13]
	ds_load_b128 v[2:5], v1 offset:704
	v_add_f64 v[12:13], v[31:32], v[139:140]
	v_add_f64 v[31:32], v[131:132], v[135:136]
	v_fma_f64 v[133:134], v[8:9], v[14:15], v[133:134]
	v_fma_f64 v[14:15], v[6:7], v[14:15], -v[16:17]
	ds_load_b128 v[6:9], v1 offset:720
	s_waitcnt vmcnt(7) lgkmcnt(1)
	v_mul_f64 v[131:132], v[2:3], v[20:21]
	v_mul_f64 v[20:21], v[4:5], v[20:21]
	v_add_f64 v[10:11], v[12:13], v[10:11]
	v_add_f64 v[12:13], v[31:32], v[137:138]
	s_delay_alu instid0(VALU_DEP_4) | instskip(NEXT) | instid1(VALU_DEP_4)
	v_fma_f64 v[31:32], v[4:5], v[18:19], v[131:132]
	v_fma_f64 v[18:19], v[2:3], v[18:19], -v[20:21]
	ds_load_b128 v[2:5], v1 offset:736
	v_add_f64 v[14:15], v[10:11], v[14:15]
	v_add_f64 v[20:21], v[12:13], v[133:134]
	scratch_load_b128 v[10:13], off, off offset:48
	s_waitcnt vmcnt(7) lgkmcnt(1)
	v_mul_f64 v[16:17], v[6:7], v[24:25]
	v_mul_f64 v[24:25], v[8:9], v[24:25]
	v_add_f64 v[14:15], v[14:15], v[18:19]
	v_add_f64 v[18:19], v[20:21], v[31:32]
	s_delay_alu instid0(VALU_DEP_4) | instskip(NEXT) | instid1(VALU_DEP_4)
	v_fma_f64 v[16:17], v[8:9], v[22:23], v[16:17]
	v_fma_f64 v[22:23], v[6:7], v[22:23], -v[24:25]
	ds_load_b128 v[6:9], v1 offset:752
	s_waitcnt vmcnt(6) lgkmcnt(1)
	v_mul_f64 v[131:132], v[2:3], v[29:30]
	v_mul_f64 v[29:30], v[4:5], v[29:30]
	s_waitcnt vmcnt(5) lgkmcnt(0)
	v_mul_f64 v[20:21], v[6:7], v[113:114]
	v_mul_f64 v[24:25], v[8:9], v[113:114]
	v_add_f64 v[16:17], v[18:19], v[16:17]
	v_add_f64 v[14:15], v[14:15], v[22:23]
	v_fma_f64 v[31:32], v[4:5], v[27:28], v[131:132]
	v_fma_f64 v[27:28], v[2:3], v[27:28], -v[29:30]
	ds_load_b128 v[2:5], v1 offset:768
	v_fma_f64 v[20:21], v[8:9], v[111:112], v[20:21]
	v_fma_f64 v[24:25], v[6:7], v[111:112], -v[24:25]
	ds_load_b128 v[6:9], v1 offset:784
	s_waitcnt vmcnt(4) lgkmcnt(1)
	v_mul_f64 v[18:19], v[2:3], v[121:122]
	v_mul_f64 v[22:23], v[4:5], v[121:122]
	v_add_f64 v[16:17], v[16:17], v[31:32]
	v_add_f64 v[14:15], v[14:15], v[27:28]
	s_waitcnt vmcnt(3) lgkmcnt(0)
	v_mul_f64 v[27:28], v[6:7], v[129:130]
	v_mul_f64 v[29:30], v[8:9], v[129:130]
	v_fma_f64 v[18:19], v[4:5], v[119:120], v[18:19]
	v_fma_f64 v[22:23], v[2:3], v[119:120], -v[22:23]
	ds_load_b128 v[2:5], v1 offset:800
	v_add_f64 v[16:17], v[16:17], v[20:21]
	v_add_f64 v[14:15], v[14:15], v[24:25]
	v_fma_f64 v[27:28], v[8:9], v[127:128], v[27:28]
	v_fma_f64 v[29:30], v[6:7], v[127:128], -v[29:30]
	ds_load_b128 v[6:9], v1 offset:816
	s_waitcnt vmcnt(2) lgkmcnt(1)
	v_mul_f64 v[20:21], v[2:3], v[117:118]
	v_mul_f64 v[24:25], v[4:5], v[117:118]
	v_add_f64 v[16:17], v[16:17], v[18:19]
	v_add_f64 v[14:15], v[14:15], v[22:23]
	s_waitcnt vmcnt(1) lgkmcnt(0)
	v_mul_f64 v[18:19], v[6:7], v[125:126]
	v_mul_f64 v[22:23], v[8:9], v[125:126]
	v_fma_f64 v[4:5], v[4:5], v[115:116], v[20:21]
	v_fma_f64 v[1:2], v[2:3], v[115:116], -v[24:25]
	v_add_f64 v[16:17], v[16:17], v[27:28]
	v_add_f64 v[14:15], v[14:15], v[29:30]
	v_fma_f64 v[8:9], v[8:9], v[123:124], v[18:19]
	v_fma_f64 v[6:7], v[6:7], v[123:124], -v[22:23]
	s_delay_alu instid0(VALU_DEP_4) | instskip(NEXT) | instid1(VALU_DEP_4)
	v_add_f64 v[3:4], v[16:17], v[4:5]
	v_add_f64 v[1:2], v[14:15], v[1:2]
	s_delay_alu instid0(VALU_DEP_2) | instskip(NEXT) | instid1(VALU_DEP_2)
	v_add_f64 v[3:4], v[3:4], v[8:9]
	v_add_f64 v[1:2], v[1:2], v[6:7]
	s_waitcnt vmcnt(0)
	s_delay_alu instid0(VALU_DEP_2) | instskip(NEXT) | instid1(VALU_DEP_2)
	v_add_f64 v[3:4], v[12:13], -v[3:4]
	v_add_f64 v[1:2], v[10:11], -v[1:2]
	scratch_store_b128 off, v[1:4], off offset:48
	v_cmpx_lt_u32_e32 2, v85
	s_cbranch_execz .LBB25_165
; %bb.164:
	scratch_load_b128 v[1:4], v87, off
	v_mov_b32_e32 v5, 0
	s_delay_alu instid0(VALU_DEP_1)
	v_mov_b32_e32 v6, v5
	v_mov_b32_e32 v7, v5
	;; [unrolled: 1-line block ×3, first 2 shown]
	scratch_store_b128 off, v[5:8], off offset:32
	s_waitcnt vmcnt(0)
	ds_store_b128 v26, v[1:4]
.LBB25_165:
	s_or_b32 exec_lo, exec_lo, s2
	s_waitcnt lgkmcnt(0)
	s_waitcnt_vscnt null, 0x0
	s_barrier
	buffer_gl0_inv
	s_clause 0x7
	scratch_load_b128 v[2:5], off, off offset:48
	scratch_load_b128 v[6:9], off, off offset:64
	;; [unrolled: 1-line block ×8, first 2 shown]
	v_mov_b32_e32 v1, 0
	s_clause 0x1
	scratch_load_b128 v[119:122], off, off offset:176
	scratch_load_b128 v[127:130], off, off offset:192
	s_mov_b32 s2, exec_lo
	ds_load_b128 v[115:118], v1 offset:464
	ds_load_b128 v[123:126], v1 offset:480
	s_waitcnt vmcnt(9) lgkmcnt(1)
	v_mul_f64 v[31:32], v[117:118], v[4:5]
	v_mul_f64 v[4:5], v[115:116], v[4:5]
	s_waitcnt vmcnt(8) lgkmcnt(0)
	v_mul_f64 v[131:132], v[123:124], v[8:9]
	v_mul_f64 v[8:9], v[125:126], v[8:9]
	s_delay_alu instid0(VALU_DEP_4) | instskip(NEXT) | instid1(VALU_DEP_4)
	v_fma_f64 v[31:32], v[115:116], v[2:3], -v[31:32]
	v_fma_f64 v[133:134], v[117:118], v[2:3], v[4:5]
	ds_load_b128 v[2:5], v1 offset:496
	scratch_load_b128 v[115:118], off, off offset:208
	v_fma_f64 v[131:132], v[125:126], v[6:7], v[131:132]
	v_fma_f64 v[137:138], v[123:124], v[6:7], -v[8:9]
	scratch_load_b128 v[123:126], off, off offset:224
	ds_load_b128 v[6:9], v1 offset:512
	s_waitcnt vmcnt(9) lgkmcnt(1)
	v_mul_f64 v[135:136], v[2:3], v[12:13]
	v_mul_f64 v[12:13], v[4:5], v[12:13]
	s_waitcnt vmcnt(8) lgkmcnt(0)
	v_mul_f64 v[139:140], v[6:7], v[16:17]
	v_mul_f64 v[16:17], v[8:9], v[16:17]
	v_add_f64 v[31:32], v[31:32], 0
	v_add_f64 v[133:134], v[133:134], 0
	v_fma_f64 v[135:136], v[4:5], v[10:11], v[135:136]
	v_fma_f64 v[141:142], v[2:3], v[10:11], -v[12:13]
	ds_load_b128 v[2:5], v1 offset:528
	scratch_load_b128 v[10:13], off, off offset:240
	v_add_f64 v[31:32], v[31:32], v[137:138]
	v_add_f64 v[131:132], v[133:134], v[131:132]
	v_fma_f64 v[137:138], v[8:9], v[14:15], v[139:140]
	v_fma_f64 v[139:140], v[6:7], v[14:15], -v[16:17]
	scratch_load_b128 v[14:17], off, off offset:256
	ds_load_b128 v[6:9], v1 offset:544
	s_waitcnt vmcnt(9) lgkmcnt(1)
	v_mul_f64 v[133:134], v[2:3], v[20:21]
	v_mul_f64 v[20:21], v[4:5], v[20:21]
	v_add_f64 v[31:32], v[31:32], v[141:142]
	v_add_f64 v[131:132], v[131:132], v[135:136]
	s_waitcnt vmcnt(8) lgkmcnt(0)
	v_mul_f64 v[135:136], v[6:7], v[24:25]
	v_mul_f64 v[24:25], v[8:9], v[24:25]
	v_fma_f64 v[133:134], v[4:5], v[18:19], v[133:134]
	v_fma_f64 v[141:142], v[2:3], v[18:19], -v[20:21]
	ds_load_b128 v[2:5], v1 offset:560
	scratch_load_b128 v[18:21], off, off offset:272
	v_add_f64 v[31:32], v[31:32], v[139:140]
	v_add_f64 v[131:132], v[131:132], v[137:138]
	v_fma_f64 v[135:136], v[8:9], v[22:23], v[135:136]
	v_fma_f64 v[139:140], v[6:7], v[22:23], -v[24:25]
	scratch_load_b128 v[22:25], off, off offset:288
	ds_load_b128 v[6:9], v1 offset:576
	s_waitcnt vmcnt(9) lgkmcnt(1)
	v_mul_f64 v[137:138], v[2:3], v[29:30]
	v_mul_f64 v[29:30], v[4:5], v[29:30]
	v_add_f64 v[31:32], v[31:32], v[141:142]
	v_add_f64 v[131:132], v[131:132], v[133:134]
	s_waitcnt vmcnt(8) lgkmcnt(0)
	v_mul_f64 v[133:134], v[6:7], v[113:114]
	v_mul_f64 v[113:114], v[8:9], v[113:114]
	v_fma_f64 v[137:138], v[4:5], v[27:28], v[137:138]
	v_fma_f64 v[141:142], v[2:3], v[27:28], -v[29:30]
	ds_load_b128 v[2:5], v1 offset:592
	scratch_load_b128 v[27:30], off, off offset:304
	v_add_f64 v[31:32], v[31:32], v[139:140]
	v_add_f64 v[131:132], v[131:132], v[135:136]
	v_fma_f64 v[133:134], v[8:9], v[111:112], v[133:134]
	v_fma_f64 v[139:140], v[6:7], v[111:112], -v[113:114]
	ds_load_b128 v[6:9], v1 offset:608
	s_waitcnt vmcnt(8) lgkmcnt(1)
	v_mul_f64 v[135:136], v[2:3], v[121:122]
	v_mul_f64 v[121:122], v[4:5], v[121:122]
	scratch_load_b128 v[111:114], off, off offset:320
	v_add_f64 v[31:32], v[31:32], v[141:142]
	v_add_f64 v[131:132], v[131:132], v[137:138]
	s_waitcnt vmcnt(8) lgkmcnt(0)
	v_mul_f64 v[137:138], v[6:7], v[129:130]
	v_mul_f64 v[129:130], v[8:9], v[129:130]
	v_fma_f64 v[135:136], v[4:5], v[119:120], v[135:136]
	v_fma_f64 v[141:142], v[2:3], v[119:120], -v[121:122]
	scratch_load_b128 v[119:122], off, off offset:336
	ds_load_b128 v[2:5], v1 offset:624
	v_add_f64 v[31:32], v[31:32], v[139:140]
	v_add_f64 v[131:132], v[131:132], v[133:134]
	v_fma_f64 v[137:138], v[8:9], v[127:128], v[137:138]
	v_fma_f64 v[139:140], v[6:7], v[127:128], -v[129:130]
	ds_load_b128 v[6:9], v1 offset:640
	scratch_load_b128 v[127:130], off, off offset:352
	s_waitcnt vmcnt(9) lgkmcnt(1)
	v_mul_f64 v[133:134], v[2:3], v[117:118]
	v_mul_f64 v[117:118], v[4:5], v[117:118]
	v_add_f64 v[31:32], v[31:32], v[141:142]
	v_add_f64 v[131:132], v[131:132], v[135:136]
	s_waitcnt vmcnt(8) lgkmcnt(0)
	v_mul_f64 v[135:136], v[6:7], v[125:126]
	v_mul_f64 v[125:126], v[8:9], v[125:126]
	v_fma_f64 v[133:134], v[4:5], v[115:116], v[133:134]
	v_fma_f64 v[141:142], v[2:3], v[115:116], -v[117:118]
	scratch_load_b128 v[115:118], off, off offset:368
	ds_load_b128 v[2:5], v1 offset:656
	v_add_f64 v[31:32], v[31:32], v[139:140]
	v_add_f64 v[131:132], v[131:132], v[137:138]
	v_fma_f64 v[135:136], v[8:9], v[123:124], v[135:136]
	v_fma_f64 v[139:140], v[6:7], v[123:124], -v[125:126]
	ds_load_b128 v[6:9], v1 offset:672
	s_waitcnt vmcnt(8) lgkmcnt(1)
	v_mul_f64 v[137:138], v[2:3], v[12:13]
	v_mul_f64 v[12:13], v[4:5], v[12:13]
	scratch_load_b128 v[123:126], off, off offset:384
	v_add_f64 v[31:32], v[31:32], v[141:142]
	v_add_f64 v[131:132], v[131:132], v[133:134]
	s_waitcnt vmcnt(8) lgkmcnt(0)
	v_mul_f64 v[133:134], v[6:7], v[16:17]
	v_mul_f64 v[16:17], v[8:9], v[16:17]
	v_fma_f64 v[137:138], v[4:5], v[10:11], v[137:138]
	v_fma_f64 v[141:142], v[2:3], v[10:11], -v[12:13]
	scratch_load_b128 v[10:13], off, off offset:400
	ds_load_b128 v[2:5], v1 offset:688
	v_add_f64 v[31:32], v[31:32], v[139:140]
	v_add_f64 v[131:132], v[131:132], v[135:136]
	v_fma_f64 v[133:134], v[8:9], v[14:15], v[133:134]
	v_fma_f64 v[14:15], v[6:7], v[14:15], -v[16:17]
	ds_load_b128 v[6:9], v1 offset:704
	s_waitcnt vmcnt(8) lgkmcnt(1)
	v_mul_f64 v[135:136], v[2:3], v[20:21]
	v_mul_f64 v[20:21], v[4:5], v[20:21]
	v_add_f64 v[16:17], v[31:32], v[141:142]
	v_add_f64 v[31:32], v[131:132], v[137:138]
	s_waitcnt vmcnt(7) lgkmcnt(0)
	v_mul_f64 v[131:132], v[6:7], v[24:25]
	v_mul_f64 v[24:25], v[8:9], v[24:25]
	v_fma_f64 v[135:136], v[4:5], v[18:19], v[135:136]
	v_fma_f64 v[18:19], v[2:3], v[18:19], -v[20:21]
	ds_load_b128 v[2:5], v1 offset:720
	v_add_f64 v[14:15], v[16:17], v[14:15]
	v_add_f64 v[16:17], v[31:32], v[133:134]
	v_fma_f64 v[31:32], v[8:9], v[22:23], v[131:132]
	v_fma_f64 v[22:23], v[6:7], v[22:23], -v[24:25]
	ds_load_b128 v[6:9], v1 offset:736
	s_waitcnt vmcnt(5) lgkmcnt(0)
	v_mul_f64 v[131:132], v[6:7], v[113:114]
	v_mul_f64 v[113:114], v[8:9], v[113:114]
	v_add_f64 v[18:19], v[14:15], v[18:19]
	v_add_f64 v[24:25], v[16:17], v[135:136]
	scratch_load_b128 v[14:17], off, off offset:32
	v_mul_f64 v[20:21], v[2:3], v[29:30]
	v_mul_f64 v[29:30], v[4:5], v[29:30]
	v_add_f64 v[18:19], v[18:19], v[22:23]
	v_add_f64 v[22:23], v[24:25], v[31:32]
	v_fma_f64 v[31:32], v[8:9], v[111:112], v[131:132]
	v_fma_f64 v[20:21], v[4:5], v[27:28], v[20:21]
	v_fma_f64 v[27:28], v[2:3], v[27:28], -v[29:30]
	ds_load_b128 v[2:5], v1 offset:752
	v_fma_f64 v[111:112], v[6:7], v[111:112], -v[113:114]
	ds_load_b128 v[6:9], v1 offset:768
	s_waitcnt vmcnt(5) lgkmcnt(1)
	v_mul_f64 v[24:25], v[2:3], v[121:122]
	v_mul_f64 v[29:30], v[4:5], v[121:122]
	v_add_f64 v[20:21], v[22:23], v[20:21]
	v_add_f64 v[18:19], v[18:19], v[27:28]
	s_waitcnt vmcnt(4) lgkmcnt(0)
	v_mul_f64 v[22:23], v[6:7], v[129:130]
	v_mul_f64 v[27:28], v[8:9], v[129:130]
	v_fma_f64 v[24:25], v[4:5], v[119:120], v[24:25]
	v_fma_f64 v[29:30], v[2:3], v[119:120], -v[29:30]
	ds_load_b128 v[2:5], v1 offset:784
	v_add_f64 v[20:21], v[20:21], v[31:32]
	v_add_f64 v[18:19], v[18:19], v[111:112]
	v_fma_f64 v[22:23], v[8:9], v[127:128], v[22:23]
	v_fma_f64 v[27:28], v[6:7], v[127:128], -v[27:28]
	ds_load_b128 v[6:9], v1 offset:800
	s_waitcnt vmcnt(3) lgkmcnt(1)
	v_mul_f64 v[31:32], v[2:3], v[117:118]
	v_mul_f64 v[111:112], v[4:5], v[117:118]
	v_add_f64 v[20:21], v[20:21], v[24:25]
	v_add_f64 v[18:19], v[18:19], v[29:30]
	s_waitcnt vmcnt(2) lgkmcnt(0)
	v_mul_f64 v[24:25], v[6:7], v[125:126]
	v_mul_f64 v[29:30], v[8:9], v[125:126]
	v_fma_f64 v[31:32], v[4:5], v[115:116], v[31:32]
	v_fma_f64 v[111:112], v[2:3], v[115:116], -v[111:112]
	ds_load_b128 v[2:5], v1 offset:816
	v_add_f64 v[20:21], v[20:21], v[22:23]
	v_add_f64 v[18:19], v[18:19], v[27:28]
	s_waitcnt vmcnt(1) lgkmcnt(0)
	v_mul_f64 v[22:23], v[2:3], v[12:13]
	v_mul_f64 v[12:13], v[4:5], v[12:13]
	v_fma_f64 v[8:9], v[8:9], v[123:124], v[24:25]
	v_fma_f64 v[6:7], v[6:7], v[123:124], -v[29:30]
	v_add_f64 v[20:21], v[20:21], v[31:32]
	v_add_f64 v[18:19], v[18:19], v[111:112]
	v_fma_f64 v[4:5], v[4:5], v[10:11], v[22:23]
	v_fma_f64 v[2:3], v[2:3], v[10:11], -v[12:13]
	s_delay_alu instid0(VALU_DEP_4) | instskip(NEXT) | instid1(VALU_DEP_4)
	v_add_f64 v[8:9], v[20:21], v[8:9]
	v_add_f64 v[6:7], v[18:19], v[6:7]
	s_delay_alu instid0(VALU_DEP_2) | instskip(NEXT) | instid1(VALU_DEP_2)
	v_add_f64 v[4:5], v[8:9], v[4:5]
	v_add_f64 v[2:3], v[6:7], v[2:3]
	s_waitcnt vmcnt(0)
	s_delay_alu instid0(VALU_DEP_2) | instskip(NEXT) | instid1(VALU_DEP_2)
	v_add_f64 v[4:5], v[16:17], -v[4:5]
	v_add_f64 v[2:3], v[14:15], -v[2:3]
	scratch_store_b128 off, v[2:5], off offset:32
	v_cmpx_lt_u32_e32 1, v85
	s_cbranch_execz .LBB25_167
; %bb.166:
	scratch_load_b128 v[5:8], v90, off
	v_mov_b32_e32 v2, v1
	v_mov_b32_e32 v3, v1
	v_mov_b32_e32 v4, v1
	scratch_store_b128 off, v[1:4], off offset:16
	s_waitcnt vmcnt(0)
	ds_store_b128 v26, v[5:8]
.LBB25_167:
	s_or_b32 exec_lo, exec_lo, s2
	s_waitcnt lgkmcnt(0)
	s_waitcnt_vscnt null, 0x0
	s_barrier
	buffer_gl0_inv
	s_clause 0x7
	scratch_load_b128 v[2:5], off, off offset:32
	scratch_load_b128 v[6:9], off, off offset:48
	;; [unrolled: 1-line block ×8, first 2 shown]
	ds_load_b128 v[115:118], v1 offset:448
	ds_load_b128 v[123:126], v1 offset:464
	s_clause 0x1
	scratch_load_b128 v[119:122], off, off offset:160
	scratch_load_b128 v[127:130], off, off offset:176
	s_mov_b32 s2, exec_lo
	s_waitcnt vmcnt(9) lgkmcnt(1)
	v_mul_f64 v[31:32], v[117:118], v[4:5]
	v_mul_f64 v[4:5], v[115:116], v[4:5]
	s_waitcnt vmcnt(8) lgkmcnt(0)
	v_mul_f64 v[131:132], v[123:124], v[8:9]
	v_mul_f64 v[8:9], v[125:126], v[8:9]
	s_delay_alu instid0(VALU_DEP_4) | instskip(NEXT) | instid1(VALU_DEP_4)
	v_fma_f64 v[31:32], v[115:116], v[2:3], -v[31:32]
	v_fma_f64 v[133:134], v[117:118], v[2:3], v[4:5]
	ds_load_b128 v[2:5], v1 offset:480
	scratch_load_b128 v[115:118], off, off offset:192
	v_fma_f64 v[131:132], v[125:126], v[6:7], v[131:132]
	v_fma_f64 v[137:138], v[123:124], v[6:7], -v[8:9]
	scratch_load_b128 v[123:126], off, off offset:208
	ds_load_b128 v[6:9], v1 offset:496
	s_waitcnt vmcnt(9) lgkmcnt(1)
	v_mul_f64 v[135:136], v[2:3], v[12:13]
	v_mul_f64 v[12:13], v[4:5], v[12:13]
	s_waitcnt vmcnt(8) lgkmcnt(0)
	v_mul_f64 v[139:140], v[6:7], v[16:17]
	v_mul_f64 v[16:17], v[8:9], v[16:17]
	v_add_f64 v[31:32], v[31:32], 0
	v_add_f64 v[133:134], v[133:134], 0
	v_fma_f64 v[135:136], v[4:5], v[10:11], v[135:136]
	v_fma_f64 v[141:142], v[2:3], v[10:11], -v[12:13]
	ds_load_b128 v[2:5], v1 offset:512
	scratch_load_b128 v[10:13], off, off offset:224
	v_add_f64 v[31:32], v[31:32], v[137:138]
	v_add_f64 v[131:132], v[133:134], v[131:132]
	v_fma_f64 v[137:138], v[8:9], v[14:15], v[139:140]
	v_fma_f64 v[139:140], v[6:7], v[14:15], -v[16:17]
	scratch_load_b128 v[14:17], off, off offset:240
	ds_load_b128 v[6:9], v1 offset:528
	s_waitcnt vmcnt(9) lgkmcnt(1)
	v_mul_f64 v[133:134], v[2:3], v[20:21]
	v_mul_f64 v[20:21], v[4:5], v[20:21]
	v_add_f64 v[31:32], v[31:32], v[141:142]
	v_add_f64 v[131:132], v[131:132], v[135:136]
	s_waitcnt vmcnt(8) lgkmcnt(0)
	v_mul_f64 v[135:136], v[6:7], v[24:25]
	v_mul_f64 v[24:25], v[8:9], v[24:25]
	v_fma_f64 v[133:134], v[4:5], v[18:19], v[133:134]
	v_fma_f64 v[141:142], v[2:3], v[18:19], -v[20:21]
	ds_load_b128 v[2:5], v1 offset:544
	scratch_load_b128 v[18:21], off, off offset:256
	v_add_f64 v[31:32], v[31:32], v[139:140]
	v_add_f64 v[131:132], v[131:132], v[137:138]
	v_fma_f64 v[135:136], v[8:9], v[22:23], v[135:136]
	v_fma_f64 v[139:140], v[6:7], v[22:23], -v[24:25]
	scratch_load_b128 v[22:25], off, off offset:272
	ds_load_b128 v[6:9], v1 offset:560
	s_waitcnt vmcnt(9) lgkmcnt(1)
	v_mul_f64 v[137:138], v[2:3], v[29:30]
	v_mul_f64 v[29:30], v[4:5], v[29:30]
	v_add_f64 v[31:32], v[31:32], v[141:142]
	v_add_f64 v[131:132], v[131:132], v[133:134]
	s_waitcnt vmcnt(8) lgkmcnt(0)
	v_mul_f64 v[133:134], v[6:7], v[113:114]
	v_mul_f64 v[113:114], v[8:9], v[113:114]
	;; [unrolled: 18-line block ×3, first 2 shown]
	v_fma_f64 v[135:136], v[4:5], v[119:120], v[135:136]
	v_fma_f64 v[141:142], v[2:3], v[119:120], -v[121:122]
	ds_load_b128 v[2:5], v1 offset:608
	scratch_load_b128 v[119:122], off, off offset:320
	v_add_f64 v[31:32], v[31:32], v[139:140]
	v_add_f64 v[131:132], v[131:132], v[133:134]
	v_fma_f64 v[137:138], v[8:9], v[127:128], v[137:138]
	v_fma_f64 v[139:140], v[6:7], v[127:128], -v[129:130]
	ds_load_b128 v[6:9], v1 offset:624
	scratch_load_b128 v[127:130], off, off offset:336
	s_waitcnt vmcnt(9) lgkmcnt(1)
	v_mul_f64 v[133:134], v[2:3], v[117:118]
	v_mul_f64 v[117:118], v[4:5], v[117:118]
	v_add_f64 v[31:32], v[31:32], v[141:142]
	v_add_f64 v[131:132], v[131:132], v[135:136]
	s_waitcnt vmcnt(8) lgkmcnt(0)
	v_mul_f64 v[135:136], v[6:7], v[125:126]
	v_mul_f64 v[125:126], v[8:9], v[125:126]
	v_fma_f64 v[133:134], v[4:5], v[115:116], v[133:134]
	v_fma_f64 v[141:142], v[2:3], v[115:116], -v[117:118]
	scratch_load_b128 v[115:118], off, off offset:352
	ds_load_b128 v[2:5], v1 offset:640
	v_add_f64 v[31:32], v[31:32], v[139:140]
	v_add_f64 v[131:132], v[131:132], v[137:138]
	v_fma_f64 v[135:136], v[8:9], v[123:124], v[135:136]
	v_fma_f64 v[139:140], v[6:7], v[123:124], -v[125:126]
	ds_load_b128 v[6:9], v1 offset:656
	s_waitcnt vmcnt(8) lgkmcnt(1)
	v_mul_f64 v[137:138], v[2:3], v[12:13]
	v_mul_f64 v[12:13], v[4:5], v[12:13]
	scratch_load_b128 v[123:126], off, off offset:368
	v_add_f64 v[31:32], v[31:32], v[141:142]
	v_add_f64 v[131:132], v[131:132], v[133:134]
	s_waitcnt vmcnt(8) lgkmcnt(0)
	v_mul_f64 v[133:134], v[6:7], v[16:17]
	v_mul_f64 v[16:17], v[8:9], v[16:17]
	v_fma_f64 v[137:138], v[4:5], v[10:11], v[137:138]
	v_fma_f64 v[141:142], v[2:3], v[10:11], -v[12:13]
	scratch_load_b128 v[10:13], off, off offset:384
	ds_load_b128 v[2:5], v1 offset:672
	v_add_f64 v[31:32], v[31:32], v[139:140]
	v_add_f64 v[131:132], v[131:132], v[135:136]
	v_fma_f64 v[133:134], v[8:9], v[14:15], v[133:134]
	v_fma_f64 v[139:140], v[6:7], v[14:15], -v[16:17]
	ds_load_b128 v[6:9], v1 offset:688
	s_waitcnt vmcnt(8) lgkmcnt(1)
	v_mul_f64 v[135:136], v[2:3], v[20:21]
	v_mul_f64 v[20:21], v[4:5], v[20:21]
	scratch_load_b128 v[14:17], off, off offset:400
	v_add_f64 v[31:32], v[31:32], v[141:142]
	v_add_f64 v[131:132], v[131:132], v[137:138]
	s_waitcnt vmcnt(8) lgkmcnt(0)
	v_mul_f64 v[137:138], v[6:7], v[24:25]
	v_mul_f64 v[24:25], v[8:9], v[24:25]
	v_fma_f64 v[135:136], v[4:5], v[18:19], v[135:136]
	v_fma_f64 v[18:19], v[2:3], v[18:19], -v[20:21]
	ds_load_b128 v[2:5], v1 offset:704
	v_add_f64 v[20:21], v[31:32], v[139:140]
	v_add_f64 v[31:32], v[131:132], v[133:134]
	v_fma_f64 v[133:134], v[8:9], v[22:23], v[137:138]
	v_fma_f64 v[22:23], v[6:7], v[22:23], -v[24:25]
	ds_load_b128 v[6:9], v1 offset:720
	s_waitcnt vmcnt(7) lgkmcnt(1)
	v_mul_f64 v[131:132], v[2:3], v[29:30]
	v_mul_f64 v[29:30], v[4:5], v[29:30]
	s_waitcnt vmcnt(6) lgkmcnt(0)
	v_mul_f64 v[24:25], v[6:7], v[113:114]
	v_add_f64 v[18:19], v[20:21], v[18:19]
	v_add_f64 v[20:21], v[31:32], v[135:136]
	v_mul_f64 v[31:32], v[8:9], v[113:114]
	v_fma_f64 v[113:114], v[4:5], v[27:28], v[131:132]
	v_fma_f64 v[27:28], v[2:3], v[27:28], -v[29:30]
	ds_load_b128 v[2:5], v1 offset:736
	v_fma_f64 v[24:25], v[8:9], v[111:112], v[24:25]
	v_add_f64 v[22:23], v[18:19], v[22:23]
	v_add_f64 v[29:30], v[20:21], v[133:134]
	scratch_load_b128 v[18:21], off, off offset:16
	v_fma_f64 v[31:32], v[6:7], v[111:112], -v[31:32]
	ds_load_b128 v[6:9], v1 offset:752
	s_waitcnt vmcnt(6) lgkmcnt(1)
	v_mul_f64 v[131:132], v[2:3], v[121:122]
	v_mul_f64 v[121:122], v[4:5], v[121:122]
	s_waitcnt vmcnt(5) lgkmcnt(0)
	v_mul_f64 v[111:112], v[8:9], v[129:130]
	v_add_f64 v[22:23], v[22:23], v[27:28]
	v_add_f64 v[27:28], v[29:30], v[113:114]
	v_mul_f64 v[29:30], v[6:7], v[129:130]
	v_fma_f64 v[113:114], v[4:5], v[119:120], v[131:132]
	v_fma_f64 v[119:120], v[2:3], v[119:120], -v[121:122]
	ds_load_b128 v[2:5], v1 offset:768
	v_fma_f64 v[111:112], v[6:7], v[127:128], -v[111:112]
	v_add_f64 v[22:23], v[22:23], v[31:32]
	v_add_f64 v[24:25], v[27:28], v[24:25]
	v_fma_f64 v[29:30], v[8:9], v[127:128], v[29:30]
	ds_load_b128 v[6:9], v1 offset:784
	s_waitcnt vmcnt(4) lgkmcnt(1)
	v_mul_f64 v[27:28], v[2:3], v[117:118]
	v_mul_f64 v[31:32], v[4:5], v[117:118]
	s_waitcnt vmcnt(3) lgkmcnt(0)
	v_mul_f64 v[117:118], v[8:9], v[125:126]
	v_add_f64 v[22:23], v[22:23], v[119:120]
	v_add_f64 v[24:25], v[24:25], v[113:114]
	v_mul_f64 v[113:114], v[6:7], v[125:126]
	v_fma_f64 v[27:28], v[4:5], v[115:116], v[27:28]
	v_fma_f64 v[31:32], v[2:3], v[115:116], -v[31:32]
	ds_load_b128 v[2:5], v1 offset:800
	v_add_f64 v[22:23], v[22:23], v[111:112]
	v_add_f64 v[24:25], v[24:25], v[29:30]
	v_fma_f64 v[111:112], v[8:9], v[123:124], v[113:114]
	v_fma_f64 v[113:114], v[6:7], v[123:124], -v[117:118]
	ds_load_b128 v[6:9], v1 offset:816
	s_waitcnt vmcnt(2) lgkmcnt(1)
	v_mul_f64 v[29:30], v[2:3], v[12:13]
	v_mul_f64 v[12:13], v[4:5], v[12:13]
	v_add_f64 v[22:23], v[22:23], v[31:32]
	v_add_f64 v[24:25], v[24:25], v[27:28]
	s_waitcnt vmcnt(1) lgkmcnt(0)
	v_mul_f64 v[27:28], v[6:7], v[16:17]
	v_mul_f64 v[16:17], v[8:9], v[16:17]
	v_fma_f64 v[4:5], v[4:5], v[10:11], v[29:30]
	v_fma_f64 v[1:2], v[2:3], v[10:11], -v[12:13]
	v_add_f64 v[10:11], v[22:23], v[113:114]
	v_add_f64 v[12:13], v[24:25], v[111:112]
	v_fma_f64 v[8:9], v[8:9], v[14:15], v[27:28]
	v_fma_f64 v[6:7], v[6:7], v[14:15], -v[16:17]
	s_delay_alu instid0(VALU_DEP_4) | instskip(NEXT) | instid1(VALU_DEP_4)
	v_add_f64 v[1:2], v[10:11], v[1:2]
	v_add_f64 v[3:4], v[12:13], v[4:5]
	s_delay_alu instid0(VALU_DEP_2) | instskip(NEXT) | instid1(VALU_DEP_2)
	v_add_f64 v[1:2], v[1:2], v[6:7]
	v_add_f64 v[3:4], v[3:4], v[8:9]
	s_waitcnt vmcnt(0)
	s_delay_alu instid0(VALU_DEP_2) | instskip(NEXT) | instid1(VALU_DEP_2)
	v_add_f64 v[1:2], v[18:19], -v[1:2]
	v_add_f64 v[3:4], v[20:21], -v[3:4]
	scratch_store_b128 off, v[1:4], off offset:16
	v_cmpx_ne_u32_e32 0, v85
	s_cbranch_execz .LBB25_169
; %bb.168:
	scratch_load_b128 v[1:4], off, off
	v_mov_b32_e32 v5, 0
	s_delay_alu instid0(VALU_DEP_1)
	v_mov_b32_e32 v6, v5
	v_mov_b32_e32 v7, v5
	;; [unrolled: 1-line block ×3, first 2 shown]
	scratch_store_b128 off, v[5:8], off
	s_waitcnt vmcnt(0)
	ds_store_b128 v26, v[1:4]
.LBB25_169:
	s_or_b32 exec_lo, exec_lo, s2
	s_waitcnt lgkmcnt(0)
	s_waitcnt_vscnt null, 0x0
	s_barrier
	buffer_gl0_inv
	s_clause 0x7
	scratch_load_b128 v[1:4], off, off offset:16
	scratch_load_b128 v[5:8], off, off offset:32
	;; [unrolled: 1-line block ×8, first 2 shown]
	v_mov_b32_e32 v111, 0
	s_clause 0x1
	scratch_load_b128 v[116:119], off, off offset:144
	scratch_load_b128 v[124:127], off, off offset:160
	s_and_b32 vcc_lo, exec_lo, s20
	ds_load_b128 v[112:115], v111 offset:432
	ds_load_b128 v[120:123], v111 offset:448
	s_waitcnt vmcnt(9) lgkmcnt(1)
	v_mul_f64 v[128:129], v[114:115], v[3:4]
	v_mul_f64 v[3:4], v[112:113], v[3:4]
	s_waitcnt vmcnt(8) lgkmcnt(0)
	v_mul_f64 v[130:131], v[120:121], v[7:8]
	v_mul_f64 v[7:8], v[122:123], v[7:8]
	s_delay_alu instid0(VALU_DEP_4) | instskip(NEXT) | instid1(VALU_DEP_4)
	v_fma_f64 v[128:129], v[112:113], v[1:2], -v[128:129]
	v_fma_f64 v[132:133], v[114:115], v[1:2], v[3:4]
	ds_load_b128 v[1:4], v111 offset:464
	scratch_load_b128 v[112:115], off, off offset:176
	v_fma_f64 v[130:131], v[122:123], v[5:6], v[130:131]
	v_fma_f64 v[136:137], v[120:121], v[5:6], -v[7:8]
	scratch_load_b128 v[120:123], off, off offset:192
	ds_load_b128 v[5:8], v111 offset:480
	s_waitcnt vmcnt(9) lgkmcnt(1)
	v_mul_f64 v[134:135], v[1:2], v[11:12]
	v_mul_f64 v[11:12], v[3:4], v[11:12]
	s_waitcnt vmcnt(8) lgkmcnt(0)
	v_mul_f64 v[138:139], v[5:6], v[15:16]
	v_mul_f64 v[15:16], v[7:8], v[15:16]
	v_add_f64 v[128:129], v[128:129], 0
	v_add_f64 v[132:133], v[132:133], 0
	v_fma_f64 v[134:135], v[3:4], v[9:10], v[134:135]
	v_fma_f64 v[140:141], v[1:2], v[9:10], -v[11:12]
	ds_load_b128 v[1:4], v111 offset:496
	scratch_load_b128 v[9:12], off, off offset:208
	v_add_f64 v[128:129], v[128:129], v[136:137]
	v_add_f64 v[130:131], v[132:133], v[130:131]
	v_fma_f64 v[136:137], v[7:8], v[13:14], v[138:139]
	v_fma_f64 v[138:139], v[5:6], v[13:14], -v[15:16]
	scratch_load_b128 v[13:16], off, off offset:224
	ds_load_b128 v[5:8], v111 offset:512
	s_waitcnt vmcnt(9) lgkmcnt(1)
	v_mul_f64 v[132:133], v[1:2], v[19:20]
	v_mul_f64 v[19:20], v[3:4], v[19:20]
	v_add_f64 v[128:129], v[128:129], v[140:141]
	v_add_f64 v[130:131], v[130:131], v[134:135]
	s_waitcnt vmcnt(8) lgkmcnt(0)
	v_mul_f64 v[134:135], v[5:6], v[23:24]
	v_mul_f64 v[23:24], v[7:8], v[23:24]
	v_fma_f64 v[132:133], v[3:4], v[17:18], v[132:133]
	v_fma_f64 v[140:141], v[1:2], v[17:18], -v[19:20]
	ds_load_b128 v[1:4], v111 offset:528
	scratch_load_b128 v[17:20], off, off offset:240
	v_add_f64 v[128:129], v[128:129], v[138:139]
	v_add_f64 v[130:131], v[130:131], v[136:137]
	v_fma_f64 v[134:135], v[7:8], v[21:22], v[134:135]
	v_fma_f64 v[138:139], v[5:6], v[21:22], -v[23:24]
	scratch_load_b128 v[21:24], off, off offset:256
	ds_load_b128 v[5:8], v111 offset:544
	s_waitcnt vmcnt(9) lgkmcnt(1)
	v_mul_f64 v[136:137], v[1:2], v[27:28]
	v_mul_f64 v[27:28], v[3:4], v[27:28]
	v_add_f64 v[128:129], v[128:129], v[140:141]
	v_add_f64 v[130:131], v[130:131], v[132:133]
	s_waitcnt vmcnt(8) lgkmcnt(0)
	v_mul_f64 v[132:133], v[5:6], v[31:32]
	v_mul_f64 v[31:32], v[7:8], v[31:32]
	;; [unrolled: 18-line block ×3, first 2 shown]
	v_fma_f64 v[134:135], v[3:4], v[116:117], v[134:135]
	v_fma_f64 v[140:141], v[1:2], v[116:117], -v[118:119]
	ds_load_b128 v[1:4], v111 offset:592
	scratch_load_b128 v[116:119], off, off offset:304
	v_add_f64 v[128:129], v[128:129], v[138:139]
	v_add_f64 v[130:131], v[130:131], v[132:133]
	v_fma_f64 v[136:137], v[7:8], v[124:125], v[136:137]
	v_fma_f64 v[138:139], v[5:6], v[124:125], -v[126:127]
	ds_load_b128 v[5:8], v111 offset:608
	scratch_load_b128 v[124:127], off, off offset:320
	s_waitcnt vmcnt(9) lgkmcnt(1)
	v_mul_f64 v[132:133], v[1:2], v[114:115]
	v_mul_f64 v[114:115], v[3:4], v[114:115]
	v_add_f64 v[128:129], v[128:129], v[140:141]
	v_add_f64 v[130:131], v[130:131], v[134:135]
	s_waitcnt vmcnt(8) lgkmcnt(0)
	v_mul_f64 v[134:135], v[5:6], v[122:123]
	v_mul_f64 v[122:123], v[7:8], v[122:123]
	v_fma_f64 v[132:133], v[3:4], v[112:113], v[132:133]
	v_fma_f64 v[140:141], v[1:2], v[112:113], -v[114:115]
	scratch_load_b128 v[112:115], off, off offset:336
	ds_load_b128 v[1:4], v111 offset:624
	v_add_f64 v[128:129], v[128:129], v[138:139]
	v_add_f64 v[130:131], v[130:131], v[136:137]
	v_fma_f64 v[134:135], v[7:8], v[120:121], v[134:135]
	v_fma_f64 v[138:139], v[5:6], v[120:121], -v[122:123]
	ds_load_b128 v[5:8], v111 offset:640
	s_waitcnt vmcnt(8) lgkmcnt(1)
	v_mul_f64 v[136:137], v[1:2], v[11:12]
	v_mul_f64 v[11:12], v[3:4], v[11:12]
	scratch_load_b128 v[120:123], off, off offset:352
	v_add_f64 v[128:129], v[128:129], v[140:141]
	v_add_f64 v[130:131], v[130:131], v[132:133]
	s_waitcnt vmcnt(8) lgkmcnt(0)
	v_mul_f64 v[132:133], v[5:6], v[15:16]
	v_mul_f64 v[15:16], v[7:8], v[15:16]
	v_fma_f64 v[136:137], v[3:4], v[9:10], v[136:137]
	v_fma_f64 v[140:141], v[1:2], v[9:10], -v[11:12]
	scratch_load_b128 v[9:12], off, off offset:368
	ds_load_b128 v[1:4], v111 offset:656
	v_add_f64 v[128:129], v[128:129], v[138:139]
	v_add_f64 v[130:131], v[130:131], v[134:135]
	v_fma_f64 v[132:133], v[7:8], v[13:14], v[132:133]
	v_fma_f64 v[138:139], v[5:6], v[13:14], -v[15:16]
	ds_load_b128 v[5:8], v111 offset:672
	s_waitcnt vmcnt(8) lgkmcnt(1)
	v_mul_f64 v[134:135], v[1:2], v[19:20]
	v_mul_f64 v[19:20], v[3:4], v[19:20]
	scratch_load_b128 v[13:16], off, off offset:384
	v_add_f64 v[128:129], v[128:129], v[140:141]
	v_add_f64 v[130:131], v[130:131], v[136:137]
	s_waitcnt vmcnt(8) lgkmcnt(0)
	v_mul_f64 v[136:137], v[5:6], v[23:24]
	v_mul_f64 v[23:24], v[7:8], v[23:24]
	v_fma_f64 v[134:135], v[3:4], v[17:18], v[134:135]
	v_fma_f64 v[140:141], v[1:2], v[17:18], -v[19:20]
	scratch_load_b128 v[17:20], off, off offset:400
	ds_load_b128 v[1:4], v111 offset:688
	v_add_f64 v[128:129], v[128:129], v[138:139]
	v_add_f64 v[130:131], v[130:131], v[132:133]
	v_fma_f64 v[136:137], v[7:8], v[21:22], v[136:137]
	v_fma_f64 v[21:22], v[5:6], v[21:22], -v[23:24]
	ds_load_b128 v[5:8], v111 offset:704
	s_waitcnt vmcnt(8) lgkmcnt(1)
	v_mul_f64 v[132:133], v[1:2], v[27:28]
	v_mul_f64 v[27:28], v[3:4], v[27:28]
	v_add_f64 v[23:24], v[128:129], v[140:141]
	v_add_f64 v[128:129], v[130:131], v[134:135]
	s_waitcnt vmcnt(7) lgkmcnt(0)
	v_mul_f64 v[130:131], v[5:6], v[31:32]
	v_mul_f64 v[31:32], v[7:8], v[31:32]
	v_fma_f64 v[132:133], v[3:4], v[25:26], v[132:133]
	v_fma_f64 v[25:26], v[1:2], v[25:26], -v[27:28]
	ds_load_b128 v[1:4], v111 offset:720
	v_add_f64 v[21:22], v[23:24], v[21:22]
	v_add_f64 v[23:24], v[128:129], v[136:137]
	v_fma_f64 v[128:129], v[7:8], v[29:30], v[130:131]
	v_fma_f64 v[29:30], v[5:6], v[29:30], -v[31:32]
	ds_load_b128 v[5:8], v111 offset:736
	s_waitcnt vmcnt(5) lgkmcnt(0)
	v_mul_f64 v[130:131], v[5:6], v[126:127]
	v_mul_f64 v[126:127], v[7:8], v[126:127]
	v_add_f64 v[25:26], v[21:22], v[25:26]
	v_add_f64 v[31:32], v[23:24], v[132:133]
	scratch_load_b128 v[21:24], off, off
	v_mul_f64 v[27:28], v[1:2], v[118:119]
	v_mul_f64 v[118:119], v[3:4], v[118:119]
	v_add_f64 v[25:26], v[25:26], v[29:30]
	v_add_f64 v[29:30], v[31:32], v[128:129]
	s_delay_alu instid0(VALU_DEP_4) | instskip(NEXT) | instid1(VALU_DEP_4)
	v_fma_f64 v[27:28], v[3:4], v[116:117], v[27:28]
	v_fma_f64 v[116:117], v[1:2], v[116:117], -v[118:119]
	ds_load_b128 v[1:4], v111 offset:752
	v_fma_f64 v[118:119], v[7:8], v[124:125], v[130:131]
	v_fma_f64 v[124:125], v[5:6], v[124:125], -v[126:127]
	ds_load_b128 v[5:8], v111 offset:768
	s_waitcnt vmcnt(5) lgkmcnt(1)
	v_mul_f64 v[31:32], v[1:2], v[114:115]
	v_mul_f64 v[114:115], v[3:4], v[114:115]
	v_add_f64 v[27:28], v[29:30], v[27:28]
	v_add_f64 v[25:26], v[25:26], v[116:117]
	s_waitcnt vmcnt(4) lgkmcnt(0)
	v_mul_f64 v[29:30], v[5:6], v[122:123]
	v_mul_f64 v[116:117], v[7:8], v[122:123]
	v_fma_f64 v[31:32], v[3:4], v[112:113], v[31:32]
	v_fma_f64 v[112:113], v[1:2], v[112:113], -v[114:115]
	ds_load_b128 v[1:4], v111 offset:784
	v_add_f64 v[27:28], v[27:28], v[118:119]
	v_add_f64 v[25:26], v[25:26], v[124:125]
	v_fma_f64 v[29:30], v[7:8], v[120:121], v[29:30]
	v_fma_f64 v[116:117], v[5:6], v[120:121], -v[116:117]
	ds_load_b128 v[5:8], v111 offset:800
	s_waitcnt vmcnt(3) lgkmcnt(1)
	v_mul_f64 v[114:115], v[1:2], v[11:12]
	v_mul_f64 v[11:12], v[3:4], v[11:12]
	v_add_f64 v[27:28], v[27:28], v[31:32]
	v_add_f64 v[25:26], v[25:26], v[112:113]
	s_waitcnt vmcnt(2) lgkmcnt(0)
	v_mul_f64 v[31:32], v[5:6], v[15:16]
	v_mul_f64 v[15:16], v[7:8], v[15:16]
	v_fma_f64 v[112:113], v[3:4], v[9:10], v[114:115]
	v_fma_f64 v[9:10], v[1:2], v[9:10], -v[11:12]
	ds_load_b128 v[1:4], v111 offset:816
	v_add_f64 v[11:12], v[25:26], v[116:117]
	v_add_f64 v[25:26], v[27:28], v[29:30]
	s_waitcnt vmcnt(1) lgkmcnt(0)
	v_mul_f64 v[27:28], v[1:2], v[19:20]
	v_mul_f64 v[19:20], v[3:4], v[19:20]
	v_fma_f64 v[7:8], v[7:8], v[13:14], v[31:32]
	v_fma_f64 v[5:6], v[5:6], v[13:14], -v[15:16]
	v_add_f64 v[9:10], v[11:12], v[9:10]
	v_add_f64 v[11:12], v[25:26], v[112:113]
	v_fma_f64 v[3:4], v[3:4], v[17:18], v[27:28]
	v_fma_f64 v[1:2], v[1:2], v[17:18], -v[19:20]
	s_delay_alu instid0(VALU_DEP_4) | instskip(NEXT) | instid1(VALU_DEP_4)
	v_add_f64 v[5:6], v[9:10], v[5:6]
	v_add_f64 v[7:8], v[11:12], v[7:8]
	s_delay_alu instid0(VALU_DEP_2) | instskip(NEXT) | instid1(VALU_DEP_2)
	v_add_f64 v[1:2], v[5:6], v[1:2]
	v_add_f64 v[3:4], v[7:8], v[3:4]
	s_waitcnt vmcnt(0)
	s_delay_alu instid0(VALU_DEP_2) | instskip(NEXT) | instid1(VALU_DEP_2)
	v_add_f64 v[1:2], v[21:22], -v[1:2]
	v_add_f64 v[3:4], v[23:24], -v[3:4]
	scratch_store_b128 off, v[1:4], off
	s_cbranch_vccz .LBB25_221
; %bb.170:
	v_dual_mov_b32 v1, s16 :: v_dual_mov_b32 v2, s17
	s_load_b64 s[0:1], s[0:1], 0x4
	flat_load_b32 v1, v[1:2] offset:96
	v_bfe_u32 v2, v0, 10, 10
	v_bfe_u32 v0, v0, 20, 10
	s_waitcnt lgkmcnt(0)
	s_lshr_b32 s0, s0, 16
	s_delay_alu instid0(VALU_DEP_2) | instskip(SKIP_1) | instid1(SALU_CYCLE_1)
	v_mul_u32_u24_e32 v2, s1, v2
	s_mul_i32 s0, s0, s1
	v_mul_u32_u24_e32 v3, s0, v85
	s_mov_b32 s0, exec_lo
	s_delay_alu instid0(VALU_DEP_1) | instskip(NEXT) | instid1(VALU_DEP_1)
	v_add3_u32 v0, v3, v2, v0
	v_lshl_add_u32 v0, v0, 4, 0x348
	s_waitcnt vmcnt(0)
	v_cmpx_ne_u32_e32 25, v1
	s_cbranch_execz .LBB25_172
; %bb.171:
	v_lshl_add_u32 v9, v1, 4, 0
	s_clause 0x1
	scratch_load_b128 v[1:4], v97, off
	scratch_load_b128 v[5:8], v9, off offset:-16
	s_waitcnt vmcnt(1)
	ds_store_2addr_b64 v0, v[1:2], v[3:4] offset1:1
	s_waitcnt vmcnt(0)
	s_clause 0x1
	scratch_store_b128 v97, v[5:8], off
	scratch_store_b128 v9, v[1:4], off offset:-16
.LBB25_172:
	s_or_b32 exec_lo, exec_lo, s0
	v_dual_mov_b32 v1, s16 :: v_dual_mov_b32 v2, s17
	s_mov_b32 s0, exec_lo
	flat_load_b32 v1, v[1:2] offset:92
	s_waitcnt vmcnt(0) lgkmcnt(0)
	v_cmpx_ne_u32_e32 24, v1
	s_cbranch_execz .LBB25_174
; %bb.173:
	v_lshl_add_u32 v9, v1, 4, 0
	s_clause 0x1
	scratch_load_b128 v[1:4], v95, off
	scratch_load_b128 v[5:8], v9, off offset:-16
	s_waitcnt vmcnt(1)
	ds_store_2addr_b64 v0, v[1:2], v[3:4] offset1:1
	s_waitcnt vmcnt(0)
	s_clause 0x1
	scratch_store_b128 v95, v[5:8], off
	scratch_store_b128 v9, v[1:4], off offset:-16
.LBB25_174:
	s_or_b32 exec_lo, exec_lo, s0
	v_dual_mov_b32 v1, s16 :: v_dual_mov_b32 v2, s17
	s_mov_b32 s0, exec_lo
	flat_load_b32 v1, v[1:2] offset:88
	s_waitcnt vmcnt(0) lgkmcnt(0)
	;; [unrolled: 19-line block ×23, first 2 shown]
	v_cmpx_ne_u32_e32 2, v1
	s_cbranch_execz .LBB25_218
; %bb.217:
	v_lshl_add_u32 v9, v1, 4, 0
	s_clause 0x1
	scratch_load_b128 v[1:4], v90, off
	scratch_load_b128 v[5:8], v9, off offset:-16
	s_waitcnt vmcnt(1)
	ds_store_2addr_b64 v0, v[1:2], v[3:4] offset1:1
	s_waitcnt vmcnt(0)
	s_clause 0x1
	scratch_store_b128 v90, v[5:8], off
	scratch_store_b128 v9, v[1:4], off offset:-16
.LBB25_218:
	s_or_b32 exec_lo, exec_lo, s0
	v_dual_mov_b32 v1, s16 :: v_dual_mov_b32 v2, s17
	s_mov_b32 s0, exec_lo
	flat_load_b32 v1, v[1:2]
	s_waitcnt vmcnt(0) lgkmcnt(0)
	v_cmpx_ne_u32_e32 1, v1
	s_cbranch_execz .LBB25_220
; %bb.219:
	v_lshl_add_u32 v9, v1, 4, 0
	scratch_load_b128 v[1:4], off, off
	scratch_load_b128 v[5:8], v9, off offset:-16
	s_waitcnt vmcnt(1)
	ds_store_2addr_b64 v0, v[1:2], v[3:4] offset1:1
	s_waitcnt vmcnt(0)
	scratch_store_b128 off, v[5:8], off
	scratch_store_b128 v9, v[1:4], off offset:-16
.LBB25_220:
	s_or_b32 exec_lo, exec_lo, s0
.LBB25_221:
	scratch_load_b128 v[0:3], off, off
	s_clause 0x12
	scratch_load_b128 v[4:7], v90, off
	scratch_load_b128 v[8:11], v87, off
	;; [unrolled: 1-line block ×19, first 2 shown]
	s_waitcnt vmcnt(19)
	global_store_b128 v[33:34], v[0:3], off
	s_clause 0x1
	scratch_load_b128 v[0:3], v91, off
	scratch_load_b128 v[147:150], v93, off
	s_waitcnt vmcnt(20)
	global_store_b128 v[35:36], v[4:7], off
	s_clause 0x1
	scratch_load_b128 v[4:7], v92, off
	scratch_load_b128 v[32:35], v95, off
	;; [unrolled: 5-line block ×3, first 2 shown]
	s_waitcnt vmcnt(22)
	global_store_b128 v[39:40], v[12:15], off
	s_waitcnt vmcnt(21)
	global_store_b128 v[41:42], v[16:19], off
	;; [unrolled: 2-line block ×23, first 2 shown]
	s_endpgm
	.section	.rodata,"a",@progbits
	.p2align	6, 0x0
	.amdhsa_kernel _ZN9rocsolver6v33100L18getri_kernel_smallILi26E19rocblas_complex_numIdEPS3_EEvT1_iilPiilS6_bb
		.amdhsa_group_segment_fixed_size 1864
		.amdhsa_private_segment_fixed_size 432
		.amdhsa_kernarg_size 60
		.amdhsa_user_sgpr_count 15
		.amdhsa_user_sgpr_dispatch_ptr 1
		.amdhsa_user_sgpr_queue_ptr 0
		.amdhsa_user_sgpr_kernarg_segment_ptr 1
		.amdhsa_user_sgpr_dispatch_id 0
		.amdhsa_user_sgpr_private_segment_size 0
		.amdhsa_wavefront_size32 1
		.amdhsa_uses_dynamic_stack 0
		.amdhsa_enable_private_segment 1
		.amdhsa_system_sgpr_workgroup_id_x 1
		.amdhsa_system_sgpr_workgroup_id_y 0
		.amdhsa_system_sgpr_workgroup_id_z 0
		.amdhsa_system_sgpr_workgroup_info 0
		.amdhsa_system_vgpr_workitem_id 2
		.amdhsa_next_free_vgpr 157
		.amdhsa_next_free_sgpr 22
		.amdhsa_reserve_vcc 1
		.amdhsa_float_round_mode_32 0
		.amdhsa_float_round_mode_16_64 0
		.amdhsa_float_denorm_mode_32 3
		.amdhsa_float_denorm_mode_16_64 3
		.amdhsa_dx10_clamp 1
		.amdhsa_ieee_mode 1
		.amdhsa_fp16_overflow 0
		.amdhsa_workgroup_processor_mode 1
		.amdhsa_memory_ordered 1
		.amdhsa_forward_progress 0
		.amdhsa_shared_vgpr_count 0
		.amdhsa_exception_fp_ieee_invalid_op 0
		.amdhsa_exception_fp_denorm_src 0
		.amdhsa_exception_fp_ieee_div_zero 0
		.amdhsa_exception_fp_ieee_overflow 0
		.amdhsa_exception_fp_ieee_underflow 0
		.amdhsa_exception_fp_ieee_inexact 0
		.amdhsa_exception_int_div_zero 0
	.end_amdhsa_kernel
	.section	.text._ZN9rocsolver6v33100L18getri_kernel_smallILi26E19rocblas_complex_numIdEPS3_EEvT1_iilPiilS6_bb,"axG",@progbits,_ZN9rocsolver6v33100L18getri_kernel_smallILi26E19rocblas_complex_numIdEPS3_EEvT1_iilPiilS6_bb,comdat
.Lfunc_end25:
	.size	_ZN9rocsolver6v33100L18getri_kernel_smallILi26E19rocblas_complex_numIdEPS3_EEvT1_iilPiilS6_bb, .Lfunc_end25-_ZN9rocsolver6v33100L18getri_kernel_smallILi26E19rocblas_complex_numIdEPS3_EEvT1_iilPiilS6_bb
                                        ; -- End function
	.section	.AMDGPU.csdata,"",@progbits
; Kernel info:
; codeLenInByte = 38552
; NumSgprs: 24
; NumVgprs: 157
; ScratchSize: 432
; MemoryBound: 0
; FloatMode: 240
; IeeeMode: 1
; LDSByteSize: 1864 bytes/workgroup (compile time only)
; SGPRBlocks: 2
; VGPRBlocks: 19
; NumSGPRsForWavesPerEU: 24
; NumVGPRsForWavesPerEU: 157
; Occupancy: 9
; WaveLimiterHint : 1
; COMPUTE_PGM_RSRC2:SCRATCH_EN: 1
; COMPUTE_PGM_RSRC2:USER_SGPR: 15
; COMPUTE_PGM_RSRC2:TRAP_HANDLER: 0
; COMPUTE_PGM_RSRC2:TGID_X_EN: 1
; COMPUTE_PGM_RSRC2:TGID_Y_EN: 0
; COMPUTE_PGM_RSRC2:TGID_Z_EN: 0
; COMPUTE_PGM_RSRC2:TIDIG_COMP_CNT: 2
	.section	.text._ZN9rocsolver6v33100L18getri_kernel_smallILi27E19rocblas_complex_numIdEPS3_EEvT1_iilPiilS6_bb,"axG",@progbits,_ZN9rocsolver6v33100L18getri_kernel_smallILi27E19rocblas_complex_numIdEPS3_EEvT1_iilPiilS6_bb,comdat
	.globl	_ZN9rocsolver6v33100L18getri_kernel_smallILi27E19rocblas_complex_numIdEPS3_EEvT1_iilPiilS6_bb ; -- Begin function _ZN9rocsolver6v33100L18getri_kernel_smallILi27E19rocblas_complex_numIdEPS3_EEvT1_iilPiilS6_bb
	.p2align	8
	.type	_ZN9rocsolver6v33100L18getri_kernel_smallILi27E19rocblas_complex_numIdEPS3_EEvT1_iilPiilS6_bb,@function
_ZN9rocsolver6v33100L18getri_kernel_smallILi27E19rocblas_complex_numIdEPS3_EEvT1_iilPiilS6_bb: ; @_ZN9rocsolver6v33100L18getri_kernel_smallILi27E19rocblas_complex_numIdEPS3_EEvT1_iilPiilS6_bb
; %bb.0:
	v_and_b32_e32 v92, 0x3ff, v0
	s_mov_b32 s4, exec_lo
	s_delay_alu instid0(VALU_DEP_1)
	v_cmpx_gt_u32_e32 27, v92
	s_cbranch_execz .LBB26_122
; %bb.1:
	s_mov_b32 s18, s15
	s_clause 0x2
	s_load_b32 s21, s[2:3], 0x38
	s_load_b128 s[12:15], s[2:3], 0x10
	s_load_b128 s[4:7], s[2:3], 0x28
                                        ; implicit-def: $sgpr16_sgpr17
	s_waitcnt lgkmcnt(0)
	s_bitcmp1_b32 s21, 8
	s_cselect_b32 s20, -1, 0
	s_bfe_u32 s8, s21, 0x10008
	s_ashr_i32 s19, s18, 31
	s_cmp_eq_u32 s8, 0
	s_cbranch_scc1 .LBB26_3
; %bb.2:
	s_load_b32 s8, s[2:3], 0x20
	s_mul_i32 s5, s18, s5
	s_mul_hi_u32 s9, s18, s4
	s_mul_i32 s10, s19, s4
	s_add_i32 s5, s9, s5
	s_mul_i32 s4, s18, s4
	s_add_i32 s5, s5, s10
	s_delay_alu instid0(SALU_CYCLE_1)
	s_lshl_b64 s[4:5], s[4:5], 2
	s_waitcnt lgkmcnt(0)
	s_ashr_i32 s9, s8, 31
	s_add_u32 s10, s14, s4
	s_addc_u32 s11, s15, s5
	s_lshl_b64 s[4:5], s[8:9], 2
	s_delay_alu instid0(SALU_CYCLE_1)
	s_add_u32 s16, s10, s4
	s_addc_u32 s17, s11, s5
.LBB26_3:
	s_load_b128 s[8:11], s[2:3], 0x0
	s_mul_i32 s2, s18, s13
	s_mul_hi_u32 s3, s18, s12
	s_mul_i32 s4, s19, s12
	s_add_i32 s3, s3, s2
	s_mul_i32 s2, s18, s12
	s_add_i32 s3, s3, s4
	v_lshlrev_b32_e32 v13, 4, v92
	s_lshl_b64 s[2:3], s[2:3], 4
	s_movk_i32 s12, 0xd0
	s_movk_i32 s13, 0xe0
	;; [unrolled: 1-line block ×7, first 2 shown]
	v_add_nc_u32_e64 v96, 0, 16
	v_add_nc_u32_e64 v95, 0, 32
	;; [unrolled: 1-line block ×4, first 2 shown]
	s_waitcnt lgkmcnt(0)
	v_add3_u32 v1, s11, s11, v92
	s_ashr_i32 s5, s10, 31
	s_mov_b32 s4, s10
	s_add_u32 s8, s8, s2
	s_addc_u32 s9, s9, s3
	v_add_nc_u32_e32 v5, s11, v1
	s_lshl_b64 s[2:3], s[4:5], 4
	v_ashrrev_i32_e32 v2, 31, v1
	s_add_u32 s2, s8, s2
	s_addc_u32 s3, s9, s3
	v_add_nc_u32_e32 v14, s11, v5
	v_add_co_u32 v38, s8, s2, v13
	v_ashrrev_i32_e32 v6, 31, v5
	s_mov_b32 s4, s11
	s_delay_alu instid0(VALU_DEP_3) | instskip(SKIP_3) | instid1(VALU_DEP_3)
	v_ashrrev_i32_e32 v15, 31, v14
	s_ashr_i32 s5, s11, 31
	v_add_co_ci_u32_e64 v39, null, s3, 0, s8
	v_lshlrev_b64 v[1:2], 4, v[1:2]
	v_lshlrev_b64 v[18:19], 4, v[14:15]
	v_add_nc_u32_e32 v14, s11, v14
	s_lshl_b64 s[4:5], s[4:5], 4
	v_lshlrev_b64 v[16:17], 4, v[5:6]
	v_add_co_u32 v40, vcc_lo, v38, s4
	s_delay_alu instid0(VALU_DEP_3)
	v_ashrrev_i32_e32 v15, 31, v14
	v_add_co_ci_u32_e32 v41, vcc_lo, s5, v39, vcc_lo
	v_add_co_u32 v42, vcc_lo, s2, v1
	v_add_nc_u32_e32 v22, s11, v14
	v_add_co_ci_u32_e32 v43, vcc_lo, s3, v2, vcc_lo
	v_add_co_u32 v44, vcc_lo, s2, v16
	v_lshlrev_b64 v[26:27], 4, v[14:15]
	v_add_co_ci_u32_e32 v45, vcc_lo, s3, v17, vcc_lo
	v_add_co_u32 v46, vcc_lo, s2, v18
	v_add_nc_u32_e32 v24, s11, v22
	v_add_co_ci_u32_e32 v47, vcc_lo, s3, v19, vcc_lo
	v_add_co_u32 v48, vcc_lo, s2, v26
	v_add_co_ci_u32_e32 v49, vcc_lo, s3, v27, vcc_lo
	s_delay_alu instid0(VALU_DEP_4)
	v_add_nc_u32_e32 v27, s11, v24
	v_ashrrev_i32_e32 v23, 31, v22
	v_ashrrev_i32_e32 v25, 31, v24
	s_clause 0x2
	global_load_b128 v[1:4], v13, s[2:3]
	global_load_b128 v[5:8], v[40:41], off
	global_load_b128 v[9:12], v[42:43], off
	v_add_nc_u32_e32 v30, s11, v27
	v_lshlrev_b64 v[22:23], 4, v[22:23]
	v_ashrrev_i32_e32 v28, 31, v27
	v_lshlrev_b64 v[25:26], 4, v[24:25]
	s_clause 0x1
	global_load_b128 v[14:17], v[44:45], off
	global_load_b128 v[18:21], v[46:47], off
	v_add_nc_u32_e32 v32, s11, v30
	v_ashrrev_i32_e32 v31, 31, v30
	v_add_co_u32 v50, vcc_lo, s2, v22
	v_lshlrev_b64 v[34:35], 4, v[27:28]
	s_delay_alu instid0(VALU_DEP_4)
	v_add_nc_u32_e32 v36, s11, v32
	v_add_co_ci_u32_e32 v51, vcc_lo, s3, v23, vcc_lo
	v_add_co_u32 v52, vcc_lo, s2, v25
	v_lshlrev_b64 v[30:31], 4, v[30:31]
	v_ashrrev_i32_e32 v33, 31, v32
	v_add_co_ci_u32_e32 v53, vcc_lo, s3, v26, vcc_lo
	v_add_co_u32 v54, vcc_lo, s2, v34
	v_ashrrev_i32_e32 v37, 31, v36
	v_add_nc_u32_e32 v34, s11, v36
	v_add_co_ci_u32_e32 v55, vcc_lo, s3, v35, vcc_lo
	v_lshlrev_b64 v[32:33], 4, v[32:33]
	v_add_co_u32 v56, vcc_lo, s2, v30
	v_add_co_ci_u32_e32 v57, vcc_lo, s3, v31, vcc_lo
	v_lshlrev_b64 v[30:31], 4, v[36:37]
	v_ashrrev_i32_e32 v35, 31, v34
	v_add_nc_u32_e32 v36, s11, v34
	v_add_co_u32 v58, vcc_lo, s2, v32
	v_add_co_ci_u32_e32 v59, vcc_lo, s3, v33, vcc_lo
	s_delay_alu instid0(VALU_DEP_4) | instskip(NEXT) | instid1(VALU_DEP_4)
	v_lshlrev_b64 v[32:33], 4, v[34:35]
	v_ashrrev_i32_e32 v37, 31, v36
	v_add_nc_u32_e32 v34, s11, v36
	v_add_co_u32 v60, vcc_lo, s2, v30
	v_add_co_ci_u32_e32 v61, vcc_lo, s3, v31, vcc_lo
	s_delay_alu instid0(VALU_DEP_4) | instskip(NEXT) | instid1(VALU_DEP_4)
	;; [unrolled: 6-line block ×10, first 2 shown]
	v_lshlrev_b64 v[30:31], 4, v[36:37]
	v_add_nc_u32_e32 v36, s11, v34
	v_ashrrev_i32_e32 v35, 31, v34
	v_add_co_u32 v78, vcc_lo, s2, v32
	v_add_co_ci_u32_e32 v79, vcc_lo, s3, v33, vcc_lo
	s_delay_alu instid0(VALU_DEP_4) | instskip(SKIP_3) | instid1(VALU_DEP_4)
	v_add_nc_u32_e32 v86, s11, v36
	v_ashrrev_i32_e32 v37, 31, v36
	v_lshlrev_b64 v[32:33], 4, v[34:35]
	v_add_co_u32 v80, vcc_lo, s2, v30
	v_add_nc_u32_e32 v88, s11, v86
	v_ashrrev_i32_e32 v87, 31, v86
	v_lshlrev_b64 v[84:85], 4, v[36:37]
	v_add_co_ci_u32_e32 v81, vcc_lo, s3, v31, vcc_lo
	s_delay_alu instid0(VALU_DEP_4) | instskip(SKIP_3) | instid1(VALU_DEP_4)
	v_add_nc_u32_e32 v90, s11, v88
	v_ashrrev_i32_e32 v89, 31, v88
	v_add_co_u32 v82, vcc_lo, s2, v32
	v_lshlrev_b64 v[86:87], 4, v[86:87]
	v_ashrrev_i32_e32 v91, 31, v90
	v_add_co_ci_u32_e32 v83, vcc_lo, s3, v33, vcc_lo
	v_add_co_u32 v84, vcc_lo, s2, v84
	v_lshlrev_b64 v[88:89], 4, v[88:89]
	v_add_co_ci_u32_e32 v85, vcc_lo, s3, v85, vcc_lo
	s_clause 0x10
	global_load_b128 v[22:25], v[48:49], off
	global_load_b128 v[26:29], v[50:51], off
	global_load_b128 v[30:33], v[52:53], off
	global_load_b128 v[34:37], v[54:55], off
	global_load_b128 v[107:110], v[56:57], off
	global_load_b128 v[111:114], v[58:59], off
	global_load_b128 v[115:118], v[60:61], off
	global_load_b128 v[119:122], v[62:63], off
	global_load_b128 v[123:126], v[64:65], off
	global_load_b128 v[127:130], v[66:67], off
	global_load_b128 v[131:134], v[68:69], off
	global_load_b128 v[135:138], v[70:71], off
	global_load_b128 v[139:142], v[72:73], off
	global_load_b128 v[143:146], v[74:75], off
	global_load_b128 v[147:150], v[76:77], off
	global_load_b128 v[151:154], v[78:79], off
	global_load_b128 v[155:158], v[80:81], off
	v_add_co_u32 v86, vcc_lo, s2, v86
	v_lshlrev_b64 v[90:91], 4, v[90:91]
	v_add_co_ci_u32_e32 v87, vcc_lo, s3, v87, vcc_lo
	v_add_co_u32 v88, vcc_lo, s2, v88
	v_add_co_ci_u32_e32 v89, vcc_lo, s3, v89, vcc_lo
	s_delay_alu instid0(VALU_DEP_4)
	v_add_co_u32 v90, vcc_lo, s2, v90
	v_add_co_ci_u32_e32 v91, vcc_lo, s3, v91, vcc_lo
	s_clause 0x4
	global_load_b128 v[159:162], v[82:83], off
	global_load_b128 v[163:166], v[84:85], off
	;; [unrolled: 1-line block ×5, first 2 shown]
	s_movk_i32 s2, 0x50
	s_movk_i32 s3, 0x60
	v_add_nc_u32_e64 v106, s2, 0
	s_movk_i32 s2, 0x140
	v_add_nc_u32_e64 v105, s3, 0
	s_movk_i32 s3, 0x160
	s_movk_i32 s4, 0x70
	;; [unrolled: 1-line block ×7, first 2 shown]
	v_add_nc_u32_e64 v104, s4, 0
	v_add_nc_u32_e64 v102, s5, 0
	;; [unrolled: 1-line block ×8, first 2 shown]
	s_bitcmp0_b32 s21, 0
	s_waitcnt vmcnt(26)
	scratch_store_b128 off, v[1:4], off
	s_waitcnt vmcnt(25)
	scratch_store_b128 off, v[5:8], off offset:16
	s_waitcnt vmcnt(24)
	scratch_store_b128 off, v[9:12], off offset:32
	;; [unrolled: 2-line block ×21, first 2 shown]
	v_add_nc_u32_e64 v107, s2, 0
	s_movk_i32 s2, 0x150
	v_add_nc_u32_e64 v111, s3, 0
	v_add_nc_u32_e64 v116, s2, 0
	s_movk_i32 s2, 0x170
	s_movk_i32 s3, 0x180
	v_add_nc_u32_e64 v115, s2, 0
	v_add_nc_u32_e64 v110, s3, 0
	s_movk_i32 s2, 0x190
	s_movk_i32 s3, 0x1a0
	v_add_nc_u32_e64 v117, s14, 0
	v_add_nc_u32_e64 v113, s15, 0
	;; [unrolled: 1-line block ×7, first 2 shown]
	s_mov_b32 s3, -1
	s_waitcnt vmcnt(4)
	scratch_store_b128 off, v[159:162], off offset:352
	s_waitcnt vmcnt(3)
	scratch_store_b128 off, v[163:166], off offset:368
	;; [unrolled: 2-line block ×5, first 2 shown]
	s_cbranch_scc1 .LBB26_120
; %bb.4:
	v_cmp_eq_u32_e64 s2, 0, v92
	s_delay_alu instid0(VALU_DEP_1)
	s_and_saveexec_b32 s3, s2
	s_cbranch_execz .LBB26_6
; %bb.5:
	v_mov_b32_e32 v1, 0
	ds_store_b32 v1, v1 offset:864
.LBB26_6:
	s_or_b32 exec_lo, exec_lo, s3
	s_waitcnt lgkmcnt(0)
	s_waitcnt_vscnt null, 0x0
	s_barrier
	buffer_gl0_inv
	scratch_load_b128 v[1:4], v13, off
	s_waitcnt vmcnt(0)
	v_cmp_eq_f64_e32 vcc_lo, 0, v[1:2]
	v_cmp_eq_f64_e64 s3, 0, v[3:4]
	s_delay_alu instid0(VALU_DEP_1) | instskip(NEXT) | instid1(SALU_CYCLE_1)
	s_and_b32 s3, vcc_lo, s3
	s_and_saveexec_b32 s4, s3
	s_cbranch_execz .LBB26_10
; %bb.7:
	v_mov_b32_e32 v1, 0
	s_mov_b32 s5, 0
	ds_load_b32 v2, v1 offset:864
	s_waitcnt lgkmcnt(0)
	v_readfirstlane_b32 s3, v2
	v_add_nc_u32_e32 v2, 1, v92
	s_delay_alu instid0(VALU_DEP_2) | instskip(NEXT) | instid1(VALU_DEP_1)
	s_cmp_eq_u32 s3, 0
	v_cmp_gt_i32_e32 vcc_lo, s3, v2
	s_cselect_b32 s8, -1, 0
	s_delay_alu instid0(SALU_CYCLE_1) | instskip(NEXT) | instid1(SALU_CYCLE_1)
	s_or_b32 s8, s8, vcc_lo
	s_and_b32 exec_lo, exec_lo, s8
	s_cbranch_execz .LBB26_10
; %bb.8:
	v_mov_b32_e32 v3, s3
.LBB26_9:                               ; =>This Inner Loop Header: Depth=1
	ds_cmpstore_rtn_b32 v3, v1, v2, v3 offset:864
	s_waitcnt lgkmcnt(0)
	v_cmp_ne_u32_e32 vcc_lo, 0, v3
	v_cmp_le_i32_e64 s3, v3, v2
	s_delay_alu instid0(VALU_DEP_1) | instskip(NEXT) | instid1(SALU_CYCLE_1)
	s_and_b32 s3, vcc_lo, s3
	s_and_b32 s3, exec_lo, s3
	s_delay_alu instid0(SALU_CYCLE_1) | instskip(NEXT) | instid1(SALU_CYCLE_1)
	s_or_b32 s5, s3, s5
	s_and_not1_b32 exec_lo, exec_lo, s5
	s_cbranch_execnz .LBB26_9
.LBB26_10:
	s_or_b32 exec_lo, exec_lo, s4
	v_mov_b32_e32 v1, 0
	s_barrier
	buffer_gl0_inv
	ds_load_b32 v2, v1 offset:864
	s_and_saveexec_b32 s3, s2
	s_cbranch_execz .LBB26_12
; %bb.11:
	s_lshl_b64 s[4:5], s[18:19], 2
	s_delay_alu instid0(SALU_CYCLE_1)
	s_add_u32 s4, s6, s4
	s_addc_u32 s5, s7, s5
	s_waitcnt lgkmcnt(0)
	global_store_b32 v1, v2, s[4:5]
.LBB26_12:
	s_or_b32 exec_lo, exec_lo, s3
	s_waitcnt lgkmcnt(0)
	v_cmp_ne_u32_e32 vcc_lo, 0, v2
	s_mov_b32 s3, 0
	s_cbranch_vccnz .LBB26_120
; %bb.13:
	v_add_nc_u32_e32 v14, 0, v13
                                        ; implicit-def: $vgpr9_vgpr10
	scratch_load_b128 v[1:4], v14, off
	s_waitcnt vmcnt(0)
	v_mov_b32_e32 v5, v1
	v_cmp_gt_f64_e32 vcc_lo, 0, v[1:2]
	v_xor_b32_e32 v6, 0x80000000, v2
	v_xor_b32_e32 v7, 0x80000000, v4
	s_delay_alu instid0(VALU_DEP_2) | instskip(SKIP_1) | instid1(VALU_DEP_3)
	v_cndmask_b32_e32 v6, v2, v6, vcc_lo
	v_cmp_gt_f64_e32 vcc_lo, 0, v[3:4]
	v_dual_cndmask_b32 v8, v4, v7 :: v_dual_mov_b32 v7, v3
	s_delay_alu instid0(VALU_DEP_1) | instskip(SKIP_1) | instid1(SALU_CYCLE_1)
	v_cmp_ngt_f64_e32 vcc_lo, v[5:6], v[7:8]
                                        ; implicit-def: $vgpr5_vgpr6
	s_and_saveexec_b32 s3, vcc_lo
	s_xor_b32 s3, exec_lo, s3
	s_cbranch_execz .LBB26_15
; %bb.14:
	v_div_scale_f64 v[5:6], null, v[3:4], v[3:4], v[1:2]
	v_div_scale_f64 v[11:12], vcc_lo, v[1:2], v[3:4], v[1:2]
	s_delay_alu instid0(VALU_DEP_2) | instskip(SKIP_2) | instid1(VALU_DEP_1)
	v_rcp_f64_e32 v[7:8], v[5:6]
	s_waitcnt_depctr 0xfff
	v_fma_f64 v[9:10], -v[5:6], v[7:8], 1.0
	v_fma_f64 v[7:8], v[7:8], v[9:10], v[7:8]
	s_delay_alu instid0(VALU_DEP_1) | instskip(NEXT) | instid1(VALU_DEP_1)
	v_fma_f64 v[9:10], -v[5:6], v[7:8], 1.0
	v_fma_f64 v[7:8], v[7:8], v[9:10], v[7:8]
	s_delay_alu instid0(VALU_DEP_1) | instskip(NEXT) | instid1(VALU_DEP_1)
	v_mul_f64 v[9:10], v[11:12], v[7:8]
	v_fma_f64 v[5:6], -v[5:6], v[9:10], v[11:12]
	s_delay_alu instid0(VALU_DEP_1) | instskip(NEXT) | instid1(VALU_DEP_1)
	v_div_fmas_f64 v[5:6], v[5:6], v[7:8], v[9:10]
	v_div_fixup_f64 v[5:6], v[5:6], v[3:4], v[1:2]
	s_delay_alu instid0(VALU_DEP_1) | instskip(NEXT) | instid1(VALU_DEP_1)
	v_fma_f64 v[1:2], v[1:2], v[5:6], v[3:4]
	v_div_scale_f64 v[3:4], null, v[1:2], v[1:2], 1.0
	v_div_scale_f64 v[11:12], vcc_lo, 1.0, v[1:2], 1.0
	s_delay_alu instid0(VALU_DEP_2) | instskip(SKIP_2) | instid1(VALU_DEP_1)
	v_rcp_f64_e32 v[7:8], v[3:4]
	s_waitcnt_depctr 0xfff
	v_fma_f64 v[9:10], -v[3:4], v[7:8], 1.0
	v_fma_f64 v[7:8], v[7:8], v[9:10], v[7:8]
	s_delay_alu instid0(VALU_DEP_1) | instskip(NEXT) | instid1(VALU_DEP_1)
	v_fma_f64 v[9:10], -v[3:4], v[7:8], 1.0
	v_fma_f64 v[7:8], v[7:8], v[9:10], v[7:8]
	s_delay_alu instid0(VALU_DEP_1) | instskip(NEXT) | instid1(VALU_DEP_1)
	v_mul_f64 v[9:10], v[11:12], v[7:8]
	v_fma_f64 v[3:4], -v[3:4], v[9:10], v[11:12]
	s_delay_alu instid0(VALU_DEP_1) | instskip(NEXT) | instid1(VALU_DEP_1)
	v_div_fmas_f64 v[3:4], v[3:4], v[7:8], v[9:10]
	v_div_fixup_f64 v[7:8], v[3:4], v[1:2], 1.0
                                        ; implicit-def: $vgpr1_vgpr2
	s_delay_alu instid0(VALU_DEP_1) | instskip(SKIP_1) | instid1(VALU_DEP_2)
	v_mul_f64 v[5:6], v[5:6], v[7:8]
	v_xor_b32_e32 v8, 0x80000000, v8
	v_xor_b32_e32 v10, 0x80000000, v6
	s_delay_alu instid0(VALU_DEP_3)
	v_mov_b32_e32 v9, v5
.LBB26_15:
	s_and_not1_saveexec_b32 s3, s3
	s_cbranch_execz .LBB26_17
; %bb.16:
	v_div_scale_f64 v[5:6], null, v[1:2], v[1:2], v[3:4]
	v_div_scale_f64 v[11:12], vcc_lo, v[3:4], v[1:2], v[3:4]
	s_delay_alu instid0(VALU_DEP_2) | instskip(SKIP_2) | instid1(VALU_DEP_1)
	v_rcp_f64_e32 v[7:8], v[5:6]
	s_waitcnt_depctr 0xfff
	v_fma_f64 v[9:10], -v[5:6], v[7:8], 1.0
	v_fma_f64 v[7:8], v[7:8], v[9:10], v[7:8]
	s_delay_alu instid0(VALU_DEP_1) | instskip(NEXT) | instid1(VALU_DEP_1)
	v_fma_f64 v[9:10], -v[5:6], v[7:8], 1.0
	v_fma_f64 v[7:8], v[7:8], v[9:10], v[7:8]
	s_delay_alu instid0(VALU_DEP_1) | instskip(NEXT) | instid1(VALU_DEP_1)
	v_mul_f64 v[9:10], v[11:12], v[7:8]
	v_fma_f64 v[5:6], -v[5:6], v[9:10], v[11:12]
	s_delay_alu instid0(VALU_DEP_1) | instskip(NEXT) | instid1(VALU_DEP_1)
	v_div_fmas_f64 v[5:6], v[5:6], v[7:8], v[9:10]
	v_div_fixup_f64 v[7:8], v[5:6], v[1:2], v[3:4]
	s_delay_alu instid0(VALU_DEP_1) | instskip(NEXT) | instid1(VALU_DEP_1)
	v_fma_f64 v[1:2], v[3:4], v[7:8], v[1:2]
	v_div_scale_f64 v[3:4], null, v[1:2], v[1:2], 1.0
	s_delay_alu instid0(VALU_DEP_1) | instskip(SKIP_2) | instid1(VALU_DEP_1)
	v_rcp_f64_e32 v[5:6], v[3:4]
	s_waitcnt_depctr 0xfff
	v_fma_f64 v[9:10], -v[3:4], v[5:6], 1.0
	v_fma_f64 v[5:6], v[5:6], v[9:10], v[5:6]
	s_delay_alu instid0(VALU_DEP_1) | instskip(NEXT) | instid1(VALU_DEP_1)
	v_fma_f64 v[9:10], -v[3:4], v[5:6], 1.0
	v_fma_f64 v[5:6], v[5:6], v[9:10], v[5:6]
	v_div_scale_f64 v[9:10], vcc_lo, 1.0, v[1:2], 1.0
	s_delay_alu instid0(VALU_DEP_1) | instskip(NEXT) | instid1(VALU_DEP_1)
	v_mul_f64 v[11:12], v[9:10], v[5:6]
	v_fma_f64 v[3:4], -v[3:4], v[11:12], v[9:10]
	s_delay_alu instid0(VALU_DEP_1) | instskip(NEXT) | instid1(VALU_DEP_1)
	v_div_fmas_f64 v[3:4], v[3:4], v[5:6], v[11:12]
	v_div_fixup_f64 v[5:6], v[3:4], v[1:2], 1.0
	s_delay_alu instid0(VALU_DEP_1)
	v_mul_f64 v[7:8], v[7:8], -v[5:6]
	v_xor_b32_e32 v10, 0x80000000, v6
	v_mov_b32_e32 v9, v5
.LBB26_17:
	s_or_b32 exec_lo, exec_lo, s3
	scratch_store_b128 v14, v[5:8], off
	scratch_load_b128 v[1:4], v96, off
	v_xor_b32_e32 v12, 0x80000000, v8
	v_mov_b32_e32 v11, v7
	v_add_nc_u32_e32 v5, 0x1b0, v13
	ds_store_b128 v13, v[9:12]
	s_waitcnt vmcnt(0)
	ds_store_b128 v13, v[1:4] offset:432
	s_waitcnt lgkmcnt(0)
	s_waitcnt_vscnt null, 0x0
	s_barrier
	buffer_gl0_inv
	s_and_saveexec_b32 s3, s2
	s_cbranch_execz .LBB26_19
; %bb.18:
	scratch_load_b128 v[1:4], v14, off
	ds_load_b128 v[6:9], v5
	v_mov_b32_e32 v10, 0
	ds_load_b128 v[15:18], v10 offset:16
	s_waitcnt vmcnt(0) lgkmcnt(1)
	v_mul_f64 v[10:11], v[6:7], v[3:4]
	v_mul_f64 v[3:4], v[8:9], v[3:4]
	s_delay_alu instid0(VALU_DEP_2) | instskip(NEXT) | instid1(VALU_DEP_2)
	v_fma_f64 v[8:9], v[8:9], v[1:2], v[10:11]
	v_fma_f64 v[1:2], v[6:7], v[1:2], -v[3:4]
	s_delay_alu instid0(VALU_DEP_2) | instskip(NEXT) | instid1(VALU_DEP_2)
	v_add_f64 v[3:4], v[8:9], 0
	v_add_f64 v[1:2], v[1:2], 0
	s_waitcnt lgkmcnt(0)
	s_delay_alu instid0(VALU_DEP_2) | instskip(NEXT) | instid1(VALU_DEP_2)
	v_mul_f64 v[6:7], v[3:4], v[17:18]
	v_mul_f64 v[8:9], v[1:2], v[17:18]
	s_delay_alu instid0(VALU_DEP_2) | instskip(NEXT) | instid1(VALU_DEP_2)
	v_fma_f64 v[1:2], v[1:2], v[15:16], -v[6:7]
	v_fma_f64 v[3:4], v[3:4], v[15:16], v[8:9]
	scratch_store_b128 off, v[1:4], off offset:16
.LBB26_19:
	s_or_b32 exec_lo, exec_lo, s3
	s_waitcnt_vscnt null, 0x0
	s_barrier
	buffer_gl0_inv
	scratch_load_b128 v[1:4], v95, off
	s_mov_b32 s3, exec_lo
	s_waitcnt vmcnt(0)
	ds_store_b128 v5, v[1:4]
	s_waitcnt lgkmcnt(0)
	s_barrier
	buffer_gl0_inv
	v_cmpx_gt_u32_e32 2, v92
	s_cbranch_execz .LBB26_23
; %bb.20:
	scratch_load_b128 v[1:4], v14, off
	ds_load_b128 v[6:9], v5
	s_waitcnt vmcnt(0) lgkmcnt(0)
	v_mul_f64 v[10:11], v[8:9], v[3:4]
	v_mul_f64 v[3:4], v[6:7], v[3:4]
	s_delay_alu instid0(VALU_DEP_2) | instskip(NEXT) | instid1(VALU_DEP_2)
	v_fma_f64 v[6:7], v[6:7], v[1:2], -v[10:11]
	v_fma_f64 v[3:4], v[8:9], v[1:2], v[3:4]
	s_delay_alu instid0(VALU_DEP_2) | instskip(NEXT) | instid1(VALU_DEP_2)
	v_add_f64 v[1:2], v[6:7], 0
	v_add_f64 v[3:4], v[3:4], 0
	s_and_saveexec_b32 s4, s2
	s_cbranch_execz .LBB26_22
; %bb.21:
	scratch_load_b128 v[6:9], off, off offset:16
	v_mov_b32_e32 v10, 0
	ds_load_b128 v[15:18], v10 offset:448
	s_waitcnt vmcnt(0) lgkmcnt(0)
	v_mul_f64 v[10:11], v[15:16], v[8:9]
	v_mul_f64 v[8:9], v[17:18], v[8:9]
	s_delay_alu instid0(VALU_DEP_2) | instskip(NEXT) | instid1(VALU_DEP_2)
	v_fma_f64 v[10:11], v[17:18], v[6:7], v[10:11]
	v_fma_f64 v[6:7], v[15:16], v[6:7], -v[8:9]
	s_delay_alu instid0(VALU_DEP_2) | instskip(NEXT) | instid1(VALU_DEP_2)
	v_add_f64 v[3:4], v[3:4], v[10:11]
	v_add_f64 v[1:2], v[1:2], v[6:7]
.LBB26_22:
	s_or_b32 exec_lo, exec_lo, s4
	v_mov_b32_e32 v6, 0
	ds_load_b128 v[6:9], v6 offset:32
	s_waitcnt lgkmcnt(0)
	v_mul_f64 v[10:11], v[3:4], v[8:9]
	v_mul_f64 v[8:9], v[1:2], v[8:9]
	s_delay_alu instid0(VALU_DEP_2) | instskip(NEXT) | instid1(VALU_DEP_2)
	v_fma_f64 v[1:2], v[1:2], v[6:7], -v[10:11]
	v_fma_f64 v[3:4], v[3:4], v[6:7], v[8:9]
	scratch_store_b128 off, v[1:4], off offset:32
.LBB26_23:
	s_or_b32 exec_lo, exec_lo, s3
	s_waitcnt_vscnt null, 0x0
	s_barrier
	buffer_gl0_inv
	scratch_load_b128 v[1:4], v94, off
	v_add_nc_u32_e32 v6, -1, v92
	s_mov_b32 s2, exec_lo
	s_waitcnt vmcnt(0)
	ds_store_b128 v5, v[1:4]
	s_waitcnt lgkmcnt(0)
	s_barrier
	buffer_gl0_inv
	v_cmpx_gt_u32_e32 3, v92
	s_cbranch_execz .LBB26_27
; %bb.24:
	v_dual_mov_b32 v1, 0 :: v_dual_add_nc_u32 v8, 0x1b0, v13
	v_dual_mov_b32 v2, 0 :: v_dual_add_nc_u32 v7, -1, v92
	v_or_b32_e32 v9, 8, v14
	s_mov_b32 s3, 0
	s_delay_alu instid0(VALU_DEP_2)
	v_dual_mov_b32 v4, v2 :: v_dual_mov_b32 v3, v1
	.p2align	6
.LBB26_25:                              ; =>This Inner Loop Header: Depth=1
	scratch_load_b128 v[15:18], v9, off offset:-8
	ds_load_b128 v[19:22], v8
	v_add_nc_u32_e32 v7, 1, v7
	v_add_nc_u32_e32 v8, 16, v8
	;; [unrolled: 1-line block ×3, first 2 shown]
	s_delay_alu instid0(VALU_DEP_3) | instskip(SKIP_4) | instid1(VALU_DEP_2)
	v_cmp_lt_u32_e32 vcc_lo, 1, v7
	s_or_b32 s3, vcc_lo, s3
	s_waitcnt vmcnt(0) lgkmcnt(0)
	v_mul_f64 v[10:11], v[21:22], v[17:18]
	v_mul_f64 v[17:18], v[19:20], v[17:18]
	v_fma_f64 v[10:11], v[19:20], v[15:16], -v[10:11]
	s_delay_alu instid0(VALU_DEP_2) | instskip(NEXT) | instid1(VALU_DEP_2)
	v_fma_f64 v[15:16], v[21:22], v[15:16], v[17:18]
	v_add_f64 v[3:4], v[3:4], v[10:11]
	s_delay_alu instid0(VALU_DEP_2)
	v_add_f64 v[1:2], v[1:2], v[15:16]
	s_and_not1_b32 exec_lo, exec_lo, s3
	s_cbranch_execnz .LBB26_25
; %bb.26:
	s_or_b32 exec_lo, exec_lo, s3
	v_mov_b32_e32 v7, 0
	ds_load_b128 v[7:10], v7 offset:48
	s_waitcnt lgkmcnt(0)
	v_mul_f64 v[11:12], v[1:2], v[9:10]
	v_mul_f64 v[15:16], v[3:4], v[9:10]
	s_delay_alu instid0(VALU_DEP_2) | instskip(NEXT) | instid1(VALU_DEP_2)
	v_fma_f64 v[9:10], v[3:4], v[7:8], -v[11:12]
	v_fma_f64 v[11:12], v[1:2], v[7:8], v[15:16]
	scratch_store_b128 off, v[9:12], off offset:48
.LBB26_27:
	s_or_b32 exec_lo, exec_lo, s2
	s_waitcnt_vscnt null, 0x0
	s_barrier
	buffer_gl0_inv
	scratch_load_b128 v[1:4], v93, off
	s_mov_b32 s2, exec_lo
	s_waitcnt vmcnt(0)
	ds_store_b128 v5, v[1:4]
	s_waitcnt lgkmcnt(0)
	s_barrier
	buffer_gl0_inv
	v_cmpx_gt_u32_e32 4, v92
	s_cbranch_execz .LBB26_31
; %bb.28:
	v_dual_mov_b32 v1, 0 :: v_dual_add_nc_u32 v8, 0x1b0, v13
	v_dual_mov_b32 v2, 0 :: v_dual_add_nc_u32 v7, -1, v92
	v_or_b32_e32 v9, 8, v14
	s_mov_b32 s3, 0
	s_delay_alu instid0(VALU_DEP_2)
	v_dual_mov_b32 v4, v2 :: v_dual_mov_b32 v3, v1
	.p2align	6
.LBB26_29:                              ; =>This Inner Loop Header: Depth=1
	scratch_load_b128 v[15:18], v9, off offset:-8
	ds_load_b128 v[19:22], v8
	v_add_nc_u32_e32 v7, 1, v7
	v_add_nc_u32_e32 v8, 16, v8
	;; [unrolled: 1-line block ×3, first 2 shown]
	s_delay_alu instid0(VALU_DEP_3) | instskip(SKIP_4) | instid1(VALU_DEP_2)
	v_cmp_lt_u32_e32 vcc_lo, 2, v7
	s_or_b32 s3, vcc_lo, s3
	s_waitcnt vmcnt(0) lgkmcnt(0)
	v_mul_f64 v[10:11], v[21:22], v[17:18]
	v_mul_f64 v[17:18], v[19:20], v[17:18]
	v_fma_f64 v[10:11], v[19:20], v[15:16], -v[10:11]
	s_delay_alu instid0(VALU_DEP_2) | instskip(NEXT) | instid1(VALU_DEP_2)
	v_fma_f64 v[15:16], v[21:22], v[15:16], v[17:18]
	v_add_f64 v[3:4], v[3:4], v[10:11]
	s_delay_alu instid0(VALU_DEP_2)
	v_add_f64 v[1:2], v[1:2], v[15:16]
	s_and_not1_b32 exec_lo, exec_lo, s3
	s_cbranch_execnz .LBB26_29
; %bb.30:
	s_or_b32 exec_lo, exec_lo, s3
	v_mov_b32_e32 v7, 0
	ds_load_b128 v[7:10], v7 offset:64
	s_waitcnt lgkmcnt(0)
	v_mul_f64 v[11:12], v[1:2], v[9:10]
	v_mul_f64 v[15:16], v[3:4], v[9:10]
	s_delay_alu instid0(VALU_DEP_2) | instskip(NEXT) | instid1(VALU_DEP_2)
	v_fma_f64 v[9:10], v[3:4], v[7:8], -v[11:12]
	v_fma_f64 v[11:12], v[1:2], v[7:8], v[15:16]
	scratch_store_b128 off, v[9:12], off offset:64
.LBB26_31:
	s_or_b32 exec_lo, exec_lo, s2
	s_waitcnt_vscnt null, 0x0
	s_barrier
	buffer_gl0_inv
	scratch_load_b128 v[1:4], v106, off
	s_mov_b32 s2, exec_lo
	s_waitcnt vmcnt(0)
	ds_store_b128 v5, v[1:4]
	s_waitcnt lgkmcnt(0)
	s_barrier
	buffer_gl0_inv
	v_cmpx_gt_u32_e32 5, v92
	s_cbranch_execz .LBB26_35
; %bb.32:
	v_dual_mov_b32 v1, 0 :: v_dual_add_nc_u32 v8, 0x1b0, v13
	v_dual_mov_b32 v2, 0 :: v_dual_add_nc_u32 v7, -1, v92
	v_or_b32_e32 v9, 8, v14
	s_mov_b32 s3, 0
	s_delay_alu instid0(VALU_DEP_2)
	v_dual_mov_b32 v4, v2 :: v_dual_mov_b32 v3, v1
	.p2align	6
.LBB26_33:                              ; =>This Inner Loop Header: Depth=1
	scratch_load_b128 v[15:18], v9, off offset:-8
	ds_load_b128 v[19:22], v8
	v_add_nc_u32_e32 v7, 1, v7
	v_add_nc_u32_e32 v8, 16, v8
	;; [unrolled: 1-line block ×3, first 2 shown]
	s_delay_alu instid0(VALU_DEP_3) | instskip(SKIP_4) | instid1(VALU_DEP_2)
	v_cmp_lt_u32_e32 vcc_lo, 3, v7
	s_or_b32 s3, vcc_lo, s3
	s_waitcnt vmcnt(0) lgkmcnt(0)
	v_mul_f64 v[10:11], v[21:22], v[17:18]
	v_mul_f64 v[17:18], v[19:20], v[17:18]
	v_fma_f64 v[10:11], v[19:20], v[15:16], -v[10:11]
	s_delay_alu instid0(VALU_DEP_2) | instskip(NEXT) | instid1(VALU_DEP_2)
	v_fma_f64 v[15:16], v[21:22], v[15:16], v[17:18]
	v_add_f64 v[3:4], v[3:4], v[10:11]
	s_delay_alu instid0(VALU_DEP_2)
	v_add_f64 v[1:2], v[1:2], v[15:16]
	s_and_not1_b32 exec_lo, exec_lo, s3
	s_cbranch_execnz .LBB26_33
; %bb.34:
	s_or_b32 exec_lo, exec_lo, s3
	v_mov_b32_e32 v7, 0
	ds_load_b128 v[7:10], v7 offset:80
	s_waitcnt lgkmcnt(0)
	v_mul_f64 v[11:12], v[1:2], v[9:10]
	v_mul_f64 v[15:16], v[3:4], v[9:10]
	s_delay_alu instid0(VALU_DEP_2) | instskip(NEXT) | instid1(VALU_DEP_2)
	v_fma_f64 v[9:10], v[3:4], v[7:8], -v[11:12]
	v_fma_f64 v[11:12], v[1:2], v[7:8], v[15:16]
	scratch_store_b128 off, v[9:12], off offset:80
.LBB26_35:
	s_or_b32 exec_lo, exec_lo, s2
	s_waitcnt_vscnt null, 0x0
	s_barrier
	buffer_gl0_inv
	scratch_load_b128 v[1:4], v105, off
	s_mov_b32 s2, exec_lo
	s_waitcnt vmcnt(0)
	ds_store_b128 v5, v[1:4]
	s_waitcnt lgkmcnt(0)
	s_barrier
	buffer_gl0_inv
	v_cmpx_gt_u32_e32 6, v92
	s_cbranch_execz .LBB26_39
; %bb.36:
	v_dual_mov_b32 v1, 0 :: v_dual_add_nc_u32 v8, 0x1b0, v13
	v_dual_mov_b32 v2, 0 :: v_dual_add_nc_u32 v7, -1, v92
	v_or_b32_e32 v9, 8, v14
	s_mov_b32 s3, 0
	s_delay_alu instid0(VALU_DEP_2)
	v_dual_mov_b32 v4, v2 :: v_dual_mov_b32 v3, v1
	.p2align	6
.LBB26_37:                              ; =>This Inner Loop Header: Depth=1
	scratch_load_b128 v[15:18], v9, off offset:-8
	ds_load_b128 v[19:22], v8
	v_add_nc_u32_e32 v7, 1, v7
	v_add_nc_u32_e32 v8, 16, v8
	;; [unrolled: 1-line block ×3, first 2 shown]
	s_delay_alu instid0(VALU_DEP_3) | instskip(SKIP_4) | instid1(VALU_DEP_2)
	v_cmp_lt_u32_e32 vcc_lo, 4, v7
	s_or_b32 s3, vcc_lo, s3
	s_waitcnt vmcnt(0) lgkmcnt(0)
	v_mul_f64 v[10:11], v[21:22], v[17:18]
	v_mul_f64 v[17:18], v[19:20], v[17:18]
	v_fma_f64 v[10:11], v[19:20], v[15:16], -v[10:11]
	s_delay_alu instid0(VALU_DEP_2) | instskip(NEXT) | instid1(VALU_DEP_2)
	v_fma_f64 v[15:16], v[21:22], v[15:16], v[17:18]
	v_add_f64 v[3:4], v[3:4], v[10:11]
	s_delay_alu instid0(VALU_DEP_2)
	v_add_f64 v[1:2], v[1:2], v[15:16]
	s_and_not1_b32 exec_lo, exec_lo, s3
	s_cbranch_execnz .LBB26_37
; %bb.38:
	s_or_b32 exec_lo, exec_lo, s3
	v_mov_b32_e32 v7, 0
	ds_load_b128 v[7:10], v7 offset:96
	s_waitcnt lgkmcnt(0)
	v_mul_f64 v[11:12], v[1:2], v[9:10]
	v_mul_f64 v[15:16], v[3:4], v[9:10]
	s_delay_alu instid0(VALU_DEP_2) | instskip(NEXT) | instid1(VALU_DEP_2)
	v_fma_f64 v[9:10], v[3:4], v[7:8], -v[11:12]
	v_fma_f64 v[11:12], v[1:2], v[7:8], v[15:16]
	scratch_store_b128 off, v[9:12], off offset:96
.LBB26_39:
	s_or_b32 exec_lo, exec_lo, s2
	s_waitcnt_vscnt null, 0x0
	s_barrier
	buffer_gl0_inv
	scratch_load_b128 v[1:4], v104, off
	s_mov_b32 s2, exec_lo
	s_waitcnt vmcnt(0)
	ds_store_b128 v5, v[1:4]
	s_waitcnt lgkmcnt(0)
	s_barrier
	buffer_gl0_inv
	v_cmpx_gt_u32_e32 7, v92
	s_cbranch_execz .LBB26_43
; %bb.40:
	v_dual_mov_b32 v1, 0 :: v_dual_add_nc_u32 v8, 0x1b0, v13
	v_dual_mov_b32 v2, 0 :: v_dual_add_nc_u32 v7, -1, v92
	v_or_b32_e32 v9, 8, v14
	s_mov_b32 s3, 0
	s_delay_alu instid0(VALU_DEP_2)
	v_dual_mov_b32 v4, v2 :: v_dual_mov_b32 v3, v1
	.p2align	6
.LBB26_41:                              ; =>This Inner Loop Header: Depth=1
	scratch_load_b128 v[15:18], v9, off offset:-8
	ds_load_b128 v[19:22], v8
	v_add_nc_u32_e32 v7, 1, v7
	v_add_nc_u32_e32 v8, 16, v8
	;; [unrolled: 1-line block ×3, first 2 shown]
	s_delay_alu instid0(VALU_DEP_3) | instskip(SKIP_4) | instid1(VALU_DEP_2)
	v_cmp_lt_u32_e32 vcc_lo, 5, v7
	s_or_b32 s3, vcc_lo, s3
	s_waitcnt vmcnt(0) lgkmcnt(0)
	v_mul_f64 v[10:11], v[21:22], v[17:18]
	v_mul_f64 v[17:18], v[19:20], v[17:18]
	v_fma_f64 v[10:11], v[19:20], v[15:16], -v[10:11]
	s_delay_alu instid0(VALU_DEP_2) | instskip(NEXT) | instid1(VALU_DEP_2)
	v_fma_f64 v[15:16], v[21:22], v[15:16], v[17:18]
	v_add_f64 v[3:4], v[3:4], v[10:11]
	s_delay_alu instid0(VALU_DEP_2)
	v_add_f64 v[1:2], v[1:2], v[15:16]
	s_and_not1_b32 exec_lo, exec_lo, s3
	s_cbranch_execnz .LBB26_41
; %bb.42:
	s_or_b32 exec_lo, exec_lo, s3
	v_mov_b32_e32 v7, 0
	ds_load_b128 v[7:10], v7 offset:112
	s_waitcnt lgkmcnt(0)
	v_mul_f64 v[11:12], v[1:2], v[9:10]
	v_mul_f64 v[15:16], v[3:4], v[9:10]
	s_delay_alu instid0(VALU_DEP_2) | instskip(NEXT) | instid1(VALU_DEP_2)
	v_fma_f64 v[9:10], v[3:4], v[7:8], -v[11:12]
	v_fma_f64 v[11:12], v[1:2], v[7:8], v[15:16]
	scratch_store_b128 off, v[9:12], off offset:112
.LBB26_43:
	s_or_b32 exec_lo, exec_lo, s2
	s_waitcnt_vscnt null, 0x0
	s_barrier
	buffer_gl0_inv
	scratch_load_b128 v[1:4], v102, off
	s_mov_b32 s2, exec_lo
	s_waitcnt vmcnt(0)
	ds_store_b128 v5, v[1:4]
	s_waitcnt lgkmcnt(0)
	s_barrier
	buffer_gl0_inv
	v_cmpx_gt_u32_e32 8, v92
	s_cbranch_execz .LBB26_47
; %bb.44:
	v_dual_mov_b32 v1, 0 :: v_dual_add_nc_u32 v8, 0x1b0, v13
	v_dual_mov_b32 v2, 0 :: v_dual_add_nc_u32 v7, -1, v92
	v_or_b32_e32 v9, 8, v14
	s_mov_b32 s3, 0
	s_delay_alu instid0(VALU_DEP_2)
	v_dual_mov_b32 v4, v2 :: v_dual_mov_b32 v3, v1
	.p2align	6
.LBB26_45:                              ; =>This Inner Loop Header: Depth=1
	scratch_load_b128 v[15:18], v9, off offset:-8
	ds_load_b128 v[19:22], v8
	v_add_nc_u32_e32 v7, 1, v7
	v_add_nc_u32_e32 v8, 16, v8
	;; [unrolled: 1-line block ×3, first 2 shown]
	s_delay_alu instid0(VALU_DEP_3) | instskip(SKIP_4) | instid1(VALU_DEP_2)
	v_cmp_lt_u32_e32 vcc_lo, 6, v7
	s_or_b32 s3, vcc_lo, s3
	s_waitcnt vmcnt(0) lgkmcnt(0)
	v_mul_f64 v[10:11], v[21:22], v[17:18]
	v_mul_f64 v[17:18], v[19:20], v[17:18]
	v_fma_f64 v[10:11], v[19:20], v[15:16], -v[10:11]
	s_delay_alu instid0(VALU_DEP_2) | instskip(NEXT) | instid1(VALU_DEP_2)
	v_fma_f64 v[15:16], v[21:22], v[15:16], v[17:18]
	v_add_f64 v[3:4], v[3:4], v[10:11]
	s_delay_alu instid0(VALU_DEP_2)
	v_add_f64 v[1:2], v[1:2], v[15:16]
	s_and_not1_b32 exec_lo, exec_lo, s3
	s_cbranch_execnz .LBB26_45
; %bb.46:
	s_or_b32 exec_lo, exec_lo, s3
	v_mov_b32_e32 v7, 0
	ds_load_b128 v[7:10], v7 offset:128
	s_waitcnt lgkmcnt(0)
	v_mul_f64 v[11:12], v[1:2], v[9:10]
	v_mul_f64 v[15:16], v[3:4], v[9:10]
	s_delay_alu instid0(VALU_DEP_2) | instskip(NEXT) | instid1(VALU_DEP_2)
	v_fma_f64 v[9:10], v[3:4], v[7:8], -v[11:12]
	v_fma_f64 v[11:12], v[1:2], v[7:8], v[15:16]
	scratch_store_b128 off, v[9:12], off offset:128
.LBB26_47:
	s_or_b32 exec_lo, exec_lo, s2
	s_waitcnt_vscnt null, 0x0
	s_barrier
	buffer_gl0_inv
	scratch_load_b128 v[1:4], v103, off
	s_mov_b32 s2, exec_lo
	s_waitcnt vmcnt(0)
	ds_store_b128 v5, v[1:4]
	s_waitcnt lgkmcnt(0)
	s_barrier
	buffer_gl0_inv
	v_cmpx_gt_u32_e32 9, v92
	s_cbranch_execz .LBB26_51
; %bb.48:
	v_dual_mov_b32 v1, 0 :: v_dual_add_nc_u32 v8, 0x1b0, v13
	v_dual_mov_b32 v2, 0 :: v_dual_add_nc_u32 v7, -1, v92
	v_or_b32_e32 v9, 8, v14
	s_mov_b32 s3, 0
	s_delay_alu instid0(VALU_DEP_2)
	v_dual_mov_b32 v4, v2 :: v_dual_mov_b32 v3, v1
	.p2align	6
.LBB26_49:                              ; =>This Inner Loop Header: Depth=1
	scratch_load_b128 v[15:18], v9, off offset:-8
	ds_load_b128 v[19:22], v8
	v_add_nc_u32_e32 v7, 1, v7
	v_add_nc_u32_e32 v8, 16, v8
	;; [unrolled: 1-line block ×3, first 2 shown]
	s_delay_alu instid0(VALU_DEP_3) | instskip(SKIP_4) | instid1(VALU_DEP_2)
	v_cmp_lt_u32_e32 vcc_lo, 7, v7
	s_or_b32 s3, vcc_lo, s3
	s_waitcnt vmcnt(0) lgkmcnt(0)
	v_mul_f64 v[10:11], v[21:22], v[17:18]
	v_mul_f64 v[17:18], v[19:20], v[17:18]
	v_fma_f64 v[10:11], v[19:20], v[15:16], -v[10:11]
	s_delay_alu instid0(VALU_DEP_2) | instskip(NEXT) | instid1(VALU_DEP_2)
	v_fma_f64 v[15:16], v[21:22], v[15:16], v[17:18]
	v_add_f64 v[3:4], v[3:4], v[10:11]
	s_delay_alu instid0(VALU_DEP_2)
	v_add_f64 v[1:2], v[1:2], v[15:16]
	s_and_not1_b32 exec_lo, exec_lo, s3
	s_cbranch_execnz .LBB26_49
; %bb.50:
	s_or_b32 exec_lo, exec_lo, s3
	v_mov_b32_e32 v7, 0
	ds_load_b128 v[7:10], v7 offset:144
	s_waitcnt lgkmcnt(0)
	v_mul_f64 v[11:12], v[1:2], v[9:10]
	v_mul_f64 v[15:16], v[3:4], v[9:10]
	s_delay_alu instid0(VALU_DEP_2) | instskip(NEXT) | instid1(VALU_DEP_2)
	v_fma_f64 v[9:10], v[3:4], v[7:8], -v[11:12]
	v_fma_f64 v[11:12], v[1:2], v[7:8], v[15:16]
	scratch_store_b128 off, v[9:12], off offset:144
.LBB26_51:
	s_or_b32 exec_lo, exec_lo, s2
	s_waitcnt_vscnt null, 0x0
	s_barrier
	buffer_gl0_inv
	scratch_load_b128 v[1:4], v101, off
	s_mov_b32 s2, exec_lo
	s_waitcnt vmcnt(0)
	ds_store_b128 v5, v[1:4]
	s_waitcnt lgkmcnt(0)
	s_barrier
	buffer_gl0_inv
	v_cmpx_gt_u32_e32 10, v92
	s_cbranch_execz .LBB26_55
; %bb.52:
	v_dual_mov_b32 v1, 0 :: v_dual_add_nc_u32 v8, 0x1b0, v13
	v_dual_mov_b32 v2, 0 :: v_dual_add_nc_u32 v7, -1, v92
	v_or_b32_e32 v9, 8, v14
	s_mov_b32 s3, 0
	s_delay_alu instid0(VALU_DEP_2)
	v_dual_mov_b32 v4, v2 :: v_dual_mov_b32 v3, v1
	.p2align	6
.LBB26_53:                              ; =>This Inner Loop Header: Depth=1
	scratch_load_b128 v[15:18], v9, off offset:-8
	ds_load_b128 v[19:22], v8
	v_add_nc_u32_e32 v7, 1, v7
	v_add_nc_u32_e32 v8, 16, v8
	;; [unrolled: 1-line block ×3, first 2 shown]
	s_delay_alu instid0(VALU_DEP_3) | instskip(SKIP_4) | instid1(VALU_DEP_2)
	v_cmp_lt_u32_e32 vcc_lo, 8, v7
	s_or_b32 s3, vcc_lo, s3
	s_waitcnt vmcnt(0) lgkmcnt(0)
	v_mul_f64 v[10:11], v[21:22], v[17:18]
	v_mul_f64 v[17:18], v[19:20], v[17:18]
	v_fma_f64 v[10:11], v[19:20], v[15:16], -v[10:11]
	s_delay_alu instid0(VALU_DEP_2) | instskip(NEXT) | instid1(VALU_DEP_2)
	v_fma_f64 v[15:16], v[21:22], v[15:16], v[17:18]
	v_add_f64 v[3:4], v[3:4], v[10:11]
	s_delay_alu instid0(VALU_DEP_2)
	v_add_f64 v[1:2], v[1:2], v[15:16]
	s_and_not1_b32 exec_lo, exec_lo, s3
	s_cbranch_execnz .LBB26_53
; %bb.54:
	s_or_b32 exec_lo, exec_lo, s3
	v_mov_b32_e32 v7, 0
	ds_load_b128 v[7:10], v7 offset:160
	s_waitcnt lgkmcnt(0)
	v_mul_f64 v[11:12], v[1:2], v[9:10]
	v_mul_f64 v[15:16], v[3:4], v[9:10]
	s_delay_alu instid0(VALU_DEP_2) | instskip(NEXT) | instid1(VALU_DEP_2)
	v_fma_f64 v[9:10], v[3:4], v[7:8], -v[11:12]
	v_fma_f64 v[11:12], v[1:2], v[7:8], v[15:16]
	scratch_store_b128 off, v[9:12], off offset:160
.LBB26_55:
	s_or_b32 exec_lo, exec_lo, s2
	s_waitcnt_vscnt null, 0x0
	s_barrier
	buffer_gl0_inv
	scratch_load_b128 v[1:4], v100, off
	s_mov_b32 s2, exec_lo
	s_waitcnt vmcnt(0)
	ds_store_b128 v5, v[1:4]
	s_waitcnt lgkmcnt(0)
	s_barrier
	buffer_gl0_inv
	v_cmpx_gt_u32_e32 11, v92
	s_cbranch_execz .LBB26_59
; %bb.56:
	v_dual_mov_b32 v1, 0 :: v_dual_add_nc_u32 v8, 0x1b0, v13
	v_dual_mov_b32 v2, 0 :: v_dual_add_nc_u32 v7, -1, v92
	v_or_b32_e32 v9, 8, v14
	s_mov_b32 s3, 0
	s_delay_alu instid0(VALU_DEP_2)
	v_dual_mov_b32 v4, v2 :: v_dual_mov_b32 v3, v1
	.p2align	6
.LBB26_57:                              ; =>This Inner Loop Header: Depth=1
	scratch_load_b128 v[15:18], v9, off offset:-8
	ds_load_b128 v[19:22], v8
	v_add_nc_u32_e32 v7, 1, v7
	v_add_nc_u32_e32 v8, 16, v8
	v_add_nc_u32_e32 v9, 16, v9
	s_delay_alu instid0(VALU_DEP_3) | instskip(SKIP_4) | instid1(VALU_DEP_2)
	v_cmp_lt_u32_e32 vcc_lo, 9, v7
	s_or_b32 s3, vcc_lo, s3
	s_waitcnt vmcnt(0) lgkmcnt(0)
	v_mul_f64 v[10:11], v[21:22], v[17:18]
	v_mul_f64 v[17:18], v[19:20], v[17:18]
	v_fma_f64 v[10:11], v[19:20], v[15:16], -v[10:11]
	s_delay_alu instid0(VALU_DEP_2) | instskip(NEXT) | instid1(VALU_DEP_2)
	v_fma_f64 v[15:16], v[21:22], v[15:16], v[17:18]
	v_add_f64 v[3:4], v[3:4], v[10:11]
	s_delay_alu instid0(VALU_DEP_2)
	v_add_f64 v[1:2], v[1:2], v[15:16]
	s_and_not1_b32 exec_lo, exec_lo, s3
	s_cbranch_execnz .LBB26_57
; %bb.58:
	s_or_b32 exec_lo, exec_lo, s3
	v_mov_b32_e32 v7, 0
	ds_load_b128 v[7:10], v7 offset:176
	s_waitcnt lgkmcnt(0)
	v_mul_f64 v[11:12], v[1:2], v[9:10]
	v_mul_f64 v[15:16], v[3:4], v[9:10]
	s_delay_alu instid0(VALU_DEP_2) | instskip(NEXT) | instid1(VALU_DEP_2)
	v_fma_f64 v[9:10], v[3:4], v[7:8], -v[11:12]
	v_fma_f64 v[11:12], v[1:2], v[7:8], v[15:16]
	scratch_store_b128 off, v[9:12], off offset:176
.LBB26_59:
	s_or_b32 exec_lo, exec_lo, s2
	s_waitcnt_vscnt null, 0x0
	s_barrier
	buffer_gl0_inv
	scratch_load_b128 v[1:4], v98, off
	s_mov_b32 s2, exec_lo
	s_waitcnt vmcnt(0)
	ds_store_b128 v5, v[1:4]
	s_waitcnt lgkmcnt(0)
	s_barrier
	buffer_gl0_inv
	v_cmpx_gt_u32_e32 12, v92
	s_cbranch_execz .LBB26_63
; %bb.60:
	v_dual_mov_b32 v1, 0 :: v_dual_add_nc_u32 v8, 0x1b0, v13
	v_dual_mov_b32 v2, 0 :: v_dual_add_nc_u32 v7, -1, v92
	v_or_b32_e32 v9, 8, v14
	s_mov_b32 s3, 0
	s_delay_alu instid0(VALU_DEP_2)
	v_dual_mov_b32 v4, v2 :: v_dual_mov_b32 v3, v1
	.p2align	6
.LBB26_61:                              ; =>This Inner Loop Header: Depth=1
	scratch_load_b128 v[15:18], v9, off offset:-8
	ds_load_b128 v[19:22], v8
	v_add_nc_u32_e32 v7, 1, v7
	v_add_nc_u32_e32 v8, 16, v8
	;; [unrolled: 1-line block ×3, first 2 shown]
	s_delay_alu instid0(VALU_DEP_3) | instskip(SKIP_4) | instid1(VALU_DEP_2)
	v_cmp_lt_u32_e32 vcc_lo, 10, v7
	s_or_b32 s3, vcc_lo, s3
	s_waitcnt vmcnt(0) lgkmcnt(0)
	v_mul_f64 v[10:11], v[21:22], v[17:18]
	v_mul_f64 v[17:18], v[19:20], v[17:18]
	v_fma_f64 v[10:11], v[19:20], v[15:16], -v[10:11]
	s_delay_alu instid0(VALU_DEP_2) | instskip(NEXT) | instid1(VALU_DEP_2)
	v_fma_f64 v[15:16], v[21:22], v[15:16], v[17:18]
	v_add_f64 v[3:4], v[3:4], v[10:11]
	s_delay_alu instid0(VALU_DEP_2)
	v_add_f64 v[1:2], v[1:2], v[15:16]
	s_and_not1_b32 exec_lo, exec_lo, s3
	s_cbranch_execnz .LBB26_61
; %bb.62:
	s_or_b32 exec_lo, exec_lo, s3
	v_mov_b32_e32 v7, 0
	ds_load_b128 v[7:10], v7 offset:192
	s_waitcnt lgkmcnt(0)
	v_mul_f64 v[11:12], v[1:2], v[9:10]
	v_mul_f64 v[15:16], v[3:4], v[9:10]
	s_delay_alu instid0(VALU_DEP_2) | instskip(NEXT) | instid1(VALU_DEP_2)
	v_fma_f64 v[9:10], v[3:4], v[7:8], -v[11:12]
	v_fma_f64 v[11:12], v[1:2], v[7:8], v[15:16]
	scratch_store_b128 off, v[9:12], off offset:192
.LBB26_63:
	s_or_b32 exec_lo, exec_lo, s2
	s_waitcnt_vscnt null, 0x0
	s_barrier
	buffer_gl0_inv
	scratch_load_b128 v[1:4], v99, off
	s_mov_b32 s2, exec_lo
	s_waitcnt vmcnt(0)
	ds_store_b128 v5, v[1:4]
	s_waitcnt lgkmcnt(0)
	s_barrier
	buffer_gl0_inv
	v_cmpx_gt_u32_e32 13, v92
	s_cbranch_execz .LBB26_67
; %bb.64:
	v_dual_mov_b32 v1, 0 :: v_dual_add_nc_u32 v8, 0x1b0, v13
	v_dual_mov_b32 v2, 0 :: v_dual_add_nc_u32 v7, -1, v92
	v_or_b32_e32 v9, 8, v14
	s_mov_b32 s3, 0
	s_delay_alu instid0(VALU_DEP_2)
	v_dual_mov_b32 v4, v2 :: v_dual_mov_b32 v3, v1
	.p2align	6
.LBB26_65:                              ; =>This Inner Loop Header: Depth=1
	scratch_load_b128 v[15:18], v9, off offset:-8
	ds_load_b128 v[19:22], v8
	v_add_nc_u32_e32 v7, 1, v7
	v_add_nc_u32_e32 v8, 16, v8
	;; [unrolled: 1-line block ×3, first 2 shown]
	s_delay_alu instid0(VALU_DEP_3) | instskip(SKIP_4) | instid1(VALU_DEP_2)
	v_cmp_lt_u32_e32 vcc_lo, 11, v7
	s_or_b32 s3, vcc_lo, s3
	s_waitcnt vmcnt(0) lgkmcnt(0)
	v_mul_f64 v[10:11], v[21:22], v[17:18]
	v_mul_f64 v[17:18], v[19:20], v[17:18]
	v_fma_f64 v[10:11], v[19:20], v[15:16], -v[10:11]
	s_delay_alu instid0(VALU_DEP_2) | instskip(NEXT) | instid1(VALU_DEP_2)
	v_fma_f64 v[15:16], v[21:22], v[15:16], v[17:18]
	v_add_f64 v[3:4], v[3:4], v[10:11]
	s_delay_alu instid0(VALU_DEP_2)
	v_add_f64 v[1:2], v[1:2], v[15:16]
	s_and_not1_b32 exec_lo, exec_lo, s3
	s_cbranch_execnz .LBB26_65
; %bb.66:
	s_or_b32 exec_lo, exec_lo, s3
	v_mov_b32_e32 v7, 0
	ds_load_b128 v[7:10], v7 offset:208
	s_waitcnt lgkmcnt(0)
	v_mul_f64 v[11:12], v[1:2], v[9:10]
	v_mul_f64 v[15:16], v[3:4], v[9:10]
	s_delay_alu instid0(VALU_DEP_2) | instskip(NEXT) | instid1(VALU_DEP_2)
	v_fma_f64 v[9:10], v[3:4], v[7:8], -v[11:12]
	v_fma_f64 v[11:12], v[1:2], v[7:8], v[15:16]
	scratch_store_b128 off, v[9:12], off offset:208
.LBB26_67:
	s_or_b32 exec_lo, exec_lo, s2
	s_waitcnt_vscnt null, 0x0
	s_barrier
	buffer_gl0_inv
	scratch_load_b128 v[1:4], v97, off
	s_mov_b32 s2, exec_lo
	s_waitcnt vmcnt(0)
	ds_store_b128 v5, v[1:4]
	s_waitcnt lgkmcnt(0)
	s_barrier
	buffer_gl0_inv
	v_cmpx_gt_u32_e32 14, v92
	s_cbranch_execz .LBB26_71
; %bb.68:
	v_dual_mov_b32 v1, 0 :: v_dual_add_nc_u32 v8, 0x1b0, v13
	v_dual_mov_b32 v2, 0 :: v_dual_add_nc_u32 v7, -1, v92
	v_or_b32_e32 v9, 8, v14
	s_mov_b32 s3, 0
	s_delay_alu instid0(VALU_DEP_2)
	v_dual_mov_b32 v4, v2 :: v_dual_mov_b32 v3, v1
	.p2align	6
.LBB26_69:                              ; =>This Inner Loop Header: Depth=1
	scratch_load_b128 v[15:18], v9, off offset:-8
	ds_load_b128 v[19:22], v8
	v_add_nc_u32_e32 v7, 1, v7
	v_add_nc_u32_e32 v8, 16, v8
	;; [unrolled: 1-line block ×3, first 2 shown]
	s_delay_alu instid0(VALU_DEP_3) | instskip(SKIP_4) | instid1(VALU_DEP_2)
	v_cmp_lt_u32_e32 vcc_lo, 12, v7
	s_or_b32 s3, vcc_lo, s3
	s_waitcnt vmcnt(0) lgkmcnt(0)
	v_mul_f64 v[10:11], v[21:22], v[17:18]
	v_mul_f64 v[17:18], v[19:20], v[17:18]
	v_fma_f64 v[10:11], v[19:20], v[15:16], -v[10:11]
	s_delay_alu instid0(VALU_DEP_2) | instskip(NEXT) | instid1(VALU_DEP_2)
	v_fma_f64 v[15:16], v[21:22], v[15:16], v[17:18]
	v_add_f64 v[3:4], v[3:4], v[10:11]
	s_delay_alu instid0(VALU_DEP_2)
	v_add_f64 v[1:2], v[1:2], v[15:16]
	s_and_not1_b32 exec_lo, exec_lo, s3
	s_cbranch_execnz .LBB26_69
; %bb.70:
	s_or_b32 exec_lo, exec_lo, s3
	v_mov_b32_e32 v7, 0
	ds_load_b128 v[7:10], v7 offset:224
	s_waitcnt lgkmcnt(0)
	v_mul_f64 v[11:12], v[1:2], v[9:10]
	v_mul_f64 v[15:16], v[3:4], v[9:10]
	s_delay_alu instid0(VALU_DEP_2) | instskip(NEXT) | instid1(VALU_DEP_2)
	v_fma_f64 v[9:10], v[3:4], v[7:8], -v[11:12]
	v_fma_f64 v[11:12], v[1:2], v[7:8], v[15:16]
	scratch_store_b128 off, v[9:12], off offset:224
.LBB26_71:
	s_or_b32 exec_lo, exec_lo, s2
	s_waitcnt_vscnt null, 0x0
	s_barrier
	buffer_gl0_inv
	scratch_load_b128 v[1:4], v117, off
	s_mov_b32 s2, exec_lo
	s_waitcnt vmcnt(0)
	ds_store_b128 v5, v[1:4]
	s_waitcnt lgkmcnt(0)
	s_barrier
	buffer_gl0_inv
	v_cmpx_gt_u32_e32 15, v92
	s_cbranch_execz .LBB26_75
; %bb.72:
	v_dual_mov_b32 v1, 0 :: v_dual_add_nc_u32 v8, 0x1b0, v13
	v_dual_mov_b32 v2, 0 :: v_dual_add_nc_u32 v7, -1, v92
	v_or_b32_e32 v9, 8, v14
	s_mov_b32 s3, 0
	s_delay_alu instid0(VALU_DEP_2)
	v_dual_mov_b32 v4, v2 :: v_dual_mov_b32 v3, v1
	.p2align	6
.LBB26_73:                              ; =>This Inner Loop Header: Depth=1
	scratch_load_b128 v[15:18], v9, off offset:-8
	ds_load_b128 v[19:22], v8
	v_add_nc_u32_e32 v7, 1, v7
	v_add_nc_u32_e32 v8, 16, v8
	;; [unrolled: 1-line block ×3, first 2 shown]
	s_delay_alu instid0(VALU_DEP_3) | instskip(SKIP_4) | instid1(VALU_DEP_2)
	v_cmp_lt_u32_e32 vcc_lo, 13, v7
	s_or_b32 s3, vcc_lo, s3
	s_waitcnt vmcnt(0) lgkmcnt(0)
	v_mul_f64 v[10:11], v[21:22], v[17:18]
	v_mul_f64 v[17:18], v[19:20], v[17:18]
	v_fma_f64 v[10:11], v[19:20], v[15:16], -v[10:11]
	s_delay_alu instid0(VALU_DEP_2) | instskip(NEXT) | instid1(VALU_DEP_2)
	v_fma_f64 v[15:16], v[21:22], v[15:16], v[17:18]
	v_add_f64 v[3:4], v[3:4], v[10:11]
	s_delay_alu instid0(VALU_DEP_2)
	v_add_f64 v[1:2], v[1:2], v[15:16]
	s_and_not1_b32 exec_lo, exec_lo, s3
	s_cbranch_execnz .LBB26_73
; %bb.74:
	s_or_b32 exec_lo, exec_lo, s3
	v_mov_b32_e32 v7, 0
	ds_load_b128 v[7:10], v7 offset:240
	s_waitcnt lgkmcnt(0)
	v_mul_f64 v[11:12], v[1:2], v[9:10]
	v_mul_f64 v[15:16], v[3:4], v[9:10]
	s_delay_alu instid0(VALU_DEP_2) | instskip(NEXT) | instid1(VALU_DEP_2)
	v_fma_f64 v[9:10], v[3:4], v[7:8], -v[11:12]
	v_fma_f64 v[11:12], v[1:2], v[7:8], v[15:16]
	scratch_store_b128 off, v[9:12], off offset:240
.LBB26_75:
	s_or_b32 exec_lo, exec_lo, s2
	s_waitcnt_vscnt null, 0x0
	s_barrier
	buffer_gl0_inv
	scratch_load_b128 v[1:4], v113, off
	s_mov_b32 s2, exec_lo
	s_waitcnt vmcnt(0)
	ds_store_b128 v5, v[1:4]
	s_waitcnt lgkmcnt(0)
	s_barrier
	buffer_gl0_inv
	v_cmpx_gt_u32_e32 16, v92
	s_cbranch_execz .LBB26_79
; %bb.76:
	v_dual_mov_b32 v1, 0 :: v_dual_add_nc_u32 v8, 0x1b0, v13
	v_dual_mov_b32 v2, 0 :: v_dual_add_nc_u32 v7, -1, v92
	v_or_b32_e32 v9, 8, v14
	s_mov_b32 s3, 0
	s_delay_alu instid0(VALU_DEP_2)
	v_dual_mov_b32 v4, v2 :: v_dual_mov_b32 v3, v1
	.p2align	6
.LBB26_77:                              ; =>This Inner Loop Header: Depth=1
	scratch_load_b128 v[15:18], v9, off offset:-8
	ds_load_b128 v[19:22], v8
	v_add_nc_u32_e32 v7, 1, v7
	v_add_nc_u32_e32 v8, 16, v8
	;; [unrolled: 1-line block ×3, first 2 shown]
	s_delay_alu instid0(VALU_DEP_3) | instskip(SKIP_4) | instid1(VALU_DEP_2)
	v_cmp_lt_u32_e32 vcc_lo, 14, v7
	s_or_b32 s3, vcc_lo, s3
	s_waitcnt vmcnt(0) lgkmcnt(0)
	v_mul_f64 v[10:11], v[21:22], v[17:18]
	v_mul_f64 v[17:18], v[19:20], v[17:18]
	v_fma_f64 v[10:11], v[19:20], v[15:16], -v[10:11]
	s_delay_alu instid0(VALU_DEP_2) | instskip(NEXT) | instid1(VALU_DEP_2)
	v_fma_f64 v[15:16], v[21:22], v[15:16], v[17:18]
	v_add_f64 v[3:4], v[3:4], v[10:11]
	s_delay_alu instid0(VALU_DEP_2)
	v_add_f64 v[1:2], v[1:2], v[15:16]
	s_and_not1_b32 exec_lo, exec_lo, s3
	s_cbranch_execnz .LBB26_77
; %bb.78:
	s_or_b32 exec_lo, exec_lo, s3
	v_mov_b32_e32 v7, 0
	ds_load_b128 v[7:10], v7 offset:256
	s_waitcnt lgkmcnt(0)
	v_mul_f64 v[11:12], v[1:2], v[9:10]
	v_mul_f64 v[15:16], v[3:4], v[9:10]
	s_delay_alu instid0(VALU_DEP_2) | instskip(NEXT) | instid1(VALU_DEP_2)
	v_fma_f64 v[9:10], v[3:4], v[7:8], -v[11:12]
	v_fma_f64 v[11:12], v[1:2], v[7:8], v[15:16]
	scratch_store_b128 off, v[9:12], off offset:256
.LBB26_79:
	s_or_b32 exec_lo, exec_lo, s2
	s_waitcnt_vscnt null, 0x0
	s_barrier
	buffer_gl0_inv
	scratch_load_b128 v[1:4], v112, off
	s_mov_b32 s2, exec_lo
	s_waitcnt vmcnt(0)
	ds_store_b128 v5, v[1:4]
	s_waitcnt lgkmcnt(0)
	s_barrier
	buffer_gl0_inv
	v_cmpx_gt_u32_e32 17, v92
	s_cbranch_execz .LBB26_83
; %bb.80:
	v_dual_mov_b32 v1, 0 :: v_dual_add_nc_u32 v8, 0x1b0, v13
	v_dual_mov_b32 v2, 0 :: v_dual_add_nc_u32 v7, -1, v92
	v_or_b32_e32 v9, 8, v14
	s_mov_b32 s3, 0
	s_delay_alu instid0(VALU_DEP_2)
	v_dual_mov_b32 v4, v2 :: v_dual_mov_b32 v3, v1
	.p2align	6
.LBB26_81:                              ; =>This Inner Loop Header: Depth=1
	scratch_load_b128 v[15:18], v9, off offset:-8
	ds_load_b128 v[19:22], v8
	v_add_nc_u32_e32 v7, 1, v7
	v_add_nc_u32_e32 v8, 16, v8
	;; [unrolled: 1-line block ×3, first 2 shown]
	s_delay_alu instid0(VALU_DEP_3) | instskip(SKIP_4) | instid1(VALU_DEP_2)
	v_cmp_lt_u32_e32 vcc_lo, 15, v7
	s_or_b32 s3, vcc_lo, s3
	s_waitcnt vmcnt(0) lgkmcnt(0)
	v_mul_f64 v[10:11], v[21:22], v[17:18]
	v_mul_f64 v[17:18], v[19:20], v[17:18]
	v_fma_f64 v[10:11], v[19:20], v[15:16], -v[10:11]
	s_delay_alu instid0(VALU_DEP_2) | instskip(NEXT) | instid1(VALU_DEP_2)
	v_fma_f64 v[15:16], v[21:22], v[15:16], v[17:18]
	v_add_f64 v[3:4], v[3:4], v[10:11]
	s_delay_alu instid0(VALU_DEP_2)
	v_add_f64 v[1:2], v[1:2], v[15:16]
	s_and_not1_b32 exec_lo, exec_lo, s3
	s_cbranch_execnz .LBB26_81
; %bb.82:
	s_or_b32 exec_lo, exec_lo, s3
	v_mov_b32_e32 v7, 0
	ds_load_b128 v[7:10], v7 offset:272
	s_waitcnt lgkmcnt(0)
	v_mul_f64 v[11:12], v[1:2], v[9:10]
	v_mul_f64 v[15:16], v[3:4], v[9:10]
	s_delay_alu instid0(VALU_DEP_2) | instskip(NEXT) | instid1(VALU_DEP_2)
	v_fma_f64 v[9:10], v[3:4], v[7:8], -v[11:12]
	v_fma_f64 v[11:12], v[1:2], v[7:8], v[15:16]
	scratch_store_b128 off, v[9:12], off offset:272
.LBB26_83:
	s_or_b32 exec_lo, exec_lo, s2
	s_waitcnt_vscnt null, 0x0
	s_barrier
	buffer_gl0_inv
	scratch_load_b128 v[1:4], v109, off
	s_mov_b32 s2, exec_lo
	s_waitcnt vmcnt(0)
	ds_store_b128 v5, v[1:4]
	s_waitcnt lgkmcnt(0)
	s_barrier
	buffer_gl0_inv
	v_cmpx_gt_u32_e32 18, v92
	s_cbranch_execz .LBB26_87
; %bb.84:
	v_dual_mov_b32 v1, 0 :: v_dual_add_nc_u32 v8, 0x1b0, v13
	v_dual_mov_b32 v2, 0 :: v_dual_add_nc_u32 v7, -1, v92
	v_or_b32_e32 v9, 8, v14
	s_mov_b32 s3, 0
	s_delay_alu instid0(VALU_DEP_2)
	v_dual_mov_b32 v4, v2 :: v_dual_mov_b32 v3, v1
	.p2align	6
.LBB26_85:                              ; =>This Inner Loop Header: Depth=1
	scratch_load_b128 v[15:18], v9, off offset:-8
	ds_load_b128 v[19:22], v8
	v_add_nc_u32_e32 v7, 1, v7
	v_add_nc_u32_e32 v8, 16, v8
	;; [unrolled: 1-line block ×3, first 2 shown]
	s_delay_alu instid0(VALU_DEP_3) | instskip(SKIP_4) | instid1(VALU_DEP_2)
	v_cmp_lt_u32_e32 vcc_lo, 16, v7
	s_or_b32 s3, vcc_lo, s3
	s_waitcnt vmcnt(0) lgkmcnt(0)
	v_mul_f64 v[10:11], v[21:22], v[17:18]
	v_mul_f64 v[17:18], v[19:20], v[17:18]
	v_fma_f64 v[10:11], v[19:20], v[15:16], -v[10:11]
	s_delay_alu instid0(VALU_DEP_2) | instskip(NEXT) | instid1(VALU_DEP_2)
	v_fma_f64 v[15:16], v[21:22], v[15:16], v[17:18]
	v_add_f64 v[3:4], v[3:4], v[10:11]
	s_delay_alu instid0(VALU_DEP_2)
	v_add_f64 v[1:2], v[1:2], v[15:16]
	s_and_not1_b32 exec_lo, exec_lo, s3
	s_cbranch_execnz .LBB26_85
; %bb.86:
	s_or_b32 exec_lo, exec_lo, s3
	v_mov_b32_e32 v7, 0
	ds_load_b128 v[7:10], v7 offset:288
	s_waitcnt lgkmcnt(0)
	v_mul_f64 v[11:12], v[1:2], v[9:10]
	v_mul_f64 v[15:16], v[3:4], v[9:10]
	s_delay_alu instid0(VALU_DEP_2) | instskip(NEXT) | instid1(VALU_DEP_2)
	v_fma_f64 v[9:10], v[3:4], v[7:8], -v[11:12]
	v_fma_f64 v[11:12], v[1:2], v[7:8], v[15:16]
	scratch_store_b128 off, v[9:12], off offset:288
.LBB26_87:
	s_or_b32 exec_lo, exec_lo, s2
	s_waitcnt_vscnt null, 0x0
	s_barrier
	buffer_gl0_inv
	scratch_load_b128 v[1:4], v108, off
	s_mov_b32 s2, exec_lo
	s_waitcnt vmcnt(0)
	ds_store_b128 v5, v[1:4]
	s_waitcnt lgkmcnt(0)
	s_barrier
	buffer_gl0_inv
	v_cmpx_gt_u32_e32 19, v92
	s_cbranch_execz .LBB26_91
; %bb.88:
	v_dual_mov_b32 v1, 0 :: v_dual_add_nc_u32 v8, 0x1b0, v13
	v_dual_mov_b32 v2, 0 :: v_dual_add_nc_u32 v7, -1, v92
	v_or_b32_e32 v9, 8, v14
	s_mov_b32 s3, 0
	s_delay_alu instid0(VALU_DEP_2)
	v_dual_mov_b32 v4, v2 :: v_dual_mov_b32 v3, v1
	.p2align	6
.LBB26_89:                              ; =>This Inner Loop Header: Depth=1
	scratch_load_b128 v[15:18], v9, off offset:-8
	ds_load_b128 v[19:22], v8
	v_add_nc_u32_e32 v7, 1, v7
	v_add_nc_u32_e32 v8, 16, v8
	;; [unrolled: 1-line block ×3, first 2 shown]
	s_delay_alu instid0(VALU_DEP_3) | instskip(SKIP_4) | instid1(VALU_DEP_2)
	v_cmp_lt_u32_e32 vcc_lo, 17, v7
	s_or_b32 s3, vcc_lo, s3
	s_waitcnt vmcnt(0) lgkmcnt(0)
	v_mul_f64 v[10:11], v[21:22], v[17:18]
	v_mul_f64 v[17:18], v[19:20], v[17:18]
	v_fma_f64 v[10:11], v[19:20], v[15:16], -v[10:11]
	s_delay_alu instid0(VALU_DEP_2) | instskip(NEXT) | instid1(VALU_DEP_2)
	v_fma_f64 v[15:16], v[21:22], v[15:16], v[17:18]
	v_add_f64 v[3:4], v[3:4], v[10:11]
	s_delay_alu instid0(VALU_DEP_2)
	v_add_f64 v[1:2], v[1:2], v[15:16]
	s_and_not1_b32 exec_lo, exec_lo, s3
	s_cbranch_execnz .LBB26_89
; %bb.90:
	s_or_b32 exec_lo, exec_lo, s3
	v_mov_b32_e32 v7, 0
	ds_load_b128 v[7:10], v7 offset:304
	s_waitcnt lgkmcnt(0)
	v_mul_f64 v[11:12], v[1:2], v[9:10]
	v_mul_f64 v[15:16], v[3:4], v[9:10]
	s_delay_alu instid0(VALU_DEP_2) | instskip(NEXT) | instid1(VALU_DEP_2)
	v_fma_f64 v[9:10], v[3:4], v[7:8], -v[11:12]
	v_fma_f64 v[11:12], v[1:2], v[7:8], v[15:16]
	scratch_store_b128 off, v[9:12], off offset:304
.LBB26_91:
	s_or_b32 exec_lo, exec_lo, s2
	s_waitcnt_vscnt null, 0x0
	s_barrier
	buffer_gl0_inv
	scratch_load_b128 v[1:4], v107, off
	s_mov_b32 s2, exec_lo
	s_waitcnt vmcnt(0)
	ds_store_b128 v5, v[1:4]
	s_waitcnt lgkmcnt(0)
	s_barrier
	buffer_gl0_inv
	v_cmpx_gt_u32_e32 20, v92
	s_cbranch_execz .LBB26_95
; %bb.92:
	v_dual_mov_b32 v1, 0 :: v_dual_add_nc_u32 v8, 0x1b0, v13
	v_dual_mov_b32 v2, 0 :: v_dual_add_nc_u32 v7, -1, v92
	v_or_b32_e32 v9, 8, v14
	s_mov_b32 s3, 0
	s_delay_alu instid0(VALU_DEP_2)
	v_dual_mov_b32 v4, v2 :: v_dual_mov_b32 v3, v1
	.p2align	6
.LBB26_93:                              ; =>This Inner Loop Header: Depth=1
	scratch_load_b128 v[15:18], v9, off offset:-8
	ds_load_b128 v[19:22], v8
	v_add_nc_u32_e32 v7, 1, v7
	v_add_nc_u32_e32 v8, 16, v8
	;; [unrolled: 1-line block ×3, first 2 shown]
	s_delay_alu instid0(VALU_DEP_3) | instskip(SKIP_4) | instid1(VALU_DEP_2)
	v_cmp_lt_u32_e32 vcc_lo, 18, v7
	s_or_b32 s3, vcc_lo, s3
	s_waitcnt vmcnt(0) lgkmcnt(0)
	v_mul_f64 v[10:11], v[21:22], v[17:18]
	v_mul_f64 v[17:18], v[19:20], v[17:18]
	v_fma_f64 v[10:11], v[19:20], v[15:16], -v[10:11]
	s_delay_alu instid0(VALU_DEP_2) | instskip(NEXT) | instid1(VALU_DEP_2)
	v_fma_f64 v[15:16], v[21:22], v[15:16], v[17:18]
	v_add_f64 v[3:4], v[3:4], v[10:11]
	s_delay_alu instid0(VALU_DEP_2)
	v_add_f64 v[1:2], v[1:2], v[15:16]
	s_and_not1_b32 exec_lo, exec_lo, s3
	s_cbranch_execnz .LBB26_93
; %bb.94:
	s_or_b32 exec_lo, exec_lo, s3
	v_mov_b32_e32 v7, 0
	ds_load_b128 v[7:10], v7 offset:320
	s_waitcnt lgkmcnt(0)
	v_mul_f64 v[11:12], v[1:2], v[9:10]
	v_mul_f64 v[15:16], v[3:4], v[9:10]
	s_delay_alu instid0(VALU_DEP_2) | instskip(NEXT) | instid1(VALU_DEP_2)
	v_fma_f64 v[9:10], v[3:4], v[7:8], -v[11:12]
	v_fma_f64 v[11:12], v[1:2], v[7:8], v[15:16]
	scratch_store_b128 off, v[9:12], off offset:320
.LBB26_95:
	s_or_b32 exec_lo, exec_lo, s2
	s_waitcnt_vscnt null, 0x0
	s_barrier
	buffer_gl0_inv
	scratch_load_b128 v[1:4], v116, off
	s_mov_b32 s2, exec_lo
	s_waitcnt vmcnt(0)
	ds_store_b128 v5, v[1:4]
	s_waitcnt lgkmcnt(0)
	s_barrier
	buffer_gl0_inv
	v_cmpx_gt_u32_e32 21, v92
	s_cbranch_execz .LBB26_99
; %bb.96:
	v_dual_mov_b32 v1, 0 :: v_dual_add_nc_u32 v8, 0x1b0, v13
	v_dual_mov_b32 v2, 0 :: v_dual_add_nc_u32 v7, -1, v92
	v_or_b32_e32 v9, 8, v14
	s_mov_b32 s3, 0
	s_delay_alu instid0(VALU_DEP_2)
	v_dual_mov_b32 v4, v2 :: v_dual_mov_b32 v3, v1
	.p2align	6
.LBB26_97:                              ; =>This Inner Loop Header: Depth=1
	scratch_load_b128 v[15:18], v9, off offset:-8
	ds_load_b128 v[19:22], v8
	v_add_nc_u32_e32 v7, 1, v7
	v_add_nc_u32_e32 v8, 16, v8
	;; [unrolled: 1-line block ×3, first 2 shown]
	s_delay_alu instid0(VALU_DEP_3) | instskip(SKIP_4) | instid1(VALU_DEP_2)
	v_cmp_lt_u32_e32 vcc_lo, 19, v7
	s_or_b32 s3, vcc_lo, s3
	s_waitcnt vmcnt(0) lgkmcnt(0)
	v_mul_f64 v[10:11], v[21:22], v[17:18]
	v_mul_f64 v[17:18], v[19:20], v[17:18]
	v_fma_f64 v[10:11], v[19:20], v[15:16], -v[10:11]
	s_delay_alu instid0(VALU_DEP_2) | instskip(NEXT) | instid1(VALU_DEP_2)
	v_fma_f64 v[15:16], v[21:22], v[15:16], v[17:18]
	v_add_f64 v[3:4], v[3:4], v[10:11]
	s_delay_alu instid0(VALU_DEP_2)
	v_add_f64 v[1:2], v[1:2], v[15:16]
	s_and_not1_b32 exec_lo, exec_lo, s3
	s_cbranch_execnz .LBB26_97
; %bb.98:
	s_or_b32 exec_lo, exec_lo, s3
	v_mov_b32_e32 v7, 0
	ds_load_b128 v[7:10], v7 offset:336
	s_waitcnt lgkmcnt(0)
	v_mul_f64 v[11:12], v[1:2], v[9:10]
	v_mul_f64 v[15:16], v[3:4], v[9:10]
	s_delay_alu instid0(VALU_DEP_2) | instskip(NEXT) | instid1(VALU_DEP_2)
	v_fma_f64 v[9:10], v[3:4], v[7:8], -v[11:12]
	v_fma_f64 v[11:12], v[1:2], v[7:8], v[15:16]
	scratch_store_b128 off, v[9:12], off offset:336
.LBB26_99:
	s_or_b32 exec_lo, exec_lo, s2
	s_waitcnt_vscnt null, 0x0
	s_barrier
	buffer_gl0_inv
	scratch_load_b128 v[1:4], v111, off
	s_mov_b32 s2, exec_lo
	s_waitcnt vmcnt(0)
	ds_store_b128 v5, v[1:4]
	s_waitcnt lgkmcnt(0)
	s_barrier
	buffer_gl0_inv
	v_cmpx_gt_u32_e32 22, v92
	s_cbranch_execz .LBB26_103
; %bb.100:
	v_dual_mov_b32 v1, 0 :: v_dual_add_nc_u32 v8, 0x1b0, v13
	v_dual_mov_b32 v2, 0 :: v_dual_add_nc_u32 v7, -1, v92
	v_or_b32_e32 v9, 8, v14
	s_mov_b32 s3, 0
	s_delay_alu instid0(VALU_DEP_2)
	v_dual_mov_b32 v4, v2 :: v_dual_mov_b32 v3, v1
	.p2align	6
.LBB26_101:                             ; =>This Inner Loop Header: Depth=1
	scratch_load_b128 v[15:18], v9, off offset:-8
	ds_load_b128 v[19:22], v8
	v_add_nc_u32_e32 v7, 1, v7
	v_add_nc_u32_e32 v8, 16, v8
	;; [unrolled: 1-line block ×3, first 2 shown]
	s_delay_alu instid0(VALU_DEP_3) | instskip(SKIP_4) | instid1(VALU_DEP_2)
	v_cmp_lt_u32_e32 vcc_lo, 20, v7
	s_or_b32 s3, vcc_lo, s3
	s_waitcnt vmcnt(0) lgkmcnt(0)
	v_mul_f64 v[10:11], v[21:22], v[17:18]
	v_mul_f64 v[17:18], v[19:20], v[17:18]
	v_fma_f64 v[10:11], v[19:20], v[15:16], -v[10:11]
	s_delay_alu instid0(VALU_DEP_2) | instskip(NEXT) | instid1(VALU_DEP_2)
	v_fma_f64 v[15:16], v[21:22], v[15:16], v[17:18]
	v_add_f64 v[3:4], v[3:4], v[10:11]
	s_delay_alu instid0(VALU_DEP_2)
	v_add_f64 v[1:2], v[1:2], v[15:16]
	s_and_not1_b32 exec_lo, exec_lo, s3
	s_cbranch_execnz .LBB26_101
; %bb.102:
	s_or_b32 exec_lo, exec_lo, s3
	v_mov_b32_e32 v7, 0
	ds_load_b128 v[7:10], v7 offset:352
	s_waitcnt lgkmcnt(0)
	v_mul_f64 v[11:12], v[1:2], v[9:10]
	v_mul_f64 v[15:16], v[3:4], v[9:10]
	s_delay_alu instid0(VALU_DEP_2) | instskip(NEXT) | instid1(VALU_DEP_2)
	v_fma_f64 v[9:10], v[3:4], v[7:8], -v[11:12]
	v_fma_f64 v[11:12], v[1:2], v[7:8], v[15:16]
	scratch_store_b128 off, v[9:12], off offset:352
.LBB26_103:
	s_or_b32 exec_lo, exec_lo, s2
	s_waitcnt_vscnt null, 0x0
	s_barrier
	buffer_gl0_inv
	scratch_load_b128 v[1:4], v115, off
	s_mov_b32 s2, exec_lo
	s_waitcnt vmcnt(0)
	ds_store_b128 v5, v[1:4]
	s_waitcnt lgkmcnt(0)
	s_barrier
	buffer_gl0_inv
	v_cmpx_gt_u32_e32 23, v92
	s_cbranch_execz .LBB26_107
; %bb.104:
	v_dual_mov_b32 v1, 0 :: v_dual_add_nc_u32 v8, 0x1b0, v13
	v_dual_mov_b32 v2, 0 :: v_dual_add_nc_u32 v7, -1, v92
	v_or_b32_e32 v9, 8, v14
	s_mov_b32 s3, 0
	s_delay_alu instid0(VALU_DEP_2)
	v_dual_mov_b32 v4, v2 :: v_dual_mov_b32 v3, v1
	.p2align	6
.LBB26_105:                             ; =>This Inner Loop Header: Depth=1
	scratch_load_b128 v[15:18], v9, off offset:-8
	ds_load_b128 v[19:22], v8
	v_add_nc_u32_e32 v7, 1, v7
	v_add_nc_u32_e32 v8, 16, v8
	;; [unrolled: 1-line block ×3, first 2 shown]
	s_delay_alu instid0(VALU_DEP_3) | instskip(SKIP_4) | instid1(VALU_DEP_2)
	v_cmp_lt_u32_e32 vcc_lo, 21, v7
	s_or_b32 s3, vcc_lo, s3
	s_waitcnt vmcnt(0) lgkmcnt(0)
	v_mul_f64 v[10:11], v[21:22], v[17:18]
	v_mul_f64 v[17:18], v[19:20], v[17:18]
	v_fma_f64 v[10:11], v[19:20], v[15:16], -v[10:11]
	s_delay_alu instid0(VALU_DEP_2) | instskip(NEXT) | instid1(VALU_DEP_2)
	v_fma_f64 v[15:16], v[21:22], v[15:16], v[17:18]
	v_add_f64 v[3:4], v[3:4], v[10:11]
	s_delay_alu instid0(VALU_DEP_2)
	v_add_f64 v[1:2], v[1:2], v[15:16]
	s_and_not1_b32 exec_lo, exec_lo, s3
	s_cbranch_execnz .LBB26_105
; %bb.106:
	s_or_b32 exec_lo, exec_lo, s3
	v_mov_b32_e32 v7, 0
	ds_load_b128 v[7:10], v7 offset:368
	s_waitcnt lgkmcnt(0)
	v_mul_f64 v[11:12], v[1:2], v[9:10]
	v_mul_f64 v[15:16], v[3:4], v[9:10]
	s_delay_alu instid0(VALU_DEP_2) | instskip(NEXT) | instid1(VALU_DEP_2)
	v_fma_f64 v[9:10], v[3:4], v[7:8], -v[11:12]
	v_fma_f64 v[11:12], v[1:2], v[7:8], v[15:16]
	scratch_store_b128 off, v[9:12], off offset:368
.LBB26_107:
	s_or_b32 exec_lo, exec_lo, s2
	s_waitcnt_vscnt null, 0x0
	s_barrier
	buffer_gl0_inv
	scratch_load_b128 v[1:4], v110, off
	s_mov_b32 s2, exec_lo
	s_waitcnt vmcnt(0)
	ds_store_b128 v5, v[1:4]
	s_waitcnt lgkmcnt(0)
	s_barrier
	buffer_gl0_inv
	v_cmpx_gt_u32_e32 24, v92
	s_cbranch_execz .LBB26_111
; %bb.108:
	v_dual_mov_b32 v1, 0 :: v_dual_add_nc_u32 v8, 0x1b0, v13
	v_dual_mov_b32 v2, 0 :: v_dual_add_nc_u32 v7, -1, v92
	v_or_b32_e32 v9, 8, v14
	s_mov_b32 s3, 0
	s_delay_alu instid0(VALU_DEP_2)
	v_dual_mov_b32 v4, v2 :: v_dual_mov_b32 v3, v1
	.p2align	6
.LBB26_109:                             ; =>This Inner Loop Header: Depth=1
	scratch_load_b128 v[15:18], v9, off offset:-8
	ds_load_b128 v[19:22], v8
	v_add_nc_u32_e32 v7, 1, v7
	v_add_nc_u32_e32 v8, 16, v8
	;; [unrolled: 1-line block ×3, first 2 shown]
	s_delay_alu instid0(VALU_DEP_3) | instskip(SKIP_4) | instid1(VALU_DEP_2)
	v_cmp_lt_u32_e32 vcc_lo, 22, v7
	s_or_b32 s3, vcc_lo, s3
	s_waitcnt vmcnt(0) lgkmcnt(0)
	v_mul_f64 v[10:11], v[21:22], v[17:18]
	v_mul_f64 v[17:18], v[19:20], v[17:18]
	v_fma_f64 v[10:11], v[19:20], v[15:16], -v[10:11]
	s_delay_alu instid0(VALU_DEP_2) | instskip(NEXT) | instid1(VALU_DEP_2)
	v_fma_f64 v[15:16], v[21:22], v[15:16], v[17:18]
	v_add_f64 v[3:4], v[3:4], v[10:11]
	s_delay_alu instid0(VALU_DEP_2)
	v_add_f64 v[1:2], v[1:2], v[15:16]
	s_and_not1_b32 exec_lo, exec_lo, s3
	s_cbranch_execnz .LBB26_109
; %bb.110:
	s_or_b32 exec_lo, exec_lo, s3
	v_mov_b32_e32 v7, 0
	ds_load_b128 v[7:10], v7 offset:384
	s_waitcnt lgkmcnt(0)
	v_mul_f64 v[11:12], v[1:2], v[9:10]
	v_mul_f64 v[15:16], v[3:4], v[9:10]
	s_delay_alu instid0(VALU_DEP_2) | instskip(NEXT) | instid1(VALU_DEP_2)
	v_fma_f64 v[9:10], v[3:4], v[7:8], -v[11:12]
	v_fma_f64 v[11:12], v[1:2], v[7:8], v[15:16]
	scratch_store_b128 off, v[9:12], off offset:384
.LBB26_111:
	s_or_b32 exec_lo, exec_lo, s2
	s_waitcnt_vscnt null, 0x0
	s_barrier
	buffer_gl0_inv
	scratch_load_b128 v[1:4], v118, off
	s_mov_b32 s2, exec_lo
	s_waitcnt vmcnt(0)
	ds_store_b128 v5, v[1:4]
	s_waitcnt lgkmcnt(0)
	s_barrier
	buffer_gl0_inv
	v_cmpx_gt_u32_e32 25, v92
	s_cbranch_execz .LBB26_115
; %bb.112:
	v_dual_mov_b32 v1, 0 :: v_dual_add_nc_u32 v8, 0x1b0, v13
	v_dual_mov_b32 v2, 0 :: v_dual_add_nc_u32 v7, -1, v92
	v_or_b32_e32 v9, 8, v14
	s_mov_b32 s3, 0
	s_delay_alu instid0(VALU_DEP_2)
	v_dual_mov_b32 v4, v2 :: v_dual_mov_b32 v3, v1
	.p2align	6
.LBB26_113:                             ; =>This Inner Loop Header: Depth=1
	scratch_load_b128 v[10:13], v9, off offset:-8
	ds_load_b128 v[15:18], v8
	v_add_nc_u32_e32 v7, 1, v7
	v_add_nc_u32_e32 v8, 16, v8
	;; [unrolled: 1-line block ×3, first 2 shown]
	s_delay_alu instid0(VALU_DEP_3) | instskip(SKIP_4) | instid1(VALU_DEP_2)
	v_cmp_lt_u32_e32 vcc_lo, 23, v7
	s_or_b32 s3, vcc_lo, s3
	s_waitcnt vmcnt(0) lgkmcnt(0)
	v_mul_f64 v[19:20], v[17:18], v[12:13]
	v_mul_f64 v[12:13], v[15:16], v[12:13]
	v_fma_f64 v[15:16], v[15:16], v[10:11], -v[19:20]
	s_delay_alu instid0(VALU_DEP_2) | instskip(NEXT) | instid1(VALU_DEP_2)
	v_fma_f64 v[10:11], v[17:18], v[10:11], v[12:13]
	v_add_f64 v[3:4], v[3:4], v[15:16]
	s_delay_alu instid0(VALU_DEP_2)
	v_add_f64 v[1:2], v[1:2], v[10:11]
	s_and_not1_b32 exec_lo, exec_lo, s3
	s_cbranch_execnz .LBB26_113
; %bb.114:
	s_or_b32 exec_lo, exec_lo, s3
	v_mov_b32_e32 v7, 0
	ds_load_b128 v[7:10], v7 offset:400
	s_waitcnt lgkmcnt(0)
	v_mul_f64 v[11:12], v[1:2], v[9:10]
	v_mul_f64 v[15:16], v[3:4], v[9:10]
	s_delay_alu instid0(VALU_DEP_2) | instskip(NEXT) | instid1(VALU_DEP_2)
	v_fma_f64 v[9:10], v[3:4], v[7:8], -v[11:12]
	v_fma_f64 v[11:12], v[1:2], v[7:8], v[15:16]
	scratch_store_b128 off, v[9:12], off offset:400
.LBB26_115:
	s_or_b32 exec_lo, exec_lo, s2
	s_waitcnt_vscnt null, 0x0
	s_barrier
	buffer_gl0_inv
	scratch_load_b128 v[1:4], v114, off
	s_mov_b32 s2, exec_lo
	s_waitcnt vmcnt(0)
	ds_store_b128 v5, v[1:4]
	s_waitcnt lgkmcnt(0)
	s_barrier
	buffer_gl0_inv
	v_cmpx_ne_u32_e32 26, v92
	s_cbranch_execz .LBB26_119
; %bb.116:
	v_mov_b32_e32 v1, 0
	v_mov_b32_e32 v2, 0
	v_or_b32_e32 v7, 8, v14
	s_mov_b32 s3, 0
	s_delay_alu instid0(VALU_DEP_2)
	v_dual_mov_b32 v4, v2 :: v_dual_mov_b32 v3, v1
	.p2align	6
.LBB26_117:                             ; =>This Inner Loop Header: Depth=1
	scratch_load_b128 v[8:11], v7, off offset:-8
	ds_load_b128 v[12:15], v5
	v_add_nc_u32_e32 v6, 1, v6
	v_add_nc_u32_e32 v5, 16, v5
	;; [unrolled: 1-line block ×3, first 2 shown]
	s_delay_alu instid0(VALU_DEP_3) | instskip(SKIP_4) | instid1(VALU_DEP_2)
	v_cmp_lt_u32_e32 vcc_lo, 24, v6
	s_or_b32 s3, vcc_lo, s3
	s_waitcnt vmcnt(0) lgkmcnt(0)
	v_mul_f64 v[16:17], v[14:15], v[10:11]
	v_mul_f64 v[10:11], v[12:13], v[10:11]
	v_fma_f64 v[12:13], v[12:13], v[8:9], -v[16:17]
	s_delay_alu instid0(VALU_DEP_2) | instskip(NEXT) | instid1(VALU_DEP_2)
	v_fma_f64 v[8:9], v[14:15], v[8:9], v[10:11]
	v_add_f64 v[3:4], v[3:4], v[12:13]
	s_delay_alu instid0(VALU_DEP_2)
	v_add_f64 v[1:2], v[1:2], v[8:9]
	s_and_not1_b32 exec_lo, exec_lo, s3
	s_cbranch_execnz .LBB26_117
; %bb.118:
	s_or_b32 exec_lo, exec_lo, s3
	v_mov_b32_e32 v5, 0
	ds_load_b128 v[5:8], v5 offset:416
	s_waitcnt lgkmcnt(0)
	v_mul_f64 v[9:10], v[1:2], v[7:8]
	v_mul_f64 v[7:8], v[3:4], v[7:8]
	s_delay_alu instid0(VALU_DEP_2) | instskip(NEXT) | instid1(VALU_DEP_2)
	v_fma_f64 v[3:4], v[3:4], v[5:6], -v[9:10]
	v_fma_f64 v[5:6], v[1:2], v[5:6], v[7:8]
	scratch_store_b128 off, v[3:6], off offset:416
.LBB26_119:
	s_or_b32 exec_lo, exec_lo, s2
	s_mov_b32 s3, -1
	s_waitcnt_vscnt null, 0x0
	s_barrier
	buffer_gl0_inv
.LBB26_120:
	s_and_b32 vcc_lo, exec_lo, s3
	s_cbranch_vccz .LBB26_122
; %bb.121:
	s_lshl_b64 s[2:3], s[18:19], 2
	v_mov_b32_e32 v1, 0
	s_add_u32 s2, s6, s2
	s_addc_u32 s3, s7, s3
	global_load_b32 v1, v1, s[2:3]
	s_waitcnt vmcnt(0)
	v_cmp_ne_u32_e32 vcc_lo, 0, v1
	s_cbranch_vccz .LBB26_123
.LBB26_122:
	s_endpgm
.LBB26_123:
	v_lshl_add_u32 v34, v92, 4, 0x1b0
	s_mov_b32 s2, exec_lo
	v_cmpx_eq_u32_e32 26, v92
	s_cbranch_execz .LBB26_125
; %bb.124:
	scratch_load_b128 v[1:4], v118, off
	v_mov_b32_e32 v5, 0
	s_delay_alu instid0(VALU_DEP_1)
	v_mov_b32_e32 v6, v5
	v_mov_b32_e32 v7, v5
	;; [unrolled: 1-line block ×3, first 2 shown]
	scratch_store_b128 off, v[5:8], off offset:400
	s_waitcnt vmcnt(0)
	ds_store_b128 v34, v[1:4]
.LBB26_125:
	s_or_b32 exec_lo, exec_lo, s2
	s_waitcnt lgkmcnt(0)
	s_waitcnt_vscnt null, 0x0
	s_barrier
	buffer_gl0_inv
	s_clause 0x1
	scratch_load_b128 v[2:5], off, off offset:416
	scratch_load_b128 v[6:9], off, off offset:400
	v_mov_b32_e32 v1, 0
	s_mov_b32 s2, exec_lo
	ds_load_b128 v[10:13], v1 offset:848
	s_waitcnt vmcnt(1) lgkmcnt(0)
	v_mul_f64 v[14:15], v[12:13], v[4:5]
	v_mul_f64 v[4:5], v[10:11], v[4:5]
	s_delay_alu instid0(VALU_DEP_2) | instskip(NEXT) | instid1(VALU_DEP_2)
	v_fma_f64 v[10:11], v[10:11], v[2:3], -v[14:15]
	v_fma_f64 v[2:3], v[12:13], v[2:3], v[4:5]
	s_delay_alu instid0(VALU_DEP_2) | instskip(NEXT) | instid1(VALU_DEP_2)
	v_add_f64 v[4:5], v[10:11], 0
	v_add_f64 v[10:11], v[2:3], 0
	s_waitcnt vmcnt(0)
	s_delay_alu instid0(VALU_DEP_2) | instskip(NEXT) | instid1(VALU_DEP_2)
	v_add_f64 v[2:3], v[6:7], -v[4:5]
	v_add_f64 v[4:5], v[8:9], -v[10:11]
	scratch_store_b128 off, v[2:5], off offset:400
	v_cmpx_lt_u32_e32 24, v92
	s_cbranch_execz .LBB26_127
; %bb.126:
	scratch_load_b128 v[5:8], v110, off
	v_mov_b32_e32 v2, v1
	v_mov_b32_e32 v3, v1
	;; [unrolled: 1-line block ×3, first 2 shown]
	scratch_store_b128 off, v[1:4], off offset:384
	s_waitcnt vmcnt(0)
	ds_store_b128 v34, v[5:8]
.LBB26_127:
	s_or_b32 exec_lo, exec_lo, s2
	s_waitcnt lgkmcnt(0)
	s_waitcnt_vscnt null, 0x0
	s_barrier
	buffer_gl0_inv
	s_clause 0x2
	scratch_load_b128 v[2:5], off, off offset:400
	scratch_load_b128 v[6:9], off, off offset:416
	;; [unrolled: 1-line block ×3, first 2 shown]
	ds_load_b128 v[14:17], v1 offset:832
	ds_load_b128 v[18:21], v1 offset:848
	s_mov_b32 s2, exec_lo
	s_waitcnt vmcnt(2) lgkmcnt(1)
	v_mul_f64 v[22:23], v[16:17], v[4:5]
	v_mul_f64 v[4:5], v[14:15], v[4:5]
	s_waitcnt vmcnt(1) lgkmcnt(0)
	v_mul_f64 v[24:25], v[18:19], v[8:9]
	v_mul_f64 v[8:9], v[20:21], v[8:9]
	s_delay_alu instid0(VALU_DEP_4) | instskip(NEXT) | instid1(VALU_DEP_4)
	v_fma_f64 v[14:15], v[14:15], v[2:3], -v[22:23]
	v_fma_f64 v[1:2], v[16:17], v[2:3], v[4:5]
	s_delay_alu instid0(VALU_DEP_4) | instskip(NEXT) | instid1(VALU_DEP_4)
	v_fma_f64 v[3:4], v[20:21], v[6:7], v[24:25]
	v_fma_f64 v[5:6], v[18:19], v[6:7], -v[8:9]
	s_delay_alu instid0(VALU_DEP_4) | instskip(NEXT) | instid1(VALU_DEP_4)
	v_add_f64 v[7:8], v[14:15], 0
	v_add_f64 v[1:2], v[1:2], 0
	s_delay_alu instid0(VALU_DEP_2) | instskip(NEXT) | instid1(VALU_DEP_2)
	v_add_f64 v[5:6], v[7:8], v[5:6]
	v_add_f64 v[3:4], v[1:2], v[3:4]
	s_waitcnt vmcnt(0)
	s_delay_alu instid0(VALU_DEP_2) | instskip(NEXT) | instid1(VALU_DEP_2)
	v_add_f64 v[1:2], v[10:11], -v[5:6]
	v_add_f64 v[3:4], v[12:13], -v[3:4]
	scratch_store_b128 off, v[1:4], off offset:384
	v_cmpx_lt_u32_e32 23, v92
	s_cbranch_execz .LBB26_129
; %bb.128:
	scratch_load_b128 v[1:4], v115, off
	v_mov_b32_e32 v5, 0
	s_delay_alu instid0(VALU_DEP_1)
	v_mov_b32_e32 v6, v5
	v_mov_b32_e32 v7, v5
	;; [unrolled: 1-line block ×3, first 2 shown]
	scratch_store_b128 off, v[5:8], off offset:368
	s_waitcnt vmcnt(0)
	ds_store_b128 v34, v[1:4]
.LBB26_129:
	s_or_b32 exec_lo, exec_lo, s2
	s_waitcnt lgkmcnt(0)
	s_waitcnt_vscnt null, 0x0
	s_barrier
	buffer_gl0_inv
	s_clause 0x3
	scratch_load_b128 v[2:5], off, off offset:384
	scratch_load_b128 v[6:9], off, off offset:400
	;; [unrolled: 1-line block ×4, first 2 shown]
	v_mov_b32_e32 v1, 0
	ds_load_b128 v[18:21], v1 offset:816
	ds_load_b128 v[22:25], v1 offset:832
	s_mov_b32 s2, exec_lo
	s_waitcnt vmcnt(3) lgkmcnt(1)
	v_mul_f64 v[26:27], v[20:21], v[4:5]
	v_mul_f64 v[4:5], v[18:19], v[4:5]
	s_waitcnt vmcnt(2) lgkmcnt(0)
	v_mul_f64 v[28:29], v[22:23], v[8:9]
	v_mul_f64 v[8:9], v[24:25], v[8:9]
	s_delay_alu instid0(VALU_DEP_4) | instskip(NEXT) | instid1(VALU_DEP_4)
	v_fma_f64 v[18:19], v[18:19], v[2:3], -v[26:27]
	v_fma_f64 v[20:21], v[20:21], v[2:3], v[4:5]
	ds_load_b128 v[2:5], v1 offset:848
	v_fma_f64 v[24:25], v[24:25], v[6:7], v[28:29]
	v_fma_f64 v[6:7], v[22:23], v[6:7], -v[8:9]
	s_waitcnt vmcnt(1) lgkmcnt(0)
	v_mul_f64 v[26:27], v[2:3], v[12:13]
	v_mul_f64 v[12:13], v[4:5], v[12:13]
	v_add_f64 v[8:9], v[18:19], 0
	v_add_f64 v[18:19], v[20:21], 0
	s_delay_alu instid0(VALU_DEP_4) | instskip(NEXT) | instid1(VALU_DEP_4)
	v_fma_f64 v[4:5], v[4:5], v[10:11], v[26:27]
	v_fma_f64 v[2:3], v[2:3], v[10:11], -v[12:13]
	s_delay_alu instid0(VALU_DEP_4) | instskip(NEXT) | instid1(VALU_DEP_4)
	v_add_f64 v[6:7], v[8:9], v[6:7]
	v_add_f64 v[8:9], v[18:19], v[24:25]
	s_delay_alu instid0(VALU_DEP_2) | instskip(NEXT) | instid1(VALU_DEP_2)
	v_add_f64 v[2:3], v[6:7], v[2:3]
	v_add_f64 v[4:5], v[8:9], v[4:5]
	s_waitcnt vmcnt(0)
	s_delay_alu instid0(VALU_DEP_2) | instskip(NEXT) | instid1(VALU_DEP_2)
	v_add_f64 v[2:3], v[14:15], -v[2:3]
	v_add_f64 v[4:5], v[16:17], -v[4:5]
	scratch_store_b128 off, v[2:5], off offset:368
	v_cmpx_lt_u32_e32 22, v92
	s_cbranch_execz .LBB26_131
; %bb.130:
	scratch_load_b128 v[5:8], v111, off
	v_mov_b32_e32 v2, v1
	v_mov_b32_e32 v3, v1
	;; [unrolled: 1-line block ×3, first 2 shown]
	scratch_store_b128 off, v[1:4], off offset:352
	s_waitcnt vmcnt(0)
	ds_store_b128 v34, v[5:8]
.LBB26_131:
	s_or_b32 exec_lo, exec_lo, s2
	s_waitcnt lgkmcnt(0)
	s_waitcnt_vscnt null, 0x0
	s_barrier
	buffer_gl0_inv
	s_clause 0x4
	scratch_load_b128 v[2:5], off, off offset:368
	scratch_load_b128 v[6:9], off, off offset:384
	;; [unrolled: 1-line block ×5, first 2 shown]
	ds_load_b128 v[22:25], v1 offset:800
	ds_load_b128 v[26:29], v1 offset:816
	s_mov_b32 s2, exec_lo
	s_waitcnt vmcnt(4) lgkmcnt(1)
	v_mul_f64 v[30:31], v[24:25], v[4:5]
	v_mul_f64 v[4:5], v[22:23], v[4:5]
	s_waitcnt vmcnt(3) lgkmcnt(0)
	v_mul_f64 v[32:33], v[26:27], v[8:9]
	v_mul_f64 v[8:9], v[28:29], v[8:9]
	s_delay_alu instid0(VALU_DEP_4) | instskip(NEXT) | instid1(VALU_DEP_4)
	v_fma_f64 v[30:31], v[22:23], v[2:3], -v[30:31]
	v_fma_f64 v[35:36], v[24:25], v[2:3], v[4:5]
	ds_load_b128 v[2:5], v1 offset:832
	ds_load_b128 v[22:25], v1 offset:848
	v_fma_f64 v[28:29], v[28:29], v[6:7], v[32:33]
	v_fma_f64 v[6:7], v[26:27], v[6:7], -v[8:9]
	s_waitcnt vmcnt(2) lgkmcnt(1)
	v_mul_f64 v[119:120], v[2:3], v[12:13]
	v_mul_f64 v[12:13], v[4:5], v[12:13]
	v_add_f64 v[8:9], v[30:31], 0
	v_add_f64 v[26:27], v[35:36], 0
	s_waitcnt vmcnt(1) lgkmcnt(0)
	v_mul_f64 v[30:31], v[22:23], v[16:17]
	v_mul_f64 v[16:17], v[24:25], v[16:17]
	v_fma_f64 v[4:5], v[4:5], v[10:11], v[119:120]
	v_fma_f64 v[1:2], v[2:3], v[10:11], -v[12:13]
	v_add_f64 v[6:7], v[8:9], v[6:7]
	v_add_f64 v[8:9], v[26:27], v[28:29]
	v_fma_f64 v[10:11], v[24:25], v[14:15], v[30:31]
	v_fma_f64 v[12:13], v[22:23], v[14:15], -v[16:17]
	s_delay_alu instid0(VALU_DEP_4) | instskip(NEXT) | instid1(VALU_DEP_4)
	v_add_f64 v[1:2], v[6:7], v[1:2]
	v_add_f64 v[3:4], v[8:9], v[4:5]
	s_delay_alu instid0(VALU_DEP_2) | instskip(NEXT) | instid1(VALU_DEP_2)
	v_add_f64 v[1:2], v[1:2], v[12:13]
	v_add_f64 v[3:4], v[3:4], v[10:11]
	s_waitcnt vmcnt(0)
	s_delay_alu instid0(VALU_DEP_2) | instskip(NEXT) | instid1(VALU_DEP_2)
	v_add_f64 v[1:2], v[18:19], -v[1:2]
	v_add_f64 v[3:4], v[20:21], -v[3:4]
	scratch_store_b128 off, v[1:4], off offset:352
	v_cmpx_lt_u32_e32 21, v92
	s_cbranch_execz .LBB26_133
; %bb.132:
	scratch_load_b128 v[1:4], v116, off
	v_mov_b32_e32 v5, 0
	s_delay_alu instid0(VALU_DEP_1)
	v_mov_b32_e32 v6, v5
	v_mov_b32_e32 v7, v5
	;; [unrolled: 1-line block ×3, first 2 shown]
	scratch_store_b128 off, v[5:8], off offset:336
	s_waitcnt vmcnt(0)
	ds_store_b128 v34, v[1:4]
.LBB26_133:
	s_or_b32 exec_lo, exec_lo, s2
	s_waitcnt lgkmcnt(0)
	s_waitcnt_vscnt null, 0x0
	s_barrier
	buffer_gl0_inv
	s_clause 0x5
	scratch_load_b128 v[2:5], off, off offset:352
	scratch_load_b128 v[6:9], off, off offset:368
	;; [unrolled: 1-line block ×6, first 2 shown]
	v_mov_b32_e32 v1, 0
	ds_load_b128 v[26:29], v1 offset:784
	ds_load_b128 v[30:33], v1 offset:800
	s_mov_b32 s2, exec_lo
	s_waitcnt vmcnt(5) lgkmcnt(1)
	v_mul_f64 v[35:36], v[28:29], v[4:5]
	v_mul_f64 v[4:5], v[26:27], v[4:5]
	s_waitcnt vmcnt(4) lgkmcnt(0)
	v_mul_f64 v[119:120], v[30:31], v[8:9]
	v_mul_f64 v[8:9], v[32:33], v[8:9]
	s_delay_alu instid0(VALU_DEP_4) | instskip(NEXT) | instid1(VALU_DEP_4)
	v_fma_f64 v[35:36], v[26:27], v[2:3], -v[35:36]
	v_fma_f64 v[121:122], v[28:29], v[2:3], v[4:5]
	ds_load_b128 v[2:5], v1 offset:816
	ds_load_b128 v[26:29], v1 offset:832
	v_fma_f64 v[32:33], v[32:33], v[6:7], v[119:120]
	v_fma_f64 v[6:7], v[30:31], v[6:7], -v[8:9]
	s_waitcnt vmcnt(3) lgkmcnt(1)
	v_mul_f64 v[123:124], v[2:3], v[12:13]
	v_mul_f64 v[12:13], v[4:5], v[12:13]
	v_add_f64 v[8:9], v[35:36], 0
	v_add_f64 v[30:31], v[121:122], 0
	s_waitcnt vmcnt(2) lgkmcnt(0)
	v_mul_f64 v[35:36], v[26:27], v[16:17]
	v_mul_f64 v[16:17], v[28:29], v[16:17]
	v_fma_f64 v[119:120], v[4:5], v[10:11], v[123:124]
	v_fma_f64 v[10:11], v[2:3], v[10:11], -v[12:13]
	ds_load_b128 v[2:5], v1 offset:848
	v_add_f64 v[6:7], v[8:9], v[6:7]
	v_add_f64 v[8:9], v[30:31], v[32:33]
	v_fma_f64 v[28:29], v[28:29], v[14:15], v[35:36]
	v_fma_f64 v[14:15], v[26:27], v[14:15], -v[16:17]
	s_waitcnt vmcnt(1) lgkmcnt(0)
	v_mul_f64 v[12:13], v[2:3], v[20:21]
	v_mul_f64 v[20:21], v[4:5], v[20:21]
	v_add_f64 v[6:7], v[6:7], v[10:11]
	v_add_f64 v[8:9], v[8:9], v[119:120]
	s_delay_alu instid0(VALU_DEP_4) | instskip(NEXT) | instid1(VALU_DEP_4)
	v_fma_f64 v[4:5], v[4:5], v[18:19], v[12:13]
	v_fma_f64 v[2:3], v[2:3], v[18:19], -v[20:21]
	s_delay_alu instid0(VALU_DEP_4) | instskip(NEXT) | instid1(VALU_DEP_4)
	v_add_f64 v[6:7], v[6:7], v[14:15]
	v_add_f64 v[8:9], v[8:9], v[28:29]
	s_delay_alu instid0(VALU_DEP_2) | instskip(NEXT) | instid1(VALU_DEP_2)
	v_add_f64 v[2:3], v[6:7], v[2:3]
	v_add_f64 v[4:5], v[8:9], v[4:5]
	s_waitcnt vmcnt(0)
	s_delay_alu instid0(VALU_DEP_2) | instskip(NEXT) | instid1(VALU_DEP_2)
	v_add_f64 v[2:3], v[22:23], -v[2:3]
	v_add_f64 v[4:5], v[24:25], -v[4:5]
	scratch_store_b128 off, v[2:5], off offset:336
	v_cmpx_lt_u32_e32 20, v92
	s_cbranch_execz .LBB26_135
; %bb.134:
	scratch_load_b128 v[5:8], v107, off
	v_mov_b32_e32 v2, v1
	v_mov_b32_e32 v3, v1
	;; [unrolled: 1-line block ×3, first 2 shown]
	scratch_store_b128 off, v[1:4], off offset:320
	s_waitcnt vmcnt(0)
	ds_store_b128 v34, v[5:8]
.LBB26_135:
	s_or_b32 exec_lo, exec_lo, s2
	s_waitcnt lgkmcnt(0)
	s_waitcnt_vscnt null, 0x0
	s_barrier
	buffer_gl0_inv
	s_clause 0x5
	scratch_load_b128 v[2:5], off, off offset:336
	scratch_load_b128 v[6:9], off, off offset:352
	;; [unrolled: 1-line block ×6, first 2 shown]
	ds_load_b128 v[26:29], v1 offset:768
	ds_load_b128 v[119:122], v1 offset:784
	scratch_load_b128 v[30:33], off, off offset:320
	s_mov_b32 s2, exec_lo
	s_waitcnt vmcnt(6) lgkmcnt(1)
	v_mul_f64 v[35:36], v[28:29], v[4:5]
	v_mul_f64 v[4:5], v[26:27], v[4:5]
	s_waitcnt vmcnt(5) lgkmcnt(0)
	v_mul_f64 v[123:124], v[119:120], v[8:9]
	v_mul_f64 v[8:9], v[121:122], v[8:9]
	s_delay_alu instid0(VALU_DEP_4) | instskip(NEXT) | instid1(VALU_DEP_4)
	v_fma_f64 v[35:36], v[26:27], v[2:3], -v[35:36]
	v_fma_f64 v[125:126], v[28:29], v[2:3], v[4:5]
	ds_load_b128 v[2:5], v1 offset:800
	ds_load_b128 v[26:29], v1 offset:816
	v_fma_f64 v[121:122], v[121:122], v[6:7], v[123:124]
	v_fma_f64 v[6:7], v[119:120], v[6:7], -v[8:9]
	s_waitcnt vmcnt(4) lgkmcnt(1)
	v_mul_f64 v[127:128], v[2:3], v[12:13]
	v_mul_f64 v[12:13], v[4:5], v[12:13]
	s_waitcnt vmcnt(3) lgkmcnt(0)
	v_mul_f64 v[119:120], v[26:27], v[16:17]
	v_mul_f64 v[16:17], v[28:29], v[16:17]
	v_add_f64 v[8:9], v[35:36], 0
	v_add_f64 v[35:36], v[125:126], 0
	v_fma_f64 v[123:124], v[4:5], v[10:11], v[127:128]
	v_fma_f64 v[10:11], v[2:3], v[10:11], -v[12:13]
	v_fma_f64 v[28:29], v[28:29], v[14:15], v[119:120]
	v_fma_f64 v[14:15], v[26:27], v[14:15], -v[16:17]
	v_add_f64 v[12:13], v[8:9], v[6:7]
	v_add_f64 v[35:36], v[35:36], v[121:122]
	ds_load_b128 v[2:5], v1 offset:832
	ds_load_b128 v[6:9], v1 offset:848
	s_waitcnt vmcnt(2) lgkmcnt(1)
	v_mul_f64 v[121:122], v[2:3], v[20:21]
	v_mul_f64 v[20:21], v[4:5], v[20:21]
	s_waitcnt vmcnt(1) lgkmcnt(0)
	v_mul_f64 v[16:17], v[6:7], v[24:25]
	v_mul_f64 v[24:25], v[8:9], v[24:25]
	v_add_f64 v[10:11], v[12:13], v[10:11]
	v_add_f64 v[12:13], v[35:36], v[123:124]
	v_fma_f64 v[4:5], v[4:5], v[18:19], v[121:122]
	v_fma_f64 v[1:2], v[2:3], v[18:19], -v[20:21]
	v_fma_f64 v[8:9], v[8:9], v[22:23], v[16:17]
	v_fma_f64 v[6:7], v[6:7], v[22:23], -v[24:25]
	v_add_f64 v[10:11], v[10:11], v[14:15]
	v_add_f64 v[12:13], v[12:13], v[28:29]
	s_delay_alu instid0(VALU_DEP_2) | instskip(NEXT) | instid1(VALU_DEP_2)
	v_add_f64 v[1:2], v[10:11], v[1:2]
	v_add_f64 v[3:4], v[12:13], v[4:5]
	s_delay_alu instid0(VALU_DEP_2) | instskip(NEXT) | instid1(VALU_DEP_2)
	v_add_f64 v[1:2], v[1:2], v[6:7]
	v_add_f64 v[3:4], v[3:4], v[8:9]
	s_waitcnt vmcnt(0)
	s_delay_alu instid0(VALU_DEP_2) | instskip(NEXT) | instid1(VALU_DEP_2)
	v_add_f64 v[1:2], v[30:31], -v[1:2]
	v_add_f64 v[3:4], v[32:33], -v[3:4]
	scratch_store_b128 off, v[1:4], off offset:320
	v_cmpx_lt_u32_e32 19, v92
	s_cbranch_execz .LBB26_137
; %bb.136:
	scratch_load_b128 v[1:4], v108, off
	v_mov_b32_e32 v5, 0
	s_delay_alu instid0(VALU_DEP_1)
	v_mov_b32_e32 v6, v5
	v_mov_b32_e32 v7, v5
	v_mov_b32_e32 v8, v5
	scratch_store_b128 off, v[5:8], off offset:304
	s_waitcnt vmcnt(0)
	ds_store_b128 v34, v[1:4]
.LBB26_137:
	s_or_b32 exec_lo, exec_lo, s2
	s_waitcnt lgkmcnt(0)
	s_waitcnt_vscnt null, 0x0
	s_barrier
	buffer_gl0_inv
	s_clause 0x6
	scratch_load_b128 v[2:5], off, off offset:320
	scratch_load_b128 v[6:9], off, off offset:336
	;; [unrolled: 1-line block ×7, first 2 shown]
	v_mov_b32_e32 v1, 0
	scratch_load_b128 v[119:122], off, off offset:304
	s_mov_b32 s2, exec_lo
	ds_load_b128 v[30:33], v1 offset:752
	ds_load_b128 v[123:126], v1 offset:768
	s_waitcnt vmcnt(7) lgkmcnt(1)
	v_mul_f64 v[35:36], v[32:33], v[4:5]
	v_mul_f64 v[4:5], v[30:31], v[4:5]
	s_waitcnt vmcnt(6) lgkmcnt(0)
	v_mul_f64 v[127:128], v[123:124], v[8:9]
	v_mul_f64 v[8:9], v[125:126], v[8:9]
	s_delay_alu instid0(VALU_DEP_4) | instskip(NEXT) | instid1(VALU_DEP_4)
	v_fma_f64 v[35:36], v[30:31], v[2:3], -v[35:36]
	v_fma_f64 v[129:130], v[32:33], v[2:3], v[4:5]
	ds_load_b128 v[2:5], v1 offset:784
	ds_load_b128 v[30:33], v1 offset:800
	v_fma_f64 v[125:126], v[125:126], v[6:7], v[127:128]
	v_fma_f64 v[6:7], v[123:124], v[6:7], -v[8:9]
	s_waitcnt vmcnt(5) lgkmcnt(1)
	v_mul_f64 v[131:132], v[2:3], v[12:13]
	v_mul_f64 v[12:13], v[4:5], v[12:13]
	s_waitcnt vmcnt(4) lgkmcnt(0)
	v_mul_f64 v[123:124], v[30:31], v[16:17]
	v_mul_f64 v[16:17], v[32:33], v[16:17]
	v_add_f64 v[8:9], v[35:36], 0
	v_add_f64 v[35:36], v[129:130], 0
	v_fma_f64 v[127:128], v[4:5], v[10:11], v[131:132]
	v_fma_f64 v[10:11], v[2:3], v[10:11], -v[12:13]
	v_fma_f64 v[32:33], v[32:33], v[14:15], v[123:124]
	v_fma_f64 v[14:15], v[30:31], v[14:15], -v[16:17]
	v_add_f64 v[12:13], v[8:9], v[6:7]
	v_add_f64 v[35:36], v[35:36], v[125:126]
	ds_load_b128 v[2:5], v1 offset:816
	ds_load_b128 v[6:9], v1 offset:832
	s_waitcnt vmcnt(3) lgkmcnt(1)
	v_mul_f64 v[125:126], v[2:3], v[20:21]
	v_mul_f64 v[20:21], v[4:5], v[20:21]
	s_waitcnt vmcnt(2) lgkmcnt(0)
	v_mul_f64 v[16:17], v[6:7], v[24:25]
	v_mul_f64 v[24:25], v[8:9], v[24:25]
	v_add_f64 v[10:11], v[12:13], v[10:11]
	v_add_f64 v[12:13], v[35:36], v[127:128]
	v_fma_f64 v[30:31], v[4:5], v[18:19], v[125:126]
	v_fma_f64 v[18:19], v[2:3], v[18:19], -v[20:21]
	ds_load_b128 v[2:5], v1 offset:848
	v_fma_f64 v[8:9], v[8:9], v[22:23], v[16:17]
	v_fma_f64 v[6:7], v[6:7], v[22:23], -v[24:25]
	v_add_f64 v[10:11], v[10:11], v[14:15]
	v_add_f64 v[12:13], v[12:13], v[32:33]
	s_waitcnt vmcnt(1) lgkmcnt(0)
	v_mul_f64 v[14:15], v[2:3], v[28:29]
	v_mul_f64 v[20:21], v[4:5], v[28:29]
	s_delay_alu instid0(VALU_DEP_4) | instskip(NEXT) | instid1(VALU_DEP_4)
	v_add_f64 v[10:11], v[10:11], v[18:19]
	v_add_f64 v[12:13], v[12:13], v[30:31]
	s_delay_alu instid0(VALU_DEP_4) | instskip(NEXT) | instid1(VALU_DEP_4)
	v_fma_f64 v[4:5], v[4:5], v[26:27], v[14:15]
	v_fma_f64 v[2:3], v[2:3], v[26:27], -v[20:21]
	s_delay_alu instid0(VALU_DEP_4) | instskip(NEXT) | instid1(VALU_DEP_4)
	v_add_f64 v[6:7], v[10:11], v[6:7]
	v_add_f64 v[8:9], v[12:13], v[8:9]
	s_delay_alu instid0(VALU_DEP_2) | instskip(NEXT) | instid1(VALU_DEP_2)
	v_add_f64 v[2:3], v[6:7], v[2:3]
	v_add_f64 v[4:5], v[8:9], v[4:5]
	s_waitcnt vmcnt(0)
	s_delay_alu instid0(VALU_DEP_2) | instskip(NEXT) | instid1(VALU_DEP_2)
	v_add_f64 v[2:3], v[119:120], -v[2:3]
	v_add_f64 v[4:5], v[121:122], -v[4:5]
	scratch_store_b128 off, v[2:5], off offset:304
	v_cmpx_lt_u32_e32 18, v92
	s_cbranch_execz .LBB26_139
; %bb.138:
	scratch_load_b128 v[5:8], v109, off
	v_mov_b32_e32 v2, v1
	v_mov_b32_e32 v3, v1
	;; [unrolled: 1-line block ×3, first 2 shown]
	scratch_store_b128 off, v[1:4], off offset:288
	s_waitcnt vmcnt(0)
	ds_store_b128 v34, v[5:8]
.LBB26_139:
	s_or_b32 exec_lo, exec_lo, s2
	s_waitcnt lgkmcnt(0)
	s_waitcnt_vscnt null, 0x0
	s_barrier
	buffer_gl0_inv
	s_clause 0x7
	scratch_load_b128 v[2:5], off, off offset:304
	scratch_load_b128 v[6:9], off, off offset:320
	scratch_load_b128 v[10:13], off, off offset:336
	scratch_load_b128 v[14:17], off, off offset:352
	scratch_load_b128 v[18:21], off, off offset:368
	scratch_load_b128 v[22:25], off, off offset:384
	scratch_load_b128 v[26:29], off, off offset:400
	scratch_load_b128 v[30:33], off, off offset:416
	ds_load_b128 v[119:122], v1 offset:736
	ds_load_b128 v[123:126], v1 offset:752
	scratch_load_b128 v[127:130], off, off offset:288
	s_mov_b32 s2, exec_lo
	s_waitcnt vmcnt(8) lgkmcnt(1)
	v_mul_f64 v[35:36], v[121:122], v[4:5]
	v_mul_f64 v[4:5], v[119:120], v[4:5]
	s_waitcnt vmcnt(7) lgkmcnt(0)
	v_mul_f64 v[131:132], v[123:124], v[8:9]
	v_mul_f64 v[8:9], v[125:126], v[8:9]
	s_delay_alu instid0(VALU_DEP_4) | instskip(NEXT) | instid1(VALU_DEP_4)
	v_fma_f64 v[35:36], v[119:120], v[2:3], -v[35:36]
	v_fma_f64 v[133:134], v[121:122], v[2:3], v[4:5]
	ds_load_b128 v[2:5], v1 offset:768
	ds_load_b128 v[119:122], v1 offset:784
	v_fma_f64 v[125:126], v[125:126], v[6:7], v[131:132]
	v_fma_f64 v[6:7], v[123:124], v[6:7], -v[8:9]
	s_waitcnt vmcnt(6) lgkmcnt(1)
	v_mul_f64 v[135:136], v[2:3], v[12:13]
	v_mul_f64 v[12:13], v[4:5], v[12:13]
	s_waitcnt vmcnt(5) lgkmcnt(0)
	v_mul_f64 v[123:124], v[119:120], v[16:17]
	v_mul_f64 v[16:17], v[121:122], v[16:17]
	v_add_f64 v[8:9], v[35:36], 0
	v_add_f64 v[35:36], v[133:134], 0
	v_fma_f64 v[131:132], v[4:5], v[10:11], v[135:136]
	v_fma_f64 v[10:11], v[2:3], v[10:11], -v[12:13]
	v_fma_f64 v[121:122], v[121:122], v[14:15], v[123:124]
	v_fma_f64 v[14:15], v[119:120], v[14:15], -v[16:17]
	v_add_f64 v[12:13], v[8:9], v[6:7]
	v_add_f64 v[35:36], v[35:36], v[125:126]
	ds_load_b128 v[2:5], v1 offset:800
	ds_load_b128 v[6:9], v1 offset:816
	s_waitcnt vmcnt(4) lgkmcnt(1)
	v_mul_f64 v[125:126], v[2:3], v[20:21]
	v_mul_f64 v[20:21], v[4:5], v[20:21]
	s_waitcnt vmcnt(3) lgkmcnt(0)
	v_mul_f64 v[16:17], v[6:7], v[24:25]
	v_mul_f64 v[24:25], v[8:9], v[24:25]
	v_add_f64 v[10:11], v[12:13], v[10:11]
	v_add_f64 v[12:13], v[35:36], v[131:132]
	v_fma_f64 v[35:36], v[4:5], v[18:19], v[125:126]
	v_fma_f64 v[18:19], v[2:3], v[18:19], -v[20:21]
	v_fma_f64 v[8:9], v[8:9], v[22:23], v[16:17]
	v_fma_f64 v[6:7], v[6:7], v[22:23], -v[24:25]
	v_add_f64 v[14:15], v[10:11], v[14:15]
	v_add_f64 v[20:21], v[12:13], v[121:122]
	ds_load_b128 v[2:5], v1 offset:832
	ds_load_b128 v[10:13], v1 offset:848
	s_waitcnt vmcnt(2) lgkmcnt(1)
	v_mul_f64 v[119:120], v[2:3], v[28:29]
	v_mul_f64 v[28:29], v[4:5], v[28:29]
	v_add_f64 v[14:15], v[14:15], v[18:19]
	v_add_f64 v[16:17], v[20:21], v[35:36]
	s_waitcnt vmcnt(1) lgkmcnt(0)
	v_mul_f64 v[18:19], v[10:11], v[32:33]
	v_mul_f64 v[20:21], v[12:13], v[32:33]
	v_fma_f64 v[4:5], v[4:5], v[26:27], v[119:120]
	v_fma_f64 v[1:2], v[2:3], v[26:27], -v[28:29]
	v_add_f64 v[6:7], v[14:15], v[6:7]
	v_add_f64 v[8:9], v[16:17], v[8:9]
	v_fma_f64 v[12:13], v[12:13], v[30:31], v[18:19]
	v_fma_f64 v[10:11], v[10:11], v[30:31], -v[20:21]
	s_delay_alu instid0(VALU_DEP_4) | instskip(NEXT) | instid1(VALU_DEP_4)
	v_add_f64 v[1:2], v[6:7], v[1:2]
	v_add_f64 v[3:4], v[8:9], v[4:5]
	s_delay_alu instid0(VALU_DEP_2) | instskip(NEXT) | instid1(VALU_DEP_2)
	v_add_f64 v[1:2], v[1:2], v[10:11]
	v_add_f64 v[3:4], v[3:4], v[12:13]
	s_waitcnt vmcnt(0)
	s_delay_alu instid0(VALU_DEP_2) | instskip(NEXT) | instid1(VALU_DEP_2)
	v_add_f64 v[1:2], v[127:128], -v[1:2]
	v_add_f64 v[3:4], v[129:130], -v[3:4]
	scratch_store_b128 off, v[1:4], off offset:288
	v_cmpx_lt_u32_e32 17, v92
	s_cbranch_execz .LBB26_141
; %bb.140:
	scratch_load_b128 v[1:4], v112, off
	v_mov_b32_e32 v5, 0
	s_delay_alu instid0(VALU_DEP_1)
	v_mov_b32_e32 v6, v5
	v_mov_b32_e32 v7, v5
	;; [unrolled: 1-line block ×3, first 2 shown]
	scratch_store_b128 off, v[5:8], off offset:272
	s_waitcnt vmcnt(0)
	ds_store_b128 v34, v[1:4]
.LBB26_141:
	s_or_b32 exec_lo, exec_lo, s2
	s_waitcnt lgkmcnt(0)
	s_waitcnt_vscnt null, 0x0
	s_barrier
	buffer_gl0_inv
	s_clause 0x7
	scratch_load_b128 v[2:5], off, off offset:288
	scratch_load_b128 v[6:9], off, off offset:304
	;; [unrolled: 1-line block ×8, first 2 shown]
	v_mov_b32_e32 v1, 0
	s_mov_b32 s2, exec_lo
	ds_load_b128 v[119:122], v1 offset:720
	s_clause 0x1
	scratch_load_b128 v[123:126], off, off offset:416
	scratch_load_b128 v[127:130], off, off offset:272
	ds_load_b128 v[131:134], v1 offset:736
	s_waitcnt vmcnt(9) lgkmcnt(1)
	v_mul_f64 v[35:36], v[121:122], v[4:5]
	v_mul_f64 v[4:5], v[119:120], v[4:5]
	s_waitcnt vmcnt(8) lgkmcnt(0)
	v_mul_f64 v[135:136], v[131:132], v[8:9]
	v_mul_f64 v[8:9], v[133:134], v[8:9]
	s_delay_alu instid0(VALU_DEP_4) | instskip(NEXT) | instid1(VALU_DEP_4)
	v_fma_f64 v[35:36], v[119:120], v[2:3], -v[35:36]
	v_fma_f64 v[137:138], v[121:122], v[2:3], v[4:5]
	ds_load_b128 v[2:5], v1 offset:752
	ds_load_b128 v[119:122], v1 offset:768
	v_fma_f64 v[133:134], v[133:134], v[6:7], v[135:136]
	v_fma_f64 v[6:7], v[131:132], v[6:7], -v[8:9]
	s_waitcnt vmcnt(7) lgkmcnt(1)
	v_mul_f64 v[139:140], v[2:3], v[12:13]
	v_mul_f64 v[12:13], v[4:5], v[12:13]
	s_waitcnt vmcnt(6) lgkmcnt(0)
	v_mul_f64 v[131:132], v[119:120], v[16:17]
	v_mul_f64 v[16:17], v[121:122], v[16:17]
	v_add_f64 v[8:9], v[35:36], 0
	v_add_f64 v[35:36], v[137:138], 0
	v_fma_f64 v[135:136], v[4:5], v[10:11], v[139:140]
	v_fma_f64 v[10:11], v[2:3], v[10:11], -v[12:13]
	v_fma_f64 v[121:122], v[121:122], v[14:15], v[131:132]
	v_fma_f64 v[14:15], v[119:120], v[14:15], -v[16:17]
	v_add_f64 v[12:13], v[8:9], v[6:7]
	v_add_f64 v[35:36], v[35:36], v[133:134]
	ds_load_b128 v[2:5], v1 offset:784
	ds_load_b128 v[6:9], v1 offset:800
	s_waitcnt vmcnt(5) lgkmcnt(1)
	v_mul_f64 v[133:134], v[2:3], v[20:21]
	v_mul_f64 v[20:21], v[4:5], v[20:21]
	s_waitcnt vmcnt(4) lgkmcnt(0)
	v_mul_f64 v[16:17], v[6:7], v[24:25]
	v_mul_f64 v[24:25], v[8:9], v[24:25]
	v_add_f64 v[10:11], v[12:13], v[10:11]
	v_add_f64 v[12:13], v[35:36], v[135:136]
	v_fma_f64 v[35:36], v[4:5], v[18:19], v[133:134]
	v_fma_f64 v[18:19], v[2:3], v[18:19], -v[20:21]
	v_fma_f64 v[8:9], v[8:9], v[22:23], v[16:17]
	v_fma_f64 v[6:7], v[6:7], v[22:23], -v[24:25]
	v_add_f64 v[14:15], v[10:11], v[14:15]
	v_add_f64 v[20:21], v[12:13], v[121:122]
	ds_load_b128 v[2:5], v1 offset:816
	ds_load_b128 v[10:13], v1 offset:832
	s_waitcnt vmcnt(3) lgkmcnt(1)
	v_mul_f64 v[119:120], v[2:3], v[28:29]
	v_mul_f64 v[28:29], v[4:5], v[28:29]
	v_add_f64 v[14:15], v[14:15], v[18:19]
	v_add_f64 v[16:17], v[20:21], v[35:36]
	s_waitcnt vmcnt(2) lgkmcnt(0)
	v_mul_f64 v[18:19], v[10:11], v[32:33]
	v_mul_f64 v[20:21], v[12:13], v[32:33]
	v_fma_f64 v[22:23], v[4:5], v[26:27], v[119:120]
	v_fma_f64 v[24:25], v[2:3], v[26:27], -v[28:29]
	ds_load_b128 v[2:5], v1 offset:848
	v_add_f64 v[6:7], v[14:15], v[6:7]
	v_add_f64 v[8:9], v[16:17], v[8:9]
	v_fma_f64 v[12:13], v[12:13], v[30:31], v[18:19]
	v_fma_f64 v[10:11], v[10:11], v[30:31], -v[20:21]
	s_waitcnt vmcnt(1) lgkmcnt(0)
	v_mul_f64 v[14:15], v[2:3], v[125:126]
	v_mul_f64 v[16:17], v[4:5], v[125:126]
	v_add_f64 v[6:7], v[6:7], v[24:25]
	v_add_f64 v[8:9], v[8:9], v[22:23]
	s_delay_alu instid0(VALU_DEP_4) | instskip(NEXT) | instid1(VALU_DEP_4)
	v_fma_f64 v[4:5], v[4:5], v[123:124], v[14:15]
	v_fma_f64 v[2:3], v[2:3], v[123:124], -v[16:17]
	s_delay_alu instid0(VALU_DEP_4) | instskip(NEXT) | instid1(VALU_DEP_4)
	v_add_f64 v[6:7], v[6:7], v[10:11]
	v_add_f64 v[8:9], v[8:9], v[12:13]
	s_delay_alu instid0(VALU_DEP_2) | instskip(NEXT) | instid1(VALU_DEP_2)
	v_add_f64 v[2:3], v[6:7], v[2:3]
	v_add_f64 v[4:5], v[8:9], v[4:5]
	s_waitcnt vmcnt(0)
	s_delay_alu instid0(VALU_DEP_2) | instskip(NEXT) | instid1(VALU_DEP_2)
	v_add_f64 v[2:3], v[127:128], -v[2:3]
	v_add_f64 v[4:5], v[129:130], -v[4:5]
	scratch_store_b128 off, v[2:5], off offset:272
	v_cmpx_lt_u32_e32 16, v92
	s_cbranch_execz .LBB26_143
; %bb.142:
	scratch_load_b128 v[5:8], v113, off
	v_mov_b32_e32 v2, v1
	v_mov_b32_e32 v3, v1
	;; [unrolled: 1-line block ×3, first 2 shown]
	scratch_store_b128 off, v[1:4], off offset:256
	s_waitcnt vmcnt(0)
	ds_store_b128 v34, v[5:8]
.LBB26_143:
	s_or_b32 exec_lo, exec_lo, s2
	s_waitcnt lgkmcnt(0)
	s_waitcnt_vscnt null, 0x0
	s_barrier
	buffer_gl0_inv
	s_clause 0x7
	scratch_load_b128 v[2:5], off, off offset:272
	scratch_load_b128 v[6:9], off, off offset:288
	;; [unrolled: 1-line block ×8, first 2 shown]
	ds_load_b128 v[119:122], v1 offset:704
	ds_load_b128 v[127:130], v1 offset:720
	s_clause 0x1
	scratch_load_b128 v[123:126], off, off offset:400
	scratch_load_b128 v[131:134], off, off offset:416
	s_mov_b32 s2, exec_lo
	s_waitcnt vmcnt(9) lgkmcnt(1)
	v_mul_f64 v[35:36], v[121:122], v[4:5]
	v_mul_f64 v[4:5], v[119:120], v[4:5]
	s_waitcnt vmcnt(8) lgkmcnt(0)
	v_mul_f64 v[135:136], v[127:128], v[8:9]
	v_mul_f64 v[8:9], v[129:130], v[8:9]
	s_delay_alu instid0(VALU_DEP_4) | instskip(NEXT) | instid1(VALU_DEP_4)
	v_fma_f64 v[35:36], v[119:120], v[2:3], -v[35:36]
	v_fma_f64 v[119:120], v[121:122], v[2:3], v[4:5]
	ds_load_b128 v[2:5], v1 offset:736
	v_fma_f64 v[129:130], v[129:130], v[6:7], v[135:136]
	v_fma_f64 v[127:128], v[127:128], v[6:7], -v[8:9]
	ds_load_b128 v[6:9], v1 offset:752
	s_waitcnt vmcnt(7) lgkmcnt(1)
	v_mul_f64 v[121:122], v[2:3], v[12:13]
	v_mul_f64 v[12:13], v[4:5], v[12:13]
	s_waitcnt vmcnt(6) lgkmcnt(0)
	v_mul_f64 v[135:136], v[6:7], v[16:17]
	v_mul_f64 v[16:17], v[8:9], v[16:17]
	v_add_f64 v[35:36], v[35:36], 0
	v_add_f64 v[119:120], v[119:120], 0
	v_fma_f64 v[121:122], v[4:5], v[10:11], v[121:122]
	v_fma_f64 v[137:138], v[2:3], v[10:11], -v[12:13]
	ds_load_b128 v[2:5], v1 offset:768
	scratch_load_b128 v[10:13], off, off offset:256
	v_add_f64 v[35:36], v[35:36], v[127:128]
	v_add_f64 v[119:120], v[119:120], v[129:130]
	v_fma_f64 v[129:130], v[8:9], v[14:15], v[135:136]
	v_fma_f64 v[14:15], v[6:7], v[14:15], -v[16:17]
	ds_load_b128 v[6:9], v1 offset:784
	s_waitcnt vmcnt(6) lgkmcnt(1)
	v_mul_f64 v[127:128], v[2:3], v[20:21]
	v_mul_f64 v[20:21], v[4:5], v[20:21]
	v_add_f64 v[16:17], v[35:36], v[137:138]
	v_add_f64 v[35:36], v[119:120], v[121:122]
	s_waitcnt vmcnt(5) lgkmcnt(0)
	v_mul_f64 v[119:120], v[6:7], v[24:25]
	v_mul_f64 v[24:25], v[8:9], v[24:25]
	v_fma_f64 v[121:122], v[4:5], v[18:19], v[127:128]
	v_fma_f64 v[18:19], v[2:3], v[18:19], -v[20:21]
	ds_load_b128 v[2:5], v1 offset:800
	v_add_f64 v[14:15], v[16:17], v[14:15]
	v_add_f64 v[16:17], v[35:36], v[129:130]
	v_fma_f64 v[35:36], v[8:9], v[22:23], v[119:120]
	v_fma_f64 v[22:23], v[6:7], v[22:23], -v[24:25]
	ds_load_b128 v[6:9], v1 offset:816
	s_waitcnt vmcnt(4) lgkmcnt(1)
	v_mul_f64 v[20:21], v[2:3], v[28:29]
	v_mul_f64 v[28:29], v[4:5], v[28:29]
	s_waitcnt vmcnt(3) lgkmcnt(0)
	v_mul_f64 v[24:25], v[8:9], v[32:33]
	v_add_f64 v[14:15], v[14:15], v[18:19]
	v_add_f64 v[16:17], v[16:17], v[121:122]
	v_mul_f64 v[18:19], v[6:7], v[32:33]
	v_fma_f64 v[20:21], v[4:5], v[26:27], v[20:21]
	v_fma_f64 v[26:27], v[2:3], v[26:27], -v[28:29]
	ds_load_b128 v[2:5], v1 offset:832
	v_fma_f64 v[24:25], v[6:7], v[30:31], -v[24:25]
	v_add_f64 v[14:15], v[14:15], v[22:23]
	v_add_f64 v[16:17], v[16:17], v[35:36]
	v_fma_f64 v[18:19], v[8:9], v[30:31], v[18:19]
	ds_load_b128 v[6:9], v1 offset:848
	s_waitcnt vmcnt(2) lgkmcnt(1)
	v_mul_f64 v[22:23], v[2:3], v[125:126]
	v_mul_f64 v[28:29], v[4:5], v[125:126]
	v_add_f64 v[14:15], v[14:15], v[26:27]
	v_add_f64 v[16:17], v[16:17], v[20:21]
	s_waitcnt vmcnt(1) lgkmcnt(0)
	v_mul_f64 v[20:21], v[6:7], v[133:134]
	v_mul_f64 v[26:27], v[8:9], v[133:134]
	v_fma_f64 v[4:5], v[4:5], v[123:124], v[22:23]
	v_fma_f64 v[1:2], v[2:3], v[123:124], -v[28:29]
	v_add_f64 v[14:15], v[14:15], v[24:25]
	v_add_f64 v[16:17], v[16:17], v[18:19]
	v_fma_f64 v[8:9], v[8:9], v[131:132], v[20:21]
	v_fma_f64 v[6:7], v[6:7], v[131:132], -v[26:27]
	s_delay_alu instid0(VALU_DEP_4) | instskip(NEXT) | instid1(VALU_DEP_4)
	v_add_f64 v[1:2], v[14:15], v[1:2]
	v_add_f64 v[3:4], v[16:17], v[4:5]
	s_delay_alu instid0(VALU_DEP_2) | instskip(NEXT) | instid1(VALU_DEP_2)
	v_add_f64 v[1:2], v[1:2], v[6:7]
	v_add_f64 v[3:4], v[3:4], v[8:9]
	s_waitcnt vmcnt(0)
	s_delay_alu instid0(VALU_DEP_2) | instskip(NEXT) | instid1(VALU_DEP_2)
	v_add_f64 v[1:2], v[10:11], -v[1:2]
	v_add_f64 v[3:4], v[12:13], -v[3:4]
	scratch_store_b128 off, v[1:4], off offset:256
	v_cmpx_lt_u32_e32 15, v92
	s_cbranch_execz .LBB26_145
; %bb.144:
	scratch_load_b128 v[1:4], v117, off
	v_mov_b32_e32 v5, 0
	s_delay_alu instid0(VALU_DEP_1)
	v_mov_b32_e32 v6, v5
	v_mov_b32_e32 v7, v5
	;; [unrolled: 1-line block ×3, first 2 shown]
	scratch_store_b128 off, v[5:8], off offset:240
	s_waitcnt vmcnt(0)
	ds_store_b128 v34, v[1:4]
.LBB26_145:
	s_or_b32 exec_lo, exec_lo, s2
	s_waitcnt lgkmcnt(0)
	s_waitcnt_vscnt null, 0x0
	s_barrier
	buffer_gl0_inv
	s_clause 0x7
	scratch_load_b128 v[2:5], off, off offset:256
	scratch_load_b128 v[6:9], off, off offset:272
	;; [unrolled: 1-line block ×8, first 2 shown]
	v_mov_b32_e32 v1, 0
	s_clause 0x1
	scratch_load_b128 v[123:126], off, off offset:384
	scratch_load_b128 v[131:134], off, off offset:400
	s_mov_b32 s2, exec_lo
	ds_load_b128 v[119:122], v1 offset:688
	ds_load_b128 v[127:130], v1 offset:704
	s_waitcnt vmcnt(9) lgkmcnt(1)
	v_mul_f64 v[35:36], v[121:122], v[4:5]
	v_mul_f64 v[4:5], v[119:120], v[4:5]
	s_waitcnt vmcnt(8) lgkmcnt(0)
	v_mul_f64 v[135:136], v[127:128], v[8:9]
	v_mul_f64 v[8:9], v[129:130], v[8:9]
	s_delay_alu instid0(VALU_DEP_4) | instskip(NEXT) | instid1(VALU_DEP_4)
	v_fma_f64 v[35:36], v[119:120], v[2:3], -v[35:36]
	v_fma_f64 v[137:138], v[121:122], v[2:3], v[4:5]
	ds_load_b128 v[2:5], v1 offset:720
	scratch_load_b128 v[119:122], off, off offset:416
	v_fma_f64 v[129:130], v[129:130], v[6:7], v[135:136]
	v_fma_f64 v[127:128], v[127:128], v[6:7], -v[8:9]
	ds_load_b128 v[6:9], v1 offset:736
	s_waitcnt vmcnt(8) lgkmcnt(1)
	v_mul_f64 v[139:140], v[2:3], v[12:13]
	v_mul_f64 v[12:13], v[4:5], v[12:13]
	v_add_f64 v[35:36], v[35:36], 0
	v_add_f64 v[135:136], v[137:138], 0
	s_waitcnt vmcnt(7) lgkmcnt(0)
	v_mul_f64 v[137:138], v[6:7], v[16:17]
	v_mul_f64 v[16:17], v[8:9], v[16:17]
	v_fma_f64 v[139:140], v[4:5], v[10:11], v[139:140]
	v_fma_f64 v[10:11], v[2:3], v[10:11], -v[12:13]
	ds_load_b128 v[2:5], v1 offset:752
	v_add_f64 v[12:13], v[35:36], v[127:128]
	v_add_f64 v[35:36], v[135:136], v[129:130]
	v_fma_f64 v[129:130], v[8:9], v[14:15], v[137:138]
	v_fma_f64 v[14:15], v[6:7], v[14:15], -v[16:17]
	ds_load_b128 v[6:9], v1 offset:768
	s_waitcnt vmcnt(6) lgkmcnt(1)
	v_mul_f64 v[127:128], v[2:3], v[20:21]
	v_mul_f64 v[20:21], v[4:5], v[20:21]
	s_waitcnt vmcnt(5) lgkmcnt(0)
	v_mul_f64 v[135:136], v[6:7], v[24:25]
	v_mul_f64 v[24:25], v[8:9], v[24:25]
	v_add_f64 v[16:17], v[12:13], v[10:11]
	v_add_f64 v[35:36], v[35:36], v[139:140]
	scratch_load_b128 v[10:13], off, off offset:240
	v_fma_f64 v[127:128], v[4:5], v[18:19], v[127:128]
	v_fma_f64 v[18:19], v[2:3], v[18:19], -v[20:21]
	ds_load_b128 v[2:5], v1 offset:784
	v_add_f64 v[14:15], v[16:17], v[14:15]
	v_add_f64 v[16:17], v[35:36], v[129:130]
	v_fma_f64 v[35:36], v[8:9], v[22:23], v[135:136]
	v_fma_f64 v[22:23], v[6:7], v[22:23], -v[24:25]
	ds_load_b128 v[6:9], v1 offset:800
	s_waitcnt vmcnt(5) lgkmcnt(1)
	v_mul_f64 v[20:21], v[2:3], v[28:29]
	v_mul_f64 v[28:29], v[4:5], v[28:29]
	s_waitcnt vmcnt(4) lgkmcnt(0)
	v_mul_f64 v[24:25], v[8:9], v[32:33]
	v_add_f64 v[14:15], v[14:15], v[18:19]
	v_add_f64 v[16:17], v[16:17], v[127:128]
	v_mul_f64 v[18:19], v[6:7], v[32:33]
	v_fma_f64 v[20:21], v[4:5], v[26:27], v[20:21]
	v_fma_f64 v[26:27], v[2:3], v[26:27], -v[28:29]
	ds_load_b128 v[2:5], v1 offset:816
	v_fma_f64 v[24:25], v[6:7], v[30:31], -v[24:25]
	v_add_f64 v[14:15], v[14:15], v[22:23]
	v_add_f64 v[16:17], v[16:17], v[35:36]
	v_fma_f64 v[18:19], v[8:9], v[30:31], v[18:19]
	ds_load_b128 v[6:9], v1 offset:832
	s_waitcnt vmcnt(3) lgkmcnt(1)
	v_mul_f64 v[22:23], v[2:3], v[125:126]
	v_mul_f64 v[28:29], v[4:5], v[125:126]
	v_add_f64 v[14:15], v[14:15], v[26:27]
	v_add_f64 v[16:17], v[16:17], v[20:21]
	s_waitcnt vmcnt(2) lgkmcnt(0)
	v_mul_f64 v[20:21], v[6:7], v[133:134]
	v_mul_f64 v[26:27], v[8:9], v[133:134]
	v_fma_f64 v[22:23], v[4:5], v[123:124], v[22:23]
	v_fma_f64 v[28:29], v[2:3], v[123:124], -v[28:29]
	ds_load_b128 v[2:5], v1 offset:848
	v_add_f64 v[14:15], v[14:15], v[24:25]
	v_add_f64 v[16:17], v[16:17], v[18:19]
	v_fma_f64 v[8:9], v[8:9], v[131:132], v[20:21]
	v_fma_f64 v[6:7], v[6:7], v[131:132], -v[26:27]
	s_waitcnt vmcnt(1) lgkmcnt(0)
	v_mul_f64 v[18:19], v[2:3], v[121:122]
	v_mul_f64 v[24:25], v[4:5], v[121:122]
	v_add_f64 v[14:15], v[14:15], v[28:29]
	v_add_f64 v[16:17], v[16:17], v[22:23]
	s_delay_alu instid0(VALU_DEP_4) | instskip(NEXT) | instid1(VALU_DEP_4)
	v_fma_f64 v[4:5], v[4:5], v[119:120], v[18:19]
	v_fma_f64 v[2:3], v[2:3], v[119:120], -v[24:25]
	s_delay_alu instid0(VALU_DEP_4) | instskip(NEXT) | instid1(VALU_DEP_4)
	v_add_f64 v[6:7], v[14:15], v[6:7]
	v_add_f64 v[8:9], v[16:17], v[8:9]
	s_delay_alu instid0(VALU_DEP_2) | instskip(NEXT) | instid1(VALU_DEP_2)
	v_add_f64 v[2:3], v[6:7], v[2:3]
	v_add_f64 v[4:5], v[8:9], v[4:5]
	s_waitcnt vmcnt(0)
	s_delay_alu instid0(VALU_DEP_2) | instskip(NEXT) | instid1(VALU_DEP_2)
	v_add_f64 v[2:3], v[10:11], -v[2:3]
	v_add_f64 v[4:5], v[12:13], -v[4:5]
	scratch_store_b128 off, v[2:5], off offset:240
	v_cmpx_lt_u32_e32 14, v92
	s_cbranch_execz .LBB26_147
; %bb.146:
	scratch_load_b128 v[5:8], v97, off
	v_mov_b32_e32 v2, v1
	v_mov_b32_e32 v3, v1
	;; [unrolled: 1-line block ×3, first 2 shown]
	scratch_store_b128 off, v[1:4], off offset:224
	s_waitcnt vmcnt(0)
	ds_store_b128 v34, v[5:8]
.LBB26_147:
	s_or_b32 exec_lo, exec_lo, s2
	s_waitcnt lgkmcnt(0)
	s_waitcnt_vscnt null, 0x0
	s_barrier
	buffer_gl0_inv
	s_clause 0x7
	scratch_load_b128 v[2:5], off, off offset:240
	scratch_load_b128 v[6:9], off, off offset:256
	;; [unrolled: 1-line block ×8, first 2 shown]
	ds_load_b128 v[119:122], v1 offset:672
	ds_load_b128 v[127:130], v1 offset:688
	s_clause 0x1
	scratch_load_b128 v[123:126], off, off offset:368
	scratch_load_b128 v[131:134], off, off offset:384
	s_mov_b32 s2, exec_lo
	s_waitcnt vmcnt(9) lgkmcnt(1)
	v_mul_f64 v[35:36], v[121:122], v[4:5]
	v_mul_f64 v[4:5], v[119:120], v[4:5]
	s_waitcnt vmcnt(8) lgkmcnt(0)
	v_mul_f64 v[135:136], v[127:128], v[8:9]
	v_mul_f64 v[8:9], v[129:130], v[8:9]
	s_delay_alu instid0(VALU_DEP_4) | instskip(NEXT) | instid1(VALU_DEP_4)
	v_fma_f64 v[35:36], v[119:120], v[2:3], -v[35:36]
	v_fma_f64 v[137:138], v[121:122], v[2:3], v[4:5]
	scratch_load_b128 v[119:122], off, off offset:400
	ds_load_b128 v[2:5], v1 offset:704
	v_fma_f64 v[135:136], v[129:130], v[6:7], v[135:136]
	v_fma_f64 v[141:142], v[127:128], v[6:7], -v[8:9]
	ds_load_b128 v[6:9], v1 offset:720
	scratch_load_b128 v[127:130], off, off offset:416
	s_waitcnt vmcnt(9) lgkmcnt(1)
	v_mul_f64 v[139:140], v[2:3], v[12:13]
	v_mul_f64 v[12:13], v[4:5], v[12:13]
	s_waitcnt vmcnt(8) lgkmcnt(0)
	v_mul_f64 v[143:144], v[6:7], v[16:17]
	v_mul_f64 v[16:17], v[8:9], v[16:17]
	v_add_f64 v[35:36], v[35:36], 0
	v_add_f64 v[137:138], v[137:138], 0
	v_fma_f64 v[139:140], v[4:5], v[10:11], v[139:140]
	v_fma_f64 v[10:11], v[2:3], v[10:11], -v[12:13]
	ds_load_b128 v[2:5], v1 offset:736
	v_add_f64 v[12:13], v[35:36], v[141:142]
	v_add_f64 v[35:36], v[137:138], v[135:136]
	v_fma_f64 v[137:138], v[8:9], v[14:15], v[143:144]
	v_fma_f64 v[14:15], v[6:7], v[14:15], -v[16:17]
	ds_load_b128 v[6:9], v1 offset:752
	s_waitcnt vmcnt(7) lgkmcnt(1)
	v_mul_f64 v[135:136], v[2:3], v[20:21]
	v_mul_f64 v[20:21], v[4:5], v[20:21]
	s_waitcnt vmcnt(6) lgkmcnt(0)
	v_mul_f64 v[16:17], v[6:7], v[24:25]
	v_mul_f64 v[24:25], v[8:9], v[24:25]
	v_add_f64 v[10:11], v[12:13], v[10:11]
	v_add_f64 v[12:13], v[35:36], v[139:140]
	v_fma_f64 v[35:36], v[4:5], v[18:19], v[135:136]
	v_fma_f64 v[18:19], v[2:3], v[18:19], -v[20:21]
	ds_load_b128 v[2:5], v1 offset:768
	v_fma_f64 v[16:17], v[8:9], v[22:23], v[16:17]
	v_fma_f64 v[22:23], v[6:7], v[22:23], -v[24:25]
	ds_load_b128 v[6:9], v1 offset:784
	s_waitcnt vmcnt(5) lgkmcnt(1)
	v_mul_f64 v[135:136], v[2:3], v[28:29]
	v_mul_f64 v[28:29], v[4:5], v[28:29]
	v_add_f64 v[14:15], v[10:11], v[14:15]
	v_add_f64 v[20:21], v[12:13], v[137:138]
	scratch_load_b128 v[10:13], off, off offset:224
	s_waitcnt vmcnt(5) lgkmcnt(0)
	v_mul_f64 v[24:25], v[8:9], v[32:33]
	v_add_f64 v[14:15], v[14:15], v[18:19]
	v_add_f64 v[18:19], v[20:21], v[35:36]
	v_mul_f64 v[20:21], v[6:7], v[32:33]
	v_fma_f64 v[32:33], v[4:5], v[26:27], v[135:136]
	v_fma_f64 v[26:27], v[2:3], v[26:27], -v[28:29]
	ds_load_b128 v[2:5], v1 offset:800
	v_fma_f64 v[24:25], v[6:7], v[30:31], -v[24:25]
	v_add_f64 v[14:15], v[14:15], v[22:23]
	v_add_f64 v[16:17], v[18:19], v[16:17]
	v_fma_f64 v[20:21], v[8:9], v[30:31], v[20:21]
	ds_load_b128 v[6:9], v1 offset:816
	s_waitcnt vmcnt(4) lgkmcnt(1)
	v_mul_f64 v[18:19], v[2:3], v[125:126]
	v_mul_f64 v[22:23], v[4:5], v[125:126]
	s_waitcnt vmcnt(3) lgkmcnt(0)
	v_mul_f64 v[28:29], v[8:9], v[133:134]
	v_add_f64 v[14:15], v[14:15], v[26:27]
	v_add_f64 v[16:17], v[16:17], v[32:33]
	v_mul_f64 v[26:27], v[6:7], v[133:134]
	v_fma_f64 v[18:19], v[4:5], v[123:124], v[18:19]
	v_fma_f64 v[22:23], v[2:3], v[123:124], -v[22:23]
	ds_load_b128 v[2:5], v1 offset:832
	v_fma_f64 v[28:29], v[6:7], v[131:132], -v[28:29]
	v_add_f64 v[14:15], v[14:15], v[24:25]
	v_add_f64 v[16:17], v[16:17], v[20:21]
	v_fma_f64 v[26:27], v[8:9], v[131:132], v[26:27]
	ds_load_b128 v[6:9], v1 offset:848
	s_waitcnt vmcnt(2) lgkmcnt(1)
	v_mul_f64 v[20:21], v[2:3], v[121:122]
	v_mul_f64 v[24:25], v[4:5], v[121:122]
	v_add_f64 v[14:15], v[14:15], v[22:23]
	v_add_f64 v[16:17], v[16:17], v[18:19]
	s_waitcnt vmcnt(1) lgkmcnt(0)
	v_mul_f64 v[18:19], v[6:7], v[129:130]
	v_mul_f64 v[22:23], v[8:9], v[129:130]
	v_fma_f64 v[4:5], v[4:5], v[119:120], v[20:21]
	v_fma_f64 v[1:2], v[2:3], v[119:120], -v[24:25]
	v_add_f64 v[14:15], v[14:15], v[28:29]
	v_add_f64 v[16:17], v[16:17], v[26:27]
	v_fma_f64 v[8:9], v[8:9], v[127:128], v[18:19]
	v_fma_f64 v[6:7], v[6:7], v[127:128], -v[22:23]
	s_delay_alu instid0(VALU_DEP_4) | instskip(NEXT) | instid1(VALU_DEP_4)
	v_add_f64 v[1:2], v[14:15], v[1:2]
	v_add_f64 v[3:4], v[16:17], v[4:5]
	s_delay_alu instid0(VALU_DEP_2) | instskip(NEXT) | instid1(VALU_DEP_2)
	v_add_f64 v[1:2], v[1:2], v[6:7]
	v_add_f64 v[3:4], v[3:4], v[8:9]
	s_waitcnt vmcnt(0)
	s_delay_alu instid0(VALU_DEP_2) | instskip(NEXT) | instid1(VALU_DEP_2)
	v_add_f64 v[1:2], v[10:11], -v[1:2]
	v_add_f64 v[3:4], v[12:13], -v[3:4]
	scratch_store_b128 off, v[1:4], off offset:224
	v_cmpx_lt_u32_e32 13, v92
	s_cbranch_execz .LBB26_149
; %bb.148:
	scratch_load_b128 v[1:4], v99, off
	v_mov_b32_e32 v5, 0
	s_delay_alu instid0(VALU_DEP_1)
	v_mov_b32_e32 v6, v5
	v_mov_b32_e32 v7, v5
	;; [unrolled: 1-line block ×3, first 2 shown]
	scratch_store_b128 off, v[5:8], off offset:208
	s_waitcnt vmcnt(0)
	ds_store_b128 v34, v[1:4]
.LBB26_149:
	s_or_b32 exec_lo, exec_lo, s2
	s_waitcnt lgkmcnt(0)
	s_waitcnt_vscnt null, 0x0
	s_barrier
	buffer_gl0_inv
	s_clause 0x7
	scratch_load_b128 v[2:5], off, off offset:224
	scratch_load_b128 v[6:9], off, off offset:240
	;; [unrolled: 1-line block ×8, first 2 shown]
	v_mov_b32_e32 v1, 0
	s_mov_b32 s2, exec_lo
	ds_load_b128 v[119:122], v1 offset:656
	s_clause 0x1
	scratch_load_b128 v[123:126], off, off offset:352
	scratch_load_b128 v[127:130], off, off offset:208
	ds_load_b128 v[131:134], v1 offset:672
	scratch_load_b128 v[135:138], off, off offset:368
	ds_load_b128 v[139:142], v1 offset:704
	s_waitcnt vmcnt(10) lgkmcnt(2)
	v_mul_f64 v[35:36], v[121:122], v[4:5]
	v_mul_f64 v[4:5], v[119:120], v[4:5]
	s_delay_alu instid0(VALU_DEP_2) | instskip(NEXT) | instid1(VALU_DEP_2)
	v_fma_f64 v[35:36], v[119:120], v[2:3], -v[35:36]
	v_fma_f64 v[145:146], v[121:122], v[2:3], v[4:5]
	ds_load_b128 v[2:5], v1 offset:688
	s_waitcnt vmcnt(9) lgkmcnt(2)
	v_mul_f64 v[143:144], v[131:132], v[8:9]
	v_mul_f64 v[8:9], v[133:134], v[8:9]
	scratch_load_b128 v[119:122], off, off offset:384
	s_waitcnt vmcnt(9) lgkmcnt(0)
	v_mul_f64 v[147:148], v[2:3], v[12:13]
	v_mul_f64 v[12:13], v[4:5], v[12:13]
	v_add_f64 v[35:36], v[35:36], 0
	v_fma_f64 v[133:134], v[133:134], v[6:7], v[143:144]
	v_fma_f64 v[131:132], v[131:132], v[6:7], -v[8:9]
	v_add_f64 v[143:144], v[145:146], 0
	scratch_load_b128 v[6:9], off, off offset:400
	v_fma_f64 v[147:148], v[4:5], v[10:11], v[147:148]
	v_fma_f64 v[149:150], v[2:3], v[10:11], -v[12:13]
	scratch_load_b128 v[10:13], off, off offset:416
	ds_load_b128 v[2:5], v1 offset:720
	s_waitcnt vmcnt(10)
	v_mul_f64 v[145:146], v[139:140], v[16:17]
	v_mul_f64 v[16:17], v[141:142], v[16:17]
	v_add_f64 v[35:36], v[35:36], v[131:132]
	v_add_f64 v[143:144], v[143:144], v[133:134]
	ds_load_b128 v[131:134], v1 offset:736
	s_waitcnt vmcnt(9) lgkmcnt(1)
	v_mul_f64 v[151:152], v[2:3], v[20:21]
	v_mul_f64 v[20:21], v[4:5], v[20:21]
	v_fma_f64 v[141:142], v[141:142], v[14:15], v[145:146]
	v_fma_f64 v[14:15], v[139:140], v[14:15], -v[16:17]
	s_waitcnt vmcnt(8) lgkmcnt(0)
	v_mul_f64 v[139:140], v[131:132], v[24:25]
	v_mul_f64 v[24:25], v[133:134], v[24:25]
	v_add_f64 v[16:17], v[35:36], v[149:150]
	v_add_f64 v[35:36], v[143:144], v[147:148]
	v_fma_f64 v[143:144], v[4:5], v[18:19], v[151:152]
	v_fma_f64 v[18:19], v[2:3], v[18:19], -v[20:21]
	v_fma_f64 v[133:134], v[133:134], v[22:23], v[139:140]
	v_fma_f64 v[22:23], v[131:132], v[22:23], -v[24:25]
	v_add_f64 v[20:21], v[16:17], v[14:15]
	v_add_f64 v[35:36], v[35:36], v[141:142]
	ds_load_b128 v[2:5], v1 offset:752
	ds_load_b128 v[14:17], v1 offset:768
	s_waitcnt vmcnt(7) lgkmcnt(1)
	v_mul_f64 v[141:142], v[2:3], v[28:29]
	v_mul_f64 v[28:29], v[4:5], v[28:29]
	s_waitcnt vmcnt(6) lgkmcnt(0)
	v_mul_f64 v[24:25], v[14:15], v[32:33]
	v_mul_f64 v[32:33], v[16:17], v[32:33]
	v_add_f64 v[18:19], v[20:21], v[18:19]
	v_add_f64 v[20:21], v[35:36], v[143:144]
	v_fma_f64 v[35:36], v[4:5], v[26:27], v[141:142]
	v_fma_f64 v[26:27], v[2:3], v[26:27], -v[28:29]
	v_fma_f64 v[16:17], v[16:17], v[30:31], v[24:25]
	v_fma_f64 v[14:15], v[14:15], v[30:31], -v[32:33]
	v_add_f64 v[22:23], v[18:19], v[22:23]
	v_add_f64 v[28:29], v[20:21], v[133:134]
	ds_load_b128 v[2:5], v1 offset:784
	ds_load_b128 v[18:21], v1 offset:800
	s_waitcnt vmcnt(5) lgkmcnt(1)
	v_mul_f64 v[131:132], v[2:3], v[125:126]
	v_mul_f64 v[125:126], v[4:5], v[125:126]
	v_add_f64 v[22:23], v[22:23], v[26:27]
	v_add_f64 v[24:25], v[28:29], v[35:36]
	s_waitcnt vmcnt(3) lgkmcnt(0)
	v_mul_f64 v[26:27], v[18:19], v[137:138]
	v_mul_f64 v[28:29], v[20:21], v[137:138]
	v_fma_f64 v[30:31], v[4:5], v[123:124], v[131:132]
	v_fma_f64 v[32:33], v[2:3], v[123:124], -v[125:126]
	v_add_f64 v[22:23], v[22:23], v[14:15]
	v_add_f64 v[24:25], v[24:25], v[16:17]
	ds_load_b128 v[2:5], v1 offset:816
	ds_load_b128 v[14:17], v1 offset:832
	v_fma_f64 v[20:21], v[20:21], v[135:136], v[26:27]
	v_fma_f64 v[18:19], v[18:19], v[135:136], -v[28:29]
	s_waitcnt vmcnt(2) lgkmcnt(1)
	v_mul_f64 v[35:36], v[2:3], v[121:122]
	v_mul_f64 v[121:122], v[4:5], v[121:122]
	v_add_f64 v[22:23], v[22:23], v[32:33]
	v_add_f64 v[24:25], v[24:25], v[30:31]
	s_waitcnt vmcnt(1) lgkmcnt(0)
	v_mul_f64 v[26:27], v[14:15], v[8:9]
	v_mul_f64 v[8:9], v[16:17], v[8:9]
	v_fma_f64 v[28:29], v[4:5], v[119:120], v[35:36]
	v_fma_f64 v[30:31], v[2:3], v[119:120], -v[121:122]
	ds_load_b128 v[2:5], v1 offset:848
	v_add_f64 v[18:19], v[22:23], v[18:19]
	v_add_f64 v[20:21], v[24:25], v[20:21]
	s_waitcnt vmcnt(0) lgkmcnt(0)
	v_mul_f64 v[22:23], v[2:3], v[12:13]
	v_mul_f64 v[12:13], v[4:5], v[12:13]
	v_fma_f64 v[16:17], v[16:17], v[6:7], v[26:27]
	v_fma_f64 v[6:7], v[14:15], v[6:7], -v[8:9]
	v_add_f64 v[8:9], v[18:19], v[30:31]
	v_add_f64 v[14:15], v[20:21], v[28:29]
	v_fma_f64 v[4:5], v[4:5], v[10:11], v[22:23]
	v_fma_f64 v[2:3], v[2:3], v[10:11], -v[12:13]
	s_delay_alu instid0(VALU_DEP_4) | instskip(NEXT) | instid1(VALU_DEP_4)
	v_add_f64 v[6:7], v[8:9], v[6:7]
	v_add_f64 v[8:9], v[14:15], v[16:17]
	s_delay_alu instid0(VALU_DEP_2) | instskip(NEXT) | instid1(VALU_DEP_2)
	v_add_f64 v[2:3], v[6:7], v[2:3]
	v_add_f64 v[4:5], v[8:9], v[4:5]
	s_delay_alu instid0(VALU_DEP_2) | instskip(NEXT) | instid1(VALU_DEP_2)
	v_add_f64 v[2:3], v[127:128], -v[2:3]
	v_add_f64 v[4:5], v[129:130], -v[4:5]
	scratch_store_b128 off, v[2:5], off offset:208
	v_cmpx_lt_u32_e32 12, v92
	s_cbranch_execz .LBB26_151
; %bb.150:
	scratch_load_b128 v[5:8], v98, off
	v_mov_b32_e32 v2, v1
	v_mov_b32_e32 v3, v1
	;; [unrolled: 1-line block ×3, first 2 shown]
	scratch_store_b128 off, v[1:4], off offset:192
	s_waitcnt vmcnt(0)
	ds_store_b128 v34, v[5:8]
.LBB26_151:
	s_or_b32 exec_lo, exec_lo, s2
	s_waitcnt lgkmcnt(0)
	s_waitcnt_vscnt null, 0x0
	s_barrier
	buffer_gl0_inv
	s_clause 0x8
	scratch_load_b128 v[2:5], off, off offset:208
	scratch_load_b128 v[6:9], off, off offset:224
	;; [unrolled: 1-line block ×9, first 2 shown]
	ds_load_b128 v[123:126], v1 offset:640
	ds_load_b128 v[127:130], v1 offset:656
	s_clause 0x1
	scratch_load_b128 v[131:134], off, off offset:192
	scratch_load_b128 v[135:138], off, off offset:352
	s_mov_b32 s2, exec_lo
	ds_load_b128 v[139:142], v1 offset:688
	s_waitcnt vmcnt(10) lgkmcnt(2)
	v_mul_f64 v[35:36], v[125:126], v[4:5]
	v_mul_f64 v[4:5], v[123:124], v[4:5]
	s_waitcnt vmcnt(9) lgkmcnt(1)
	v_mul_f64 v[143:144], v[127:128], v[8:9]
	v_mul_f64 v[8:9], v[129:130], v[8:9]
	s_delay_alu instid0(VALU_DEP_4) | instskip(NEXT) | instid1(VALU_DEP_4)
	v_fma_f64 v[35:36], v[123:124], v[2:3], -v[35:36]
	v_fma_f64 v[145:146], v[125:126], v[2:3], v[4:5]
	ds_load_b128 v[2:5], v1 offset:672
	scratch_load_b128 v[123:126], off, off offset:368
	v_fma_f64 v[129:130], v[129:130], v[6:7], v[143:144]
	v_fma_f64 v[127:128], v[127:128], v[6:7], -v[8:9]
	scratch_load_b128 v[6:9], off, off offset:384
	s_waitcnt vmcnt(10) lgkmcnt(0)
	v_mul_f64 v[147:148], v[2:3], v[12:13]
	v_mul_f64 v[12:13], v[4:5], v[12:13]
	v_add_f64 v[35:36], v[35:36], 0
	v_add_f64 v[143:144], v[145:146], 0
	s_waitcnt vmcnt(9)
	v_mul_f64 v[145:146], v[139:140], v[16:17]
	v_mul_f64 v[16:17], v[141:142], v[16:17]
	v_fma_f64 v[147:148], v[4:5], v[10:11], v[147:148]
	v_fma_f64 v[149:150], v[2:3], v[10:11], -v[12:13]
	ds_load_b128 v[2:5], v1 offset:704
	scratch_load_b128 v[10:13], off, off offset:400
	v_add_f64 v[35:36], v[35:36], v[127:128]
	v_add_f64 v[143:144], v[143:144], v[129:130]
	ds_load_b128 v[127:130], v1 offset:720
	v_fma_f64 v[141:142], v[141:142], v[14:15], v[145:146]
	v_fma_f64 v[139:140], v[139:140], v[14:15], -v[16:17]
	scratch_load_b128 v[14:17], off, off offset:416
	s_waitcnt vmcnt(10) lgkmcnt(1)
	v_mul_f64 v[151:152], v[2:3], v[20:21]
	v_mul_f64 v[20:21], v[4:5], v[20:21]
	s_waitcnt vmcnt(9) lgkmcnt(0)
	v_mul_f64 v[145:146], v[127:128], v[24:25]
	v_mul_f64 v[24:25], v[129:130], v[24:25]
	v_add_f64 v[35:36], v[35:36], v[149:150]
	v_add_f64 v[143:144], v[143:144], v[147:148]
	v_fma_f64 v[147:148], v[4:5], v[18:19], v[151:152]
	v_fma_f64 v[149:150], v[2:3], v[18:19], -v[20:21]
	ds_load_b128 v[2:5], v1 offset:736
	ds_load_b128 v[18:21], v1 offset:752
	v_fma_f64 v[129:130], v[129:130], v[22:23], v[145:146]
	v_fma_f64 v[22:23], v[127:128], v[22:23], -v[24:25]
	s_waitcnt vmcnt(7) lgkmcnt(0)
	v_mul_f64 v[127:128], v[18:19], v[32:33]
	v_mul_f64 v[32:33], v[20:21], v[32:33]
	v_add_f64 v[35:36], v[35:36], v[139:140]
	v_add_f64 v[139:140], v[143:144], v[141:142]
	v_mul_f64 v[141:142], v[2:3], v[28:29]
	v_mul_f64 v[28:29], v[4:5], v[28:29]
	v_fma_f64 v[20:21], v[20:21], v[30:31], v[127:128]
	v_fma_f64 v[18:19], v[18:19], v[30:31], -v[32:33]
	v_add_f64 v[24:25], v[35:36], v[149:150]
	v_add_f64 v[35:36], v[139:140], v[147:148]
	v_fma_f64 v[139:140], v[4:5], v[26:27], v[141:142]
	v_fma_f64 v[26:27], v[2:3], v[26:27], -v[28:29]
	s_delay_alu instid0(VALU_DEP_4) | instskip(NEXT) | instid1(VALU_DEP_4)
	v_add_f64 v[28:29], v[24:25], v[22:23]
	v_add_f64 v[35:36], v[35:36], v[129:130]
	ds_load_b128 v[2:5], v1 offset:768
	ds_load_b128 v[22:25], v1 offset:784
	s_waitcnt vmcnt(6) lgkmcnt(1)
	v_mul_f64 v[129:130], v[2:3], v[121:122]
	v_mul_f64 v[121:122], v[4:5], v[121:122]
	s_waitcnt vmcnt(4) lgkmcnt(0)
	v_mul_f64 v[30:31], v[22:23], v[137:138]
	v_mul_f64 v[32:33], v[24:25], v[137:138]
	v_add_f64 v[26:27], v[28:29], v[26:27]
	v_add_f64 v[28:29], v[35:36], v[139:140]
	v_fma_f64 v[35:36], v[4:5], v[119:120], v[129:130]
	v_fma_f64 v[119:120], v[2:3], v[119:120], -v[121:122]
	v_fma_f64 v[24:25], v[24:25], v[135:136], v[30:31]
	v_fma_f64 v[22:23], v[22:23], v[135:136], -v[32:33]
	v_add_f64 v[26:27], v[26:27], v[18:19]
	v_add_f64 v[28:29], v[28:29], v[20:21]
	ds_load_b128 v[2:5], v1 offset:800
	ds_load_b128 v[18:21], v1 offset:816
	s_waitcnt vmcnt(3) lgkmcnt(1)
	v_mul_f64 v[121:122], v[2:3], v[125:126]
	v_mul_f64 v[125:126], v[4:5], v[125:126]
	s_waitcnt vmcnt(2) lgkmcnt(0)
	v_mul_f64 v[30:31], v[18:19], v[8:9]
	v_mul_f64 v[8:9], v[20:21], v[8:9]
	v_add_f64 v[26:27], v[26:27], v[119:120]
	v_add_f64 v[28:29], v[28:29], v[35:36]
	v_fma_f64 v[32:33], v[4:5], v[123:124], v[121:122]
	v_fma_f64 v[35:36], v[2:3], v[123:124], -v[125:126]
	v_fma_f64 v[20:21], v[20:21], v[6:7], v[30:31]
	v_fma_f64 v[6:7], v[18:19], v[6:7], -v[8:9]
	v_add_f64 v[26:27], v[26:27], v[22:23]
	v_add_f64 v[28:29], v[28:29], v[24:25]
	ds_load_b128 v[2:5], v1 offset:832
	ds_load_b128 v[22:25], v1 offset:848
	s_waitcnt vmcnt(1) lgkmcnt(1)
	v_mul_f64 v[119:120], v[2:3], v[12:13]
	v_mul_f64 v[12:13], v[4:5], v[12:13]
	v_add_f64 v[8:9], v[26:27], v[35:36]
	v_add_f64 v[18:19], v[28:29], v[32:33]
	s_waitcnt vmcnt(0) lgkmcnt(0)
	v_mul_f64 v[26:27], v[22:23], v[16:17]
	v_mul_f64 v[16:17], v[24:25], v[16:17]
	v_fma_f64 v[4:5], v[4:5], v[10:11], v[119:120]
	v_fma_f64 v[1:2], v[2:3], v[10:11], -v[12:13]
	v_add_f64 v[6:7], v[8:9], v[6:7]
	v_add_f64 v[8:9], v[18:19], v[20:21]
	v_fma_f64 v[10:11], v[24:25], v[14:15], v[26:27]
	v_fma_f64 v[12:13], v[22:23], v[14:15], -v[16:17]
	s_delay_alu instid0(VALU_DEP_4) | instskip(NEXT) | instid1(VALU_DEP_4)
	v_add_f64 v[1:2], v[6:7], v[1:2]
	v_add_f64 v[3:4], v[8:9], v[4:5]
	s_delay_alu instid0(VALU_DEP_2) | instskip(NEXT) | instid1(VALU_DEP_2)
	v_add_f64 v[1:2], v[1:2], v[12:13]
	v_add_f64 v[3:4], v[3:4], v[10:11]
	s_delay_alu instid0(VALU_DEP_2) | instskip(NEXT) | instid1(VALU_DEP_2)
	v_add_f64 v[1:2], v[131:132], -v[1:2]
	v_add_f64 v[3:4], v[133:134], -v[3:4]
	scratch_store_b128 off, v[1:4], off offset:192
	v_cmpx_lt_u32_e32 11, v92
	s_cbranch_execz .LBB26_153
; %bb.152:
	scratch_load_b128 v[1:4], v100, off
	v_mov_b32_e32 v5, 0
	s_delay_alu instid0(VALU_DEP_1)
	v_mov_b32_e32 v6, v5
	v_mov_b32_e32 v7, v5
	;; [unrolled: 1-line block ×3, first 2 shown]
	scratch_store_b128 off, v[5:8], off offset:176
	s_waitcnt vmcnt(0)
	ds_store_b128 v34, v[1:4]
.LBB26_153:
	s_or_b32 exec_lo, exec_lo, s2
	s_waitcnt lgkmcnt(0)
	s_waitcnt_vscnt null, 0x0
	s_barrier
	buffer_gl0_inv
	s_clause 0x7
	scratch_load_b128 v[2:5], off, off offset:192
	scratch_load_b128 v[6:9], off, off offset:208
	;; [unrolled: 1-line block ×8, first 2 shown]
	v_mov_b32_e32 v1, 0
	s_mov_b32 s2, exec_lo
	ds_load_b128 v[119:122], v1 offset:624
	s_clause 0x1
	scratch_load_b128 v[123:126], off, off offset:320
	scratch_load_b128 v[127:130], off, off offset:176
	ds_load_b128 v[131:134], v1 offset:640
	scratch_load_b128 v[135:138], off, off offset:336
	ds_load_b128 v[139:142], v1 offset:672
	s_waitcnt vmcnt(10) lgkmcnt(2)
	v_mul_f64 v[35:36], v[121:122], v[4:5]
	v_mul_f64 v[4:5], v[119:120], v[4:5]
	s_delay_alu instid0(VALU_DEP_2) | instskip(NEXT) | instid1(VALU_DEP_2)
	v_fma_f64 v[35:36], v[119:120], v[2:3], -v[35:36]
	v_fma_f64 v[145:146], v[121:122], v[2:3], v[4:5]
	ds_load_b128 v[2:5], v1 offset:656
	s_waitcnt vmcnt(9) lgkmcnt(2)
	v_mul_f64 v[143:144], v[131:132], v[8:9]
	v_mul_f64 v[8:9], v[133:134], v[8:9]
	scratch_load_b128 v[119:122], off, off offset:352
	s_waitcnt vmcnt(9) lgkmcnt(0)
	v_mul_f64 v[147:148], v[2:3], v[12:13]
	v_mul_f64 v[12:13], v[4:5], v[12:13]
	v_add_f64 v[35:36], v[35:36], 0
	v_fma_f64 v[133:134], v[133:134], v[6:7], v[143:144]
	v_fma_f64 v[131:132], v[131:132], v[6:7], -v[8:9]
	v_add_f64 v[143:144], v[145:146], 0
	scratch_load_b128 v[6:9], off, off offset:368
	v_fma_f64 v[147:148], v[4:5], v[10:11], v[147:148]
	v_fma_f64 v[149:150], v[2:3], v[10:11], -v[12:13]
	scratch_load_b128 v[10:13], off, off offset:384
	ds_load_b128 v[2:5], v1 offset:688
	s_waitcnt vmcnt(10)
	v_mul_f64 v[145:146], v[139:140], v[16:17]
	v_mul_f64 v[16:17], v[141:142], v[16:17]
	v_add_f64 v[35:36], v[35:36], v[131:132]
	v_add_f64 v[143:144], v[143:144], v[133:134]
	ds_load_b128 v[131:134], v1 offset:704
	s_waitcnt vmcnt(9) lgkmcnt(1)
	v_mul_f64 v[151:152], v[2:3], v[20:21]
	v_mul_f64 v[20:21], v[4:5], v[20:21]
	v_fma_f64 v[141:142], v[141:142], v[14:15], v[145:146]
	v_fma_f64 v[139:140], v[139:140], v[14:15], -v[16:17]
	scratch_load_b128 v[14:17], off, off offset:400
	v_add_f64 v[35:36], v[35:36], v[149:150]
	v_add_f64 v[143:144], v[143:144], v[147:148]
	v_fma_f64 v[147:148], v[4:5], v[18:19], v[151:152]
	v_fma_f64 v[149:150], v[2:3], v[18:19], -v[20:21]
	scratch_load_b128 v[18:21], off, off offset:416
	ds_load_b128 v[2:5], v1 offset:720
	s_waitcnt vmcnt(10) lgkmcnt(1)
	v_mul_f64 v[145:146], v[131:132], v[24:25]
	v_mul_f64 v[24:25], v[133:134], v[24:25]
	s_waitcnt vmcnt(9) lgkmcnt(0)
	v_mul_f64 v[151:152], v[2:3], v[28:29]
	v_mul_f64 v[28:29], v[4:5], v[28:29]
	v_add_f64 v[35:36], v[35:36], v[139:140]
	v_add_f64 v[143:144], v[143:144], v[141:142]
	ds_load_b128 v[139:142], v1 offset:736
	v_fma_f64 v[133:134], v[133:134], v[22:23], v[145:146]
	v_fma_f64 v[22:23], v[131:132], v[22:23], -v[24:25]
	s_waitcnt vmcnt(8) lgkmcnt(0)
	v_mul_f64 v[131:132], v[139:140], v[32:33]
	v_mul_f64 v[32:33], v[141:142], v[32:33]
	v_add_f64 v[24:25], v[35:36], v[149:150]
	v_add_f64 v[35:36], v[143:144], v[147:148]
	v_fma_f64 v[143:144], v[4:5], v[26:27], v[151:152]
	v_fma_f64 v[26:27], v[2:3], v[26:27], -v[28:29]
	v_fma_f64 v[131:132], v[141:142], v[30:31], v[131:132]
	v_fma_f64 v[30:31], v[139:140], v[30:31], -v[32:33]
	v_add_f64 v[28:29], v[24:25], v[22:23]
	v_add_f64 v[35:36], v[35:36], v[133:134]
	ds_load_b128 v[2:5], v1 offset:752
	ds_load_b128 v[22:25], v1 offset:768
	s_waitcnt vmcnt(7) lgkmcnt(1)
	v_mul_f64 v[133:134], v[2:3], v[125:126]
	v_mul_f64 v[125:126], v[4:5], v[125:126]
	s_waitcnt vmcnt(5) lgkmcnt(0)
	v_mul_f64 v[32:33], v[22:23], v[137:138]
	v_add_f64 v[26:27], v[28:29], v[26:27]
	v_add_f64 v[28:29], v[35:36], v[143:144]
	v_mul_f64 v[35:36], v[24:25], v[137:138]
	v_fma_f64 v[133:134], v[4:5], v[123:124], v[133:134]
	v_fma_f64 v[123:124], v[2:3], v[123:124], -v[125:126]
	v_fma_f64 v[24:25], v[24:25], v[135:136], v[32:33]
	v_add_f64 v[30:31], v[26:27], v[30:31]
	v_add_f64 v[125:126], v[28:29], v[131:132]
	ds_load_b128 v[2:5], v1 offset:784
	ds_load_b128 v[26:29], v1 offset:800
	v_fma_f64 v[22:23], v[22:23], v[135:136], -v[35:36]
	s_waitcnt vmcnt(4) lgkmcnt(1)
	v_mul_f64 v[131:132], v[2:3], v[121:122]
	v_mul_f64 v[121:122], v[4:5], v[121:122]
	v_add_f64 v[30:31], v[30:31], v[123:124]
	v_add_f64 v[32:33], v[125:126], v[133:134]
	s_waitcnt vmcnt(3) lgkmcnt(0)
	v_mul_f64 v[35:36], v[26:27], v[8:9]
	v_mul_f64 v[8:9], v[28:29], v[8:9]
	v_fma_f64 v[123:124], v[4:5], v[119:120], v[131:132]
	v_fma_f64 v[119:120], v[2:3], v[119:120], -v[121:122]
	v_add_f64 v[30:31], v[30:31], v[22:23]
	v_add_f64 v[32:33], v[32:33], v[24:25]
	ds_load_b128 v[2:5], v1 offset:816
	ds_load_b128 v[22:25], v1 offset:832
	v_fma_f64 v[28:29], v[28:29], v[6:7], v[35:36]
	v_fma_f64 v[6:7], v[26:27], v[6:7], -v[8:9]
	s_waitcnt vmcnt(2) lgkmcnt(1)
	v_mul_f64 v[121:122], v[2:3], v[12:13]
	v_mul_f64 v[12:13], v[4:5], v[12:13]
	v_add_f64 v[8:9], v[30:31], v[119:120]
	v_add_f64 v[26:27], v[32:33], v[123:124]
	s_waitcnt vmcnt(1) lgkmcnt(0)
	v_mul_f64 v[30:31], v[22:23], v[16:17]
	v_mul_f64 v[16:17], v[24:25], v[16:17]
	v_fma_f64 v[32:33], v[4:5], v[10:11], v[121:122]
	v_fma_f64 v[10:11], v[2:3], v[10:11], -v[12:13]
	ds_load_b128 v[2:5], v1 offset:848
	v_add_f64 v[6:7], v[8:9], v[6:7]
	v_add_f64 v[8:9], v[26:27], v[28:29]
	v_fma_f64 v[24:25], v[24:25], v[14:15], v[30:31]
	v_fma_f64 v[14:15], v[22:23], v[14:15], -v[16:17]
	s_waitcnt vmcnt(0) lgkmcnt(0)
	v_mul_f64 v[12:13], v[2:3], v[20:21]
	v_mul_f64 v[20:21], v[4:5], v[20:21]
	v_add_f64 v[6:7], v[6:7], v[10:11]
	v_add_f64 v[8:9], v[8:9], v[32:33]
	s_delay_alu instid0(VALU_DEP_4) | instskip(NEXT) | instid1(VALU_DEP_4)
	v_fma_f64 v[4:5], v[4:5], v[18:19], v[12:13]
	v_fma_f64 v[2:3], v[2:3], v[18:19], -v[20:21]
	s_delay_alu instid0(VALU_DEP_4) | instskip(NEXT) | instid1(VALU_DEP_4)
	v_add_f64 v[6:7], v[6:7], v[14:15]
	v_add_f64 v[8:9], v[8:9], v[24:25]
	s_delay_alu instid0(VALU_DEP_2) | instskip(NEXT) | instid1(VALU_DEP_2)
	v_add_f64 v[2:3], v[6:7], v[2:3]
	v_add_f64 v[4:5], v[8:9], v[4:5]
	s_delay_alu instid0(VALU_DEP_2) | instskip(NEXT) | instid1(VALU_DEP_2)
	v_add_f64 v[2:3], v[127:128], -v[2:3]
	v_add_f64 v[4:5], v[129:130], -v[4:5]
	scratch_store_b128 off, v[2:5], off offset:176
	v_cmpx_lt_u32_e32 10, v92
	s_cbranch_execz .LBB26_155
; %bb.154:
	scratch_load_b128 v[5:8], v101, off
	v_mov_b32_e32 v2, v1
	v_mov_b32_e32 v3, v1
	;; [unrolled: 1-line block ×3, first 2 shown]
	scratch_store_b128 off, v[1:4], off offset:160
	s_waitcnt vmcnt(0)
	ds_store_b128 v34, v[5:8]
.LBB26_155:
	s_or_b32 exec_lo, exec_lo, s2
	s_waitcnt lgkmcnt(0)
	s_waitcnt_vscnt null, 0x0
	s_barrier
	buffer_gl0_inv
	s_clause 0x8
	scratch_load_b128 v[2:5], off, off offset:176
	scratch_load_b128 v[6:9], off, off offset:192
	;; [unrolled: 1-line block ×9, first 2 shown]
	ds_load_b128 v[123:126], v1 offset:608
	ds_load_b128 v[127:130], v1 offset:624
	s_clause 0x1
	scratch_load_b128 v[131:134], off, off offset:160
	scratch_load_b128 v[135:138], off, off offset:320
	s_mov_b32 s2, exec_lo
	ds_load_b128 v[139:142], v1 offset:656
	s_waitcnt vmcnt(10) lgkmcnt(2)
	v_mul_f64 v[35:36], v[125:126], v[4:5]
	v_mul_f64 v[4:5], v[123:124], v[4:5]
	s_waitcnt vmcnt(9) lgkmcnt(1)
	v_mul_f64 v[143:144], v[127:128], v[8:9]
	v_mul_f64 v[8:9], v[129:130], v[8:9]
	s_delay_alu instid0(VALU_DEP_4) | instskip(NEXT) | instid1(VALU_DEP_4)
	v_fma_f64 v[35:36], v[123:124], v[2:3], -v[35:36]
	v_fma_f64 v[145:146], v[125:126], v[2:3], v[4:5]
	ds_load_b128 v[2:5], v1 offset:640
	scratch_load_b128 v[123:126], off, off offset:336
	v_fma_f64 v[129:130], v[129:130], v[6:7], v[143:144]
	v_fma_f64 v[127:128], v[127:128], v[6:7], -v[8:9]
	scratch_load_b128 v[6:9], off, off offset:352
	s_waitcnt vmcnt(10) lgkmcnt(0)
	v_mul_f64 v[147:148], v[2:3], v[12:13]
	v_mul_f64 v[12:13], v[4:5], v[12:13]
	v_add_f64 v[35:36], v[35:36], 0
	v_add_f64 v[143:144], v[145:146], 0
	s_waitcnt vmcnt(9)
	v_mul_f64 v[145:146], v[139:140], v[16:17]
	v_mul_f64 v[16:17], v[141:142], v[16:17]
	v_fma_f64 v[147:148], v[4:5], v[10:11], v[147:148]
	v_fma_f64 v[149:150], v[2:3], v[10:11], -v[12:13]
	ds_load_b128 v[2:5], v1 offset:672
	scratch_load_b128 v[10:13], off, off offset:368
	v_add_f64 v[35:36], v[35:36], v[127:128]
	v_add_f64 v[143:144], v[143:144], v[129:130]
	ds_load_b128 v[127:130], v1 offset:688
	v_fma_f64 v[141:142], v[141:142], v[14:15], v[145:146]
	v_fma_f64 v[139:140], v[139:140], v[14:15], -v[16:17]
	scratch_load_b128 v[14:17], off, off offset:384
	s_waitcnt vmcnt(10) lgkmcnt(1)
	v_mul_f64 v[151:152], v[2:3], v[20:21]
	v_mul_f64 v[20:21], v[4:5], v[20:21]
	s_waitcnt vmcnt(9) lgkmcnt(0)
	v_mul_f64 v[145:146], v[127:128], v[24:25]
	v_mul_f64 v[24:25], v[129:130], v[24:25]
	v_add_f64 v[35:36], v[35:36], v[149:150]
	v_add_f64 v[143:144], v[143:144], v[147:148]
	v_fma_f64 v[147:148], v[4:5], v[18:19], v[151:152]
	v_fma_f64 v[149:150], v[2:3], v[18:19], -v[20:21]
	ds_load_b128 v[2:5], v1 offset:704
	scratch_load_b128 v[18:21], off, off offset:400
	v_fma_f64 v[129:130], v[129:130], v[22:23], v[145:146]
	v_fma_f64 v[127:128], v[127:128], v[22:23], -v[24:25]
	scratch_load_b128 v[22:25], off, off offset:416
	v_add_f64 v[35:36], v[35:36], v[139:140]
	v_add_f64 v[143:144], v[143:144], v[141:142]
	ds_load_b128 v[139:142], v1 offset:720
	s_waitcnt vmcnt(10) lgkmcnt(1)
	v_mul_f64 v[151:152], v[2:3], v[28:29]
	v_mul_f64 v[28:29], v[4:5], v[28:29]
	s_waitcnt vmcnt(9) lgkmcnt(0)
	v_mul_f64 v[145:146], v[139:140], v[32:33]
	v_mul_f64 v[32:33], v[141:142], v[32:33]
	v_add_f64 v[35:36], v[35:36], v[149:150]
	v_add_f64 v[143:144], v[143:144], v[147:148]
	v_fma_f64 v[147:148], v[4:5], v[26:27], v[151:152]
	v_fma_f64 v[149:150], v[2:3], v[26:27], -v[28:29]
	ds_load_b128 v[2:5], v1 offset:736
	ds_load_b128 v[26:29], v1 offset:752
	v_fma_f64 v[141:142], v[141:142], v[30:31], v[145:146]
	v_fma_f64 v[30:31], v[139:140], v[30:31], -v[32:33]
	v_add_f64 v[35:36], v[35:36], v[127:128]
	v_add_f64 v[127:128], v[143:144], v[129:130]
	s_waitcnt vmcnt(8) lgkmcnt(1)
	v_mul_f64 v[129:130], v[2:3], v[121:122]
	v_mul_f64 v[121:122], v[4:5], v[121:122]
	s_delay_alu instid0(VALU_DEP_4) | instskip(NEXT) | instid1(VALU_DEP_4)
	v_add_f64 v[32:33], v[35:36], v[149:150]
	v_add_f64 v[35:36], v[127:128], v[147:148]
	s_waitcnt vmcnt(6) lgkmcnt(0)
	v_mul_f64 v[127:128], v[26:27], v[137:138]
	v_mul_f64 v[137:138], v[28:29], v[137:138]
	v_fma_f64 v[129:130], v[4:5], v[119:120], v[129:130]
	v_fma_f64 v[119:120], v[2:3], v[119:120], -v[121:122]
	v_add_f64 v[121:122], v[32:33], v[30:31]
	v_add_f64 v[35:36], v[35:36], v[141:142]
	ds_load_b128 v[2:5], v1 offset:768
	ds_load_b128 v[30:33], v1 offset:784
	v_fma_f64 v[28:29], v[28:29], v[135:136], v[127:128]
	v_fma_f64 v[26:27], v[26:27], v[135:136], -v[137:138]
	s_waitcnt vmcnt(5) lgkmcnt(1)
	v_mul_f64 v[139:140], v[2:3], v[125:126]
	v_mul_f64 v[125:126], v[4:5], v[125:126]
	v_add_f64 v[119:120], v[121:122], v[119:120]
	v_add_f64 v[35:36], v[35:36], v[129:130]
	s_waitcnt vmcnt(4) lgkmcnt(0)
	v_mul_f64 v[121:122], v[30:31], v[8:9]
	v_mul_f64 v[8:9], v[32:33], v[8:9]
	v_fma_f64 v[127:128], v[4:5], v[123:124], v[139:140]
	v_fma_f64 v[123:124], v[2:3], v[123:124], -v[125:126]
	v_add_f64 v[119:120], v[119:120], v[26:27]
	v_add_f64 v[35:36], v[35:36], v[28:29]
	ds_load_b128 v[2:5], v1 offset:800
	ds_load_b128 v[26:29], v1 offset:816
	v_fma_f64 v[32:33], v[32:33], v[6:7], v[121:122]
	v_fma_f64 v[6:7], v[30:31], v[6:7], -v[8:9]
	s_waitcnt vmcnt(3) lgkmcnt(1)
	v_mul_f64 v[125:126], v[2:3], v[12:13]
	v_mul_f64 v[12:13], v[4:5], v[12:13]
	;; [unrolled: 16-line block ×3, first 2 shown]
	s_waitcnt vmcnt(0) lgkmcnt(0)
	v_mul_f64 v[16:17], v[6:7], v[24:25]
	v_mul_f64 v[24:25], v[8:9], v[24:25]
	v_add_f64 v[10:11], v[12:13], v[10:11]
	v_add_f64 v[12:13], v[30:31], v[119:120]
	v_fma_f64 v[4:5], v[4:5], v[18:19], v[32:33]
	v_fma_f64 v[1:2], v[2:3], v[18:19], -v[20:21]
	v_fma_f64 v[8:9], v[8:9], v[22:23], v[16:17]
	v_fma_f64 v[6:7], v[6:7], v[22:23], -v[24:25]
	v_add_f64 v[10:11], v[10:11], v[14:15]
	v_add_f64 v[12:13], v[12:13], v[28:29]
	s_delay_alu instid0(VALU_DEP_2) | instskip(NEXT) | instid1(VALU_DEP_2)
	v_add_f64 v[1:2], v[10:11], v[1:2]
	v_add_f64 v[3:4], v[12:13], v[4:5]
	s_delay_alu instid0(VALU_DEP_2) | instskip(NEXT) | instid1(VALU_DEP_2)
	;; [unrolled: 3-line block ×3, first 2 shown]
	v_add_f64 v[1:2], v[131:132], -v[1:2]
	v_add_f64 v[3:4], v[133:134], -v[3:4]
	scratch_store_b128 off, v[1:4], off offset:160
	v_cmpx_lt_u32_e32 9, v92
	s_cbranch_execz .LBB26_157
; %bb.156:
	scratch_load_b128 v[1:4], v103, off
	v_mov_b32_e32 v5, 0
	s_delay_alu instid0(VALU_DEP_1)
	v_mov_b32_e32 v6, v5
	v_mov_b32_e32 v7, v5
	;; [unrolled: 1-line block ×3, first 2 shown]
	scratch_store_b128 off, v[5:8], off offset:144
	s_waitcnt vmcnt(0)
	ds_store_b128 v34, v[1:4]
.LBB26_157:
	s_or_b32 exec_lo, exec_lo, s2
	s_waitcnt lgkmcnt(0)
	s_waitcnt_vscnt null, 0x0
	s_barrier
	buffer_gl0_inv
	s_clause 0x7
	scratch_load_b128 v[2:5], off, off offset:160
	scratch_load_b128 v[6:9], off, off offset:176
	;; [unrolled: 1-line block ×8, first 2 shown]
	v_mov_b32_e32 v1, 0
	s_mov_b32 s2, exec_lo
	ds_load_b128 v[119:122], v1 offset:592
	s_clause 0x1
	scratch_load_b128 v[123:126], off, off offset:288
	scratch_load_b128 v[127:130], off, off offset:144
	ds_load_b128 v[131:134], v1 offset:608
	scratch_load_b128 v[135:138], off, off offset:304
	ds_load_b128 v[139:142], v1 offset:640
	s_waitcnt vmcnt(10) lgkmcnt(2)
	v_mul_f64 v[35:36], v[121:122], v[4:5]
	v_mul_f64 v[4:5], v[119:120], v[4:5]
	s_delay_alu instid0(VALU_DEP_2) | instskip(NEXT) | instid1(VALU_DEP_2)
	v_fma_f64 v[35:36], v[119:120], v[2:3], -v[35:36]
	v_fma_f64 v[145:146], v[121:122], v[2:3], v[4:5]
	ds_load_b128 v[2:5], v1 offset:624
	s_waitcnt vmcnt(9) lgkmcnt(2)
	v_mul_f64 v[143:144], v[131:132], v[8:9]
	v_mul_f64 v[8:9], v[133:134], v[8:9]
	scratch_load_b128 v[119:122], off, off offset:320
	s_waitcnt vmcnt(9) lgkmcnt(0)
	v_mul_f64 v[147:148], v[2:3], v[12:13]
	v_mul_f64 v[12:13], v[4:5], v[12:13]
	v_add_f64 v[35:36], v[35:36], 0
	v_fma_f64 v[133:134], v[133:134], v[6:7], v[143:144]
	v_fma_f64 v[131:132], v[131:132], v[6:7], -v[8:9]
	v_add_f64 v[143:144], v[145:146], 0
	scratch_load_b128 v[6:9], off, off offset:336
	v_fma_f64 v[147:148], v[4:5], v[10:11], v[147:148]
	v_fma_f64 v[149:150], v[2:3], v[10:11], -v[12:13]
	scratch_load_b128 v[10:13], off, off offset:352
	ds_load_b128 v[2:5], v1 offset:656
	s_waitcnt vmcnt(10)
	v_mul_f64 v[145:146], v[139:140], v[16:17]
	v_mul_f64 v[16:17], v[141:142], v[16:17]
	v_add_f64 v[35:36], v[35:36], v[131:132]
	v_add_f64 v[143:144], v[143:144], v[133:134]
	ds_load_b128 v[131:134], v1 offset:672
	s_waitcnt vmcnt(9) lgkmcnt(1)
	v_mul_f64 v[151:152], v[2:3], v[20:21]
	v_mul_f64 v[20:21], v[4:5], v[20:21]
	v_fma_f64 v[141:142], v[141:142], v[14:15], v[145:146]
	v_fma_f64 v[139:140], v[139:140], v[14:15], -v[16:17]
	scratch_load_b128 v[14:17], off, off offset:368
	v_add_f64 v[35:36], v[35:36], v[149:150]
	v_add_f64 v[143:144], v[143:144], v[147:148]
	v_fma_f64 v[147:148], v[4:5], v[18:19], v[151:152]
	v_fma_f64 v[149:150], v[2:3], v[18:19], -v[20:21]
	scratch_load_b128 v[18:21], off, off offset:384
	ds_load_b128 v[2:5], v1 offset:688
	s_waitcnt vmcnt(10) lgkmcnt(1)
	v_mul_f64 v[145:146], v[131:132], v[24:25]
	v_mul_f64 v[24:25], v[133:134], v[24:25]
	s_waitcnt vmcnt(9) lgkmcnt(0)
	v_mul_f64 v[151:152], v[2:3], v[28:29]
	v_mul_f64 v[28:29], v[4:5], v[28:29]
	v_add_f64 v[35:36], v[35:36], v[139:140]
	v_add_f64 v[143:144], v[143:144], v[141:142]
	ds_load_b128 v[139:142], v1 offset:704
	v_fma_f64 v[133:134], v[133:134], v[22:23], v[145:146]
	v_fma_f64 v[131:132], v[131:132], v[22:23], -v[24:25]
	scratch_load_b128 v[22:25], off, off offset:400
	v_add_f64 v[35:36], v[35:36], v[149:150]
	v_add_f64 v[143:144], v[143:144], v[147:148]
	v_fma_f64 v[147:148], v[4:5], v[26:27], v[151:152]
	v_fma_f64 v[149:150], v[2:3], v[26:27], -v[28:29]
	scratch_load_b128 v[26:29], off, off offset:416
	ds_load_b128 v[2:5], v1 offset:720
	s_waitcnt vmcnt(10) lgkmcnt(1)
	v_mul_f64 v[145:146], v[139:140], v[32:33]
	v_mul_f64 v[32:33], v[141:142], v[32:33]
	s_waitcnt vmcnt(9) lgkmcnt(0)
	v_mul_f64 v[151:152], v[2:3], v[125:126]
	v_mul_f64 v[125:126], v[4:5], v[125:126]
	v_add_f64 v[35:36], v[35:36], v[131:132]
	v_add_f64 v[143:144], v[143:144], v[133:134]
	ds_load_b128 v[131:134], v1 offset:736
	v_fma_f64 v[141:142], v[141:142], v[30:31], v[145:146]
	v_fma_f64 v[30:31], v[139:140], v[30:31], -v[32:33]
	s_waitcnt vmcnt(7) lgkmcnt(0)
	v_mul_f64 v[139:140], v[131:132], v[137:138]
	v_mul_f64 v[137:138], v[133:134], v[137:138]
	v_add_f64 v[32:33], v[35:36], v[149:150]
	v_add_f64 v[35:36], v[143:144], v[147:148]
	v_fma_f64 v[143:144], v[4:5], v[123:124], v[151:152]
	v_fma_f64 v[123:124], v[2:3], v[123:124], -v[125:126]
	v_fma_f64 v[133:134], v[133:134], v[135:136], v[139:140]
	v_fma_f64 v[131:132], v[131:132], v[135:136], -v[137:138]
	v_add_f64 v[125:126], v[32:33], v[30:31]
	v_add_f64 v[35:36], v[35:36], v[141:142]
	ds_load_b128 v[2:5], v1 offset:752
	ds_load_b128 v[30:33], v1 offset:768
	s_waitcnt vmcnt(6) lgkmcnt(1)
	v_mul_f64 v[141:142], v[2:3], v[121:122]
	v_mul_f64 v[121:122], v[4:5], v[121:122]
	v_add_f64 v[123:124], v[125:126], v[123:124]
	v_add_f64 v[35:36], v[35:36], v[143:144]
	s_waitcnt vmcnt(5) lgkmcnt(0)
	v_mul_f64 v[125:126], v[30:31], v[8:9]
	v_mul_f64 v[8:9], v[32:33], v[8:9]
	v_fma_f64 v[135:136], v[4:5], v[119:120], v[141:142]
	v_fma_f64 v[137:138], v[2:3], v[119:120], -v[121:122]
	ds_load_b128 v[2:5], v1 offset:784
	ds_load_b128 v[119:122], v1 offset:800
	v_add_f64 v[123:124], v[123:124], v[131:132]
	v_add_f64 v[35:36], v[35:36], v[133:134]
	s_waitcnt vmcnt(4) lgkmcnt(1)
	v_mul_f64 v[131:132], v[2:3], v[12:13]
	v_mul_f64 v[12:13], v[4:5], v[12:13]
	v_fma_f64 v[32:33], v[32:33], v[6:7], v[125:126]
	v_fma_f64 v[6:7], v[30:31], v[6:7], -v[8:9]
	v_add_f64 v[8:9], v[123:124], v[137:138]
	v_add_f64 v[30:31], v[35:36], v[135:136]
	s_waitcnt vmcnt(3) lgkmcnt(0)
	v_mul_f64 v[35:36], v[119:120], v[16:17]
	v_mul_f64 v[16:17], v[121:122], v[16:17]
	v_fma_f64 v[123:124], v[4:5], v[10:11], v[131:132]
	v_fma_f64 v[10:11], v[2:3], v[10:11], -v[12:13]
	v_add_f64 v[12:13], v[8:9], v[6:7]
	v_add_f64 v[30:31], v[30:31], v[32:33]
	ds_load_b128 v[2:5], v1 offset:816
	ds_load_b128 v[6:9], v1 offset:832
	v_fma_f64 v[35:36], v[121:122], v[14:15], v[35:36]
	v_fma_f64 v[14:15], v[119:120], v[14:15], -v[16:17]
	s_waitcnt vmcnt(2) lgkmcnt(1)
	v_mul_f64 v[32:33], v[2:3], v[20:21]
	v_mul_f64 v[20:21], v[4:5], v[20:21]
	s_waitcnt vmcnt(1) lgkmcnt(0)
	v_mul_f64 v[16:17], v[6:7], v[24:25]
	v_mul_f64 v[24:25], v[8:9], v[24:25]
	v_add_f64 v[10:11], v[12:13], v[10:11]
	v_add_f64 v[12:13], v[30:31], v[123:124]
	v_fma_f64 v[30:31], v[4:5], v[18:19], v[32:33]
	v_fma_f64 v[18:19], v[2:3], v[18:19], -v[20:21]
	ds_load_b128 v[2:5], v1 offset:848
	v_fma_f64 v[8:9], v[8:9], v[22:23], v[16:17]
	v_fma_f64 v[6:7], v[6:7], v[22:23], -v[24:25]
	v_add_f64 v[10:11], v[10:11], v[14:15]
	v_add_f64 v[12:13], v[12:13], v[35:36]
	s_waitcnt vmcnt(0) lgkmcnt(0)
	v_mul_f64 v[14:15], v[2:3], v[28:29]
	v_mul_f64 v[20:21], v[4:5], v[28:29]
	s_delay_alu instid0(VALU_DEP_4) | instskip(NEXT) | instid1(VALU_DEP_4)
	v_add_f64 v[10:11], v[10:11], v[18:19]
	v_add_f64 v[12:13], v[12:13], v[30:31]
	s_delay_alu instid0(VALU_DEP_4) | instskip(NEXT) | instid1(VALU_DEP_4)
	v_fma_f64 v[4:5], v[4:5], v[26:27], v[14:15]
	v_fma_f64 v[2:3], v[2:3], v[26:27], -v[20:21]
	s_delay_alu instid0(VALU_DEP_4) | instskip(NEXT) | instid1(VALU_DEP_4)
	v_add_f64 v[6:7], v[10:11], v[6:7]
	v_add_f64 v[8:9], v[12:13], v[8:9]
	s_delay_alu instid0(VALU_DEP_2) | instskip(NEXT) | instid1(VALU_DEP_2)
	v_add_f64 v[2:3], v[6:7], v[2:3]
	v_add_f64 v[4:5], v[8:9], v[4:5]
	s_delay_alu instid0(VALU_DEP_2) | instskip(NEXT) | instid1(VALU_DEP_2)
	v_add_f64 v[2:3], v[127:128], -v[2:3]
	v_add_f64 v[4:5], v[129:130], -v[4:5]
	scratch_store_b128 off, v[2:5], off offset:144
	v_cmpx_lt_u32_e32 8, v92
	s_cbranch_execz .LBB26_159
; %bb.158:
	scratch_load_b128 v[5:8], v102, off
	v_mov_b32_e32 v2, v1
	v_mov_b32_e32 v3, v1
	;; [unrolled: 1-line block ×3, first 2 shown]
	scratch_store_b128 off, v[1:4], off offset:128
	s_waitcnt vmcnt(0)
	ds_store_b128 v34, v[5:8]
.LBB26_159:
	s_or_b32 exec_lo, exec_lo, s2
	s_waitcnt lgkmcnt(0)
	s_waitcnt_vscnt null, 0x0
	s_barrier
	buffer_gl0_inv
	s_clause 0x8
	scratch_load_b128 v[2:5], off, off offset:144
	scratch_load_b128 v[6:9], off, off offset:160
	;; [unrolled: 1-line block ×9, first 2 shown]
	ds_load_b128 v[123:126], v1 offset:576
	ds_load_b128 v[127:130], v1 offset:592
	s_clause 0x1
	scratch_load_b128 v[131:134], off, off offset:128
	scratch_load_b128 v[135:138], off, off offset:288
	s_mov_b32 s2, exec_lo
	ds_load_b128 v[139:142], v1 offset:624
	s_waitcnt vmcnt(10) lgkmcnt(2)
	v_mul_f64 v[35:36], v[125:126], v[4:5]
	v_mul_f64 v[4:5], v[123:124], v[4:5]
	s_waitcnt vmcnt(9) lgkmcnt(1)
	v_mul_f64 v[143:144], v[127:128], v[8:9]
	v_mul_f64 v[8:9], v[129:130], v[8:9]
	s_delay_alu instid0(VALU_DEP_4) | instskip(NEXT) | instid1(VALU_DEP_4)
	v_fma_f64 v[35:36], v[123:124], v[2:3], -v[35:36]
	v_fma_f64 v[145:146], v[125:126], v[2:3], v[4:5]
	ds_load_b128 v[2:5], v1 offset:608
	scratch_load_b128 v[123:126], off, off offset:304
	v_fma_f64 v[129:130], v[129:130], v[6:7], v[143:144]
	v_fma_f64 v[127:128], v[127:128], v[6:7], -v[8:9]
	scratch_load_b128 v[6:9], off, off offset:320
	s_waitcnt vmcnt(10) lgkmcnt(0)
	v_mul_f64 v[147:148], v[2:3], v[12:13]
	v_mul_f64 v[12:13], v[4:5], v[12:13]
	v_add_f64 v[35:36], v[35:36], 0
	v_add_f64 v[143:144], v[145:146], 0
	s_waitcnt vmcnt(9)
	v_mul_f64 v[145:146], v[139:140], v[16:17]
	v_mul_f64 v[16:17], v[141:142], v[16:17]
	v_fma_f64 v[147:148], v[4:5], v[10:11], v[147:148]
	v_fma_f64 v[149:150], v[2:3], v[10:11], -v[12:13]
	ds_load_b128 v[2:5], v1 offset:640
	scratch_load_b128 v[10:13], off, off offset:336
	v_add_f64 v[35:36], v[35:36], v[127:128]
	v_add_f64 v[143:144], v[143:144], v[129:130]
	ds_load_b128 v[127:130], v1 offset:656
	v_fma_f64 v[141:142], v[141:142], v[14:15], v[145:146]
	v_fma_f64 v[139:140], v[139:140], v[14:15], -v[16:17]
	scratch_load_b128 v[14:17], off, off offset:352
	s_waitcnt vmcnt(10) lgkmcnt(1)
	v_mul_f64 v[151:152], v[2:3], v[20:21]
	v_mul_f64 v[20:21], v[4:5], v[20:21]
	s_waitcnt vmcnt(9) lgkmcnt(0)
	v_mul_f64 v[145:146], v[127:128], v[24:25]
	v_mul_f64 v[24:25], v[129:130], v[24:25]
	v_add_f64 v[35:36], v[35:36], v[149:150]
	v_add_f64 v[143:144], v[143:144], v[147:148]
	v_fma_f64 v[147:148], v[4:5], v[18:19], v[151:152]
	v_fma_f64 v[149:150], v[2:3], v[18:19], -v[20:21]
	ds_load_b128 v[2:5], v1 offset:672
	scratch_load_b128 v[18:21], off, off offset:368
	v_fma_f64 v[129:130], v[129:130], v[22:23], v[145:146]
	v_fma_f64 v[127:128], v[127:128], v[22:23], -v[24:25]
	scratch_load_b128 v[22:25], off, off offset:384
	v_add_f64 v[35:36], v[35:36], v[139:140]
	v_add_f64 v[143:144], v[143:144], v[141:142]
	ds_load_b128 v[139:142], v1 offset:688
	s_waitcnt vmcnt(10) lgkmcnt(1)
	v_mul_f64 v[151:152], v[2:3], v[28:29]
	v_mul_f64 v[28:29], v[4:5], v[28:29]
	s_waitcnt vmcnt(9) lgkmcnt(0)
	v_mul_f64 v[145:146], v[139:140], v[32:33]
	v_mul_f64 v[32:33], v[141:142], v[32:33]
	v_add_f64 v[35:36], v[35:36], v[149:150]
	v_add_f64 v[143:144], v[143:144], v[147:148]
	v_fma_f64 v[147:148], v[4:5], v[26:27], v[151:152]
	v_fma_f64 v[149:150], v[2:3], v[26:27], -v[28:29]
	ds_load_b128 v[2:5], v1 offset:704
	scratch_load_b128 v[26:29], off, off offset:400
	v_fma_f64 v[141:142], v[141:142], v[30:31], v[145:146]
	v_fma_f64 v[139:140], v[139:140], v[30:31], -v[32:33]
	scratch_load_b128 v[30:33], off, off offset:416
	v_add_f64 v[35:36], v[35:36], v[127:128]
	v_add_f64 v[143:144], v[143:144], v[129:130]
	ds_load_b128 v[127:130], v1 offset:720
	s_waitcnt vmcnt(10) lgkmcnt(1)
	v_mul_f64 v[151:152], v[2:3], v[121:122]
	v_mul_f64 v[121:122], v[4:5], v[121:122]
	s_waitcnt vmcnt(8) lgkmcnt(0)
	v_mul_f64 v[145:146], v[127:128], v[137:138]
	v_mul_f64 v[137:138], v[129:130], v[137:138]
	v_add_f64 v[35:36], v[35:36], v[149:150]
	v_add_f64 v[143:144], v[143:144], v[147:148]
	v_fma_f64 v[147:148], v[4:5], v[119:120], v[151:152]
	v_fma_f64 v[149:150], v[2:3], v[119:120], -v[121:122]
	ds_load_b128 v[2:5], v1 offset:736
	ds_load_b128 v[119:122], v1 offset:752
	v_fma_f64 v[129:130], v[129:130], v[135:136], v[145:146]
	v_fma_f64 v[127:128], v[127:128], v[135:136], -v[137:138]
	v_add_f64 v[35:36], v[35:36], v[139:140]
	v_add_f64 v[139:140], v[143:144], v[141:142]
	s_waitcnt vmcnt(7) lgkmcnt(1)
	v_mul_f64 v[141:142], v[2:3], v[125:126]
	v_mul_f64 v[125:126], v[4:5], v[125:126]
	s_waitcnt vmcnt(6) lgkmcnt(0)
	v_mul_f64 v[137:138], v[119:120], v[8:9]
	v_mul_f64 v[8:9], v[121:122], v[8:9]
	v_add_f64 v[35:36], v[35:36], v[149:150]
	v_add_f64 v[135:136], v[139:140], v[147:148]
	v_fma_f64 v[139:140], v[4:5], v[123:124], v[141:142]
	v_fma_f64 v[141:142], v[2:3], v[123:124], -v[125:126]
	ds_load_b128 v[2:5], v1 offset:768
	ds_load_b128 v[123:126], v1 offset:784
	v_fma_f64 v[121:122], v[121:122], v[6:7], v[137:138]
	v_fma_f64 v[6:7], v[119:120], v[6:7], -v[8:9]
	v_add_f64 v[35:36], v[35:36], v[127:128]
	v_add_f64 v[127:128], v[135:136], v[129:130]
	s_waitcnt vmcnt(5) lgkmcnt(1)
	v_mul_f64 v[129:130], v[2:3], v[12:13]
	v_mul_f64 v[12:13], v[4:5], v[12:13]
	s_waitcnt vmcnt(4) lgkmcnt(0)
	v_mul_f64 v[119:120], v[123:124], v[16:17]
	v_mul_f64 v[16:17], v[125:126], v[16:17]
	v_add_f64 v[8:9], v[35:36], v[141:142]
	v_add_f64 v[35:36], v[127:128], v[139:140]
	v_fma_f64 v[127:128], v[4:5], v[10:11], v[129:130]
	v_fma_f64 v[10:11], v[2:3], v[10:11], -v[12:13]
	v_fma_f64 v[119:120], v[125:126], v[14:15], v[119:120]
	v_fma_f64 v[14:15], v[123:124], v[14:15], -v[16:17]
	v_add_f64 v[12:13], v[8:9], v[6:7]
	v_add_f64 v[35:36], v[35:36], v[121:122]
	ds_load_b128 v[2:5], v1 offset:800
	ds_load_b128 v[6:9], v1 offset:816
	s_waitcnt vmcnt(3) lgkmcnt(1)
	v_mul_f64 v[121:122], v[2:3], v[20:21]
	v_mul_f64 v[20:21], v[4:5], v[20:21]
	s_waitcnt vmcnt(2) lgkmcnt(0)
	v_mul_f64 v[16:17], v[6:7], v[24:25]
	v_mul_f64 v[24:25], v[8:9], v[24:25]
	v_add_f64 v[10:11], v[12:13], v[10:11]
	v_add_f64 v[12:13], v[35:36], v[127:128]
	v_fma_f64 v[35:36], v[4:5], v[18:19], v[121:122]
	v_fma_f64 v[18:19], v[2:3], v[18:19], -v[20:21]
	v_fma_f64 v[8:9], v[8:9], v[22:23], v[16:17]
	v_fma_f64 v[6:7], v[6:7], v[22:23], -v[24:25]
	v_add_f64 v[14:15], v[10:11], v[14:15]
	v_add_f64 v[20:21], v[12:13], v[119:120]
	ds_load_b128 v[2:5], v1 offset:832
	ds_load_b128 v[10:13], v1 offset:848
	s_waitcnt vmcnt(1) lgkmcnt(1)
	v_mul_f64 v[119:120], v[2:3], v[28:29]
	v_mul_f64 v[28:29], v[4:5], v[28:29]
	v_add_f64 v[14:15], v[14:15], v[18:19]
	v_add_f64 v[16:17], v[20:21], v[35:36]
	s_waitcnt vmcnt(0) lgkmcnt(0)
	v_mul_f64 v[18:19], v[10:11], v[32:33]
	v_mul_f64 v[20:21], v[12:13], v[32:33]
	v_fma_f64 v[4:5], v[4:5], v[26:27], v[119:120]
	v_fma_f64 v[1:2], v[2:3], v[26:27], -v[28:29]
	v_add_f64 v[6:7], v[14:15], v[6:7]
	v_add_f64 v[8:9], v[16:17], v[8:9]
	v_fma_f64 v[12:13], v[12:13], v[30:31], v[18:19]
	v_fma_f64 v[10:11], v[10:11], v[30:31], -v[20:21]
	s_delay_alu instid0(VALU_DEP_4) | instskip(NEXT) | instid1(VALU_DEP_4)
	v_add_f64 v[1:2], v[6:7], v[1:2]
	v_add_f64 v[3:4], v[8:9], v[4:5]
	s_delay_alu instid0(VALU_DEP_2) | instskip(NEXT) | instid1(VALU_DEP_2)
	v_add_f64 v[1:2], v[1:2], v[10:11]
	v_add_f64 v[3:4], v[3:4], v[12:13]
	s_delay_alu instid0(VALU_DEP_2) | instskip(NEXT) | instid1(VALU_DEP_2)
	v_add_f64 v[1:2], v[131:132], -v[1:2]
	v_add_f64 v[3:4], v[133:134], -v[3:4]
	scratch_store_b128 off, v[1:4], off offset:128
	v_cmpx_lt_u32_e32 7, v92
	s_cbranch_execz .LBB26_161
; %bb.160:
	scratch_load_b128 v[1:4], v104, off
	v_mov_b32_e32 v5, 0
	s_delay_alu instid0(VALU_DEP_1)
	v_mov_b32_e32 v6, v5
	v_mov_b32_e32 v7, v5
	;; [unrolled: 1-line block ×3, first 2 shown]
	scratch_store_b128 off, v[5:8], off offset:112
	s_waitcnt vmcnt(0)
	ds_store_b128 v34, v[1:4]
.LBB26_161:
	s_or_b32 exec_lo, exec_lo, s2
	s_waitcnt lgkmcnt(0)
	s_waitcnt_vscnt null, 0x0
	s_barrier
	buffer_gl0_inv
	s_clause 0x7
	scratch_load_b128 v[2:5], off, off offset:128
	scratch_load_b128 v[6:9], off, off offset:144
	;; [unrolled: 1-line block ×8, first 2 shown]
	v_mov_b32_e32 v1, 0
	s_mov_b32 s2, exec_lo
	ds_load_b128 v[119:122], v1 offset:560
	s_clause 0x1
	scratch_load_b128 v[123:126], off, off offset:256
	scratch_load_b128 v[127:130], off, off offset:112
	ds_load_b128 v[131:134], v1 offset:576
	scratch_load_b128 v[135:138], off, off offset:272
	ds_load_b128 v[139:142], v1 offset:608
	s_waitcnt vmcnt(10) lgkmcnt(2)
	v_mul_f64 v[35:36], v[121:122], v[4:5]
	v_mul_f64 v[4:5], v[119:120], v[4:5]
	s_delay_alu instid0(VALU_DEP_2) | instskip(NEXT) | instid1(VALU_DEP_2)
	v_fma_f64 v[35:36], v[119:120], v[2:3], -v[35:36]
	v_fma_f64 v[145:146], v[121:122], v[2:3], v[4:5]
	ds_load_b128 v[2:5], v1 offset:592
	s_waitcnt vmcnt(9) lgkmcnt(2)
	v_mul_f64 v[143:144], v[131:132], v[8:9]
	v_mul_f64 v[8:9], v[133:134], v[8:9]
	scratch_load_b128 v[119:122], off, off offset:288
	s_waitcnt vmcnt(9) lgkmcnt(0)
	v_mul_f64 v[147:148], v[2:3], v[12:13]
	v_mul_f64 v[12:13], v[4:5], v[12:13]
	v_add_f64 v[35:36], v[35:36], 0
	v_fma_f64 v[133:134], v[133:134], v[6:7], v[143:144]
	v_fma_f64 v[131:132], v[131:132], v[6:7], -v[8:9]
	v_add_f64 v[143:144], v[145:146], 0
	scratch_load_b128 v[6:9], off, off offset:304
	v_fma_f64 v[147:148], v[4:5], v[10:11], v[147:148]
	v_fma_f64 v[149:150], v[2:3], v[10:11], -v[12:13]
	scratch_load_b128 v[10:13], off, off offset:320
	ds_load_b128 v[2:5], v1 offset:624
	s_waitcnt vmcnt(10)
	v_mul_f64 v[145:146], v[139:140], v[16:17]
	v_mul_f64 v[16:17], v[141:142], v[16:17]
	v_add_f64 v[35:36], v[35:36], v[131:132]
	v_add_f64 v[143:144], v[143:144], v[133:134]
	ds_load_b128 v[131:134], v1 offset:640
	s_waitcnt vmcnt(9) lgkmcnt(1)
	v_mul_f64 v[151:152], v[2:3], v[20:21]
	v_mul_f64 v[20:21], v[4:5], v[20:21]
	v_fma_f64 v[141:142], v[141:142], v[14:15], v[145:146]
	v_fma_f64 v[139:140], v[139:140], v[14:15], -v[16:17]
	scratch_load_b128 v[14:17], off, off offset:336
	v_add_f64 v[35:36], v[35:36], v[149:150]
	v_add_f64 v[143:144], v[143:144], v[147:148]
	v_fma_f64 v[147:148], v[4:5], v[18:19], v[151:152]
	v_fma_f64 v[149:150], v[2:3], v[18:19], -v[20:21]
	scratch_load_b128 v[18:21], off, off offset:352
	ds_load_b128 v[2:5], v1 offset:656
	s_waitcnt vmcnt(10) lgkmcnt(1)
	v_mul_f64 v[145:146], v[131:132], v[24:25]
	v_mul_f64 v[24:25], v[133:134], v[24:25]
	s_waitcnt vmcnt(9) lgkmcnt(0)
	v_mul_f64 v[151:152], v[2:3], v[28:29]
	v_mul_f64 v[28:29], v[4:5], v[28:29]
	v_add_f64 v[35:36], v[35:36], v[139:140]
	v_add_f64 v[143:144], v[143:144], v[141:142]
	ds_load_b128 v[139:142], v1 offset:672
	v_fma_f64 v[133:134], v[133:134], v[22:23], v[145:146]
	v_fma_f64 v[131:132], v[131:132], v[22:23], -v[24:25]
	scratch_load_b128 v[22:25], off, off offset:368
	v_add_f64 v[35:36], v[35:36], v[149:150]
	v_add_f64 v[143:144], v[143:144], v[147:148]
	v_fma_f64 v[147:148], v[4:5], v[26:27], v[151:152]
	v_fma_f64 v[149:150], v[2:3], v[26:27], -v[28:29]
	scratch_load_b128 v[26:29], off, off offset:384
	ds_load_b128 v[2:5], v1 offset:688
	s_waitcnt vmcnt(10) lgkmcnt(1)
	v_mul_f64 v[145:146], v[139:140], v[32:33]
	v_mul_f64 v[32:33], v[141:142], v[32:33]
	s_waitcnt vmcnt(9) lgkmcnt(0)
	v_mul_f64 v[151:152], v[2:3], v[125:126]
	v_mul_f64 v[125:126], v[4:5], v[125:126]
	v_add_f64 v[35:36], v[35:36], v[131:132]
	v_add_f64 v[143:144], v[143:144], v[133:134]
	ds_load_b128 v[131:134], v1 offset:704
	v_fma_f64 v[141:142], v[141:142], v[30:31], v[145:146]
	v_fma_f64 v[139:140], v[139:140], v[30:31], -v[32:33]
	scratch_load_b128 v[30:33], off, off offset:400
	v_add_f64 v[35:36], v[35:36], v[149:150]
	v_add_f64 v[143:144], v[143:144], v[147:148]
	v_fma_f64 v[149:150], v[4:5], v[123:124], v[151:152]
	v_fma_f64 v[151:152], v[2:3], v[123:124], -v[125:126]
	scratch_load_b128 v[123:126], off, off offset:416
	ds_load_b128 v[2:5], v1 offset:720
	s_waitcnt vmcnt(9) lgkmcnt(1)
	v_mul_f64 v[145:146], v[131:132], v[137:138]
	v_mul_f64 v[147:148], v[133:134], v[137:138]
	v_add_f64 v[35:36], v[35:36], v[139:140]
	v_add_f64 v[141:142], v[143:144], v[141:142]
	ds_load_b128 v[137:140], v1 offset:736
	v_fma_f64 v[133:134], v[133:134], v[135:136], v[145:146]
	v_fma_f64 v[131:132], v[131:132], v[135:136], -v[147:148]
	s_waitcnt vmcnt(8) lgkmcnt(1)
	v_mul_f64 v[143:144], v[2:3], v[121:122]
	v_mul_f64 v[121:122], v[4:5], v[121:122]
	v_add_f64 v[35:36], v[35:36], v[151:152]
	v_add_f64 v[135:136], v[141:142], v[149:150]
	s_delay_alu instid0(VALU_DEP_4)
	v_fma_f64 v[143:144], v[4:5], v[119:120], v[143:144]
	s_waitcnt vmcnt(7) lgkmcnt(0)
	v_mul_f64 v[141:142], v[137:138], v[8:9]
	v_mul_f64 v[8:9], v[139:140], v[8:9]
	v_fma_f64 v[145:146], v[2:3], v[119:120], -v[121:122]
	ds_load_b128 v[2:5], v1 offset:752
	ds_load_b128 v[119:122], v1 offset:768
	v_add_f64 v[35:36], v[35:36], v[131:132]
	v_add_f64 v[131:132], v[135:136], v[133:134]
	s_waitcnt vmcnt(6) lgkmcnt(1)
	v_mul_f64 v[133:134], v[2:3], v[12:13]
	v_mul_f64 v[12:13], v[4:5], v[12:13]
	v_fma_f64 v[135:136], v[139:140], v[6:7], v[141:142]
	v_fma_f64 v[6:7], v[137:138], v[6:7], -v[8:9]
	v_add_f64 v[8:9], v[35:36], v[145:146]
	v_add_f64 v[35:36], v[131:132], v[143:144]
	s_waitcnt vmcnt(5) lgkmcnt(0)
	v_mul_f64 v[131:132], v[119:120], v[16:17]
	v_mul_f64 v[16:17], v[121:122], v[16:17]
	v_fma_f64 v[133:134], v[4:5], v[10:11], v[133:134]
	v_fma_f64 v[10:11], v[2:3], v[10:11], -v[12:13]
	v_add_f64 v[12:13], v[8:9], v[6:7]
	v_add_f64 v[35:36], v[35:36], v[135:136]
	ds_load_b128 v[2:5], v1 offset:784
	ds_load_b128 v[6:9], v1 offset:800
	v_fma_f64 v[121:122], v[121:122], v[14:15], v[131:132]
	v_fma_f64 v[14:15], v[119:120], v[14:15], -v[16:17]
	s_waitcnt vmcnt(4) lgkmcnt(1)
	v_mul_f64 v[135:136], v[2:3], v[20:21]
	v_mul_f64 v[20:21], v[4:5], v[20:21]
	s_waitcnt vmcnt(3) lgkmcnt(0)
	v_mul_f64 v[16:17], v[6:7], v[24:25]
	v_mul_f64 v[24:25], v[8:9], v[24:25]
	v_add_f64 v[10:11], v[12:13], v[10:11]
	v_add_f64 v[12:13], v[35:36], v[133:134]
	v_fma_f64 v[35:36], v[4:5], v[18:19], v[135:136]
	v_fma_f64 v[18:19], v[2:3], v[18:19], -v[20:21]
	v_fma_f64 v[8:9], v[8:9], v[22:23], v[16:17]
	v_fma_f64 v[6:7], v[6:7], v[22:23], -v[24:25]
	v_add_f64 v[14:15], v[10:11], v[14:15]
	v_add_f64 v[20:21], v[12:13], v[121:122]
	ds_load_b128 v[2:5], v1 offset:816
	ds_load_b128 v[10:13], v1 offset:832
	s_waitcnt vmcnt(2) lgkmcnt(1)
	v_mul_f64 v[119:120], v[2:3], v[28:29]
	v_mul_f64 v[28:29], v[4:5], v[28:29]
	v_add_f64 v[14:15], v[14:15], v[18:19]
	v_add_f64 v[16:17], v[20:21], v[35:36]
	s_waitcnt vmcnt(1) lgkmcnt(0)
	v_mul_f64 v[18:19], v[10:11], v[32:33]
	v_mul_f64 v[20:21], v[12:13], v[32:33]
	v_fma_f64 v[22:23], v[4:5], v[26:27], v[119:120]
	v_fma_f64 v[24:25], v[2:3], v[26:27], -v[28:29]
	ds_load_b128 v[2:5], v1 offset:848
	v_add_f64 v[6:7], v[14:15], v[6:7]
	v_add_f64 v[8:9], v[16:17], v[8:9]
	v_fma_f64 v[12:13], v[12:13], v[30:31], v[18:19]
	v_fma_f64 v[10:11], v[10:11], v[30:31], -v[20:21]
	s_waitcnt vmcnt(0) lgkmcnt(0)
	v_mul_f64 v[14:15], v[2:3], v[125:126]
	v_mul_f64 v[16:17], v[4:5], v[125:126]
	v_add_f64 v[6:7], v[6:7], v[24:25]
	v_add_f64 v[8:9], v[8:9], v[22:23]
	s_delay_alu instid0(VALU_DEP_4) | instskip(NEXT) | instid1(VALU_DEP_4)
	v_fma_f64 v[4:5], v[4:5], v[123:124], v[14:15]
	v_fma_f64 v[2:3], v[2:3], v[123:124], -v[16:17]
	s_delay_alu instid0(VALU_DEP_4) | instskip(NEXT) | instid1(VALU_DEP_4)
	v_add_f64 v[6:7], v[6:7], v[10:11]
	v_add_f64 v[8:9], v[8:9], v[12:13]
	s_delay_alu instid0(VALU_DEP_2) | instskip(NEXT) | instid1(VALU_DEP_2)
	v_add_f64 v[2:3], v[6:7], v[2:3]
	v_add_f64 v[4:5], v[8:9], v[4:5]
	s_delay_alu instid0(VALU_DEP_2) | instskip(NEXT) | instid1(VALU_DEP_2)
	v_add_f64 v[2:3], v[127:128], -v[2:3]
	v_add_f64 v[4:5], v[129:130], -v[4:5]
	scratch_store_b128 off, v[2:5], off offset:112
	v_cmpx_lt_u32_e32 6, v92
	s_cbranch_execz .LBB26_163
; %bb.162:
	scratch_load_b128 v[5:8], v105, off
	v_mov_b32_e32 v2, v1
	v_mov_b32_e32 v3, v1
	;; [unrolled: 1-line block ×3, first 2 shown]
	scratch_store_b128 off, v[1:4], off offset:96
	s_waitcnt vmcnt(0)
	ds_store_b128 v34, v[5:8]
.LBB26_163:
	s_or_b32 exec_lo, exec_lo, s2
	s_waitcnt lgkmcnt(0)
	s_waitcnt_vscnt null, 0x0
	s_barrier
	buffer_gl0_inv
	s_clause 0x8
	scratch_load_b128 v[2:5], off, off offset:112
	scratch_load_b128 v[6:9], off, off offset:128
	scratch_load_b128 v[10:13], off, off offset:144
	scratch_load_b128 v[14:17], off, off offset:160
	scratch_load_b128 v[18:21], off, off offset:176
	scratch_load_b128 v[22:25], off, off offset:192
	scratch_load_b128 v[26:29], off, off offset:208
	scratch_load_b128 v[30:33], off, off offset:224
	scratch_load_b128 v[119:122], off, off offset:240
	ds_load_b128 v[123:126], v1 offset:544
	ds_load_b128 v[127:130], v1 offset:560
	s_clause 0x1
	scratch_load_b128 v[131:134], off, off offset:96
	scratch_load_b128 v[135:138], off, off offset:256
	s_mov_b32 s2, exec_lo
	ds_load_b128 v[139:142], v1 offset:592
	s_waitcnt vmcnt(10) lgkmcnt(2)
	v_mul_f64 v[35:36], v[125:126], v[4:5]
	v_mul_f64 v[4:5], v[123:124], v[4:5]
	s_waitcnt vmcnt(9) lgkmcnt(1)
	v_mul_f64 v[143:144], v[127:128], v[8:9]
	v_mul_f64 v[8:9], v[129:130], v[8:9]
	s_delay_alu instid0(VALU_DEP_4) | instskip(NEXT) | instid1(VALU_DEP_4)
	v_fma_f64 v[35:36], v[123:124], v[2:3], -v[35:36]
	v_fma_f64 v[145:146], v[125:126], v[2:3], v[4:5]
	ds_load_b128 v[2:5], v1 offset:576
	scratch_load_b128 v[123:126], off, off offset:272
	v_fma_f64 v[129:130], v[129:130], v[6:7], v[143:144]
	v_fma_f64 v[127:128], v[127:128], v[6:7], -v[8:9]
	scratch_load_b128 v[6:9], off, off offset:288
	s_waitcnt vmcnt(10) lgkmcnt(0)
	v_mul_f64 v[147:148], v[2:3], v[12:13]
	v_mul_f64 v[12:13], v[4:5], v[12:13]
	v_add_f64 v[35:36], v[35:36], 0
	v_add_f64 v[143:144], v[145:146], 0
	s_waitcnt vmcnt(9)
	v_mul_f64 v[145:146], v[139:140], v[16:17]
	v_mul_f64 v[16:17], v[141:142], v[16:17]
	v_fma_f64 v[147:148], v[4:5], v[10:11], v[147:148]
	v_fma_f64 v[149:150], v[2:3], v[10:11], -v[12:13]
	ds_load_b128 v[2:5], v1 offset:608
	scratch_load_b128 v[10:13], off, off offset:304
	v_add_f64 v[35:36], v[35:36], v[127:128]
	v_add_f64 v[143:144], v[143:144], v[129:130]
	ds_load_b128 v[127:130], v1 offset:624
	v_fma_f64 v[141:142], v[141:142], v[14:15], v[145:146]
	v_fma_f64 v[139:140], v[139:140], v[14:15], -v[16:17]
	scratch_load_b128 v[14:17], off, off offset:320
	s_waitcnt vmcnt(10) lgkmcnt(1)
	v_mul_f64 v[151:152], v[2:3], v[20:21]
	v_mul_f64 v[20:21], v[4:5], v[20:21]
	s_waitcnt vmcnt(9) lgkmcnt(0)
	v_mul_f64 v[145:146], v[127:128], v[24:25]
	v_mul_f64 v[24:25], v[129:130], v[24:25]
	v_add_f64 v[35:36], v[35:36], v[149:150]
	v_add_f64 v[143:144], v[143:144], v[147:148]
	v_fma_f64 v[147:148], v[4:5], v[18:19], v[151:152]
	v_fma_f64 v[149:150], v[2:3], v[18:19], -v[20:21]
	ds_load_b128 v[2:5], v1 offset:640
	scratch_load_b128 v[18:21], off, off offset:336
	v_fma_f64 v[129:130], v[129:130], v[22:23], v[145:146]
	v_fma_f64 v[127:128], v[127:128], v[22:23], -v[24:25]
	scratch_load_b128 v[22:25], off, off offset:352
	v_add_f64 v[35:36], v[35:36], v[139:140]
	v_add_f64 v[143:144], v[143:144], v[141:142]
	ds_load_b128 v[139:142], v1 offset:656
	s_waitcnt vmcnt(10) lgkmcnt(1)
	v_mul_f64 v[151:152], v[2:3], v[28:29]
	v_mul_f64 v[28:29], v[4:5], v[28:29]
	s_waitcnt vmcnt(9) lgkmcnt(0)
	v_mul_f64 v[145:146], v[139:140], v[32:33]
	v_mul_f64 v[32:33], v[141:142], v[32:33]
	v_add_f64 v[35:36], v[35:36], v[149:150]
	v_add_f64 v[143:144], v[143:144], v[147:148]
	v_fma_f64 v[147:148], v[4:5], v[26:27], v[151:152]
	v_fma_f64 v[149:150], v[2:3], v[26:27], -v[28:29]
	ds_load_b128 v[2:5], v1 offset:672
	scratch_load_b128 v[26:29], off, off offset:368
	v_fma_f64 v[141:142], v[141:142], v[30:31], v[145:146]
	v_fma_f64 v[139:140], v[139:140], v[30:31], -v[32:33]
	scratch_load_b128 v[30:33], off, off offset:384
	v_add_f64 v[35:36], v[35:36], v[127:128]
	v_add_f64 v[143:144], v[143:144], v[129:130]
	ds_load_b128 v[127:130], v1 offset:688
	s_waitcnt vmcnt(10) lgkmcnt(1)
	v_mul_f64 v[151:152], v[2:3], v[121:122]
	v_mul_f64 v[121:122], v[4:5], v[121:122]
	s_waitcnt vmcnt(8) lgkmcnt(0)
	v_mul_f64 v[145:146], v[127:128], v[137:138]
	v_add_f64 v[35:36], v[35:36], v[149:150]
	v_add_f64 v[143:144], v[143:144], v[147:148]
	v_mul_f64 v[147:148], v[129:130], v[137:138]
	v_fma_f64 v[149:150], v[4:5], v[119:120], v[151:152]
	v_fma_f64 v[151:152], v[2:3], v[119:120], -v[121:122]
	ds_load_b128 v[2:5], v1 offset:704
	scratch_load_b128 v[119:122], off, off offset:400
	v_fma_f64 v[129:130], v[129:130], v[135:136], v[145:146]
	v_add_f64 v[35:36], v[35:36], v[139:140]
	v_add_f64 v[141:142], v[143:144], v[141:142]
	ds_load_b128 v[137:140], v1 offset:720
	v_fma_f64 v[135:136], v[127:128], v[135:136], -v[147:148]
	s_waitcnt vmcnt(8) lgkmcnt(1)
	v_mul_f64 v[143:144], v[2:3], v[125:126]
	v_mul_f64 v[153:154], v[4:5], v[125:126]
	scratch_load_b128 v[125:128], off, off offset:416
	s_waitcnt vmcnt(8) lgkmcnt(0)
	v_mul_f64 v[145:146], v[137:138], v[8:9]
	v_mul_f64 v[8:9], v[139:140], v[8:9]
	v_add_f64 v[35:36], v[35:36], v[151:152]
	v_add_f64 v[141:142], v[141:142], v[149:150]
	v_fma_f64 v[147:148], v[4:5], v[123:124], v[143:144]
	v_fma_f64 v[123:124], v[2:3], v[123:124], -v[153:154]
	v_fma_f64 v[139:140], v[139:140], v[6:7], v[145:146]
	v_fma_f64 v[6:7], v[137:138], v[6:7], -v[8:9]
	v_add_f64 v[35:36], v[35:36], v[135:136]
	v_add_f64 v[129:130], v[141:142], v[129:130]
	ds_load_b128 v[2:5], v1 offset:736
	ds_load_b128 v[141:144], v1 offset:752
	s_waitcnt vmcnt(7) lgkmcnt(1)
	v_mul_f64 v[135:136], v[2:3], v[12:13]
	v_mul_f64 v[12:13], v[4:5], v[12:13]
	v_add_f64 v[8:9], v[35:36], v[123:124]
	v_add_f64 v[35:36], v[129:130], v[147:148]
	s_waitcnt vmcnt(6) lgkmcnt(0)
	v_mul_f64 v[123:124], v[141:142], v[16:17]
	v_mul_f64 v[16:17], v[143:144], v[16:17]
	v_fma_f64 v[129:130], v[4:5], v[10:11], v[135:136]
	v_fma_f64 v[10:11], v[2:3], v[10:11], -v[12:13]
	v_add_f64 v[12:13], v[8:9], v[6:7]
	v_add_f64 v[35:36], v[35:36], v[139:140]
	ds_load_b128 v[2:5], v1 offset:768
	ds_load_b128 v[6:9], v1 offset:784
	v_fma_f64 v[123:124], v[143:144], v[14:15], v[123:124]
	v_fma_f64 v[14:15], v[141:142], v[14:15], -v[16:17]
	s_waitcnt vmcnt(5) lgkmcnt(1)
	v_mul_f64 v[135:136], v[2:3], v[20:21]
	v_mul_f64 v[20:21], v[4:5], v[20:21]
	s_waitcnt vmcnt(4) lgkmcnt(0)
	v_mul_f64 v[16:17], v[6:7], v[24:25]
	v_mul_f64 v[24:25], v[8:9], v[24:25]
	v_add_f64 v[10:11], v[12:13], v[10:11]
	v_add_f64 v[12:13], v[35:36], v[129:130]
	v_fma_f64 v[35:36], v[4:5], v[18:19], v[135:136]
	v_fma_f64 v[18:19], v[2:3], v[18:19], -v[20:21]
	v_fma_f64 v[8:9], v[8:9], v[22:23], v[16:17]
	v_fma_f64 v[6:7], v[6:7], v[22:23], -v[24:25]
	v_add_f64 v[14:15], v[10:11], v[14:15]
	v_add_f64 v[20:21], v[12:13], v[123:124]
	ds_load_b128 v[2:5], v1 offset:800
	ds_load_b128 v[10:13], v1 offset:816
	s_waitcnt vmcnt(3) lgkmcnt(1)
	v_mul_f64 v[123:124], v[2:3], v[28:29]
	v_mul_f64 v[28:29], v[4:5], v[28:29]
	v_add_f64 v[14:15], v[14:15], v[18:19]
	v_add_f64 v[16:17], v[20:21], v[35:36]
	s_waitcnt vmcnt(2) lgkmcnt(0)
	v_mul_f64 v[18:19], v[10:11], v[32:33]
	v_mul_f64 v[20:21], v[12:13], v[32:33]
	v_fma_f64 v[22:23], v[4:5], v[26:27], v[123:124]
	v_fma_f64 v[24:25], v[2:3], v[26:27], -v[28:29]
	v_add_f64 v[14:15], v[14:15], v[6:7]
	v_add_f64 v[16:17], v[16:17], v[8:9]
	ds_load_b128 v[2:5], v1 offset:832
	ds_load_b128 v[6:9], v1 offset:848
	v_fma_f64 v[12:13], v[12:13], v[30:31], v[18:19]
	v_fma_f64 v[10:11], v[10:11], v[30:31], -v[20:21]
	s_waitcnt vmcnt(1) lgkmcnt(1)
	v_mul_f64 v[26:27], v[2:3], v[121:122]
	v_mul_f64 v[28:29], v[4:5], v[121:122]
	s_waitcnt vmcnt(0) lgkmcnt(0)
	v_mul_f64 v[18:19], v[6:7], v[127:128]
	v_add_f64 v[14:15], v[14:15], v[24:25]
	v_add_f64 v[16:17], v[16:17], v[22:23]
	v_mul_f64 v[20:21], v[8:9], v[127:128]
	v_fma_f64 v[4:5], v[4:5], v[119:120], v[26:27]
	v_fma_f64 v[1:2], v[2:3], v[119:120], -v[28:29]
	v_fma_f64 v[8:9], v[8:9], v[125:126], v[18:19]
	v_add_f64 v[10:11], v[14:15], v[10:11]
	v_add_f64 v[12:13], v[16:17], v[12:13]
	v_fma_f64 v[6:7], v[6:7], v[125:126], -v[20:21]
	s_delay_alu instid0(VALU_DEP_3) | instskip(NEXT) | instid1(VALU_DEP_3)
	v_add_f64 v[1:2], v[10:11], v[1:2]
	v_add_f64 v[3:4], v[12:13], v[4:5]
	s_delay_alu instid0(VALU_DEP_2) | instskip(NEXT) | instid1(VALU_DEP_2)
	v_add_f64 v[1:2], v[1:2], v[6:7]
	v_add_f64 v[3:4], v[3:4], v[8:9]
	s_delay_alu instid0(VALU_DEP_2) | instskip(NEXT) | instid1(VALU_DEP_2)
	v_add_f64 v[1:2], v[131:132], -v[1:2]
	v_add_f64 v[3:4], v[133:134], -v[3:4]
	scratch_store_b128 off, v[1:4], off offset:96
	v_cmpx_lt_u32_e32 5, v92
	s_cbranch_execz .LBB26_165
; %bb.164:
	scratch_load_b128 v[1:4], v106, off
	v_mov_b32_e32 v5, 0
	s_delay_alu instid0(VALU_DEP_1)
	v_mov_b32_e32 v6, v5
	v_mov_b32_e32 v7, v5
	v_mov_b32_e32 v8, v5
	scratch_store_b128 off, v[5:8], off offset:80
	s_waitcnt vmcnt(0)
	ds_store_b128 v34, v[1:4]
.LBB26_165:
	s_or_b32 exec_lo, exec_lo, s2
	s_waitcnt lgkmcnt(0)
	s_waitcnt_vscnt null, 0x0
	s_barrier
	buffer_gl0_inv
	s_clause 0x7
	scratch_load_b128 v[2:5], off, off offset:96
	scratch_load_b128 v[6:9], off, off offset:112
	;; [unrolled: 1-line block ×8, first 2 shown]
	v_mov_b32_e32 v1, 0
	s_mov_b32 s2, exec_lo
	ds_load_b128 v[119:122], v1 offset:528
	s_clause 0x1
	scratch_load_b128 v[123:126], off, off offset:224
	scratch_load_b128 v[127:130], off, off offset:80
	ds_load_b128 v[131:134], v1 offset:544
	scratch_load_b128 v[135:138], off, off offset:240
	ds_load_b128 v[139:142], v1 offset:576
	s_waitcnt vmcnt(10) lgkmcnt(2)
	v_mul_f64 v[35:36], v[121:122], v[4:5]
	v_mul_f64 v[4:5], v[119:120], v[4:5]
	s_delay_alu instid0(VALU_DEP_2) | instskip(NEXT) | instid1(VALU_DEP_2)
	v_fma_f64 v[35:36], v[119:120], v[2:3], -v[35:36]
	v_fma_f64 v[145:146], v[121:122], v[2:3], v[4:5]
	ds_load_b128 v[2:5], v1 offset:560
	s_waitcnt vmcnt(9) lgkmcnt(2)
	v_mul_f64 v[143:144], v[131:132], v[8:9]
	v_mul_f64 v[8:9], v[133:134], v[8:9]
	scratch_load_b128 v[119:122], off, off offset:256
	s_waitcnt vmcnt(9) lgkmcnt(0)
	v_mul_f64 v[147:148], v[2:3], v[12:13]
	v_mul_f64 v[12:13], v[4:5], v[12:13]
	v_add_f64 v[35:36], v[35:36], 0
	v_fma_f64 v[133:134], v[133:134], v[6:7], v[143:144]
	v_fma_f64 v[131:132], v[131:132], v[6:7], -v[8:9]
	v_add_f64 v[143:144], v[145:146], 0
	scratch_load_b128 v[6:9], off, off offset:272
	v_fma_f64 v[147:148], v[4:5], v[10:11], v[147:148]
	v_fma_f64 v[149:150], v[2:3], v[10:11], -v[12:13]
	scratch_load_b128 v[10:13], off, off offset:288
	ds_load_b128 v[2:5], v1 offset:592
	s_waitcnt vmcnt(10)
	v_mul_f64 v[145:146], v[139:140], v[16:17]
	v_mul_f64 v[16:17], v[141:142], v[16:17]
	v_add_f64 v[35:36], v[35:36], v[131:132]
	v_add_f64 v[143:144], v[143:144], v[133:134]
	ds_load_b128 v[131:134], v1 offset:608
	s_waitcnt vmcnt(9) lgkmcnt(1)
	v_mul_f64 v[151:152], v[2:3], v[20:21]
	v_mul_f64 v[20:21], v[4:5], v[20:21]
	v_fma_f64 v[141:142], v[141:142], v[14:15], v[145:146]
	v_fma_f64 v[139:140], v[139:140], v[14:15], -v[16:17]
	scratch_load_b128 v[14:17], off, off offset:304
	v_add_f64 v[35:36], v[35:36], v[149:150]
	v_add_f64 v[143:144], v[143:144], v[147:148]
	v_fma_f64 v[147:148], v[4:5], v[18:19], v[151:152]
	v_fma_f64 v[149:150], v[2:3], v[18:19], -v[20:21]
	scratch_load_b128 v[18:21], off, off offset:320
	ds_load_b128 v[2:5], v1 offset:624
	s_waitcnt vmcnt(10) lgkmcnt(1)
	v_mul_f64 v[145:146], v[131:132], v[24:25]
	v_mul_f64 v[24:25], v[133:134], v[24:25]
	s_waitcnt vmcnt(9) lgkmcnt(0)
	v_mul_f64 v[151:152], v[2:3], v[28:29]
	v_mul_f64 v[28:29], v[4:5], v[28:29]
	v_add_f64 v[35:36], v[35:36], v[139:140]
	v_add_f64 v[143:144], v[143:144], v[141:142]
	ds_load_b128 v[139:142], v1 offset:640
	v_fma_f64 v[133:134], v[133:134], v[22:23], v[145:146]
	v_fma_f64 v[131:132], v[131:132], v[22:23], -v[24:25]
	scratch_load_b128 v[22:25], off, off offset:336
	v_add_f64 v[35:36], v[35:36], v[149:150]
	v_add_f64 v[143:144], v[143:144], v[147:148]
	v_fma_f64 v[147:148], v[4:5], v[26:27], v[151:152]
	v_fma_f64 v[149:150], v[2:3], v[26:27], -v[28:29]
	scratch_load_b128 v[26:29], off, off offset:352
	ds_load_b128 v[2:5], v1 offset:656
	s_waitcnt vmcnt(10) lgkmcnt(1)
	v_mul_f64 v[145:146], v[139:140], v[32:33]
	v_mul_f64 v[32:33], v[141:142], v[32:33]
	s_waitcnt vmcnt(9) lgkmcnt(0)
	v_mul_f64 v[151:152], v[2:3], v[125:126]
	v_mul_f64 v[125:126], v[4:5], v[125:126]
	v_add_f64 v[35:36], v[35:36], v[131:132]
	v_add_f64 v[143:144], v[143:144], v[133:134]
	ds_load_b128 v[131:134], v1 offset:672
	v_fma_f64 v[141:142], v[141:142], v[30:31], v[145:146]
	v_fma_f64 v[139:140], v[139:140], v[30:31], -v[32:33]
	scratch_load_b128 v[30:33], off, off offset:368
	v_add_f64 v[35:36], v[35:36], v[149:150]
	v_add_f64 v[143:144], v[143:144], v[147:148]
	v_fma_f64 v[149:150], v[4:5], v[123:124], v[151:152]
	v_fma_f64 v[151:152], v[2:3], v[123:124], -v[125:126]
	scratch_load_b128 v[123:126], off, off offset:384
	ds_load_b128 v[2:5], v1 offset:688
	s_waitcnt vmcnt(9) lgkmcnt(1)
	v_mul_f64 v[145:146], v[131:132], v[137:138]
	v_mul_f64 v[147:148], v[133:134], v[137:138]
	v_add_f64 v[35:36], v[35:36], v[139:140]
	v_add_f64 v[141:142], v[143:144], v[141:142]
	ds_load_b128 v[137:140], v1 offset:704
	v_fma_f64 v[145:146], v[133:134], v[135:136], v[145:146]
	v_fma_f64 v[135:136], v[131:132], v[135:136], -v[147:148]
	scratch_load_b128 v[131:134], off, off offset:400
	s_waitcnt vmcnt(9) lgkmcnt(1)
	v_mul_f64 v[143:144], v[2:3], v[121:122]
	v_mul_f64 v[121:122], v[4:5], v[121:122]
	v_add_f64 v[35:36], v[35:36], v[151:152]
	v_add_f64 v[141:142], v[141:142], v[149:150]
	s_delay_alu instid0(VALU_DEP_4) | instskip(NEXT) | instid1(VALU_DEP_4)
	v_fma_f64 v[149:150], v[4:5], v[119:120], v[143:144]
	v_fma_f64 v[151:152], v[2:3], v[119:120], -v[121:122]
	scratch_load_b128 v[119:122], off, off offset:416
	ds_load_b128 v[2:5], v1 offset:720
	s_waitcnt vmcnt(9) lgkmcnt(1)
	v_mul_f64 v[147:148], v[137:138], v[8:9]
	v_mul_f64 v[8:9], v[139:140], v[8:9]
	v_add_f64 v[35:36], v[35:36], v[135:136]
	v_add_f64 v[135:136], v[141:142], v[145:146]
	s_waitcnt vmcnt(8) lgkmcnt(0)
	v_mul_f64 v[145:146], v[2:3], v[12:13]
	v_mul_f64 v[12:13], v[4:5], v[12:13]
	ds_load_b128 v[141:144], v1 offset:736
	v_fma_f64 v[139:140], v[139:140], v[6:7], v[147:148]
	v_fma_f64 v[6:7], v[137:138], v[6:7], -v[8:9]
	v_add_f64 v[8:9], v[35:36], v[151:152]
	v_add_f64 v[35:36], v[135:136], v[149:150]
	s_waitcnt vmcnt(7) lgkmcnt(0)
	v_mul_f64 v[135:136], v[141:142], v[16:17]
	v_mul_f64 v[16:17], v[143:144], v[16:17]
	v_fma_f64 v[137:138], v[4:5], v[10:11], v[145:146]
	v_fma_f64 v[10:11], v[2:3], v[10:11], -v[12:13]
	v_add_f64 v[12:13], v[8:9], v[6:7]
	v_add_f64 v[35:36], v[35:36], v[139:140]
	ds_load_b128 v[2:5], v1 offset:752
	ds_load_b128 v[6:9], v1 offset:768
	v_fma_f64 v[135:136], v[143:144], v[14:15], v[135:136]
	v_fma_f64 v[14:15], v[141:142], v[14:15], -v[16:17]
	s_waitcnt vmcnt(6) lgkmcnt(1)
	v_mul_f64 v[139:140], v[2:3], v[20:21]
	v_mul_f64 v[20:21], v[4:5], v[20:21]
	s_waitcnt vmcnt(5) lgkmcnt(0)
	v_mul_f64 v[16:17], v[6:7], v[24:25]
	v_mul_f64 v[24:25], v[8:9], v[24:25]
	v_add_f64 v[10:11], v[12:13], v[10:11]
	v_add_f64 v[12:13], v[35:36], v[137:138]
	v_fma_f64 v[35:36], v[4:5], v[18:19], v[139:140]
	v_fma_f64 v[18:19], v[2:3], v[18:19], -v[20:21]
	v_fma_f64 v[8:9], v[8:9], v[22:23], v[16:17]
	v_fma_f64 v[6:7], v[6:7], v[22:23], -v[24:25]
	v_add_f64 v[14:15], v[10:11], v[14:15]
	v_add_f64 v[20:21], v[12:13], v[135:136]
	ds_load_b128 v[2:5], v1 offset:784
	ds_load_b128 v[10:13], v1 offset:800
	s_waitcnt vmcnt(4) lgkmcnt(1)
	v_mul_f64 v[135:136], v[2:3], v[28:29]
	v_mul_f64 v[28:29], v[4:5], v[28:29]
	v_add_f64 v[14:15], v[14:15], v[18:19]
	v_add_f64 v[16:17], v[20:21], v[35:36]
	s_waitcnt vmcnt(3) lgkmcnt(0)
	v_mul_f64 v[18:19], v[10:11], v[32:33]
	v_mul_f64 v[20:21], v[12:13], v[32:33]
	v_fma_f64 v[22:23], v[4:5], v[26:27], v[135:136]
	v_fma_f64 v[24:25], v[2:3], v[26:27], -v[28:29]
	v_add_f64 v[14:15], v[14:15], v[6:7]
	v_add_f64 v[16:17], v[16:17], v[8:9]
	ds_load_b128 v[2:5], v1 offset:816
	ds_load_b128 v[6:9], v1 offset:832
	v_fma_f64 v[12:13], v[12:13], v[30:31], v[18:19]
	v_fma_f64 v[10:11], v[10:11], v[30:31], -v[20:21]
	s_waitcnt vmcnt(2) lgkmcnt(1)
	v_mul_f64 v[26:27], v[2:3], v[125:126]
	v_mul_f64 v[28:29], v[4:5], v[125:126]
	s_waitcnt vmcnt(1) lgkmcnt(0)
	v_mul_f64 v[18:19], v[6:7], v[133:134]
	v_mul_f64 v[20:21], v[8:9], v[133:134]
	v_add_f64 v[14:15], v[14:15], v[24:25]
	v_add_f64 v[16:17], v[16:17], v[22:23]
	v_fma_f64 v[22:23], v[4:5], v[123:124], v[26:27]
	v_fma_f64 v[24:25], v[2:3], v[123:124], -v[28:29]
	ds_load_b128 v[2:5], v1 offset:848
	v_fma_f64 v[8:9], v[8:9], v[131:132], v[18:19]
	v_fma_f64 v[6:7], v[6:7], v[131:132], -v[20:21]
	v_add_f64 v[10:11], v[14:15], v[10:11]
	v_add_f64 v[12:13], v[16:17], v[12:13]
	s_waitcnt vmcnt(0) lgkmcnt(0)
	v_mul_f64 v[14:15], v[2:3], v[121:122]
	v_mul_f64 v[16:17], v[4:5], v[121:122]
	s_delay_alu instid0(VALU_DEP_4) | instskip(NEXT) | instid1(VALU_DEP_4)
	v_add_f64 v[10:11], v[10:11], v[24:25]
	v_add_f64 v[12:13], v[12:13], v[22:23]
	s_delay_alu instid0(VALU_DEP_4) | instskip(NEXT) | instid1(VALU_DEP_4)
	v_fma_f64 v[4:5], v[4:5], v[119:120], v[14:15]
	v_fma_f64 v[2:3], v[2:3], v[119:120], -v[16:17]
	s_delay_alu instid0(VALU_DEP_4) | instskip(NEXT) | instid1(VALU_DEP_4)
	v_add_f64 v[6:7], v[10:11], v[6:7]
	v_add_f64 v[8:9], v[12:13], v[8:9]
	s_delay_alu instid0(VALU_DEP_2) | instskip(NEXT) | instid1(VALU_DEP_2)
	v_add_f64 v[2:3], v[6:7], v[2:3]
	v_add_f64 v[4:5], v[8:9], v[4:5]
	s_delay_alu instid0(VALU_DEP_2) | instskip(NEXT) | instid1(VALU_DEP_2)
	v_add_f64 v[2:3], v[127:128], -v[2:3]
	v_add_f64 v[4:5], v[129:130], -v[4:5]
	scratch_store_b128 off, v[2:5], off offset:80
	v_cmpx_lt_u32_e32 4, v92
	s_cbranch_execz .LBB26_167
; %bb.166:
	scratch_load_b128 v[5:8], v93, off
	v_mov_b32_e32 v2, v1
	v_mov_b32_e32 v3, v1
	;; [unrolled: 1-line block ×3, first 2 shown]
	scratch_store_b128 off, v[1:4], off offset:64
	s_waitcnt vmcnt(0)
	ds_store_b128 v34, v[5:8]
.LBB26_167:
	s_or_b32 exec_lo, exec_lo, s2
	s_waitcnt lgkmcnt(0)
	s_waitcnt_vscnt null, 0x0
	s_barrier
	buffer_gl0_inv
	s_clause 0x8
	scratch_load_b128 v[2:5], off, off offset:80
	scratch_load_b128 v[6:9], off, off offset:96
	;; [unrolled: 1-line block ×9, first 2 shown]
	ds_load_b128 v[123:126], v1 offset:512
	ds_load_b128 v[127:130], v1 offset:528
	s_clause 0x1
	scratch_load_b128 v[131:134], off, off offset:64
	scratch_load_b128 v[135:138], off, off offset:224
	s_mov_b32 s2, exec_lo
	ds_load_b128 v[139:142], v1 offset:560
	s_waitcnt vmcnt(10) lgkmcnt(2)
	v_mul_f64 v[35:36], v[125:126], v[4:5]
	v_mul_f64 v[4:5], v[123:124], v[4:5]
	s_waitcnt vmcnt(9) lgkmcnt(1)
	v_mul_f64 v[143:144], v[127:128], v[8:9]
	v_mul_f64 v[8:9], v[129:130], v[8:9]
	s_delay_alu instid0(VALU_DEP_4) | instskip(NEXT) | instid1(VALU_DEP_4)
	v_fma_f64 v[35:36], v[123:124], v[2:3], -v[35:36]
	v_fma_f64 v[145:146], v[125:126], v[2:3], v[4:5]
	ds_load_b128 v[2:5], v1 offset:544
	scratch_load_b128 v[123:126], off, off offset:240
	v_fma_f64 v[129:130], v[129:130], v[6:7], v[143:144]
	v_fma_f64 v[127:128], v[127:128], v[6:7], -v[8:9]
	scratch_load_b128 v[6:9], off, off offset:256
	s_waitcnt vmcnt(10) lgkmcnt(0)
	v_mul_f64 v[147:148], v[2:3], v[12:13]
	v_mul_f64 v[12:13], v[4:5], v[12:13]
	v_add_f64 v[35:36], v[35:36], 0
	v_add_f64 v[143:144], v[145:146], 0
	s_waitcnt vmcnt(9)
	v_mul_f64 v[145:146], v[139:140], v[16:17]
	v_mul_f64 v[16:17], v[141:142], v[16:17]
	v_fma_f64 v[147:148], v[4:5], v[10:11], v[147:148]
	v_fma_f64 v[149:150], v[2:3], v[10:11], -v[12:13]
	ds_load_b128 v[2:5], v1 offset:576
	scratch_load_b128 v[10:13], off, off offset:272
	v_add_f64 v[35:36], v[35:36], v[127:128]
	v_add_f64 v[143:144], v[143:144], v[129:130]
	ds_load_b128 v[127:130], v1 offset:592
	v_fma_f64 v[141:142], v[141:142], v[14:15], v[145:146]
	v_fma_f64 v[139:140], v[139:140], v[14:15], -v[16:17]
	scratch_load_b128 v[14:17], off, off offset:288
	s_waitcnt vmcnt(10) lgkmcnt(1)
	v_mul_f64 v[151:152], v[2:3], v[20:21]
	v_mul_f64 v[20:21], v[4:5], v[20:21]
	s_waitcnt vmcnt(9) lgkmcnt(0)
	v_mul_f64 v[145:146], v[127:128], v[24:25]
	v_mul_f64 v[24:25], v[129:130], v[24:25]
	v_add_f64 v[35:36], v[35:36], v[149:150]
	v_add_f64 v[143:144], v[143:144], v[147:148]
	v_fma_f64 v[147:148], v[4:5], v[18:19], v[151:152]
	v_fma_f64 v[149:150], v[2:3], v[18:19], -v[20:21]
	ds_load_b128 v[2:5], v1 offset:608
	scratch_load_b128 v[18:21], off, off offset:304
	v_fma_f64 v[129:130], v[129:130], v[22:23], v[145:146]
	v_fma_f64 v[127:128], v[127:128], v[22:23], -v[24:25]
	scratch_load_b128 v[22:25], off, off offset:320
	v_add_f64 v[35:36], v[35:36], v[139:140]
	v_add_f64 v[143:144], v[143:144], v[141:142]
	ds_load_b128 v[139:142], v1 offset:624
	s_waitcnt vmcnt(10) lgkmcnt(1)
	v_mul_f64 v[151:152], v[2:3], v[28:29]
	v_mul_f64 v[28:29], v[4:5], v[28:29]
	s_waitcnt vmcnt(9) lgkmcnt(0)
	v_mul_f64 v[145:146], v[139:140], v[32:33]
	v_mul_f64 v[32:33], v[141:142], v[32:33]
	v_add_f64 v[35:36], v[35:36], v[149:150]
	v_add_f64 v[143:144], v[143:144], v[147:148]
	v_fma_f64 v[147:148], v[4:5], v[26:27], v[151:152]
	v_fma_f64 v[149:150], v[2:3], v[26:27], -v[28:29]
	ds_load_b128 v[2:5], v1 offset:640
	scratch_load_b128 v[26:29], off, off offset:336
	v_fma_f64 v[141:142], v[141:142], v[30:31], v[145:146]
	v_fma_f64 v[139:140], v[139:140], v[30:31], -v[32:33]
	scratch_load_b128 v[30:33], off, off offset:352
	v_add_f64 v[35:36], v[35:36], v[127:128]
	v_add_f64 v[143:144], v[143:144], v[129:130]
	ds_load_b128 v[127:130], v1 offset:656
	s_waitcnt vmcnt(10) lgkmcnt(1)
	v_mul_f64 v[151:152], v[2:3], v[121:122]
	v_mul_f64 v[121:122], v[4:5], v[121:122]
	s_waitcnt vmcnt(8) lgkmcnt(0)
	v_mul_f64 v[145:146], v[127:128], v[137:138]
	v_add_f64 v[35:36], v[35:36], v[149:150]
	v_add_f64 v[143:144], v[143:144], v[147:148]
	v_mul_f64 v[147:148], v[129:130], v[137:138]
	v_fma_f64 v[149:150], v[4:5], v[119:120], v[151:152]
	v_fma_f64 v[151:152], v[2:3], v[119:120], -v[121:122]
	ds_load_b128 v[2:5], v1 offset:672
	scratch_load_b128 v[119:122], off, off offset:368
	v_fma_f64 v[129:130], v[129:130], v[135:136], v[145:146]
	v_add_f64 v[35:36], v[35:36], v[139:140]
	v_add_f64 v[141:142], v[143:144], v[141:142]
	ds_load_b128 v[137:140], v1 offset:688
	v_fma_f64 v[135:136], v[127:128], v[135:136], -v[147:148]
	ds_load_b128 v[145:148], v1 offset:720
	s_waitcnt vmcnt(8) lgkmcnt(2)
	v_mul_f64 v[143:144], v[2:3], v[125:126]
	v_mul_f64 v[153:154], v[4:5], v[125:126]
	scratch_load_b128 v[125:128], off, off offset:384
	v_add_f64 v[35:36], v[35:36], v[151:152]
	v_add_f64 v[141:142], v[141:142], v[149:150]
	s_waitcnt vmcnt(8) lgkmcnt(1)
	v_mul_f64 v[149:150], v[137:138], v[8:9]
	v_mul_f64 v[8:9], v[139:140], v[8:9]
	v_fma_f64 v[151:152], v[4:5], v[123:124], v[143:144]
	v_fma_f64 v[123:124], v[2:3], v[123:124], -v[153:154]
	ds_load_b128 v[2:5], v1 offset:704
	v_add_f64 v[35:36], v[35:36], v[135:136]
	v_add_f64 v[129:130], v[141:142], v[129:130]
	scratch_load_b128 v[141:144], off, off offset:400
	s_waitcnt vmcnt(8) lgkmcnt(0)
	v_mul_f64 v[135:136], v[2:3], v[12:13]
	v_mul_f64 v[12:13], v[4:5], v[12:13]
	v_fma_f64 v[139:140], v[139:140], v[6:7], v[149:150]
	v_fma_f64 v[137:138], v[137:138], v[6:7], -v[8:9]
	scratch_load_b128 v[6:9], off, off offset:416
	v_add_f64 v[35:36], v[35:36], v[123:124]
	v_add_f64 v[123:124], v[129:130], v[151:152]
	s_waitcnt vmcnt(8)
	v_mul_f64 v[129:130], v[145:146], v[16:17]
	v_mul_f64 v[16:17], v[147:148], v[16:17]
	v_fma_f64 v[135:136], v[4:5], v[10:11], v[135:136]
	v_fma_f64 v[149:150], v[2:3], v[10:11], -v[12:13]
	ds_load_b128 v[2:5], v1 offset:736
	ds_load_b128 v[10:13], v1 offset:752
	v_add_f64 v[35:36], v[35:36], v[137:138]
	v_add_f64 v[123:124], v[123:124], v[139:140]
	s_waitcnt vmcnt(7) lgkmcnt(1)
	v_mul_f64 v[137:138], v[2:3], v[20:21]
	v_mul_f64 v[20:21], v[4:5], v[20:21]
	v_fma_f64 v[129:130], v[147:148], v[14:15], v[129:130]
	v_fma_f64 v[14:15], v[145:146], v[14:15], -v[16:17]
	v_add_f64 v[16:17], v[35:36], v[149:150]
	v_add_f64 v[35:36], v[123:124], v[135:136]
	s_waitcnt vmcnt(6) lgkmcnt(0)
	v_mul_f64 v[123:124], v[10:11], v[24:25]
	v_mul_f64 v[24:25], v[12:13], v[24:25]
	v_fma_f64 v[135:136], v[4:5], v[18:19], v[137:138]
	v_fma_f64 v[18:19], v[2:3], v[18:19], -v[20:21]
	v_add_f64 v[20:21], v[16:17], v[14:15]
	v_add_f64 v[35:36], v[35:36], v[129:130]
	ds_load_b128 v[2:5], v1 offset:768
	ds_load_b128 v[14:17], v1 offset:784
	v_fma_f64 v[12:13], v[12:13], v[22:23], v[123:124]
	v_fma_f64 v[10:11], v[10:11], v[22:23], -v[24:25]
	s_waitcnt vmcnt(5) lgkmcnt(1)
	v_mul_f64 v[129:130], v[2:3], v[28:29]
	v_mul_f64 v[28:29], v[4:5], v[28:29]
	s_waitcnt vmcnt(4) lgkmcnt(0)
	v_mul_f64 v[22:23], v[14:15], v[32:33]
	v_mul_f64 v[24:25], v[16:17], v[32:33]
	v_add_f64 v[18:19], v[20:21], v[18:19]
	v_add_f64 v[20:21], v[35:36], v[135:136]
	v_fma_f64 v[32:33], v[4:5], v[26:27], v[129:130]
	v_fma_f64 v[26:27], v[2:3], v[26:27], -v[28:29]
	v_fma_f64 v[16:17], v[16:17], v[30:31], v[22:23]
	v_fma_f64 v[14:15], v[14:15], v[30:31], -v[24:25]
	v_add_f64 v[18:19], v[18:19], v[10:11]
	v_add_f64 v[20:21], v[20:21], v[12:13]
	ds_load_b128 v[2:5], v1 offset:800
	ds_load_b128 v[10:13], v1 offset:816
	s_waitcnt vmcnt(3) lgkmcnt(1)
	v_mul_f64 v[28:29], v[2:3], v[121:122]
	v_mul_f64 v[35:36], v[4:5], v[121:122]
	s_waitcnt vmcnt(2) lgkmcnt(0)
	v_mul_f64 v[22:23], v[10:11], v[127:128]
	v_add_f64 v[18:19], v[18:19], v[26:27]
	v_add_f64 v[20:21], v[20:21], v[32:33]
	v_mul_f64 v[24:25], v[12:13], v[127:128]
	v_fma_f64 v[26:27], v[4:5], v[119:120], v[28:29]
	v_fma_f64 v[28:29], v[2:3], v[119:120], -v[35:36]
	v_fma_f64 v[12:13], v[12:13], v[125:126], v[22:23]
	v_add_f64 v[18:19], v[18:19], v[14:15]
	v_add_f64 v[20:21], v[20:21], v[16:17]
	ds_load_b128 v[2:5], v1 offset:832
	ds_load_b128 v[14:17], v1 offset:848
	v_fma_f64 v[10:11], v[10:11], v[125:126], -v[24:25]
	s_waitcnt vmcnt(1) lgkmcnt(1)
	v_mul_f64 v[30:31], v[2:3], v[143:144]
	v_mul_f64 v[32:33], v[4:5], v[143:144]
	s_waitcnt vmcnt(0) lgkmcnt(0)
	v_mul_f64 v[22:23], v[14:15], v[8:9]
	v_mul_f64 v[8:9], v[16:17], v[8:9]
	v_add_f64 v[18:19], v[18:19], v[28:29]
	v_add_f64 v[20:21], v[20:21], v[26:27]
	v_fma_f64 v[4:5], v[4:5], v[141:142], v[30:31]
	v_fma_f64 v[1:2], v[2:3], v[141:142], -v[32:33]
	v_fma_f64 v[16:17], v[16:17], v[6:7], v[22:23]
	v_fma_f64 v[6:7], v[14:15], v[6:7], -v[8:9]
	v_add_f64 v[10:11], v[18:19], v[10:11]
	v_add_f64 v[12:13], v[20:21], v[12:13]
	s_delay_alu instid0(VALU_DEP_2) | instskip(NEXT) | instid1(VALU_DEP_2)
	v_add_f64 v[1:2], v[10:11], v[1:2]
	v_add_f64 v[3:4], v[12:13], v[4:5]
	s_delay_alu instid0(VALU_DEP_2) | instskip(NEXT) | instid1(VALU_DEP_2)
	v_add_f64 v[1:2], v[1:2], v[6:7]
	v_add_f64 v[3:4], v[3:4], v[16:17]
	s_delay_alu instid0(VALU_DEP_2) | instskip(NEXT) | instid1(VALU_DEP_2)
	v_add_f64 v[1:2], v[131:132], -v[1:2]
	v_add_f64 v[3:4], v[133:134], -v[3:4]
	scratch_store_b128 off, v[1:4], off offset:64
	v_cmpx_lt_u32_e32 3, v92
	s_cbranch_execz .LBB26_169
; %bb.168:
	scratch_load_b128 v[1:4], v94, off
	v_mov_b32_e32 v5, 0
	s_delay_alu instid0(VALU_DEP_1)
	v_mov_b32_e32 v6, v5
	v_mov_b32_e32 v7, v5
	;; [unrolled: 1-line block ×3, first 2 shown]
	scratch_store_b128 off, v[5:8], off offset:48
	s_waitcnt vmcnt(0)
	ds_store_b128 v34, v[1:4]
.LBB26_169:
	s_or_b32 exec_lo, exec_lo, s2
	s_waitcnt lgkmcnt(0)
	s_waitcnt_vscnt null, 0x0
	s_barrier
	buffer_gl0_inv
	s_clause 0x7
	scratch_load_b128 v[2:5], off, off offset:64
	scratch_load_b128 v[6:9], off, off offset:80
	;; [unrolled: 1-line block ×8, first 2 shown]
	v_mov_b32_e32 v1, 0
	s_mov_b32 s2, exec_lo
	ds_load_b128 v[119:122], v1 offset:496
	s_clause 0x1
	scratch_load_b128 v[123:126], off, off offset:192
	scratch_load_b128 v[127:130], off, off offset:48
	ds_load_b128 v[131:134], v1 offset:512
	scratch_load_b128 v[135:138], off, off offset:208
	ds_load_b128 v[139:142], v1 offset:544
	s_waitcnt vmcnt(10) lgkmcnt(2)
	v_mul_f64 v[35:36], v[121:122], v[4:5]
	v_mul_f64 v[4:5], v[119:120], v[4:5]
	s_delay_alu instid0(VALU_DEP_2) | instskip(NEXT) | instid1(VALU_DEP_2)
	v_fma_f64 v[35:36], v[119:120], v[2:3], -v[35:36]
	v_fma_f64 v[145:146], v[121:122], v[2:3], v[4:5]
	ds_load_b128 v[2:5], v1 offset:528
	s_waitcnt vmcnt(9) lgkmcnt(2)
	v_mul_f64 v[143:144], v[131:132], v[8:9]
	v_mul_f64 v[8:9], v[133:134], v[8:9]
	scratch_load_b128 v[119:122], off, off offset:224
	s_waitcnt vmcnt(9) lgkmcnt(0)
	v_mul_f64 v[147:148], v[2:3], v[12:13]
	v_mul_f64 v[12:13], v[4:5], v[12:13]
	v_add_f64 v[35:36], v[35:36], 0
	v_fma_f64 v[133:134], v[133:134], v[6:7], v[143:144]
	v_fma_f64 v[131:132], v[131:132], v[6:7], -v[8:9]
	v_add_f64 v[143:144], v[145:146], 0
	scratch_load_b128 v[6:9], off, off offset:240
	v_fma_f64 v[147:148], v[4:5], v[10:11], v[147:148]
	v_fma_f64 v[149:150], v[2:3], v[10:11], -v[12:13]
	scratch_load_b128 v[10:13], off, off offset:256
	ds_load_b128 v[2:5], v1 offset:560
	s_waitcnt vmcnt(10)
	v_mul_f64 v[145:146], v[139:140], v[16:17]
	v_mul_f64 v[16:17], v[141:142], v[16:17]
	v_add_f64 v[35:36], v[35:36], v[131:132]
	v_add_f64 v[143:144], v[143:144], v[133:134]
	ds_load_b128 v[131:134], v1 offset:576
	s_waitcnt vmcnt(9) lgkmcnt(1)
	v_mul_f64 v[151:152], v[2:3], v[20:21]
	v_mul_f64 v[20:21], v[4:5], v[20:21]
	v_fma_f64 v[141:142], v[141:142], v[14:15], v[145:146]
	v_fma_f64 v[139:140], v[139:140], v[14:15], -v[16:17]
	scratch_load_b128 v[14:17], off, off offset:272
	v_add_f64 v[35:36], v[35:36], v[149:150]
	v_add_f64 v[143:144], v[143:144], v[147:148]
	v_fma_f64 v[147:148], v[4:5], v[18:19], v[151:152]
	v_fma_f64 v[149:150], v[2:3], v[18:19], -v[20:21]
	scratch_load_b128 v[18:21], off, off offset:288
	ds_load_b128 v[2:5], v1 offset:592
	s_waitcnt vmcnt(10) lgkmcnt(1)
	v_mul_f64 v[145:146], v[131:132], v[24:25]
	v_mul_f64 v[24:25], v[133:134], v[24:25]
	s_waitcnt vmcnt(9) lgkmcnt(0)
	v_mul_f64 v[151:152], v[2:3], v[28:29]
	v_mul_f64 v[28:29], v[4:5], v[28:29]
	v_add_f64 v[35:36], v[35:36], v[139:140]
	v_add_f64 v[143:144], v[143:144], v[141:142]
	ds_load_b128 v[139:142], v1 offset:608
	v_fma_f64 v[133:134], v[133:134], v[22:23], v[145:146]
	v_fma_f64 v[131:132], v[131:132], v[22:23], -v[24:25]
	scratch_load_b128 v[22:25], off, off offset:304
	v_add_f64 v[35:36], v[35:36], v[149:150]
	v_add_f64 v[143:144], v[143:144], v[147:148]
	v_fma_f64 v[147:148], v[4:5], v[26:27], v[151:152]
	v_fma_f64 v[149:150], v[2:3], v[26:27], -v[28:29]
	scratch_load_b128 v[26:29], off, off offset:320
	ds_load_b128 v[2:5], v1 offset:624
	s_waitcnt vmcnt(10) lgkmcnt(1)
	v_mul_f64 v[145:146], v[139:140], v[32:33]
	v_mul_f64 v[32:33], v[141:142], v[32:33]
	s_waitcnt vmcnt(9) lgkmcnt(0)
	v_mul_f64 v[151:152], v[2:3], v[125:126]
	v_mul_f64 v[125:126], v[4:5], v[125:126]
	v_add_f64 v[35:36], v[35:36], v[131:132]
	v_add_f64 v[143:144], v[143:144], v[133:134]
	ds_load_b128 v[131:134], v1 offset:640
	v_fma_f64 v[141:142], v[141:142], v[30:31], v[145:146]
	v_fma_f64 v[139:140], v[139:140], v[30:31], -v[32:33]
	scratch_load_b128 v[30:33], off, off offset:336
	v_add_f64 v[35:36], v[35:36], v[149:150]
	v_add_f64 v[143:144], v[143:144], v[147:148]
	v_fma_f64 v[149:150], v[4:5], v[123:124], v[151:152]
	v_fma_f64 v[151:152], v[2:3], v[123:124], -v[125:126]
	scratch_load_b128 v[123:126], off, off offset:352
	ds_load_b128 v[2:5], v1 offset:656
	s_waitcnt vmcnt(9) lgkmcnt(1)
	v_mul_f64 v[145:146], v[131:132], v[137:138]
	v_mul_f64 v[147:148], v[133:134], v[137:138]
	v_add_f64 v[35:36], v[35:36], v[139:140]
	v_add_f64 v[141:142], v[143:144], v[141:142]
	ds_load_b128 v[137:140], v1 offset:672
	v_fma_f64 v[145:146], v[133:134], v[135:136], v[145:146]
	v_fma_f64 v[135:136], v[131:132], v[135:136], -v[147:148]
	scratch_load_b128 v[131:134], off, off offset:368
	s_waitcnt vmcnt(9) lgkmcnt(1)
	v_mul_f64 v[143:144], v[2:3], v[121:122]
	v_mul_f64 v[121:122], v[4:5], v[121:122]
	v_add_f64 v[35:36], v[35:36], v[151:152]
	v_add_f64 v[141:142], v[141:142], v[149:150]
	s_delay_alu instid0(VALU_DEP_4) | instskip(NEXT) | instid1(VALU_DEP_4)
	v_fma_f64 v[149:150], v[4:5], v[119:120], v[143:144]
	v_fma_f64 v[151:152], v[2:3], v[119:120], -v[121:122]
	scratch_load_b128 v[119:122], off, off offset:384
	ds_load_b128 v[2:5], v1 offset:688
	s_waitcnt vmcnt(9) lgkmcnt(1)
	v_mul_f64 v[147:148], v[137:138], v[8:9]
	v_mul_f64 v[8:9], v[139:140], v[8:9]
	v_add_f64 v[35:36], v[35:36], v[135:136]
	v_add_f64 v[135:136], v[141:142], v[145:146]
	s_waitcnt vmcnt(8) lgkmcnt(0)
	v_mul_f64 v[145:146], v[2:3], v[12:13]
	v_mul_f64 v[12:13], v[4:5], v[12:13]
	ds_load_b128 v[141:144], v1 offset:704
	v_fma_f64 v[139:140], v[139:140], v[6:7], v[147:148]
	v_fma_f64 v[137:138], v[137:138], v[6:7], -v[8:9]
	scratch_load_b128 v[6:9], off, off offset:400
	v_add_f64 v[35:36], v[35:36], v[151:152]
	v_add_f64 v[135:136], v[135:136], v[149:150]
	v_fma_f64 v[145:146], v[4:5], v[10:11], v[145:146]
	v_fma_f64 v[149:150], v[2:3], v[10:11], -v[12:13]
	scratch_load_b128 v[10:13], off, off offset:416
	ds_load_b128 v[2:5], v1 offset:720
	s_waitcnt vmcnt(9) lgkmcnt(1)
	v_mul_f64 v[147:148], v[141:142], v[16:17]
	v_mul_f64 v[16:17], v[143:144], v[16:17]
	s_waitcnt vmcnt(8) lgkmcnt(0)
	v_mul_f64 v[151:152], v[2:3], v[20:21]
	v_mul_f64 v[20:21], v[4:5], v[20:21]
	v_add_f64 v[35:36], v[35:36], v[137:138]
	v_add_f64 v[139:140], v[135:136], v[139:140]
	ds_load_b128 v[135:138], v1 offset:736
	v_fma_f64 v[143:144], v[143:144], v[14:15], v[147:148]
	v_fma_f64 v[14:15], v[141:142], v[14:15], -v[16:17]
	v_fma_f64 v[141:142], v[4:5], v[18:19], v[151:152]
	v_fma_f64 v[18:19], v[2:3], v[18:19], -v[20:21]
	v_add_f64 v[16:17], v[35:36], v[149:150]
	v_add_f64 v[35:36], v[139:140], v[145:146]
	s_waitcnt vmcnt(7) lgkmcnt(0)
	v_mul_f64 v[139:140], v[135:136], v[24:25]
	v_mul_f64 v[24:25], v[137:138], v[24:25]
	s_delay_alu instid0(VALU_DEP_4) | instskip(NEXT) | instid1(VALU_DEP_4)
	v_add_f64 v[20:21], v[16:17], v[14:15]
	v_add_f64 v[35:36], v[35:36], v[143:144]
	ds_load_b128 v[2:5], v1 offset:752
	ds_load_b128 v[14:17], v1 offset:768
	v_fma_f64 v[137:138], v[137:138], v[22:23], v[139:140]
	v_fma_f64 v[22:23], v[135:136], v[22:23], -v[24:25]
	s_waitcnt vmcnt(6) lgkmcnt(1)
	v_mul_f64 v[143:144], v[2:3], v[28:29]
	v_mul_f64 v[28:29], v[4:5], v[28:29]
	s_waitcnt vmcnt(5) lgkmcnt(0)
	v_mul_f64 v[24:25], v[14:15], v[32:33]
	v_mul_f64 v[32:33], v[16:17], v[32:33]
	v_add_f64 v[18:19], v[20:21], v[18:19]
	v_add_f64 v[20:21], v[35:36], v[141:142]
	v_fma_f64 v[35:36], v[4:5], v[26:27], v[143:144]
	v_fma_f64 v[26:27], v[2:3], v[26:27], -v[28:29]
	v_fma_f64 v[16:17], v[16:17], v[30:31], v[24:25]
	v_fma_f64 v[14:15], v[14:15], v[30:31], -v[32:33]
	v_add_f64 v[22:23], v[18:19], v[22:23]
	v_add_f64 v[28:29], v[20:21], v[137:138]
	ds_load_b128 v[2:5], v1 offset:784
	ds_load_b128 v[18:21], v1 offset:800
	s_waitcnt vmcnt(4) lgkmcnt(1)
	v_mul_f64 v[135:136], v[2:3], v[125:126]
	v_mul_f64 v[125:126], v[4:5], v[125:126]
	v_add_f64 v[22:23], v[22:23], v[26:27]
	v_add_f64 v[24:25], v[28:29], v[35:36]
	s_waitcnt vmcnt(3) lgkmcnt(0)
	v_mul_f64 v[26:27], v[18:19], v[133:134]
	v_mul_f64 v[28:29], v[20:21], v[133:134]
	v_fma_f64 v[30:31], v[4:5], v[123:124], v[135:136]
	v_fma_f64 v[32:33], v[2:3], v[123:124], -v[125:126]
	v_add_f64 v[22:23], v[22:23], v[14:15]
	v_add_f64 v[24:25], v[24:25], v[16:17]
	ds_load_b128 v[2:5], v1 offset:816
	ds_load_b128 v[14:17], v1 offset:832
	v_fma_f64 v[20:21], v[20:21], v[131:132], v[26:27]
	v_fma_f64 v[18:19], v[18:19], v[131:132], -v[28:29]
	s_waitcnt vmcnt(2) lgkmcnt(1)
	v_mul_f64 v[35:36], v[2:3], v[121:122]
	v_mul_f64 v[121:122], v[4:5], v[121:122]
	v_add_f64 v[22:23], v[22:23], v[32:33]
	v_add_f64 v[24:25], v[24:25], v[30:31]
	s_waitcnt vmcnt(1) lgkmcnt(0)
	v_mul_f64 v[26:27], v[14:15], v[8:9]
	v_mul_f64 v[8:9], v[16:17], v[8:9]
	v_fma_f64 v[28:29], v[4:5], v[119:120], v[35:36]
	v_fma_f64 v[30:31], v[2:3], v[119:120], -v[121:122]
	ds_load_b128 v[2:5], v1 offset:848
	v_add_f64 v[18:19], v[22:23], v[18:19]
	v_add_f64 v[20:21], v[24:25], v[20:21]
	v_fma_f64 v[16:17], v[16:17], v[6:7], v[26:27]
	v_fma_f64 v[6:7], v[14:15], v[6:7], -v[8:9]
	s_waitcnt vmcnt(0) lgkmcnt(0)
	v_mul_f64 v[22:23], v[2:3], v[12:13]
	v_mul_f64 v[12:13], v[4:5], v[12:13]
	v_add_f64 v[8:9], v[18:19], v[30:31]
	v_add_f64 v[14:15], v[20:21], v[28:29]
	s_delay_alu instid0(VALU_DEP_4) | instskip(NEXT) | instid1(VALU_DEP_4)
	v_fma_f64 v[4:5], v[4:5], v[10:11], v[22:23]
	v_fma_f64 v[2:3], v[2:3], v[10:11], -v[12:13]
	s_delay_alu instid0(VALU_DEP_4) | instskip(NEXT) | instid1(VALU_DEP_4)
	v_add_f64 v[6:7], v[8:9], v[6:7]
	v_add_f64 v[8:9], v[14:15], v[16:17]
	s_delay_alu instid0(VALU_DEP_2) | instskip(NEXT) | instid1(VALU_DEP_2)
	v_add_f64 v[2:3], v[6:7], v[2:3]
	v_add_f64 v[4:5], v[8:9], v[4:5]
	s_delay_alu instid0(VALU_DEP_2) | instskip(NEXT) | instid1(VALU_DEP_2)
	v_add_f64 v[2:3], v[127:128], -v[2:3]
	v_add_f64 v[4:5], v[129:130], -v[4:5]
	scratch_store_b128 off, v[2:5], off offset:48
	v_cmpx_lt_u32_e32 2, v92
	s_cbranch_execz .LBB26_171
; %bb.170:
	scratch_load_b128 v[5:8], v95, off
	v_mov_b32_e32 v2, v1
	v_mov_b32_e32 v3, v1
	;; [unrolled: 1-line block ×3, first 2 shown]
	scratch_store_b128 off, v[1:4], off offset:32
	s_waitcnt vmcnt(0)
	ds_store_b128 v34, v[5:8]
.LBB26_171:
	s_or_b32 exec_lo, exec_lo, s2
	s_waitcnt lgkmcnt(0)
	s_waitcnt_vscnt null, 0x0
	s_barrier
	buffer_gl0_inv
	s_clause 0x8
	scratch_load_b128 v[2:5], off, off offset:48
	scratch_load_b128 v[6:9], off, off offset:64
	;; [unrolled: 1-line block ×9, first 2 shown]
	ds_load_b128 v[123:126], v1 offset:480
	ds_load_b128 v[127:130], v1 offset:496
	s_clause 0x1
	scratch_load_b128 v[131:134], off, off offset:32
	scratch_load_b128 v[135:138], off, off offset:192
	s_mov_b32 s2, exec_lo
	ds_load_b128 v[139:142], v1 offset:528
	s_waitcnt vmcnt(10) lgkmcnt(2)
	v_mul_f64 v[35:36], v[125:126], v[4:5]
	v_mul_f64 v[4:5], v[123:124], v[4:5]
	s_waitcnt vmcnt(9) lgkmcnt(1)
	v_mul_f64 v[143:144], v[127:128], v[8:9]
	v_mul_f64 v[8:9], v[129:130], v[8:9]
	s_delay_alu instid0(VALU_DEP_4) | instskip(NEXT) | instid1(VALU_DEP_4)
	v_fma_f64 v[35:36], v[123:124], v[2:3], -v[35:36]
	v_fma_f64 v[145:146], v[125:126], v[2:3], v[4:5]
	ds_load_b128 v[2:5], v1 offset:512
	scratch_load_b128 v[123:126], off, off offset:208
	v_fma_f64 v[129:130], v[129:130], v[6:7], v[143:144]
	v_fma_f64 v[127:128], v[127:128], v[6:7], -v[8:9]
	scratch_load_b128 v[6:9], off, off offset:224
	s_waitcnt vmcnt(10) lgkmcnt(0)
	v_mul_f64 v[147:148], v[2:3], v[12:13]
	v_mul_f64 v[12:13], v[4:5], v[12:13]
	v_add_f64 v[35:36], v[35:36], 0
	v_add_f64 v[143:144], v[145:146], 0
	s_waitcnt vmcnt(9)
	v_mul_f64 v[145:146], v[139:140], v[16:17]
	v_mul_f64 v[16:17], v[141:142], v[16:17]
	v_fma_f64 v[147:148], v[4:5], v[10:11], v[147:148]
	v_fma_f64 v[149:150], v[2:3], v[10:11], -v[12:13]
	ds_load_b128 v[2:5], v1 offset:544
	scratch_load_b128 v[10:13], off, off offset:240
	v_add_f64 v[35:36], v[35:36], v[127:128]
	v_add_f64 v[143:144], v[143:144], v[129:130]
	ds_load_b128 v[127:130], v1 offset:560
	v_fma_f64 v[141:142], v[141:142], v[14:15], v[145:146]
	v_fma_f64 v[139:140], v[139:140], v[14:15], -v[16:17]
	scratch_load_b128 v[14:17], off, off offset:256
	s_waitcnt vmcnt(10) lgkmcnt(1)
	v_mul_f64 v[151:152], v[2:3], v[20:21]
	v_mul_f64 v[20:21], v[4:5], v[20:21]
	s_waitcnt vmcnt(9) lgkmcnt(0)
	v_mul_f64 v[145:146], v[127:128], v[24:25]
	v_mul_f64 v[24:25], v[129:130], v[24:25]
	v_add_f64 v[35:36], v[35:36], v[149:150]
	v_add_f64 v[143:144], v[143:144], v[147:148]
	v_fma_f64 v[147:148], v[4:5], v[18:19], v[151:152]
	v_fma_f64 v[149:150], v[2:3], v[18:19], -v[20:21]
	ds_load_b128 v[2:5], v1 offset:576
	scratch_load_b128 v[18:21], off, off offset:272
	v_fma_f64 v[129:130], v[129:130], v[22:23], v[145:146]
	v_fma_f64 v[127:128], v[127:128], v[22:23], -v[24:25]
	scratch_load_b128 v[22:25], off, off offset:288
	v_add_f64 v[35:36], v[35:36], v[139:140]
	v_add_f64 v[143:144], v[143:144], v[141:142]
	ds_load_b128 v[139:142], v1 offset:592
	s_waitcnt vmcnt(10) lgkmcnt(1)
	v_mul_f64 v[151:152], v[2:3], v[28:29]
	v_mul_f64 v[28:29], v[4:5], v[28:29]
	s_waitcnt vmcnt(9) lgkmcnt(0)
	v_mul_f64 v[145:146], v[139:140], v[32:33]
	v_mul_f64 v[32:33], v[141:142], v[32:33]
	v_add_f64 v[35:36], v[35:36], v[149:150]
	v_add_f64 v[143:144], v[143:144], v[147:148]
	v_fma_f64 v[147:148], v[4:5], v[26:27], v[151:152]
	v_fma_f64 v[149:150], v[2:3], v[26:27], -v[28:29]
	ds_load_b128 v[2:5], v1 offset:608
	scratch_load_b128 v[26:29], off, off offset:304
	v_fma_f64 v[141:142], v[141:142], v[30:31], v[145:146]
	v_fma_f64 v[139:140], v[139:140], v[30:31], -v[32:33]
	scratch_load_b128 v[30:33], off, off offset:320
	v_add_f64 v[35:36], v[35:36], v[127:128]
	v_add_f64 v[143:144], v[143:144], v[129:130]
	ds_load_b128 v[127:130], v1 offset:624
	s_waitcnt vmcnt(10) lgkmcnt(1)
	v_mul_f64 v[151:152], v[2:3], v[121:122]
	v_mul_f64 v[121:122], v[4:5], v[121:122]
	s_waitcnt vmcnt(8) lgkmcnt(0)
	v_mul_f64 v[145:146], v[127:128], v[137:138]
	v_add_f64 v[35:36], v[35:36], v[149:150]
	v_add_f64 v[143:144], v[143:144], v[147:148]
	v_mul_f64 v[147:148], v[129:130], v[137:138]
	v_fma_f64 v[149:150], v[4:5], v[119:120], v[151:152]
	v_fma_f64 v[151:152], v[2:3], v[119:120], -v[121:122]
	ds_load_b128 v[2:5], v1 offset:640
	scratch_load_b128 v[119:122], off, off offset:336
	v_fma_f64 v[129:130], v[129:130], v[135:136], v[145:146]
	v_add_f64 v[35:36], v[35:36], v[139:140]
	v_add_f64 v[141:142], v[143:144], v[141:142]
	ds_load_b128 v[137:140], v1 offset:656
	v_fma_f64 v[135:136], v[127:128], v[135:136], -v[147:148]
	ds_load_b128 v[145:148], v1 offset:688
	s_waitcnt vmcnt(8) lgkmcnt(2)
	v_mul_f64 v[143:144], v[2:3], v[125:126]
	v_mul_f64 v[153:154], v[4:5], v[125:126]
	scratch_load_b128 v[125:128], off, off offset:352
	v_add_f64 v[35:36], v[35:36], v[151:152]
	v_add_f64 v[141:142], v[141:142], v[149:150]
	s_waitcnt vmcnt(8) lgkmcnt(1)
	v_mul_f64 v[149:150], v[137:138], v[8:9]
	v_mul_f64 v[8:9], v[139:140], v[8:9]
	v_fma_f64 v[151:152], v[4:5], v[123:124], v[143:144]
	v_fma_f64 v[123:124], v[2:3], v[123:124], -v[153:154]
	ds_load_b128 v[2:5], v1 offset:672
	v_add_f64 v[35:36], v[35:36], v[135:136]
	v_add_f64 v[129:130], v[141:142], v[129:130]
	scratch_load_b128 v[141:144], off, off offset:368
	s_waitcnt vmcnt(8) lgkmcnt(0)
	v_mul_f64 v[135:136], v[2:3], v[12:13]
	v_mul_f64 v[12:13], v[4:5], v[12:13]
	v_fma_f64 v[139:140], v[139:140], v[6:7], v[149:150]
	v_fma_f64 v[137:138], v[137:138], v[6:7], -v[8:9]
	scratch_load_b128 v[6:9], off, off offset:384
	v_add_f64 v[35:36], v[35:36], v[123:124]
	v_add_f64 v[123:124], v[129:130], v[151:152]
	s_waitcnt vmcnt(8)
	v_mul_f64 v[129:130], v[145:146], v[16:17]
	v_mul_f64 v[16:17], v[147:148], v[16:17]
	v_fma_f64 v[149:150], v[4:5], v[10:11], v[135:136]
	v_fma_f64 v[151:152], v[2:3], v[10:11], -v[12:13]
	ds_load_b128 v[2:5], v1 offset:704
	scratch_load_b128 v[10:13], off, off offset:400
	v_add_f64 v[35:36], v[35:36], v[137:138]
	v_add_f64 v[123:124], v[123:124], v[139:140]
	ds_load_b128 v[135:138], v1 offset:720
	s_waitcnt vmcnt(8) lgkmcnt(1)
	v_mul_f64 v[139:140], v[2:3], v[20:21]
	v_mul_f64 v[20:21], v[4:5], v[20:21]
	v_fma_f64 v[129:130], v[147:148], v[14:15], v[129:130]
	v_fma_f64 v[145:146], v[145:146], v[14:15], -v[16:17]
	scratch_load_b128 v[14:17], off, off offset:416
	s_waitcnt vmcnt(8) lgkmcnt(0)
	v_mul_f64 v[147:148], v[135:136], v[24:25]
	v_mul_f64 v[24:25], v[137:138], v[24:25]
	v_add_f64 v[35:36], v[35:36], v[151:152]
	v_add_f64 v[123:124], v[123:124], v[149:150]
	v_fma_f64 v[139:140], v[4:5], v[18:19], v[139:140]
	v_fma_f64 v[149:150], v[2:3], v[18:19], -v[20:21]
	ds_load_b128 v[2:5], v1 offset:736
	ds_load_b128 v[18:21], v1 offset:752
	v_fma_f64 v[137:138], v[137:138], v[22:23], v[147:148]
	v_fma_f64 v[22:23], v[135:136], v[22:23], -v[24:25]
	v_add_f64 v[35:36], v[35:36], v[145:146]
	v_add_f64 v[123:124], v[123:124], v[129:130]
	s_waitcnt vmcnt(7) lgkmcnt(1)
	v_mul_f64 v[129:130], v[2:3], v[28:29]
	v_mul_f64 v[28:29], v[4:5], v[28:29]
	s_delay_alu instid0(VALU_DEP_4) | instskip(NEXT) | instid1(VALU_DEP_4)
	v_add_f64 v[24:25], v[35:36], v[149:150]
	v_add_f64 v[35:36], v[123:124], v[139:140]
	s_waitcnt vmcnt(6) lgkmcnt(0)
	v_mul_f64 v[123:124], v[18:19], v[32:33]
	v_mul_f64 v[32:33], v[20:21], v[32:33]
	v_fma_f64 v[129:130], v[4:5], v[26:27], v[129:130]
	v_fma_f64 v[26:27], v[2:3], v[26:27], -v[28:29]
	v_add_f64 v[28:29], v[24:25], v[22:23]
	v_add_f64 v[35:36], v[35:36], v[137:138]
	ds_load_b128 v[2:5], v1 offset:768
	ds_load_b128 v[22:25], v1 offset:784
	v_fma_f64 v[20:21], v[20:21], v[30:31], v[123:124]
	v_fma_f64 v[18:19], v[18:19], v[30:31], -v[32:33]
	s_waitcnt vmcnt(5) lgkmcnt(1)
	v_mul_f64 v[135:136], v[2:3], v[121:122]
	v_mul_f64 v[121:122], v[4:5], v[121:122]
	s_waitcnt vmcnt(4) lgkmcnt(0)
	v_mul_f64 v[30:31], v[22:23], v[127:128]
	v_add_f64 v[26:27], v[28:29], v[26:27]
	v_add_f64 v[28:29], v[35:36], v[129:130]
	v_mul_f64 v[32:33], v[24:25], v[127:128]
	v_fma_f64 v[35:36], v[4:5], v[119:120], v[135:136]
	v_fma_f64 v[119:120], v[2:3], v[119:120], -v[121:122]
	v_fma_f64 v[24:25], v[24:25], v[125:126], v[30:31]
	v_add_f64 v[26:27], v[26:27], v[18:19]
	v_add_f64 v[28:29], v[28:29], v[20:21]
	ds_load_b128 v[2:5], v1 offset:800
	ds_load_b128 v[18:21], v1 offset:816
	v_fma_f64 v[22:23], v[22:23], v[125:126], -v[32:33]
	s_waitcnt vmcnt(3) lgkmcnt(1)
	v_mul_f64 v[121:122], v[2:3], v[143:144]
	v_mul_f64 v[123:124], v[4:5], v[143:144]
	s_waitcnt vmcnt(2) lgkmcnt(0)
	v_mul_f64 v[30:31], v[18:19], v[8:9]
	v_mul_f64 v[8:9], v[20:21], v[8:9]
	v_add_f64 v[26:27], v[26:27], v[119:120]
	v_add_f64 v[28:29], v[28:29], v[35:36]
	v_fma_f64 v[32:33], v[4:5], v[141:142], v[121:122]
	v_fma_f64 v[35:36], v[2:3], v[141:142], -v[123:124]
	v_fma_f64 v[20:21], v[20:21], v[6:7], v[30:31]
	v_fma_f64 v[6:7], v[18:19], v[6:7], -v[8:9]
	v_add_f64 v[26:27], v[26:27], v[22:23]
	v_add_f64 v[28:29], v[28:29], v[24:25]
	ds_load_b128 v[2:5], v1 offset:832
	ds_load_b128 v[22:25], v1 offset:848
	s_waitcnt vmcnt(1) lgkmcnt(1)
	v_mul_f64 v[119:120], v[2:3], v[12:13]
	v_mul_f64 v[12:13], v[4:5], v[12:13]
	v_add_f64 v[8:9], v[26:27], v[35:36]
	v_add_f64 v[18:19], v[28:29], v[32:33]
	s_waitcnt vmcnt(0) lgkmcnt(0)
	v_mul_f64 v[26:27], v[22:23], v[16:17]
	v_mul_f64 v[16:17], v[24:25], v[16:17]
	v_fma_f64 v[4:5], v[4:5], v[10:11], v[119:120]
	v_fma_f64 v[1:2], v[2:3], v[10:11], -v[12:13]
	v_add_f64 v[6:7], v[8:9], v[6:7]
	v_add_f64 v[8:9], v[18:19], v[20:21]
	v_fma_f64 v[10:11], v[24:25], v[14:15], v[26:27]
	v_fma_f64 v[12:13], v[22:23], v[14:15], -v[16:17]
	s_delay_alu instid0(VALU_DEP_4) | instskip(NEXT) | instid1(VALU_DEP_4)
	v_add_f64 v[1:2], v[6:7], v[1:2]
	v_add_f64 v[3:4], v[8:9], v[4:5]
	s_delay_alu instid0(VALU_DEP_2) | instskip(NEXT) | instid1(VALU_DEP_2)
	v_add_f64 v[1:2], v[1:2], v[12:13]
	v_add_f64 v[3:4], v[3:4], v[10:11]
	s_delay_alu instid0(VALU_DEP_2) | instskip(NEXT) | instid1(VALU_DEP_2)
	v_add_f64 v[1:2], v[131:132], -v[1:2]
	v_add_f64 v[3:4], v[133:134], -v[3:4]
	scratch_store_b128 off, v[1:4], off offset:32
	v_cmpx_lt_u32_e32 1, v92
	s_cbranch_execz .LBB26_173
; %bb.172:
	scratch_load_b128 v[1:4], v96, off
	v_mov_b32_e32 v5, 0
	s_delay_alu instid0(VALU_DEP_1)
	v_mov_b32_e32 v6, v5
	v_mov_b32_e32 v7, v5
	;; [unrolled: 1-line block ×3, first 2 shown]
	scratch_store_b128 off, v[5:8], off offset:16
	s_waitcnt vmcnt(0)
	ds_store_b128 v34, v[1:4]
.LBB26_173:
	s_or_b32 exec_lo, exec_lo, s2
	s_waitcnt lgkmcnt(0)
	s_waitcnt_vscnt null, 0x0
	s_barrier
	buffer_gl0_inv
	s_clause 0x7
	scratch_load_b128 v[2:5], off, off offset:32
	scratch_load_b128 v[6:9], off, off offset:48
	;; [unrolled: 1-line block ×8, first 2 shown]
	v_mov_b32_e32 v1, 0
	s_mov_b32 s2, exec_lo
	ds_load_b128 v[119:122], v1 offset:464
	s_clause 0x1
	scratch_load_b128 v[123:126], off, off offset:160
	scratch_load_b128 v[127:130], off, off offset:16
	ds_load_b128 v[131:134], v1 offset:480
	scratch_load_b128 v[135:138], off, off offset:176
	ds_load_b128 v[139:142], v1 offset:512
	s_waitcnt vmcnt(10) lgkmcnt(2)
	v_mul_f64 v[35:36], v[121:122], v[4:5]
	v_mul_f64 v[4:5], v[119:120], v[4:5]
	s_delay_alu instid0(VALU_DEP_2) | instskip(NEXT) | instid1(VALU_DEP_2)
	v_fma_f64 v[35:36], v[119:120], v[2:3], -v[35:36]
	v_fma_f64 v[145:146], v[121:122], v[2:3], v[4:5]
	ds_load_b128 v[2:5], v1 offset:496
	s_waitcnt vmcnt(9) lgkmcnt(2)
	v_mul_f64 v[143:144], v[131:132], v[8:9]
	v_mul_f64 v[8:9], v[133:134], v[8:9]
	scratch_load_b128 v[119:122], off, off offset:192
	s_waitcnt vmcnt(9) lgkmcnt(0)
	v_mul_f64 v[147:148], v[2:3], v[12:13]
	v_mul_f64 v[12:13], v[4:5], v[12:13]
	v_add_f64 v[35:36], v[35:36], 0
	v_fma_f64 v[133:134], v[133:134], v[6:7], v[143:144]
	v_fma_f64 v[131:132], v[131:132], v[6:7], -v[8:9]
	v_add_f64 v[143:144], v[145:146], 0
	scratch_load_b128 v[6:9], off, off offset:208
	v_fma_f64 v[147:148], v[4:5], v[10:11], v[147:148]
	v_fma_f64 v[149:150], v[2:3], v[10:11], -v[12:13]
	scratch_load_b128 v[10:13], off, off offset:224
	ds_load_b128 v[2:5], v1 offset:528
	s_waitcnt vmcnt(10)
	v_mul_f64 v[145:146], v[139:140], v[16:17]
	v_mul_f64 v[16:17], v[141:142], v[16:17]
	v_add_f64 v[35:36], v[35:36], v[131:132]
	v_add_f64 v[143:144], v[143:144], v[133:134]
	ds_load_b128 v[131:134], v1 offset:544
	s_waitcnt vmcnt(9) lgkmcnt(1)
	v_mul_f64 v[151:152], v[2:3], v[20:21]
	v_mul_f64 v[20:21], v[4:5], v[20:21]
	v_fma_f64 v[141:142], v[141:142], v[14:15], v[145:146]
	v_fma_f64 v[139:140], v[139:140], v[14:15], -v[16:17]
	scratch_load_b128 v[14:17], off, off offset:240
	v_add_f64 v[35:36], v[35:36], v[149:150]
	v_add_f64 v[143:144], v[143:144], v[147:148]
	v_fma_f64 v[147:148], v[4:5], v[18:19], v[151:152]
	v_fma_f64 v[149:150], v[2:3], v[18:19], -v[20:21]
	scratch_load_b128 v[18:21], off, off offset:256
	ds_load_b128 v[2:5], v1 offset:560
	s_waitcnt vmcnt(10) lgkmcnt(1)
	v_mul_f64 v[145:146], v[131:132], v[24:25]
	v_mul_f64 v[24:25], v[133:134], v[24:25]
	s_waitcnt vmcnt(9) lgkmcnt(0)
	v_mul_f64 v[151:152], v[2:3], v[28:29]
	v_mul_f64 v[28:29], v[4:5], v[28:29]
	v_add_f64 v[35:36], v[35:36], v[139:140]
	v_add_f64 v[143:144], v[143:144], v[141:142]
	ds_load_b128 v[139:142], v1 offset:576
	v_fma_f64 v[133:134], v[133:134], v[22:23], v[145:146]
	v_fma_f64 v[131:132], v[131:132], v[22:23], -v[24:25]
	scratch_load_b128 v[22:25], off, off offset:272
	v_add_f64 v[35:36], v[35:36], v[149:150]
	v_add_f64 v[143:144], v[143:144], v[147:148]
	v_fma_f64 v[147:148], v[4:5], v[26:27], v[151:152]
	v_fma_f64 v[149:150], v[2:3], v[26:27], -v[28:29]
	scratch_load_b128 v[26:29], off, off offset:288
	ds_load_b128 v[2:5], v1 offset:592
	s_waitcnt vmcnt(10) lgkmcnt(1)
	v_mul_f64 v[145:146], v[139:140], v[32:33]
	v_mul_f64 v[32:33], v[141:142], v[32:33]
	s_waitcnt vmcnt(9) lgkmcnt(0)
	v_mul_f64 v[151:152], v[2:3], v[125:126]
	v_mul_f64 v[125:126], v[4:5], v[125:126]
	v_add_f64 v[35:36], v[35:36], v[131:132]
	v_add_f64 v[143:144], v[143:144], v[133:134]
	ds_load_b128 v[131:134], v1 offset:608
	v_fma_f64 v[141:142], v[141:142], v[30:31], v[145:146]
	v_fma_f64 v[139:140], v[139:140], v[30:31], -v[32:33]
	scratch_load_b128 v[30:33], off, off offset:304
	v_add_f64 v[35:36], v[35:36], v[149:150]
	v_add_f64 v[143:144], v[143:144], v[147:148]
	v_fma_f64 v[149:150], v[4:5], v[123:124], v[151:152]
	v_fma_f64 v[151:152], v[2:3], v[123:124], -v[125:126]
	scratch_load_b128 v[123:126], off, off offset:320
	ds_load_b128 v[2:5], v1 offset:624
	s_waitcnt vmcnt(9) lgkmcnt(1)
	v_mul_f64 v[145:146], v[131:132], v[137:138]
	v_mul_f64 v[147:148], v[133:134], v[137:138]
	v_add_f64 v[35:36], v[35:36], v[139:140]
	v_add_f64 v[141:142], v[143:144], v[141:142]
	ds_load_b128 v[137:140], v1 offset:640
	v_fma_f64 v[145:146], v[133:134], v[135:136], v[145:146]
	v_fma_f64 v[135:136], v[131:132], v[135:136], -v[147:148]
	scratch_load_b128 v[131:134], off, off offset:336
	s_waitcnt vmcnt(9) lgkmcnt(1)
	v_mul_f64 v[143:144], v[2:3], v[121:122]
	v_mul_f64 v[121:122], v[4:5], v[121:122]
	v_add_f64 v[35:36], v[35:36], v[151:152]
	v_add_f64 v[141:142], v[141:142], v[149:150]
	s_delay_alu instid0(VALU_DEP_4) | instskip(NEXT) | instid1(VALU_DEP_4)
	v_fma_f64 v[149:150], v[4:5], v[119:120], v[143:144]
	v_fma_f64 v[151:152], v[2:3], v[119:120], -v[121:122]
	scratch_load_b128 v[119:122], off, off offset:352
	ds_load_b128 v[2:5], v1 offset:656
	s_waitcnt vmcnt(9) lgkmcnt(1)
	v_mul_f64 v[147:148], v[137:138], v[8:9]
	v_mul_f64 v[8:9], v[139:140], v[8:9]
	v_add_f64 v[35:36], v[35:36], v[135:136]
	v_add_f64 v[135:136], v[141:142], v[145:146]
	s_waitcnt vmcnt(8) lgkmcnt(0)
	v_mul_f64 v[145:146], v[2:3], v[12:13]
	v_mul_f64 v[12:13], v[4:5], v[12:13]
	ds_load_b128 v[141:144], v1 offset:672
	v_fma_f64 v[139:140], v[139:140], v[6:7], v[147:148]
	v_fma_f64 v[137:138], v[137:138], v[6:7], -v[8:9]
	scratch_load_b128 v[6:9], off, off offset:368
	v_add_f64 v[35:36], v[35:36], v[151:152]
	v_add_f64 v[135:136], v[135:136], v[149:150]
	v_fma_f64 v[145:146], v[4:5], v[10:11], v[145:146]
	v_fma_f64 v[149:150], v[2:3], v[10:11], -v[12:13]
	scratch_load_b128 v[10:13], off, off offset:384
	ds_load_b128 v[2:5], v1 offset:688
	s_waitcnt vmcnt(9) lgkmcnt(1)
	v_mul_f64 v[147:148], v[141:142], v[16:17]
	v_mul_f64 v[16:17], v[143:144], v[16:17]
	s_waitcnt vmcnt(8) lgkmcnt(0)
	v_mul_f64 v[151:152], v[2:3], v[20:21]
	v_mul_f64 v[20:21], v[4:5], v[20:21]
	v_add_f64 v[35:36], v[35:36], v[137:138]
	v_add_f64 v[139:140], v[135:136], v[139:140]
	ds_load_b128 v[135:138], v1 offset:704
	v_fma_f64 v[143:144], v[143:144], v[14:15], v[147:148]
	v_fma_f64 v[141:142], v[141:142], v[14:15], -v[16:17]
	scratch_load_b128 v[14:17], off, off offset:400
	v_fma_f64 v[147:148], v[4:5], v[18:19], v[151:152]
	v_add_f64 v[35:36], v[35:36], v[149:150]
	v_add_f64 v[139:140], v[139:140], v[145:146]
	v_fma_f64 v[149:150], v[2:3], v[18:19], -v[20:21]
	scratch_load_b128 v[18:21], off, off offset:416
	ds_load_b128 v[2:5], v1 offset:720
	s_waitcnt vmcnt(9) lgkmcnt(1)
	v_mul_f64 v[145:146], v[135:136], v[24:25]
	v_mul_f64 v[24:25], v[137:138], v[24:25]
	s_waitcnt vmcnt(8) lgkmcnt(0)
	v_mul_f64 v[151:152], v[2:3], v[28:29]
	v_mul_f64 v[28:29], v[4:5], v[28:29]
	v_add_f64 v[35:36], v[35:36], v[141:142]
	v_add_f64 v[143:144], v[139:140], v[143:144]
	ds_load_b128 v[139:142], v1 offset:736
	v_fma_f64 v[137:138], v[137:138], v[22:23], v[145:146]
	v_fma_f64 v[22:23], v[135:136], v[22:23], -v[24:25]
	s_waitcnt vmcnt(7) lgkmcnt(0)
	v_mul_f64 v[135:136], v[139:140], v[32:33]
	v_mul_f64 v[32:33], v[141:142], v[32:33]
	v_add_f64 v[24:25], v[35:36], v[149:150]
	v_add_f64 v[35:36], v[143:144], v[147:148]
	v_fma_f64 v[143:144], v[4:5], v[26:27], v[151:152]
	v_fma_f64 v[26:27], v[2:3], v[26:27], -v[28:29]
	v_fma_f64 v[135:136], v[141:142], v[30:31], v[135:136]
	v_fma_f64 v[30:31], v[139:140], v[30:31], -v[32:33]
	v_add_f64 v[28:29], v[24:25], v[22:23]
	v_add_f64 v[35:36], v[35:36], v[137:138]
	ds_load_b128 v[2:5], v1 offset:752
	ds_load_b128 v[22:25], v1 offset:768
	s_waitcnt vmcnt(6) lgkmcnt(1)
	v_mul_f64 v[137:138], v[2:3], v[125:126]
	v_mul_f64 v[125:126], v[4:5], v[125:126]
	s_waitcnt vmcnt(5) lgkmcnt(0)
	v_mul_f64 v[32:33], v[22:23], v[133:134]
	v_add_f64 v[26:27], v[28:29], v[26:27]
	v_add_f64 v[28:29], v[35:36], v[143:144]
	v_mul_f64 v[35:36], v[24:25], v[133:134]
	v_fma_f64 v[133:134], v[4:5], v[123:124], v[137:138]
	v_fma_f64 v[123:124], v[2:3], v[123:124], -v[125:126]
	v_fma_f64 v[24:25], v[24:25], v[131:132], v[32:33]
	v_add_f64 v[30:31], v[26:27], v[30:31]
	v_add_f64 v[125:126], v[28:29], v[135:136]
	ds_load_b128 v[2:5], v1 offset:784
	ds_load_b128 v[26:29], v1 offset:800
	v_fma_f64 v[22:23], v[22:23], v[131:132], -v[35:36]
	s_waitcnt vmcnt(4) lgkmcnt(1)
	v_mul_f64 v[135:136], v[2:3], v[121:122]
	v_mul_f64 v[121:122], v[4:5], v[121:122]
	v_add_f64 v[30:31], v[30:31], v[123:124]
	v_add_f64 v[32:33], v[125:126], v[133:134]
	s_waitcnt vmcnt(3) lgkmcnt(0)
	v_mul_f64 v[35:36], v[26:27], v[8:9]
	v_mul_f64 v[8:9], v[28:29], v[8:9]
	v_fma_f64 v[123:124], v[4:5], v[119:120], v[135:136]
	v_fma_f64 v[119:120], v[2:3], v[119:120], -v[121:122]
	v_add_f64 v[30:31], v[30:31], v[22:23]
	v_add_f64 v[32:33], v[32:33], v[24:25]
	ds_load_b128 v[2:5], v1 offset:816
	ds_load_b128 v[22:25], v1 offset:832
	v_fma_f64 v[28:29], v[28:29], v[6:7], v[35:36]
	v_fma_f64 v[6:7], v[26:27], v[6:7], -v[8:9]
	s_waitcnt vmcnt(2) lgkmcnt(1)
	v_mul_f64 v[121:122], v[2:3], v[12:13]
	v_mul_f64 v[12:13], v[4:5], v[12:13]
	v_add_f64 v[8:9], v[30:31], v[119:120]
	v_add_f64 v[26:27], v[32:33], v[123:124]
	s_waitcnt vmcnt(1) lgkmcnt(0)
	v_mul_f64 v[30:31], v[22:23], v[16:17]
	v_mul_f64 v[16:17], v[24:25], v[16:17]
	v_fma_f64 v[32:33], v[4:5], v[10:11], v[121:122]
	v_fma_f64 v[10:11], v[2:3], v[10:11], -v[12:13]
	ds_load_b128 v[2:5], v1 offset:848
	v_add_f64 v[6:7], v[8:9], v[6:7]
	v_add_f64 v[8:9], v[26:27], v[28:29]
	v_fma_f64 v[24:25], v[24:25], v[14:15], v[30:31]
	v_fma_f64 v[14:15], v[22:23], v[14:15], -v[16:17]
	s_waitcnt vmcnt(0) lgkmcnt(0)
	v_mul_f64 v[12:13], v[2:3], v[20:21]
	v_mul_f64 v[20:21], v[4:5], v[20:21]
	v_add_f64 v[6:7], v[6:7], v[10:11]
	v_add_f64 v[8:9], v[8:9], v[32:33]
	s_delay_alu instid0(VALU_DEP_4) | instskip(NEXT) | instid1(VALU_DEP_4)
	v_fma_f64 v[4:5], v[4:5], v[18:19], v[12:13]
	v_fma_f64 v[2:3], v[2:3], v[18:19], -v[20:21]
	s_delay_alu instid0(VALU_DEP_4) | instskip(NEXT) | instid1(VALU_DEP_4)
	v_add_f64 v[6:7], v[6:7], v[14:15]
	v_add_f64 v[8:9], v[8:9], v[24:25]
	s_delay_alu instid0(VALU_DEP_2) | instskip(NEXT) | instid1(VALU_DEP_2)
	v_add_f64 v[2:3], v[6:7], v[2:3]
	v_add_f64 v[4:5], v[8:9], v[4:5]
	s_delay_alu instid0(VALU_DEP_2) | instskip(NEXT) | instid1(VALU_DEP_2)
	v_add_f64 v[2:3], v[127:128], -v[2:3]
	v_add_f64 v[4:5], v[129:130], -v[4:5]
	scratch_store_b128 off, v[2:5], off offset:16
	v_cmpx_ne_u32_e32 0, v92
	s_cbranch_execz .LBB26_175
; %bb.174:
	scratch_load_b128 v[5:8], off, off
	v_mov_b32_e32 v2, v1
	v_mov_b32_e32 v3, v1
	v_mov_b32_e32 v4, v1
	scratch_store_b128 off, v[1:4], off
	s_waitcnt vmcnt(0)
	ds_store_b128 v34, v[5:8]
.LBB26_175:
	s_or_b32 exec_lo, exec_lo, s2
	s_waitcnt lgkmcnt(0)
	s_waitcnt_vscnt null, 0x0
	s_barrier
	buffer_gl0_inv
	s_clause 0x8
	scratch_load_b128 v[2:5], off, off offset:16
	scratch_load_b128 v[6:9], off, off offset:32
	;; [unrolled: 1-line block ×9, first 2 shown]
	ds_load_b128 v[119:122], v1 offset:448
	ds_load_b128 v[123:126], v1 offset:464
	s_clause 0x1
	scratch_load_b128 v[127:130], off, off
	scratch_load_b128 v[131:134], off, off offset:160
	s_and_b32 vcc_lo, exec_lo, s20
	s_waitcnt vmcnt(10) lgkmcnt(1)
	v_mul_f64 v[135:136], v[121:122], v[4:5]
	v_mul_f64 v[4:5], v[119:120], v[4:5]
	s_waitcnt vmcnt(9) lgkmcnt(0)
	v_mul_f64 v[139:140], v[123:124], v[8:9]
	v_mul_f64 v[8:9], v[125:126], v[8:9]
	s_delay_alu instid0(VALU_DEP_4) | instskip(NEXT) | instid1(VALU_DEP_4)
	v_fma_f64 v[141:142], v[119:120], v[2:3], -v[135:136]
	v_fma_f64 v[143:144], v[121:122], v[2:3], v[4:5]
	ds_load_b128 v[2:5], v1 offset:480
	ds_load_b128 v[135:138], v1 offset:496
	scratch_load_b128 v[119:122], off, off offset:176
	v_fma_f64 v[125:126], v[125:126], v[6:7], v[139:140]
	v_fma_f64 v[123:124], v[123:124], v[6:7], -v[8:9]
	scratch_load_b128 v[6:9], off, off offset:192
	s_waitcnt vmcnt(10) lgkmcnt(1)
	v_mul_f64 v[145:146], v[2:3], v[12:13]
	v_mul_f64 v[12:13], v[4:5], v[12:13]
	v_add_f64 v[139:140], v[141:142], 0
	v_add_f64 v[141:142], v[143:144], 0
	s_waitcnt vmcnt(9) lgkmcnt(0)
	v_mul_f64 v[143:144], v[135:136], v[16:17]
	v_mul_f64 v[16:17], v[137:138], v[16:17]
	v_fma_f64 v[145:146], v[4:5], v[10:11], v[145:146]
	v_fma_f64 v[147:148], v[2:3], v[10:11], -v[12:13]
	ds_load_b128 v[2:5], v1 offset:512
	scratch_load_b128 v[10:13], off, off offset:208
	v_add_f64 v[139:140], v[139:140], v[123:124]
	v_add_f64 v[141:142], v[141:142], v[125:126]
	ds_load_b128 v[123:126], v1 offset:528
	v_fma_f64 v[137:138], v[137:138], v[14:15], v[143:144]
	v_fma_f64 v[135:136], v[135:136], v[14:15], -v[16:17]
	scratch_load_b128 v[14:17], off, off offset:224
	s_waitcnt vmcnt(10) lgkmcnt(1)
	v_mul_f64 v[149:150], v[2:3], v[20:21]
	v_mul_f64 v[20:21], v[4:5], v[20:21]
	s_waitcnt vmcnt(9) lgkmcnt(0)
	v_mul_f64 v[143:144], v[123:124], v[24:25]
	v_mul_f64 v[24:25], v[125:126], v[24:25]
	v_add_f64 v[139:140], v[139:140], v[147:148]
	v_add_f64 v[141:142], v[141:142], v[145:146]
	v_fma_f64 v[145:146], v[4:5], v[18:19], v[149:150]
	v_fma_f64 v[147:148], v[2:3], v[18:19], -v[20:21]
	ds_load_b128 v[2:5], v1 offset:544
	scratch_load_b128 v[18:21], off, off offset:240
	v_fma_f64 v[125:126], v[125:126], v[22:23], v[143:144]
	v_fma_f64 v[123:124], v[123:124], v[22:23], -v[24:25]
	scratch_load_b128 v[22:25], off, off offset:256
	v_add_f64 v[139:140], v[139:140], v[135:136]
	v_add_f64 v[141:142], v[141:142], v[137:138]
	ds_load_b128 v[135:138], v1 offset:560
	s_waitcnt vmcnt(10) lgkmcnt(1)
	v_mul_f64 v[149:150], v[2:3], v[28:29]
	v_mul_f64 v[28:29], v[4:5], v[28:29]
	s_waitcnt vmcnt(9) lgkmcnt(0)
	v_mul_f64 v[143:144], v[135:136], v[32:33]
	v_mul_f64 v[32:33], v[137:138], v[32:33]
	v_add_f64 v[139:140], v[139:140], v[147:148]
	v_add_f64 v[141:142], v[141:142], v[145:146]
	v_fma_f64 v[145:146], v[4:5], v[26:27], v[149:150]
	v_fma_f64 v[147:148], v[2:3], v[26:27], -v[28:29]
	ds_load_b128 v[2:5], v1 offset:576
	scratch_load_b128 v[26:29], off, off offset:272
	v_fma_f64 v[137:138], v[137:138], v[30:31], v[143:144]
	v_fma_f64 v[135:136], v[135:136], v[30:31], -v[32:33]
	scratch_load_b128 v[30:33], off, off offset:288
	v_add_f64 v[139:140], v[139:140], v[123:124]
	v_add_f64 v[141:142], v[141:142], v[125:126]
	ds_load_b128 v[123:126], v1 offset:592
	s_waitcnt vmcnt(10) lgkmcnt(1)
	v_mul_f64 v[149:150], v[2:3], v[36:37]
	v_mul_f64 v[36:37], v[4:5], v[36:37]
	s_waitcnt vmcnt(8) lgkmcnt(0)
	v_mul_f64 v[143:144], v[123:124], v[133:134]
	v_add_f64 v[139:140], v[139:140], v[147:148]
	v_add_f64 v[141:142], v[141:142], v[145:146]
	v_mul_f64 v[145:146], v[125:126], v[133:134]
	v_fma_f64 v[147:148], v[4:5], v[34:35], v[149:150]
	v_fma_f64 v[149:150], v[2:3], v[34:35], -v[36:37]
	ds_load_b128 v[2:5], v1 offset:608
	scratch_load_b128 v[34:37], off, off offset:304
	v_fma_f64 v[125:126], v[125:126], v[131:132], v[143:144]
	v_add_f64 v[139:140], v[139:140], v[135:136]
	v_add_f64 v[137:138], v[141:142], v[137:138]
	ds_load_b128 v[133:136], v1 offset:624
	v_fma_f64 v[131:132], v[123:124], v[131:132], -v[145:146]
	s_waitcnt vmcnt(8) lgkmcnt(1)
	v_mul_f64 v[141:142], v[2:3], v[121:122]
	v_mul_f64 v[151:152], v[4:5], v[121:122]
	scratch_load_b128 v[121:124], off, off offset:320
	s_waitcnt vmcnt(8) lgkmcnt(0)
	v_mul_f64 v[145:146], v[133:134], v[8:9]
	v_mul_f64 v[8:9], v[135:136], v[8:9]
	v_add_f64 v[139:140], v[139:140], v[149:150]
	v_add_f64 v[137:138], v[137:138], v[147:148]
	v_fma_f64 v[147:148], v[4:5], v[119:120], v[141:142]
	v_fma_f64 v[119:120], v[2:3], v[119:120], -v[151:152]
	ds_load_b128 v[2:5], v1 offset:640
	ds_load_b128 v[141:144], v1 offset:656
	v_fma_f64 v[135:136], v[135:136], v[6:7], v[145:146]
	v_fma_f64 v[133:134], v[133:134], v[6:7], -v[8:9]
	scratch_load_b128 v[6:9], off, off offset:352
	v_add_f64 v[131:132], v[139:140], v[131:132]
	v_add_f64 v[125:126], v[137:138], v[125:126]
	scratch_load_b128 v[137:140], off, off offset:336
	s_waitcnt vmcnt(9) lgkmcnt(1)
	v_mul_f64 v[149:150], v[2:3], v[12:13]
	v_mul_f64 v[12:13], v[4:5], v[12:13]
	s_waitcnt vmcnt(8) lgkmcnt(0)
	v_mul_f64 v[145:146], v[141:142], v[16:17]
	v_mul_f64 v[16:17], v[143:144], v[16:17]
	v_add_f64 v[119:120], v[131:132], v[119:120]
	v_add_f64 v[125:126], v[125:126], v[147:148]
	v_fma_f64 v[147:148], v[4:5], v[10:11], v[149:150]
	v_fma_f64 v[149:150], v[2:3], v[10:11], -v[12:13]
	ds_load_b128 v[2:5], v1 offset:672
	scratch_load_b128 v[10:13], off, off offset:368
	v_fma_f64 v[143:144], v[143:144], v[14:15], v[145:146]
	v_fma_f64 v[141:142], v[141:142], v[14:15], -v[16:17]
	scratch_load_b128 v[14:17], off, off offset:384
	v_add_f64 v[119:120], v[119:120], v[133:134]
	v_add_f64 v[125:126], v[125:126], v[135:136]
	ds_load_b128 v[131:134], v1 offset:688
	s_waitcnt vmcnt(9) lgkmcnt(1)
	v_mul_f64 v[135:136], v[2:3], v[20:21]
	v_mul_f64 v[20:21], v[4:5], v[20:21]
	s_waitcnt vmcnt(8) lgkmcnt(0)
	v_mul_f64 v[145:146], v[131:132], v[24:25]
	v_mul_f64 v[24:25], v[133:134], v[24:25]
	v_add_f64 v[119:120], v[119:120], v[149:150]
	v_add_f64 v[125:126], v[125:126], v[147:148]
	v_fma_f64 v[135:136], v[4:5], v[18:19], v[135:136]
	v_fma_f64 v[147:148], v[2:3], v[18:19], -v[20:21]
	ds_load_b128 v[2:5], v1 offset:704
	scratch_load_b128 v[18:21], off, off offset:400
	v_fma_f64 v[133:134], v[133:134], v[22:23], v[145:146]
	v_fma_f64 v[131:132], v[131:132], v[22:23], -v[24:25]
	scratch_load_b128 v[22:25], off, off offset:416
	v_add_f64 v[119:120], v[119:120], v[141:142]
	v_add_f64 v[125:126], v[125:126], v[143:144]
	ds_load_b128 v[141:144], v1 offset:720
	s_waitcnt vmcnt(9) lgkmcnt(1)
	v_mul_f64 v[149:150], v[2:3], v[28:29]
	v_mul_f64 v[28:29], v[4:5], v[28:29]
	v_add_f64 v[119:120], v[119:120], v[147:148]
	v_add_f64 v[125:126], v[125:126], v[135:136]
	s_waitcnt vmcnt(8) lgkmcnt(0)
	v_mul_f64 v[135:136], v[141:142], v[32:33]
	v_mul_f64 v[32:33], v[143:144], v[32:33]
	v_fma_f64 v[145:146], v[4:5], v[26:27], v[149:150]
	v_fma_f64 v[147:148], v[2:3], v[26:27], -v[28:29]
	ds_load_b128 v[2:5], v1 offset:736
	ds_load_b128 v[26:29], v1 offset:752
	v_add_f64 v[119:120], v[119:120], v[131:132]
	v_add_f64 v[125:126], v[125:126], v[133:134]
	s_waitcnt vmcnt(7) lgkmcnt(1)
	v_mul_f64 v[131:132], v[2:3], v[36:37]
	v_mul_f64 v[36:37], v[4:5], v[36:37]
	v_fma_f64 v[133:134], v[143:144], v[30:31], v[135:136]
	v_fma_f64 v[30:31], v[141:142], v[30:31], -v[32:33]
	v_add_f64 v[32:33], v[119:120], v[147:148]
	v_add_f64 v[119:120], v[125:126], v[145:146]
	s_waitcnt vmcnt(6) lgkmcnt(0)
	v_mul_f64 v[125:126], v[26:27], v[123:124]
	v_mul_f64 v[123:124], v[28:29], v[123:124]
	v_fma_f64 v[131:132], v[4:5], v[34:35], v[131:132]
	v_fma_f64 v[34:35], v[2:3], v[34:35], -v[36:37]
	v_add_f64 v[36:37], v[32:33], v[30:31]
	v_add_f64 v[119:120], v[119:120], v[133:134]
	ds_load_b128 v[2:5], v1 offset:768
	ds_load_b128 v[30:33], v1 offset:784
	v_fma_f64 v[28:29], v[28:29], v[121:122], v[125:126]
	v_fma_f64 v[26:27], v[26:27], v[121:122], -v[123:124]
	s_waitcnt vmcnt(4) lgkmcnt(1)
	v_mul_f64 v[133:134], v[2:3], v[139:140]
	v_mul_f64 v[135:136], v[4:5], v[139:140]
	v_add_f64 v[34:35], v[36:37], v[34:35]
	v_add_f64 v[36:37], v[119:120], v[131:132]
	s_waitcnt lgkmcnt(0)
	v_mul_f64 v[119:120], v[30:31], v[8:9]
	v_mul_f64 v[8:9], v[32:33], v[8:9]
	v_fma_f64 v[121:122], v[4:5], v[137:138], v[133:134]
	v_fma_f64 v[123:124], v[2:3], v[137:138], -v[135:136]
	v_add_f64 v[34:35], v[34:35], v[26:27]
	v_add_f64 v[36:37], v[36:37], v[28:29]
	ds_load_b128 v[2:5], v1 offset:800
	ds_load_b128 v[26:29], v1 offset:816
	v_fma_f64 v[32:33], v[32:33], v[6:7], v[119:120]
	v_fma_f64 v[6:7], v[30:31], v[6:7], -v[8:9]
	s_waitcnt vmcnt(3) lgkmcnt(1)
	v_mul_f64 v[125:126], v[2:3], v[12:13]
	v_mul_f64 v[12:13], v[4:5], v[12:13]
	v_add_f64 v[8:9], v[34:35], v[123:124]
	v_add_f64 v[30:31], v[36:37], v[121:122]
	s_waitcnt vmcnt(2) lgkmcnt(0)
	v_mul_f64 v[34:35], v[26:27], v[16:17]
	v_mul_f64 v[16:17], v[28:29], v[16:17]
	v_fma_f64 v[36:37], v[4:5], v[10:11], v[125:126]
	v_fma_f64 v[10:11], v[2:3], v[10:11], -v[12:13]
	v_add_f64 v[12:13], v[8:9], v[6:7]
	v_add_f64 v[30:31], v[30:31], v[32:33]
	ds_load_b128 v[2:5], v1 offset:832
	ds_load_b128 v[6:9], v1 offset:848
	v_fma_f64 v[28:29], v[28:29], v[14:15], v[34:35]
	v_fma_f64 v[14:15], v[26:27], v[14:15], -v[16:17]
	s_waitcnt vmcnt(1) lgkmcnt(1)
	v_mul_f64 v[32:33], v[2:3], v[20:21]
	v_mul_f64 v[20:21], v[4:5], v[20:21]
	s_waitcnt vmcnt(0) lgkmcnt(0)
	v_mul_f64 v[16:17], v[6:7], v[24:25]
	v_mul_f64 v[24:25], v[8:9], v[24:25]
	v_add_f64 v[10:11], v[12:13], v[10:11]
	v_add_f64 v[12:13], v[30:31], v[36:37]
	v_fma_f64 v[4:5], v[4:5], v[18:19], v[32:33]
	v_fma_f64 v[1:2], v[2:3], v[18:19], -v[20:21]
	v_fma_f64 v[8:9], v[8:9], v[22:23], v[16:17]
	v_fma_f64 v[6:7], v[6:7], v[22:23], -v[24:25]
	v_add_f64 v[10:11], v[10:11], v[14:15]
	v_add_f64 v[12:13], v[12:13], v[28:29]
	s_delay_alu instid0(VALU_DEP_2) | instskip(NEXT) | instid1(VALU_DEP_2)
	v_add_f64 v[1:2], v[10:11], v[1:2]
	v_add_f64 v[3:4], v[12:13], v[4:5]
	s_delay_alu instid0(VALU_DEP_2) | instskip(NEXT) | instid1(VALU_DEP_2)
	;; [unrolled: 3-line block ×3, first 2 shown]
	v_add_f64 v[1:2], v[127:128], -v[1:2]
	v_add_f64 v[3:4], v[129:130], -v[3:4]
	scratch_store_b128 off, v[1:4], off
	s_cbranch_vccz .LBB26_229
; %bb.176:
	v_dual_mov_b32 v1, s16 :: v_dual_mov_b32 v2, s17
	s_load_b64 s[0:1], s[0:1], 0x4
	flat_load_b32 v1, v[1:2] offset:100
	v_bfe_u32 v2, v0, 10, 10
	v_bfe_u32 v0, v0, 20, 10
	s_waitcnt lgkmcnt(0)
	s_lshr_b32 s0, s0, 16
	s_delay_alu instid0(VALU_DEP_2) | instskip(SKIP_1) | instid1(SALU_CYCLE_1)
	v_mul_u32_u24_e32 v2, s1, v2
	s_mul_i32 s0, s0, s1
	v_mul_u32_u24_e32 v3, s0, v92
	s_mov_b32 s0, exec_lo
	s_delay_alu instid0(VALU_DEP_1) | instskip(NEXT) | instid1(VALU_DEP_1)
	v_add3_u32 v0, v3, v2, v0
	v_lshl_add_u32 v0, v0, 4, 0x368
	s_waitcnt vmcnt(0)
	v_cmpx_ne_u32_e32 26, v1
	s_cbranch_execz .LBB26_178
; %bb.177:
	v_lshl_add_u32 v9, v1, 4, 0
	s_clause 0x1
	scratch_load_b128 v[1:4], v118, off
	scratch_load_b128 v[5:8], v9, off offset:-16
	s_waitcnt vmcnt(1)
	ds_store_2addr_b64 v0, v[1:2], v[3:4] offset1:1
	s_waitcnt vmcnt(0)
	s_clause 0x1
	scratch_store_b128 v118, v[5:8], off
	scratch_store_b128 v9, v[1:4], off offset:-16
.LBB26_178:
	s_or_b32 exec_lo, exec_lo, s0
	v_dual_mov_b32 v1, s16 :: v_dual_mov_b32 v2, s17
	s_mov_b32 s0, exec_lo
	flat_load_b32 v1, v[1:2] offset:96
	s_waitcnt vmcnt(0) lgkmcnt(0)
	v_cmpx_ne_u32_e32 25, v1
	s_cbranch_execz .LBB26_180
; %bb.179:
	v_lshl_add_u32 v9, v1, 4, 0
	s_clause 0x1
	scratch_load_b128 v[1:4], v110, off
	scratch_load_b128 v[5:8], v9, off offset:-16
	s_waitcnt vmcnt(1)
	ds_store_2addr_b64 v0, v[1:2], v[3:4] offset1:1
	s_waitcnt vmcnt(0)
	s_clause 0x1
	scratch_store_b128 v110, v[5:8], off
	scratch_store_b128 v9, v[1:4], off offset:-16
.LBB26_180:
	s_or_b32 exec_lo, exec_lo, s0
	v_dual_mov_b32 v1, s16 :: v_dual_mov_b32 v2, s17
	s_mov_b32 s0, exec_lo
	flat_load_b32 v1, v[1:2] offset:92
	s_waitcnt vmcnt(0) lgkmcnt(0)
	;; [unrolled: 19-line block ×24, first 2 shown]
	v_cmpx_ne_u32_e32 2, v1
	s_cbranch_execz .LBB26_226
; %bb.225:
	v_lshl_add_u32 v9, v1, 4, 0
	s_clause 0x1
	scratch_load_b128 v[1:4], v96, off
	scratch_load_b128 v[5:8], v9, off offset:-16
	s_waitcnt vmcnt(1)
	ds_store_2addr_b64 v0, v[1:2], v[3:4] offset1:1
	s_waitcnt vmcnt(0)
	s_clause 0x1
	scratch_store_b128 v96, v[5:8], off
	scratch_store_b128 v9, v[1:4], off offset:-16
.LBB26_226:
	s_or_b32 exec_lo, exec_lo, s0
	v_dual_mov_b32 v1, s16 :: v_dual_mov_b32 v2, s17
	s_mov_b32 s0, exec_lo
	flat_load_b32 v1, v[1:2]
	s_waitcnt vmcnt(0) lgkmcnt(0)
	v_cmpx_ne_u32_e32 1, v1
	s_cbranch_execz .LBB26_228
; %bb.227:
	v_lshl_add_u32 v9, v1, 4, 0
	scratch_load_b128 v[1:4], off, off
	scratch_load_b128 v[5:8], v9, off offset:-16
	s_waitcnt vmcnt(1)
	ds_store_2addr_b64 v0, v[1:2], v[3:4] offset1:1
	s_waitcnt vmcnt(0)
	scratch_store_b128 off, v[5:8], off
	scratch_store_b128 v9, v[1:4], off offset:-16
.LBB26_228:
	s_or_b32 exec_lo, exec_lo, s0
.LBB26_229:
	scratch_load_b128 v[0:3], off, off
	s_clause 0x19
	scratch_load_b128 v[4:7], v96, off
	scratch_load_b128 v[8:11], v95, off
	;; [unrolled: 1-line block ×26, first 2 shown]
	s_waitcnt vmcnt(26)
	global_store_b128 v[38:39], v[0:3], off
	s_waitcnt vmcnt(25)
	global_store_b128 v[40:41], v[4:7], off
	;; [unrolled: 2-line block ×27, first 2 shown]
	s_endpgm
	.section	.rodata,"a",@progbits
	.p2align	6, 0x0
	.amdhsa_kernel _ZN9rocsolver6v33100L18getri_kernel_smallILi27E19rocblas_complex_numIdEPS3_EEvT1_iilPiilS6_bb
		.amdhsa_group_segment_fixed_size 1896
		.amdhsa_private_segment_fixed_size 448
		.amdhsa_kernarg_size 60
		.amdhsa_user_sgpr_count 15
		.amdhsa_user_sgpr_dispatch_ptr 1
		.amdhsa_user_sgpr_queue_ptr 0
		.amdhsa_user_sgpr_kernarg_segment_ptr 1
		.amdhsa_user_sgpr_dispatch_id 0
		.amdhsa_user_sgpr_private_segment_size 0
		.amdhsa_wavefront_size32 1
		.amdhsa_uses_dynamic_stack 0
		.amdhsa_enable_private_segment 1
		.amdhsa_system_sgpr_workgroup_id_x 1
		.amdhsa_system_sgpr_workgroup_id_y 0
		.amdhsa_system_sgpr_workgroup_id_z 0
		.amdhsa_system_sgpr_workgroup_info 0
		.amdhsa_system_vgpr_workitem_id 2
		.amdhsa_next_free_vgpr 179
		.amdhsa_next_free_sgpr 25
		.amdhsa_reserve_vcc 1
		.amdhsa_float_round_mode_32 0
		.amdhsa_float_round_mode_16_64 0
		.amdhsa_float_denorm_mode_32 3
		.amdhsa_float_denorm_mode_16_64 3
		.amdhsa_dx10_clamp 1
		.amdhsa_ieee_mode 1
		.amdhsa_fp16_overflow 0
		.amdhsa_workgroup_processor_mode 1
		.amdhsa_memory_ordered 1
		.amdhsa_forward_progress 0
		.amdhsa_shared_vgpr_count 0
		.amdhsa_exception_fp_ieee_invalid_op 0
		.amdhsa_exception_fp_denorm_src 0
		.amdhsa_exception_fp_ieee_div_zero 0
		.amdhsa_exception_fp_ieee_overflow 0
		.amdhsa_exception_fp_ieee_underflow 0
		.amdhsa_exception_fp_ieee_inexact 0
		.amdhsa_exception_int_div_zero 0
	.end_amdhsa_kernel
	.section	.text._ZN9rocsolver6v33100L18getri_kernel_smallILi27E19rocblas_complex_numIdEPS3_EEvT1_iilPiilS6_bb,"axG",@progbits,_ZN9rocsolver6v33100L18getri_kernel_smallILi27E19rocblas_complex_numIdEPS3_EEvT1_iilPiilS6_bb,comdat
.Lfunc_end26:
	.size	_ZN9rocsolver6v33100L18getri_kernel_smallILi27E19rocblas_complex_numIdEPS3_EEvT1_iilPiilS6_bb, .Lfunc_end26-_ZN9rocsolver6v33100L18getri_kernel_smallILi27E19rocblas_complex_numIdEPS3_EEvT1_iilPiilS6_bb
                                        ; -- End function
	.section	.AMDGPU.csdata,"",@progbits
; Kernel info:
; codeLenInByte = 40888
; NumSgprs: 27
; NumVgprs: 179
; ScratchSize: 448
; MemoryBound: 0
; FloatMode: 240
; IeeeMode: 1
; LDSByteSize: 1896 bytes/workgroup (compile time only)
; SGPRBlocks: 3
; VGPRBlocks: 22
; NumSGPRsForWavesPerEU: 27
; NumVGPRsForWavesPerEU: 179
; Occupancy: 8
; WaveLimiterHint : 1
; COMPUTE_PGM_RSRC2:SCRATCH_EN: 1
; COMPUTE_PGM_RSRC2:USER_SGPR: 15
; COMPUTE_PGM_RSRC2:TRAP_HANDLER: 0
; COMPUTE_PGM_RSRC2:TGID_X_EN: 1
; COMPUTE_PGM_RSRC2:TGID_Y_EN: 0
; COMPUTE_PGM_RSRC2:TGID_Z_EN: 0
; COMPUTE_PGM_RSRC2:TIDIG_COMP_CNT: 2
	.section	.text._ZN9rocsolver6v33100L18getri_kernel_smallILi28E19rocblas_complex_numIdEPS3_EEvT1_iilPiilS6_bb,"axG",@progbits,_ZN9rocsolver6v33100L18getri_kernel_smallILi28E19rocblas_complex_numIdEPS3_EEvT1_iilPiilS6_bb,comdat
	.globl	_ZN9rocsolver6v33100L18getri_kernel_smallILi28E19rocblas_complex_numIdEPS3_EEvT1_iilPiilS6_bb ; -- Begin function _ZN9rocsolver6v33100L18getri_kernel_smallILi28E19rocblas_complex_numIdEPS3_EEvT1_iilPiilS6_bb
	.p2align	8
	.type	_ZN9rocsolver6v33100L18getri_kernel_smallILi28E19rocblas_complex_numIdEPS3_EEvT1_iilPiilS6_bb,@function
_ZN9rocsolver6v33100L18getri_kernel_smallILi28E19rocblas_complex_numIdEPS3_EEvT1_iilPiilS6_bb: ; @_ZN9rocsolver6v33100L18getri_kernel_smallILi28E19rocblas_complex_numIdEPS3_EEvT1_iilPiilS6_bb
; %bb.0:
	v_and_b32_e32 v94, 0x3ff, v0
	s_mov_b32 s4, exec_lo
	s_delay_alu instid0(VALU_DEP_1)
	v_cmpx_gt_u32_e32 28, v94
	s_cbranch_execz .LBB27_126
; %bb.1:
	s_mov_b32 s18, s15
	s_clause 0x2
	s_load_b32 s21, s[2:3], 0x38
	s_load_b128 s[12:15], s[2:3], 0x10
	s_load_b128 s[4:7], s[2:3], 0x28
                                        ; implicit-def: $sgpr16_sgpr17
	s_waitcnt lgkmcnt(0)
	s_bitcmp1_b32 s21, 8
	s_cselect_b32 s20, -1, 0
	s_bfe_u32 s8, s21, 0x10008
	s_ashr_i32 s19, s18, 31
	s_cmp_eq_u32 s8, 0
	s_cbranch_scc1 .LBB27_3
; %bb.2:
	s_load_b32 s8, s[2:3], 0x20
	s_mul_i32 s5, s18, s5
	s_mul_hi_u32 s9, s18, s4
	s_mul_i32 s10, s19, s4
	s_add_i32 s5, s9, s5
	s_mul_i32 s4, s18, s4
	s_add_i32 s5, s5, s10
	s_delay_alu instid0(SALU_CYCLE_1)
	s_lshl_b64 s[4:5], s[4:5], 2
	s_waitcnt lgkmcnt(0)
	s_ashr_i32 s9, s8, 31
	s_add_u32 s10, s14, s4
	s_addc_u32 s11, s15, s5
	s_lshl_b64 s[4:5], s[8:9], 2
	s_delay_alu instid0(SALU_CYCLE_1)
	s_add_u32 s16, s10, s4
	s_addc_u32 s17, s11, s5
.LBB27_3:
	s_load_b128 s[8:11], s[2:3], 0x0
	s_mul_i32 s2, s18, s13
	s_mul_hi_u32 s3, s18, s12
	s_mul_i32 s4, s19, s12
	s_add_i32 s3, s3, s2
	s_mul_i32 s2, s18, s12
	s_add_i32 s3, s3, s4
	v_lshlrev_b32_e32 v13, 4, v94
	s_lshl_b64 s[2:3], s[2:3], 4
	s_movk_i32 s12, 0xd0
	s_movk_i32 s13, 0xe0
	s_movk_i32 s14, 0xf0
	s_movk_i32 s15, 0x100
	s_movk_i32 s22, 0x110
	s_movk_i32 s23, 0x120
	s_movk_i32 s24, 0x130
	s_movk_i32 s25, 0x140
	s_movk_i32 s26, 0x150
	s_movk_i32 s27, 0x160
	s_movk_i32 s28, 0x170
	s_waitcnt lgkmcnt(0)
	s_ashr_i32 s5, s10, 31
	s_mov_b32 s4, s10
	s_add_u32 s8, s8, s2
	s_addc_u32 s9, s9, s3
	s_lshl_b64 s[2:3], s[4:5], 4
	s_mov_b32 s4, s11
	s_add_u32 s2, s8, s2
	s_addc_u32 s3, s9, s3
	v_add_co_u32 v38, s8, s2, v13
	s_ashr_i32 s5, s11, 31
	v_add_co_ci_u32_e64 v39, null, s3, 0, s8
	s_lshl_b64 s[4:5], s[4:5], 4
	global_load_b128 v[1:4], v13, s[2:3]
	v_add_co_u32 v40, vcc_lo, v38, s4
	v_add_co_ci_u32_e32 v41, vcc_lo, s5, v39, vcc_lo
	v_add3_u32 v9, s11, s11, v94
	s_movk_i32 s4, 0x70
	s_movk_i32 s5, 0x80
	global_load_b128 v[5:8], v[40:41], off
	s_movk_i32 s8, 0x90
	v_add_nc_u32_e32 v11, s11, v9
	v_ashrrev_i32_e32 v10, 31, v9
	s_movk_i32 s9, 0xa0
	s_movk_i32 s10, 0xb0
	;; [unrolled: 1-line block ×3, first 2 shown]
	v_add_nc_u32_e32 v14, s11, v11
	v_ashrrev_i32_e32 v12, 31, v11
	v_lshlrev_b64 v[9:10], 4, v[9:10]
	v_add_nc_u32_e64 v98, 0, 16
	v_add_nc_u32_e64 v97, 0, 48
	v_add_nc_u32_e32 v16, s11, v14
	v_ashrrev_i32_e32 v15, 31, v14
	v_lshlrev_b64 v[18:19], 4, v[11:12]
	v_add_co_u32 v42, vcc_lo, s2, v9
	s_delay_alu instid0(VALU_DEP_4) | instskip(SKIP_3) | instid1(VALU_DEP_4)
	v_add_nc_u32_e32 v20, s11, v16
	v_ashrrev_i32_e32 v17, 31, v16
	v_lshlrev_b64 v[14:15], 4, v[14:15]
	v_add_co_ci_u32_e32 v43, vcc_lo, s3, v10, vcc_lo
	v_add_nc_u32_e32 v24, s11, v20
	v_ashrrev_i32_e32 v21, 31, v20
	v_add_co_u32 v44, vcc_lo, s2, v18
	v_lshlrev_b64 v[22:23], 4, v[16:17]
	s_delay_alu instid0(VALU_DEP_4) | instskip(SKIP_3) | instid1(VALU_DEP_4)
	v_add_nc_u32_e32 v26, s11, v24
	v_ashrrev_i32_e32 v25, 31, v24
	v_add_co_ci_u32_e32 v45, vcc_lo, s3, v19, vcc_lo
	v_add_co_u32 v46, vcc_lo, s2, v14
	v_add_nc_u32_e32 v30, s11, v26
	v_lshlrev_b64 v[28:29], 4, v[20:21]
	v_ashrrev_i32_e32 v27, 31, v26
	v_add_co_ci_u32_e32 v47, vcc_lo, s3, v15, vcc_lo
	s_delay_alu instid0(VALU_DEP_4) | instskip(SKIP_3) | instid1(VALU_DEP_4)
	v_add_nc_u32_e32 v34, s11, v30
	v_add_co_u32 v48, vcc_lo, s2, v22
	v_lshlrev_b64 v[32:33], 4, v[24:25]
	v_ashrrev_i32_e32 v31, 31, v30
	v_add_nc_u32_e32 v58, s11, v34
	v_add_co_ci_u32_e32 v49, vcc_lo, s3, v23, vcc_lo
	v_add_co_u32 v50, vcc_lo, s2, v28
	v_lshlrev_b64 v[36:37], 4, v[26:27]
	s_delay_alu instid0(VALU_DEP_4)
	v_add_nc_u32_e32 v60, s11, v58
	v_ashrrev_i32_e32 v35, 31, v34
	v_add_co_ci_u32_e32 v51, vcc_lo, s3, v29, vcc_lo
	v_add_co_u32 v52, vcc_lo, s2, v32
	v_lshlrev_b64 v[56:57], 4, v[30:31]
	v_ashrrev_i32_e32 v59, 31, v58
	v_add_co_ci_u32_e32 v53, vcc_lo, s3, v33, vcc_lo
	v_add_nc_u32_e32 v64, s11, v60
	v_add_co_u32 v54, vcc_lo, s2, v36
	v_lshlrev_b64 v[62:63], 4, v[34:35]
	v_add_co_ci_u32_e32 v55, vcc_lo, s3, v37, vcc_lo
	v_add_co_u32 v56, vcc_lo, s2, v56
	v_lshlrev_b64 v[66:67], 4, v[58:59]
	v_ashrrev_i32_e32 v61, 31, v60
	v_add_nc_u32_e32 v68, s11, v64
	v_add_co_ci_u32_e32 v57, vcc_lo, s3, v57, vcc_lo
	v_add_co_u32 v58, vcc_lo, s2, v62
	v_add_co_ci_u32_e32 v59, vcc_lo, s3, v63, vcc_lo
	v_lshlrev_b64 v[62:63], 4, v[60:61]
	v_add_co_u32 v60, vcc_lo, s2, v66
	v_add_nc_u32_e32 v66, s11, v68
	v_ashrrev_i32_e32 v65, 31, v64
	v_ashrrev_i32_e32 v69, 31, v68
	v_add_co_ci_u32_e32 v61, vcc_lo, s3, v67, vcc_lo
	s_delay_alu instid0(VALU_DEP_4) | instskip(NEXT) | instid1(VALU_DEP_4)
	v_add_nc_u32_e32 v70, s11, v66
	v_lshlrev_b64 v[64:65], 4, v[64:65]
	v_ashrrev_i32_e32 v67, 31, v66
	v_add_co_u32 v62, vcc_lo, s2, v62
	s_delay_alu instid0(VALU_DEP_4)
	v_add_nc_u32_e32 v72, s11, v70
	v_lshlrev_b64 v[68:69], 4, v[68:69]
	v_add_co_ci_u32_e32 v63, vcc_lo, s3, v63, vcc_lo
	v_add_co_u32 v64, vcc_lo, s2, v64
	v_lshlrev_b64 v[74:75], 4, v[66:67]
	v_add_nc_u32_e32 v76, s11, v72
	v_add_co_ci_u32_e32 v65, vcc_lo, s3, v65, vcc_lo
	v_add_co_u32 v66, vcc_lo, s2, v68
	v_add_co_ci_u32_e32 v67, vcc_lo, s3, v69, vcc_lo
	v_ashrrev_i32_e32 v71, 31, v70
	v_add_co_u32 v68, vcc_lo, s2, v74
	v_add_nc_u32_e32 v74, s11, v76
	v_ashrrev_i32_e32 v73, 31, v72
	s_delay_alu instid0(VALU_DEP_4)
	v_lshlrev_b64 v[70:71], 4, v[70:71]
	v_ashrrev_i32_e32 v77, 31, v76
	v_add_co_ci_u32_e32 v69, vcc_lo, s3, v75, vcc_lo
	v_add_nc_u32_e32 v78, s11, v74
	v_lshlrev_b64 v[72:73], 4, v[72:73]
	v_ashrrev_i32_e32 v75, 31, v74
	v_add_co_u32 v70, vcc_lo, s2, v70
	s_delay_alu instid0(VALU_DEP_4)
	v_add_nc_u32_e32 v80, s11, v78
	v_lshlrev_b64 v[76:77], 4, v[76:77]
	v_add_co_ci_u32_e32 v71, vcc_lo, s3, v71, vcc_lo
	v_add_co_u32 v72, vcc_lo, s2, v72
	v_lshlrev_b64 v[82:83], 4, v[74:75]
	v_add_nc_u32_e32 v84, s11, v80
	v_add_co_ci_u32_e32 v73, vcc_lo, s3, v73, vcc_lo
	v_add_co_u32 v74, vcc_lo, s2, v76
	v_add_co_ci_u32_e32 v75, vcc_lo, s3, v77, vcc_lo
	v_add_co_u32 v76, vcc_lo, s2, v82
	v_add_nc_u32_e32 v82, s11, v84
	v_ashrrev_i32_e32 v79, 31, v78
	v_ashrrev_i32_e32 v81, 31, v80
	;; [unrolled: 1-line block ×3, first 2 shown]
	v_add_co_ci_u32_e32 v77, vcc_lo, s3, v83, vcc_lo
	v_add_nc_u32_e32 v86, s11, v82
	v_lshlrev_b64 v[78:79], 4, v[78:79]
	v_lshlrev_b64 v[80:81], 4, v[80:81]
	v_ashrrev_i32_e32 v83, 31, v82
	v_lshlrev_b64 v[84:85], 4, v[84:85]
	v_add_nc_u32_e32 v88, s11, v86
	v_ashrrev_i32_e32 v87, 31, v86
	v_add_co_u32 v78, vcc_lo, s2, v78
	v_add_co_ci_u32_e32 v79, vcc_lo, s3, v79, vcc_lo
	s_delay_alu instid0(VALU_DEP_4) | instskip(SKIP_3) | instid1(VALU_DEP_4)
	v_add_nc_u32_e32 v92, s11, v88
	v_add_co_u32 v80, vcc_lo, s2, v80
	v_lshlrev_b64 v[90:91], 4, v[82:83]
	v_add_co_ci_u32_e32 v81, vcc_lo, s3, v81, vcc_lo
	v_add_nc_u32_e32 v95, s11, v92
	v_add_co_u32 v82, vcc_lo, s2, v84
	v_ashrrev_i32_e32 v89, 31, v88
	v_add_co_ci_u32_e32 v83, vcc_lo, s3, v85, vcc_lo
	s_delay_alu instid0(VALU_DEP_4)
	v_ashrrev_i32_e32 v96, 31, v95
	v_lshlrev_b64 v[86:87], 4, v[86:87]
	v_add_co_u32 v84, vcc_lo, s2, v90
	v_add_co_ci_u32_e32 v85, vcc_lo, s3, v91, vcc_lo
	v_lshlrev_b64 v[90:91], 4, v[88:89]
	v_lshlrev_b64 v[88:89], 4, v[95:96]
	v_ashrrev_i32_e32 v93, 31, v92
	v_add_co_u32 v86, vcc_lo, s2, v86
	v_add_co_ci_u32_e32 v87, vcc_lo, s3, v87, vcc_lo
	s_delay_alu instid0(VALU_DEP_3)
	v_lshlrev_b64 v[92:93], 4, v[92:93]
	v_add_co_u32 v88, vcc_lo, s2, v88
	v_add_co_ci_u32_e32 v89, vcc_lo, s3, v89, vcc_lo
	v_add_co_u32 v90, vcc_lo, s2, v90
	v_add_co_ci_u32_e32 v91, vcc_lo, s3, v91, vcc_lo
	s_clause 0x14
	global_load_b128 v[9:12], v[42:43], off
	global_load_b128 v[14:17], v[44:45], off
	;; [unrolled: 1-line block ×21, first 2 shown]
	v_add_co_u32 v92, vcc_lo, s2, v92
	s_clause 0x2
	global_load_b128 v[174:177], v[84:85], off
	global_load_b128 v[178:181], v[86:87], off
	;; [unrolled: 1-line block ×3, first 2 shown]
	v_add_co_ci_u32_e32 v93, vcc_lo, s3, v93, vcc_lo
	s_movk_i32 s2, 0x50
	s_movk_i32 s3, 0x60
	v_add_nc_u32_e64 v117, s2, 0
	s_movk_i32 s2, 0x190
	s_movk_i32 s11, 0xc0
	v_add_nc_u32_e64 v115, s3, 0
	s_movk_i32 s3, 0x1a0
	v_add_nc_u32_e64 v96, 0, 32
	v_add_nc_u32_e64 v95, 0, 64
	;; [unrolled: 1-line block ×19, first 2 shown]
	s_bitcmp0_b32 s21, 0
	s_waitcnt vmcnt(25)
	scratch_store_b128 off, v[1:4], off
	global_load_b128 v[1:4], v[90:91], off
	s_waitcnt vmcnt(25)
	scratch_store_b128 off, v[5:8], off offset:16
	global_load_b128 v[5:8], v[92:93], off
	s_waitcnt vmcnt(25)
	scratch_store_b128 off, v[9:12], off offset:32
	s_waitcnt vmcnt(24)
	scratch_store_b128 off, v[14:17], off offset:48
	;; [unrolled: 2-line block ×24, first 2 shown]
	v_add_nc_u32_e64 v121, s2, 0
	s_movk_i32 s2, 0x1b0
	v_add_nc_u32_e64 v118, s29, 0
	v_add_nc_u32_e64 v120, s3, 0
	;; [unrolled: 1-line block ×3, first 2 shown]
	s_mov_b32 s3, -1
	s_waitcnt vmcnt(0)
	s_clause 0x1
	scratch_store_b128 off, v[5:8], off offset:416
	scratch_store_b128 off, v[182:185], off offset:432
	s_cbranch_scc1 .LBB27_124
; %bb.4:
	v_cmp_eq_u32_e64 s2, 0, v94
	s_delay_alu instid0(VALU_DEP_1)
	s_and_saveexec_b32 s3, s2
	s_cbranch_execz .LBB27_6
; %bb.5:
	v_mov_b32_e32 v1, 0
	ds_store_b32 v1, v1 offset:896
.LBB27_6:
	s_or_b32 exec_lo, exec_lo, s3
	s_waitcnt lgkmcnt(0)
	s_waitcnt_vscnt null, 0x0
	s_barrier
	buffer_gl0_inv
	scratch_load_b128 v[1:4], v13, off
	s_waitcnt vmcnt(0)
	v_cmp_eq_f64_e32 vcc_lo, 0, v[1:2]
	v_cmp_eq_f64_e64 s3, 0, v[3:4]
	s_delay_alu instid0(VALU_DEP_1) | instskip(NEXT) | instid1(SALU_CYCLE_1)
	s_and_b32 s3, vcc_lo, s3
	s_and_saveexec_b32 s4, s3
	s_cbranch_execz .LBB27_10
; %bb.7:
	v_mov_b32_e32 v1, 0
	s_mov_b32 s5, 0
	ds_load_b32 v2, v1 offset:896
	s_waitcnt lgkmcnt(0)
	v_readfirstlane_b32 s3, v2
	v_add_nc_u32_e32 v2, 1, v94
	s_delay_alu instid0(VALU_DEP_2) | instskip(NEXT) | instid1(VALU_DEP_1)
	s_cmp_eq_u32 s3, 0
	v_cmp_gt_i32_e32 vcc_lo, s3, v2
	s_cselect_b32 s8, -1, 0
	s_delay_alu instid0(SALU_CYCLE_1) | instskip(NEXT) | instid1(SALU_CYCLE_1)
	s_or_b32 s8, s8, vcc_lo
	s_and_b32 exec_lo, exec_lo, s8
	s_cbranch_execz .LBB27_10
; %bb.8:
	v_mov_b32_e32 v3, s3
.LBB27_9:                               ; =>This Inner Loop Header: Depth=1
	ds_cmpstore_rtn_b32 v3, v1, v2, v3 offset:896
	s_waitcnt lgkmcnt(0)
	v_cmp_ne_u32_e32 vcc_lo, 0, v3
	v_cmp_le_i32_e64 s3, v3, v2
	s_delay_alu instid0(VALU_DEP_1) | instskip(NEXT) | instid1(SALU_CYCLE_1)
	s_and_b32 s3, vcc_lo, s3
	s_and_b32 s3, exec_lo, s3
	s_delay_alu instid0(SALU_CYCLE_1) | instskip(NEXT) | instid1(SALU_CYCLE_1)
	s_or_b32 s5, s3, s5
	s_and_not1_b32 exec_lo, exec_lo, s5
	s_cbranch_execnz .LBB27_9
.LBB27_10:
	s_or_b32 exec_lo, exec_lo, s4
	v_mov_b32_e32 v1, 0
	s_barrier
	buffer_gl0_inv
	ds_load_b32 v2, v1 offset:896
	s_and_saveexec_b32 s3, s2
	s_cbranch_execz .LBB27_12
; %bb.11:
	s_lshl_b64 s[4:5], s[18:19], 2
	s_delay_alu instid0(SALU_CYCLE_1)
	s_add_u32 s4, s6, s4
	s_addc_u32 s5, s7, s5
	s_waitcnt lgkmcnt(0)
	global_store_b32 v1, v2, s[4:5]
.LBB27_12:
	s_or_b32 exec_lo, exec_lo, s3
	s_waitcnt lgkmcnt(0)
	v_cmp_ne_u32_e32 vcc_lo, 0, v2
	s_mov_b32 s3, 0
	s_cbranch_vccnz .LBB27_124
; %bb.13:
	v_add_nc_u32_e32 v14, 0, v13
                                        ; implicit-def: $vgpr9_vgpr10
	scratch_load_b128 v[1:4], v14, off
	s_waitcnt vmcnt(0)
	v_mov_b32_e32 v5, v1
	v_cmp_gt_f64_e32 vcc_lo, 0, v[1:2]
	v_xor_b32_e32 v6, 0x80000000, v2
	v_xor_b32_e32 v7, 0x80000000, v4
	s_delay_alu instid0(VALU_DEP_2) | instskip(SKIP_1) | instid1(VALU_DEP_3)
	v_cndmask_b32_e32 v6, v2, v6, vcc_lo
	v_cmp_gt_f64_e32 vcc_lo, 0, v[3:4]
	v_dual_cndmask_b32 v8, v4, v7 :: v_dual_mov_b32 v7, v3
	s_delay_alu instid0(VALU_DEP_1) | instskip(SKIP_1) | instid1(SALU_CYCLE_1)
	v_cmp_ngt_f64_e32 vcc_lo, v[5:6], v[7:8]
                                        ; implicit-def: $vgpr5_vgpr6
	s_and_saveexec_b32 s3, vcc_lo
	s_xor_b32 s3, exec_lo, s3
	s_cbranch_execz .LBB27_15
; %bb.14:
	v_div_scale_f64 v[5:6], null, v[3:4], v[3:4], v[1:2]
	v_div_scale_f64 v[11:12], vcc_lo, v[1:2], v[3:4], v[1:2]
	s_delay_alu instid0(VALU_DEP_2) | instskip(SKIP_2) | instid1(VALU_DEP_1)
	v_rcp_f64_e32 v[7:8], v[5:6]
	s_waitcnt_depctr 0xfff
	v_fma_f64 v[9:10], -v[5:6], v[7:8], 1.0
	v_fma_f64 v[7:8], v[7:8], v[9:10], v[7:8]
	s_delay_alu instid0(VALU_DEP_1) | instskip(NEXT) | instid1(VALU_DEP_1)
	v_fma_f64 v[9:10], -v[5:6], v[7:8], 1.0
	v_fma_f64 v[7:8], v[7:8], v[9:10], v[7:8]
	s_delay_alu instid0(VALU_DEP_1) | instskip(NEXT) | instid1(VALU_DEP_1)
	v_mul_f64 v[9:10], v[11:12], v[7:8]
	v_fma_f64 v[5:6], -v[5:6], v[9:10], v[11:12]
	s_delay_alu instid0(VALU_DEP_1) | instskip(NEXT) | instid1(VALU_DEP_1)
	v_div_fmas_f64 v[5:6], v[5:6], v[7:8], v[9:10]
	v_div_fixup_f64 v[5:6], v[5:6], v[3:4], v[1:2]
	s_delay_alu instid0(VALU_DEP_1) | instskip(NEXT) | instid1(VALU_DEP_1)
	v_fma_f64 v[1:2], v[1:2], v[5:6], v[3:4]
	v_div_scale_f64 v[3:4], null, v[1:2], v[1:2], 1.0
	v_div_scale_f64 v[11:12], vcc_lo, 1.0, v[1:2], 1.0
	s_delay_alu instid0(VALU_DEP_2) | instskip(SKIP_2) | instid1(VALU_DEP_1)
	v_rcp_f64_e32 v[7:8], v[3:4]
	s_waitcnt_depctr 0xfff
	v_fma_f64 v[9:10], -v[3:4], v[7:8], 1.0
	v_fma_f64 v[7:8], v[7:8], v[9:10], v[7:8]
	s_delay_alu instid0(VALU_DEP_1) | instskip(NEXT) | instid1(VALU_DEP_1)
	v_fma_f64 v[9:10], -v[3:4], v[7:8], 1.0
	v_fma_f64 v[7:8], v[7:8], v[9:10], v[7:8]
	s_delay_alu instid0(VALU_DEP_1) | instskip(NEXT) | instid1(VALU_DEP_1)
	v_mul_f64 v[9:10], v[11:12], v[7:8]
	v_fma_f64 v[3:4], -v[3:4], v[9:10], v[11:12]
	s_delay_alu instid0(VALU_DEP_1) | instskip(NEXT) | instid1(VALU_DEP_1)
	v_div_fmas_f64 v[3:4], v[3:4], v[7:8], v[9:10]
	v_div_fixup_f64 v[7:8], v[3:4], v[1:2], 1.0
                                        ; implicit-def: $vgpr1_vgpr2
	s_delay_alu instid0(VALU_DEP_1) | instskip(SKIP_1) | instid1(VALU_DEP_2)
	v_mul_f64 v[5:6], v[5:6], v[7:8]
	v_xor_b32_e32 v8, 0x80000000, v8
	v_xor_b32_e32 v10, 0x80000000, v6
	s_delay_alu instid0(VALU_DEP_3)
	v_mov_b32_e32 v9, v5
.LBB27_15:
	s_and_not1_saveexec_b32 s3, s3
	s_cbranch_execz .LBB27_17
; %bb.16:
	v_div_scale_f64 v[5:6], null, v[1:2], v[1:2], v[3:4]
	v_div_scale_f64 v[11:12], vcc_lo, v[3:4], v[1:2], v[3:4]
	s_delay_alu instid0(VALU_DEP_2) | instskip(SKIP_2) | instid1(VALU_DEP_1)
	v_rcp_f64_e32 v[7:8], v[5:6]
	s_waitcnt_depctr 0xfff
	v_fma_f64 v[9:10], -v[5:6], v[7:8], 1.0
	v_fma_f64 v[7:8], v[7:8], v[9:10], v[7:8]
	s_delay_alu instid0(VALU_DEP_1) | instskip(NEXT) | instid1(VALU_DEP_1)
	v_fma_f64 v[9:10], -v[5:6], v[7:8], 1.0
	v_fma_f64 v[7:8], v[7:8], v[9:10], v[7:8]
	s_delay_alu instid0(VALU_DEP_1) | instskip(NEXT) | instid1(VALU_DEP_1)
	v_mul_f64 v[9:10], v[11:12], v[7:8]
	v_fma_f64 v[5:6], -v[5:6], v[9:10], v[11:12]
	s_delay_alu instid0(VALU_DEP_1) | instskip(NEXT) | instid1(VALU_DEP_1)
	v_div_fmas_f64 v[5:6], v[5:6], v[7:8], v[9:10]
	v_div_fixup_f64 v[7:8], v[5:6], v[1:2], v[3:4]
	s_delay_alu instid0(VALU_DEP_1) | instskip(NEXT) | instid1(VALU_DEP_1)
	v_fma_f64 v[1:2], v[3:4], v[7:8], v[1:2]
	v_div_scale_f64 v[3:4], null, v[1:2], v[1:2], 1.0
	s_delay_alu instid0(VALU_DEP_1) | instskip(SKIP_2) | instid1(VALU_DEP_1)
	v_rcp_f64_e32 v[5:6], v[3:4]
	s_waitcnt_depctr 0xfff
	v_fma_f64 v[9:10], -v[3:4], v[5:6], 1.0
	v_fma_f64 v[5:6], v[5:6], v[9:10], v[5:6]
	s_delay_alu instid0(VALU_DEP_1) | instskip(NEXT) | instid1(VALU_DEP_1)
	v_fma_f64 v[9:10], -v[3:4], v[5:6], 1.0
	v_fma_f64 v[5:6], v[5:6], v[9:10], v[5:6]
	v_div_scale_f64 v[9:10], vcc_lo, 1.0, v[1:2], 1.0
	s_delay_alu instid0(VALU_DEP_1) | instskip(NEXT) | instid1(VALU_DEP_1)
	v_mul_f64 v[11:12], v[9:10], v[5:6]
	v_fma_f64 v[3:4], -v[3:4], v[11:12], v[9:10]
	s_delay_alu instid0(VALU_DEP_1) | instskip(NEXT) | instid1(VALU_DEP_1)
	v_div_fmas_f64 v[3:4], v[3:4], v[5:6], v[11:12]
	v_div_fixup_f64 v[5:6], v[3:4], v[1:2], 1.0
	s_delay_alu instid0(VALU_DEP_1)
	v_mul_f64 v[7:8], v[7:8], -v[5:6]
	v_xor_b32_e32 v10, 0x80000000, v6
	v_mov_b32_e32 v9, v5
.LBB27_17:
	s_or_b32 exec_lo, exec_lo, s3
	scratch_store_b128 v14, v[5:8], off
	scratch_load_b128 v[1:4], v98, off
	v_xor_b32_e32 v12, 0x80000000, v8
	v_mov_b32_e32 v11, v7
	v_add_nc_u32_e32 v5, 0x1c0, v13
	ds_store_b128 v13, v[9:12]
	s_waitcnt vmcnt(0)
	ds_store_b128 v13, v[1:4] offset:448
	s_waitcnt lgkmcnt(0)
	s_waitcnt_vscnt null, 0x0
	s_barrier
	buffer_gl0_inv
	s_and_saveexec_b32 s3, s2
	s_cbranch_execz .LBB27_19
; %bb.18:
	scratch_load_b128 v[1:4], v14, off
	ds_load_b128 v[6:9], v5
	v_mov_b32_e32 v10, 0
	ds_load_b128 v[15:18], v10 offset:16
	s_waitcnt vmcnt(0) lgkmcnt(1)
	v_mul_f64 v[10:11], v[6:7], v[3:4]
	v_mul_f64 v[3:4], v[8:9], v[3:4]
	s_delay_alu instid0(VALU_DEP_2) | instskip(NEXT) | instid1(VALU_DEP_2)
	v_fma_f64 v[8:9], v[8:9], v[1:2], v[10:11]
	v_fma_f64 v[1:2], v[6:7], v[1:2], -v[3:4]
	s_delay_alu instid0(VALU_DEP_2) | instskip(NEXT) | instid1(VALU_DEP_2)
	v_add_f64 v[3:4], v[8:9], 0
	v_add_f64 v[1:2], v[1:2], 0
	s_waitcnt lgkmcnt(0)
	s_delay_alu instid0(VALU_DEP_2) | instskip(NEXT) | instid1(VALU_DEP_2)
	v_mul_f64 v[6:7], v[3:4], v[17:18]
	v_mul_f64 v[8:9], v[1:2], v[17:18]
	s_delay_alu instid0(VALU_DEP_2) | instskip(NEXT) | instid1(VALU_DEP_2)
	v_fma_f64 v[1:2], v[1:2], v[15:16], -v[6:7]
	v_fma_f64 v[3:4], v[3:4], v[15:16], v[8:9]
	scratch_store_b128 off, v[1:4], off offset:16
.LBB27_19:
	s_or_b32 exec_lo, exec_lo, s3
	s_waitcnt_vscnt null, 0x0
	s_barrier
	buffer_gl0_inv
	scratch_load_b128 v[1:4], v96, off
	s_mov_b32 s3, exec_lo
	s_waitcnt vmcnt(0)
	ds_store_b128 v5, v[1:4]
	s_waitcnt lgkmcnt(0)
	s_barrier
	buffer_gl0_inv
	v_cmpx_gt_u32_e32 2, v94
	s_cbranch_execz .LBB27_23
; %bb.20:
	scratch_load_b128 v[1:4], v14, off
	ds_load_b128 v[6:9], v5
	s_waitcnt vmcnt(0) lgkmcnt(0)
	v_mul_f64 v[10:11], v[8:9], v[3:4]
	v_mul_f64 v[3:4], v[6:7], v[3:4]
	s_delay_alu instid0(VALU_DEP_2) | instskip(NEXT) | instid1(VALU_DEP_2)
	v_fma_f64 v[6:7], v[6:7], v[1:2], -v[10:11]
	v_fma_f64 v[3:4], v[8:9], v[1:2], v[3:4]
	s_delay_alu instid0(VALU_DEP_2) | instskip(NEXT) | instid1(VALU_DEP_2)
	v_add_f64 v[1:2], v[6:7], 0
	v_add_f64 v[3:4], v[3:4], 0
	s_and_saveexec_b32 s4, s2
	s_cbranch_execz .LBB27_22
; %bb.21:
	scratch_load_b128 v[6:9], off, off offset:16
	v_mov_b32_e32 v10, 0
	ds_load_b128 v[15:18], v10 offset:464
	s_waitcnt vmcnt(0) lgkmcnt(0)
	v_mul_f64 v[10:11], v[15:16], v[8:9]
	v_mul_f64 v[8:9], v[17:18], v[8:9]
	s_delay_alu instid0(VALU_DEP_2) | instskip(NEXT) | instid1(VALU_DEP_2)
	v_fma_f64 v[10:11], v[17:18], v[6:7], v[10:11]
	v_fma_f64 v[6:7], v[15:16], v[6:7], -v[8:9]
	s_delay_alu instid0(VALU_DEP_2) | instskip(NEXT) | instid1(VALU_DEP_2)
	v_add_f64 v[3:4], v[3:4], v[10:11]
	v_add_f64 v[1:2], v[1:2], v[6:7]
.LBB27_22:
	s_or_b32 exec_lo, exec_lo, s4
	v_mov_b32_e32 v6, 0
	ds_load_b128 v[6:9], v6 offset:32
	s_waitcnt lgkmcnt(0)
	v_mul_f64 v[10:11], v[3:4], v[8:9]
	v_mul_f64 v[8:9], v[1:2], v[8:9]
	s_delay_alu instid0(VALU_DEP_2) | instskip(NEXT) | instid1(VALU_DEP_2)
	v_fma_f64 v[1:2], v[1:2], v[6:7], -v[10:11]
	v_fma_f64 v[3:4], v[3:4], v[6:7], v[8:9]
	scratch_store_b128 off, v[1:4], off offset:32
.LBB27_23:
	s_or_b32 exec_lo, exec_lo, s3
	s_waitcnt_vscnt null, 0x0
	s_barrier
	buffer_gl0_inv
	scratch_load_b128 v[1:4], v97, off
	v_add_nc_u32_e32 v6, -1, v94
	s_mov_b32 s2, exec_lo
	s_waitcnt vmcnt(0)
	ds_store_b128 v5, v[1:4]
	s_waitcnt lgkmcnt(0)
	s_barrier
	buffer_gl0_inv
	v_cmpx_gt_u32_e32 3, v94
	s_cbranch_execz .LBB27_27
; %bb.24:
	v_dual_mov_b32 v1, 0 :: v_dual_add_nc_u32 v8, 0x1c0, v13
	v_dual_mov_b32 v2, 0 :: v_dual_add_nc_u32 v7, -1, v94
	v_or_b32_e32 v9, 8, v14
	s_mov_b32 s3, 0
	s_delay_alu instid0(VALU_DEP_2)
	v_dual_mov_b32 v4, v2 :: v_dual_mov_b32 v3, v1
	.p2align	6
.LBB27_25:                              ; =>This Inner Loop Header: Depth=1
	scratch_load_b128 v[15:18], v9, off offset:-8
	ds_load_b128 v[19:22], v8
	v_add_nc_u32_e32 v7, 1, v7
	v_add_nc_u32_e32 v8, 16, v8
	;; [unrolled: 1-line block ×3, first 2 shown]
	s_delay_alu instid0(VALU_DEP_3) | instskip(SKIP_4) | instid1(VALU_DEP_2)
	v_cmp_lt_u32_e32 vcc_lo, 1, v7
	s_or_b32 s3, vcc_lo, s3
	s_waitcnt vmcnt(0) lgkmcnt(0)
	v_mul_f64 v[10:11], v[21:22], v[17:18]
	v_mul_f64 v[17:18], v[19:20], v[17:18]
	v_fma_f64 v[10:11], v[19:20], v[15:16], -v[10:11]
	s_delay_alu instid0(VALU_DEP_2) | instskip(NEXT) | instid1(VALU_DEP_2)
	v_fma_f64 v[15:16], v[21:22], v[15:16], v[17:18]
	v_add_f64 v[3:4], v[3:4], v[10:11]
	s_delay_alu instid0(VALU_DEP_2)
	v_add_f64 v[1:2], v[1:2], v[15:16]
	s_and_not1_b32 exec_lo, exec_lo, s3
	s_cbranch_execnz .LBB27_25
; %bb.26:
	s_or_b32 exec_lo, exec_lo, s3
	v_mov_b32_e32 v7, 0
	ds_load_b128 v[7:10], v7 offset:48
	s_waitcnt lgkmcnt(0)
	v_mul_f64 v[11:12], v[1:2], v[9:10]
	v_mul_f64 v[15:16], v[3:4], v[9:10]
	s_delay_alu instid0(VALU_DEP_2) | instskip(NEXT) | instid1(VALU_DEP_2)
	v_fma_f64 v[9:10], v[3:4], v[7:8], -v[11:12]
	v_fma_f64 v[11:12], v[1:2], v[7:8], v[15:16]
	scratch_store_b128 off, v[9:12], off offset:48
.LBB27_27:
	s_or_b32 exec_lo, exec_lo, s2
	s_waitcnt_vscnt null, 0x0
	s_barrier
	buffer_gl0_inv
	scratch_load_b128 v[1:4], v95, off
	s_mov_b32 s2, exec_lo
	s_waitcnt vmcnt(0)
	ds_store_b128 v5, v[1:4]
	s_waitcnt lgkmcnt(0)
	s_barrier
	buffer_gl0_inv
	v_cmpx_gt_u32_e32 4, v94
	s_cbranch_execz .LBB27_31
; %bb.28:
	v_dual_mov_b32 v1, 0 :: v_dual_add_nc_u32 v8, 0x1c0, v13
	v_dual_mov_b32 v2, 0 :: v_dual_add_nc_u32 v7, -1, v94
	v_or_b32_e32 v9, 8, v14
	s_mov_b32 s3, 0
	s_delay_alu instid0(VALU_DEP_2)
	v_dual_mov_b32 v4, v2 :: v_dual_mov_b32 v3, v1
	.p2align	6
.LBB27_29:                              ; =>This Inner Loop Header: Depth=1
	scratch_load_b128 v[15:18], v9, off offset:-8
	ds_load_b128 v[19:22], v8
	v_add_nc_u32_e32 v7, 1, v7
	v_add_nc_u32_e32 v8, 16, v8
	;; [unrolled: 1-line block ×3, first 2 shown]
	s_delay_alu instid0(VALU_DEP_3) | instskip(SKIP_4) | instid1(VALU_DEP_2)
	v_cmp_lt_u32_e32 vcc_lo, 2, v7
	s_or_b32 s3, vcc_lo, s3
	s_waitcnt vmcnt(0) lgkmcnt(0)
	v_mul_f64 v[10:11], v[21:22], v[17:18]
	v_mul_f64 v[17:18], v[19:20], v[17:18]
	v_fma_f64 v[10:11], v[19:20], v[15:16], -v[10:11]
	s_delay_alu instid0(VALU_DEP_2) | instskip(NEXT) | instid1(VALU_DEP_2)
	v_fma_f64 v[15:16], v[21:22], v[15:16], v[17:18]
	v_add_f64 v[3:4], v[3:4], v[10:11]
	s_delay_alu instid0(VALU_DEP_2)
	v_add_f64 v[1:2], v[1:2], v[15:16]
	s_and_not1_b32 exec_lo, exec_lo, s3
	s_cbranch_execnz .LBB27_29
; %bb.30:
	s_or_b32 exec_lo, exec_lo, s3
	v_mov_b32_e32 v7, 0
	ds_load_b128 v[7:10], v7 offset:64
	s_waitcnt lgkmcnt(0)
	v_mul_f64 v[11:12], v[1:2], v[9:10]
	v_mul_f64 v[15:16], v[3:4], v[9:10]
	s_delay_alu instid0(VALU_DEP_2) | instskip(NEXT) | instid1(VALU_DEP_2)
	v_fma_f64 v[9:10], v[3:4], v[7:8], -v[11:12]
	v_fma_f64 v[11:12], v[1:2], v[7:8], v[15:16]
	scratch_store_b128 off, v[9:12], off offset:64
.LBB27_31:
	s_or_b32 exec_lo, exec_lo, s2
	s_waitcnt_vscnt null, 0x0
	s_barrier
	buffer_gl0_inv
	scratch_load_b128 v[1:4], v117, off
	s_mov_b32 s2, exec_lo
	s_waitcnt vmcnt(0)
	ds_store_b128 v5, v[1:4]
	s_waitcnt lgkmcnt(0)
	s_barrier
	buffer_gl0_inv
	v_cmpx_gt_u32_e32 5, v94
	s_cbranch_execz .LBB27_35
; %bb.32:
	v_dual_mov_b32 v1, 0 :: v_dual_add_nc_u32 v8, 0x1c0, v13
	v_dual_mov_b32 v2, 0 :: v_dual_add_nc_u32 v7, -1, v94
	v_or_b32_e32 v9, 8, v14
	s_mov_b32 s3, 0
	s_delay_alu instid0(VALU_DEP_2)
	v_dual_mov_b32 v4, v2 :: v_dual_mov_b32 v3, v1
	.p2align	6
.LBB27_33:                              ; =>This Inner Loop Header: Depth=1
	scratch_load_b128 v[15:18], v9, off offset:-8
	ds_load_b128 v[19:22], v8
	v_add_nc_u32_e32 v7, 1, v7
	v_add_nc_u32_e32 v8, 16, v8
	;; [unrolled: 1-line block ×3, first 2 shown]
	s_delay_alu instid0(VALU_DEP_3) | instskip(SKIP_4) | instid1(VALU_DEP_2)
	v_cmp_lt_u32_e32 vcc_lo, 3, v7
	s_or_b32 s3, vcc_lo, s3
	s_waitcnt vmcnt(0) lgkmcnt(0)
	v_mul_f64 v[10:11], v[21:22], v[17:18]
	v_mul_f64 v[17:18], v[19:20], v[17:18]
	v_fma_f64 v[10:11], v[19:20], v[15:16], -v[10:11]
	s_delay_alu instid0(VALU_DEP_2) | instskip(NEXT) | instid1(VALU_DEP_2)
	v_fma_f64 v[15:16], v[21:22], v[15:16], v[17:18]
	v_add_f64 v[3:4], v[3:4], v[10:11]
	s_delay_alu instid0(VALU_DEP_2)
	v_add_f64 v[1:2], v[1:2], v[15:16]
	s_and_not1_b32 exec_lo, exec_lo, s3
	s_cbranch_execnz .LBB27_33
; %bb.34:
	s_or_b32 exec_lo, exec_lo, s3
	v_mov_b32_e32 v7, 0
	ds_load_b128 v[7:10], v7 offset:80
	s_waitcnt lgkmcnt(0)
	v_mul_f64 v[11:12], v[1:2], v[9:10]
	v_mul_f64 v[15:16], v[3:4], v[9:10]
	s_delay_alu instid0(VALU_DEP_2) | instskip(NEXT) | instid1(VALU_DEP_2)
	v_fma_f64 v[9:10], v[3:4], v[7:8], -v[11:12]
	v_fma_f64 v[11:12], v[1:2], v[7:8], v[15:16]
	scratch_store_b128 off, v[9:12], off offset:80
.LBB27_35:
	s_or_b32 exec_lo, exec_lo, s2
	s_waitcnt_vscnt null, 0x0
	s_barrier
	buffer_gl0_inv
	scratch_load_b128 v[1:4], v115, off
	s_mov_b32 s2, exec_lo
	s_waitcnt vmcnt(0)
	ds_store_b128 v5, v[1:4]
	s_waitcnt lgkmcnt(0)
	s_barrier
	buffer_gl0_inv
	v_cmpx_gt_u32_e32 6, v94
	s_cbranch_execz .LBB27_39
; %bb.36:
	v_dual_mov_b32 v1, 0 :: v_dual_add_nc_u32 v8, 0x1c0, v13
	v_dual_mov_b32 v2, 0 :: v_dual_add_nc_u32 v7, -1, v94
	v_or_b32_e32 v9, 8, v14
	s_mov_b32 s3, 0
	s_delay_alu instid0(VALU_DEP_2)
	v_dual_mov_b32 v4, v2 :: v_dual_mov_b32 v3, v1
	.p2align	6
.LBB27_37:                              ; =>This Inner Loop Header: Depth=1
	scratch_load_b128 v[15:18], v9, off offset:-8
	ds_load_b128 v[19:22], v8
	v_add_nc_u32_e32 v7, 1, v7
	v_add_nc_u32_e32 v8, 16, v8
	;; [unrolled: 1-line block ×3, first 2 shown]
	s_delay_alu instid0(VALU_DEP_3) | instskip(SKIP_4) | instid1(VALU_DEP_2)
	v_cmp_lt_u32_e32 vcc_lo, 4, v7
	s_or_b32 s3, vcc_lo, s3
	s_waitcnt vmcnt(0) lgkmcnt(0)
	v_mul_f64 v[10:11], v[21:22], v[17:18]
	v_mul_f64 v[17:18], v[19:20], v[17:18]
	v_fma_f64 v[10:11], v[19:20], v[15:16], -v[10:11]
	s_delay_alu instid0(VALU_DEP_2) | instskip(NEXT) | instid1(VALU_DEP_2)
	v_fma_f64 v[15:16], v[21:22], v[15:16], v[17:18]
	v_add_f64 v[3:4], v[3:4], v[10:11]
	s_delay_alu instid0(VALU_DEP_2)
	v_add_f64 v[1:2], v[1:2], v[15:16]
	s_and_not1_b32 exec_lo, exec_lo, s3
	s_cbranch_execnz .LBB27_37
; %bb.38:
	s_or_b32 exec_lo, exec_lo, s3
	v_mov_b32_e32 v7, 0
	ds_load_b128 v[7:10], v7 offset:96
	s_waitcnt lgkmcnt(0)
	v_mul_f64 v[11:12], v[1:2], v[9:10]
	v_mul_f64 v[15:16], v[3:4], v[9:10]
	s_delay_alu instid0(VALU_DEP_2) | instskip(NEXT) | instid1(VALU_DEP_2)
	v_fma_f64 v[9:10], v[3:4], v[7:8], -v[11:12]
	v_fma_f64 v[11:12], v[1:2], v[7:8], v[15:16]
	scratch_store_b128 off, v[9:12], off offset:96
.LBB27_39:
	s_or_b32 exec_lo, exec_lo, s2
	s_waitcnt_vscnt null, 0x0
	s_barrier
	buffer_gl0_inv
	scratch_load_b128 v[1:4], v116, off
	s_mov_b32 s2, exec_lo
	s_waitcnt vmcnt(0)
	ds_store_b128 v5, v[1:4]
	s_waitcnt lgkmcnt(0)
	s_barrier
	buffer_gl0_inv
	v_cmpx_gt_u32_e32 7, v94
	s_cbranch_execz .LBB27_43
; %bb.40:
	v_dual_mov_b32 v1, 0 :: v_dual_add_nc_u32 v8, 0x1c0, v13
	v_dual_mov_b32 v2, 0 :: v_dual_add_nc_u32 v7, -1, v94
	v_or_b32_e32 v9, 8, v14
	s_mov_b32 s3, 0
	s_delay_alu instid0(VALU_DEP_2)
	v_dual_mov_b32 v4, v2 :: v_dual_mov_b32 v3, v1
	.p2align	6
.LBB27_41:                              ; =>This Inner Loop Header: Depth=1
	scratch_load_b128 v[15:18], v9, off offset:-8
	ds_load_b128 v[19:22], v8
	v_add_nc_u32_e32 v7, 1, v7
	v_add_nc_u32_e32 v8, 16, v8
	;; [unrolled: 1-line block ×3, first 2 shown]
	s_delay_alu instid0(VALU_DEP_3) | instskip(SKIP_4) | instid1(VALU_DEP_2)
	v_cmp_lt_u32_e32 vcc_lo, 5, v7
	s_or_b32 s3, vcc_lo, s3
	s_waitcnt vmcnt(0) lgkmcnt(0)
	v_mul_f64 v[10:11], v[21:22], v[17:18]
	v_mul_f64 v[17:18], v[19:20], v[17:18]
	v_fma_f64 v[10:11], v[19:20], v[15:16], -v[10:11]
	s_delay_alu instid0(VALU_DEP_2) | instskip(NEXT) | instid1(VALU_DEP_2)
	v_fma_f64 v[15:16], v[21:22], v[15:16], v[17:18]
	v_add_f64 v[3:4], v[3:4], v[10:11]
	s_delay_alu instid0(VALU_DEP_2)
	v_add_f64 v[1:2], v[1:2], v[15:16]
	s_and_not1_b32 exec_lo, exec_lo, s3
	s_cbranch_execnz .LBB27_41
; %bb.42:
	s_or_b32 exec_lo, exec_lo, s3
	v_mov_b32_e32 v7, 0
	ds_load_b128 v[7:10], v7 offset:112
	s_waitcnt lgkmcnt(0)
	v_mul_f64 v[11:12], v[1:2], v[9:10]
	v_mul_f64 v[15:16], v[3:4], v[9:10]
	s_delay_alu instid0(VALU_DEP_2) | instskip(NEXT) | instid1(VALU_DEP_2)
	v_fma_f64 v[9:10], v[3:4], v[7:8], -v[11:12]
	v_fma_f64 v[11:12], v[1:2], v[7:8], v[15:16]
	scratch_store_b128 off, v[9:12], off offset:112
.LBB27_43:
	s_or_b32 exec_lo, exec_lo, s2
	s_waitcnt_vscnt null, 0x0
	s_barrier
	buffer_gl0_inv
	scratch_load_b128 v[1:4], v114, off
	s_mov_b32 s2, exec_lo
	s_waitcnt vmcnt(0)
	ds_store_b128 v5, v[1:4]
	s_waitcnt lgkmcnt(0)
	s_barrier
	buffer_gl0_inv
	v_cmpx_gt_u32_e32 8, v94
	s_cbranch_execz .LBB27_47
; %bb.44:
	v_dual_mov_b32 v1, 0 :: v_dual_add_nc_u32 v8, 0x1c0, v13
	v_dual_mov_b32 v2, 0 :: v_dual_add_nc_u32 v7, -1, v94
	v_or_b32_e32 v9, 8, v14
	s_mov_b32 s3, 0
	s_delay_alu instid0(VALU_DEP_2)
	v_dual_mov_b32 v4, v2 :: v_dual_mov_b32 v3, v1
	.p2align	6
.LBB27_45:                              ; =>This Inner Loop Header: Depth=1
	scratch_load_b128 v[15:18], v9, off offset:-8
	ds_load_b128 v[19:22], v8
	v_add_nc_u32_e32 v7, 1, v7
	v_add_nc_u32_e32 v8, 16, v8
	;; [unrolled: 1-line block ×3, first 2 shown]
	s_delay_alu instid0(VALU_DEP_3) | instskip(SKIP_4) | instid1(VALU_DEP_2)
	v_cmp_lt_u32_e32 vcc_lo, 6, v7
	s_or_b32 s3, vcc_lo, s3
	s_waitcnt vmcnt(0) lgkmcnt(0)
	v_mul_f64 v[10:11], v[21:22], v[17:18]
	v_mul_f64 v[17:18], v[19:20], v[17:18]
	v_fma_f64 v[10:11], v[19:20], v[15:16], -v[10:11]
	s_delay_alu instid0(VALU_DEP_2) | instskip(NEXT) | instid1(VALU_DEP_2)
	v_fma_f64 v[15:16], v[21:22], v[15:16], v[17:18]
	v_add_f64 v[3:4], v[3:4], v[10:11]
	s_delay_alu instid0(VALU_DEP_2)
	v_add_f64 v[1:2], v[1:2], v[15:16]
	s_and_not1_b32 exec_lo, exec_lo, s3
	s_cbranch_execnz .LBB27_45
; %bb.46:
	s_or_b32 exec_lo, exec_lo, s3
	v_mov_b32_e32 v7, 0
	ds_load_b128 v[7:10], v7 offset:128
	s_waitcnt lgkmcnt(0)
	v_mul_f64 v[11:12], v[1:2], v[9:10]
	v_mul_f64 v[15:16], v[3:4], v[9:10]
	s_delay_alu instid0(VALU_DEP_2) | instskip(NEXT) | instid1(VALU_DEP_2)
	v_fma_f64 v[9:10], v[3:4], v[7:8], -v[11:12]
	v_fma_f64 v[11:12], v[1:2], v[7:8], v[15:16]
	scratch_store_b128 off, v[9:12], off offset:128
.LBB27_47:
	s_or_b32 exec_lo, exec_lo, s2
	s_waitcnt_vscnt null, 0x0
	s_barrier
	buffer_gl0_inv
	scratch_load_b128 v[1:4], v113, off
	s_mov_b32 s2, exec_lo
	s_waitcnt vmcnt(0)
	ds_store_b128 v5, v[1:4]
	s_waitcnt lgkmcnt(0)
	s_barrier
	buffer_gl0_inv
	v_cmpx_gt_u32_e32 9, v94
	s_cbranch_execz .LBB27_51
; %bb.48:
	v_dual_mov_b32 v1, 0 :: v_dual_add_nc_u32 v8, 0x1c0, v13
	v_dual_mov_b32 v2, 0 :: v_dual_add_nc_u32 v7, -1, v94
	v_or_b32_e32 v9, 8, v14
	s_mov_b32 s3, 0
	s_delay_alu instid0(VALU_DEP_2)
	v_dual_mov_b32 v4, v2 :: v_dual_mov_b32 v3, v1
	.p2align	6
.LBB27_49:                              ; =>This Inner Loop Header: Depth=1
	scratch_load_b128 v[15:18], v9, off offset:-8
	ds_load_b128 v[19:22], v8
	v_add_nc_u32_e32 v7, 1, v7
	v_add_nc_u32_e32 v8, 16, v8
	;; [unrolled: 1-line block ×3, first 2 shown]
	s_delay_alu instid0(VALU_DEP_3) | instskip(SKIP_4) | instid1(VALU_DEP_2)
	v_cmp_lt_u32_e32 vcc_lo, 7, v7
	s_or_b32 s3, vcc_lo, s3
	s_waitcnt vmcnt(0) lgkmcnt(0)
	v_mul_f64 v[10:11], v[21:22], v[17:18]
	v_mul_f64 v[17:18], v[19:20], v[17:18]
	v_fma_f64 v[10:11], v[19:20], v[15:16], -v[10:11]
	s_delay_alu instid0(VALU_DEP_2) | instskip(NEXT) | instid1(VALU_DEP_2)
	v_fma_f64 v[15:16], v[21:22], v[15:16], v[17:18]
	v_add_f64 v[3:4], v[3:4], v[10:11]
	s_delay_alu instid0(VALU_DEP_2)
	v_add_f64 v[1:2], v[1:2], v[15:16]
	s_and_not1_b32 exec_lo, exec_lo, s3
	s_cbranch_execnz .LBB27_49
; %bb.50:
	s_or_b32 exec_lo, exec_lo, s3
	v_mov_b32_e32 v7, 0
	ds_load_b128 v[7:10], v7 offset:144
	s_waitcnt lgkmcnt(0)
	v_mul_f64 v[11:12], v[1:2], v[9:10]
	v_mul_f64 v[15:16], v[3:4], v[9:10]
	s_delay_alu instid0(VALU_DEP_2) | instskip(NEXT) | instid1(VALU_DEP_2)
	v_fma_f64 v[9:10], v[3:4], v[7:8], -v[11:12]
	v_fma_f64 v[11:12], v[1:2], v[7:8], v[15:16]
	scratch_store_b128 off, v[9:12], off offset:144
.LBB27_51:
	s_or_b32 exec_lo, exec_lo, s2
	s_waitcnt_vscnt null, 0x0
	s_barrier
	buffer_gl0_inv
	scratch_load_b128 v[1:4], v111, off
	s_mov_b32 s2, exec_lo
	s_waitcnt vmcnt(0)
	ds_store_b128 v5, v[1:4]
	s_waitcnt lgkmcnt(0)
	s_barrier
	buffer_gl0_inv
	v_cmpx_gt_u32_e32 10, v94
	s_cbranch_execz .LBB27_55
; %bb.52:
	v_dual_mov_b32 v1, 0 :: v_dual_add_nc_u32 v8, 0x1c0, v13
	v_dual_mov_b32 v2, 0 :: v_dual_add_nc_u32 v7, -1, v94
	v_or_b32_e32 v9, 8, v14
	s_mov_b32 s3, 0
	s_delay_alu instid0(VALU_DEP_2)
	v_dual_mov_b32 v4, v2 :: v_dual_mov_b32 v3, v1
	.p2align	6
.LBB27_53:                              ; =>This Inner Loop Header: Depth=1
	scratch_load_b128 v[15:18], v9, off offset:-8
	ds_load_b128 v[19:22], v8
	v_add_nc_u32_e32 v7, 1, v7
	v_add_nc_u32_e32 v8, 16, v8
	;; [unrolled: 1-line block ×3, first 2 shown]
	s_delay_alu instid0(VALU_DEP_3) | instskip(SKIP_4) | instid1(VALU_DEP_2)
	v_cmp_lt_u32_e32 vcc_lo, 8, v7
	s_or_b32 s3, vcc_lo, s3
	s_waitcnt vmcnt(0) lgkmcnt(0)
	v_mul_f64 v[10:11], v[21:22], v[17:18]
	v_mul_f64 v[17:18], v[19:20], v[17:18]
	v_fma_f64 v[10:11], v[19:20], v[15:16], -v[10:11]
	s_delay_alu instid0(VALU_DEP_2) | instskip(NEXT) | instid1(VALU_DEP_2)
	v_fma_f64 v[15:16], v[21:22], v[15:16], v[17:18]
	v_add_f64 v[3:4], v[3:4], v[10:11]
	s_delay_alu instid0(VALU_DEP_2)
	v_add_f64 v[1:2], v[1:2], v[15:16]
	s_and_not1_b32 exec_lo, exec_lo, s3
	s_cbranch_execnz .LBB27_53
; %bb.54:
	s_or_b32 exec_lo, exec_lo, s3
	v_mov_b32_e32 v7, 0
	ds_load_b128 v[7:10], v7 offset:160
	s_waitcnt lgkmcnt(0)
	v_mul_f64 v[11:12], v[1:2], v[9:10]
	v_mul_f64 v[15:16], v[3:4], v[9:10]
	s_delay_alu instid0(VALU_DEP_2) | instskip(NEXT) | instid1(VALU_DEP_2)
	v_fma_f64 v[9:10], v[3:4], v[7:8], -v[11:12]
	v_fma_f64 v[11:12], v[1:2], v[7:8], v[15:16]
	scratch_store_b128 off, v[9:12], off offset:160
.LBB27_55:
	s_or_b32 exec_lo, exec_lo, s2
	s_waitcnt_vscnt null, 0x0
	s_barrier
	buffer_gl0_inv
	scratch_load_b128 v[1:4], v112, off
	s_mov_b32 s2, exec_lo
	s_waitcnt vmcnt(0)
	ds_store_b128 v5, v[1:4]
	s_waitcnt lgkmcnt(0)
	s_barrier
	buffer_gl0_inv
	v_cmpx_gt_u32_e32 11, v94
	s_cbranch_execz .LBB27_59
; %bb.56:
	v_dual_mov_b32 v1, 0 :: v_dual_add_nc_u32 v8, 0x1c0, v13
	v_dual_mov_b32 v2, 0 :: v_dual_add_nc_u32 v7, -1, v94
	v_or_b32_e32 v9, 8, v14
	s_mov_b32 s3, 0
	s_delay_alu instid0(VALU_DEP_2)
	v_dual_mov_b32 v4, v2 :: v_dual_mov_b32 v3, v1
	.p2align	6
.LBB27_57:                              ; =>This Inner Loop Header: Depth=1
	scratch_load_b128 v[15:18], v9, off offset:-8
	ds_load_b128 v[19:22], v8
	v_add_nc_u32_e32 v7, 1, v7
	v_add_nc_u32_e32 v8, 16, v8
	;; [unrolled: 1-line block ×3, first 2 shown]
	s_delay_alu instid0(VALU_DEP_3) | instskip(SKIP_4) | instid1(VALU_DEP_2)
	v_cmp_lt_u32_e32 vcc_lo, 9, v7
	s_or_b32 s3, vcc_lo, s3
	s_waitcnt vmcnt(0) lgkmcnt(0)
	v_mul_f64 v[10:11], v[21:22], v[17:18]
	v_mul_f64 v[17:18], v[19:20], v[17:18]
	v_fma_f64 v[10:11], v[19:20], v[15:16], -v[10:11]
	s_delay_alu instid0(VALU_DEP_2) | instskip(NEXT) | instid1(VALU_DEP_2)
	v_fma_f64 v[15:16], v[21:22], v[15:16], v[17:18]
	v_add_f64 v[3:4], v[3:4], v[10:11]
	s_delay_alu instid0(VALU_DEP_2)
	v_add_f64 v[1:2], v[1:2], v[15:16]
	s_and_not1_b32 exec_lo, exec_lo, s3
	s_cbranch_execnz .LBB27_57
; %bb.58:
	s_or_b32 exec_lo, exec_lo, s3
	v_mov_b32_e32 v7, 0
	ds_load_b128 v[7:10], v7 offset:176
	s_waitcnt lgkmcnt(0)
	v_mul_f64 v[11:12], v[1:2], v[9:10]
	v_mul_f64 v[15:16], v[3:4], v[9:10]
	s_delay_alu instid0(VALU_DEP_2) | instskip(NEXT) | instid1(VALU_DEP_2)
	v_fma_f64 v[9:10], v[3:4], v[7:8], -v[11:12]
	v_fma_f64 v[11:12], v[1:2], v[7:8], v[15:16]
	scratch_store_b128 off, v[9:12], off offset:176
.LBB27_59:
	s_or_b32 exec_lo, exec_lo, s2
	s_waitcnt_vscnt null, 0x0
	s_barrier
	buffer_gl0_inv
	scratch_load_b128 v[1:4], v110, off
	s_mov_b32 s2, exec_lo
	s_waitcnt vmcnt(0)
	ds_store_b128 v5, v[1:4]
	s_waitcnt lgkmcnt(0)
	s_barrier
	buffer_gl0_inv
	v_cmpx_gt_u32_e32 12, v94
	s_cbranch_execz .LBB27_63
; %bb.60:
	v_dual_mov_b32 v1, 0 :: v_dual_add_nc_u32 v8, 0x1c0, v13
	v_dual_mov_b32 v2, 0 :: v_dual_add_nc_u32 v7, -1, v94
	v_or_b32_e32 v9, 8, v14
	s_mov_b32 s3, 0
	s_delay_alu instid0(VALU_DEP_2)
	v_dual_mov_b32 v4, v2 :: v_dual_mov_b32 v3, v1
	.p2align	6
.LBB27_61:                              ; =>This Inner Loop Header: Depth=1
	scratch_load_b128 v[15:18], v9, off offset:-8
	ds_load_b128 v[19:22], v8
	v_add_nc_u32_e32 v7, 1, v7
	v_add_nc_u32_e32 v8, 16, v8
	;; [unrolled: 1-line block ×3, first 2 shown]
	s_delay_alu instid0(VALU_DEP_3) | instskip(SKIP_4) | instid1(VALU_DEP_2)
	v_cmp_lt_u32_e32 vcc_lo, 10, v7
	s_or_b32 s3, vcc_lo, s3
	s_waitcnt vmcnt(0) lgkmcnt(0)
	v_mul_f64 v[10:11], v[21:22], v[17:18]
	v_mul_f64 v[17:18], v[19:20], v[17:18]
	v_fma_f64 v[10:11], v[19:20], v[15:16], -v[10:11]
	s_delay_alu instid0(VALU_DEP_2) | instskip(NEXT) | instid1(VALU_DEP_2)
	v_fma_f64 v[15:16], v[21:22], v[15:16], v[17:18]
	v_add_f64 v[3:4], v[3:4], v[10:11]
	s_delay_alu instid0(VALU_DEP_2)
	v_add_f64 v[1:2], v[1:2], v[15:16]
	s_and_not1_b32 exec_lo, exec_lo, s3
	s_cbranch_execnz .LBB27_61
; %bb.62:
	s_or_b32 exec_lo, exec_lo, s3
	v_mov_b32_e32 v7, 0
	ds_load_b128 v[7:10], v7 offset:192
	s_waitcnt lgkmcnt(0)
	v_mul_f64 v[11:12], v[1:2], v[9:10]
	v_mul_f64 v[15:16], v[3:4], v[9:10]
	s_delay_alu instid0(VALU_DEP_2) | instskip(NEXT) | instid1(VALU_DEP_2)
	v_fma_f64 v[9:10], v[3:4], v[7:8], -v[11:12]
	v_fma_f64 v[11:12], v[1:2], v[7:8], v[15:16]
	scratch_store_b128 off, v[9:12], off offset:192
.LBB27_63:
	s_or_b32 exec_lo, exec_lo, s2
	s_waitcnt_vscnt null, 0x0
	s_barrier
	buffer_gl0_inv
	scratch_load_b128 v[1:4], v109, off
	s_mov_b32 s2, exec_lo
	s_waitcnt vmcnt(0)
	ds_store_b128 v5, v[1:4]
	s_waitcnt lgkmcnt(0)
	s_barrier
	buffer_gl0_inv
	v_cmpx_gt_u32_e32 13, v94
	s_cbranch_execz .LBB27_67
; %bb.64:
	v_dual_mov_b32 v1, 0 :: v_dual_add_nc_u32 v8, 0x1c0, v13
	v_dual_mov_b32 v2, 0 :: v_dual_add_nc_u32 v7, -1, v94
	v_or_b32_e32 v9, 8, v14
	s_mov_b32 s3, 0
	s_delay_alu instid0(VALU_DEP_2)
	v_dual_mov_b32 v4, v2 :: v_dual_mov_b32 v3, v1
	.p2align	6
.LBB27_65:                              ; =>This Inner Loop Header: Depth=1
	scratch_load_b128 v[15:18], v9, off offset:-8
	ds_load_b128 v[19:22], v8
	v_add_nc_u32_e32 v7, 1, v7
	v_add_nc_u32_e32 v8, 16, v8
	;; [unrolled: 1-line block ×3, first 2 shown]
	s_delay_alu instid0(VALU_DEP_3) | instskip(SKIP_4) | instid1(VALU_DEP_2)
	v_cmp_lt_u32_e32 vcc_lo, 11, v7
	s_or_b32 s3, vcc_lo, s3
	s_waitcnt vmcnt(0) lgkmcnt(0)
	v_mul_f64 v[10:11], v[21:22], v[17:18]
	v_mul_f64 v[17:18], v[19:20], v[17:18]
	v_fma_f64 v[10:11], v[19:20], v[15:16], -v[10:11]
	s_delay_alu instid0(VALU_DEP_2) | instskip(NEXT) | instid1(VALU_DEP_2)
	v_fma_f64 v[15:16], v[21:22], v[15:16], v[17:18]
	v_add_f64 v[3:4], v[3:4], v[10:11]
	s_delay_alu instid0(VALU_DEP_2)
	v_add_f64 v[1:2], v[1:2], v[15:16]
	s_and_not1_b32 exec_lo, exec_lo, s3
	s_cbranch_execnz .LBB27_65
; %bb.66:
	s_or_b32 exec_lo, exec_lo, s3
	v_mov_b32_e32 v7, 0
	ds_load_b128 v[7:10], v7 offset:208
	s_waitcnt lgkmcnt(0)
	v_mul_f64 v[11:12], v[1:2], v[9:10]
	v_mul_f64 v[15:16], v[3:4], v[9:10]
	s_delay_alu instid0(VALU_DEP_2) | instskip(NEXT) | instid1(VALU_DEP_2)
	v_fma_f64 v[9:10], v[3:4], v[7:8], -v[11:12]
	v_fma_f64 v[11:12], v[1:2], v[7:8], v[15:16]
	scratch_store_b128 off, v[9:12], off offset:208
.LBB27_67:
	s_or_b32 exec_lo, exec_lo, s2
	s_waitcnt_vscnt null, 0x0
	s_barrier
	buffer_gl0_inv
	scratch_load_b128 v[1:4], v107, off
	s_mov_b32 s2, exec_lo
	s_waitcnt vmcnt(0)
	ds_store_b128 v5, v[1:4]
	s_waitcnt lgkmcnt(0)
	s_barrier
	buffer_gl0_inv
	v_cmpx_gt_u32_e32 14, v94
	s_cbranch_execz .LBB27_71
; %bb.68:
	v_dual_mov_b32 v1, 0 :: v_dual_add_nc_u32 v8, 0x1c0, v13
	v_dual_mov_b32 v2, 0 :: v_dual_add_nc_u32 v7, -1, v94
	v_or_b32_e32 v9, 8, v14
	s_mov_b32 s3, 0
	s_delay_alu instid0(VALU_DEP_2)
	v_dual_mov_b32 v4, v2 :: v_dual_mov_b32 v3, v1
	.p2align	6
.LBB27_69:                              ; =>This Inner Loop Header: Depth=1
	scratch_load_b128 v[15:18], v9, off offset:-8
	ds_load_b128 v[19:22], v8
	v_add_nc_u32_e32 v7, 1, v7
	v_add_nc_u32_e32 v8, 16, v8
	;; [unrolled: 1-line block ×3, first 2 shown]
	s_delay_alu instid0(VALU_DEP_3) | instskip(SKIP_4) | instid1(VALU_DEP_2)
	v_cmp_lt_u32_e32 vcc_lo, 12, v7
	s_or_b32 s3, vcc_lo, s3
	s_waitcnt vmcnt(0) lgkmcnt(0)
	v_mul_f64 v[10:11], v[21:22], v[17:18]
	v_mul_f64 v[17:18], v[19:20], v[17:18]
	v_fma_f64 v[10:11], v[19:20], v[15:16], -v[10:11]
	s_delay_alu instid0(VALU_DEP_2) | instskip(NEXT) | instid1(VALU_DEP_2)
	v_fma_f64 v[15:16], v[21:22], v[15:16], v[17:18]
	v_add_f64 v[3:4], v[3:4], v[10:11]
	s_delay_alu instid0(VALU_DEP_2)
	v_add_f64 v[1:2], v[1:2], v[15:16]
	s_and_not1_b32 exec_lo, exec_lo, s3
	s_cbranch_execnz .LBB27_69
; %bb.70:
	s_or_b32 exec_lo, exec_lo, s3
	v_mov_b32_e32 v7, 0
	ds_load_b128 v[7:10], v7 offset:224
	s_waitcnt lgkmcnt(0)
	v_mul_f64 v[11:12], v[1:2], v[9:10]
	v_mul_f64 v[15:16], v[3:4], v[9:10]
	s_delay_alu instid0(VALU_DEP_2) | instskip(NEXT) | instid1(VALU_DEP_2)
	v_fma_f64 v[9:10], v[3:4], v[7:8], -v[11:12]
	v_fma_f64 v[11:12], v[1:2], v[7:8], v[15:16]
	scratch_store_b128 off, v[9:12], off offset:224
.LBB27_71:
	s_or_b32 exec_lo, exec_lo, s2
	s_waitcnt_vscnt null, 0x0
	s_barrier
	buffer_gl0_inv
	scratch_load_b128 v[1:4], v108, off
	s_mov_b32 s2, exec_lo
	s_waitcnt vmcnt(0)
	ds_store_b128 v5, v[1:4]
	s_waitcnt lgkmcnt(0)
	s_barrier
	buffer_gl0_inv
	v_cmpx_gt_u32_e32 15, v94
	s_cbranch_execz .LBB27_75
; %bb.72:
	v_dual_mov_b32 v1, 0 :: v_dual_add_nc_u32 v8, 0x1c0, v13
	v_dual_mov_b32 v2, 0 :: v_dual_add_nc_u32 v7, -1, v94
	v_or_b32_e32 v9, 8, v14
	s_mov_b32 s3, 0
	s_delay_alu instid0(VALU_DEP_2)
	v_dual_mov_b32 v4, v2 :: v_dual_mov_b32 v3, v1
	.p2align	6
.LBB27_73:                              ; =>This Inner Loop Header: Depth=1
	scratch_load_b128 v[15:18], v9, off offset:-8
	ds_load_b128 v[19:22], v8
	v_add_nc_u32_e32 v7, 1, v7
	v_add_nc_u32_e32 v8, 16, v8
	;; [unrolled: 1-line block ×3, first 2 shown]
	s_delay_alu instid0(VALU_DEP_3) | instskip(SKIP_4) | instid1(VALU_DEP_2)
	v_cmp_lt_u32_e32 vcc_lo, 13, v7
	s_or_b32 s3, vcc_lo, s3
	s_waitcnt vmcnt(0) lgkmcnt(0)
	v_mul_f64 v[10:11], v[21:22], v[17:18]
	v_mul_f64 v[17:18], v[19:20], v[17:18]
	v_fma_f64 v[10:11], v[19:20], v[15:16], -v[10:11]
	s_delay_alu instid0(VALU_DEP_2) | instskip(NEXT) | instid1(VALU_DEP_2)
	v_fma_f64 v[15:16], v[21:22], v[15:16], v[17:18]
	v_add_f64 v[3:4], v[3:4], v[10:11]
	s_delay_alu instid0(VALU_DEP_2)
	v_add_f64 v[1:2], v[1:2], v[15:16]
	s_and_not1_b32 exec_lo, exec_lo, s3
	s_cbranch_execnz .LBB27_73
; %bb.74:
	s_or_b32 exec_lo, exec_lo, s3
	v_mov_b32_e32 v7, 0
	ds_load_b128 v[7:10], v7 offset:240
	s_waitcnt lgkmcnt(0)
	v_mul_f64 v[11:12], v[1:2], v[9:10]
	v_mul_f64 v[15:16], v[3:4], v[9:10]
	s_delay_alu instid0(VALU_DEP_2) | instskip(NEXT) | instid1(VALU_DEP_2)
	v_fma_f64 v[9:10], v[3:4], v[7:8], -v[11:12]
	v_fma_f64 v[11:12], v[1:2], v[7:8], v[15:16]
	scratch_store_b128 off, v[9:12], off offset:240
.LBB27_75:
	s_or_b32 exec_lo, exec_lo, s2
	s_waitcnt_vscnt null, 0x0
	s_barrier
	buffer_gl0_inv
	scratch_load_b128 v[1:4], v106, off
	s_mov_b32 s2, exec_lo
	s_waitcnt vmcnt(0)
	ds_store_b128 v5, v[1:4]
	s_waitcnt lgkmcnt(0)
	s_barrier
	buffer_gl0_inv
	v_cmpx_gt_u32_e32 16, v94
	s_cbranch_execz .LBB27_79
; %bb.76:
	v_dual_mov_b32 v1, 0 :: v_dual_add_nc_u32 v8, 0x1c0, v13
	v_dual_mov_b32 v2, 0 :: v_dual_add_nc_u32 v7, -1, v94
	v_or_b32_e32 v9, 8, v14
	s_mov_b32 s3, 0
	s_delay_alu instid0(VALU_DEP_2)
	v_dual_mov_b32 v4, v2 :: v_dual_mov_b32 v3, v1
	.p2align	6
.LBB27_77:                              ; =>This Inner Loop Header: Depth=1
	scratch_load_b128 v[15:18], v9, off offset:-8
	ds_load_b128 v[19:22], v8
	v_add_nc_u32_e32 v7, 1, v7
	v_add_nc_u32_e32 v8, 16, v8
	;; [unrolled: 1-line block ×3, first 2 shown]
	s_delay_alu instid0(VALU_DEP_3) | instskip(SKIP_4) | instid1(VALU_DEP_2)
	v_cmp_lt_u32_e32 vcc_lo, 14, v7
	s_or_b32 s3, vcc_lo, s3
	s_waitcnt vmcnt(0) lgkmcnt(0)
	v_mul_f64 v[10:11], v[21:22], v[17:18]
	v_mul_f64 v[17:18], v[19:20], v[17:18]
	v_fma_f64 v[10:11], v[19:20], v[15:16], -v[10:11]
	s_delay_alu instid0(VALU_DEP_2) | instskip(NEXT) | instid1(VALU_DEP_2)
	v_fma_f64 v[15:16], v[21:22], v[15:16], v[17:18]
	v_add_f64 v[3:4], v[3:4], v[10:11]
	s_delay_alu instid0(VALU_DEP_2)
	v_add_f64 v[1:2], v[1:2], v[15:16]
	s_and_not1_b32 exec_lo, exec_lo, s3
	s_cbranch_execnz .LBB27_77
; %bb.78:
	s_or_b32 exec_lo, exec_lo, s3
	v_mov_b32_e32 v7, 0
	ds_load_b128 v[7:10], v7 offset:256
	s_waitcnt lgkmcnt(0)
	v_mul_f64 v[11:12], v[1:2], v[9:10]
	v_mul_f64 v[15:16], v[3:4], v[9:10]
	s_delay_alu instid0(VALU_DEP_2) | instskip(NEXT) | instid1(VALU_DEP_2)
	v_fma_f64 v[9:10], v[3:4], v[7:8], -v[11:12]
	v_fma_f64 v[11:12], v[1:2], v[7:8], v[15:16]
	scratch_store_b128 off, v[9:12], off offset:256
.LBB27_79:
	s_or_b32 exec_lo, exec_lo, s2
	s_waitcnt_vscnt null, 0x0
	s_barrier
	buffer_gl0_inv
	scratch_load_b128 v[1:4], v105, off
	s_mov_b32 s2, exec_lo
	s_waitcnt vmcnt(0)
	ds_store_b128 v5, v[1:4]
	s_waitcnt lgkmcnt(0)
	s_barrier
	buffer_gl0_inv
	v_cmpx_gt_u32_e32 17, v94
	s_cbranch_execz .LBB27_83
; %bb.80:
	v_dual_mov_b32 v1, 0 :: v_dual_add_nc_u32 v8, 0x1c0, v13
	v_dual_mov_b32 v2, 0 :: v_dual_add_nc_u32 v7, -1, v94
	v_or_b32_e32 v9, 8, v14
	s_mov_b32 s3, 0
	s_delay_alu instid0(VALU_DEP_2)
	v_dual_mov_b32 v4, v2 :: v_dual_mov_b32 v3, v1
	.p2align	6
.LBB27_81:                              ; =>This Inner Loop Header: Depth=1
	scratch_load_b128 v[15:18], v9, off offset:-8
	ds_load_b128 v[19:22], v8
	v_add_nc_u32_e32 v7, 1, v7
	v_add_nc_u32_e32 v8, 16, v8
	;; [unrolled: 1-line block ×3, first 2 shown]
	s_delay_alu instid0(VALU_DEP_3) | instskip(SKIP_4) | instid1(VALU_DEP_2)
	v_cmp_lt_u32_e32 vcc_lo, 15, v7
	s_or_b32 s3, vcc_lo, s3
	s_waitcnt vmcnt(0) lgkmcnt(0)
	v_mul_f64 v[10:11], v[21:22], v[17:18]
	v_mul_f64 v[17:18], v[19:20], v[17:18]
	v_fma_f64 v[10:11], v[19:20], v[15:16], -v[10:11]
	s_delay_alu instid0(VALU_DEP_2) | instskip(NEXT) | instid1(VALU_DEP_2)
	v_fma_f64 v[15:16], v[21:22], v[15:16], v[17:18]
	v_add_f64 v[3:4], v[3:4], v[10:11]
	s_delay_alu instid0(VALU_DEP_2)
	v_add_f64 v[1:2], v[1:2], v[15:16]
	s_and_not1_b32 exec_lo, exec_lo, s3
	s_cbranch_execnz .LBB27_81
; %bb.82:
	s_or_b32 exec_lo, exec_lo, s3
	v_mov_b32_e32 v7, 0
	ds_load_b128 v[7:10], v7 offset:272
	s_waitcnt lgkmcnt(0)
	v_mul_f64 v[11:12], v[1:2], v[9:10]
	v_mul_f64 v[15:16], v[3:4], v[9:10]
	s_delay_alu instid0(VALU_DEP_2) | instskip(NEXT) | instid1(VALU_DEP_2)
	v_fma_f64 v[9:10], v[3:4], v[7:8], -v[11:12]
	v_fma_f64 v[11:12], v[1:2], v[7:8], v[15:16]
	scratch_store_b128 off, v[9:12], off offset:272
.LBB27_83:
	s_or_b32 exec_lo, exec_lo, s2
	s_waitcnt_vscnt null, 0x0
	s_barrier
	buffer_gl0_inv
	scratch_load_b128 v[1:4], v103, off
	s_mov_b32 s2, exec_lo
	s_waitcnt vmcnt(0)
	ds_store_b128 v5, v[1:4]
	s_waitcnt lgkmcnt(0)
	s_barrier
	buffer_gl0_inv
	v_cmpx_gt_u32_e32 18, v94
	s_cbranch_execz .LBB27_87
; %bb.84:
	v_dual_mov_b32 v1, 0 :: v_dual_add_nc_u32 v8, 0x1c0, v13
	v_dual_mov_b32 v2, 0 :: v_dual_add_nc_u32 v7, -1, v94
	v_or_b32_e32 v9, 8, v14
	s_mov_b32 s3, 0
	s_delay_alu instid0(VALU_DEP_2)
	v_dual_mov_b32 v4, v2 :: v_dual_mov_b32 v3, v1
	.p2align	6
.LBB27_85:                              ; =>This Inner Loop Header: Depth=1
	scratch_load_b128 v[15:18], v9, off offset:-8
	ds_load_b128 v[19:22], v8
	v_add_nc_u32_e32 v7, 1, v7
	v_add_nc_u32_e32 v8, 16, v8
	v_add_nc_u32_e32 v9, 16, v9
	s_delay_alu instid0(VALU_DEP_3) | instskip(SKIP_4) | instid1(VALU_DEP_2)
	v_cmp_lt_u32_e32 vcc_lo, 16, v7
	s_or_b32 s3, vcc_lo, s3
	s_waitcnt vmcnt(0) lgkmcnt(0)
	v_mul_f64 v[10:11], v[21:22], v[17:18]
	v_mul_f64 v[17:18], v[19:20], v[17:18]
	v_fma_f64 v[10:11], v[19:20], v[15:16], -v[10:11]
	s_delay_alu instid0(VALU_DEP_2) | instskip(NEXT) | instid1(VALU_DEP_2)
	v_fma_f64 v[15:16], v[21:22], v[15:16], v[17:18]
	v_add_f64 v[3:4], v[3:4], v[10:11]
	s_delay_alu instid0(VALU_DEP_2)
	v_add_f64 v[1:2], v[1:2], v[15:16]
	s_and_not1_b32 exec_lo, exec_lo, s3
	s_cbranch_execnz .LBB27_85
; %bb.86:
	s_or_b32 exec_lo, exec_lo, s3
	v_mov_b32_e32 v7, 0
	ds_load_b128 v[7:10], v7 offset:288
	s_waitcnt lgkmcnt(0)
	v_mul_f64 v[11:12], v[1:2], v[9:10]
	v_mul_f64 v[15:16], v[3:4], v[9:10]
	s_delay_alu instid0(VALU_DEP_2) | instskip(NEXT) | instid1(VALU_DEP_2)
	v_fma_f64 v[9:10], v[3:4], v[7:8], -v[11:12]
	v_fma_f64 v[11:12], v[1:2], v[7:8], v[15:16]
	scratch_store_b128 off, v[9:12], off offset:288
.LBB27_87:
	s_or_b32 exec_lo, exec_lo, s2
	s_waitcnt_vscnt null, 0x0
	s_barrier
	buffer_gl0_inv
	scratch_load_b128 v[1:4], v104, off
	s_mov_b32 s2, exec_lo
	s_waitcnt vmcnt(0)
	ds_store_b128 v5, v[1:4]
	s_waitcnt lgkmcnt(0)
	s_barrier
	buffer_gl0_inv
	v_cmpx_gt_u32_e32 19, v94
	s_cbranch_execz .LBB27_91
; %bb.88:
	v_dual_mov_b32 v1, 0 :: v_dual_add_nc_u32 v8, 0x1c0, v13
	v_dual_mov_b32 v2, 0 :: v_dual_add_nc_u32 v7, -1, v94
	v_or_b32_e32 v9, 8, v14
	s_mov_b32 s3, 0
	s_delay_alu instid0(VALU_DEP_2)
	v_dual_mov_b32 v4, v2 :: v_dual_mov_b32 v3, v1
	.p2align	6
.LBB27_89:                              ; =>This Inner Loop Header: Depth=1
	scratch_load_b128 v[15:18], v9, off offset:-8
	ds_load_b128 v[19:22], v8
	v_add_nc_u32_e32 v7, 1, v7
	v_add_nc_u32_e32 v8, 16, v8
	;; [unrolled: 1-line block ×3, first 2 shown]
	s_delay_alu instid0(VALU_DEP_3) | instskip(SKIP_4) | instid1(VALU_DEP_2)
	v_cmp_lt_u32_e32 vcc_lo, 17, v7
	s_or_b32 s3, vcc_lo, s3
	s_waitcnt vmcnt(0) lgkmcnt(0)
	v_mul_f64 v[10:11], v[21:22], v[17:18]
	v_mul_f64 v[17:18], v[19:20], v[17:18]
	v_fma_f64 v[10:11], v[19:20], v[15:16], -v[10:11]
	s_delay_alu instid0(VALU_DEP_2) | instskip(NEXT) | instid1(VALU_DEP_2)
	v_fma_f64 v[15:16], v[21:22], v[15:16], v[17:18]
	v_add_f64 v[3:4], v[3:4], v[10:11]
	s_delay_alu instid0(VALU_DEP_2)
	v_add_f64 v[1:2], v[1:2], v[15:16]
	s_and_not1_b32 exec_lo, exec_lo, s3
	s_cbranch_execnz .LBB27_89
; %bb.90:
	s_or_b32 exec_lo, exec_lo, s3
	v_mov_b32_e32 v7, 0
	ds_load_b128 v[7:10], v7 offset:304
	s_waitcnt lgkmcnt(0)
	v_mul_f64 v[11:12], v[1:2], v[9:10]
	v_mul_f64 v[15:16], v[3:4], v[9:10]
	s_delay_alu instid0(VALU_DEP_2) | instskip(NEXT) | instid1(VALU_DEP_2)
	v_fma_f64 v[9:10], v[3:4], v[7:8], -v[11:12]
	v_fma_f64 v[11:12], v[1:2], v[7:8], v[15:16]
	scratch_store_b128 off, v[9:12], off offset:304
.LBB27_91:
	s_or_b32 exec_lo, exec_lo, s2
	s_waitcnt_vscnt null, 0x0
	s_barrier
	buffer_gl0_inv
	scratch_load_b128 v[1:4], v102, off
	s_mov_b32 s2, exec_lo
	s_waitcnt vmcnt(0)
	ds_store_b128 v5, v[1:4]
	s_waitcnt lgkmcnt(0)
	s_barrier
	buffer_gl0_inv
	v_cmpx_gt_u32_e32 20, v94
	s_cbranch_execz .LBB27_95
; %bb.92:
	v_dual_mov_b32 v1, 0 :: v_dual_add_nc_u32 v8, 0x1c0, v13
	v_dual_mov_b32 v2, 0 :: v_dual_add_nc_u32 v7, -1, v94
	v_or_b32_e32 v9, 8, v14
	s_mov_b32 s3, 0
	s_delay_alu instid0(VALU_DEP_2)
	v_dual_mov_b32 v4, v2 :: v_dual_mov_b32 v3, v1
	.p2align	6
.LBB27_93:                              ; =>This Inner Loop Header: Depth=1
	scratch_load_b128 v[15:18], v9, off offset:-8
	ds_load_b128 v[19:22], v8
	v_add_nc_u32_e32 v7, 1, v7
	v_add_nc_u32_e32 v8, 16, v8
	;; [unrolled: 1-line block ×3, first 2 shown]
	s_delay_alu instid0(VALU_DEP_3) | instskip(SKIP_4) | instid1(VALU_DEP_2)
	v_cmp_lt_u32_e32 vcc_lo, 18, v7
	s_or_b32 s3, vcc_lo, s3
	s_waitcnt vmcnt(0) lgkmcnt(0)
	v_mul_f64 v[10:11], v[21:22], v[17:18]
	v_mul_f64 v[17:18], v[19:20], v[17:18]
	v_fma_f64 v[10:11], v[19:20], v[15:16], -v[10:11]
	s_delay_alu instid0(VALU_DEP_2) | instskip(NEXT) | instid1(VALU_DEP_2)
	v_fma_f64 v[15:16], v[21:22], v[15:16], v[17:18]
	v_add_f64 v[3:4], v[3:4], v[10:11]
	s_delay_alu instid0(VALU_DEP_2)
	v_add_f64 v[1:2], v[1:2], v[15:16]
	s_and_not1_b32 exec_lo, exec_lo, s3
	s_cbranch_execnz .LBB27_93
; %bb.94:
	s_or_b32 exec_lo, exec_lo, s3
	v_mov_b32_e32 v7, 0
	ds_load_b128 v[7:10], v7 offset:320
	s_waitcnt lgkmcnt(0)
	v_mul_f64 v[11:12], v[1:2], v[9:10]
	v_mul_f64 v[15:16], v[3:4], v[9:10]
	s_delay_alu instid0(VALU_DEP_2) | instskip(NEXT) | instid1(VALU_DEP_2)
	v_fma_f64 v[9:10], v[3:4], v[7:8], -v[11:12]
	v_fma_f64 v[11:12], v[1:2], v[7:8], v[15:16]
	scratch_store_b128 off, v[9:12], off offset:320
.LBB27_95:
	s_or_b32 exec_lo, exec_lo, s2
	s_waitcnt_vscnt null, 0x0
	s_barrier
	buffer_gl0_inv
	scratch_load_b128 v[1:4], v101, off
	s_mov_b32 s2, exec_lo
	s_waitcnt vmcnt(0)
	ds_store_b128 v5, v[1:4]
	s_waitcnt lgkmcnt(0)
	s_barrier
	buffer_gl0_inv
	v_cmpx_gt_u32_e32 21, v94
	s_cbranch_execz .LBB27_99
; %bb.96:
	v_dual_mov_b32 v1, 0 :: v_dual_add_nc_u32 v8, 0x1c0, v13
	v_dual_mov_b32 v2, 0 :: v_dual_add_nc_u32 v7, -1, v94
	v_or_b32_e32 v9, 8, v14
	s_mov_b32 s3, 0
	s_delay_alu instid0(VALU_DEP_2)
	v_dual_mov_b32 v4, v2 :: v_dual_mov_b32 v3, v1
	.p2align	6
.LBB27_97:                              ; =>This Inner Loop Header: Depth=1
	scratch_load_b128 v[15:18], v9, off offset:-8
	ds_load_b128 v[19:22], v8
	v_add_nc_u32_e32 v7, 1, v7
	v_add_nc_u32_e32 v8, 16, v8
	;; [unrolled: 1-line block ×3, first 2 shown]
	s_delay_alu instid0(VALU_DEP_3) | instskip(SKIP_4) | instid1(VALU_DEP_2)
	v_cmp_lt_u32_e32 vcc_lo, 19, v7
	s_or_b32 s3, vcc_lo, s3
	s_waitcnt vmcnt(0) lgkmcnt(0)
	v_mul_f64 v[10:11], v[21:22], v[17:18]
	v_mul_f64 v[17:18], v[19:20], v[17:18]
	v_fma_f64 v[10:11], v[19:20], v[15:16], -v[10:11]
	s_delay_alu instid0(VALU_DEP_2) | instskip(NEXT) | instid1(VALU_DEP_2)
	v_fma_f64 v[15:16], v[21:22], v[15:16], v[17:18]
	v_add_f64 v[3:4], v[3:4], v[10:11]
	s_delay_alu instid0(VALU_DEP_2)
	v_add_f64 v[1:2], v[1:2], v[15:16]
	s_and_not1_b32 exec_lo, exec_lo, s3
	s_cbranch_execnz .LBB27_97
; %bb.98:
	s_or_b32 exec_lo, exec_lo, s3
	v_mov_b32_e32 v7, 0
	ds_load_b128 v[7:10], v7 offset:336
	s_waitcnt lgkmcnt(0)
	v_mul_f64 v[11:12], v[1:2], v[9:10]
	v_mul_f64 v[15:16], v[3:4], v[9:10]
	s_delay_alu instid0(VALU_DEP_2) | instskip(NEXT) | instid1(VALU_DEP_2)
	v_fma_f64 v[9:10], v[3:4], v[7:8], -v[11:12]
	v_fma_f64 v[11:12], v[1:2], v[7:8], v[15:16]
	scratch_store_b128 off, v[9:12], off offset:336
.LBB27_99:
	s_or_b32 exec_lo, exec_lo, s2
	s_waitcnt_vscnt null, 0x0
	s_barrier
	buffer_gl0_inv
	scratch_load_b128 v[1:4], v99, off
	s_mov_b32 s2, exec_lo
	s_waitcnt vmcnt(0)
	ds_store_b128 v5, v[1:4]
	s_waitcnt lgkmcnt(0)
	s_barrier
	buffer_gl0_inv
	v_cmpx_gt_u32_e32 22, v94
	s_cbranch_execz .LBB27_103
; %bb.100:
	v_dual_mov_b32 v1, 0 :: v_dual_add_nc_u32 v8, 0x1c0, v13
	v_dual_mov_b32 v2, 0 :: v_dual_add_nc_u32 v7, -1, v94
	v_or_b32_e32 v9, 8, v14
	s_mov_b32 s3, 0
	s_delay_alu instid0(VALU_DEP_2)
	v_dual_mov_b32 v4, v2 :: v_dual_mov_b32 v3, v1
	.p2align	6
.LBB27_101:                             ; =>This Inner Loop Header: Depth=1
	scratch_load_b128 v[15:18], v9, off offset:-8
	ds_load_b128 v[19:22], v8
	v_add_nc_u32_e32 v7, 1, v7
	v_add_nc_u32_e32 v8, 16, v8
	;; [unrolled: 1-line block ×3, first 2 shown]
	s_delay_alu instid0(VALU_DEP_3) | instskip(SKIP_4) | instid1(VALU_DEP_2)
	v_cmp_lt_u32_e32 vcc_lo, 20, v7
	s_or_b32 s3, vcc_lo, s3
	s_waitcnt vmcnt(0) lgkmcnt(0)
	v_mul_f64 v[10:11], v[21:22], v[17:18]
	v_mul_f64 v[17:18], v[19:20], v[17:18]
	v_fma_f64 v[10:11], v[19:20], v[15:16], -v[10:11]
	s_delay_alu instid0(VALU_DEP_2) | instskip(NEXT) | instid1(VALU_DEP_2)
	v_fma_f64 v[15:16], v[21:22], v[15:16], v[17:18]
	v_add_f64 v[3:4], v[3:4], v[10:11]
	s_delay_alu instid0(VALU_DEP_2)
	v_add_f64 v[1:2], v[1:2], v[15:16]
	s_and_not1_b32 exec_lo, exec_lo, s3
	s_cbranch_execnz .LBB27_101
; %bb.102:
	s_or_b32 exec_lo, exec_lo, s3
	v_mov_b32_e32 v7, 0
	ds_load_b128 v[7:10], v7 offset:352
	s_waitcnt lgkmcnt(0)
	v_mul_f64 v[11:12], v[1:2], v[9:10]
	v_mul_f64 v[15:16], v[3:4], v[9:10]
	s_delay_alu instid0(VALU_DEP_2) | instskip(NEXT) | instid1(VALU_DEP_2)
	v_fma_f64 v[9:10], v[3:4], v[7:8], -v[11:12]
	v_fma_f64 v[11:12], v[1:2], v[7:8], v[15:16]
	scratch_store_b128 off, v[9:12], off offset:352
.LBB27_103:
	s_or_b32 exec_lo, exec_lo, s2
	s_waitcnt_vscnt null, 0x0
	s_barrier
	buffer_gl0_inv
	scratch_load_b128 v[1:4], v100, off
	s_mov_b32 s2, exec_lo
	s_waitcnt vmcnt(0)
	ds_store_b128 v5, v[1:4]
	s_waitcnt lgkmcnt(0)
	s_barrier
	buffer_gl0_inv
	v_cmpx_gt_u32_e32 23, v94
	s_cbranch_execz .LBB27_107
; %bb.104:
	v_dual_mov_b32 v1, 0 :: v_dual_add_nc_u32 v8, 0x1c0, v13
	v_dual_mov_b32 v2, 0 :: v_dual_add_nc_u32 v7, -1, v94
	v_or_b32_e32 v9, 8, v14
	s_mov_b32 s3, 0
	s_delay_alu instid0(VALU_DEP_2)
	v_dual_mov_b32 v4, v2 :: v_dual_mov_b32 v3, v1
	.p2align	6
.LBB27_105:                             ; =>This Inner Loop Header: Depth=1
	scratch_load_b128 v[15:18], v9, off offset:-8
	ds_load_b128 v[19:22], v8
	v_add_nc_u32_e32 v7, 1, v7
	v_add_nc_u32_e32 v8, 16, v8
	;; [unrolled: 1-line block ×3, first 2 shown]
	s_delay_alu instid0(VALU_DEP_3) | instskip(SKIP_4) | instid1(VALU_DEP_2)
	v_cmp_lt_u32_e32 vcc_lo, 21, v7
	s_or_b32 s3, vcc_lo, s3
	s_waitcnt vmcnt(0) lgkmcnt(0)
	v_mul_f64 v[10:11], v[21:22], v[17:18]
	v_mul_f64 v[17:18], v[19:20], v[17:18]
	v_fma_f64 v[10:11], v[19:20], v[15:16], -v[10:11]
	s_delay_alu instid0(VALU_DEP_2) | instskip(NEXT) | instid1(VALU_DEP_2)
	v_fma_f64 v[15:16], v[21:22], v[15:16], v[17:18]
	v_add_f64 v[3:4], v[3:4], v[10:11]
	s_delay_alu instid0(VALU_DEP_2)
	v_add_f64 v[1:2], v[1:2], v[15:16]
	s_and_not1_b32 exec_lo, exec_lo, s3
	s_cbranch_execnz .LBB27_105
; %bb.106:
	s_or_b32 exec_lo, exec_lo, s3
	v_mov_b32_e32 v7, 0
	ds_load_b128 v[7:10], v7 offset:368
	s_waitcnt lgkmcnt(0)
	v_mul_f64 v[11:12], v[1:2], v[9:10]
	v_mul_f64 v[15:16], v[3:4], v[9:10]
	s_delay_alu instid0(VALU_DEP_2) | instskip(NEXT) | instid1(VALU_DEP_2)
	v_fma_f64 v[9:10], v[3:4], v[7:8], -v[11:12]
	v_fma_f64 v[11:12], v[1:2], v[7:8], v[15:16]
	scratch_store_b128 off, v[9:12], off offset:368
.LBB27_107:
	s_or_b32 exec_lo, exec_lo, s2
	s_waitcnt_vscnt null, 0x0
	s_barrier
	buffer_gl0_inv
	scratch_load_b128 v[1:4], v118, off
	s_mov_b32 s2, exec_lo
	s_waitcnt vmcnt(0)
	ds_store_b128 v5, v[1:4]
	s_waitcnt lgkmcnt(0)
	s_barrier
	buffer_gl0_inv
	v_cmpx_gt_u32_e32 24, v94
	s_cbranch_execz .LBB27_111
; %bb.108:
	v_dual_mov_b32 v1, 0 :: v_dual_add_nc_u32 v8, 0x1c0, v13
	v_dual_mov_b32 v2, 0 :: v_dual_add_nc_u32 v7, -1, v94
	v_or_b32_e32 v9, 8, v14
	s_mov_b32 s3, 0
	s_delay_alu instid0(VALU_DEP_2)
	v_dual_mov_b32 v4, v2 :: v_dual_mov_b32 v3, v1
	.p2align	6
.LBB27_109:                             ; =>This Inner Loop Header: Depth=1
	scratch_load_b128 v[15:18], v9, off offset:-8
	ds_load_b128 v[19:22], v8
	v_add_nc_u32_e32 v7, 1, v7
	v_add_nc_u32_e32 v8, 16, v8
	;; [unrolled: 1-line block ×3, first 2 shown]
	s_delay_alu instid0(VALU_DEP_3) | instskip(SKIP_4) | instid1(VALU_DEP_2)
	v_cmp_lt_u32_e32 vcc_lo, 22, v7
	s_or_b32 s3, vcc_lo, s3
	s_waitcnt vmcnt(0) lgkmcnt(0)
	v_mul_f64 v[10:11], v[21:22], v[17:18]
	v_mul_f64 v[17:18], v[19:20], v[17:18]
	v_fma_f64 v[10:11], v[19:20], v[15:16], -v[10:11]
	s_delay_alu instid0(VALU_DEP_2) | instskip(NEXT) | instid1(VALU_DEP_2)
	v_fma_f64 v[15:16], v[21:22], v[15:16], v[17:18]
	v_add_f64 v[3:4], v[3:4], v[10:11]
	s_delay_alu instid0(VALU_DEP_2)
	v_add_f64 v[1:2], v[1:2], v[15:16]
	s_and_not1_b32 exec_lo, exec_lo, s3
	s_cbranch_execnz .LBB27_109
; %bb.110:
	s_or_b32 exec_lo, exec_lo, s3
	v_mov_b32_e32 v7, 0
	ds_load_b128 v[7:10], v7 offset:384
	s_waitcnt lgkmcnt(0)
	v_mul_f64 v[11:12], v[1:2], v[9:10]
	v_mul_f64 v[15:16], v[3:4], v[9:10]
	s_delay_alu instid0(VALU_DEP_2) | instskip(NEXT) | instid1(VALU_DEP_2)
	v_fma_f64 v[9:10], v[3:4], v[7:8], -v[11:12]
	v_fma_f64 v[11:12], v[1:2], v[7:8], v[15:16]
	scratch_store_b128 off, v[9:12], off offset:384
.LBB27_111:
	s_or_b32 exec_lo, exec_lo, s2
	s_waitcnt_vscnt null, 0x0
	s_barrier
	buffer_gl0_inv
	scratch_load_b128 v[1:4], v121, off
	s_mov_b32 s2, exec_lo
	s_waitcnt vmcnt(0)
	ds_store_b128 v5, v[1:4]
	s_waitcnt lgkmcnt(0)
	s_barrier
	buffer_gl0_inv
	v_cmpx_gt_u32_e32 25, v94
	s_cbranch_execz .LBB27_115
; %bb.112:
	v_dual_mov_b32 v1, 0 :: v_dual_add_nc_u32 v8, 0x1c0, v13
	v_dual_mov_b32 v2, 0 :: v_dual_add_nc_u32 v7, -1, v94
	v_or_b32_e32 v9, 8, v14
	s_mov_b32 s3, 0
	s_delay_alu instid0(VALU_DEP_2)
	v_dual_mov_b32 v4, v2 :: v_dual_mov_b32 v3, v1
	.p2align	6
.LBB27_113:                             ; =>This Inner Loop Header: Depth=1
	scratch_load_b128 v[15:18], v9, off offset:-8
	ds_load_b128 v[19:22], v8
	v_add_nc_u32_e32 v7, 1, v7
	v_add_nc_u32_e32 v8, 16, v8
	;; [unrolled: 1-line block ×3, first 2 shown]
	s_delay_alu instid0(VALU_DEP_3) | instskip(SKIP_4) | instid1(VALU_DEP_2)
	v_cmp_lt_u32_e32 vcc_lo, 23, v7
	s_or_b32 s3, vcc_lo, s3
	s_waitcnt vmcnt(0) lgkmcnt(0)
	v_mul_f64 v[10:11], v[21:22], v[17:18]
	v_mul_f64 v[17:18], v[19:20], v[17:18]
	v_fma_f64 v[10:11], v[19:20], v[15:16], -v[10:11]
	s_delay_alu instid0(VALU_DEP_2) | instskip(NEXT) | instid1(VALU_DEP_2)
	v_fma_f64 v[15:16], v[21:22], v[15:16], v[17:18]
	v_add_f64 v[3:4], v[3:4], v[10:11]
	s_delay_alu instid0(VALU_DEP_2)
	v_add_f64 v[1:2], v[1:2], v[15:16]
	s_and_not1_b32 exec_lo, exec_lo, s3
	s_cbranch_execnz .LBB27_113
; %bb.114:
	s_or_b32 exec_lo, exec_lo, s3
	v_mov_b32_e32 v7, 0
	ds_load_b128 v[7:10], v7 offset:400
	s_waitcnt lgkmcnt(0)
	v_mul_f64 v[11:12], v[1:2], v[9:10]
	v_mul_f64 v[15:16], v[3:4], v[9:10]
	s_delay_alu instid0(VALU_DEP_2) | instskip(NEXT) | instid1(VALU_DEP_2)
	v_fma_f64 v[9:10], v[3:4], v[7:8], -v[11:12]
	v_fma_f64 v[11:12], v[1:2], v[7:8], v[15:16]
	scratch_store_b128 off, v[9:12], off offset:400
.LBB27_115:
	s_or_b32 exec_lo, exec_lo, s2
	s_waitcnt_vscnt null, 0x0
	s_barrier
	buffer_gl0_inv
	scratch_load_b128 v[1:4], v120, off
	s_mov_b32 s2, exec_lo
	s_waitcnt vmcnt(0)
	ds_store_b128 v5, v[1:4]
	s_waitcnt lgkmcnt(0)
	s_barrier
	buffer_gl0_inv
	v_cmpx_gt_u32_e32 26, v94
	s_cbranch_execz .LBB27_119
; %bb.116:
	v_dual_mov_b32 v1, 0 :: v_dual_add_nc_u32 v8, 0x1c0, v13
	v_dual_mov_b32 v2, 0 :: v_dual_add_nc_u32 v7, -1, v94
	v_or_b32_e32 v9, 8, v14
	s_mov_b32 s3, 0
	s_delay_alu instid0(VALU_DEP_2)
	v_dual_mov_b32 v4, v2 :: v_dual_mov_b32 v3, v1
	.p2align	6
.LBB27_117:                             ; =>This Inner Loop Header: Depth=1
	scratch_load_b128 v[10:13], v9, off offset:-8
	ds_load_b128 v[15:18], v8
	v_add_nc_u32_e32 v7, 1, v7
	v_add_nc_u32_e32 v8, 16, v8
	;; [unrolled: 1-line block ×3, first 2 shown]
	s_delay_alu instid0(VALU_DEP_3) | instskip(SKIP_4) | instid1(VALU_DEP_2)
	v_cmp_lt_u32_e32 vcc_lo, 24, v7
	s_or_b32 s3, vcc_lo, s3
	s_waitcnt vmcnt(0) lgkmcnt(0)
	v_mul_f64 v[19:20], v[17:18], v[12:13]
	v_mul_f64 v[12:13], v[15:16], v[12:13]
	v_fma_f64 v[15:16], v[15:16], v[10:11], -v[19:20]
	s_delay_alu instid0(VALU_DEP_2) | instskip(NEXT) | instid1(VALU_DEP_2)
	v_fma_f64 v[10:11], v[17:18], v[10:11], v[12:13]
	v_add_f64 v[3:4], v[3:4], v[15:16]
	s_delay_alu instid0(VALU_DEP_2)
	v_add_f64 v[1:2], v[1:2], v[10:11]
	s_and_not1_b32 exec_lo, exec_lo, s3
	s_cbranch_execnz .LBB27_117
; %bb.118:
	s_or_b32 exec_lo, exec_lo, s3
	v_mov_b32_e32 v7, 0
	ds_load_b128 v[7:10], v7 offset:416
	s_waitcnt lgkmcnt(0)
	v_mul_f64 v[11:12], v[1:2], v[9:10]
	v_mul_f64 v[15:16], v[3:4], v[9:10]
	s_delay_alu instid0(VALU_DEP_2) | instskip(NEXT) | instid1(VALU_DEP_2)
	v_fma_f64 v[9:10], v[3:4], v[7:8], -v[11:12]
	v_fma_f64 v[11:12], v[1:2], v[7:8], v[15:16]
	scratch_store_b128 off, v[9:12], off offset:416
.LBB27_119:
	s_or_b32 exec_lo, exec_lo, s2
	s_waitcnt_vscnt null, 0x0
	s_barrier
	buffer_gl0_inv
	scratch_load_b128 v[1:4], v119, off
	s_mov_b32 s2, exec_lo
	s_waitcnt vmcnt(0)
	ds_store_b128 v5, v[1:4]
	s_waitcnt lgkmcnt(0)
	s_barrier
	buffer_gl0_inv
	v_cmpx_ne_u32_e32 27, v94
	s_cbranch_execz .LBB27_123
; %bb.120:
	v_mov_b32_e32 v1, 0
	v_mov_b32_e32 v2, 0
	v_or_b32_e32 v7, 8, v14
	s_mov_b32 s3, 0
	s_delay_alu instid0(VALU_DEP_2)
	v_dual_mov_b32 v4, v2 :: v_dual_mov_b32 v3, v1
	.p2align	6
.LBB27_121:                             ; =>This Inner Loop Header: Depth=1
	scratch_load_b128 v[8:11], v7, off offset:-8
	ds_load_b128 v[12:15], v5
	v_add_nc_u32_e32 v6, 1, v6
	v_add_nc_u32_e32 v5, 16, v5
	;; [unrolled: 1-line block ×3, first 2 shown]
	s_delay_alu instid0(VALU_DEP_3) | instskip(SKIP_4) | instid1(VALU_DEP_2)
	v_cmp_lt_u32_e32 vcc_lo, 25, v6
	s_or_b32 s3, vcc_lo, s3
	s_waitcnt vmcnt(0) lgkmcnt(0)
	v_mul_f64 v[16:17], v[14:15], v[10:11]
	v_mul_f64 v[10:11], v[12:13], v[10:11]
	v_fma_f64 v[12:13], v[12:13], v[8:9], -v[16:17]
	s_delay_alu instid0(VALU_DEP_2) | instskip(NEXT) | instid1(VALU_DEP_2)
	v_fma_f64 v[8:9], v[14:15], v[8:9], v[10:11]
	v_add_f64 v[3:4], v[3:4], v[12:13]
	s_delay_alu instid0(VALU_DEP_2)
	v_add_f64 v[1:2], v[1:2], v[8:9]
	s_and_not1_b32 exec_lo, exec_lo, s3
	s_cbranch_execnz .LBB27_121
; %bb.122:
	s_or_b32 exec_lo, exec_lo, s3
	v_mov_b32_e32 v5, 0
	ds_load_b128 v[5:8], v5 offset:432
	s_waitcnt lgkmcnt(0)
	v_mul_f64 v[9:10], v[1:2], v[7:8]
	v_mul_f64 v[7:8], v[3:4], v[7:8]
	s_delay_alu instid0(VALU_DEP_2) | instskip(NEXT) | instid1(VALU_DEP_2)
	v_fma_f64 v[3:4], v[3:4], v[5:6], -v[9:10]
	v_fma_f64 v[5:6], v[1:2], v[5:6], v[7:8]
	scratch_store_b128 off, v[3:6], off offset:432
.LBB27_123:
	s_or_b32 exec_lo, exec_lo, s2
	s_mov_b32 s3, -1
	s_waitcnt_vscnt null, 0x0
	s_barrier
	buffer_gl0_inv
.LBB27_124:
	s_and_b32 vcc_lo, exec_lo, s3
	s_cbranch_vccz .LBB27_126
; %bb.125:
	s_lshl_b64 s[2:3], s[18:19], 2
	v_mov_b32_e32 v1, 0
	s_add_u32 s2, s6, s2
	s_addc_u32 s3, s7, s3
	global_load_b32 v1, v1, s[2:3]
	s_waitcnt vmcnt(0)
	v_cmp_ne_u32_e32 vcc_lo, 0, v1
	s_cbranch_vccz .LBB27_127
.LBB27_126:
	s_endpgm
.LBB27_127:
	v_lshl_add_u32 v122, v94, 4, 0x1c0
	s_mov_b32 s2, exec_lo
	v_cmpx_eq_u32_e32 27, v94
	s_cbranch_execz .LBB27_129
; %bb.128:
	scratch_load_b128 v[1:4], v120, off
	v_mov_b32_e32 v5, 0
	s_delay_alu instid0(VALU_DEP_1)
	v_mov_b32_e32 v6, v5
	v_mov_b32_e32 v7, v5
	;; [unrolled: 1-line block ×3, first 2 shown]
	scratch_store_b128 off, v[5:8], off offset:416
	s_waitcnt vmcnt(0)
	ds_store_b128 v122, v[1:4]
.LBB27_129:
	s_or_b32 exec_lo, exec_lo, s2
	s_waitcnt lgkmcnt(0)
	s_waitcnt_vscnt null, 0x0
	s_barrier
	buffer_gl0_inv
	s_clause 0x1
	scratch_load_b128 v[2:5], off, off offset:432
	scratch_load_b128 v[6:9], off, off offset:416
	v_mov_b32_e32 v1, 0
	s_mov_b32 s2, exec_lo
	ds_load_b128 v[10:13], v1 offset:880
	s_waitcnt vmcnt(1) lgkmcnt(0)
	v_mul_f64 v[14:15], v[12:13], v[4:5]
	v_mul_f64 v[4:5], v[10:11], v[4:5]
	s_delay_alu instid0(VALU_DEP_2) | instskip(NEXT) | instid1(VALU_DEP_2)
	v_fma_f64 v[10:11], v[10:11], v[2:3], -v[14:15]
	v_fma_f64 v[2:3], v[12:13], v[2:3], v[4:5]
	s_delay_alu instid0(VALU_DEP_2) | instskip(NEXT) | instid1(VALU_DEP_2)
	v_add_f64 v[4:5], v[10:11], 0
	v_add_f64 v[10:11], v[2:3], 0
	s_waitcnt vmcnt(0)
	s_delay_alu instid0(VALU_DEP_2) | instskip(NEXT) | instid1(VALU_DEP_2)
	v_add_f64 v[2:3], v[6:7], -v[4:5]
	v_add_f64 v[4:5], v[8:9], -v[10:11]
	scratch_store_b128 off, v[2:5], off offset:416
	v_cmpx_lt_u32_e32 25, v94
	s_cbranch_execz .LBB27_131
; %bb.130:
	scratch_load_b128 v[5:8], v121, off
	v_mov_b32_e32 v2, v1
	v_mov_b32_e32 v3, v1
	;; [unrolled: 1-line block ×3, first 2 shown]
	scratch_store_b128 off, v[1:4], off offset:400
	s_waitcnt vmcnt(0)
	ds_store_b128 v122, v[5:8]
.LBB27_131:
	s_or_b32 exec_lo, exec_lo, s2
	s_waitcnt lgkmcnt(0)
	s_waitcnt_vscnt null, 0x0
	s_barrier
	buffer_gl0_inv
	s_clause 0x2
	scratch_load_b128 v[2:5], off, off offset:416
	scratch_load_b128 v[6:9], off, off offset:432
	;; [unrolled: 1-line block ×3, first 2 shown]
	ds_load_b128 v[14:17], v1 offset:864
	ds_load_b128 v[18:21], v1 offset:880
	s_mov_b32 s2, exec_lo
	s_waitcnt vmcnt(2) lgkmcnt(1)
	v_mul_f64 v[22:23], v[16:17], v[4:5]
	v_mul_f64 v[4:5], v[14:15], v[4:5]
	s_waitcnt vmcnt(1) lgkmcnt(0)
	v_mul_f64 v[24:25], v[18:19], v[8:9]
	v_mul_f64 v[8:9], v[20:21], v[8:9]
	s_delay_alu instid0(VALU_DEP_4) | instskip(NEXT) | instid1(VALU_DEP_4)
	v_fma_f64 v[14:15], v[14:15], v[2:3], -v[22:23]
	v_fma_f64 v[1:2], v[16:17], v[2:3], v[4:5]
	s_delay_alu instid0(VALU_DEP_4) | instskip(NEXT) | instid1(VALU_DEP_4)
	v_fma_f64 v[3:4], v[20:21], v[6:7], v[24:25]
	v_fma_f64 v[5:6], v[18:19], v[6:7], -v[8:9]
	s_delay_alu instid0(VALU_DEP_4) | instskip(NEXT) | instid1(VALU_DEP_4)
	v_add_f64 v[7:8], v[14:15], 0
	v_add_f64 v[1:2], v[1:2], 0
	s_delay_alu instid0(VALU_DEP_2) | instskip(NEXT) | instid1(VALU_DEP_2)
	v_add_f64 v[5:6], v[7:8], v[5:6]
	v_add_f64 v[3:4], v[1:2], v[3:4]
	s_waitcnt vmcnt(0)
	s_delay_alu instid0(VALU_DEP_2) | instskip(NEXT) | instid1(VALU_DEP_2)
	v_add_f64 v[1:2], v[10:11], -v[5:6]
	v_add_f64 v[3:4], v[12:13], -v[3:4]
	scratch_store_b128 off, v[1:4], off offset:400
	v_cmpx_lt_u32_e32 24, v94
	s_cbranch_execz .LBB27_133
; %bb.132:
	scratch_load_b128 v[1:4], v118, off
	v_mov_b32_e32 v5, 0
	s_delay_alu instid0(VALU_DEP_1)
	v_mov_b32_e32 v6, v5
	v_mov_b32_e32 v7, v5
	;; [unrolled: 1-line block ×3, first 2 shown]
	scratch_store_b128 off, v[5:8], off offset:384
	s_waitcnt vmcnt(0)
	ds_store_b128 v122, v[1:4]
.LBB27_133:
	s_or_b32 exec_lo, exec_lo, s2
	s_waitcnt lgkmcnt(0)
	s_waitcnt_vscnt null, 0x0
	s_barrier
	buffer_gl0_inv
	s_clause 0x3
	scratch_load_b128 v[2:5], off, off offset:400
	scratch_load_b128 v[6:9], off, off offset:416
	;; [unrolled: 1-line block ×4, first 2 shown]
	v_mov_b32_e32 v1, 0
	ds_load_b128 v[18:21], v1 offset:848
	ds_load_b128 v[22:25], v1 offset:864
	s_mov_b32 s2, exec_lo
	s_waitcnt vmcnt(3) lgkmcnt(1)
	v_mul_f64 v[26:27], v[20:21], v[4:5]
	v_mul_f64 v[4:5], v[18:19], v[4:5]
	s_waitcnt vmcnt(2) lgkmcnt(0)
	v_mul_f64 v[28:29], v[22:23], v[8:9]
	v_mul_f64 v[8:9], v[24:25], v[8:9]
	s_delay_alu instid0(VALU_DEP_4) | instskip(NEXT) | instid1(VALU_DEP_4)
	v_fma_f64 v[18:19], v[18:19], v[2:3], -v[26:27]
	v_fma_f64 v[20:21], v[20:21], v[2:3], v[4:5]
	ds_load_b128 v[2:5], v1 offset:880
	v_fma_f64 v[24:25], v[24:25], v[6:7], v[28:29]
	v_fma_f64 v[6:7], v[22:23], v[6:7], -v[8:9]
	s_waitcnt vmcnt(1) lgkmcnt(0)
	v_mul_f64 v[26:27], v[2:3], v[12:13]
	v_mul_f64 v[12:13], v[4:5], v[12:13]
	v_add_f64 v[8:9], v[18:19], 0
	v_add_f64 v[18:19], v[20:21], 0
	s_delay_alu instid0(VALU_DEP_4) | instskip(NEXT) | instid1(VALU_DEP_4)
	v_fma_f64 v[4:5], v[4:5], v[10:11], v[26:27]
	v_fma_f64 v[2:3], v[2:3], v[10:11], -v[12:13]
	s_delay_alu instid0(VALU_DEP_4) | instskip(NEXT) | instid1(VALU_DEP_4)
	v_add_f64 v[6:7], v[8:9], v[6:7]
	v_add_f64 v[8:9], v[18:19], v[24:25]
	s_delay_alu instid0(VALU_DEP_2) | instskip(NEXT) | instid1(VALU_DEP_2)
	v_add_f64 v[2:3], v[6:7], v[2:3]
	v_add_f64 v[4:5], v[8:9], v[4:5]
	s_waitcnt vmcnt(0)
	s_delay_alu instid0(VALU_DEP_2) | instskip(NEXT) | instid1(VALU_DEP_2)
	v_add_f64 v[2:3], v[14:15], -v[2:3]
	v_add_f64 v[4:5], v[16:17], -v[4:5]
	scratch_store_b128 off, v[2:5], off offset:384
	v_cmpx_lt_u32_e32 23, v94
	s_cbranch_execz .LBB27_135
; %bb.134:
	scratch_load_b128 v[5:8], v100, off
	v_mov_b32_e32 v2, v1
	v_mov_b32_e32 v3, v1
	;; [unrolled: 1-line block ×3, first 2 shown]
	scratch_store_b128 off, v[1:4], off offset:368
	s_waitcnt vmcnt(0)
	ds_store_b128 v122, v[5:8]
.LBB27_135:
	s_or_b32 exec_lo, exec_lo, s2
	s_waitcnt lgkmcnt(0)
	s_waitcnt_vscnt null, 0x0
	s_barrier
	buffer_gl0_inv
	s_clause 0x4
	scratch_load_b128 v[2:5], off, off offset:384
	scratch_load_b128 v[6:9], off, off offset:400
	;; [unrolled: 1-line block ×5, first 2 shown]
	ds_load_b128 v[22:25], v1 offset:832
	ds_load_b128 v[26:29], v1 offset:848
	s_mov_b32 s2, exec_lo
	s_waitcnt vmcnt(4) lgkmcnt(1)
	v_mul_f64 v[30:31], v[24:25], v[4:5]
	v_mul_f64 v[4:5], v[22:23], v[4:5]
	s_waitcnt vmcnt(3) lgkmcnt(0)
	v_mul_f64 v[32:33], v[26:27], v[8:9]
	v_mul_f64 v[8:9], v[28:29], v[8:9]
	s_delay_alu instid0(VALU_DEP_4) | instskip(NEXT) | instid1(VALU_DEP_4)
	v_fma_f64 v[30:31], v[22:23], v[2:3], -v[30:31]
	v_fma_f64 v[34:35], v[24:25], v[2:3], v[4:5]
	ds_load_b128 v[2:5], v1 offset:864
	ds_load_b128 v[22:25], v1 offset:880
	v_fma_f64 v[28:29], v[28:29], v[6:7], v[32:33]
	v_fma_f64 v[6:7], v[26:27], v[6:7], -v[8:9]
	s_waitcnt vmcnt(2) lgkmcnt(1)
	v_mul_f64 v[36:37], v[2:3], v[12:13]
	v_mul_f64 v[12:13], v[4:5], v[12:13]
	v_add_f64 v[8:9], v[30:31], 0
	v_add_f64 v[26:27], v[34:35], 0
	s_waitcnt vmcnt(1) lgkmcnt(0)
	v_mul_f64 v[30:31], v[22:23], v[16:17]
	v_mul_f64 v[16:17], v[24:25], v[16:17]
	v_fma_f64 v[4:5], v[4:5], v[10:11], v[36:37]
	v_fma_f64 v[1:2], v[2:3], v[10:11], -v[12:13]
	v_add_f64 v[6:7], v[8:9], v[6:7]
	v_add_f64 v[8:9], v[26:27], v[28:29]
	v_fma_f64 v[10:11], v[24:25], v[14:15], v[30:31]
	v_fma_f64 v[12:13], v[22:23], v[14:15], -v[16:17]
	s_delay_alu instid0(VALU_DEP_4) | instskip(NEXT) | instid1(VALU_DEP_4)
	v_add_f64 v[1:2], v[6:7], v[1:2]
	v_add_f64 v[3:4], v[8:9], v[4:5]
	s_delay_alu instid0(VALU_DEP_2) | instskip(NEXT) | instid1(VALU_DEP_2)
	v_add_f64 v[1:2], v[1:2], v[12:13]
	v_add_f64 v[3:4], v[3:4], v[10:11]
	s_waitcnt vmcnt(0)
	s_delay_alu instid0(VALU_DEP_2) | instskip(NEXT) | instid1(VALU_DEP_2)
	v_add_f64 v[1:2], v[18:19], -v[1:2]
	v_add_f64 v[3:4], v[20:21], -v[3:4]
	scratch_store_b128 off, v[1:4], off offset:368
	v_cmpx_lt_u32_e32 22, v94
	s_cbranch_execz .LBB27_137
; %bb.136:
	scratch_load_b128 v[1:4], v99, off
	v_mov_b32_e32 v5, 0
	s_delay_alu instid0(VALU_DEP_1)
	v_mov_b32_e32 v6, v5
	v_mov_b32_e32 v7, v5
	;; [unrolled: 1-line block ×3, first 2 shown]
	scratch_store_b128 off, v[5:8], off offset:352
	s_waitcnt vmcnt(0)
	ds_store_b128 v122, v[1:4]
.LBB27_137:
	s_or_b32 exec_lo, exec_lo, s2
	s_waitcnt lgkmcnt(0)
	s_waitcnt_vscnt null, 0x0
	s_barrier
	buffer_gl0_inv
	s_clause 0x5
	scratch_load_b128 v[2:5], off, off offset:368
	scratch_load_b128 v[6:9], off, off offset:384
	;; [unrolled: 1-line block ×6, first 2 shown]
	v_mov_b32_e32 v1, 0
	ds_load_b128 v[26:29], v1 offset:816
	ds_load_b128 v[30:33], v1 offset:832
	s_mov_b32 s2, exec_lo
	s_waitcnt vmcnt(5) lgkmcnt(1)
	v_mul_f64 v[34:35], v[28:29], v[4:5]
	v_mul_f64 v[4:5], v[26:27], v[4:5]
	s_waitcnt vmcnt(4) lgkmcnt(0)
	v_mul_f64 v[36:37], v[30:31], v[8:9]
	v_mul_f64 v[8:9], v[32:33], v[8:9]
	s_delay_alu instid0(VALU_DEP_4) | instskip(NEXT) | instid1(VALU_DEP_4)
	v_fma_f64 v[34:35], v[26:27], v[2:3], -v[34:35]
	v_fma_f64 v[123:124], v[28:29], v[2:3], v[4:5]
	ds_load_b128 v[2:5], v1 offset:848
	ds_load_b128 v[26:29], v1 offset:864
	v_fma_f64 v[32:33], v[32:33], v[6:7], v[36:37]
	v_fma_f64 v[6:7], v[30:31], v[6:7], -v[8:9]
	s_waitcnt vmcnt(3) lgkmcnt(1)
	v_mul_f64 v[125:126], v[2:3], v[12:13]
	v_mul_f64 v[12:13], v[4:5], v[12:13]
	v_add_f64 v[8:9], v[34:35], 0
	v_add_f64 v[30:31], v[123:124], 0
	s_waitcnt vmcnt(2) lgkmcnt(0)
	v_mul_f64 v[34:35], v[26:27], v[16:17]
	v_mul_f64 v[16:17], v[28:29], v[16:17]
	v_fma_f64 v[36:37], v[4:5], v[10:11], v[125:126]
	v_fma_f64 v[10:11], v[2:3], v[10:11], -v[12:13]
	ds_load_b128 v[2:5], v1 offset:880
	v_add_f64 v[6:7], v[8:9], v[6:7]
	v_add_f64 v[8:9], v[30:31], v[32:33]
	v_fma_f64 v[28:29], v[28:29], v[14:15], v[34:35]
	v_fma_f64 v[14:15], v[26:27], v[14:15], -v[16:17]
	s_waitcnt vmcnt(1) lgkmcnt(0)
	v_mul_f64 v[12:13], v[2:3], v[20:21]
	v_mul_f64 v[20:21], v[4:5], v[20:21]
	v_add_f64 v[6:7], v[6:7], v[10:11]
	v_add_f64 v[8:9], v[8:9], v[36:37]
	s_delay_alu instid0(VALU_DEP_4) | instskip(NEXT) | instid1(VALU_DEP_4)
	v_fma_f64 v[4:5], v[4:5], v[18:19], v[12:13]
	v_fma_f64 v[2:3], v[2:3], v[18:19], -v[20:21]
	s_delay_alu instid0(VALU_DEP_4) | instskip(NEXT) | instid1(VALU_DEP_4)
	v_add_f64 v[6:7], v[6:7], v[14:15]
	v_add_f64 v[8:9], v[8:9], v[28:29]
	s_delay_alu instid0(VALU_DEP_2) | instskip(NEXT) | instid1(VALU_DEP_2)
	v_add_f64 v[2:3], v[6:7], v[2:3]
	v_add_f64 v[4:5], v[8:9], v[4:5]
	s_waitcnt vmcnt(0)
	s_delay_alu instid0(VALU_DEP_2) | instskip(NEXT) | instid1(VALU_DEP_2)
	v_add_f64 v[2:3], v[22:23], -v[2:3]
	v_add_f64 v[4:5], v[24:25], -v[4:5]
	scratch_store_b128 off, v[2:5], off offset:352
	v_cmpx_lt_u32_e32 21, v94
	s_cbranch_execz .LBB27_139
; %bb.138:
	scratch_load_b128 v[5:8], v101, off
	v_mov_b32_e32 v2, v1
	v_mov_b32_e32 v3, v1
	;; [unrolled: 1-line block ×3, first 2 shown]
	scratch_store_b128 off, v[1:4], off offset:336
	s_waitcnt vmcnt(0)
	ds_store_b128 v122, v[5:8]
.LBB27_139:
	s_or_b32 exec_lo, exec_lo, s2
	s_waitcnt lgkmcnt(0)
	s_waitcnt_vscnt null, 0x0
	s_barrier
	buffer_gl0_inv
	s_clause 0x5
	scratch_load_b128 v[2:5], off, off offset:352
	scratch_load_b128 v[6:9], off, off offset:368
	scratch_load_b128 v[10:13], off, off offset:384
	scratch_load_b128 v[14:17], off, off offset:400
	scratch_load_b128 v[18:21], off, off offset:416
	scratch_load_b128 v[22:25], off, off offset:432
	ds_load_b128 v[26:29], v1 offset:800
	ds_load_b128 v[34:37], v1 offset:816
	scratch_load_b128 v[30:33], off, off offset:336
	s_mov_b32 s2, exec_lo
	s_waitcnt vmcnt(6) lgkmcnt(1)
	v_mul_f64 v[123:124], v[28:29], v[4:5]
	v_mul_f64 v[4:5], v[26:27], v[4:5]
	s_waitcnt vmcnt(5) lgkmcnt(0)
	v_mul_f64 v[125:126], v[34:35], v[8:9]
	v_mul_f64 v[8:9], v[36:37], v[8:9]
	s_delay_alu instid0(VALU_DEP_4) | instskip(NEXT) | instid1(VALU_DEP_4)
	v_fma_f64 v[123:124], v[26:27], v[2:3], -v[123:124]
	v_fma_f64 v[127:128], v[28:29], v[2:3], v[4:5]
	ds_load_b128 v[2:5], v1 offset:832
	ds_load_b128 v[26:29], v1 offset:848
	v_fma_f64 v[36:37], v[36:37], v[6:7], v[125:126]
	v_fma_f64 v[6:7], v[34:35], v[6:7], -v[8:9]
	s_waitcnt vmcnt(4) lgkmcnt(1)
	v_mul_f64 v[129:130], v[2:3], v[12:13]
	v_mul_f64 v[12:13], v[4:5], v[12:13]
	v_add_f64 v[8:9], v[123:124], 0
	v_add_f64 v[34:35], v[127:128], 0
	s_waitcnt vmcnt(3) lgkmcnt(0)
	v_mul_f64 v[123:124], v[26:27], v[16:17]
	v_mul_f64 v[16:17], v[28:29], v[16:17]
	v_fma_f64 v[125:126], v[4:5], v[10:11], v[129:130]
	v_fma_f64 v[10:11], v[2:3], v[10:11], -v[12:13]
	v_add_f64 v[12:13], v[8:9], v[6:7]
	v_add_f64 v[34:35], v[34:35], v[36:37]
	ds_load_b128 v[2:5], v1 offset:864
	ds_load_b128 v[6:9], v1 offset:880
	v_fma_f64 v[28:29], v[28:29], v[14:15], v[123:124]
	v_fma_f64 v[14:15], v[26:27], v[14:15], -v[16:17]
	s_waitcnt vmcnt(2) lgkmcnt(1)
	v_mul_f64 v[36:37], v[2:3], v[20:21]
	v_mul_f64 v[20:21], v[4:5], v[20:21]
	s_waitcnt vmcnt(1) lgkmcnt(0)
	v_mul_f64 v[16:17], v[6:7], v[24:25]
	v_mul_f64 v[24:25], v[8:9], v[24:25]
	v_add_f64 v[10:11], v[12:13], v[10:11]
	v_add_f64 v[12:13], v[34:35], v[125:126]
	v_fma_f64 v[4:5], v[4:5], v[18:19], v[36:37]
	v_fma_f64 v[1:2], v[2:3], v[18:19], -v[20:21]
	v_fma_f64 v[8:9], v[8:9], v[22:23], v[16:17]
	v_fma_f64 v[6:7], v[6:7], v[22:23], -v[24:25]
	v_add_f64 v[10:11], v[10:11], v[14:15]
	v_add_f64 v[12:13], v[12:13], v[28:29]
	s_delay_alu instid0(VALU_DEP_2) | instskip(NEXT) | instid1(VALU_DEP_2)
	v_add_f64 v[1:2], v[10:11], v[1:2]
	v_add_f64 v[3:4], v[12:13], v[4:5]
	s_delay_alu instid0(VALU_DEP_2) | instskip(NEXT) | instid1(VALU_DEP_2)
	v_add_f64 v[1:2], v[1:2], v[6:7]
	v_add_f64 v[3:4], v[3:4], v[8:9]
	s_waitcnt vmcnt(0)
	s_delay_alu instid0(VALU_DEP_2) | instskip(NEXT) | instid1(VALU_DEP_2)
	v_add_f64 v[1:2], v[30:31], -v[1:2]
	v_add_f64 v[3:4], v[32:33], -v[3:4]
	scratch_store_b128 off, v[1:4], off offset:336
	v_cmpx_lt_u32_e32 20, v94
	s_cbranch_execz .LBB27_141
; %bb.140:
	scratch_load_b128 v[1:4], v102, off
	v_mov_b32_e32 v5, 0
	s_delay_alu instid0(VALU_DEP_1)
	v_mov_b32_e32 v6, v5
	v_mov_b32_e32 v7, v5
	;; [unrolled: 1-line block ×3, first 2 shown]
	scratch_store_b128 off, v[5:8], off offset:320
	s_waitcnt vmcnt(0)
	ds_store_b128 v122, v[1:4]
.LBB27_141:
	s_or_b32 exec_lo, exec_lo, s2
	s_waitcnt lgkmcnt(0)
	s_waitcnt_vscnt null, 0x0
	s_barrier
	buffer_gl0_inv
	s_clause 0x6
	scratch_load_b128 v[2:5], off, off offset:336
	scratch_load_b128 v[6:9], off, off offset:352
	;; [unrolled: 1-line block ×7, first 2 shown]
	v_mov_b32_e32 v1, 0
	scratch_load_b128 v[34:37], off, off offset:320
	s_mov_b32 s2, exec_lo
	ds_load_b128 v[30:33], v1 offset:784
	ds_load_b128 v[123:126], v1 offset:800
	s_waitcnt vmcnt(7) lgkmcnt(1)
	v_mul_f64 v[127:128], v[32:33], v[4:5]
	v_mul_f64 v[4:5], v[30:31], v[4:5]
	s_waitcnt vmcnt(6) lgkmcnt(0)
	v_mul_f64 v[129:130], v[123:124], v[8:9]
	v_mul_f64 v[8:9], v[125:126], v[8:9]
	s_delay_alu instid0(VALU_DEP_4) | instskip(NEXT) | instid1(VALU_DEP_4)
	v_fma_f64 v[127:128], v[30:31], v[2:3], -v[127:128]
	v_fma_f64 v[131:132], v[32:33], v[2:3], v[4:5]
	ds_load_b128 v[2:5], v1 offset:816
	ds_load_b128 v[30:33], v1 offset:832
	v_fma_f64 v[125:126], v[125:126], v[6:7], v[129:130]
	v_fma_f64 v[6:7], v[123:124], v[6:7], -v[8:9]
	s_waitcnt vmcnt(5) lgkmcnt(1)
	v_mul_f64 v[133:134], v[2:3], v[12:13]
	v_mul_f64 v[12:13], v[4:5], v[12:13]
	v_add_f64 v[8:9], v[127:128], 0
	v_add_f64 v[123:124], v[131:132], 0
	s_waitcnt vmcnt(4) lgkmcnt(0)
	v_mul_f64 v[127:128], v[30:31], v[16:17]
	v_mul_f64 v[16:17], v[32:33], v[16:17]
	v_fma_f64 v[129:130], v[4:5], v[10:11], v[133:134]
	v_fma_f64 v[10:11], v[2:3], v[10:11], -v[12:13]
	v_add_f64 v[12:13], v[8:9], v[6:7]
	v_add_f64 v[123:124], v[123:124], v[125:126]
	ds_load_b128 v[2:5], v1 offset:848
	ds_load_b128 v[6:9], v1 offset:864
	v_fma_f64 v[32:33], v[32:33], v[14:15], v[127:128]
	v_fma_f64 v[14:15], v[30:31], v[14:15], -v[16:17]
	s_waitcnt vmcnt(3) lgkmcnt(1)
	v_mul_f64 v[125:126], v[2:3], v[20:21]
	v_mul_f64 v[20:21], v[4:5], v[20:21]
	s_waitcnt vmcnt(2) lgkmcnt(0)
	v_mul_f64 v[16:17], v[6:7], v[24:25]
	v_mul_f64 v[24:25], v[8:9], v[24:25]
	v_add_f64 v[10:11], v[12:13], v[10:11]
	v_add_f64 v[12:13], v[123:124], v[129:130]
	v_fma_f64 v[30:31], v[4:5], v[18:19], v[125:126]
	v_fma_f64 v[18:19], v[2:3], v[18:19], -v[20:21]
	ds_load_b128 v[2:5], v1 offset:880
	v_fma_f64 v[8:9], v[8:9], v[22:23], v[16:17]
	v_fma_f64 v[6:7], v[6:7], v[22:23], -v[24:25]
	v_add_f64 v[10:11], v[10:11], v[14:15]
	v_add_f64 v[12:13], v[12:13], v[32:33]
	s_waitcnt vmcnt(1) lgkmcnt(0)
	v_mul_f64 v[14:15], v[2:3], v[28:29]
	v_mul_f64 v[20:21], v[4:5], v[28:29]
	s_delay_alu instid0(VALU_DEP_4) | instskip(NEXT) | instid1(VALU_DEP_4)
	v_add_f64 v[10:11], v[10:11], v[18:19]
	v_add_f64 v[12:13], v[12:13], v[30:31]
	s_delay_alu instid0(VALU_DEP_4) | instskip(NEXT) | instid1(VALU_DEP_4)
	v_fma_f64 v[4:5], v[4:5], v[26:27], v[14:15]
	v_fma_f64 v[2:3], v[2:3], v[26:27], -v[20:21]
	s_delay_alu instid0(VALU_DEP_4) | instskip(NEXT) | instid1(VALU_DEP_4)
	v_add_f64 v[6:7], v[10:11], v[6:7]
	v_add_f64 v[8:9], v[12:13], v[8:9]
	s_delay_alu instid0(VALU_DEP_2) | instskip(NEXT) | instid1(VALU_DEP_2)
	v_add_f64 v[2:3], v[6:7], v[2:3]
	v_add_f64 v[4:5], v[8:9], v[4:5]
	s_waitcnt vmcnt(0)
	s_delay_alu instid0(VALU_DEP_2) | instskip(NEXT) | instid1(VALU_DEP_2)
	v_add_f64 v[2:3], v[34:35], -v[2:3]
	v_add_f64 v[4:5], v[36:37], -v[4:5]
	scratch_store_b128 off, v[2:5], off offset:320
	v_cmpx_lt_u32_e32 19, v94
	s_cbranch_execz .LBB27_143
; %bb.142:
	scratch_load_b128 v[5:8], v104, off
	v_mov_b32_e32 v2, v1
	v_mov_b32_e32 v3, v1
	;; [unrolled: 1-line block ×3, first 2 shown]
	scratch_store_b128 off, v[1:4], off offset:304
	s_waitcnt vmcnt(0)
	ds_store_b128 v122, v[5:8]
.LBB27_143:
	s_or_b32 exec_lo, exec_lo, s2
	s_waitcnt lgkmcnt(0)
	s_waitcnt_vscnt null, 0x0
	s_barrier
	buffer_gl0_inv
	s_clause 0x7
	scratch_load_b128 v[2:5], off, off offset:320
	scratch_load_b128 v[6:9], off, off offset:336
	;; [unrolled: 1-line block ×8, first 2 shown]
	ds_load_b128 v[34:37], v1 offset:768
	ds_load_b128 v[123:126], v1 offset:784
	scratch_load_b128 v[127:130], off, off offset:304
	s_mov_b32 s2, exec_lo
	s_waitcnt vmcnt(8) lgkmcnt(1)
	v_mul_f64 v[131:132], v[36:37], v[4:5]
	v_mul_f64 v[4:5], v[34:35], v[4:5]
	s_waitcnt vmcnt(7) lgkmcnt(0)
	v_mul_f64 v[133:134], v[123:124], v[8:9]
	v_mul_f64 v[8:9], v[125:126], v[8:9]
	s_delay_alu instid0(VALU_DEP_4) | instskip(NEXT) | instid1(VALU_DEP_4)
	v_fma_f64 v[131:132], v[34:35], v[2:3], -v[131:132]
	v_fma_f64 v[135:136], v[36:37], v[2:3], v[4:5]
	ds_load_b128 v[2:5], v1 offset:800
	ds_load_b128 v[34:37], v1 offset:816
	v_fma_f64 v[125:126], v[125:126], v[6:7], v[133:134]
	v_fma_f64 v[6:7], v[123:124], v[6:7], -v[8:9]
	s_waitcnt vmcnt(6) lgkmcnt(1)
	v_mul_f64 v[137:138], v[2:3], v[12:13]
	v_mul_f64 v[12:13], v[4:5], v[12:13]
	v_add_f64 v[8:9], v[131:132], 0
	v_add_f64 v[123:124], v[135:136], 0
	s_waitcnt vmcnt(5) lgkmcnt(0)
	v_mul_f64 v[131:132], v[34:35], v[16:17]
	v_mul_f64 v[16:17], v[36:37], v[16:17]
	v_fma_f64 v[133:134], v[4:5], v[10:11], v[137:138]
	v_fma_f64 v[10:11], v[2:3], v[10:11], -v[12:13]
	v_add_f64 v[12:13], v[8:9], v[6:7]
	v_add_f64 v[123:124], v[123:124], v[125:126]
	ds_load_b128 v[2:5], v1 offset:832
	ds_load_b128 v[6:9], v1 offset:848
	v_fma_f64 v[36:37], v[36:37], v[14:15], v[131:132]
	v_fma_f64 v[14:15], v[34:35], v[14:15], -v[16:17]
	s_waitcnt vmcnt(4) lgkmcnt(1)
	v_mul_f64 v[125:126], v[2:3], v[20:21]
	v_mul_f64 v[20:21], v[4:5], v[20:21]
	s_waitcnt vmcnt(3) lgkmcnt(0)
	v_mul_f64 v[16:17], v[6:7], v[24:25]
	v_mul_f64 v[24:25], v[8:9], v[24:25]
	v_add_f64 v[10:11], v[12:13], v[10:11]
	v_add_f64 v[12:13], v[123:124], v[133:134]
	v_fma_f64 v[34:35], v[4:5], v[18:19], v[125:126]
	v_fma_f64 v[18:19], v[2:3], v[18:19], -v[20:21]
	v_fma_f64 v[8:9], v[8:9], v[22:23], v[16:17]
	v_fma_f64 v[6:7], v[6:7], v[22:23], -v[24:25]
	v_add_f64 v[14:15], v[10:11], v[14:15]
	v_add_f64 v[20:21], v[12:13], v[36:37]
	ds_load_b128 v[2:5], v1 offset:864
	ds_load_b128 v[10:13], v1 offset:880
	s_waitcnt vmcnt(2) lgkmcnt(1)
	v_mul_f64 v[36:37], v[2:3], v[28:29]
	v_mul_f64 v[28:29], v[4:5], v[28:29]
	v_add_f64 v[14:15], v[14:15], v[18:19]
	v_add_f64 v[16:17], v[20:21], v[34:35]
	s_waitcnt vmcnt(1) lgkmcnt(0)
	v_mul_f64 v[18:19], v[10:11], v[32:33]
	v_mul_f64 v[20:21], v[12:13], v[32:33]
	v_fma_f64 v[4:5], v[4:5], v[26:27], v[36:37]
	v_fma_f64 v[1:2], v[2:3], v[26:27], -v[28:29]
	v_add_f64 v[6:7], v[14:15], v[6:7]
	v_add_f64 v[8:9], v[16:17], v[8:9]
	v_fma_f64 v[12:13], v[12:13], v[30:31], v[18:19]
	v_fma_f64 v[10:11], v[10:11], v[30:31], -v[20:21]
	s_delay_alu instid0(VALU_DEP_4) | instskip(NEXT) | instid1(VALU_DEP_4)
	v_add_f64 v[1:2], v[6:7], v[1:2]
	v_add_f64 v[3:4], v[8:9], v[4:5]
	s_delay_alu instid0(VALU_DEP_2) | instskip(NEXT) | instid1(VALU_DEP_2)
	v_add_f64 v[1:2], v[1:2], v[10:11]
	v_add_f64 v[3:4], v[3:4], v[12:13]
	s_waitcnt vmcnt(0)
	s_delay_alu instid0(VALU_DEP_2) | instskip(NEXT) | instid1(VALU_DEP_2)
	v_add_f64 v[1:2], v[127:128], -v[1:2]
	v_add_f64 v[3:4], v[129:130], -v[3:4]
	scratch_store_b128 off, v[1:4], off offset:304
	v_cmpx_lt_u32_e32 18, v94
	s_cbranch_execz .LBB27_145
; %bb.144:
	scratch_load_b128 v[1:4], v103, off
	v_mov_b32_e32 v5, 0
	s_delay_alu instid0(VALU_DEP_1)
	v_mov_b32_e32 v6, v5
	v_mov_b32_e32 v7, v5
	;; [unrolled: 1-line block ×3, first 2 shown]
	scratch_store_b128 off, v[5:8], off offset:288
	s_waitcnt vmcnt(0)
	ds_store_b128 v122, v[1:4]
.LBB27_145:
	s_or_b32 exec_lo, exec_lo, s2
	s_waitcnt lgkmcnt(0)
	s_waitcnt_vscnt null, 0x0
	s_barrier
	buffer_gl0_inv
	s_clause 0x7
	scratch_load_b128 v[2:5], off, off offset:304
	scratch_load_b128 v[6:9], off, off offset:320
	;; [unrolled: 1-line block ×8, first 2 shown]
	v_mov_b32_e32 v1, 0
	scratch_load_b128 v[123:126], off, off offset:432
	s_mov_b32 s2, exec_lo
	ds_load_b128 v[34:37], v1 offset:752
	ds_load_b128 v[127:130], v1 offset:768
	s_waitcnt vmcnt(8) lgkmcnt(1)
	v_mul_f64 v[131:132], v[36:37], v[4:5]
	v_mul_f64 v[4:5], v[34:35], v[4:5]
	s_waitcnt vmcnt(7) lgkmcnt(0)
	v_mul_f64 v[133:134], v[127:128], v[8:9]
	v_mul_f64 v[8:9], v[129:130], v[8:9]
	s_delay_alu instid0(VALU_DEP_4) | instskip(NEXT) | instid1(VALU_DEP_4)
	v_fma_f64 v[34:35], v[34:35], v[2:3], -v[131:132]
	v_fma_f64 v[36:37], v[36:37], v[2:3], v[4:5]
	ds_load_b128 v[2:5], v1 offset:784
	v_fma_f64 v[129:130], v[129:130], v[6:7], v[133:134]
	v_fma_f64 v[127:128], v[127:128], v[6:7], -v[8:9]
	ds_load_b128 v[6:9], v1 offset:800
	s_waitcnt vmcnt(6) lgkmcnt(1)
	v_mul_f64 v[131:132], v[2:3], v[12:13]
	v_mul_f64 v[12:13], v[4:5], v[12:13]
	s_waitcnt vmcnt(5) lgkmcnt(0)
	v_mul_f64 v[137:138], v[6:7], v[16:17]
	v_mul_f64 v[16:17], v[8:9], v[16:17]
	v_add_f64 v[133:134], v[34:35], 0
	v_add_f64 v[135:136], v[36:37], 0
	scratch_load_b128 v[34:37], off, off offset:288
	v_fma_f64 v[131:132], v[4:5], v[10:11], v[131:132]
	v_fma_f64 v[10:11], v[2:3], v[10:11], -v[12:13]
	ds_load_b128 v[2:5], v1 offset:816
	v_add_f64 v[12:13], v[133:134], v[127:128]
	v_add_f64 v[127:128], v[135:136], v[129:130]
	v_fma_f64 v[133:134], v[8:9], v[14:15], v[137:138]
	v_fma_f64 v[14:15], v[6:7], v[14:15], -v[16:17]
	ds_load_b128 v[6:9], v1 offset:832
	s_waitcnt vmcnt(5) lgkmcnt(1)
	v_mul_f64 v[129:130], v[2:3], v[20:21]
	v_mul_f64 v[20:21], v[4:5], v[20:21]
	s_waitcnt vmcnt(4) lgkmcnt(0)
	v_mul_f64 v[16:17], v[6:7], v[24:25]
	v_mul_f64 v[24:25], v[8:9], v[24:25]
	v_add_f64 v[10:11], v[12:13], v[10:11]
	v_add_f64 v[12:13], v[127:128], v[131:132]
	v_fma_f64 v[127:128], v[4:5], v[18:19], v[129:130]
	v_fma_f64 v[18:19], v[2:3], v[18:19], -v[20:21]
	ds_load_b128 v[2:5], v1 offset:848
	v_fma_f64 v[16:17], v[8:9], v[22:23], v[16:17]
	v_fma_f64 v[22:23], v[6:7], v[22:23], -v[24:25]
	ds_load_b128 v[6:9], v1 offset:864
	s_waitcnt vmcnt(3) lgkmcnt(1)
	v_mul_f64 v[20:21], v[4:5], v[28:29]
	v_add_f64 v[10:11], v[10:11], v[14:15]
	v_add_f64 v[12:13], v[12:13], v[133:134]
	v_mul_f64 v[14:15], v[2:3], v[28:29]
	s_waitcnt vmcnt(2) lgkmcnt(0)
	v_mul_f64 v[24:25], v[8:9], v[32:33]
	v_fma_f64 v[20:21], v[2:3], v[26:27], -v[20:21]
	v_add_f64 v[10:11], v[10:11], v[18:19]
	v_add_f64 v[12:13], v[12:13], v[127:128]
	v_mul_f64 v[18:19], v[6:7], v[32:33]
	v_fma_f64 v[14:15], v[4:5], v[26:27], v[14:15]
	ds_load_b128 v[2:5], v1 offset:880
	v_fma_f64 v[6:7], v[6:7], v[30:31], -v[24:25]
	v_add_f64 v[10:11], v[10:11], v[22:23]
	v_add_f64 v[12:13], v[12:13], v[16:17]
	s_waitcnt vmcnt(1) lgkmcnt(0)
	v_mul_f64 v[16:17], v[2:3], v[125:126]
	v_mul_f64 v[22:23], v[4:5], v[125:126]
	v_fma_f64 v[8:9], v[8:9], v[30:31], v[18:19]
	v_add_f64 v[10:11], v[10:11], v[20:21]
	v_add_f64 v[12:13], v[12:13], v[14:15]
	v_fma_f64 v[4:5], v[4:5], v[123:124], v[16:17]
	v_fma_f64 v[2:3], v[2:3], v[123:124], -v[22:23]
	s_delay_alu instid0(VALU_DEP_4) | instskip(NEXT) | instid1(VALU_DEP_4)
	v_add_f64 v[6:7], v[10:11], v[6:7]
	v_add_f64 v[8:9], v[12:13], v[8:9]
	s_delay_alu instid0(VALU_DEP_2) | instskip(NEXT) | instid1(VALU_DEP_2)
	v_add_f64 v[2:3], v[6:7], v[2:3]
	v_add_f64 v[4:5], v[8:9], v[4:5]
	s_waitcnt vmcnt(0)
	s_delay_alu instid0(VALU_DEP_2) | instskip(NEXT) | instid1(VALU_DEP_2)
	v_add_f64 v[2:3], v[34:35], -v[2:3]
	v_add_f64 v[4:5], v[36:37], -v[4:5]
	scratch_store_b128 off, v[2:5], off offset:288
	v_cmpx_lt_u32_e32 17, v94
	s_cbranch_execz .LBB27_147
; %bb.146:
	scratch_load_b128 v[5:8], v105, off
	v_mov_b32_e32 v2, v1
	v_mov_b32_e32 v3, v1
	;; [unrolled: 1-line block ×3, first 2 shown]
	scratch_store_b128 off, v[1:4], off offset:272
	s_waitcnt vmcnt(0)
	ds_store_b128 v122, v[5:8]
.LBB27_147:
	s_or_b32 exec_lo, exec_lo, s2
	s_waitcnt lgkmcnt(0)
	s_waitcnt_vscnt null, 0x0
	s_barrier
	buffer_gl0_inv
	s_clause 0x7
	scratch_load_b128 v[2:5], off, off offset:288
	scratch_load_b128 v[6:9], off, off offset:304
	;; [unrolled: 1-line block ×8, first 2 shown]
	ds_load_b128 v[34:37], v1 offset:736
	ds_load_b128 v[127:130], v1 offset:752
	s_clause 0x1
	scratch_load_b128 v[123:126], off, off offset:416
	scratch_load_b128 v[131:134], off, off offset:432
	s_mov_b32 s2, exec_lo
	s_waitcnt vmcnt(9) lgkmcnt(1)
	v_mul_f64 v[135:136], v[36:37], v[4:5]
	v_mul_f64 v[4:5], v[34:35], v[4:5]
	s_waitcnt vmcnt(8) lgkmcnt(0)
	v_mul_f64 v[137:138], v[127:128], v[8:9]
	v_mul_f64 v[8:9], v[129:130], v[8:9]
	s_delay_alu instid0(VALU_DEP_4) | instskip(NEXT) | instid1(VALU_DEP_4)
	v_fma_f64 v[34:35], v[34:35], v[2:3], -v[135:136]
	v_fma_f64 v[36:37], v[36:37], v[2:3], v[4:5]
	ds_load_b128 v[2:5], v1 offset:768
	v_fma_f64 v[129:130], v[129:130], v[6:7], v[137:138]
	v_fma_f64 v[127:128], v[127:128], v[6:7], -v[8:9]
	ds_load_b128 v[6:9], v1 offset:784
	s_waitcnt vmcnt(7) lgkmcnt(1)
	v_mul_f64 v[135:136], v[2:3], v[12:13]
	v_mul_f64 v[12:13], v[4:5], v[12:13]
	s_waitcnt vmcnt(6) lgkmcnt(0)
	v_mul_f64 v[137:138], v[6:7], v[16:17]
	v_mul_f64 v[16:17], v[8:9], v[16:17]
	v_add_f64 v[34:35], v[34:35], 0
	v_add_f64 v[36:37], v[36:37], 0
	v_fma_f64 v[135:136], v[4:5], v[10:11], v[135:136]
	v_fma_f64 v[139:140], v[2:3], v[10:11], -v[12:13]
	ds_load_b128 v[2:5], v1 offset:800
	scratch_load_b128 v[10:13], off, off offset:272
	v_add_f64 v[34:35], v[34:35], v[127:128]
	v_add_f64 v[36:37], v[36:37], v[129:130]
	v_fma_f64 v[129:130], v[8:9], v[14:15], v[137:138]
	v_fma_f64 v[14:15], v[6:7], v[14:15], -v[16:17]
	ds_load_b128 v[6:9], v1 offset:816
	s_waitcnt vmcnt(6) lgkmcnt(1)
	v_mul_f64 v[127:128], v[2:3], v[20:21]
	v_mul_f64 v[20:21], v[4:5], v[20:21]
	v_add_f64 v[16:17], v[34:35], v[139:140]
	v_add_f64 v[34:35], v[36:37], v[135:136]
	s_waitcnt vmcnt(5) lgkmcnt(0)
	v_mul_f64 v[36:37], v[6:7], v[24:25]
	v_mul_f64 v[24:25], v[8:9], v[24:25]
	v_fma_f64 v[127:128], v[4:5], v[18:19], v[127:128]
	v_fma_f64 v[18:19], v[2:3], v[18:19], -v[20:21]
	ds_load_b128 v[2:5], v1 offset:832
	v_add_f64 v[14:15], v[16:17], v[14:15]
	v_add_f64 v[16:17], v[34:35], v[129:130]
	v_fma_f64 v[34:35], v[8:9], v[22:23], v[36:37]
	v_fma_f64 v[22:23], v[6:7], v[22:23], -v[24:25]
	ds_load_b128 v[6:9], v1 offset:848
	s_waitcnt vmcnt(4) lgkmcnt(1)
	v_mul_f64 v[20:21], v[2:3], v[28:29]
	v_mul_f64 v[28:29], v[4:5], v[28:29]
	s_waitcnt vmcnt(3) lgkmcnt(0)
	v_mul_f64 v[24:25], v[8:9], v[32:33]
	v_add_f64 v[14:15], v[14:15], v[18:19]
	v_add_f64 v[16:17], v[16:17], v[127:128]
	v_mul_f64 v[18:19], v[6:7], v[32:33]
	v_fma_f64 v[20:21], v[4:5], v[26:27], v[20:21]
	v_fma_f64 v[26:27], v[2:3], v[26:27], -v[28:29]
	ds_load_b128 v[2:5], v1 offset:864
	v_fma_f64 v[24:25], v[6:7], v[30:31], -v[24:25]
	v_add_f64 v[14:15], v[14:15], v[22:23]
	v_add_f64 v[16:17], v[16:17], v[34:35]
	v_fma_f64 v[18:19], v[8:9], v[30:31], v[18:19]
	ds_load_b128 v[6:9], v1 offset:880
	s_waitcnt vmcnt(2) lgkmcnt(1)
	v_mul_f64 v[22:23], v[2:3], v[125:126]
	v_mul_f64 v[28:29], v[4:5], v[125:126]
	v_add_f64 v[14:15], v[14:15], v[26:27]
	v_add_f64 v[16:17], v[16:17], v[20:21]
	s_waitcnt vmcnt(1) lgkmcnt(0)
	v_mul_f64 v[20:21], v[6:7], v[133:134]
	v_mul_f64 v[26:27], v[8:9], v[133:134]
	v_fma_f64 v[4:5], v[4:5], v[123:124], v[22:23]
	v_fma_f64 v[1:2], v[2:3], v[123:124], -v[28:29]
	v_add_f64 v[14:15], v[14:15], v[24:25]
	v_add_f64 v[16:17], v[16:17], v[18:19]
	v_fma_f64 v[8:9], v[8:9], v[131:132], v[20:21]
	v_fma_f64 v[6:7], v[6:7], v[131:132], -v[26:27]
	s_delay_alu instid0(VALU_DEP_4) | instskip(NEXT) | instid1(VALU_DEP_4)
	v_add_f64 v[1:2], v[14:15], v[1:2]
	v_add_f64 v[3:4], v[16:17], v[4:5]
	s_delay_alu instid0(VALU_DEP_2) | instskip(NEXT) | instid1(VALU_DEP_2)
	v_add_f64 v[1:2], v[1:2], v[6:7]
	v_add_f64 v[3:4], v[3:4], v[8:9]
	s_waitcnt vmcnt(0)
	s_delay_alu instid0(VALU_DEP_2) | instskip(NEXT) | instid1(VALU_DEP_2)
	v_add_f64 v[1:2], v[10:11], -v[1:2]
	v_add_f64 v[3:4], v[12:13], -v[3:4]
	scratch_store_b128 off, v[1:4], off offset:272
	v_cmpx_lt_u32_e32 16, v94
	s_cbranch_execz .LBB27_149
; %bb.148:
	scratch_load_b128 v[1:4], v106, off
	v_mov_b32_e32 v5, 0
	s_delay_alu instid0(VALU_DEP_1)
	v_mov_b32_e32 v6, v5
	v_mov_b32_e32 v7, v5
	;; [unrolled: 1-line block ×3, first 2 shown]
	scratch_store_b128 off, v[5:8], off offset:256
	s_waitcnt vmcnt(0)
	ds_store_b128 v122, v[1:4]
.LBB27_149:
	s_or_b32 exec_lo, exec_lo, s2
	s_waitcnt lgkmcnt(0)
	s_waitcnt_vscnt null, 0x0
	s_barrier
	buffer_gl0_inv
	s_clause 0x7
	scratch_load_b128 v[2:5], off, off offset:272
	scratch_load_b128 v[6:9], off, off offset:288
	;; [unrolled: 1-line block ×8, first 2 shown]
	v_mov_b32_e32 v1, 0
	s_clause 0x1
	scratch_load_b128 v[123:126], off, off offset:400
	scratch_load_b128 v[131:134], off, off offset:416
	s_mov_b32 s2, exec_lo
	ds_load_b128 v[34:37], v1 offset:720
	ds_load_b128 v[127:130], v1 offset:736
	s_waitcnt vmcnt(9) lgkmcnt(1)
	v_mul_f64 v[135:136], v[36:37], v[4:5]
	v_mul_f64 v[4:5], v[34:35], v[4:5]
	s_waitcnt vmcnt(8) lgkmcnt(0)
	v_mul_f64 v[137:138], v[127:128], v[8:9]
	v_mul_f64 v[8:9], v[129:130], v[8:9]
	s_delay_alu instid0(VALU_DEP_4) | instskip(NEXT) | instid1(VALU_DEP_4)
	v_fma_f64 v[135:136], v[34:35], v[2:3], -v[135:136]
	v_fma_f64 v[139:140], v[36:37], v[2:3], v[4:5]
	ds_load_b128 v[2:5], v1 offset:752
	scratch_load_b128 v[34:37], off, off offset:432
	v_fma_f64 v[129:130], v[129:130], v[6:7], v[137:138]
	v_fma_f64 v[127:128], v[127:128], v[6:7], -v[8:9]
	ds_load_b128 v[6:9], v1 offset:768
	s_waitcnt vmcnt(8) lgkmcnt(1)
	v_mul_f64 v[141:142], v[2:3], v[12:13]
	v_mul_f64 v[12:13], v[4:5], v[12:13]
	v_add_f64 v[135:136], v[135:136], 0
	v_add_f64 v[137:138], v[139:140], 0
	s_waitcnt vmcnt(7) lgkmcnt(0)
	v_mul_f64 v[139:140], v[6:7], v[16:17]
	v_mul_f64 v[16:17], v[8:9], v[16:17]
	v_fma_f64 v[141:142], v[4:5], v[10:11], v[141:142]
	v_fma_f64 v[10:11], v[2:3], v[10:11], -v[12:13]
	ds_load_b128 v[2:5], v1 offset:784
	v_add_f64 v[12:13], v[135:136], v[127:128]
	v_add_f64 v[127:128], v[137:138], v[129:130]
	v_fma_f64 v[135:136], v[8:9], v[14:15], v[139:140]
	v_fma_f64 v[14:15], v[6:7], v[14:15], -v[16:17]
	ds_load_b128 v[6:9], v1 offset:800
	s_waitcnt vmcnt(6) lgkmcnt(1)
	v_mul_f64 v[129:130], v[2:3], v[20:21]
	v_mul_f64 v[20:21], v[4:5], v[20:21]
	s_waitcnt vmcnt(5) lgkmcnt(0)
	v_mul_f64 v[137:138], v[6:7], v[24:25]
	v_mul_f64 v[24:25], v[8:9], v[24:25]
	v_add_f64 v[16:17], v[12:13], v[10:11]
	v_add_f64 v[127:128], v[127:128], v[141:142]
	scratch_load_b128 v[10:13], off, off offset:256
	v_fma_f64 v[129:130], v[4:5], v[18:19], v[129:130]
	v_fma_f64 v[18:19], v[2:3], v[18:19], -v[20:21]
	ds_load_b128 v[2:5], v1 offset:816
	v_add_f64 v[14:15], v[16:17], v[14:15]
	v_add_f64 v[16:17], v[127:128], v[135:136]
	v_fma_f64 v[127:128], v[8:9], v[22:23], v[137:138]
	v_fma_f64 v[22:23], v[6:7], v[22:23], -v[24:25]
	ds_load_b128 v[6:9], v1 offset:832
	s_waitcnt vmcnt(5) lgkmcnt(1)
	v_mul_f64 v[20:21], v[2:3], v[28:29]
	v_mul_f64 v[28:29], v[4:5], v[28:29]
	s_waitcnt vmcnt(4) lgkmcnt(0)
	v_mul_f64 v[24:25], v[8:9], v[32:33]
	v_add_f64 v[14:15], v[14:15], v[18:19]
	v_add_f64 v[16:17], v[16:17], v[129:130]
	v_mul_f64 v[18:19], v[6:7], v[32:33]
	v_fma_f64 v[20:21], v[4:5], v[26:27], v[20:21]
	v_fma_f64 v[26:27], v[2:3], v[26:27], -v[28:29]
	ds_load_b128 v[2:5], v1 offset:848
	v_fma_f64 v[24:25], v[6:7], v[30:31], -v[24:25]
	v_add_f64 v[14:15], v[14:15], v[22:23]
	v_add_f64 v[16:17], v[16:17], v[127:128]
	v_fma_f64 v[18:19], v[8:9], v[30:31], v[18:19]
	ds_load_b128 v[6:9], v1 offset:864
	s_waitcnt vmcnt(3) lgkmcnt(1)
	v_mul_f64 v[22:23], v[2:3], v[125:126]
	v_mul_f64 v[28:29], v[4:5], v[125:126]
	v_add_f64 v[14:15], v[14:15], v[26:27]
	v_add_f64 v[16:17], v[16:17], v[20:21]
	s_waitcnt vmcnt(2) lgkmcnt(0)
	v_mul_f64 v[20:21], v[6:7], v[133:134]
	v_mul_f64 v[26:27], v[8:9], v[133:134]
	v_fma_f64 v[22:23], v[4:5], v[123:124], v[22:23]
	v_fma_f64 v[28:29], v[2:3], v[123:124], -v[28:29]
	ds_load_b128 v[2:5], v1 offset:880
	v_add_f64 v[14:15], v[14:15], v[24:25]
	v_add_f64 v[16:17], v[16:17], v[18:19]
	v_fma_f64 v[8:9], v[8:9], v[131:132], v[20:21]
	v_fma_f64 v[6:7], v[6:7], v[131:132], -v[26:27]
	s_waitcnt vmcnt(1) lgkmcnt(0)
	v_mul_f64 v[18:19], v[2:3], v[36:37]
	v_mul_f64 v[24:25], v[4:5], v[36:37]
	v_add_f64 v[14:15], v[14:15], v[28:29]
	v_add_f64 v[16:17], v[16:17], v[22:23]
	s_delay_alu instid0(VALU_DEP_4) | instskip(NEXT) | instid1(VALU_DEP_4)
	v_fma_f64 v[4:5], v[4:5], v[34:35], v[18:19]
	v_fma_f64 v[2:3], v[2:3], v[34:35], -v[24:25]
	s_delay_alu instid0(VALU_DEP_4) | instskip(NEXT) | instid1(VALU_DEP_4)
	v_add_f64 v[6:7], v[14:15], v[6:7]
	v_add_f64 v[8:9], v[16:17], v[8:9]
	s_delay_alu instid0(VALU_DEP_2) | instskip(NEXT) | instid1(VALU_DEP_2)
	v_add_f64 v[2:3], v[6:7], v[2:3]
	v_add_f64 v[4:5], v[8:9], v[4:5]
	s_waitcnt vmcnt(0)
	s_delay_alu instid0(VALU_DEP_2) | instskip(NEXT) | instid1(VALU_DEP_2)
	v_add_f64 v[2:3], v[10:11], -v[2:3]
	v_add_f64 v[4:5], v[12:13], -v[4:5]
	scratch_store_b128 off, v[2:5], off offset:256
	v_cmpx_lt_u32_e32 15, v94
	s_cbranch_execz .LBB27_151
; %bb.150:
	scratch_load_b128 v[5:8], v108, off
	v_mov_b32_e32 v2, v1
	v_mov_b32_e32 v3, v1
	;; [unrolled: 1-line block ×3, first 2 shown]
	scratch_store_b128 off, v[1:4], off offset:240
	s_waitcnt vmcnt(0)
	ds_store_b128 v122, v[5:8]
.LBB27_151:
	s_or_b32 exec_lo, exec_lo, s2
	s_waitcnt lgkmcnt(0)
	s_waitcnt_vscnt null, 0x0
	s_barrier
	buffer_gl0_inv
	s_clause 0x8
	scratch_load_b128 v[2:5], off, off offset:256
	scratch_load_b128 v[6:9], off, off offset:272
	;; [unrolled: 1-line block ×9, first 2 shown]
	ds_load_b128 v[123:126], v1 offset:704
	ds_load_b128 v[127:130], v1 offset:720
	s_clause 0x1
	scratch_load_b128 v[131:134], off, off offset:240
	scratch_load_b128 v[135:138], off, off offset:400
	s_mov_b32 s2, exec_lo
	s_waitcnt vmcnt(10) lgkmcnt(1)
	v_mul_f64 v[139:140], v[125:126], v[4:5]
	v_mul_f64 v[4:5], v[123:124], v[4:5]
	s_waitcnt vmcnt(9) lgkmcnt(0)
	v_mul_f64 v[143:144], v[127:128], v[8:9]
	v_mul_f64 v[8:9], v[129:130], v[8:9]
	s_delay_alu instid0(VALU_DEP_4) | instskip(NEXT) | instid1(VALU_DEP_4)
	v_fma_f64 v[145:146], v[123:124], v[2:3], -v[139:140]
	v_fma_f64 v[147:148], v[125:126], v[2:3], v[4:5]
	ds_load_b128 v[2:5], v1 offset:736
	ds_load_b128 v[139:142], v1 offset:752
	scratch_load_b128 v[123:126], off, off offset:416
	v_fma_f64 v[129:130], v[129:130], v[6:7], v[143:144]
	v_fma_f64 v[127:128], v[127:128], v[6:7], -v[8:9]
	scratch_load_b128 v[6:9], off, off offset:432
	s_waitcnt vmcnt(10) lgkmcnt(1)
	v_mul_f64 v[149:150], v[2:3], v[12:13]
	v_mul_f64 v[12:13], v[4:5], v[12:13]
	v_add_f64 v[143:144], v[145:146], 0
	v_add_f64 v[145:146], v[147:148], 0
	s_waitcnt vmcnt(9) lgkmcnt(0)
	v_mul_f64 v[147:148], v[139:140], v[16:17]
	v_mul_f64 v[16:17], v[141:142], v[16:17]
	v_fma_f64 v[149:150], v[4:5], v[10:11], v[149:150]
	v_fma_f64 v[151:152], v[2:3], v[10:11], -v[12:13]
	ds_load_b128 v[2:5], v1 offset:768
	ds_load_b128 v[10:13], v1 offset:784
	v_add_f64 v[127:128], v[143:144], v[127:128]
	v_add_f64 v[129:130], v[145:146], v[129:130]
	v_fma_f64 v[141:142], v[141:142], v[14:15], v[147:148]
	v_fma_f64 v[14:15], v[139:140], v[14:15], -v[16:17]
	s_waitcnt vmcnt(8) lgkmcnt(1)
	v_mul_f64 v[143:144], v[2:3], v[20:21]
	v_mul_f64 v[20:21], v[4:5], v[20:21]
	v_add_f64 v[16:17], v[127:128], v[151:152]
	v_add_f64 v[127:128], v[129:130], v[149:150]
	s_waitcnt vmcnt(7) lgkmcnt(0)
	v_mul_f64 v[129:130], v[10:11], v[24:25]
	v_mul_f64 v[24:25], v[12:13], v[24:25]
	v_fma_f64 v[139:140], v[4:5], v[18:19], v[143:144]
	v_fma_f64 v[18:19], v[2:3], v[18:19], -v[20:21]
	v_add_f64 v[20:21], v[16:17], v[14:15]
	v_add_f64 v[127:128], v[127:128], v[141:142]
	ds_load_b128 v[2:5], v1 offset:800
	ds_load_b128 v[14:17], v1 offset:816
	v_fma_f64 v[12:13], v[12:13], v[22:23], v[129:130]
	v_fma_f64 v[10:11], v[10:11], v[22:23], -v[24:25]
	s_waitcnt vmcnt(6) lgkmcnt(1)
	v_mul_f64 v[141:142], v[2:3], v[28:29]
	v_mul_f64 v[28:29], v[4:5], v[28:29]
	s_waitcnt vmcnt(5) lgkmcnt(0)
	v_mul_f64 v[22:23], v[14:15], v[32:33]
	v_mul_f64 v[24:25], v[16:17], v[32:33]
	v_add_f64 v[18:19], v[20:21], v[18:19]
	v_add_f64 v[20:21], v[127:128], v[139:140]
	v_fma_f64 v[32:33], v[4:5], v[26:27], v[141:142]
	v_fma_f64 v[26:27], v[2:3], v[26:27], -v[28:29]
	v_fma_f64 v[16:17], v[16:17], v[30:31], v[22:23]
	v_fma_f64 v[14:15], v[14:15], v[30:31], -v[24:25]
	v_add_f64 v[18:19], v[18:19], v[10:11]
	v_add_f64 v[20:21], v[20:21], v[12:13]
	ds_load_b128 v[2:5], v1 offset:832
	ds_load_b128 v[10:13], v1 offset:848
	s_waitcnt vmcnt(4) lgkmcnt(1)
	v_mul_f64 v[28:29], v[2:3], v[36:37]
	v_mul_f64 v[36:37], v[4:5], v[36:37]
	s_waitcnt vmcnt(2) lgkmcnt(0)
	v_mul_f64 v[22:23], v[10:11], v[137:138]
	v_mul_f64 v[24:25], v[12:13], v[137:138]
	v_add_f64 v[18:19], v[18:19], v[26:27]
	v_add_f64 v[20:21], v[20:21], v[32:33]
	v_fma_f64 v[26:27], v[4:5], v[34:35], v[28:29]
	v_fma_f64 v[28:29], v[2:3], v[34:35], -v[36:37]
	v_fma_f64 v[12:13], v[12:13], v[135:136], v[22:23]
	v_fma_f64 v[10:11], v[10:11], v[135:136], -v[24:25]
	v_add_f64 v[18:19], v[18:19], v[14:15]
	v_add_f64 v[20:21], v[20:21], v[16:17]
	ds_load_b128 v[2:5], v1 offset:864
	ds_load_b128 v[14:17], v1 offset:880
	s_waitcnt vmcnt(1) lgkmcnt(1)
	v_mul_f64 v[30:31], v[2:3], v[125:126]
	v_mul_f64 v[32:33], v[4:5], v[125:126]
	s_waitcnt vmcnt(0) lgkmcnt(0)
	v_mul_f64 v[22:23], v[14:15], v[8:9]
	v_mul_f64 v[8:9], v[16:17], v[8:9]
	v_add_f64 v[18:19], v[18:19], v[28:29]
	v_add_f64 v[20:21], v[20:21], v[26:27]
	v_fma_f64 v[4:5], v[4:5], v[123:124], v[30:31]
	v_fma_f64 v[1:2], v[2:3], v[123:124], -v[32:33]
	v_fma_f64 v[16:17], v[16:17], v[6:7], v[22:23]
	v_fma_f64 v[6:7], v[14:15], v[6:7], -v[8:9]
	v_add_f64 v[10:11], v[18:19], v[10:11]
	v_add_f64 v[12:13], v[20:21], v[12:13]
	s_delay_alu instid0(VALU_DEP_2) | instskip(NEXT) | instid1(VALU_DEP_2)
	v_add_f64 v[1:2], v[10:11], v[1:2]
	v_add_f64 v[3:4], v[12:13], v[4:5]
	s_delay_alu instid0(VALU_DEP_2) | instskip(NEXT) | instid1(VALU_DEP_2)
	;; [unrolled: 3-line block ×3, first 2 shown]
	v_add_f64 v[1:2], v[131:132], -v[1:2]
	v_add_f64 v[3:4], v[133:134], -v[3:4]
	scratch_store_b128 off, v[1:4], off offset:240
	v_cmpx_lt_u32_e32 14, v94
	s_cbranch_execz .LBB27_153
; %bb.152:
	scratch_load_b128 v[1:4], v107, off
	v_mov_b32_e32 v5, 0
	s_delay_alu instid0(VALU_DEP_1)
	v_mov_b32_e32 v6, v5
	v_mov_b32_e32 v7, v5
	;; [unrolled: 1-line block ×3, first 2 shown]
	scratch_store_b128 off, v[5:8], off offset:224
	s_waitcnt vmcnt(0)
	ds_store_b128 v122, v[1:4]
.LBB27_153:
	s_or_b32 exec_lo, exec_lo, s2
	s_waitcnt lgkmcnt(0)
	s_waitcnt_vscnt null, 0x0
	s_barrier
	buffer_gl0_inv
	s_clause 0x7
	scratch_load_b128 v[2:5], off, off offset:240
	scratch_load_b128 v[6:9], off, off offset:256
	;; [unrolled: 1-line block ×8, first 2 shown]
	v_mov_b32_e32 v1, 0
	s_mov_b32 s2, exec_lo
	ds_load_b128 v[34:37], v1 offset:688
	s_clause 0x1
	scratch_load_b128 v[123:126], off, off offset:368
	scratch_load_b128 v[127:130], off, off offset:224
	ds_load_b128 v[131:134], v1 offset:704
	scratch_load_b128 v[135:138], off, off offset:384
	s_waitcnt vmcnt(10) lgkmcnt(1)
	v_mul_f64 v[139:140], v[36:37], v[4:5]
	v_mul_f64 v[4:5], v[34:35], v[4:5]
	s_delay_alu instid0(VALU_DEP_2) | instskip(NEXT) | instid1(VALU_DEP_2)
	v_fma_f64 v[145:146], v[34:35], v[2:3], -v[139:140]
	v_fma_f64 v[147:148], v[36:37], v[2:3], v[4:5]
	scratch_load_b128 v[34:37], off, off offset:400
	ds_load_b128 v[2:5], v1 offset:720
	s_waitcnt vmcnt(10) lgkmcnt(1)
	v_mul_f64 v[143:144], v[131:132], v[8:9]
	v_mul_f64 v[8:9], v[133:134], v[8:9]
	ds_load_b128 v[139:142], v1 offset:736
	s_waitcnt vmcnt(9) lgkmcnt(1)
	v_mul_f64 v[149:150], v[2:3], v[12:13]
	v_mul_f64 v[12:13], v[4:5], v[12:13]
	v_fma_f64 v[133:134], v[133:134], v[6:7], v[143:144]
	v_fma_f64 v[131:132], v[131:132], v[6:7], -v[8:9]
	v_add_f64 v[143:144], v[145:146], 0
	v_add_f64 v[145:146], v[147:148], 0
	scratch_load_b128 v[6:9], off, off offset:416
	v_fma_f64 v[149:150], v[4:5], v[10:11], v[149:150]
	v_fma_f64 v[151:152], v[2:3], v[10:11], -v[12:13]
	scratch_load_b128 v[10:13], off, off offset:432
	ds_load_b128 v[2:5], v1 offset:752
	s_waitcnt vmcnt(10) lgkmcnt(1)
	v_mul_f64 v[147:148], v[139:140], v[16:17]
	v_mul_f64 v[16:17], v[141:142], v[16:17]
	v_add_f64 v[143:144], v[143:144], v[131:132]
	v_add_f64 v[145:146], v[145:146], v[133:134]
	s_waitcnt vmcnt(9) lgkmcnt(0)
	v_mul_f64 v[153:154], v[2:3], v[20:21]
	v_mul_f64 v[20:21], v[4:5], v[20:21]
	ds_load_b128 v[131:134], v1 offset:768
	v_fma_f64 v[141:142], v[141:142], v[14:15], v[147:148]
	v_fma_f64 v[14:15], v[139:140], v[14:15], -v[16:17]
	v_add_f64 v[16:17], v[143:144], v[151:152]
	v_add_f64 v[139:140], v[145:146], v[149:150]
	s_waitcnt vmcnt(8) lgkmcnt(0)
	v_mul_f64 v[143:144], v[131:132], v[24:25]
	v_mul_f64 v[24:25], v[133:134], v[24:25]
	v_fma_f64 v[145:146], v[4:5], v[18:19], v[153:154]
	v_fma_f64 v[18:19], v[2:3], v[18:19], -v[20:21]
	v_add_f64 v[20:21], v[16:17], v[14:15]
	v_add_f64 v[139:140], v[139:140], v[141:142]
	ds_load_b128 v[2:5], v1 offset:784
	ds_load_b128 v[14:17], v1 offset:800
	v_fma_f64 v[133:134], v[133:134], v[22:23], v[143:144]
	v_fma_f64 v[22:23], v[131:132], v[22:23], -v[24:25]
	s_waitcnt vmcnt(7) lgkmcnt(1)
	v_mul_f64 v[141:142], v[2:3], v[28:29]
	v_mul_f64 v[28:29], v[4:5], v[28:29]
	s_waitcnt vmcnt(6) lgkmcnt(0)
	v_mul_f64 v[24:25], v[14:15], v[32:33]
	v_mul_f64 v[32:33], v[16:17], v[32:33]
	v_add_f64 v[18:19], v[20:21], v[18:19]
	v_add_f64 v[20:21], v[139:140], v[145:146]
	v_fma_f64 v[131:132], v[4:5], v[26:27], v[141:142]
	v_fma_f64 v[26:27], v[2:3], v[26:27], -v[28:29]
	v_fma_f64 v[16:17], v[16:17], v[30:31], v[24:25]
	v_fma_f64 v[14:15], v[14:15], v[30:31], -v[32:33]
	v_add_f64 v[22:23], v[18:19], v[22:23]
	v_add_f64 v[28:29], v[20:21], v[133:134]
	ds_load_b128 v[2:5], v1 offset:816
	ds_load_b128 v[18:21], v1 offset:832
	s_waitcnt vmcnt(5) lgkmcnt(1)
	v_mul_f64 v[133:134], v[2:3], v[125:126]
	v_mul_f64 v[125:126], v[4:5], v[125:126]
	v_add_f64 v[22:23], v[22:23], v[26:27]
	v_add_f64 v[24:25], v[28:29], v[131:132]
	s_waitcnt vmcnt(3) lgkmcnt(0)
	v_mul_f64 v[26:27], v[18:19], v[137:138]
	v_mul_f64 v[28:29], v[20:21], v[137:138]
	v_fma_f64 v[30:31], v[4:5], v[123:124], v[133:134]
	v_fma_f64 v[32:33], v[2:3], v[123:124], -v[125:126]
	v_add_f64 v[22:23], v[22:23], v[14:15]
	v_add_f64 v[24:25], v[24:25], v[16:17]
	ds_load_b128 v[2:5], v1 offset:848
	ds_load_b128 v[14:17], v1 offset:864
	v_fma_f64 v[20:21], v[20:21], v[135:136], v[26:27]
	v_fma_f64 v[18:19], v[18:19], v[135:136], -v[28:29]
	s_waitcnt vmcnt(2) lgkmcnt(1)
	v_mul_f64 v[123:124], v[2:3], v[36:37]
	v_mul_f64 v[36:37], v[4:5], v[36:37]
	v_add_f64 v[22:23], v[22:23], v[32:33]
	v_add_f64 v[24:25], v[24:25], v[30:31]
	s_waitcnt vmcnt(1) lgkmcnt(0)
	v_mul_f64 v[26:27], v[14:15], v[8:9]
	v_mul_f64 v[8:9], v[16:17], v[8:9]
	v_fma_f64 v[28:29], v[4:5], v[34:35], v[123:124]
	v_fma_f64 v[30:31], v[2:3], v[34:35], -v[36:37]
	ds_load_b128 v[2:5], v1 offset:880
	v_add_f64 v[18:19], v[22:23], v[18:19]
	v_add_f64 v[20:21], v[24:25], v[20:21]
	s_waitcnt vmcnt(0) lgkmcnt(0)
	v_mul_f64 v[22:23], v[2:3], v[12:13]
	v_mul_f64 v[12:13], v[4:5], v[12:13]
	v_fma_f64 v[16:17], v[16:17], v[6:7], v[26:27]
	v_fma_f64 v[6:7], v[14:15], v[6:7], -v[8:9]
	v_add_f64 v[8:9], v[18:19], v[30:31]
	v_add_f64 v[14:15], v[20:21], v[28:29]
	v_fma_f64 v[4:5], v[4:5], v[10:11], v[22:23]
	v_fma_f64 v[2:3], v[2:3], v[10:11], -v[12:13]
	s_delay_alu instid0(VALU_DEP_4) | instskip(NEXT) | instid1(VALU_DEP_4)
	v_add_f64 v[6:7], v[8:9], v[6:7]
	v_add_f64 v[8:9], v[14:15], v[16:17]
	s_delay_alu instid0(VALU_DEP_2) | instskip(NEXT) | instid1(VALU_DEP_2)
	v_add_f64 v[2:3], v[6:7], v[2:3]
	v_add_f64 v[4:5], v[8:9], v[4:5]
	s_delay_alu instid0(VALU_DEP_2) | instskip(NEXT) | instid1(VALU_DEP_2)
	v_add_f64 v[2:3], v[127:128], -v[2:3]
	v_add_f64 v[4:5], v[129:130], -v[4:5]
	scratch_store_b128 off, v[2:5], off offset:224
	v_cmpx_lt_u32_e32 13, v94
	s_cbranch_execz .LBB27_155
; %bb.154:
	scratch_load_b128 v[5:8], v109, off
	v_mov_b32_e32 v2, v1
	v_mov_b32_e32 v3, v1
	;; [unrolled: 1-line block ×3, first 2 shown]
	scratch_store_b128 off, v[1:4], off offset:208
	s_waitcnt vmcnt(0)
	ds_store_b128 v122, v[5:8]
.LBB27_155:
	s_or_b32 exec_lo, exec_lo, s2
	s_waitcnt lgkmcnt(0)
	s_waitcnt_vscnt null, 0x0
	s_barrier
	buffer_gl0_inv
	s_clause 0x8
	scratch_load_b128 v[2:5], off, off offset:224
	scratch_load_b128 v[6:9], off, off offset:240
	;; [unrolled: 1-line block ×9, first 2 shown]
	ds_load_b128 v[123:126], v1 offset:672
	ds_load_b128 v[127:130], v1 offset:688
	s_clause 0x1
	scratch_load_b128 v[131:134], off, off offset:208
	scratch_load_b128 v[135:138], off, off offset:368
	s_mov_b32 s2, exec_lo
	s_waitcnt vmcnt(10) lgkmcnt(1)
	v_mul_f64 v[139:140], v[125:126], v[4:5]
	v_mul_f64 v[4:5], v[123:124], v[4:5]
	s_waitcnt vmcnt(9) lgkmcnt(0)
	v_mul_f64 v[143:144], v[127:128], v[8:9]
	v_mul_f64 v[8:9], v[129:130], v[8:9]
	s_delay_alu instid0(VALU_DEP_4) | instskip(NEXT) | instid1(VALU_DEP_4)
	v_fma_f64 v[145:146], v[123:124], v[2:3], -v[139:140]
	v_fma_f64 v[147:148], v[125:126], v[2:3], v[4:5]
	ds_load_b128 v[2:5], v1 offset:704
	ds_load_b128 v[139:142], v1 offset:720
	scratch_load_b128 v[123:126], off, off offset:384
	v_fma_f64 v[129:130], v[129:130], v[6:7], v[143:144]
	v_fma_f64 v[127:128], v[127:128], v[6:7], -v[8:9]
	scratch_load_b128 v[6:9], off, off offset:400
	s_waitcnt vmcnt(10) lgkmcnt(1)
	v_mul_f64 v[149:150], v[2:3], v[12:13]
	v_mul_f64 v[12:13], v[4:5], v[12:13]
	v_add_f64 v[143:144], v[145:146], 0
	v_add_f64 v[145:146], v[147:148], 0
	s_waitcnt vmcnt(9) lgkmcnt(0)
	v_mul_f64 v[147:148], v[139:140], v[16:17]
	v_mul_f64 v[16:17], v[141:142], v[16:17]
	v_fma_f64 v[149:150], v[4:5], v[10:11], v[149:150]
	v_fma_f64 v[151:152], v[2:3], v[10:11], -v[12:13]
	ds_load_b128 v[2:5], v1 offset:736
	scratch_load_b128 v[10:13], off, off offset:416
	v_add_f64 v[143:144], v[143:144], v[127:128]
	v_add_f64 v[145:146], v[145:146], v[129:130]
	ds_load_b128 v[127:130], v1 offset:752
	v_fma_f64 v[141:142], v[141:142], v[14:15], v[147:148]
	v_fma_f64 v[139:140], v[139:140], v[14:15], -v[16:17]
	scratch_load_b128 v[14:17], off, off offset:432
	s_waitcnt vmcnt(10) lgkmcnt(1)
	v_mul_f64 v[153:154], v[2:3], v[20:21]
	v_mul_f64 v[20:21], v[4:5], v[20:21]
	s_waitcnt vmcnt(9) lgkmcnt(0)
	v_mul_f64 v[147:148], v[127:128], v[24:25]
	v_mul_f64 v[24:25], v[129:130], v[24:25]
	v_add_f64 v[143:144], v[143:144], v[151:152]
	v_add_f64 v[145:146], v[145:146], v[149:150]
	v_fma_f64 v[149:150], v[4:5], v[18:19], v[153:154]
	v_fma_f64 v[151:152], v[2:3], v[18:19], -v[20:21]
	ds_load_b128 v[2:5], v1 offset:768
	ds_load_b128 v[18:21], v1 offset:784
	v_fma_f64 v[129:130], v[129:130], v[22:23], v[147:148]
	v_fma_f64 v[22:23], v[127:128], v[22:23], -v[24:25]
	v_add_f64 v[139:140], v[143:144], v[139:140]
	v_add_f64 v[141:142], v[145:146], v[141:142]
	s_waitcnt vmcnt(8) lgkmcnt(1)
	v_mul_f64 v[143:144], v[2:3], v[28:29]
	v_mul_f64 v[28:29], v[4:5], v[28:29]
	s_delay_alu instid0(VALU_DEP_4) | instskip(NEXT) | instid1(VALU_DEP_4)
	v_add_f64 v[24:25], v[139:140], v[151:152]
	v_add_f64 v[127:128], v[141:142], v[149:150]
	s_waitcnt vmcnt(7) lgkmcnt(0)
	v_mul_f64 v[139:140], v[18:19], v[32:33]
	v_mul_f64 v[32:33], v[20:21], v[32:33]
	v_fma_f64 v[141:142], v[4:5], v[26:27], v[143:144]
	v_fma_f64 v[26:27], v[2:3], v[26:27], -v[28:29]
	v_add_f64 v[28:29], v[24:25], v[22:23]
	v_add_f64 v[127:128], v[127:128], v[129:130]
	ds_load_b128 v[2:5], v1 offset:800
	ds_load_b128 v[22:25], v1 offset:816
	v_fma_f64 v[20:21], v[20:21], v[30:31], v[139:140]
	v_fma_f64 v[18:19], v[18:19], v[30:31], -v[32:33]
	s_waitcnt vmcnt(6) lgkmcnt(1)
	v_mul_f64 v[129:130], v[2:3], v[36:37]
	v_mul_f64 v[36:37], v[4:5], v[36:37]
	s_waitcnt vmcnt(4) lgkmcnt(0)
	v_mul_f64 v[30:31], v[22:23], v[137:138]
	v_mul_f64 v[32:33], v[24:25], v[137:138]
	v_add_f64 v[26:27], v[28:29], v[26:27]
	v_add_f64 v[28:29], v[127:128], v[141:142]
	v_fma_f64 v[127:128], v[4:5], v[34:35], v[129:130]
	v_fma_f64 v[34:35], v[2:3], v[34:35], -v[36:37]
	v_fma_f64 v[24:25], v[24:25], v[135:136], v[30:31]
	v_fma_f64 v[22:23], v[22:23], v[135:136], -v[32:33]
	v_add_f64 v[26:27], v[26:27], v[18:19]
	v_add_f64 v[28:29], v[28:29], v[20:21]
	ds_load_b128 v[2:5], v1 offset:832
	ds_load_b128 v[18:21], v1 offset:848
	s_waitcnt vmcnt(3) lgkmcnt(1)
	v_mul_f64 v[36:37], v[2:3], v[125:126]
	v_mul_f64 v[125:126], v[4:5], v[125:126]
	s_waitcnt vmcnt(2) lgkmcnt(0)
	v_mul_f64 v[30:31], v[18:19], v[8:9]
	v_mul_f64 v[8:9], v[20:21], v[8:9]
	v_add_f64 v[26:27], v[26:27], v[34:35]
	v_add_f64 v[28:29], v[28:29], v[127:128]
	v_fma_f64 v[32:33], v[4:5], v[123:124], v[36:37]
	v_fma_f64 v[34:35], v[2:3], v[123:124], -v[125:126]
	v_fma_f64 v[20:21], v[20:21], v[6:7], v[30:31]
	v_fma_f64 v[6:7], v[18:19], v[6:7], -v[8:9]
	v_add_f64 v[26:27], v[26:27], v[22:23]
	v_add_f64 v[28:29], v[28:29], v[24:25]
	ds_load_b128 v[2:5], v1 offset:864
	ds_load_b128 v[22:25], v1 offset:880
	s_waitcnt vmcnt(1) lgkmcnt(1)
	v_mul_f64 v[36:37], v[2:3], v[12:13]
	v_mul_f64 v[12:13], v[4:5], v[12:13]
	v_add_f64 v[8:9], v[26:27], v[34:35]
	v_add_f64 v[18:19], v[28:29], v[32:33]
	s_waitcnt vmcnt(0) lgkmcnt(0)
	v_mul_f64 v[26:27], v[22:23], v[16:17]
	v_mul_f64 v[16:17], v[24:25], v[16:17]
	v_fma_f64 v[4:5], v[4:5], v[10:11], v[36:37]
	v_fma_f64 v[1:2], v[2:3], v[10:11], -v[12:13]
	v_add_f64 v[6:7], v[8:9], v[6:7]
	v_add_f64 v[8:9], v[18:19], v[20:21]
	v_fma_f64 v[10:11], v[24:25], v[14:15], v[26:27]
	v_fma_f64 v[12:13], v[22:23], v[14:15], -v[16:17]
	s_delay_alu instid0(VALU_DEP_4) | instskip(NEXT) | instid1(VALU_DEP_4)
	v_add_f64 v[1:2], v[6:7], v[1:2]
	v_add_f64 v[3:4], v[8:9], v[4:5]
	s_delay_alu instid0(VALU_DEP_2) | instskip(NEXT) | instid1(VALU_DEP_2)
	v_add_f64 v[1:2], v[1:2], v[12:13]
	v_add_f64 v[3:4], v[3:4], v[10:11]
	s_delay_alu instid0(VALU_DEP_2) | instskip(NEXT) | instid1(VALU_DEP_2)
	v_add_f64 v[1:2], v[131:132], -v[1:2]
	v_add_f64 v[3:4], v[133:134], -v[3:4]
	scratch_store_b128 off, v[1:4], off offset:208
	v_cmpx_lt_u32_e32 12, v94
	s_cbranch_execz .LBB27_157
; %bb.156:
	scratch_load_b128 v[1:4], v110, off
	v_mov_b32_e32 v5, 0
	s_delay_alu instid0(VALU_DEP_1)
	v_mov_b32_e32 v6, v5
	v_mov_b32_e32 v7, v5
	;; [unrolled: 1-line block ×3, first 2 shown]
	scratch_store_b128 off, v[5:8], off offset:192
	s_waitcnt vmcnt(0)
	ds_store_b128 v122, v[1:4]
.LBB27_157:
	s_or_b32 exec_lo, exec_lo, s2
	s_waitcnt lgkmcnt(0)
	s_waitcnt_vscnt null, 0x0
	s_barrier
	buffer_gl0_inv
	s_clause 0x7
	scratch_load_b128 v[2:5], off, off offset:208
	scratch_load_b128 v[6:9], off, off offset:224
	;; [unrolled: 1-line block ×8, first 2 shown]
	v_mov_b32_e32 v1, 0
	s_mov_b32 s2, exec_lo
	ds_load_b128 v[34:37], v1 offset:656
	s_clause 0x1
	scratch_load_b128 v[123:126], off, off offset:336
	scratch_load_b128 v[127:130], off, off offset:192
	ds_load_b128 v[131:134], v1 offset:672
	scratch_load_b128 v[135:138], off, off offset:352
	s_waitcnt vmcnt(10) lgkmcnt(1)
	v_mul_f64 v[139:140], v[36:37], v[4:5]
	v_mul_f64 v[4:5], v[34:35], v[4:5]
	s_delay_alu instid0(VALU_DEP_2) | instskip(NEXT) | instid1(VALU_DEP_2)
	v_fma_f64 v[145:146], v[34:35], v[2:3], -v[139:140]
	v_fma_f64 v[147:148], v[36:37], v[2:3], v[4:5]
	scratch_load_b128 v[34:37], off, off offset:368
	ds_load_b128 v[2:5], v1 offset:688
	s_waitcnt vmcnt(10) lgkmcnt(1)
	v_mul_f64 v[143:144], v[131:132], v[8:9]
	v_mul_f64 v[8:9], v[133:134], v[8:9]
	ds_load_b128 v[139:142], v1 offset:704
	s_waitcnt vmcnt(9) lgkmcnt(1)
	v_mul_f64 v[149:150], v[2:3], v[12:13]
	v_mul_f64 v[12:13], v[4:5], v[12:13]
	v_fma_f64 v[133:134], v[133:134], v[6:7], v[143:144]
	v_fma_f64 v[131:132], v[131:132], v[6:7], -v[8:9]
	v_add_f64 v[143:144], v[145:146], 0
	v_add_f64 v[145:146], v[147:148], 0
	scratch_load_b128 v[6:9], off, off offset:384
	v_fma_f64 v[149:150], v[4:5], v[10:11], v[149:150]
	v_fma_f64 v[151:152], v[2:3], v[10:11], -v[12:13]
	scratch_load_b128 v[10:13], off, off offset:400
	ds_load_b128 v[2:5], v1 offset:720
	s_waitcnt vmcnt(10) lgkmcnt(1)
	v_mul_f64 v[147:148], v[139:140], v[16:17]
	v_mul_f64 v[16:17], v[141:142], v[16:17]
	v_add_f64 v[143:144], v[143:144], v[131:132]
	v_add_f64 v[145:146], v[145:146], v[133:134]
	s_waitcnt vmcnt(9) lgkmcnt(0)
	v_mul_f64 v[153:154], v[2:3], v[20:21]
	v_mul_f64 v[20:21], v[4:5], v[20:21]
	ds_load_b128 v[131:134], v1 offset:736
	v_fma_f64 v[141:142], v[141:142], v[14:15], v[147:148]
	v_fma_f64 v[139:140], v[139:140], v[14:15], -v[16:17]
	scratch_load_b128 v[14:17], off, off offset:416
	v_add_f64 v[143:144], v[143:144], v[151:152]
	v_add_f64 v[145:146], v[145:146], v[149:150]
	v_fma_f64 v[149:150], v[4:5], v[18:19], v[153:154]
	v_fma_f64 v[151:152], v[2:3], v[18:19], -v[20:21]
	scratch_load_b128 v[18:21], off, off offset:432
	ds_load_b128 v[2:5], v1 offset:752
	s_waitcnt vmcnt(10) lgkmcnt(1)
	v_mul_f64 v[147:148], v[131:132], v[24:25]
	v_mul_f64 v[24:25], v[133:134], v[24:25]
	s_waitcnt vmcnt(9) lgkmcnt(0)
	v_mul_f64 v[153:154], v[2:3], v[28:29]
	v_mul_f64 v[28:29], v[4:5], v[28:29]
	v_add_f64 v[143:144], v[143:144], v[139:140]
	v_add_f64 v[145:146], v[145:146], v[141:142]
	ds_load_b128 v[139:142], v1 offset:768
	v_fma_f64 v[133:134], v[133:134], v[22:23], v[147:148]
	v_fma_f64 v[22:23], v[131:132], v[22:23], -v[24:25]
	v_add_f64 v[24:25], v[143:144], v[151:152]
	v_add_f64 v[131:132], v[145:146], v[149:150]
	s_waitcnt vmcnt(8) lgkmcnt(0)
	v_mul_f64 v[143:144], v[139:140], v[32:33]
	v_mul_f64 v[32:33], v[141:142], v[32:33]
	v_fma_f64 v[145:146], v[4:5], v[26:27], v[153:154]
	v_fma_f64 v[26:27], v[2:3], v[26:27], -v[28:29]
	v_add_f64 v[28:29], v[24:25], v[22:23]
	v_add_f64 v[131:132], v[131:132], v[133:134]
	ds_load_b128 v[2:5], v1 offset:784
	ds_load_b128 v[22:25], v1 offset:800
	v_fma_f64 v[141:142], v[141:142], v[30:31], v[143:144]
	v_fma_f64 v[30:31], v[139:140], v[30:31], -v[32:33]
	s_waitcnt vmcnt(7) lgkmcnt(1)
	v_mul_f64 v[133:134], v[2:3], v[125:126]
	v_mul_f64 v[125:126], v[4:5], v[125:126]
	s_waitcnt vmcnt(5) lgkmcnt(0)
	v_mul_f64 v[32:33], v[22:23], v[137:138]
	v_add_f64 v[26:27], v[28:29], v[26:27]
	v_add_f64 v[28:29], v[131:132], v[145:146]
	v_mul_f64 v[131:132], v[24:25], v[137:138]
	v_fma_f64 v[133:134], v[4:5], v[123:124], v[133:134]
	v_fma_f64 v[123:124], v[2:3], v[123:124], -v[125:126]
	v_fma_f64 v[24:25], v[24:25], v[135:136], v[32:33]
	v_add_f64 v[30:31], v[26:27], v[30:31]
	v_add_f64 v[125:126], v[28:29], v[141:142]
	ds_load_b128 v[2:5], v1 offset:816
	ds_load_b128 v[26:29], v1 offset:832
	v_fma_f64 v[22:23], v[22:23], v[135:136], -v[131:132]
	s_waitcnt vmcnt(4) lgkmcnt(1)
	v_mul_f64 v[137:138], v[2:3], v[36:37]
	v_mul_f64 v[36:37], v[4:5], v[36:37]
	v_add_f64 v[30:31], v[30:31], v[123:124]
	v_add_f64 v[32:33], v[125:126], v[133:134]
	s_waitcnt vmcnt(3) lgkmcnt(0)
	v_mul_f64 v[123:124], v[26:27], v[8:9]
	v_mul_f64 v[8:9], v[28:29], v[8:9]
	v_fma_f64 v[125:126], v[4:5], v[34:35], v[137:138]
	v_fma_f64 v[34:35], v[2:3], v[34:35], -v[36:37]
	v_add_f64 v[30:31], v[30:31], v[22:23]
	v_add_f64 v[32:33], v[32:33], v[24:25]
	ds_load_b128 v[2:5], v1 offset:848
	ds_load_b128 v[22:25], v1 offset:864
	v_fma_f64 v[28:29], v[28:29], v[6:7], v[123:124]
	v_fma_f64 v[6:7], v[26:27], v[6:7], -v[8:9]
	s_waitcnt vmcnt(2) lgkmcnt(1)
	v_mul_f64 v[36:37], v[2:3], v[12:13]
	v_mul_f64 v[12:13], v[4:5], v[12:13]
	v_add_f64 v[8:9], v[30:31], v[34:35]
	v_add_f64 v[26:27], v[32:33], v[125:126]
	s_waitcnt vmcnt(1) lgkmcnt(0)
	v_mul_f64 v[30:31], v[22:23], v[16:17]
	v_mul_f64 v[16:17], v[24:25], v[16:17]
	v_fma_f64 v[32:33], v[4:5], v[10:11], v[36:37]
	v_fma_f64 v[10:11], v[2:3], v[10:11], -v[12:13]
	ds_load_b128 v[2:5], v1 offset:880
	v_add_f64 v[6:7], v[8:9], v[6:7]
	v_add_f64 v[8:9], v[26:27], v[28:29]
	v_fma_f64 v[24:25], v[24:25], v[14:15], v[30:31]
	v_fma_f64 v[14:15], v[22:23], v[14:15], -v[16:17]
	s_waitcnt vmcnt(0) lgkmcnt(0)
	v_mul_f64 v[12:13], v[2:3], v[20:21]
	v_mul_f64 v[20:21], v[4:5], v[20:21]
	v_add_f64 v[6:7], v[6:7], v[10:11]
	v_add_f64 v[8:9], v[8:9], v[32:33]
	s_delay_alu instid0(VALU_DEP_4) | instskip(NEXT) | instid1(VALU_DEP_4)
	v_fma_f64 v[4:5], v[4:5], v[18:19], v[12:13]
	v_fma_f64 v[2:3], v[2:3], v[18:19], -v[20:21]
	s_delay_alu instid0(VALU_DEP_4) | instskip(NEXT) | instid1(VALU_DEP_4)
	v_add_f64 v[6:7], v[6:7], v[14:15]
	v_add_f64 v[8:9], v[8:9], v[24:25]
	s_delay_alu instid0(VALU_DEP_2) | instskip(NEXT) | instid1(VALU_DEP_2)
	v_add_f64 v[2:3], v[6:7], v[2:3]
	v_add_f64 v[4:5], v[8:9], v[4:5]
	s_delay_alu instid0(VALU_DEP_2) | instskip(NEXT) | instid1(VALU_DEP_2)
	v_add_f64 v[2:3], v[127:128], -v[2:3]
	v_add_f64 v[4:5], v[129:130], -v[4:5]
	scratch_store_b128 off, v[2:5], off offset:192
	v_cmpx_lt_u32_e32 11, v94
	s_cbranch_execz .LBB27_159
; %bb.158:
	scratch_load_b128 v[5:8], v112, off
	v_mov_b32_e32 v2, v1
	v_mov_b32_e32 v3, v1
	;; [unrolled: 1-line block ×3, first 2 shown]
	scratch_store_b128 off, v[1:4], off offset:176
	s_waitcnt vmcnt(0)
	ds_store_b128 v122, v[5:8]
.LBB27_159:
	s_or_b32 exec_lo, exec_lo, s2
	s_waitcnt lgkmcnt(0)
	s_waitcnt_vscnt null, 0x0
	s_barrier
	buffer_gl0_inv
	s_clause 0x8
	scratch_load_b128 v[2:5], off, off offset:192
	scratch_load_b128 v[6:9], off, off offset:208
	;; [unrolled: 1-line block ×9, first 2 shown]
	ds_load_b128 v[123:126], v1 offset:640
	ds_load_b128 v[127:130], v1 offset:656
	s_clause 0x1
	scratch_load_b128 v[131:134], off, off offset:176
	scratch_load_b128 v[135:138], off, off offset:336
	s_mov_b32 s2, exec_lo
	s_waitcnt vmcnt(10) lgkmcnt(1)
	v_mul_f64 v[139:140], v[125:126], v[4:5]
	v_mul_f64 v[4:5], v[123:124], v[4:5]
	s_waitcnt vmcnt(9) lgkmcnt(0)
	v_mul_f64 v[143:144], v[127:128], v[8:9]
	v_mul_f64 v[8:9], v[129:130], v[8:9]
	s_delay_alu instid0(VALU_DEP_4) | instskip(NEXT) | instid1(VALU_DEP_4)
	v_fma_f64 v[145:146], v[123:124], v[2:3], -v[139:140]
	v_fma_f64 v[147:148], v[125:126], v[2:3], v[4:5]
	ds_load_b128 v[2:5], v1 offset:672
	ds_load_b128 v[139:142], v1 offset:688
	scratch_load_b128 v[123:126], off, off offset:352
	v_fma_f64 v[129:130], v[129:130], v[6:7], v[143:144]
	v_fma_f64 v[127:128], v[127:128], v[6:7], -v[8:9]
	scratch_load_b128 v[6:9], off, off offset:368
	s_waitcnt vmcnt(10) lgkmcnt(1)
	v_mul_f64 v[149:150], v[2:3], v[12:13]
	v_mul_f64 v[12:13], v[4:5], v[12:13]
	v_add_f64 v[143:144], v[145:146], 0
	v_add_f64 v[145:146], v[147:148], 0
	s_waitcnt vmcnt(9) lgkmcnt(0)
	v_mul_f64 v[147:148], v[139:140], v[16:17]
	v_mul_f64 v[16:17], v[141:142], v[16:17]
	v_fma_f64 v[149:150], v[4:5], v[10:11], v[149:150]
	v_fma_f64 v[151:152], v[2:3], v[10:11], -v[12:13]
	ds_load_b128 v[2:5], v1 offset:704
	scratch_load_b128 v[10:13], off, off offset:384
	v_add_f64 v[143:144], v[143:144], v[127:128]
	v_add_f64 v[145:146], v[145:146], v[129:130]
	ds_load_b128 v[127:130], v1 offset:720
	v_fma_f64 v[141:142], v[141:142], v[14:15], v[147:148]
	v_fma_f64 v[139:140], v[139:140], v[14:15], -v[16:17]
	scratch_load_b128 v[14:17], off, off offset:400
	s_waitcnt vmcnt(10) lgkmcnt(1)
	v_mul_f64 v[153:154], v[2:3], v[20:21]
	v_mul_f64 v[20:21], v[4:5], v[20:21]
	s_waitcnt vmcnt(9) lgkmcnt(0)
	v_mul_f64 v[147:148], v[127:128], v[24:25]
	v_mul_f64 v[24:25], v[129:130], v[24:25]
	v_add_f64 v[143:144], v[143:144], v[151:152]
	v_add_f64 v[145:146], v[145:146], v[149:150]
	v_fma_f64 v[149:150], v[4:5], v[18:19], v[153:154]
	v_fma_f64 v[151:152], v[2:3], v[18:19], -v[20:21]
	ds_load_b128 v[2:5], v1 offset:736
	scratch_load_b128 v[18:21], off, off offset:416
	v_fma_f64 v[129:130], v[129:130], v[22:23], v[147:148]
	v_fma_f64 v[127:128], v[127:128], v[22:23], -v[24:25]
	scratch_load_b128 v[22:25], off, off offset:432
	v_add_f64 v[143:144], v[143:144], v[139:140]
	v_add_f64 v[145:146], v[145:146], v[141:142]
	ds_load_b128 v[139:142], v1 offset:752
	s_waitcnt vmcnt(10) lgkmcnt(1)
	v_mul_f64 v[153:154], v[2:3], v[28:29]
	v_mul_f64 v[28:29], v[4:5], v[28:29]
	s_waitcnt vmcnt(9) lgkmcnt(0)
	v_mul_f64 v[147:148], v[139:140], v[32:33]
	v_mul_f64 v[32:33], v[141:142], v[32:33]
	v_add_f64 v[143:144], v[143:144], v[151:152]
	v_add_f64 v[145:146], v[145:146], v[149:150]
	v_fma_f64 v[149:150], v[4:5], v[26:27], v[153:154]
	v_fma_f64 v[151:152], v[2:3], v[26:27], -v[28:29]
	ds_load_b128 v[2:5], v1 offset:768
	ds_load_b128 v[26:29], v1 offset:784
	v_fma_f64 v[141:142], v[141:142], v[30:31], v[147:148]
	v_fma_f64 v[30:31], v[139:140], v[30:31], -v[32:33]
	v_add_f64 v[127:128], v[143:144], v[127:128]
	v_add_f64 v[129:130], v[145:146], v[129:130]
	s_waitcnt vmcnt(8) lgkmcnt(1)
	v_mul_f64 v[143:144], v[2:3], v[36:37]
	v_mul_f64 v[36:37], v[4:5], v[36:37]
	s_delay_alu instid0(VALU_DEP_4) | instskip(NEXT) | instid1(VALU_DEP_4)
	v_add_f64 v[32:33], v[127:128], v[151:152]
	v_add_f64 v[127:128], v[129:130], v[149:150]
	s_waitcnt vmcnt(6) lgkmcnt(0)
	v_mul_f64 v[129:130], v[26:27], v[137:138]
	v_mul_f64 v[137:138], v[28:29], v[137:138]
	v_fma_f64 v[139:140], v[4:5], v[34:35], v[143:144]
	v_fma_f64 v[34:35], v[2:3], v[34:35], -v[36:37]
	v_add_f64 v[36:37], v[32:33], v[30:31]
	v_add_f64 v[127:128], v[127:128], v[141:142]
	ds_load_b128 v[2:5], v1 offset:800
	ds_load_b128 v[30:33], v1 offset:816
	v_fma_f64 v[28:29], v[28:29], v[135:136], v[129:130]
	v_fma_f64 v[26:27], v[26:27], v[135:136], -v[137:138]
	s_waitcnt vmcnt(5) lgkmcnt(1)
	v_mul_f64 v[141:142], v[2:3], v[125:126]
	v_mul_f64 v[125:126], v[4:5], v[125:126]
	v_add_f64 v[34:35], v[36:37], v[34:35]
	v_add_f64 v[36:37], v[127:128], v[139:140]
	s_waitcnt vmcnt(4) lgkmcnt(0)
	v_mul_f64 v[127:128], v[30:31], v[8:9]
	v_mul_f64 v[8:9], v[32:33], v[8:9]
	v_fma_f64 v[129:130], v[4:5], v[123:124], v[141:142]
	v_fma_f64 v[123:124], v[2:3], v[123:124], -v[125:126]
	v_add_f64 v[34:35], v[34:35], v[26:27]
	v_add_f64 v[36:37], v[36:37], v[28:29]
	ds_load_b128 v[2:5], v1 offset:832
	ds_load_b128 v[26:29], v1 offset:848
	v_fma_f64 v[32:33], v[32:33], v[6:7], v[127:128]
	v_fma_f64 v[6:7], v[30:31], v[6:7], -v[8:9]
	s_waitcnt vmcnt(3) lgkmcnt(1)
	v_mul_f64 v[125:126], v[2:3], v[12:13]
	v_mul_f64 v[12:13], v[4:5], v[12:13]
	;; [unrolled: 16-line block ×3, first 2 shown]
	s_waitcnt vmcnt(0) lgkmcnt(0)
	v_mul_f64 v[16:17], v[6:7], v[24:25]
	v_mul_f64 v[24:25], v[8:9], v[24:25]
	v_add_f64 v[10:11], v[12:13], v[10:11]
	v_add_f64 v[12:13], v[30:31], v[36:37]
	v_fma_f64 v[4:5], v[4:5], v[18:19], v[32:33]
	v_fma_f64 v[1:2], v[2:3], v[18:19], -v[20:21]
	v_fma_f64 v[8:9], v[8:9], v[22:23], v[16:17]
	v_fma_f64 v[6:7], v[6:7], v[22:23], -v[24:25]
	v_add_f64 v[10:11], v[10:11], v[14:15]
	v_add_f64 v[12:13], v[12:13], v[28:29]
	s_delay_alu instid0(VALU_DEP_2) | instskip(NEXT) | instid1(VALU_DEP_2)
	v_add_f64 v[1:2], v[10:11], v[1:2]
	v_add_f64 v[3:4], v[12:13], v[4:5]
	s_delay_alu instid0(VALU_DEP_2) | instskip(NEXT) | instid1(VALU_DEP_2)
	;; [unrolled: 3-line block ×3, first 2 shown]
	v_add_f64 v[1:2], v[131:132], -v[1:2]
	v_add_f64 v[3:4], v[133:134], -v[3:4]
	scratch_store_b128 off, v[1:4], off offset:176
	v_cmpx_lt_u32_e32 10, v94
	s_cbranch_execz .LBB27_161
; %bb.160:
	scratch_load_b128 v[1:4], v111, off
	v_mov_b32_e32 v5, 0
	s_delay_alu instid0(VALU_DEP_1)
	v_mov_b32_e32 v6, v5
	v_mov_b32_e32 v7, v5
	;; [unrolled: 1-line block ×3, first 2 shown]
	scratch_store_b128 off, v[5:8], off offset:160
	s_waitcnt vmcnt(0)
	ds_store_b128 v122, v[1:4]
.LBB27_161:
	s_or_b32 exec_lo, exec_lo, s2
	s_waitcnt lgkmcnt(0)
	s_waitcnt_vscnt null, 0x0
	s_barrier
	buffer_gl0_inv
	s_clause 0x7
	scratch_load_b128 v[2:5], off, off offset:176
	scratch_load_b128 v[6:9], off, off offset:192
	;; [unrolled: 1-line block ×8, first 2 shown]
	v_mov_b32_e32 v1, 0
	s_mov_b32 s2, exec_lo
	ds_load_b128 v[34:37], v1 offset:624
	s_clause 0x1
	scratch_load_b128 v[123:126], off, off offset:304
	scratch_load_b128 v[127:130], off, off offset:160
	ds_load_b128 v[131:134], v1 offset:640
	scratch_load_b128 v[135:138], off, off offset:320
	s_waitcnt vmcnt(10) lgkmcnt(1)
	v_mul_f64 v[139:140], v[36:37], v[4:5]
	v_mul_f64 v[4:5], v[34:35], v[4:5]
	s_delay_alu instid0(VALU_DEP_2) | instskip(NEXT) | instid1(VALU_DEP_2)
	v_fma_f64 v[145:146], v[34:35], v[2:3], -v[139:140]
	v_fma_f64 v[147:148], v[36:37], v[2:3], v[4:5]
	scratch_load_b128 v[34:37], off, off offset:336
	ds_load_b128 v[2:5], v1 offset:656
	s_waitcnt vmcnt(10) lgkmcnt(1)
	v_mul_f64 v[143:144], v[131:132], v[8:9]
	v_mul_f64 v[8:9], v[133:134], v[8:9]
	ds_load_b128 v[139:142], v1 offset:672
	s_waitcnt vmcnt(9) lgkmcnt(1)
	v_mul_f64 v[149:150], v[2:3], v[12:13]
	v_mul_f64 v[12:13], v[4:5], v[12:13]
	v_fma_f64 v[133:134], v[133:134], v[6:7], v[143:144]
	v_fma_f64 v[131:132], v[131:132], v[6:7], -v[8:9]
	v_add_f64 v[143:144], v[145:146], 0
	v_add_f64 v[145:146], v[147:148], 0
	scratch_load_b128 v[6:9], off, off offset:352
	v_fma_f64 v[149:150], v[4:5], v[10:11], v[149:150]
	v_fma_f64 v[151:152], v[2:3], v[10:11], -v[12:13]
	scratch_load_b128 v[10:13], off, off offset:368
	ds_load_b128 v[2:5], v1 offset:688
	s_waitcnt vmcnt(10) lgkmcnt(1)
	v_mul_f64 v[147:148], v[139:140], v[16:17]
	v_mul_f64 v[16:17], v[141:142], v[16:17]
	v_add_f64 v[143:144], v[143:144], v[131:132]
	v_add_f64 v[145:146], v[145:146], v[133:134]
	s_waitcnt vmcnt(9) lgkmcnt(0)
	v_mul_f64 v[153:154], v[2:3], v[20:21]
	v_mul_f64 v[20:21], v[4:5], v[20:21]
	ds_load_b128 v[131:134], v1 offset:704
	v_fma_f64 v[141:142], v[141:142], v[14:15], v[147:148]
	v_fma_f64 v[139:140], v[139:140], v[14:15], -v[16:17]
	scratch_load_b128 v[14:17], off, off offset:384
	v_add_f64 v[143:144], v[143:144], v[151:152]
	v_add_f64 v[145:146], v[145:146], v[149:150]
	v_fma_f64 v[149:150], v[4:5], v[18:19], v[153:154]
	v_fma_f64 v[151:152], v[2:3], v[18:19], -v[20:21]
	scratch_load_b128 v[18:21], off, off offset:400
	ds_load_b128 v[2:5], v1 offset:720
	s_waitcnt vmcnt(10) lgkmcnt(1)
	v_mul_f64 v[147:148], v[131:132], v[24:25]
	v_mul_f64 v[24:25], v[133:134], v[24:25]
	s_waitcnt vmcnt(9) lgkmcnt(0)
	v_mul_f64 v[153:154], v[2:3], v[28:29]
	v_mul_f64 v[28:29], v[4:5], v[28:29]
	v_add_f64 v[143:144], v[143:144], v[139:140]
	v_add_f64 v[145:146], v[145:146], v[141:142]
	ds_load_b128 v[139:142], v1 offset:736
	v_fma_f64 v[133:134], v[133:134], v[22:23], v[147:148]
	v_fma_f64 v[131:132], v[131:132], v[22:23], -v[24:25]
	scratch_load_b128 v[22:25], off, off offset:416
	v_add_f64 v[143:144], v[143:144], v[151:152]
	v_add_f64 v[145:146], v[145:146], v[149:150]
	v_fma_f64 v[149:150], v[4:5], v[26:27], v[153:154]
	v_fma_f64 v[151:152], v[2:3], v[26:27], -v[28:29]
	scratch_load_b128 v[26:29], off, off offset:432
	ds_load_b128 v[2:5], v1 offset:752
	s_waitcnt vmcnt(10) lgkmcnt(1)
	v_mul_f64 v[147:148], v[139:140], v[32:33]
	v_mul_f64 v[32:33], v[141:142], v[32:33]
	s_waitcnt vmcnt(9) lgkmcnt(0)
	v_mul_f64 v[153:154], v[2:3], v[125:126]
	v_mul_f64 v[125:126], v[4:5], v[125:126]
	v_add_f64 v[143:144], v[143:144], v[131:132]
	v_add_f64 v[145:146], v[145:146], v[133:134]
	ds_load_b128 v[131:134], v1 offset:768
	v_fma_f64 v[141:142], v[141:142], v[30:31], v[147:148]
	v_fma_f64 v[30:31], v[139:140], v[30:31], -v[32:33]
	v_add_f64 v[32:33], v[143:144], v[151:152]
	v_add_f64 v[139:140], v[145:146], v[149:150]
	s_waitcnt vmcnt(7) lgkmcnt(0)
	v_mul_f64 v[143:144], v[131:132], v[137:138]
	v_mul_f64 v[137:138], v[133:134], v[137:138]
	v_fma_f64 v[145:146], v[4:5], v[123:124], v[153:154]
	v_fma_f64 v[123:124], v[2:3], v[123:124], -v[125:126]
	v_add_f64 v[125:126], v[32:33], v[30:31]
	v_add_f64 v[139:140], v[139:140], v[141:142]
	ds_load_b128 v[2:5], v1 offset:784
	ds_load_b128 v[30:33], v1 offset:800
	v_fma_f64 v[133:134], v[133:134], v[135:136], v[143:144]
	v_fma_f64 v[131:132], v[131:132], v[135:136], -v[137:138]
	s_waitcnt vmcnt(6) lgkmcnt(1)
	v_mul_f64 v[141:142], v[2:3], v[36:37]
	v_mul_f64 v[36:37], v[4:5], v[36:37]
	v_add_f64 v[123:124], v[125:126], v[123:124]
	v_add_f64 v[125:126], v[139:140], v[145:146]
	s_waitcnt vmcnt(5) lgkmcnt(0)
	v_mul_f64 v[135:136], v[30:31], v[8:9]
	v_mul_f64 v[8:9], v[32:33], v[8:9]
	v_fma_f64 v[137:138], v[4:5], v[34:35], v[141:142]
	v_fma_f64 v[139:140], v[2:3], v[34:35], -v[36:37]
	ds_load_b128 v[2:5], v1 offset:816
	ds_load_b128 v[34:37], v1 offset:832
	v_add_f64 v[123:124], v[123:124], v[131:132]
	v_add_f64 v[125:126], v[125:126], v[133:134]
	s_waitcnt vmcnt(4) lgkmcnt(1)
	v_mul_f64 v[131:132], v[2:3], v[12:13]
	v_mul_f64 v[12:13], v[4:5], v[12:13]
	v_fma_f64 v[32:33], v[32:33], v[6:7], v[135:136]
	v_fma_f64 v[6:7], v[30:31], v[6:7], -v[8:9]
	v_add_f64 v[8:9], v[123:124], v[139:140]
	v_add_f64 v[30:31], v[125:126], v[137:138]
	s_waitcnt vmcnt(3) lgkmcnt(0)
	v_mul_f64 v[123:124], v[34:35], v[16:17]
	v_mul_f64 v[16:17], v[36:37], v[16:17]
	v_fma_f64 v[125:126], v[4:5], v[10:11], v[131:132]
	v_fma_f64 v[10:11], v[2:3], v[10:11], -v[12:13]
	v_add_f64 v[12:13], v[8:9], v[6:7]
	v_add_f64 v[30:31], v[30:31], v[32:33]
	ds_load_b128 v[2:5], v1 offset:848
	ds_load_b128 v[6:9], v1 offset:864
	v_fma_f64 v[36:37], v[36:37], v[14:15], v[123:124]
	v_fma_f64 v[14:15], v[34:35], v[14:15], -v[16:17]
	s_waitcnt vmcnt(2) lgkmcnt(1)
	v_mul_f64 v[32:33], v[2:3], v[20:21]
	v_mul_f64 v[20:21], v[4:5], v[20:21]
	s_waitcnt vmcnt(1) lgkmcnt(0)
	v_mul_f64 v[16:17], v[6:7], v[24:25]
	v_mul_f64 v[24:25], v[8:9], v[24:25]
	v_add_f64 v[10:11], v[12:13], v[10:11]
	v_add_f64 v[12:13], v[30:31], v[125:126]
	v_fma_f64 v[30:31], v[4:5], v[18:19], v[32:33]
	v_fma_f64 v[18:19], v[2:3], v[18:19], -v[20:21]
	ds_load_b128 v[2:5], v1 offset:880
	v_fma_f64 v[8:9], v[8:9], v[22:23], v[16:17]
	v_fma_f64 v[6:7], v[6:7], v[22:23], -v[24:25]
	v_add_f64 v[10:11], v[10:11], v[14:15]
	v_add_f64 v[12:13], v[12:13], v[36:37]
	s_waitcnt vmcnt(0) lgkmcnt(0)
	v_mul_f64 v[14:15], v[2:3], v[28:29]
	v_mul_f64 v[20:21], v[4:5], v[28:29]
	s_delay_alu instid0(VALU_DEP_4) | instskip(NEXT) | instid1(VALU_DEP_4)
	v_add_f64 v[10:11], v[10:11], v[18:19]
	v_add_f64 v[12:13], v[12:13], v[30:31]
	s_delay_alu instid0(VALU_DEP_4) | instskip(NEXT) | instid1(VALU_DEP_4)
	v_fma_f64 v[4:5], v[4:5], v[26:27], v[14:15]
	v_fma_f64 v[2:3], v[2:3], v[26:27], -v[20:21]
	s_delay_alu instid0(VALU_DEP_4) | instskip(NEXT) | instid1(VALU_DEP_4)
	v_add_f64 v[6:7], v[10:11], v[6:7]
	v_add_f64 v[8:9], v[12:13], v[8:9]
	s_delay_alu instid0(VALU_DEP_2) | instskip(NEXT) | instid1(VALU_DEP_2)
	v_add_f64 v[2:3], v[6:7], v[2:3]
	v_add_f64 v[4:5], v[8:9], v[4:5]
	s_delay_alu instid0(VALU_DEP_2) | instskip(NEXT) | instid1(VALU_DEP_2)
	v_add_f64 v[2:3], v[127:128], -v[2:3]
	v_add_f64 v[4:5], v[129:130], -v[4:5]
	scratch_store_b128 off, v[2:5], off offset:160
	v_cmpx_lt_u32_e32 9, v94
	s_cbranch_execz .LBB27_163
; %bb.162:
	scratch_load_b128 v[5:8], v113, off
	v_mov_b32_e32 v2, v1
	v_mov_b32_e32 v3, v1
	;; [unrolled: 1-line block ×3, first 2 shown]
	scratch_store_b128 off, v[1:4], off offset:144
	s_waitcnt vmcnt(0)
	ds_store_b128 v122, v[5:8]
.LBB27_163:
	s_or_b32 exec_lo, exec_lo, s2
	s_waitcnt lgkmcnt(0)
	s_waitcnt_vscnt null, 0x0
	s_barrier
	buffer_gl0_inv
	s_clause 0x8
	scratch_load_b128 v[2:5], off, off offset:160
	scratch_load_b128 v[6:9], off, off offset:176
	;; [unrolled: 1-line block ×9, first 2 shown]
	ds_load_b128 v[123:126], v1 offset:608
	ds_load_b128 v[127:130], v1 offset:624
	s_clause 0x1
	scratch_load_b128 v[131:134], off, off offset:144
	scratch_load_b128 v[135:138], off, off offset:304
	s_mov_b32 s2, exec_lo
	s_waitcnt vmcnt(10) lgkmcnt(1)
	v_mul_f64 v[139:140], v[125:126], v[4:5]
	v_mul_f64 v[4:5], v[123:124], v[4:5]
	s_waitcnt vmcnt(9) lgkmcnt(0)
	v_mul_f64 v[143:144], v[127:128], v[8:9]
	v_mul_f64 v[8:9], v[129:130], v[8:9]
	s_delay_alu instid0(VALU_DEP_4) | instskip(NEXT) | instid1(VALU_DEP_4)
	v_fma_f64 v[145:146], v[123:124], v[2:3], -v[139:140]
	v_fma_f64 v[147:148], v[125:126], v[2:3], v[4:5]
	ds_load_b128 v[2:5], v1 offset:640
	ds_load_b128 v[139:142], v1 offset:656
	scratch_load_b128 v[123:126], off, off offset:320
	v_fma_f64 v[129:130], v[129:130], v[6:7], v[143:144]
	v_fma_f64 v[127:128], v[127:128], v[6:7], -v[8:9]
	scratch_load_b128 v[6:9], off, off offset:336
	s_waitcnt vmcnt(10) lgkmcnt(1)
	v_mul_f64 v[149:150], v[2:3], v[12:13]
	v_mul_f64 v[12:13], v[4:5], v[12:13]
	v_add_f64 v[143:144], v[145:146], 0
	v_add_f64 v[145:146], v[147:148], 0
	s_waitcnt vmcnt(9) lgkmcnt(0)
	v_mul_f64 v[147:148], v[139:140], v[16:17]
	v_mul_f64 v[16:17], v[141:142], v[16:17]
	v_fma_f64 v[149:150], v[4:5], v[10:11], v[149:150]
	v_fma_f64 v[151:152], v[2:3], v[10:11], -v[12:13]
	ds_load_b128 v[2:5], v1 offset:672
	scratch_load_b128 v[10:13], off, off offset:352
	v_add_f64 v[143:144], v[143:144], v[127:128]
	v_add_f64 v[145:146], v[145:146], v[129:130]
	ds_load_b128 v[127:130], v1 offset:688
	v_fma_f64 v[141:142], v[141:142], v[14:15], v[147:148]
	v_fma_f64 v[139:140], v[139:140], v[14:15], -v[16:17]
	scratch_load_b128 v[14:17], off, off offset:368
	s_waitcnt vmcnt(10) lgkmcnt(1)
	v_mul_f64 v[153:154], v[2:3], v[20:21]
	v_mul_f64 v[20:21], v[4:5], v[20:21]
	s_waitcnt vmcnt(9) lgkmcnt(0)
	v_mul_f64 v[147:148], v[127:128], v[24:25]
	v_mul_f64 v[24:25], v[129:130], v[24:25]
	v_add_f64 v[143:144], v[143:144], v[151:152]
	v_add_f64 v[145:146], v[145:146], v[149:150]
	v_fma_f64 v[149:150], v[4:5], v[18:19], v[153:154]
	v_fma_f64 v[151:152], v[2:3], v[18:19], -v[20:21]
	ds_load_b128 v[2:5], v1 offset:704
	scratch_load_b128 v[18:21], off, off offset:384
	v_fma_f64 v[129:130], v[129:130], v[22:23], v[147:148]
	v_fma_f64 v[127:128], v[127:128], v[22:23], -v[24:25]
	scratch_load_b128 v[22:25], off, off offset:400
	v_add_f64 v[143:144], v[143:144], v[139:140]
	v_add_f64 v[145:146], v[145:146], v[141:142]
	ds_load_b128 v[139:142], v1 offset:720
	s_waitcnt vmcnt(10) lgkmcnt(1)
	v_mul_f64 v[153:154], v[2:3], v[28:29]
	v_mul_f64 v[28:29], v[4:5], v[28:29]
	s_waitcnt vmcnt(9) lgkmcnt(0)
	v_mul_f64 v[147:148], v[139:140], v[32:33]
	v_mul_f64 v[32:33], v[141:142], v[32:33]
	v_add_f64 v[143:144], v[143:144], v[151:152]
	v_add_f64 v[145:146], v[145:146], v[149:150]
	v_fma_f64 v[149:150], v[4:5], v[26:27], v[153:154]
	v_fma_f64 v[151:152], v[2:3], v[26:27], -v[28:29]
	ds_load_b128 v[2:5], v1 offset:736
	scratch_load_b128 v[26:29], off, off offset:416
	v_fma_f64 v[141:142], v[141:142], v[30:31], v[147:148]
	v_fma_f64 v[139:140], v[139:140], v[30:31], -v[32:33]
	scratch_load_b128 v[30:33], off, off offset:432
	v_add_f64 v[143:144], v[143:144], v[127:128]
	v_add_f64 v[145:146], v[145:146], v[129:130]
	ds_load_b128 v[127:130], v1 offset:752
	s_waitcnt vmcnt(10) lgkmcnt(1)
	v_mul_f64 v[153:154], v[2:3], v[36:37]
	v_mul_f64 v[36:37], v[4:5], v[36:37]
	s_waitcnt vmcnt(8) lgkmcnt(0)
	v_mul_f64 v[147:148], v[127:128], v[137:138]
	v_mul_f64 v[137:138], v[129:130], v[137:138]
	v_add_f64 v[143:144], v[143:144], v[151:152]
	v_add_f64 v[145:146], v[145:146], v[149:150]
	v_fma_f64 v[149:150], v[4:5], v[34:35], v[153:154]
	v_fma_f64 v[151:152], v[2:3], v[34:35], -v[36:37]
	ds_load_b128 v[2:5], v1 offset:768
	ds_load_b128 v[34:37], v1 offset:784
	v_fma_f64 v[129:130], v[129:130], v[135:136], v[147:148]
	v_fma_f64 v[127:128], v[127:128], v[135:136], -v[137:138]
	v_add_f64 v[139:140], v[143:144], v[139:140]
	v_add_f64 v[141:142], v[145:146], v[141:142]
	s_waitcnt vmcnt(7) lgkmcnt(1)
	v_mul_f64 v[143:144], v[2:3], v[125:126]
	v_mul_f64 v[125:126], v[4:5], v[125:126]
	s_delay_alu instid0(VALU_DEP_4) | instskip(NEXT) | instid1(VALU_DEP_4)
	v_add_f64 v[135:136], v[139:140], v[151:152]
	v_add_f64 v[137:138], v[141:142], v[149:150]
	s_waitcnt vmcnt(6) lgkmcnt(0)
	v_mul_f64 v[139:140], v[34:35], v[8:9]
	v_mul_f64 v[8:9], v[36:37], v[8:9]
	v_fma_f64 v[141:142], v[4:5], v[123:124], v[143:144]
	v_fma_f64 v[143:144], v[2:3], v[123:124], -v[125:126]
	ds_load_b128 v[2:5], v1 offset:800
	ds_load_b128 v[123:126], v1 offset:816
	v_add_f64 v[127:128], v[135:136], v[127:128]
	v_add_f64 v[129:130], v[137:138], v[129:130]
	v_fma_f64 v[36:37], v[36:37], v[6:7], v[139:140]
	s_waitcnt vmcnt(5) lgkmcnt(1)
	v_mul_f64 v[135:136], v[2:3], v[12:13]
	v_mul_f64 v[12:13], v[4:5], v[12:13]
	v_fma_f64 v[6:7], v[34:35], v[6:7], -v[8:9]
	v_add_f64 v[8:9], v[127:128], v[143:144]
	v_add_f64 v[34:35], v[129:130], v[141:142]
	s_waitcnt vmcnt(4) lgkmcnt(0)
	v_mul_f64 v[127:128], v[123:124], v[16:17]
	v_mul_f64 v[16:17], v[125:126], v[16:17]
	v_fma_f64 v[129:130], v[4:5], v[10:11], v[135:136]
	v_fma_f64 v[10:11], v[2:3], v[10:11], -v[12:13]
	v_add_f64 v[12:13], v[8:9], v[6:7]
	v_add_f64 v[34:35], v[34:35], v[36:37]
	ds_load_b128 v[2:5], v1 offset:832
	ds_load_b128 v[6:9], v1 offset:848
	v_fma_f64 v[125:126], v[125:126], v[14:15], v[127:128]
	v_fma_f64 v[14:15], v[123:124], v[14:15], -v[16:17]
	s_waitcnt vmcnt(3) lgkmcnt(1)
	v_mul_f64 v[36:37], v[2:3], v[20:21]
	v_mul_f64 v[20:21], v[4:5], v[20:21]
	s_waitcnt vmcnt(2) lgkmcnt(0)
	v_mul_f64 v[16:17], v[6:7], v[24:25]
	v_mul_f64 v[24:25], v[8:9], v[24:25]
	v_add_f64 v[10:11], v[12:13], v[10:11]
	v_add_f64 v[12:13], v[34:35], v[129:130]
	v_fma_f64 v[34:35], v[4:5], v[18:19], v[36:37]
	v_fma_f64 v[18:19], v[2:3], v[18:19], -v[20:21]
	v_fma_f64 v[8:9], v[8:9], v[22:23], v[16:17]
	v_fma_f64 v[6:7], v[6:7], v[22:23], -v[24:25]
	v_add_f64 v[14:15], v[10:11], v[14:15]
	v_add_f64 v[20:21], v[12:13], v[125:126]
	ds_load_b128 v[2:5], v1 offset:864
	ds_load_b128 v[10:13], v1 offset:880
	s_waitcnt vmcnt(1) lgkmcnt(1)
	v_mul_f64 v[36:37], v[2:3], v[28:29]
	v_mul_f64 v[28:29], v[4:5], v[28:29]
	v_add_f64 v[14:15], v[14:15], v[18:19]
	v_add_f64 v[16:17], v[20:21], v[34:35]
	s_waitcnt vmcnt(0) lgkmcnt(0)
	v_mul_f64 v[18:19], v[10:11], v[32:33]
	v_mul_f64 v[20:21], v[12:13], v[32:33]
	v_fma_f64 v[4:5], v[4:5], v[26:27], v[36:37]
	v_fma_f64 v[1:2], v[2:3], v[26:27], -v[28:29]
	v_add_f64 v[6:7], v[14:15], v[6:7]
	v_add_f64 v[8:9], v[16:17], v[8:9]
	v_fma_f64 v[12:13], v[12:13], v[30:31], v[18:19]
	v_fma_f64 v[10:11], v[10:11], v[30:31], -v[20:21]
	s_delay_alu instid0(VALU_DEP_4) | instskip(NEXT) | instid1(VALU_DEP_4)
	v_add_f64 v[1:2], v[6:7], v[1:2]
	v_add_f64 v[3:4], v[8:9], v[4:5]
	s_delay_alu instid0(VALU_DEP_2) | instskip(NEXT) | instid1(VALU_DEP_2)
	v_add_f64 v[1:2], v[1:2], v[10:11]
	v_add_f64 v[3:4], v[3:4], v[12:13]
	s_delay_alu instid0(VALU_DEP_2) | instskip(NEXT) | instid1(VALU_DEP_2)
	v_add_f64 v[1:2], v[131:132], -v[1:2]
	v_add_f64 v[3:4], v[133:134], -v[3:4]
	scratch_store_b128 off, v[1:4], off offset:144
	v_cmpx_lt_u32_e32 8, v94
	s_cbranch_execz .LBB27_165
; %bb.164:
	scratch_load_b128 v[1:4], v114, off
	v_mov_b32_e32 v5, 0
	s_delay_alu instid0(VALU_DEP_1)
	v_mov_b32_e32 v6, v5
	v_mov_b32_e32 v7, v5
	;; [unrolled: 1-line block ×3, first 2 shown]
	scratch_store_b128 off, v[5:8], off offset:128
	s_waitcnt vmcnt(0)
	ds_store_b128 v122, v[1:4]
.LBB27_165:
	s_or_b32 exec_lo, exec_lo, s2
	s_waitcnt lgkmcnt(0)
	s_waitcnt_vscnt null, 0x0
	s_barrier
	buffer_gl0_inv
	s_clause 0x7
	scratch_load_b128 v[2:5], off, off offset:144
	scratch_load_b128 v[6:9], off, off offset:160
	scratch_load_b128 v[10:13], off, off offset:176
	scratch_load_b128 v[14:17], off, off offset:192
	scratch_load_b128 v[18:21], off, off offset:208
	scratch_load_b128 v[22:25], off, off offset:224
	scratch_load_b128 v[26:29], off, off offset:240
	scratch_load_b128 v[30:33], off, off offset:256
	v_mov_b32_e32 v1, 0
	s_mov_b32 s2, exec_lo
	ds_load_b128 v[34:37], v1 offset:592
	s_clause 0x1
	scratch_load_b128 v[123:126], off, off offset:272
	scratch_load_b128 v[127:130], off, off offset:128
	ds_load_b128 v[131:134], v1 offset:608
	scratch_load_b128 v[135:138], off, off offset:288
	s_waitcnt vmcnt(10) lgkmcnt(1)
	v_mul_f64 v[139:140], v[36:37], v[4:5]
	v_mul_f64 v[4:5], v[34:35], v[4:5]
	s_delay_alu instid0(VALU_DEP_2) | instskip(NEXT) | instid1(VALU_DEP_2)
	v_fma_f64 v[145:146], v[34:35], v[2:3], -v[139:140]
	v_fma_f64 v[147:148], v[36:37], v[2:3], v[4:5]
	scratch_load_b128 v[34:37], off, off offset:304
	ds_load_b128 v[2:5], v1 offset:624
	s_waitcnt vmcnt(10) lgkmcnt(1)
	v_mul_f64 v[143:144], v[131:132], v[8:9]
	v_mul_f64 v[8:9], v[133:134], v[8:9]
	ds_load_b128 v[139:142], v1 offset:640
	s_waitcnt vmcnt(9) lgkmcnt(1)
	v_mul_f64 v[149:150], v[2:3], v[12:13]
	v_mul_f64 v[12:13], v[4:5], v[12:13]
	v_fma_f64 v[133:134], v[133:134], v[6:7], v[143:144]
	v_fma_f64 v[131:132], v[131:132], v[6:7], -v[8:9]
	v_add_f64 v[143:144], v[145:146], 0
	v_add_f64 v[145:146], v[147:148], 0
	scratch_load_b128 v[6:9], off, off offset:320
	v_fma_f64 v[149:150], v[4:5], v[10:11], v[149:150]
	v_fma_f64 v[151:152], v[2:3], v[10:11], -v[12:13]
	scratch_load_b128 v[10:13], off, off offset:336
	ds_load_b128 v[2:5], v1 offset:656
	s_waitcnt vmcnt(10) lgkmcnt(1)
	v_mul_f64 v[147:148], v[139:140], v[16:17]
	v_mul_f64 v[16:17], v[141:142], v[16:17]
	v_add_f64 v[143:144], v[143:144], v[131:132]
	v_add_f64 v[145:146], v[145:146], v[133:134]
	s_waitcnt vmcnt(9) lgkmcnt(0)
	v_mul_f64 v[153:154], v[2:3], v[20:21]
	v_mul_f64 v[20:21], v[4:5], v[20:21]
	ds_load_b128 v[131:134], v1 offset:672
	v_fma_f64 v[141:142], v[141:142], v[14:15], v[147:148]
	v_fma_f64 v[139:140], v[139:140], v[14:15], -v[16:17]
	scratch_load_b128 v[14:17], off, off offset:352
	v_add_f64 v[143:144], v[143:144], v[151:152]
	v_add_f64 v[145:146], v[145:146], v[149:150]
	v_fma_f64 v[149:150], v[4:5], v[18:19], v[153:154]
	v_fma_f64 v[151:152], v[2:3], v[18:19], -v[20:21]
	scratch_load_b128 v[18:21], off, off offset:368
	ds_load_b128 v[2:5], v1 offset:688
	s_waitcnt vmcnt(10) lgkmcnt(1)
	v_mul_f64 v[147:148], v[131:132], v[24:25]
	v_mul_f64 v[24:25], v[133:134], v[24:25]
	s_waitcnt vmcnt(9) lgkmcnt(0)
	v_mul_f64 v[153:154], v[2:3], v[28:29]
	v_mul_f64 v[28:29], v[4:5], v[28:29]
	v_add_f64 v[143:144], v[143:144], v[139:140]
	v_add_f64 v[145:146], v[145:146], v[141:142]
	ds_load_b128 v[139:142], v1 offset:704
	v_fma_f64 v[133:134], v[133:134], v[22:23], v[147:148]
	v_fma_f64 v[131:132], v[131:132], v[22:23], -v[24:25]
	scratch_load_b128 v[22:25], off, off offset:384
	v_add_f64 v[143:144], v[143:144], v[151:152]
	v_add_f64 v[145:146], v[145:146], v[149:150]
	v_fma_f64 v[149:150], v[4:5], v[26:27], v[153:154]
	v_fma_f64 v[151:152], v[2:3], v[26:27], -v[28:29]
	scratch_load_b128 v[26:29], off, off offset:400
	ds_load_b128 v[2:5], v1 offset:720
	s_waitcnt vmcnt(10) lgkmcnt(1)
	v_mul_f64 v[147:148], v[139:140], v[32:33]
	v_mul_f64 v[32:33], v[141:142], v[32:33]
	s_waitcnt vmcnt(9) lgkmcnt(0)
	v_mul_f64 v[153:154], v[2:3], v[125:126]
	v_mul_f64 v[125:126], v[4:5], v[125:126]
	v_add_f64 v[143:144], v[143:144], v[131:132]
	v_add_f64 v[145:146], v[145:146], v[133:134]
	ds_load_b128 v[131:134], v1 offset:736
	v_fma_f64 v[141:142], v[141:142], v[30:31], v[147:148]
	v_fma_f64 v[139:140], v[139:140], v[30:31], -v[32:33]
	scratch_load_b128 v[30:33], off, off offset:416
	v_add_f64 v[143:144], v[143:144], v[151:152]
	v_add_f64 v[145:146], v[145:146], v[149:150]
	v_fma_f64 v[151:152], v[4:5], v[123:124], v[153:154]
	v_fma_f64 v[153:154], v[2:3], v[123:124], -v[125:126]
	scratch_load_b128 v[123:126], off, off offset:432
	ds_load_b128 v[2:5], v1 offset:752
	s_waitcnt vmcnt(9) lgkmcnt(1)
	v_mul_f64 v[147:148], v[131:132], v[137:138]
	v_mul_f64 v[149:150], v[133:134], v[137:138]
	v_add_f64 v[143:144], v[143:144], v[139:140]
	v_add_f64 v[141:142], v[145:146], v[141:142]
	ds_load_b128 v[137:140], v1 offset:768
	v_fma_f64 v[133:134], v[133:134], v[135:136], v[147:148]
	v_fma_f64 v[131:132], v[131:132], v[135:136], -v[149:150]
	s_waitcnt vmcnt(8) lgkmcnt(1)
	v_mul_f64 v[145:146], v[2:3], v[36:37]
	v_mul_f64 v[36:37], v[4:5], v[36:37]
	v_add_f64 v[135:136], v[143:144], v[153:154]
	v_add_f64 v[141:142], v[141:142], v[151:152]
	s_delay_alu instid0(VALU_DEP_4) | instskip(NEXT) | instid1(VALU_DEP_4)
	v_fma_f64 v[145:146], v[4:5], v[34:35], v[145:146]
	v_fma_f64 v[147:148], v[2:3], v[34:35], -v[36:37]
	ds_load_b128 v[2:5], v1 offset:784
	ds_load_b128 v[34:37], v1 offset:800
	s_waitcnt vmcnt(7) lgkmcnt(2)
	v_mul_f64 v[143:144], v[137:138], v[8:9]
	v_mul_f64 v[8:9], v[139:140], v[8:9]
	v_add_f64 v[131:132], v[135:136], v[131:132]
	v_add_f64 v[133:134], v[141:142], v[133:134]
	s_waitcnt vmcnt(6) lgkmcnt(1)
	v_mul_f64 v[135:136], v[2:3], v[12:13]
	v_mul_f64 v[12:13], v[4:5], v[12:13]
	v_fma_f64 v[139:140], v[139:140], v[6:7], v[143:144]
	v_fma_f64 v[6:7], v[137:138], v[6:7], -v[8:9]
	v_add_f64 v[8:9], v[131:132], v[147:148]
	v_add_f64 v[131:132], v[133:134], v[145:146]
	s_waitcnt vmcnt(5) lgkmcnt(0)
	v_mul_f64 v[133:134], v[34:35], v[16:17]
	v_mul_f64 v[16:17], v[36:37], v[16:17]
	v_fma_f64 v[135:136], v[4:5], v[10:11], v[135:136]
	v_fma_f64 v[10:11], v[2:3], v[10:11], -v[12:13]
	v_add_f64 v[12:13], v[8:9], v[6:7]
	v_add_f64 v[131:132], v[131:132], v[139:140]
	ds_load_b128 v[2:5], v1 offset:816
	ds_load_b128 v[6:9], v1 offset:832
	v_fma_f64 v[36:37], v[36:37], v[14:15], v[133:134]
	v_fma_f64 v[14:15], v[34:35], v[14:15], -v[16:17]
	s_waitcnt vmcnt(4) lgkmcnt(1)
	v_mul_f64 v[137:138], v[2:3], v[20:21]
	v_mul_f64 v[20:21], v[4:5], v[20:21]
	s_waitcnt vmcnt(3) lgkmcnt(0)
	v_mul_f64 v[16:17], v[6:7], v[24:25]
	v_mul_f64 v[24:25], v[8:9], v[24:25]
	v_add_f64 v[10:11], v[12:13], v[10:11]
	v_add_f64 v[12:13], v[131:132], v[135:136]
	v_fma_f64 v[34:35], v[4:5], v[18:19], v[137:138]
	v_fma_f64 v[18:19], v[2:3], v[18:19], -v[20:21]
	v_fma_f64 v[8:9], v[8:9], v[22:23], v[16:17]
	v_fma_f64 v[6:7], v[6:7], v[22:23], -v[24:25]
	v_add_f64 v[14:15], v[10:11], v[14:15]
	v_add_f64 v[20:21], v[12:13], v[36:37]
	ds_load_b128 v[2:5], v1 offset:848
	ds_load_b128 v[10:13], v1 offset:864
	s_waitcnt vmcnt(2) lgkmcnt(1)
	v_mul_f64 v[36:37], v[2:3], v[28:29]
	v_mul_f64 v[28:29], v[4:5], v[28:29]
	v_add_f64 v[14:15], v[14:15], v[18:19]
	v_add_f64 v[16:17], v[20:21], v[34:35]
	s_waitcnt vmcnt(1) lgkmcnt(0)
	v_mul_f64 v[18:19], v[10:11], v[32:33]
	v_mul_f64 v[20:21], v[12:13], v[32:33]
	v_fma_f64 v[22:23], v[4:5], v[26:27], v[36:37]
	v_fma_f64 v[24:25], v[2:3], v[26:27], -v[28:29]
	ds_load_b128 v[2:5], v1 offset:880
	v_add_f64 v[6:7], v[14:15], v[6:7]
	v_add_f64 v[8:9], v[16:17], v[8:9]
	v_fma_f64 v[12:13], v[12:13], v[30:31], v[18:19]
	v_fma_f64 v[10:11], v[10:11], v[30:31], -v[20:21]
	s_waitcnt vmcnt(0) lgkmcnt(0)
	v_mul_f64 v[14:15], v[2:3], v[125:126]
	v_mul_f64 v[16:17], v[4:5], v[125:126]
	v_add_f64 v[6:7], v[6:7], v[24:25]
	v_add_f64 v[8:9], v[8:9], v[22:23]
	s_delay_alu instid0(VALU_DEP_4) | instskip(NEXT) | instid1(VALU_DEP_4)
	v_fma_f64 v[4:5], v[4:5], v[123:124], v[14:15]
	v_fma_f64 v[2:3], v[2:3], v[123:124], -v[16:17]
	s_delay_alu instid0(VALU_DEP_4) | instskip(NEXT) | instid1(VALU_DEP_4)
	v_add_f64 v[6:7], v[6:7], v[10:11]
	v_add_f64 v[8:9], v[8:9], v[12:13]
	s_delay_alu instid0(VALU_DEP_2) | instskip(NEXT) | instid1(VALU_DEP_2)
	v_add_f64 v[2:3], v[6:7], v[2:3]
	v_add_f64 v[4:5], v[8:9], v[4:5]
	s_delay_alu instid0(VALU_DEP_2) | instskip(NEXT) | instid1(VALU_DEP_2)
	v_add_f64 v[2:3], v[127:128], -v[2:3]
	v_add_f64 v[4:5], v[129:130], -v[4:5]
	scratch_store_b128 off, v[2:5], off offset:128
	v_cmpx_lt_u32_e32 7, v94
	s_cbranch_execz .LBB27_167
; %bb.166:
	scratch_load_b128 v[5:8], v116, off
	v_mov_b32_e32 v2, v1
	v_mov_b32_e32 v3, v1
	;; [unrolled: 1-line block ×3, first 2 shown]
	scratch_store_b128 off, v[1:4], off offset:112
	s_waitcnt vmcnt(0)
	ds_store_b128 v122, v[5:8]
.LBB27_167:
	s_or_b32 exec_lo, exec_lo, s2
	s_waitcnt lgkmcnt(0)
	s_waitcnt_vscnt null, 0x0
	s_barrier
	buffer_gl0_inv
	s_clause 0x8
	scratch_load_b128 v[2:5], off, off offset:128
	scratch_load_b128 v[6:9], off, off offset:144
	;; [unrolled: 1-line block ×9, first 2 shown]
	ds_load_b128 v[123:126], v1 offset:576
	ds_load_b128 v[127:130], v1 offset:592
	s_clause 0x1
	scratch_load_b128 v[131:134], off, off offset:112
	scratch_load_b128 v[135:138], off, off offset:272
	s_mov_b32 s2, exec_lo
	s_waitcnt vmcnt(10) lgkmcnt(1)
	v_mul_f64 v[139:140], v[125:126], v[4:5]
	v_mul_f64 v[4:5], v[123:124], v[4:5]
	s_waitcnt vmcnt(9) lgkmcnt(0)
	v_mul_f64 v[143:144], v[127:128], v[8:9]
	v_mul_f64 v[8:9], v[129:130], v[8:9]
	s_delay_alu instid0(VALU_DEP_4) | instskip(NEXT) | instid1(VALU_DEP_4)
	v_fma_f64 v[145:146], v[123:124], v[2:3], -v[139:140]
	v_fma_f64 v[147:148], v[125:126], v[2:3], v[4:5]
	ds_load_b128 v[2:5], v1 offset:608
	ds_load_b128 v[139:142], v1 offset:624
	scratch_load_b128 v[123:126], off, off offset:288
	v_fma_f64 v[129:130], v[129:130], v[6:7], v[143:144]
	v_fma_f64 v[127:128], v[127:128], v[6:7], -v[8:9]
	scratch_load_b128 v[6:9], off, off offset:304
	s_waitcnt vmcnt(10) lgkmcnt(1)
	v_mul_f64 v[149:150], v[2:3], v[12:13]
	v_mul_f64 v[12:13], v[4:5], v[12:13]
	v_add_f64 v[143:144], v[145:146], 0
	v_add_f64 v[145:146], v[147:148], 0
	s_waitcnt vmcnt(9) lgkmcnt(0)
	v_mul_f64 v[147:148], v[139:140], v[16:17]
	v_mul_f64 v[16:17], v[141:142], v[16:17]
	v_fma_f64 v[149:150], v[4:5], v[10:11], v[149:150]
	v_fma_f64 v[151:152], v[2:3], v[10:11], -v[12:13]
	ds_load_b128 v[2:5], v1 offset:640
	scratch_load_b128 v[10:13], off, off offset:320
	v_add_f64 v[143:144], v[143:144], v[127:128]
	v_add_f64 v[145:146], v[145:146], v[129:130]
	ds_load_b128 v[127:130], v1 offset:656
	v_fma_f64 v[141:142], v[141:142], v[14:15], v[147:148]
	v_fma_f64 v[139:140], v[139:140], v[14:15], -v[16:17]
	scratch_load_b128 v[14:17], off, off offset:336
	s_waitcnt vmcnt(10) lgkmcnt(1)
	v_mul_f64 v[153:154], v[2:3], v[20:21]
	v_mul_f64 v[20:21], v[4:5], v[20:21]
	s_waitcnt vmcnt(9) lgkmcnt(0)
	v_mul_f64 v[147:148], v[127:128], v[24:25]
	v_mul_f64 v[24:25], v[129:130], v[24:25]
	v_add_f64 v[143:144], v[143:144], v[151:152]
	v_add_f64 v[145:146], v[145:146], v[149:150]
	v_fma_f64 v[149:150], v[4:5], v[18:19], v[153:154]
	v_fma_f64 v[151:152], v[2:3], v[18:19], -v[20:21]
	ds_load_b128 v[2:5], v1 offset:672
	scratch_load_b128 v[18:21], off, off offset:352
	v_fma_f64 v[129:130], v[129:130], v[22:23], v[147:148]
	v_fma_f64 v[127:128], v[127:128], v[22:23], -v[24:25]
	scratch_load_b128 v[22:25], off, off offset:368
	v_add_f64 v[143:144], v[143:144], v[139:140]
	v_add_f64 v[145:146], v[145:146], v[141:142]
	ds_load_b128 v[139:142], v1 offset:688
	s_waitcnt vmcnt(10) lgkmcnt(1)
	v_mul_f64 v[153:154], v[2:3], v[28:29]
	v_mul_f64 v[28:29], v[4:5], v[28:29]
	s_waitcnt vmcnt(9) lgkmcnt(0)
	v_mul_f64 v[147:148], v[139:140], v[32:33]
	v_mul_f64 v[32:33], v[141:142], v[32:33]
	v_add_f64 v[143:144], v[143:144], v[151:152]
	v_add_f64 v[145:146], v[145:146], v[149:150]
	v_fma_f64 v[149:150], v[4:5], v[26:27], v[153:154]
	v_fma_f64 v[151:152], v[2:3], v[26:27], -v[28:29]
	ds_load_b128 v[2:5], v1 offset:704
	scratch_load_b128 v[26:29], off, off offset:384
	v_fma_f64 v[141:142], v[141:142], v[30:31], v[147:148]
	v_fma_f64 v[139:140], v[139:140], v[30:31], -v[32:33]
	scratch_load_b128 v[30:33], off, off offset:400
	v_add_f64 v[143:144], v[143:144], v[127:128]
	v_add_f64 v[145:146], v[145:146], v[129:130]
	ds_load_b128 v[127:130], v1 offset:720
	s_waitcnt vmcnt(10) lgkmcnt(1)
	v_mul_f64 v[153:154], v[2:3], v[36:37]
	v_mul_f64 v[36:37], v[4:5], v[36:37]
	s_waitcnt vmcnt(8) lgkmcnt(0)
	v_mul_f64 v[147:148], v[127:128], v[137:138]
	v_add_f64 v[143:144], v[143:144], v[151:152]
	v_add_f64 v[145:146], v[145:146], v[149:150]
	v_mul_f64 v[149:150], v[129:130], v[137:138]
	v_fma_f64 v[151:152], v[4:5], v[34:35], v[153:154]
	v_fma_f64 v[153:154], v[2:3], v[34:35], -v[36:37]
	ds_load_b128 v[2:5], v1 offset:736
	scratch_load_b128 v[34:37], off, off offset:416
	v_fma_f64 v[129:130], v[129:130], v[135:136], v[147:148]
	v_add_f64 v[143:144], v[143:144], v[139:140]
	v_add_f64 v[141:142], v[145:146], v[141:142]
	ds_load_b128 v[137:140], v1 offset:752
	v_fma_f64 v[135:136], v[127:128], v[135:136], -v[149:150]
	s_waitcnt vmcnt(8) lgkmcnt(1)
	v_mul_f64 v[145:146], v[2:3], v[125:126]
	v_mul_f64 v[155:156], v[4:5], v[125:126]
	scratch_load_b128 v[125:128], off, off offset:432
	s_waitcnt vmcnt(8) lgkmcnt(0)
	v_mul_f64 v[147:148], v[137:138], v[8:9]
	v_mul_f64 v[8:9], v[139:140], v[8:9]
	v_add_f64 v[143:144], v[143:144], v[153:154]
	v_add_f64 v[141:142], v[141:142], v[151:152]
	v_fma_f64 v[145:146], v[4:5], v[123:124], v[145:146]
	v_fma_f64 v[123:124], v[2:3], v[123:124], -v[155:156]
	v_fma_f64 v[139:140], v[139:140], v[6:7], v[147:148]
	v_fma_f64 v[6:7], v[137:138], v[6:7], -v[8:9]
	v_add_f64 v[135:136], v[143:144], v[135:136]
	v_add_f64 v[129:130], v[141:142], v[129:130]
	ds_load_b128 v[2:5], v1 offset:768
	ds_load_b128 v[141:144], v1 offset:784
	s_waitcnt vmcnt(7) lgkmcnt(1)
	v_mul_f64 v[149:150], v[2:3], v[12:13]
	v_mul_f64 v[12:13], v[4:5], v[12:13]
	v_add_f64 v[8:9], v[135:136], v[123:124]
	v_add_f64 v[123:124], v[129:130], v[145:146]
	s_waitcnt vmcnt(6) lgkmcnt(0)
	v_mul_f64 v[129:130], v[141:142], v[16:17]
	v_mul_f64 v[16:17], v[143:144], v[16:17]
	v_fma_f64 v[135:136], v[4:5], v[10:11], v[149:150]
	v_fma_f64 v[10:11], v[2:3], v[10:11], -v[12:13]
	v_add_f64 v[12:13], v[8:9], v[6:7]
	v_add_f64 v[123:124], v[123:124], v[139:140]
	ds_load_b128 v[2:5], v1 offset:800
	ds_load_b128 v[6:9], v1 offset:816
	v_fma_f64 v[129:130], v[143:144], v[14:15], v[129:130]
	v_fma_f64 v[14:15], v[141:142], v[14:15], -v[16:17]
	s_waitcnt vmcnt(5) lgkmcnt(1)
	v_mul_f64 v[137:138], v[2:3], v[20:21]
	v_mul_f64 v[20:21], v[4:5], v[20:21]
	s_waitcnt vmcnt(4) lgkmcnt(0)
	v_mul_f64 v[16:17], v[6:7], v[24:25]
	v_mul_f64 v[24:25], v[8:9], v[24:25]
	v_add_f64 v[10:11], v[12:13], v[10:11]
	v_add_f64 v[12:13], v[123:124], v[135:136]
	v_fma_f64 v[123:124], v[4:5], v[18:19], v[137:138]
	v_fma_f64 v[18:19], v[2:3], v[18:19], -v[20:21]
	v_fma_f64 v[8:9], v[8:9], v[22:23], v[16:17]
	v_fma_f64 v[6:7], v[6:7], v[22:23], -v[24:25]
	v_add_f64 v[14:15], v[10:11], v[14:15]
	v_add_f64 v[20:21], v[12:13], v[129:130]
	ds_load_b128 v[2:5], v1 offset:832
	ds_load_b128 v[10:13], v1 offset:848
	s_waitcnt vmcnt(3) lgkmcnt(1)
	v_mul_f64 v[129:130], v[2:3], v[28:29]
	v_mul_f64 v[28:29], v[4:5], v[28:29]
	v_add_f64 v[14:15], v[14:15], v[18:19]
	v_add_f64 v[16:17], v[20:21], v[123:124]
	s_waitcnt vmcnt(2) lgkmcnt(0)
	v_mul_f64 v[18:19], v[10:11], v[32:33]
	v_mul_f64 v[20:21], v[12:13], v[32:33]
	v_fma_f64 v[22:23], v[4:5], v[26:27], v[129:130]
	v_fma_f64 v[24:25], v[2:3], v[26:27], -v[28:29]
	v_add_f64 v[14:15], v[14:15], v[6:7]
	v_add_f64 v[16:17], v[16:17], v[8:9]
	ds_load_b128 v[2:5], v1 offset:864
	ds_load_b128 v[6:9], v1 offset:880
	v_fma_f64 v[12:13], v[12:13], v[30:31], v[18:19]
	v_fma_f64 v[10:11], v[10:11], v[30:31], -v[20:21]
	s_waitcnt vmcnt(1) lgkmcnt(1)
	v_mul_f64 v[26:27], v[2:3], v[36:37]
	v_mul_f64 v[28:29], v[4:5], v[36:37]
	s_waitcnt vmcnt(0) lgkmcnt(0)
	v_mul_f64 v[18:19], v[6:7], v[127:128]
	v_add_f64 v[14:15], v[14:15], v[24:25]
	v_add_f64 v[16:17], v[16:17], v[22:23]
	v_mul_f64 v[20:21], v[8:9], v[127:128]
	v_fma_f64 v[4:5], v[4:5], v[34:35], v[26:27]
	v_fma_f64 v[1:2], v[2:3], v[34:35], -v[28:29]
	v_fma_f64 v[8:9], v[8:9], v[125:126], v[18:19]
	v_add_f64 v[10:11], v[14:15], v[10:11]
	v_add_f64 v[12:13], v[16:17], v[12:13]
	v_fma_f64 v[6:7], v[6:7], v[125:126], -v[20:21]
	s_delay_alu instid0(VALU_DEP_3) | instskip(NEXT) | instid1(VALU_DEP_3)
	v_add_f64 v[1:2], v[10:11], v[1:2]
	v_add_f64 v[3:4], v[12:13], v[4:5]
	s_delay_alu instid0(VALU_DEP_2) | instskip(NEXT) | instid1(VALU_DEP_2)
	v_add_f64 v[1:2], v[1:2], v[6:7]
	v_add_f64 v[3:4], v[3:4], v[8:9]
	s_delay_alu instid0(VALU_DEP_2) | instskip(NEXT) | instid1(VALU_DEP_2)
	v_add_f64 v[1:2], v[131:132], -v[1:2]
	v_add_f64 v[3:4], v[133:134], -v[3:4]
	scratch_store_b128 off, v[1:4], off offset:112
	v_cmpx_lt_u32_e32 6, v94
	s_cbranch_execz .LBB27_169
; %bb.168:
	scratch_load_b128 v[1:4], v115, off
	v_mov_b32_e32 v5, 0
	s_delay_alu instid0(VALU_DEP_1)
	v_mov_b32_e32 v6, v5
	v_mov_b32_e32 v7, v5
	;; [unrolled: 1-line block ×3, first 2 shown]
	scratch_store_b128 off, v[5:8], off offset:96
	s_waitcnt vmcnt(0)
	ds_store_b128 v122, v[1:4]
.LBB27_169:
	s_or_b32 exec_lo, exec_lo, s2
	s_waitcnt lgkmcnt(0)
	s_waitcnt_vscnt null, 0x0
	s_barrier
	buffer_gl0_inv
	s_clause 0x7
	scratch_load_b128 v[2:5], off, off offset:112
	scratch_load_b128 v[6:9], off, off offset:128
	;; [unrolled: 1-line block ×8, first 2 shown]
	v_mov_b32_e32 v1, 0
	s_mov_b32 s2, exec_lo
	ds_load_b128 v[34:37], v1 offset:560
	s_clause 0x1
	scratch_load_b128 v[123:126], off, off offset:240
	scratch_load_b128 v[127:130], off, off offset:96
	ds_load_b128 v[131:134], v1 offset:576
	scratch_load_b128 v[135:138], off, off offset:256
	s_waitcnt vmcnt(10) lgkmcnt(1)
	v_mul_f64 v[139:140], v[36:37], v[4:5]
	v_mul_f64 v[4:5], v[34:35], v[4:5]
	s_delay_alu instid0(VALU_DEP_2) | instskip(NEXT) | instid1(VALU_DEP_2)
	v_fma_f64 v[145:146], v[34:35], v[2:3], -v[139:140]
	v_fma_f64 v[147:148], v[36:37], v[2:3], v[4:5]
	scratch_load_b128 v[34:37], off, off offset:272
	ds_load_b128 v[2:5], v1 offset:592
	s_waitcnt vmcnt(10) lgkmcnt(1)
	v_mul_f64 v[143:144], v[131:132], v[8:9]
	v_mul_f64 v[8:9], v[133:134], v[8:9]
	ds_load_b128 v[139:142], v1 offset:608
	s_waitcnt vmcnt(9) lgkmcnt(1)
	v_mul_f64 v[149:150], v[2:3], v[12:13]
	v_mul_f64 v[12:13], v[4:5], v[12:13]
	v_fma_f64 v[133:134], v[133:134], v[6:7], v[143:144]
	v_fma_f64 v[131:132], v[131:132], v[6:7], -v[8:9]
	v_add_f64 v[143:144], v[145:146], 0
	v_add_f64 v[145:146], v[147:148], 0
	scratch_load_b128 v[6:9], off, off offset:288
	v_fma_f64 v[149:150], v[4:5], v[10:11], v[149:150]
	v_fma_f64 v[151:152], v[2:3], v[10:11], -v[12:13]
	scratch_load_b128 v[10:13], off, off offset:304
	ds_load_b128 v[2:5], v1 offset:624
	s_waitcnt vmcnt(10) lgkmcnt(1)
	v_mul_f64 v[147:148], v[139:140], v[16:17]
	v_mul_f64 v[16:17], v[141:142], v[16:17]
	v_add_f64 v[143:144], v[143:144], v[131:132]
	v_add_f64 v[145:146], v[145:146], v[133:134]
	s_waitcnt vmcnt(9) lgkmcnt(0)
	v_mul_f64 v[153:154], v[2:3], v[20:21]
	v_mul_f64 v[20:21], v[4:5], v[20:21]
	ds_load_b128 v[131:134], v1 offset:640
	v_fma_f64 v[141:142], v[141:142], v[14:15], v[147:148]
	v_fma_f64 v[139:140], v[139:140], v[14:15], -v[16:17]
	scratch_load_b128 v[14:17], off, off offset:320
	v_add_f64 v[143:144], v[143:144], v[151:152]
	v_add_f64 v[145:146], v[145:146], v[149:150]
	v_fma_f64 v[149:150], v[4:5], v[18:19], v[153:154]
	v_fma_f64 v[151:152], v[2:3], v[18:19], -v[20:21]
	scratch_load_b128 v[18:21], off, off offset:336
	ds_load_b128 v[2:5], v1 offset:656
	s_waitcnt vmcnt(10) lgkmcnt(1)
	v_mul_f64 v[147:148], v[131:132], v[24:25]
	v_mul_f64 v[24:25], v[133:134], v[24:25]
	s_waitcnt vmcnt(9) lgkmcnt(0)
	v_mul_f64 v[153:154], v[2:3], v[28:29]
	v_mul_f64 v[28:29], v[4:5], v[28:29]
	v_add_f64 v[143:144], v[143:144], v[139:140]
	v_add_f64 v[145:146], v[145:146], v[141:142]
	ds_load_b128 v[139:142], v1 offset:672
	v_fma_f64 v[133:134], v[133:134], v[22:23], v[147:148]
	v_fma_f64 v[131:132], v[131:132], v[22:23], -v[24:25]
	scratch_load_b128 v[22:25], off, off offset:352
	v_add_f64 v[143:144], v[143:144], v[151:152]
	v_add_f64 v[145:146], v[145:146], v[149:150]
	v_fma_f64 v[149:150], v[4:5], v[26:27], v[153:154]
	v_fma_f64 v[151:152], v[2:3], v[26:27], -v[28:29]
	scratch_load_b128 v[26:29], off, off offset:368
	ds_load_b128 v[2:5], v1 offset:688
	s_waitcnt vmcnt(10) lgkmcnt(1)
	v_mul_f64 v[147:148], v[139:140], v[32:33]
	v_mul_f64 v[32:33], v[141:142], v[32:33]
	s_waitcnt vmcnt(9) lgkmcnt(0)
	v_mul_f64 v[153:154], v[2:3], v[125:126]
	v_mul_f64 v[125:126], v[4:5], v[125:126]
	v_add_f64 v[143:144], v[143:144], v[131:132]
	v_add_f64 v[145:146], v[145:146], v[133:134]
	ds_load_b128 v[131:134], v1 offset:704
	v_fma_f64 v[141:142], v[141:142], v[30:31], v[147:148]
	v_fma_f64 v[139:140], v[139:140], v[30:31], -v[32:33]
	scratch_load_b128 v[30:33], off, off offset:384
	v_add_f64 v[143:144], v[143:144], v[151:152]
	v_add_f64 v[145:146], v[145:146], v[149:150]
	v_fma_f64 v[151:152], v[4:5], v[123:124], v[153:154]
	v_fma_f64 v[153:154], v[2:3], v[123:124], -v[125:126]
	scratch_load_b128 v[123:126], off, off offset:400
	ds_load_b128 v[2:5], v1 offset:720
	s_waitcnt vmcnt(9) lgkmcnt(1)
	v_mul_f64 v[147:148], v[131:132], v[137:138]
	v_mul_f64 v[149:150], v[133:134], v[137:138]
	v_add_f64 v[143:144], v[143:144], v[139:140]
	v_add_f64 v[141:142], v[145:146], v[141:142]
	ds_load_b128 v[137:140], v1 offset:736
	v_fma_f64 v[147:148], v[133:134], v[135:136], v[147:148]
	v_fma_f64 v[135:136], v[131:132], v[135:136], -v[149:150]
	scratch_load_b128 v[131:134], off, off offset:416
	s_waitcnt vmcnt(9) lgkmcnt(1)
	v_mul_f64 v[145:146], v[2:3], v[36:37]
	v_mul_f64 v[36:37], v[4:5], v[36:37]
	v_add_f64 v[143:144], v[143:144], v[153:154]
	v_add_f64 v[141:142], v[141:142], v[151:152]
	s_delay_alu instid0(VALU_DEP_4) | instskip(NEXT) | instid1(VALU_DEP_4)
	v_fma_f64 v[145:146], v[4:5], v[34:35], v[145:146]
	v_fma_f64 v[151:152], v[2:3], v[34:35], -v[36:37]
	scratch_load_b128 v[34:37], off, off offset:432
	ds_load_b128 v[2:5], v1 offset:752
	s_waitcnt vmcnt(9) lgkmcnt(1)
	v_mul_f64 v[149:150], v[137:138], v[8:9]
	v_mul_f64 v[8:9], v[139:140], v[8:9]
	s_waitcnt vmcnt(8) lgkmcnt(0)
	v_mul_f64 v[153:154], v[2:3], v[12:13]
	v_mul_f64 v[12:13], v[4:5], v[12:13]
	v_add_f64 v[135:136], v[143:144], v[135:136]
	v_add_f64 v[147:148], v[141:142], v[147:148]
	ds_load_b128 v[141:144], v1 offset:768
	v_fma_f64 v[139:140], v[139:140], v[6:7], v[149:150]
	v_fma_f64 v[6:7], v[137:138], v[6:7], -v[8:9]
	v_add_f64 v[8:9], v[135:136], v[151:152]
	v_add_f64 v[135:136], v[147:148], v[145:146]
	s_waitcnt vmcnt(7) lgkmcnt(0)
	v_mul_f64 v[137:138], v[141:142], v[16:17]
	v_mul_f64 v[16:17], v[143:144], v[16:17]
	v_fma_f64 v[145:146], v[4:5], v[10:11], v[153:154]
	v_fma_f64 v[10:11], v[2:3], v[10:11], -v[12:13]
	v_add_f64 v[12:13], v[8:9], v[6:7]
	v_add_f64 v[135:136], v[135:136], v[139:140]
	ds_load_b128 v[2:5], v1 offset:784
	ds_load_b128 v[6:9], v1 offset:800
	v_fma_f64 v[137:138], v[143:144], v[14:15], v[137:138]
	v_fma_f64 v[14:15], v[141:142], v[14:15], -v[16:17]
	s_waitcnt vmcnt(6) lgkmcnt(1)
	v_mul_f64 v[139:140], v[2:3], v[20:21]
	v_mul_f64 v[20:21], v[4:5], v[20:21]
	s_waitcnt vmcnt(5) lgkmcnt(0)
	v_mul_f64 v[16:17], v[6:7], v[24:25]
	v_mul_f64 v[24:25], v[8:9], v[24:25]
	v_add_f64 v[10:11], v[12:13], v[10:11]
	v_add_f64 v[12:13], v[135:136], v[145:146]
	v_fma_f64 v[135:136], v[4:5], v[18:19], v[139:140]
	v_fma_f64 v[18:19], v[2:3], v[18:19], -v[20:21]
	v_fma_f64 v[8:9], v[8:9], v[22:23], v[16:17]
	v_fma_f64 v[6:7], v[6:7], v[22:23], -v[24:25]
	v_add_f64 v[14:15], v[10:11], v[14:15]
	v_add_f64 v[20:21], v[12:13], v[137:138]
	ds_load_b128 v[2:5], v1 offset:816
	ds_load_b128 v[10:13], v1 offset:832
	s_waitcnt vmcnt(4) lgkmcnt(1)
	v_mul_f64 v[137:138], v[2:3], v[28:29]
	v_mul_f64 v[28:29], v[4:5], v[28:29]
	v_add_f64 v[14:15], v[14:15], v[18:19]
	v_add_f64 v[16:17], v[20:21], v[135:136]
	s_waitcnt vmcnt(3) lgkmcnt(0)
	v_mul_f64 v[18:19], v[10:11], v[32:33]
	v_mul_f64 v[20:21], v[12:13], v[32:33]
	v_fma_f64 v[22:23], v[4:5], v[26:27], v[137:138]
	v_fma_f64 v[24:25], v[2:3], v[26:27], -v[28:29]
	v_add_f64 v[14:15], v[14:15], v[6:7]
	v_add_f64 v[16:17], v[16:17], v[8:9]
	ds_load_b128 v[2:5], v1 offset:848
	ds_load_b128 v[6:9], v1 offset:864
	v_fma_f64 v[12:13], v[12:13], v[30:31], v[18:19]
	v_fma_f64 v[10:11], v[10:11], v[30:31], -v[20:21]
	s_waitcnt vmcnt(2) lgkmcnt(1)
	v_mul_f64 v[26:27], v[2:3], v[125:126]
	v_mul_f64 v[28:29], v[4:5], v[125:126]
	s_waitcnt vmcnt(1) lgkmcnt(0)
	v_mul_f64 v[18:19], v[6:7], v[133:134]
	v_mul_f64 v[20:21], v[8:9], v[133:134]
	v_add_f64 v[14:15], v[14:15], v[24:25]
	v_add_f64 v[16:17], v[16:17], v[22:23]
	v_fma_f64 v[22:23], v[4:5], v[123:124], v[26:27]
	v_fma_f64 v[24:25], v[2:3], v[123:124], -v[28:29]
	ds_load_b128 v[2:5], v1 offset:880
	v_fma_f64 v[8:9], v[8:9], v[131:132], v[18:19]
	v_fma_f64 v[6:7], v[6:7], v[131:132], -v[20:21]
	v_add_f64 v[10:11], v[14:15], v[10:11]
	v_add_f64 v[12:13], v[16:17], v[12:13]
	s_waitcnt vmcnt(0) lgkmcnt(0)
	v_mul_f64 v[14:15], v[2:3], v[36:37]
	v_mul_f64 v[16:17], v[4:5], v[36:37]
	s_delay_alu instid0(VALU_DEP_4) | instskip(NEXT) | instid1(VALU_DEP_4)
	v_add_f64 v[10:11], v[10:11], v[24:25]
	v_add_f64 v[12:13], v[12:13], v[22:23]
	s_delay_alu instid0(VALU_DEP_4) | instskip(NEXT) | instid1(VALU_DEP_4)
	v_fma_f64 v[4:5], v[4:5], v[34:35], v[14:15]
	v_fma_f64 v[2:3], v[2:3], v[34:35], -v[16:17]
	s_delay_alu instid0(VALU_DEP_4) | instskip(NEXT) | instid1(VALU_DEP_4)
	v_add_f64 v[6:7], v[10:11], v[6:7]
	v_add_f64 v[8:9], v[12:13], v[8:9]
	s_delay_alu instid0(VALU_DEP_2) | instskip(NEXT) | instid1(VALU_DEP_2)
	v_add_f64 v[2:3], v[6:7], v[2:3]
	v_add_f64 v[4:5], v[8:9], v[4:5]
	s_delay_alu instid0(VALU_DEP_2) | instskip(NEXT) | instid1(VALU_DEP_2)
	v_add_f64 v[2:3], v[127:128], -v[2:3]
	v_add_f64 v[4:5], v[129:130], -v[4:5]
	scratch_store_b128 off, v[2:5], off offset:96
	v_cmpx_lt_u32_e32 5, v94
	s_cbranch_execz .LBB27_171
; %bb.170:
	scratch_load_b128 v[5:8], v117, off
	v_mov_b32_e32 v2, v1
	v_mov_b32_e32 v3, v1
	;; [unrolled: 1-line block ×3, first 2 shown]
	scratch_store_b128 off, v[1:4], off offset:80
	s_waitcnt vmcnt(0)
	ds_store_b128 v122, v[5:8]
.LBB27_171:
	s_or_b32 exec_lo, exec_lo, s2
	s_waitcnt lgkmcnt(0)
	s_waitcnt_vscnt null, 0x0
	s_barrier
	buffer_gl0_inv
	s_clause 0x8
	scratch_load_b128 v[2:5], off, off offset:96
	scratch_load_b128 v[6:9], off, off offset:112
	scratch_load_b128 v[10:13], off, off offset:128
	scratch_load_b128 v[14:17], off, off offset:144
	scratch_load_b128 v[18:21], off, off offset:160
	scratch_load_b128 v[22:25], off, off offset:176
	scratch_load_b128 v[26:29], off, off offset:192
	scratch_load_b128 v[30:33], off, off offset:208
	scratch_load_b128 v[34:37], off, off offset:224
	ds_load_b128 v[123:126], v1 offset:544
	ds_load_b128 v[127:130], v1 offset:560
	s_clause 0x1
	scratch_load_b128 v[131:134], off, off offset:80
	scratch_load_b128 v[135:138], off, off offset:240
	s_mov_b32 s2, exec_lo
	s_waitcnt vmcnt(10) lgkmcnt(1)
	v_mul_f64 v[139:140], v[125:126], v[4:5]
	v_mul_f64 v[4:5], v[123:124], v[4:5]
	s_waitcnt vmcnt(9) lgkmcnt(0)
	v_mul_f64 v[143:144], v[127:128], v[8:9]
	v_mul_f64 v[8:9], v[129:130], v[8:9]
	s_delay_alu instid0(VALU_DEP_4) | instskip(NEXT) | instid1(VALU_DEP_4)
	v_fma_f64 v[145:146], v[123:124], v[2:3], -v[139:140]
	v_fma_f64 v[147:148], v[125:126], v[2:3], v[4:5]
	ds_load_b128 v[2:5], v1 offset:576
	ds_load_b128 v[139:142], v1 offset:592
	scratch_load_b128 v[123:126], off, off offset:256
	v_fma_f64 v[129:130], v[129:130], v[6:7], v[143:144]
	v_fma_f64 v[127:128], v[127:128], v[6:7], -v[8:9]
	scratch_load_b128 v[6:9], off, off offset:272
	s_waitcnt vmcnt(10) lgkmcnt(1)
	v_mul_f64 v[149:150], v[2:3], v[12:13]
	v_mul_f64 v[12:13], v[4:5], v[12:13]
	v_add_f64 v[143:144], v[145:146], 0
	v_add_f64 v[145:146], v[147:148], 0
	s_waitcnt vmcnt(9) lgkmcnt(0)
	v_mul_f64 v[147:148], v[139:140], v[16:17]
	v_mul_f64 v[16:17], v[141:142], v[16:17]
	v_fma_f64 v[149:150], v[4:5], v[10:11], v[149:150]
	v_fma_f64 v[151:152], v[2:3], v[10:11], -v[12:13]
	ds_load_b128 v[2:5], v1 offset:608
	scratch_load_b128 v[10:13], off, off offset:288
	v_add_f64 v[143:144], v[143:144], v[127:128]
	v_add_f64 v[145:146], v[145:146], v[129:130]
	ds_load_b128 v[127:130], v1 offset:624
	v_fma_f64 v[141:142], v[141:142], v[14:15], v[147:148]
	v_fma_f64 v[139:140], v[139:140], v[14:15], -v[16:17]
	scratch_load_b128 v[14:17], off, off offset:304
	s_waitcnt vmcnt(10) lgkmcnt(1)
	v_mul_f64 v[153:154], v[2:3], v[20:21]
	v_mul_f64 v[20:21], v[4:5], v[20:21]
	s_waitcnt vmcnt(9) lgkmcnt(0)
	v_mul_f64 v[147:148], v[127:128], v[24:25]
	v_mul_f64 v[24:25], v[129:130], v[24:25]
	v_add_f64 v[143:144], v[143:144], v[151:152]
	v_add_f64 v[145:146], v[145:146], v[149:150]
	v_fma_f64 v[149:150], v[4:5], v[18:19], v[153:154]
	v_fma_f64 v[151:152], v[2:3], v[18:19], -v[20:21]
	ds_load_b128 v[2:5], v1 offset:640
	scratch_load_b128 v[18:21], off, off offset:320
	v_fma_f64 v[129:130], v[129:130], v[22:23], v[147:148]
	v_fma_f64 v[127:128], v[127:128], v[22:23], -v[24:25]
	scratch_load_b128 v[22:25], off, off offset:336
	v_add_f64 v[143:144], v[143:144], v[139:140]
	v_add_f64 v[145:146], v[145:146], v[141:142]
	ds_load_b128 v[139:142], v1 offset:656
	s_waitcnt vmcnt(10) lgkmcnt(1)
	v_mul_f64 v[153:154], v[2:3], v[28:29]
	v_mul_f64 v[28:29], v[4:5], v[28:29]
	s_waitcnt vmcnt(9) lgkmcnt(0)
	v_mul_f64 v[147:148], v[139:140], v[32:33]
	v_mul_f64 v[32:33], v[141:142], v[32:33]
	v_add_f64 v[143:144], v[143:144], v[151:152]
	v_add_f64 v[145:146], v[145:146], v[149:150]
	v_fma_f64 v[149:150], v[4:5], v[26:27], v[153:154]
	v_fma_f64 v[151:152], v[2:3], v[26:27], -v[28:29]
	ds_load_b128 v[2:5], v1 offset:672
	scratch_load_b128 v[26:29], off, off offset:352
	v_fma_f64 v[141:142], v[141:142], v[30:31], v[147:148]
	v_fma_f64 v[139:140], v[139:140], v[30:31], -v[32:33]
	scratch_load_b128 v[30:33], off, off offset:368
	v_add_f64 v[143:144], v[143:144], v[127:128]
	v_add_f64 v[145:146], v[145:146], v[129:130]
	ds_load_b128 v[127:130], v1 offset:688
	s_waitcnt vmcnt(10) lgkmcnt(1)
	v_mul_f64 v[153:154], v[2:3], v[36:37]
	v_mul_f64 v[36:37], v[4:5], v[36:37]
	s_waitcnt vmcnt(8) lgkmcnt(0)
	v_mul_f64 v[147:148], v[127:128], v[137:138]
	v_add_f64 v[143:144], v[143:144], v[151:152]
	v_add_f64 v[145:146], v[145:146], v[149:150]
	v_mul_f64 v[149:150], v[129:130], v[137:138]
	v_fma_f64 v[151:152], v[4:5], v[34:35], v[153:154]
	v_fma_f64 v[153:154], v[2:3], v[34:35], -v[36:37]
	ds_load_b128 v[2:5], v1 offset:704
	scratch_load_b128 v[34:37], off, off offset:384
	v_fma_f64 v[129:130], v[129:130], v[135:136], v[147:148]
	v_add_f64 v[143:144], v[143:144], v[139:140]
	v_add_f64 v[141:142], v[145:146], v[141:142]
	ds_load_b128 v[137:140], v1 offset:720
	v_fma_f64 v[135:136], v[127:128], v[135:136], -v[149:150]
	s_waitcnt vmcnt(8) lgkmcnt(1)
	v_mul_f64 v[145:146], v[2:3], v[125:126]
	v_mul_f64 v[155:156], v[4:5], v[125:126]
	scratch_load_b128 v[125:128], off, off offset:400
	s_waitcnt vmcnt(8) lgkmcnt(0)
	v_mul_f64 v[149:150], v[137:138], v[8:9]
	v_mul_f64 v[8:9], v[139:140], v[8:9]
	v_add_f64 v[143:144], v[143:144], v[153:154]
	v_add_f64 v[141:142], v[141:142], v[151:152]
	v_fma_f64 v[151:152], v[4:5], v[123:124], v[145:146]
	v_fma_f64 v[123:124], v[2:3], v[123:124], -v[155:156]
	ds_load_b128 v[2:5], v1 offset:736
	ds_load_b128 v[145:148], v1 offset:752
	v_fma_f64 v[139:140], v[139:140], v[6:7], v[149:150]
	v_fma_f64 v[137:138], v[137:138], v[6:7], -v[8:9]
	scratch_load_b128 v[6:9], off, off offset:432
	v_add_f64 v[135:136], v[143:144], v[135:136]
	v_add_f64 v[129:130], v[141:142], v[129:130]
	scratch_load_b128 v[141:144], off, off offset:416
	s_waitcnt vmcnt(9) lgkmcnt(1)
	v_mul_f64 v[153:154], v[2:3], v[12:13]
	v_mul_f64 v[12:13], v[4:5], v[12:13]
	v_add_f64 v[123:124], v[135:136], v[123:124]
	v_add_f64 v[129:130], v[129:130], v[151:152]
	s_waitcnt vmcnt(8) lgkmcnt(0)
	v_mul_f64 v[135:136], v[145:146], v[16:17]
	v_mul_f64 v[16:17], v[147:148], v[16:17]
	v_fma_f64 v[149:150], v[4:5], v[10:11], v[153:154]
	v_fma_f64 v[151:152], v[2:3], v[10:11], -v[12:13]
	ds_load_b128 v[2:5], v1 offset:768
	ds_load_b128 v[10:13], v1 offset:784
	v_add_f64 v[123:124], v[123:124], v[137:138]
	v_add_f64 v[129:130], v[129:130], v[139:140]
	s_waitcnt vmcnt(7) lgkmcnt(1)
	v_mul_f64 v[137:138], v[2:3], v[20:21]
	v_mul_f64 v[20:21], v[4:5], v[20:21]
	v_fma_f64 v[135:136], v[147:148], v[14:15], v[135:136]
	v_fma_f64 v[14:15], v[145:146], v[14:15], -v[16:17]
	v_add_f64 v[16:17], v[123:124], v[151:152]
	v_add_f64 v[123:124], v[129:130], v[149:150]
	s_waitcnt vmcnt(6) lgkmcnt(0)
	v_mul_f64 v[129:130], v[10:11], v[24:25]
	v_mul_f64 v[24:25], v[12:13], v[24:25]
	v_fma_f64 v[137:138], v[4:5], v[18:19], v[137:138]
	v_fma_f64 v[18:19], v[2:3], v[18:19], -v[20:21]
	v_add_f64 v[20:21], v[16:17], v[14:15]
	v_add_f64 v[123:124], v[123:124], v[135:136]
	ds_load_b128 v[2:5], v1 offset:800
	ds_load_b128 v[14:17], v1 offset:816
	v_fma_f64 v[12:13], v[12:13], v[22:23], v[129:130]
	v_fma_f64 v[10:11], v[10:11], v[22:23], -v[24:25]
	s_waitcnt vmcnt(5) lgkmcnt(1)
	v_mul_f64 v[135:136], v[2:3], v[28:29]
	v_mul_f64 v[28:29], v[4:5], v[28:29]
	s_waitcnt vmcnt(4) lgkmcnt(0)
	v_mul_f64 v[22:23], v[14:15], v[32:33]
	v_mul_f64 v[24:25], v[16:17], v[32:33]
	v_add_f64 v[18:19], v[20:21], v[18:19]
	v_add_f64 v[20:21], v[123:124], v[137:138]
	v_fma_f64 v[32:33], v[4:5], v[26:27], v[135:136]
	v_fma_f64 v[26:27], v[2:3], v[26:27], -v[28:29]
	v_fma_f64 v[16:17], v[16:17], v[30:31], v[22:23]
	v_fma_f64 v[14:15], v[14:15], v[30:31], -v[24:25]
	v_add_f64 v[18:19], v[18:19], v[10:11]
	v_add_f64 v[20:21], v[20:21], v[12:13]
	ds_load_b128 v[2:5], v1 offset:832
	ds_load_b128 v[10:13], v1 offset:848
	s_waitcnt vmcnt(3) lgkmcnt(1)
	v_mul_f64 v[28:29], v[2:3], v[36:37]
	v_mul_f64 v[36:37], v[4:5], v[36:37]
	s_waitcnt vmcnt(2) lgkmcnt(0)
	v_mul_f64 v[22:23], v[10:11], v[127:128]
	v_add_f64 v[18:19], v[18:19], v[26:27]
	v_add_f64 v[20:21], v[20:21], v[32:33]
	v_mul_f64 v[24:25], v[12:13], v[127:128]
	v_fma_f64 v[26:27], v[4:5], v[34:35], v[28:29]
	v_fma_f64 v[28:29], v[2:3], v[34:35], -v[36:37]
	v_fma_f64 v[12:13], v[12:13], v[125:126], v[22:23]
	v_add_f64 v[18:19], v[18:19], v[14:15]
	v_add_f64 v[20:21], v[20:21], v[16:17]
	ds_load_b128 v[2:5], v1 offset:864
	ds_load_b128 v[14:17], v1 offset:880
	v_fma_f64 v[10:11], v[10:11], v[125:126], -v[24:25]
	s_waitcnt vmcnt(0) lgkmcnt(1)
	v_mul_f64 v[30:31], v[2:3], v[143:144]
	v_mul_f64 v[32:33], v[4:5], v[143:144]
	s_waitcnt lgkmcnt(0)
	v_mul_f64 v[22:23], v[14:15], v[8:9]
	v_mul_f64 v[8:9], v[16:17], v[8:9]
	v_add_f64 v[18:19], v[18:19], v[28:29]
	v_add_f64 v[20:21], v[20:21], v[26:27]
	v_fma_f64 v[4:5], v[4:5], v[141:142], v[30:31]
	v_fma_f64 v[1:2], v[2:3], v[141:142], -v[32:33]
	v_fma_f64 v[16:17], v[16:17], v[6:7], v[22:23]
	v_fma_f64 v[6:7], v[14:15], v[6:7], -v[8:9]
	v_add_f64 v[10:11], v[18:19], v[10:11]
	v_add_f64 v[12:13], v[20:21], v[12:13]
	s_delay_alu instid0(VALU_DEP_2) | instskip(NEXT) | instid1(VALU_DEP_2)
	v_add_f64 v[1:2], v[10:11], v[1:2]
	v_add_f64 v[3:4], v[12:13], v[4:5]
	s_delay_alu instid0(VALU_DEP_2) | instskip(NEXT) | instid1(VALU_DEP_2)
	;; [unrolled: 3-line block ×3, first 2 shown]
	v_add_f64 v[1:2], v[131:132], -v[1:2]
	v_add_f64 v[3:4], v[133:134], -v[3:4]
	scratch_store_b128 off, v[1:4], off offset:80
	v_cmpx_lt_u32_e32 4, v94
	s_cbranch_execz .LBB27_173
; %bb.172:
	scratch_load_b128 v[1:4], v95, off
	v_mov_b32_e32 v5, 0
	s_delay_alu instid0(VALU_DEP_1)
	v_mov_b32_e32 v6, v5
	v_mov_b32_e32 v7, v5
	;; [unrolled: 1-line block ×3, first 2 shown]
	scratch_store_b128 off, v[5:8], off offset:64
	s_waitcnt vmcnt(0)
	ds_store_b128 v122, v[1:4]
.LBB27_173:
	s_or_b32 exec_lo, exec_lo, s2
	s_waitcnt lgkmcnt(0)
	s_waitcnt_vscnt null, 0x0
	s_barrier
	buffer_gl0_inv
	s_clause 0x7
	scratch_load_b128 v[2:5], off, off offset:80
	scratch_load_b128 v[6:9], off, off offset:96
	scratch_load_b128 v[10:13], off, off offset:112
	scratch_load_b128 v[14:17], off, off offset:128
	scratch_load_b128 v[18:21], off, off offset:144
	scratch_load_b128 v[22:25], off, off offset:160
	scratch_load_b128 v[26:29], off, off offset:176
	scratch_load_b128 v[30:33], off, off offset:192
	v_mov_b32_e32 v1, 0
	s_mov_b32 s2, exec_lo
	ds_load_b128 v[34:37], v1 offset:528
	s_clause 0x1
	scratch_load_b128 v[123:126], off, off offset:208
	scratch_load_b128 v[127:130], off, off offset:64
	ds_load_b128 v[131:134], v1 offset:544
	scratch_load_b128 v[135:138], off, off offset:224
	s_waitcnt vmcnt(10) lgkmcnt(1)
	v_mul_f64 v[139:140], v[36:37], v[4:5]
	v_mul_f64 v[4:5], v[34:35], v[4:5]
	s_delay_alu instid0(VALU_DEP_2) | instskip(NEXT) | instid1(VALU_DEP_2)
	v_fma_f64 v[145:146], v[34:35], v[2:3], -v[139:140]
	v_fma_f64 v[147:148], v[36:37], v[2:3], v[4:5]
	scratch_load_b128 v[34:37], off, off offset:240
	ds_load_b128 v[2:5], v1 offset:560
	s_waitcnt vmcnt(10) lgkmcnt(1)
	v_mul_f64 v[143:144], v[131:132], v[8:9]
	v_mul_f64 v[8:9], v[133:134], v[8:9]
	ds_load_b128 v[139:142], v1 offset:576
	s_waitcnt vmcnt(9) lgkmcnt(1)
	v_mul_f64 v[149:150], v[2:3], v[12:13]
	v_mul_f64 v[12:13], v[4:5], v[12:13]
	v_fma_f64 v[133:134], v[133:134], v[6:7], v[143:144]
	v_fma_f64 v[131:132], v[131:132], v[6:7], -v[8:9]
	v_add_f64 v[143:144], v[145:146], 0
	v_add_f64 v[145:146], v[147:148], 0
	scratch_load_b128 v[6:9], off, off offset:256
	v_fma_f64 v[149:150], v[4:5], v[10:11], v[149:150]
	v_fma_f64 v[151:152], v[2:3], v[10:11], -v[12:13]
	scratch_load_b128 v[10:13], off, off offset:272
	ds_load_b128 v[2:5], v1 offset:592
	s_waitcnt vmcnt(10) lgkmcnt(1)
	v_mul_f64 v[147:148], v[139:140], v[16:17]
	v_mul_f64 v[16:17], v[141:142], v[16:17]
	v_add_f64 v[143:144], v[143:144], v[131:132]
	v_add_f64 v[145:146], v[145:146], v[133:134]
	s_waitcnt vmcnt(9) lgkmcnt(0)
	v_mul_f64 v[153:154], v[2:3], v[20:21]
	v_mul_f64 v[20:21], v[4:5], v[20:21]
	ds_load_b128 v[131:134], v1 offset:608
	v_fma_f64 v[141:142], v[141:142], v[14:15], v[147:148]
	v_fma_f64 v[139:140], v[139:140], v[14:15], -v[16:17]
	scratch_load_b128 v[14:17], off, off offset:288
	v_add_f64 v[143:144], v[143:144], v[151:152]
	v_add_f64 v[145:146], v[145:146], v[149:150]
	v_fma_f64 v[149:150], v[4:5], v[18:19], v[153:154]
	v_fma_f64 v[151:152], v[2:3], v[18:19], -v[20:21]
	scratch_load_b128 v[18:21], off, off offset:304
	ds_load_b128 v[2:5], v1 offset:624
	s_waitcnt vmcnt(10) lgkmcnt(1)
	v_mul_f64 v[147:148], v[131:132], v[24:25]
	v_mul_f64 v[24:25], v[133:134], v[24:25]
	s_waitcnt vmcnt(9) lgkmcnt(0)
	v_mul_f64 v[153:154], v[2:3], v[28:29]
	v_mul_f64 v[28:29], v[4:5], v[28:29]
	v_add_f64 v[143:144], v[143:144], v[139:140]
	v_add_f64 v[145:146], v[145:146], v[141:142]
	ds_load_b128 v[139:142], v1 offset:640
	v_fma_f64 v[133:134], v[133:134], v[22:23], v[147:148]
	v_fma_f64 v[131:132], v[131:132], v[22:23], -v[24:25]
	scratch_load_b128 v[22:25], off, off offset:320
	v_add_f64 v[143:144], v[143:144], v[151:152]
	v_add_f64 v[145:146], v[145:146], v[149:150]
	v_fma_f64 v[149:150], v[4:5], v[26:27], v[153:154]
	v_fma_f64 v[151:152], v[2:3], v[26:27], -v[28:29]
	scratch_load_b128 v[26:29], off, off offset:336
	ds_load_b128 v[2:5], v1 offset:656
	s_waitcnt vmcnt(10) lgkmcnt(1)
	v_mul_f64 v[147:148], v[139:140], v[32:33]
	v_mul_f64 v[32:33], v[141:142], v[32:33]
	s_waitcnt vmcnt(9) lgkmcnt(0)
	v_mul_f64 v[153:154], v[2:3], v[125:126]
	v_mul_f64 v[125:126], v[4:5], v[125:126]
	v_add_f64 v[143:144], v[143:144], v[131:132]
	v_add_f64 v[145:146], v[145:146], v[133:134]
	ds_load_b128 v[131:134], v1 offset:672
	v_fma_f64 v[141:142], v[141:142], v[30:31], v[147:148]
	v_fma_f64 v[139:140], v[139:140], v[30:31], -v[32:33]
	scratch_load_b128 v[30:33], off, off offset:352
	v_add_f64 v[143:144], v[143:144], v[151:152]
	v_add_f64 v[145:146], v[145:146], v[149:150]
	v_fma_f64 v[151:152], v[4:5], v[123:124], v[153:154]
	v_fma_f64 v[153:154], v[2:3], v[123:124], -v[125:126]
	scratch_load_b128 v[123:126], off, off offset:368
	ds_load_b128 v[2:5], v1 offset:688
	s_waitcnt vmcnt(9) lgkmcnt(1)
	v_mul_f64 v[147:148], v[131:132], v[137:138]
	v_mul_f64 v[149:150], v[133:134], v[137:138]
	v_add_f64 v[143:144], v[143:144], v[139:140]
	v_add_f64 v[141:142], v[145:146], v[141:142]
	ds_load_b128 v[137:140], v1 offset:704
	v_fma_f64 v[147:148], v[133:134], v[135:136], v[147:148]
	v_fma_f64 v[135:136], v[131:132], v[135:136], -v[149:150]
	scratch_load_b128 v[131:134], off, off offset:384
	s_waitcnt vmcnt(9) lgkmcnt(1)
	v_mul_f64 v[145:146], v[2:3], v[36:37]
	v_mul_f64 v[36:37], v[4:5], v[36:37]
	v_add_f64 v[143:144], v[143:144], v[153:154]
	v_add_f64 v[141:142], v[141:142], v[151:152]
	s_delay_alu instid0(VALU_DEP_4) | instskip(NEXT) | instid1(VALU_DEP_4)
	v_fma_f64 v[145:146], v[4:5], v[34:35], v[145:146]
	v_fma_f64 v[151:152], v[2:3], v[34:35], -v[36:37]
	scratch_load_b128 v[34:37], off, off offset:400
	ds_load_b128 v[2:5], v1 offset:720
	s_waitcnt vmcnt(9) lgkmcnt(1)
	v_mul_f64 v[149:150], v[137:138], v[8:9]
	v_mul_f64 v[8:9], v[139:140], v[8:9]
	s_waitcnt vmcnt(8) lgkmcnt(0)
	v_mul_f64 v[153:154], v[2:3], v[12:13]
	v_mul_f64 v[12:13], v[4:5], v[12:13]
	v_add_f64 v[135:136], v[143:144], v[135:136]
	v_add_f64 v[147:148], v[141:142], v[147:148]
	ds_load_b128 v[141:144], v1 offset:736
	v_fma_f64 v[139:140], v[139:140], v[6:7], v[149:150]
	v_fma_f64 v[137:138], v[137:138], v[6:7], -v[8:9]
	scratch_load_b128 v[6:9], off, off offset:416
	v_fma_f64 v[149:150], v[4:5], v[10:11], v[153:154]
	v_add_f64 v[135:136], v[135:136], v[151:152]
	v_add_f64 v[145:146], v[147:148], v[145:146]
	v_fma_f64 v[151:152], v[2:3], v[10:11], -v[12:13]
	scratch_load_b128 v[10:13], off, off offset:432
	ds_load_b128 v[2:5], v1 offset:752
	s_waitcnt vmcnt(9) lgkmcnt(1)
	v_mul_f64 v[147:148], v[141:142], v[16:17]
	v_mul_f64 v[16:17], v[143:144], v[16:17]
	v_add_f64 v[153:154], v[135:136], v[137:138]
	v_add_f64 v[139:140], v[145:146], v[139:140]
	s_waitcnt vmcnt(8) lgkmcnt(0)
	v_mul_f64 v[145:146], v[2:3], v[20:21]
	v_mul_f64 v[20:21], v[4:5], v[20:21]
	ds_load_b128 v[135:138], v1 offset:768
	v_fma_f64 v[143:144], v[143:144], v[14:15], v[147:148]
	v_fma_f64 v[14:15], v[141:142], v[14:15], -v[16:17]
	s_waitcnt vmcnt(7) lgkmcnt(0)
	v_mul_f64 v[141:142], v[135:136], v[24:25]
	v_mul_f64 v[24:25], v[137:138], v[24:25]
	v_add_f64 v[16:17], v[153:154], v[151:152]
	v_add_f64 v[139:140], v[139:140], v[149:150]
	v_fma_f64 v[145:146], v[4:5], v[18:19], v[145:146]
	v_fma_f64 v[18:19], v[2:3], v[18:19], -v[20:21]
	v_fma_f64 v[137:138], v[137:138], v[22:23], v[141:142]
	v_fma_f64 v[22:23], v[135:136], v[22:23], -v[24:25]
	v_add_f64 v[20:21], v[16:17], v[14:15]
	v_add_f64 v[139:140], v[139:140], v[143:144]
	ds_load_b128 v[2:5], v1 offset:784
	ds_load_b128 v[14:17], v1 offset:800
	s_waitcnt vmcnt(6) lgkmcnt(1)
	v_mul_f64 v[143:144], v[2:3], v[28:29]
	v_mul_f64 v[28:29], v[4:5], v[28:29]
	s_waitcnt vmcnt(5) lgkmcnt(0)
	v_mul_f64 v[24:25], v[14:15], v[32:33]
	v_mul_f64 v[32:33], v[16:17], v[32:33]
	v_add_f64 v[18:19], v[20:21], v[18:19]
	v_add_f64 v[20:21], v[139:140], v[145:146]
	v_fma_f64 v[135:136], v[4:5], v[26:27], v[143:144]
	v_fma_f64 v[26:27], v[2:3], v[26:27], -v[28:29]
	v_fma_f64 v[16:17], v[16:17], v[30:31], v[24:25]
	v_fma_f64 v[14:15], v[14:15], v[30:31], -v[32:33]
	v_add_f64 v[22:23], v[18:19], v[22:23]
	v_add_f64 v[28:29], v[20:21], v[137:138]
	ds_load_b128 v[2:5], v1 offset:816
	ds_load_b128 v[18:21], v1 offset:832
	s_waitcnt vmcnt(4) lgkmcnt(1)
	v_mul_f64 v[137:138], v[2:3], v[125:126]
	v_mul_f64 v[125:126], v[4:5], v[125:126]
	v_add_f64 v[22:23], v[22:23], v[26:27]
	v_add_f64 v[24:25], v[28:29], v[135:136]
	s_waitcnt vmcnt(3) lgkmcnt(0)
	v_mul_f64 v[26:27], v[18:19], v[133:134]
	v_mul_f64 v[28:29], v[20:21], v[133:134]
	v_fma_f64 v[30:31], v[4:5], v[123:124], v[137:138]
	v_fma_f64 v[32:33], v[2:3], v[123:124], -v[125:126]
	v_add_f64 v[22:23], v[22:23], v[14:15]
	v_add_f64 v[24:25], v[24:25], v[16:17]
	ds_load_b128 v[2:5], v1 offset:848
	ds_load_b128 v[14:17], v1 offset:864
	v_fma_f64 v[20:21], v[20:21], v[131:132], v[26:27]
	v_fma_f64 v[18:19], v[18:19], v[131:132], -v[28:29]
	s_waitcnt vmcnt(2) lgkmcnt(1)
	v_mul_f64 v[123:124], v[2:3], v[36:37]
	v_mul_f64 v[36:37], v[4:5], v[36:37]
	s_waitcnt vmcnt(1) lgkmcnt(0)
	v_mul_f64 v[26:27], v[14:15], v[8:9]
	v_mul_f64 v[8:9], v[16:17], v[8:9]
	v_add_f64 v[22:23], v[22:23], v[32:33]
	v_add_f64 v[24:25], v[24:25], v[30:31]
	v_fma_f64 v[28:29], v[4:5], v[34:35], v[123:124]
	v_fma_f64 v[30:31], v[2:3], v[34:35], -v[36:37]
	ds_load_b128 v[2:5], v1 offset:880
	v_fma_f64 v[16:17], v[16:17], v[6:7], v[26:27]
	v_fma_f64 v[6:7], v[14:15], v[6:7], -v[8:9]
	v_add_f64 v[18:19], v[22:23], v[18:19]
	v_add_f64 v[20:21], v[24:25], v[20:21]
	s_waitcnt vmcnt(0) lgkmcnt(0)
	v_mul_f64 v[22:23], v[2:3], v[12:13]
	v_mul_f64 v[12:13], v[4:5], v[12:13]
	s_delay_alu instid0(VALU_DEP_4) | instskip(NEXT) | instid1(VALU_DEP_4)
	v_add_f64 v[8:9], v[18:19], v[30:31]
	v_add_f64 v[14:15], v[20:21], v[28:29]
	s_delay_alu instid0(VALU_DEP_4) | instskip(NEXT) | instid1(VALU_DEP_4)
	v_fma_f64 v[4:5], v[4:5], v[10:11], v[22:23]
	v_fma_f64 v[2:3], v[2:3], v[10:11], -v[12:13]
	s_delay_alu instid0(VALU_DEP_4) | instskip(NEXT) | instid1(VALU_DEP_4)
	v_add_f64 v[6:7], v[8:9], v[6:7]
	v_add_f64 v[8:9], v[14:15], v[16:17]
	s_delay_alu instid0(VALU_DEP_2) | instskip(NEXT) | instid1(VALU_DEP_2)
	v_add_f64 v[2:3], v[6:7], v[2:3]
	v_add_f64 v[4:5], v[8:9], v[4:5]
	s_delay_alu instid0(VALU_DEP_2) | instskip(NEXT) | instid1(VALU_DEP_2)
	v_add_f64 v[2:3], v[127:128], -v[2:3]
	v_add_f64 v[4:5], v[129:130], -v[4:5]
	scratch_store_b128 off, v[2:5], off offset:64
	v_cmpx_lt_u32_e32 3, v94
	s_cbranch_execz .LBB27_175
; %bb.174:
	scratch_load_b128 v[5:8], v97, off
	v_mov_b32_e32 v2, v1
	v_mov_b32_e32 v3, v1
	;; [unrolled: 1-line block ×3, first 2 shown]
	scratch_store_b128 off, v[1:4], off offset:48
	s_waitcnt vmcnt(0)
	ds_store_b128 v122, v[5:8]
.LBB27_175:
	s_or_b32 exec_lo, exec_lo, s2
	s_waitcnt lgkmcnt(0)
	s_waitcnt_vscnt null, 0x0
	s_barrier
	buffer_gl0_inv
	s_clause 0x8
	scratch_load_b128 v[2:5], off, off offset:64
	scratch_load_b128 v[6:9], off, off offset:80
	;; [unrolled: 1-line block ×9, first 2 shown]
	ds_load_b128 v[123:126], v1 offset:512
	ds_load_b128 v[127:130], v1 offset:528
	s_clause 0x1
	scratch_load_b128 v[131:134], off, off offset:48
	scratch_load_b128 v[135:138], off, off offset:208
	s_mov_b32 s2, exec_lo
	s_waitcnt vmcnt(10) lgkmcnt(1)
	v_mul_f64 v[139:140], v[125:126], v[4:5]
	v_mul_f64 v[4:5], v[123:124], v[4:5]
	s_waitcnt vmcnt(9) lgkmcnt(0)
	v_mul_f64 v[143:144], v[127:128], v[8:9]
	v_mul_f64 v[8:9], v[129:130], v[8:9]
	s_delay_alu instid0(VALU_DEP_4) | instskip(NEXT) | instid1(VALU_DEP_4)
	v_fma_f64 v[145:146], v[123:124], v[2:3], -v[139:140]
	v_fma_f64 v[147:148], v[125:126], v[2:3], v[4:5]
	ds_load_b128 v[2:5], v1 offset:544
	ds_load_b128 v[139:142], v1 offset:560
	scratch_load_b128 v[123:126], off, off offset:224
	v_fma_f64 v[129:130], v[129:130], v[6:7], v[143:144]
	v_fma_f64 v[127:128], v[127:128], v[6:7], -v[8:9]
	scratch_load_b128 v[6:9], off, off offset:240
	s_waitcnt vmcnt(10) lgkmcnt(1)
	v_mul_f64 v[149:150], v[2:3], v[12:13]
	v_mul_f64 v[12:13], v[4:5], v[12:13]
	v_add_f64 v[143:144], v[145:146], 0
	v_add_f64 v[145:146], v[147:148], 0
	s_waitcnt vmcnt(9) lgkmcnt(0)
	v_mul_f64 v[147:148], v[139:140], v[16:17]
	v_mul_f64 v[16:17], v[141:142], v[16:17]
	v_fma_f64 v[149:150], v[4:5], v[10:11], v[149:150]
	v_fma_f64 v[151:152], v[2:3], v[10:11], -v[12:13]
	ds_load_b128 v[2:5], v1 offset:576
	scratch_load_b128 v[10:13], off, off offset:256
	v_add_f64 v[143:144], v[143:144], v[127:128]
	v_add_f64 v[145:146], v[145:146], v[129:130]
	ds_load_b128 v[127:130], v1 offset:592
	v_fma_f64 v[141:142], v[141:142], v[14:15], v[147:148]
	v_fma_f64 v[139:140], v[139:140], v[14:15], -v[16:17]
	scratch_load_b128 v[14:17], off, off offset:272
	s_waitcnt vmcnt(10) lgkmcnt(1)
	v_mul_f64 v[153:154], v[2:3], v[20:21]
	v_mul_f64 v[20:21], v[4:5], v[20:21]
	s_waitcnt vmcnt(9) lgkmcnt(0)
	v_mul_f64 v[147:148], v[127:128], v[24:25]
	v_mul_f64 v[24:25], v[129:130], v[24:25]
	v_add_f64 v[143:144], v[143:144], v[151:152]
	v_add_f64 v[145:146], v[145:146], v[149:150]
	v_fma_f64 v[149:150], v[4:5], v[18:19], v[153:154]
	v_fma_f64 v[151:152], v[2:3], v[18:19], -v[20:21]
	ds_load_b128 v[2:5], v1 offset:608
	scratch_load_b128 v[18:21], off, off offset:288
	v_fma_f64 v[129:130], v[129:130], v[22:23], v[147:148]
	v_fma_f64 v[127:128], v[127:128], v[22:23], -v[24:25]
	scratch_load_b128 v[22:25], off, off offset:304
	v_add_f64 v[143:144], v[143:144], v[139:140]
	v_add_f64 v[145:146], v[145:146], v[141:142]
	ds_load_b128 v[139:142], v1 offset:624
	s_waitcnt vmcnt(10) lgkmcnt(1)
	v_mul_f64 v[153:154], v[2:3], v[28:29]
	v_mul_f64 v[28:29], v[4:5], v[28:29]
	s_waitcnt vmcnt(9) lgkmcnt(0)
	v_mul_f64 v[147:148], v[139:140], v[32:33]
	v_mul_f64 v[32:33], v[141:142], v[32:33]
	v_add_f64 v[143:144], v[143:144], v[151:152]
	v_add_f64 v[145:146], v[145:146], v[149:150]
	v_fma_f64 v[149:150], v[4:5], v[26:27], v[153:154]
	v_fma_f64 v[151:152], v[2:3], v[26:27], -v[28:29]
	ds_load_b128 v[2:5], v1 offset:640
	scratch_load_b128 v[26:29], off, off offset:320
	v_fma_f64 v[141:142], v[141:142], v[30:31], v[147:148]
	v_fma_f64 v[139:140], v[139:140], v[30:31], -v[32:33]
	scratch_load_b128 v[30:33], off, off offset:336
	v_add_f64 v[143:144], v[143:144], v[127:128]
	v_add_f64 v[145:146], v[145:146], v[129:130]
	ds_load_b128 v[127:130], v1 offset:656
	s_waitcnt vmcnt(10) lgkmcnt(1)
	v_mul_f64 v[153:154], v[2:3], v[36:37]
	v_mul_f64 v[36:37], v[4:5], v[36:37]
	s_waitcnt vmcnt(8) lgkmcnt(0)
	v_mul_f64 v[147:148], v[127:128], v[137:138]
	v_add_f64 v[143:144], v[143:144], v[151:152]
	v_add_f64 v[145:146], v[145:146], v[149:150]
	v_mul_f64 v[149:150], v[129:130], v[137:138]
	v_fma_f64 v[151:152], v[4:5], v[34:35], v[153:154]
	v_fma_f64 v[153:154], v[2:3], v[34:35], -v[36:37]
	ds_load_b128 v[2:5], v1 offset:672
	scratch_load_b128 v[34:37], off, off offset:352
	v_fma_f64 v[129:130], v[129:130], v[135:136], v[147:148]
	v_add_f64 v[143:144], v[143:144], v[139:140]
	v_add_f64 v[141:142], v[145:146], v[141:142]
	ds_load_b128 v[137:140], v1 offset:688
	v_fma_f64 v[135:136], v[127:128], v[135:136], -v[149:150]
	s_waitcnt vmcnt(8) lgkmcnt(1)
	v_mul_f64 v[145:146], v[2:3], v[125:126]
	v_mul_f64 v[155:156], v[4:5], v[125:126]
	scratch_load_b128 v[125:128], off, off offset:368
	s_waitcnt vmcnt(8) lgkmcnt(0)
	v_mul_f64 v[149:150], v[137:138], v[8:9]
	v_mul_f64 v[8:9], v[139:140], v[8:9]
	v_add_f64 v[143:144], v[143:144], v[153:154]
	v_add_f64 v[141:142], v[141:142], v[151:152]
	v_fma_f64 v[151:152], v[4:5], v[123:124], v[145:146]
	v_fma_f64 v[123:124], v[2:3], v[123:124], -v[155:156]
	ds_load_b128 v[2:5], v1 offset:704
	ds_load_b128 v[145:148], v1 offset:720
	v_fma_f64 v[139:140], v[139:140], v[6:7], v[149:150]
	v_fma_f64 v[137:138], v[137:138], v[6:7], -v[8:9]
	scratch_load_b128 v[6:9], off, off offset:400
	v_add_f64 v[135:136], v[143:144], v[135:136]
	v_add_f64 v[129:130], v[141:142], v[129:130]
	scratch_load_b128 v[141:144], off, off offset:384
	s_waitcnt vmcnt(9) lgkmcnt(1)
	v_mul_f64 v[153:154], v[2:3], v[12:13]
	v_mul_f64 v[12:13], v[4:5], v[12:13]
	s_waitcnt vmcnt(8) lgkmcnt(0)
	v_mul_f64 v[149:150], v[145:146], v[16:17]
	v_mul_f64 v[16:17], v[147:148], v[16:17]
	v_add_f64 v[123:124], v[135:136], v[123:124]
	v_add_f64 v[129:130], v[129:130], v[151:152]
	v_fma_f64 v[151:152], v[4:5], v[10:11], v[153:154]
	v_fma_f64 v[153:154], v[2:3], v[10:11], -v[12:13]
	ds_load_b128 v[2:5], v1 offset:736
	scratch_load_b128 v[10:13], off, off offset:416
	v_fma_f64 v[147:148], v[147:148], v[14:15], v[149:150]
	v_fma_f64 v[145:146], v[145:146], v[14:15], -v[16:17]
	scratch_load_b128 v[14:17], off, off offset:432
	v_add_f64 v[123:124], v[123:124], v[137:138]
	v_add_f64 v[129:130], v[129:130], v[139:140]
	ds_load_b128 v[135:138], v1 offset:752
	s_waitcnt vmcnt(9) lgkmcnt(1)
	v_mul_f64 v[139:140], v[2:3], v[20:21]
	v_mul_f64 v[20:21], v[4:5], v[20:21]
	s_waitcnt vmcnt(8) lgkmcnt(0)
	v_mul_f64 v[149:150], v[135:136], v[24:25]
	v_mul_f64 v[24:25], v[137:138], v[24:25]
	v_add_f64 v[123:124], v[123:124], v[153:154]
	v_add_f64 v[129:130], v[129:130], v[151:152]
	v_fma_f64 v[139:140], v[4:5], v[18:19], v[139:140]
	v_fma_f64 v[151:152], v[2:3], v[18:19], -v[20:21]
	ds_load_b128 v[2:5], v1 offset:768
	ds_load_b128 v[18:21], v1 offset:784
	v_fma_f64 v[137:138], v[137:138], v[22:23], v[149:150]
	v_fma_f64 v[22:23], v[135:136], v[22:23], -v[24:25]
	v_add_f64 v[123:124], v[123:124], v[145:146]
	v_add_f64 v[129:130], v[129:130], v[147:148]
	s_waitcnt vmcnt(7) lgkmcnt(1)
	v_mul_f64 v[145:146], v[2:3], v[28:29]
	v_mul_f64 v[28:29], v[4:5], v[28:29]
	s_delay_alu instid0(VALU_DEP_4) | instskip(NEXT) | instid1(VALU_DEP_4)
	v_add_f64 v[24:25], v[123:124], v[151:152]
	v_add_f64 v[123:124], v[129:130], v[139:140]
	s_waitcnt vmcnt(6) lgkmcnt(0)
	v_mul_f64 v[129:130], v[18:19], v[32:33]
	v_mul_f64 v[32:33], v[20:21], v[32:33]
	v_fma_f64 v[135:136], v[4:5], v[26:27], v[145:146]
	v_fma_f64 v[26:27], v[2:3], v[26:27], -v[28:29]
	v_add_f64 v[28:29], v[24:25], v[22:23]
	v_add_f64 v[123:124], v[123:124], v[137:138]
	ds_load_b128 v[2:5], v1 offset:800
	ds_load_b128 v[22:25], v1 offset:816
	v_fma_f64 v[20:21], v[20:21], v[30:31], v[129:130]
	v_fma_f64 v[18:19], v[18:19], v[30:31], -v[32:33]
	s_waitcnt vmcnt(5) lgkmcnt(1)
	v_mul_f64 v[137:138], v[2:3], v[36:37]
	v_mul_f64 v[36:37], v[4:5], v[36:37]
	s_waitcnt vmcnt(4) lgkmcnt(0)
	v_mul_f64 v[30:31], v[22:23], v[127:128]
	v_add_f64 v[26:27], v[28:29], v[26:27]
	v_add_f64 v[28:29], v[123:124], v[135:136]
	v_mul_f64 v[32:33], v[24:25], v[127:128]
	v_fma_f64 v[123:124], v[4:5], v[34:35], v[137:138]
	v_fma_f64 v[34:35], v[2:3], v[34:35], -v[36:37]
	v_fma_f64 v[24:25], v[24:25], v[125:126], v[30:31]
	v_add_f64 v[26:27], v[26:27], v[18:19]
	v_add_f64 v[28:29], v[28:29], v[20:21]
	ds_load_b128 v[2:5], v1 offset:832
	ds_load_b128 v[18:21], v1 offset:848
	v_fma_f64 v[22:23], v[22:23], v[125:126], -v[32:33]
	s_waitcnt vmcnt(2) lgkmcnt(1)
	v_mul_f64 v[36:37], v[2:3], v[143:144]
	v_mul_f64 v[127:128], v[4:5], v[143:144]
	s_waitcnt lgkmcnt(0)
	v_mul_f64 v[30:31], v[18:19], v[8:9]
	v_mul_f64 v[8:9], v[20:21], v[8:9]
	v_add_f64 v[26:27], v[26:27], v[34:35]
	v_add_f64 v[28:29], v[28:29], v[123:124]
	v_fma_f64 v[32:33], v[4:5], v[141:142], v[36:37]
	v_fma_f64 v[34:35], v[2:3], v[141:142], -v[127:128]
	v_fma_f64 v[20:21], v[20:21], v[6:7], v[30:31]
	v_fma_f64 v[6:7], v[18:19], v[6:7], -v[8:9]
	v_add_f64 v[26:27], v[26:27], v[22:23]
	v_add_f64 v[28:29], v[28:29], v[24:25]
	ds_load_b128 v[2:5], v1 offset:864
	ds_load_b128 v[22:25], v1 offset:880
	s_waitcnt vmcnt(1) lgkmcnt(1)
	v_mul_f64 v[36:37], v[2:3], v[12:13]
	v_mul_f64 v[12:13], v[4:5], v[12:13]
	v_add_f64 v[8:9], v[26:27], v[34:35]
	v_add_f64 v[18:19], v[28:29], v[32:33]
	s_waitcnt vmcnt(0) lgkmcnt(0)
	v_mul_f64 v[26:27], v[22:23], v[16:17]
	v_mul_f64 v[16:17], v[24:25], v[16:17]
	v_fma_f64 v[4:5], v[4:5], v[10:11], v[36:37]
	v_fma_f64 v[1:2], v[2:3], v[10:11], -v[12:13]
	v_add_f64 v[6:7], v[8:9], v[6:7]
	v_add_f64 v[8:9], v[18:19], v[20:21]
	v_fma_f64 v[10:11], v[24:25], v[14:15], v[26:27]
	v_fma_f64 v[12:13], v[22:23], v[14:15], -v[16:17]
	s_delay_alu instid0(VALU_DEP_4) | instskip(NEXT) | instid1(VALU_DEP_4)
	v_add_f64 v[1:2], v[6:7], v[1:2]
	v_add_f64 v[3:4], v[8:9], v[4:5]
	s_delay_alu instid0(VALU_DEP_2) | instskip(NEXT) | instid1(VALU_DEP_2)
	v_add_f64 v[1:2], v[1:2], v[12:13]
	v_add_f64 v[3:4], v[3:4], v[10:11]
	s_delay_alu instid0(VALU_DEP_2) | instskip(NEXT) | instid1(VALU_DEP_2)
	v_add_f64 v[1:2], v[131:132], -v[1:2]
	v_add_f64 v[3:4], v[133:134], -v[3:4]
	scratch_store_b128 off, v[1:4], off offset:48
	v_cmpx_lt_u32_e32 2, v94
	s_cbranch_execz .LBB27_177
; %bb.176:
	scratch_load_b128 v[1:4], v96, off
	v_mov_b32_e32 v5, 0
	s_delay_alu instid0(VALU_DEP_1)
	v_mov_b32_e32 v6, v5
	v_mov_b32_e32 v7, v5
	;; [unrolled: 1-line block ×3, first 2 shown]
	scratch_store_b128 off, v[5:8], off offset:32
	s_waitcnt vmcnt(0)
	ds_store_b128 v122, v[1:4]
.LBB27_177:
	s_or_b32 exec_lo, exec_lo, s2
	s_waitcnt lgkmcnt(0)
	s_waitcnt_vscnt null, 0x0
	s_barrier
	buffer_gl0_inv
	s_clause 0x7
	scratch_load_b128 v[2:5], off, off offset:48
	scratch_load_b128 v[6:9], off, off offset:64
	;; [unrolled: 1-line block ×8, first 2 shown]
	v_mov_b32_e32 v1, 0
	s_mov_b32 s2, exec_lo
	ds_load_b128 v[34:37], v1 offset:496
	s_clause 0x1
	scratch_load_b128 v[123:126], off, off offset:176
	scratch_load_b128 v[127:130], off, off offset:32
	ds_load_b128 v[131:134], v1 offset:512
	scratch_load_b128 v[135:138], off, off offset:192
	s_waitcnt vmcnt(10) lgkmcnt(1)
	v_mul_f64 v[139:140], v[36:37], v[4:5]
	v_mul_f64 v[4:5], v[34:35], v[4:5]
	s_delay_alu instid0(VALU_DEP_2) | instskip(NEXT) | instid1(VALU_DEP_2)
	v_fma_f64 v[145:146], v[34:35], v[2:3], -v[139:140]
	v_fma_f64 v[147:148], v[36:37], v[2:3], v[4:5]
	scratch_load_b128 v[34:37], off, off offset:208
	ds_load_b128 v[2:5], v1 offset:528
	s_waitcnt vmcnt(10) lgkmcnt(1)
	v_mul_f64 v[143:144], v[131:132], v[8:9]
	v_mul_f64 v[8:9], v[133:134], v[8:9]
	ds_load_b128 v[139:142], v1 offset:544
	s_waitcnt vmcnt(9) lgkmcnt(1)
	v_mul_f64 v[149:150], v[2:3], v[12:13]
	v_mul_f64 v[12:13], v[4:5], v[12:13]
	v_fma_f64 v[133:134], v[133:134], v[6:7], v[143:144]
	v_fma_f64 v[131:132], v[131:132], v[6:7], -v[8:9]
	v_add_f64 v[143:144], v[145:146], 0
	v_add_f64 v[145:146], v[147:148], 0
	scratch_load_b128 v[6:9], off, off offset:224
	v_fma_f64 v[149:150], v[4:5], v[10:11], v[149:150]
	v_fma_f64 v[151:152], v[2:3], v[10:11], -v[12:13]
	scratch_load_b128 v[10:13], off, off offset:240
	ds_load_b128 v[2:5], v1 offset:560
	s_waitcnt vmcnt(10) lgkmcnt(1)
	v_mul_f64 v[147:148], v[139:140], v[16:17]
	v_mul_f64 v[16:17], v[141:142], v[16:17]
	v_add_f64 v[143:144], v[143:144], v[131:132]
	v_add_f64 v[145:146], v[145:146], v[133:134]
	s_waitcnt vmcnt(9) lgkmcnt(0)
	v_mul_f64 v[153:154], v[2:3], v[20:21]
	v_mul_f64 v[20:21], v[4:5], v[20:21]
	ds_load_b128 v[131:134], v1 offset:576
	v_fma_f64 v[141:142], v[141:142], v[14:15], v[147:148]
	v_fma_f64 v[139:140], v[139:140], v[14:15], -v[16:17]
	scratch_load_b128 v[14:17], off, off offset:256
	v_add_f64 v[143:144], v[143:144], v[151:152]
	v_add_f64 v[145:146], v[145:146], v[149:150]
	v_fma_f64 v[149:150], v[4:5], v[18:19], v[153:154]
	v_fma_f64 v[151:152], v[2:3], v[18:19], -v[20:21]
	scratch_load_b128 v[18:21], off, off offset:272
	ds_load_b128 v[2:5], v1 offset:592
	s_waitcnt vmcnt(10) lgkmcnt(1)
	v_mul_f64 v[147:148], v[131:132], v[24:25]
	v_mul_f64 v[24:25], v[133:134], v[24:25]
	s_waitcnt vmcnt(9) lgkmcnt(0)
	v_mul_f64 v[153:154], v[2:3], v[28:29]
	v_mul_f64 v[28:29], v[4:5], v[28:29]
	v_add_f64 v[143:144], v[143:144], v[139:140]
	v_add_f64 v[145:146], v[145:146], v[141:142]
	ds_load_b128 v[139:142], v1 offset:608
	v_fma_f64 v[133:134], v[133:134], v[22:23], v[147:148]
	v_fma_f64 v[131:132], v[131:132], v[22:23], -v[24:25]
	scratch_load_b128 v[22:25], off, off offset:288
	v_add_f64 v[143:144], v[143:144], v[151:152]
	v_add_f64 v[145:146], v[145:146], v[149:150]
	v_fma_f64 v[149:150], v[4:5], v[26:27], v[153:154]
	v_fma_f64 v[151:152], v[2:3], v[26:27], -v[28:29]
	scratch_load_b128 v[26:29], off, off offset:304
	ds_load_b128 v[2:5], v1 offset:624
	s_waitcnt vmcnt(10) lgkmcnt(1)
	v_mul_f64 v[147:148], v[139:140], v[32:33]
	v_mul_f64 v[32:33], v[141:142], v[32:33]
	s_waitcnt vmcnt(9) lgkmcnt(0)
	v_mul_f64 v[153:154], v[2:3], v[125:126]
	v_mul_f64 v[125:126], v[4:5], v[125:126]
	v_add_f64 v[143:144], v[143:144], v[131:132]
	v_add_f64 v[145:146], v[145:146], v[133:134]
	ds_load_b128 v[131:134], v1 offset:640
	v_fma_f64 v[141:142], v[141:142], v[30:31], v[147:148]
	v_fma_f64 v[139:140], v[139:140], v[30:31], -v[32:33]
	scratch_load_b128 v[30:33], off, off offset:320
	v_add_f64 v[143:144], v[143:144], v[151:152]
	v_add_f64 v[145:146], v[145:146], v[149:150]
	v_fma_f64 v[151:152], v[4:5], v[123:124], v[153:154]
	v_fma_f64 v[153:154], v[2:3], v[123:124], -v[125:126]
	scratch_load_b128 v[123:126], off, off offset:336
	ds_load_b128 v[2:5], v1 offset:656
	s_waitcnt vmcnt(9) lgkmcnt(1)
	v_mul_f64 v[147:148], v[131:132], v[137:138]
	v_mul_f64 v[149:150], v[133:134], v[137:138]
	v_add_f64 v[143:144], v[143:144], v[139:140]
	v_add_f64 v[141:142], v[145:146], v[141:142]
	ds_load_b128 v[137:140], v1 offset:672
	v_fma_f64 v[147:148], v[133:134], v[135:136], v[147:148]
	v_fma_f64 v[135:136], v[131:132], v[135:136], -v[149:150]
	scratch_load_b128 v[131:134], off, off offset:352
	s_waitcnt vmcnt(9) lgkmcnt(1)
	v_mul_f64 v[145:146], v[2:3], v[36:37]
	v_mul_f64 v[36:37], v[4:5], v[36:37]
	v_add_f64 v[143:144], v[143:144], v[153:154]
	v_add_f64 v[141:142], v[141:142], v[151:152]
	s_delay_alu instid0(VALU_DEP_4) | instskip(NEXT) | instid1(VALU_DEP_4)
	v_fma_f64 v[145:146], v[4:5], v[34:35], v[145:146]
	v_fma_f64 v[151:152], v[2:3], v[34:35], -v[36:37]
	scratch_load_b128 v[34:37], off, off offset:368
	ds_load_b128 v[2:5], v1 offset:688
	s_waitcnt vmcnt(9) lgkmcnt(1)
	v_mul_f64 v[149:150], v[137:138], v[8:9]
	v_mul_f64 v[8:9], v[139:140], v[8:9]
	s_waitcnt vmcnt(8) lgkmcnt(0)
	v_mul_f64 v[153:154], v[2:3], v[12:13]
	v_mul_f64 v[12:13], v[4:5], v[12:13]
	v_add_f64 v[135:136], v[143:144], v[135:136]
	v_add_f64 v[147:148], v[141:142], v[147:148]
	ds_load_b128 v[141:144], v1 offset:704
	v_fma_f64 v[139:140], v[139:140], v[6:7], v[149:150]
	v_fma_f64 v[137:138], v[137:138], v[6:7], -v[8:9]
	scratch_load_b128 v[6:9], off, off offset:384
	v_fma_f64 v[149:150], v[4:5], v[10:11], v[153:154]
	v_add_f64 v[135:136], v[135:136], v[151:152]
	v_add_f64 v[145:146], v[147:148], v[145:146]
	v_fma_f64 v[151:152], v[2:3], v[10:11], -v[12:13]
	scratch_load_b128 v[10:13], off, off offset:400
	ds_load_b128 v[2:5], v1 offset:720
	s_waitcnt vmcnt(9) lgkmcnt(1)
	v_mul_f64 v[147:148], v[141:142], v[16:17]
	v_mul_f64 v[16:17], v[143:144], v[16:17]
	v_add_f64 v[153:154], v[135:136], v[137:138]
	v_add_f64 v[139:140], v[145:146], v[139:140]
	s_waitcnt vmcnt(8) lgkmcnt(0)
	v_mul_f64 v[145:146], v[2:3], v[20:21]
	v_mul_f64 v[20:21], v[4:5], v[20:21]
	ds_load_b128 v[135:138], v1 offset:736
	v_fma_f64 v[143:144], v[143:144], v[14:15], v[147:148]
	v_fma_f64 v[141:142], v[141:142], v[14:15], -v[16:17]
	scratch_load_b128 v[14:17], off, off offset:416
	v_add_f64 v[147:148], v[153:154], v[151:152]
	v_add_f64 v[139:140], v[139:140], v[149:150]
	v_fma_f64 v[145:146], v[4:5], v[18:19], v[145:146]
	v_fma_f64 v[151:152], v[2:3], v[18:19], -v[20:21]
	scratch_load_b128 v[18:21], off, off offset:432
	ds_load_b128 v[2:5], v1 offset:752
	s_waitcnt vmcnt(9) lgkmcnt(1)
	v_mul_f64 v[149:150], v[135:136], v[24:25]
	v_mul_f64 v[24:25], v[137:138], v[24:25]
	s_waitcnt vmcnt(8) lgkmcnt(0)
	v_mul_f64 v[153:154], v[2:3], v[28:29]
	v_mul_f64 v[28:29], v[4:5], v[28:29]
	v_add_f64 v[147:148], v[147:148], v[141:142]
	v_add_f64 v[143:144], v[139:140], v[143:144]
	ds_load_b128 v[139:142], v1 offset:768
	v_fma_f64 v[137:138], v[137:138], v[22:23], v[149:150]
	v_fma_f64 v[22:23], v[135:136], v[22:23], -v[24:25]
	v_add_f64 v[24:25], v[147:148], v[151:152]
	v_add_f64 v[135:136], v[143:144], v[145:146]
	s_waitcnt vmcnt(7) lgkmcnt(0)
	v_mul_f64 v[143:144], v[139:140], v[32:33]
	v_mul_f64 v[32:33], v[141:142], v[32:33]
	v_fma_f64 v[145:146], v[4:5], v[26:27], v[153:154]
	v_fma_f64 v[26:27], v[2:3], v[26:27], -v[28:29]
	v_add_f64 v[28:29], v[24:25], v[22:23]
	v_add_f64 v[135:136], v[135:136], v[137:138]
	ds_load_b128 v[2:5], v1 offset:784
	ds_load_b128 v[22:25], v1 offset:800
	v_fma_f64 v[141:142], v[141:142], v[30:31], v[143:144]
	v_fma_f64 v[30:31], v[139:140], v[30:31], -v[32:33]
	s_waitcnt vmcnt(6) lgkmcnt(1)
	v_mul_f64 v[137:138], v[2:3], v[125:126]
	v_mul_f64 v[125:126], v[4:5], v[125:126]
	s_waitcnt vmcnt(5) lgkmcnt(0)
	v_mul_f64 v[32:33], v[22:23], v[133:134]
	v_mul_f64 v[133:134], v[24:25], v[133:134]
	v_add_f64 v[26:27], v[28:29], v[26:27]
	v_add_f64 v[28:29], v[135:136], v[145:146]
	v_fma_f64 v[135:136], v[4:5], v[123:124], v[137:138]
	v_fma_f64 v[123:124], v[2:3], v[123:124], -v[125:126]
	v_fma_f64 v[24:25], v[24:25], v[131:132], v[32:33]
	v_fma_f64 v[22:23], v[22:23], v[131:132], -v[133:134]
	v_add_f64 v[30:31], v[26:27], v[30:31]
	v_add_f64 v[125:126], v[28:29], v[141:142]
	ds_load_b128 v[2:5], v1 offset:816
	ds_load_b128 v[26:29], v1 offset:832
	s_waitcnt vmcnt(4) lgkmcnt(1)
	v_mul_f64 v[137:138], v[2:3], v[36:37]
	v_mul_f64 v[36:37], v[4:5], v[36:37]
	v_add_f64 v[30:31], v[30:31], v[123:124]
	v_add_f64 v[32:33], v[125:126], v[135:136]
	s_waitcnt vmcnt(3) lgkmcnt(0)
	v_mul_f64 v[123:124], v[26:27], v[8:9]
	v_mul_f64 v[8:9], v[28:29], v[8:9]
	v_fma_f64 v[125:126], v[4:5], v[34:35], v[137:138]
	v_fma_f64 v[34:35], v[2:3], v[34:35], -v[36:37]
	v_add_f64 v[30:31], v[30:31], v[22:23]
	v_add_f64 v[32:33], v[32:33], v[24:25]
	ds_load_b128 v[2:5], v1 offset:848
	ds_load_b128 v[22:25], v1 offset:864
	v_fma_f64 v[28:29], v[28:29], v[6:7], v[123:124]
	v_fma_f64 v[6:7], v[26:27], v[6:7], -v[8:9]
	s_waitcnt vmcnt(2) lgkmcnt(1)
	v_mul_f64 v[36:37], v[2:3], v[12:13]
	v_mul_f64 v[12:13], v[4:5], v[12:13]
	v_add_f64 v[8:9], v[30:31], v[34:35]
	v_add_f64 v[26:27], v[32:33], v[125:126]
	s_waitcnt vmcnt(1) lgkmcnt(0)
	v_mul_f64 v[30:31], v[22:23], v[16:17]
	v_mul_f64 v[16:17], v[24:25], v[16:17]
	v_fma_f64 v[32:33], v[4:5], v[10:11], v[36:37]
	v_fma_f64 v[10:11], v[2:3], v[10:11], -v[12:13]
	ds_load_b128 v[2:5], v1 offset:880
	v_add_f64 v[6:7], v[8:9], v[6:7]
	v_add_f64 v[8:9], v[26:27], v[28:29]
	v_fma_f64 v[24:25], v[24:25], v[14:15], v[30:31]
	v_fma_f64 v[14:15], v[22:23], v[14:15], -v[16:17]
	s_waitcnt vmcnt(0) lgkmcnt(0)
	v_mul_f64 v[12:13], v[2:3], v[20:21]
	v_mul_f64 v[20:21], v[4:5], v[20:21]
	v_add_f64 v[6:7], v[6:7], v[10:11]
	v_add_f64 v[8:9], v[8:9], v[32:33]
	s_delay_alu instid0(VALU_DEP_4) | instskip(NEXT) | instid1(VALU_DEP_4)
	v_fma_f64 v[4:5], v[4:5], v[18:19], v[12:13]
	v_fma_f64 v[2:3], v[2:3], v[18:19], -v[20:21]
	s_delay_alu instid0(VALU_DEP_4) | instskip(NEXT) | instid1(VALU_DEP_4)
	v_add_f64 v[6:7], v[6:7], v[14:15]
	v_add_f64 v[8:9], v[8:9], v[24:25]
	s_delay_alu instid0(VALU_DEP_2) | instskip(NEXT) | instid1(VALU_DEP_2)
	v_add_f64 v[2:3], v[6:7], v[2:3]
	v_add_f64 v[4:5], v[8:9], v[4:5]
	s_delay_alu instid0(VALU_DEP_2) | instskip(NEXT) | instid1(VALU_DEP_2)
	v_add_f64 v[2:3], v[127:128], -v[2:3]
	v_add_f64 v[4:5], v[129:130], -v[4:5]
	scratch_store_b128 off, v[2:5], off offset:32
	v_cmpx_lt_u32_e32 1, v94
	s_cbranch_execz .LBB27_179
; %bb.178:
	scratch_load_b128 v[5:8], v98, off
	v_mov_b32_e32 v2, v1
	v_mov_b32_e32 v3, v1
	;; [unrolled: 1-line block ×3, first 2 shown]
	scratch_store_b128 off, v[1:4], off offset:16
	s_waitcnt vmcnt(0)
	ds_store_b128 v122, v[5:8]
.LBB27_179:
	s_or_b32 exec_lo, exec_lo, s2
	s_waitcnt lgkmcnt(0)
	s_waitcnt_vscnt null, 0x0
	s_barrier
	buffer_gl0_inv
	s_clause 0x8
	scratch_load_b128 v[2:5], off, off offset:32
	scratch_load_b128 v[6:9], off, off offset:48
	;; [unrolled: 1-line block ×9, first 2 shown]
	ds_load_b128 v[123:126], v1 offset:480
	ds_load_b128 v[127:130], v1 offset:496
	s_clause 0x1
	scratch_load_b128 v[131:134], off, off offset:16
	scratch_load_b128 v[135:138], off, off offset:176
	s_mov_b32 s2, exec_lo
	s_waitcnt vmcnt(10) lgkmcnt(1)
	v_mul_f64 v[139:140], v[125:126], v[4:5]
	v_mul_f64 v[4:5], v[123:124], v[4:5]
	s_waitcnt vmcnt(9) lgkmcnt(0)
	v_mul_f64 v[143:144], v[127:128], v[8:9]
	v_mul_f64 v[8:9], v[129:130], v[8:9]
	s_delay_alu instid0(VALU_DEP_4) | instskip(NEXT) | instid1(VALU_DEP_4)
	v_fma_f64 v[145:146], v[123:124], v[2:3], -v[139:140]
	v_fma_f64 v[147:148], v[125:126], v[2:3], v[4:5]
	ds_load_b128 v[2:5], v1 offset:512
	ds_load_b128 v[139:142], v1 offset:528
	scratch_load_b128 v[123:126], off, off offset:192
	v_fma_f64 v[129:130], v[129:130], v[6:7], v[143:144]
	v_fma_f64 v[127:128], v[127:128], v[6:7], -v[8:9]
	scratch_load_b128 v[6:9], off, off offset:208
	s_waitcnt vmcnt(10) lgkmcnt(1)
	v_mul_f64 v[149:150], v[2:3], v[12:13]
	v_mul_f64 v[12:13], v[4:5], v[12:13]
	v_add_f64 v[143:144], v[145:146], 0
	v_add_f64 v[145:146], v[147:148], 0
	s_waitcnt vmcnt(9) lgkmcnt(0)
	v_mul_f64 v[147:148], v[139:140], v[16:17]
	v_mul_f64 v[16:17], v[141:142], v[16:17]
	v_fma_f64 v[149:150], v[4:5], v[10:11], v[149:150]
	v_fma_f64 v[151:152], v[2:3], v[10:11], -v[12:13]
	ds_load_b128 v[2:5], v1 offset:544
	scratch_load_b128 v[10:13], off, off offset:224
	v_add_f64 v[143:144], v[143:144], v[127:128]
	v_add_f64 v[145:146], v[145:146], v[129:130]
	ds_load_b128 v[127:130], v1 offset:560
	v_fma_f64 v[141:142], v[141:142], v[14:15], v[147:148]
	v_fma_f64 v[139:140], v[139:140], v[14:15], -v[16:17]
	scratch_load_b128 v[14:17], off, off offset:240
	s_waitcnt vmcnt(10) lgkmcnt(1)
	v_mul_f64 v[153:154], v[2:3], v[20:21]
	v_mul_f64 v[20:21], v[4:5], v[20:21]
	s_waitcnt vmcnt(9) lgkmcnt(0)
	v_mul_f64 v[147:148], v[127:128], v[24:25]
	v_mul_f64 v[24:25], v[129:130], v[24:25]
	v_add_f64 v[143:144], v[143:144], v[151:152]
	v_add_f64 v[145:146], v[145:146], v[149:150]
	v_fma_f64 v[149:150], v[4:5], v[18:19], v[153:154]
	v_fma_f64 v[151:152], v[2:3], v[18:19], -v[20:21]
	ds_load_b128 v[2:5], v1 offset:576
	scratch_load_b128 v[18:21], off, off offset:256
	v_fma_f64 v[129:130], v[129:130], v[22:23], v[147:148]
	v_fma_f64 v[127:128], v[127:128], v[22:23], -v[24:25]
	scratch_load_b128 v[22:25], off, off offset:272
	v_add_f64 v[143:144], v[143:144], v[139:140]
	v_add_f64 v[145:146], v[145:146], v[141:142]
	ds_load_b128 v[139:142], v1 offset:592
	s_waitcnt vmcnt(10) lgkmcnt(1)
	v_mul_f64 v[153:154], v[2:3], v[28:29]
	v_mul_f64 v[28:29], v[4:5], v[28:29]
	s_waitcnt vmcnt(9) lgkmcnt(0)
	v_mul_f64 v[147:148], v[139:140], v[32:33]
	v_mul_f64 v[32:33], v[141:142], v[32:33]
	v_add_f64 v[143:144], v[143:144], v[151:152]
	v_add_f64 v[145:146], v[145:146], v[149:150]
	v_fma_f64 v[149:150], v[4:5], v[26:27], v[153:154]
	v_fma_f64 v[151:152], v[2:3], v[26:27], -v[28:29]
	ds_load_b128 v[2:5], v1 offset:608
	scratch_load_b128 v[26:29], off, off offset:288
	v_fma_f64 v[141:142], v[141:142], v[30:31], v[147:148]
	v_fma_f64 v[139:140], v[139:140], v[30:31], -v[32:33]
	scratch_load_b128 v[30:33], off, off offset:304
	v_add_f64 v[143:144], v[143:144], v[127:128]
	v_add_f64 v[145:146], v[145:146], v[129:130]
	ds_load_b128 v[127:130], v1 offset:624
	s_waitcnt vmcnt(10) lgkmcnt(1)
	v_mul_f64 v[153:154], v[2:3], v[36:37]
	v_mul_f64 v[36:37], v[4:5], v[36:37]
	s_waitcnt vmcnt(8) lgkmcnt(0)
	v_mul_f64 v[147:148], v[127:128], v[137:138]
	v_add_f64 v[143:144], v[143:144], v[151:152]
	v_add_f64 v[145:146], v[145:146], v[149:150]
	v_mul_f64 v[149:150], v[129:130], v[137:138]
	v_fma_f64 v[151:152], v[4:5], v[34:35], v[153:154]
	v_fma_f64 v[153:154], v[2:3], v[34:35], -v[36:37]
	ds_load_b128 v[2:5], v1 offset:640
	scratch_load_b128 v[34:37], off, off offset:320
	v_fma_f64 v[129:130], v[129:130], v[135:136], v[147:148]
	v_add_f64 v[143:144], v[143:144], v[139:140]
	v_add_f64 v[141:142], v[145:146], v[141:142]
	ds_load_b128 v[137:140], v1 offset:656
	v_fma_f64 v[135:136], v[127:128], v[135:136], -v[149:150]
	s_waitcnt vmcnt(8) lgkmcnt(1)
	v_mul_f64 v[145:146], v[2:3], v[125:126]
	v_mul_f64 v[155:156], v[4:5], v[125:126]
	scratch_load_b128 v[125:128], off, off offset:336
	s_waitcnt vmcnt(8) lgkmcnt(0)
	v_mul_f64 v[149:150], v[137:138], v[8:9]
	v_mul_f64 v[8:9], v[139:140], v[8:9]
	v_add_f64 v[143:144], v[143:144], v[153:154]
	v_add_f64 v[141:142], v[141:142], v[151:152]
	v_fma_f64 v[151:152], v[4:5], v[123:124], v[145:146]
	v_fma_f64 v[123:124], v[2:3], v[123:124], -v[155:156]
	ds_load_b128 v[2:5], v1 offset:672
	ds_load_b128 v[145:148], v1 offset:688
	v_fma_f64 v[139:140], v[139:140], v[6:7], v[149:150]
	v_fma_f64 v[137:138], v[137:138], v[6:7], -v[8:9]
	scratch_load_b128 v[6:9], off, off offset:368
	v_add_f64 v[135:136], v[143:144], v[135:136]
	v_add_f64 v[129:130], v[141:142], v[129:130]
	scratch_load_b128 v[141:144], off, off offset:352
	s_waitcnt vmcnt(9) lgkmcnt(1)
	v_mul_f64 v[153:154], v[2:3], v[12:13]
	v_mul_f64 v[12:13], v[4:5], v[12:13]
	s_waitcnt vmcnt(8) lgkmcnt(0)
	v_mul_f64 v[149:150], v[145:146], v[16:17]
	v_mul_f64 v[16:17], v[147:148], v[16:17]
	v_add_f64 v[123:124], v[135:136], v[123:124]
	v_add_f64 v[129:130], v[129:130], v[151:152]
	v_fma_f64 v[151:152], v[4:5], v[10:11], v[153:154]
	v_fma_f64 v[153:154], v[2:3], v[10:11], -v[12:13]
	ds_load_b128 v[2:5], v1 offset:704
	scratch_load_b128 v[10:13], off, off offset:384
	v_fma_f64 v[147:148], v[147:148], v[14:15], v[149:150]
	v_fma_f64 v[145:146], v[145:146], v[14:15], -v[16:17]
	scratch_load_b128 v[14:17], off, off offset:400
	v_add_f64 v[123:124], v[123:124], v[137:138]
	v_add_f64 v[129:130], v[129:130], v[139:140]
	ds_load_b128 v[135:138], v1 offset:720
	s_waitcnt vmcnt(9) lgkmcnt(1)
	v_mul_f64 v[139:140], v[2:3], v[20:21]
	v_mul_f64 v[20:21], v[4:5], v[20:21]
	s_waitcnt vmcnt(8) lgkmcnt(0)
	v_mul_f64 v[149:150], v[135:136], v[24:25]
	v_mul_f64 v[24:25], v[137:138], v[24:25]
	v_add_f64 v[123:124], v[123:124], v[153:154]
	v_add_f64 v[129:130], v[129:130], v[151:152]
	v_fma_f64 v[139:140], v[4:5], v[18:19], v[139:140]
	v_fma_f64 v[151:152], v[2:3], v[18:19], -v[20:21]
	ds_load_b128 v[2:5], v1 offset:736
	scratch_load_b128 v[18:21], off, off offset:416
	v_fma_f64 v[137:138], v[137:138], v[22:23], v[149:150]
	v_fma_f64 v[135:136], v[135:136], v[22:23], -v[24:25]
	scratch_load_b128 v[22:25], off, off offset:432
	v_add_f64 v[123:124], v[123:124], v[145:146]
	v_add_f64 v[129:130], v[129:130], v[147:148]
	ds_load_b128 v[145:148], v1 offset:752
	s_waitcnt vmcnt(9) lgkmcnt(1)
	v_mul_f64 v[153:154], v[2:3], v[28:29]
	v_mul_f64 v[28:29], v[4:5], v[28:29]
	v_add_f64 v[123:124], v[123:124], v[151:152]
	v_add_f64 v[129:130], v[129:130], v[139:140]
	s_waitcnt vmcnt(8) lgkmcnt(0)
	v_mul_f64 v[139:140], v[145:146], v[32:33]
	v_mul_f64 v[32:33], v[147:148], v[32:33]
	v_fma_f64 v[149:150], v[4:5], v[26:27], v[153:154]
	v_fma_f64 v[151:152], v[2:3], v[26:27], -v[28:29]
	ds_load_b128 v[2:5], v1 offset:768
	ds_load_b128 v[26:29], v1 offset:784
	v_add_f64 v[123:124], v[123:124], v[135:136]
	v_add_f64 v[129:130], v[129:130], v[137:138]
	s_waitcnt vmcnt(7) lgkmcnt(1)
	v_mul_f64 v[135:136], v[2:3], v[36:37]
	v_mul_f64 v[36:37], v[4:5], v[36:37]
	v_fma_f64 v[137:138], v[147:148], v[30:31], v[139:140]
	v_fma_f64 v[30:31], v[145:146], v[30:31], -v[32:33]
	v_add_f64 v[32:33], v[123:124], v[151:152]
	v_add_f64 v[123:124], v[129:130], v[149:150]
	s_waitcnt vmcnt(6) lgkmcnt(0)
	v_mul_f64 v[129:130], v[26:27], v[127:128]
	v_mul_f64 v[127:128], v[28:29], v[127:128]
	v_fma_f64 v[135:136], v[4:5], v[34:35], v[135:136]
	v_fma_f64 v[34:35], v[2:3], v[34:35], -v[36:37]
	v_add_f64 v[36:37], v[32:33], v[30:31]
	v_add_f64 v[123:124], v[123:124], v[137:138]
	ds_load_b128 v[2:5], v1 offset:800
	ds_load_b128 v[30:33], v1 offset:816
	v_fma_f64 v[28:29], v[28:29], v[125:126], v[129:130]
	v_fma_f64 v[26:27], v[26:27], v[125:126], -v[127:128]
	s_waitcnt vmcnt(4) lgkmcnt(1)
	v_mul_f64 v[137:138], v[2:3], v[143:144]
	v_mul_f64 v[139:140], v[4:5], v[143:144]
	v_add_f64 v[34:35], v[36:37], v[34:35]
	v_add_f64 v[36:37], v[123:124], v[135:136]
	s_waitcnt lgkmcnt(0)
	v_mul_f64 v[123:124], v[30:31], v[8:9]
	v_mul_f64 v[8:9], v[32:33], v[8:9]
	v_fma_f64 v[125:126], v[4:5], v[141:142], v[137:138]
	v_fma_f64 v[127:128], v[2:3], v[141:142], -v[139:140]
	v_add_f64 v[34:35], v[34:35], v[26:27]
	v_add_f64 v[36:37], v[36:37], v[28:29]
	ds_load_b128 v[2:5], v1 offset:832
	ds_load_b128 v[26:29], v1 offset:848
	v_fma_f64 v[32:33], v[32:33], v[6:7], v[123:124]
	v_fma_f64 v[6:7], v[30:31], v[6:7], -v[8:9]
	s_waitcnt vmcnt(3) lgkmcnt(1)
	v_mul_f64 v[129:130], v[2:3], v[12:13]
	v_mul_f64 v[12:13], v[4:5], v[12:13]
	v_add_f64 v[8:9], v[34:35], v[127:128]
	v_add_f64 v[30:31], v[36:37], v[125:126]
	s_waitcnt vmcnt(2) lgkmcnt(0)
	v_mul_f64 v[34:35], v[26:27], v[16:17]
	v_mul_f64 v[16:17], v[28:29], v[16:17]
	v_fma_f64 v[36:37], v[4:5], v[10:11], v[129:130]
	v_fma_f64 v[10:11], v[2:3], v[10:11], -v[12:13]
	v_add_f64 v[12:13], v[8:9], v[6:7]
	v_add_f64 v[30:31], v[30:31], v[32:33]
	ds_load_b128 v[2:5], v1 offset:864
	ds_load_b128 v[6:9], v1 offset:880
	v_fma_f64 v[28:29], v[28:29], v[14:15], v[34:35]
	v_fma_f64 v[14:15], v[26:27], v[14:15], -v[16:17]
	s_waitcnt vmcnt(1) lgkmcnt(1)
	v_mul_f64 v[32:33], v[2:3], v[20:21]
	v_mul_f64 v[20:21], v[4:5], v[20:21]
	s_waitcnt vmcnt(0) lgkmcnt(0)
	v_mul_f64 v[16:17], v[6:7], v[24:25]
	v_mul_f64 v[24:25], v[8:9], v[24:25]
	v_add_f64 v[10:11], v[12:13], v[10:11]
	v_add_f64 v[12:13], v[30:31], v[36:37]
	v_fma_f64 v[4:5], v[4:5], v[18:19], v[32:33]
	v_fma_f64 v[1:2], v[2:3], v[18:19], -v[20:21]
	v_fma_f64 v[8:9], v[8:9], v[22:23], v[16:17]
	v_fma_f64 v[6:7], v[6:7], v[22:23], -v[24:25]
	v_add_f64 v[10:11], v[10:11], v[14:15]
	v_add_f64 v[12:13], v[12:13], v[28:29]
	s_delay_alu instid0(VALU_DEP_2) | instskip(NEXT) | instid1(VALU_DEP_2)
	v_add_f64 v[1:2], v[10:11], v[1:2]
	v_add_f64 v[3:4], v[12:13], v[4:5]
	s_delay_alu instid0(VALU_DEP_2) | instskip(NEXT) | instid1(VALU_DEP_2)
	;; [unrolled: 3-line block ×3, first 2 shown]
	v_add_f64 v[1:2], v[131:132], -v[1:2]
	v_add_f64 v[3:4], v[133:134], -v[3:4]
	scratch_store_b128 off, v[1:4], off offset:16
	v_cmpx_ne_u32_e32 0, v94
	s_cbranch_execz .LBB27_181
; %bb.180:
	scratch_load_b128 v[1:4], off, off
	v_mov_b32_e32 v5, 0
	s_delay_alu instid0(VALU_DEP_1)
	v_mov_b32_e32 v6, v5
	v_mov_b32_e32 v7, v5
	;; [unrolled: 1-line block ×3, first 2 shown]
	scratch_store_b128 off, v[5:8], off
	s_waitcnt vmcnt(0)
	ds_store_b128 v122, v[1:4]
.LBB27_181:
	s_or_b32 exec_lo, exec_lo, s2
	s_waitcnt lgkmcnt(0)
	s_waitcnt_vscnt null, 0x0
	s_barrier
	buffer_gl0_inv
	s_clause 0x7
	scratch_load_b128 v[1:4], off, off offset:16
	scratch_load_b128 v[5:8], off, off offset:32
	;; [unrolled: 1-line block ×8, first 2 shown]
	v_mov_b32_e32 v37, 0
	s_and_b32 vcc_lo, exec_lo, s20
	ds_load_b128 v[122:125], v37 offset:464
	s_clause 0x1
	scratch_load_b128 v[33:36], off, off offset:144
	scratch_load_b128 v[126:129], off, off
	ds_load_b128 v[130:133], v37 offset:480
	scratch_load_b128 v[134:137], off, off offset:160
	s_waitcnt vmcnt(10) lgkmcnt(1)
	v_mul_f64 v[138:139], v[124:125], v[3:4]
	v_mul_f64 v[3:4], v[122:123], v[3:4]
	s_delay_alu instid0(VALU_DEP_2) | instskip(NEXT) | instid1(VALU_DEP_2)
	v_fma_f64 v[144:145], v[122:123], v[1:2], -v[138:139]
	v_fma_f64 v[146:147], v[124:125], v[1:2], v[3:4]
	scratch_load_b128 v[122:125], off, off offset:176
	ds_load_b128 v[1:4], v37 offset:496
	s_waitcnt vmcnt(10) lgkmcnt(1)
	v_mul_f64 v[142:143], v[130:131], v[7:8]
	v_mul_f64 v[7:8], v[132:133], v[7:8]
	ds_load_b128 v[138:141], v37 offset:512
	s_waitcnt vmcnt(9) lgkmcnt(1)
	v_mul_f64 v[148:149], v[1:2], v[11:12]
	v_mul_f64 v[11:12], v[3:4], v[11:12]
	v_fma_f64 v[132:133], v[132:133], v[5:6], v[142:143]
	v_fma_f64 v[130:131], v[130:131], v[5:6], -v[7:8]
	v_add_f64 v[142:143], v[144:145], 0
	v_add_f64 v[144:145], v[146:147], 0
	scratch_load_b128 v[5:8], off, off offset:192
	v_fma_f64 v[148:149], v[3:4], v[9:10], v[148:149]
	v_fma_f64 v[150:151], v[1:2], v[9:10], -v[11:12]
	scratch_load_b128 v[9:12], off, off offset:208
	ds_load_b128 v[1:4], v37 offset:528
	s_waitcnt vmcnt(10) lgkmcnt(1)
	v_mul_f64 v[146:147], v[138:139], v[15:16]
	v_mul_f64 v[15:16], v[140:141], v[15:16]
	v_add_f64 v[142:143], v[142:143], v[130:131]
	v_add_f64 v[144:145], v[144:145], v[132:133]
	s_waitcnt vmcnt(9) lgkmcnt(0)
	v_mul_f64 v[152:153], v[1:2], v[19:20]
	v_mul_f64 v[19:20], v[3:4], v[19:20]
	ds_load_b128 v[130:133], v37 offset:544
	v_fma_f64 v[140:141], v[140:141], v[13:14], v[146:147]
	v_fma_f64 v[138:139], v[138:139], v[13:14], -v[15:16]
	scratch_load_b128 v[13:16], off, off offset:224
	v_add_f64 v[142:143], v[142:143], v[150:151]
	v_add_f64 v[144:145], v[144:145], v[148:149]
	v_fma_f64 v[148:149], v[3:4], v[17:18], v[152:153]
	v_fma_f64 v[150:151], v[1:2], v[17:18], -v[19:20]
	scratch_load_b128 v[17:20], off, off offset:240
	ds_load_b128 v[1:4], v37 offset:560
	s_waitcnt vmcnt(10) lgkmcnt(1)
	v_mul_f64 v[146:147], v[130:131], v[23:24]
	v_mul_f64 v[23:24], v[132:133], v[23:24]
	s_waitcnt vmcnt(9) lgkmcnt(0)
	v_mul_f64 v[152:153], v[1:2], v[27:28]
	v_mul_f64 v[27:28], v[3:4], v[27:28]
	v_add_f64 v[142:143], v[142:143], v[138:139]
	v_add_f64 v[144:145], v[144:145], v[140:141]
	ds_load_b128 v[138:141], v37 offset:576
	v_fma_f64 v[132:133], v[132:133], v[21:22], v[146:147]
	v_fma_f64 v[130:131], v[130:131], v[21:22], -v[23:24]
	scratch_load_b128 v[21:24], off, off offset:256
	v_add_f64 v[142:143], v[142:143], v[150:151]
	v_add_f64 v[144:145], v[144:145], v[148:149]
	v_fma_f64 v[148:149], v[3:4], v[25:26], v[152:153]
	v_fma_f64 v[150:151], v[1:2], v[25:26], -v[27:28]
	scratch_load_b128 v[25:28], off, off offset:272
	ds_load_b128 v[1:4], v37 offset:592
	s_waitcnt vmcnt(10) lgkmcnt(1)
	v_mul_f64 v[146:147], v[138:139], v[31:32]
	v_mul_f64 v[31:32], v[140:141], v[31:32]
	s_waitcnt vmcnt(9) lgkmcnt(0)
	v_mul_f64 v[152:153], v[1:2], v[35:36]
	v_mul_f64 v[35:36], v[3:4], v[35:36]
	v_add_f64 v[142:143], v[142:143], v[130:131]
	v_add_f64 v[144:145], v[144:145], v[132:133]
	ds_load_b128 v[130:133], v37 offset:608
	v_fma_f64 v[140:141], v[140:141], v[29:30], v[146:147]
	v_fma_f64 v[138:139], v[138:139], v[29:30], -v[31:32]
	scratch_load_b128 v[29:32], off, off offset:288
	v_add_f64 v[142:143], v[142:143], v[150:151]
	v_add_f64 v[144:145], v[144:145], v[148:149]
	v_fma_f64 v[150:151], v[3:4], v[33:34], v[152:153]
	v_fma_f64 v[152:153], v[1:2], v[33:34], -v[35:36]
	scratch_load_b128 v[33:36], off, off offset:304
	ds_load_b128 v[1:4], v37 offset:624
	s_waitcnt vmcnt(9) lgkmcnt(1)
	v_mul_f64 v[146:147], v[130:131], v[136:137]
	v_mul_f64 v[148:149], v[132:133], v[136:137]
	v_add_f64 v[142:143], v[142:143], v[138:139]
	v_add_f64 v[140:141], v[144:145], v[140:141]
	ds_load_b128 v[136:139], v37 offset:640
	v_fma_f64 v[146:147], v[132:133], v[134:135], v[146:147]
	v_fma_f64 v[134:135], v[130:131], v[134:135], -v[148:149]
	scratch_load_b128 v[130:133], off, off offset:320
	s_waitcnt vmcnt(9) lgkmcnt(1)
	v_mul_f64 v[144:145], v[1:2], v[124:125]
	v_mul_f64 v[124:125], v[3:4], v[124:125]
	v_add_f64 v[142:143], v[142:143], v[152:153]
	v_add_f64 v[140:141], v[140:141], v[150:151]
	s_delay_alu instid0(VALU_DEP_4) | instskip(NEXT) | instid1(VALU_DEP_4)
	v_fma_f64 v[144:145], v[3:4], v[122:123], v[144:145]
	v_fma_f64 v[150:151], v[1:2], v[122:123], -v[124:125]
	scratch_load_b128 v[122:125], off, off offset:336
	ds_load_b128 v[1:4], v37 offset:656
	s_waitcnt vmcnt(9) lgkmcnt(1)
	v_mul_f64 v[148:149], v[136:137], v[7:8]
	v_mul_f64 v[7:8], v[138:139], v[7:8]
	s_waitcnt vmcnt(8) lgkmcnt(0)
	v_mul_f64 v[152:153], v[1:2], v[11:12]
	v_mul_f64 v[11:12], v[3:4], v[11:12]
	v_add_f64 v[134:135], v[142:143], v[134:135]
	v_add_f64 v[146:147], v[140:141], v[146:147]
	ds_load_b128 v[140:143], v37 offset:672
	v_fma_f64 v[138:139], v[138:139], v[5:6], v[148:149]
	v_fma_f64 v[136:137], v[136:137], v[5:6], -v[7:8]
	scratch_load_b128 v[5:8], off, off offset:352
	v_fma_f64 v[148:149], v[3:4], v[9:10], v[152:153]
	v_add_f64 v[134:135], v[134:135], v[150:151]
	v_add_f64 v[144:145], v[146:147], v[144:145]
	v_fma_f64 v[150:151], v[1:2], v[9:10], -v[11:12]
	scratch_load_b128 v[9:12], off, off offset:368
	ds_load_b128 v[1:4], v37 offset:688
	s_waitcnt vmcnt(9) lgkmcnt(1)
	v_mul_f64 v[146:147], v[140:141], v[15:16]
	v_mul_f64 v[15:16], v[142:143], v[15:16]
	v_add_f64 v[152:153], v[134:135], v[136:137]
	v_add_f64 v[138:139], v[144:145], v[138:139]
	s_waitcnt vmcnt(8) lgkmcnt(0)
	v_mul_f64 v[144:145], v[1:2], v[19:20]
	v_mul_f64 v[19:20], v[3:4], v[19:20]
	ds_load_b128 v[134:137], v37 offset:704
	v_fma_f64 v[142:143], v[142:143], v[13:14], v[146:147]
	v_fma_f64 v[140:141], v[140:141], v[13:14], -v[15:16]
	scratch_load_b128 v[13:16], off, off offset:384
	v_add_f64 v[146:147], v[152:153], v[150:151]
	v_add_f64 v[138:139], v[138:139], v[148:149]
	v_fma_f64 v[144:145], v[3:4], v[17:18], v[144:145]
	v_fma_f64 v[150:151], v[1:2], v[17:18], -v[19:20]
	scratch_load_b128 v[17:20], off, off offset:400
	ds_load_b128 v[1:4], v37 offset:720
	s_waitcnt vmcnt(9) lgkmcnt(1)
	v_mul_f64 v[148:149], v[134:135], v[23:24]
	v_mul_f64 v[23:24], v[136:137], v[23:24]
	s_waitcnt vmcnt(8) lgkmcnt(0)
	v_mul_f64 v[152:153], v[1:2], v[27:28]
	v_mul_f64 v[27:28], v[3:4], v[27:28]
	v_add_f64 v[146:147], v[146:147], v[140:141]
	v_add_f64 v[142:143], v[138:139], v[142:143]
	ds_load_b128 v[138:141], v37 offset:736
	v_fma_f64 v[136:137], v[136:137], v[21:22], v[148:149]
	v_fma_f64 v[134:135], v[134:135], v[21:22], -v[23:24]
	scratch_load_b128 v[21:24], off, off offset:416
	v_fma_f64 v[148:149], v[3:4], v[25:26], v[152:153]
	v_add_f64 v[146:147], v[146:147], v[150:151]
	v_add_f64 v[142:143], v[142:143], v[144:145]
	v_fma_f64 v[150:151], v[1:2], v[25:26], -v[27:28]
	scratch_load_b128 v[25:28], off, off offset:432
	ds_load_b128 v[1:4], v37 offset:752
	s_waitcnt vmcnt(9) lgkmcnt(1)
	v_mul_f64 v[144:145], v[138:139], v[31:32]
	v_mul_f64 v[31:32], v[140:141], v[31:32]
	s_waitcnt vmcnt(8) lgkmcnt(0)
	v_mul_f64 v[152:153], v[1:2], v[35:36]
	v_mul_f64 v[35:36], v[3:4], v[35:36]
	v_add_f64 v[146:147], v[146:147], v[134:135]
	v_add_f64 v[142:143], v[142:143], v[136:137]
	ds_load_b128 v[134:137], v37 offset:768
	v_fma_f64 v[140:141], v[140:141], v[29:30], v[144:145]
	v_fma_f64 v[29:30], v[138:139], v[29:30], -v[31:32]
	v_fma_f64 v[144:145], v[3:4], v[33:34], v[152:153]
	v_fma_f64 v[33:34], v[1:2], v[33:34], -v[35:36]
	v_add_f64 v[31:32], v[146:147], v[150:151]
	v_add_f64 v[138:139], v[142:143], v[148:149]
	s_waitcnt vmcnt(7) lgkmcnt(0)
	v_mul_f64 v[142:143], v[134:135], v[132:133]
	v_mul_f64 v[132:133], v[136:137], v[132:133]
	s_delay_alu instid0(VALU_DEP_4) | instskip(NEXT) | instid1(VALU_DEP_4)
	v_add_f64 v[35:36], v[31:32], v[29:30]
	v_add_f64 v[138:139], v[138:139], v[140:141]
	ds_load_b128 v[1:4], v37 offset:784
	ds_load_b128 v[29:32], v37 offset:800
	v_fma_f64 v[136:137], v[136:137], v[130:131], v[142:143]
	v_fma_f64 v[130:131], v[134:135], v[130:131], -v[132:133]
	s_waitcnt vmcnt(6) lgkmcnt(1)
	v_mul_f64 v[140:141], v[1:2], v[124:125]
	v_mul_f64 v[124:125], v[3:4], v[124:125]
	s_waitcnt vmcnt(5) lgkmcnt(0)
	v_mul_f64 v[132:133], v[29:30], v[7:8]
	v_mul_f64 v[7:8], v[31:32], v[7:8]
	v_add_f64 v[33:34], v[35:36], v[33:34]
	v_add_f64 v[35:36], v[138:139], v[144:145]
	v_fma_f64 v[134:135], v[3:4], v[122:123], v[140:141]
	v_fma_f64 v[122:123], v[1:2], v[122:123], -v[124:125]
	v_fma_f64 v[31:32], v[31:32], v[5:6], v[132:133]
	v_fma_f64 v[5:6], v[29:30], v[5:6], -v[7:8]
	v_add_f64 v[124:125], v[33:34], v[130:131]
	v_add_f64 v[130:131], v[35:36], v[136:137]
	ds_load_b128 v[1:4], v37 offset:816
	ds_load_b128 v[33:36], v37 offset:832
	s_waitcnt vmcnt(4) lgkmcnt(1)
	v_mul_f64 v[136:137], v[1:2], v[11:12]
	v_mul_f64 v[11:12], v[3:4], v[11:12]
	v_add_f64 v[7:8], v[124:125], v[122:123]
	v_add_f64 v[29:30], v[130:131], v[134:135]
	s_waitcnt vmcnt(3) lgkmcnt(0)
	v_mul_f64 v[122:123], v[33:34], v[15:16]
	v_mul_f64 v[15:16], v[35:36], v[15:16]
	v_fma_f64 v[124:125], v[3:4], v[9:10], v[136:137]
	v_fma_f64 v[9:10], v[1:2], v[9:10], -v[11:12]
	v_add_f64 v[11:12], v[7:8], v[5:6]
	v_add_f64 v[29:30], v[29:30], v[31:32]
	ds_load_b128 v[1:4], v37 offset:848
	ds_load_b128 v[5:8], v37 offset:864
	v_fma_f64 v[35:36], v[35:36], v[13:14], v[122:123]
	v_fma_f64 v[13:14], v[33:34], v[13:14], -v[15:16]
	s_waitcnt vmcnt(2) lgkmcnt(1)
	v_mul_f64 v[31:32], v[1:2], v[19:20]
	v_mul_f64 v[19:20], v[3:4], v[19:20]
	s_waitcnt vmcnt(1) lgkmcnt(0)
	v_mul_f64 v[15:16], v[5:6], v[23:24]
	v_mul_f64 v[23:24], v[7:8], v[23:24]
	v_add_f64 v[9:10], v[11:12], v[9:10]
	v_add_f64 v[11:12], v[29:30], v[124:125]
	v_fma_f64 v[29:30], v[3:4], v[17:18], v[31:32]
	v_fma_f64 v[17:18], v[1:2], v[17:18], -v[19:20]
	ds_load_b128 v[1:4], v37 offset:880
	v_fma_f64 v[7:8], v[7:8], v[21:22], v[15:16]
	v_fma_f64 v[5:6], v[5:6], v[21:22], -v[23:24]
	v_add_f64 v[9:10], v[9:10], v[13:14]
	v_add_f64 v[11:12], v[11:12], v[35:36]
	s_waitcnt vmcnt(0) lgkmcnt(0)
	v_mul_f64 v[13:14], v[1:2], v[27:28]
	v_mul_f64 v[19:20], v[3:4], v[27:28]
	s_delay_alu instid0(VALU_DEP_4) | instskip(NEXT) | instid1(VALU_DEP_4)
	v_add_f64 v[9:10], v[9:10], v[17:18]
	v_add_f64 v[11:12], v[11:12], v[29:30]
	s_delay_alu instid0(VALU_DEP_4) | instskip(NEXT) | instid1(VALU_DEP_4)
	v_fma_f64 v[3:4], v[3:4], v[25:26], v[13:14]
	v_fma_f64 v[1:2], v[1:2], v[25:26], -v[19:20]
	s_delay_alu instid0(VALU_DEP_4) | instskip(NEXT) | instid1(VALU_DEP_4)
	v_add_f64 v[5:6], v[9:10], v[5:6]
	v_add_f64 v[7:8], v[11:12], v[7:8]
	s_delay_alu instid0(VALU_DEP_2) | instskip(NEXT) | instid1(VALU_DEP_2)
	v_add_f64 v[1:2], v[5:6], v[1:2]
	v_add_f64 v[3:4], v[7:8], v[3:4]
	s_delay_alu instid0(VALU_DEP_2) | instskip(NEXT) | instid1(VALU_DEP_2)
	v_add_f64 v[1:2], v[126:127], -v[1:2]
	v_add_f64 v[3:4], v[128:129], -v[3:4]
	scratch_store_b128 off, v[1:4], off
	s_cbranch_vccz .LBB27_237
; %bb.182:
	v_dual_mov_b32 v1, s16 :: v_dual_mov_b32 v2, s17
	s_load_b64 s[0:1], s[0:1], 0x4
	flat_load_b32 v1, v[1:2] offset:104
	v_bfe_u32 v2, v0, 10, 10
	v_bfe_u32 v0, v0, 20, 10
	s_waitcnt lgkmcnt(0)
	s_lshr_b32 s0, s0, 16
	s_delay_alu instid0(VALU_DEP_2) | instskip(SKIP_1) | instid1(SALU_CYCLE_1)
	v_mul_u32_u24_e32 v2, s1, v2
	s_mul_i32 s0, s0, s1
	v_mul_u32_u24_e32 v3, s0, v94
	s_mov_b32 s0, exec_lo
	s_delay_alu instid0(VALU_DEP_1) | instskip(NEXT) | instid1(VALU_DEP_1)
	v_add3_u32 v0, v3, v2, v0
	v_lshl_add_u32 v0, v0, 4, 0x388
	s_waitcnt vmcnt(0)
	v_cmpx_ne_u32_e32 27, v1
	s_cbranch_execz .LBB27_184
; %bb.183:
	v_lshl_add_u32 v9, v1, 4, 0
	s_clause 0x1
	scratch_load_b128 v[1:4], v120, off
	scratch_load_b128 v[5:8], v9, off offset:-16
	s_waitcnt vmcnt(1)
	ds_store_2addr_b64 v0, v[1:2], v[3:4] offset1:1
	s_waitcnt vmcnt(0)
	s_clause 0x1
	scratch_store_b128 v120, v[5:8], off
	scratch_store_b128 v9, v[1:4], off offset:-16
.LBB27_184:
	s_or_b32 exec_lo, exec_lo, s0
	v_dual_mov_b32 v1, s16 :: v_dual_mov_b32 v2, s17
	s_mov_b32 s0, exec_lo
	flat_load_b32 v1, v[1:2] offset:100
	s_waitcnt vmcnt(0) lgkmcnt(0)
	v_cmpx_ne_u32_e32 26, v1
	s_cbranch_execz .LBB27_186
; %bb.185:
	v_lshl_add_u32 v9, v1, 4, 0
	s_clause 0x1
	scratch_load_b128 v[1:4], v121, off
	scratch_load_b128 v[5:8], v9, off offset:-16
	s_waitcnt vmcnt(1)
	ds_store_2addr_b64 v0, v[1:2], v[3:4] offset1:1
	s_waitcnt vmcnt(0)
	s_clause 0x1
	scratch_store_b128 v121, v[5:8], off
	scratch_store_b128 v9, v[1:4], off offset:-16
.LBB27_186:
	s_or_b32 exec_lo, exec_lo, s0
	v_dual_mov_b32 v1, s16 :: v_dual_mov_b32 v2, s17
	s_mov_b32 s0, exec_lo
	flat_load_b32 v1, v[1:2] offset:96
	s_waitcnt vmcnt(0) lgkmcnt(0)
	;; [unrolled: 19-line block ×25, first 2 shown]
	v_cmpx_ne_u32_e32 2, v1
	s_cbranch_execz .LBB27_234
; %bb.233:
	v_lshl_add_u32 v9, v1, 4, 0
	s_clause 0x1
	scratch_load_b128 v[1:4], v98, off
	scratch_load_b128 v[5:8], v9, off offset:-16
	s_waitcnt vmcnt(1)
	ds_store_2addr_b64 v0, v[1:2], v[3:4] offset1:1
	s_waitcnt vmcnt(0)
	s_clause 0x1
	scratch_store_b128 v98, v[5:8], off
	scratch_store_b128 v9, v[1:4], off offset:-16
.LBB27_234:
	s_or_b32 exec_lo, exec_lo, s0
	v_dual_mov_b32 v1, s16 :: v_dual_mov_b32 v2, s17
	s_mov_b32 s0, exec_lo
	flat_load_b32 v1, v[1:2]
	s_waitcnt vmcnt(0) lgkmcnt(0)
	v_cmpx_ne_u32_e32 1, v1
	s_cbranch_execz .LBB27_236
; %bb.235:
	v_lshl_add_u32 v9, v1, 4, 0
	scratch_load_b128 v[1:4], off, off
	scratch_load_b128 v[5:8], v9, off offset:-16
	s_waitcnt vmcnt(1)
	ds_store_2addr_b64 v0, v[1:2], v[3:4] offset1:1
	s_waitcnt vmcnt(0)
	scratch_store_b128 off, v[5:8], off
	scratch_store_b128 v9, v[1:4], off offset:-16
.LBB27_236:
	s_or_b32 exec_lo, exec_lo, s0
.LBB27_237:
	scratch_load_b128 v[0:3], off, off
	s_clause 0x18
	scratch_load_b128 v[4:7], v98, off
	scratch_load_b128 v[8:11], v96, off
	scratch_load_b128 v[12:15], v97, off
	scratch_load_b128 v[16:19], v95, off
	scratch_load_b128 v[20:23], v117, off
	scratch_load_b128 v[24:27], v115, off
	scratch_load_b128 v[28:31], v116, off
	scratch_load_b128 v[32:35], v114, off
	scratch_load_b128 v[94:97], v113, off
	scratch_load_b128 v[113:116], v111, off
	scratch_load_b128 v[122:125], v112, off
	scratch_load_b128 v[126:129], v110, off
	scratch_load_b128 v[109:112], v109, off
	scratch_load_b128 v[130:133], v107, off
	scratch_load_b128 v[134:137], v108, off
	scratch_load_b128 v[138:141], v106, off
	scratch_load_b128 v[105:108], v105, off
	scratch_load_b128 v[142:145], v103, off
	scratch_load_b128 v[146:149], v104, off
	scratch_load_b128 v[150:153], v102, off
	scratch_load_b128 v[101:104], v101, off
	scratch_load_b128 v[154:157], v99, off
	scratch_load_b128 v[158:161], v100, off
	scratch_load_b128 v[162:165], v118, off
	scratch_load_b128 v[166:169], v121, off
	s_waitcnt vmcnt(25)
	global_store_b128 v[38:39], v[0:3], off
	s_clause 0x1
	scratch_load_b128 v[0:3], v120, off
	scratch_load_b128 v[36:39], v119, off
	s_waitcnt vmcnt(26)
	global_store_b128 v[40:41], v[4:7], off
	s_waitcnt vmcnt(25)
	global_store_b128 v[42:43], v[8:11], off
	;; [unrolled: 2-line block ×27, first 2 shown]
	s_endpgm
	.section	.rodata,"a",@progbits
	.p2align	6, 0x0
	.amdhsa_kernel _ZN9rocsolver6v33100L18getri_kernel_smallILi28E19rocblas_complex_numIdEPS3_EEvT1_iilPiilS6_bb
		.amdhsa_group_segment_fixed_size 1928
		.amdhsa_private_segment_fixed_size 464
		.amdhsa_kernarg_size 60
		.amdhsa_user_sgpr_count 15
		.amdhsa_user_sgpr_dispatch_ptr 1
		.amdhsa_user_sgpr_queue_ptr 0
		.amdhsa_user_sgpr_kernarg_segment_ptr 1
		.amdhsa_user_sgpr_dispatch_id 0
		.amdhsa_user_sgpr_private_segment_size 0
		.amdhsa_wavefront_size32 1
		.amdhsa_uses_dynamic_stack 0
		.amdhsa_enable_private_segment 1
		.amdhsa_system_sgpr_workgroup_id_x 1
		.amdhsa_system_sgpr_workgroup_id_y 0
		.amdhsa_system_sgpr_workgroup_id_z 0
		.amdhsa_system_sgpr_workgroup_info 0
		.amdhsa_system_vgpr_workitem_id 2
		.amdhsa_next_free_vgpr 186
		.amdhsa_next_free_sgpr 30
		.amdhsa_reserve_vcc 1
		.amdhsa_float_round_mode_32 0
		.amdhsa_float_round_mode_16_64 0
		.amdhsa_float_denorm_mode_32 3
		.amdhsa_float_denorm_mode_16_64 3
		.amdhsa_dx10_clamp 1
		.amdhsa_ieee_mode 1
		.amdhsa_fp16_overflow 0
		.amdhsa_workgroup_processor_mode 1
		.amdhsa_memory_ordered 1
		.amdhsa_forward_progress 0
		.amdhsa_shared_vgpr_count 0
		.amdhsa_exception_fp_ieee_invalid_op 0
		.amdhsa_exception_fp_denorm_src 0
		.amdhsa_exception_fp_ieee_div_zero 0
		.amdhsa_exception_fp_ieee_overflow 0
		.amdhsa_exception_fp_ieee_underflow 0
		.amdhsa_exception_fp_ieee_inexact 0
		.amdhsa_exception_int_div_zero 0
	.end_amdhsa_kernel
	.section	.text._ZN9rocsolver6v33100L18getri_kernel_smallILi28E19rocblas_complex_numIdEPS3_EEvT1_iilPiilS6_bb,"axG",@progbits,_ZN9rocsolver6v33100L18getri_kernel_smallILi28E19rocblas_complex_numIdEPS3_EEvT1_iilPiilS6_bb,comdat
.Lfunc_end27:
	.size	_ZN9rocsolver6v33100L18getri_kernel_smallILi28E19rocblas_complex_numIdEPS3_EEvT1_iilPiilS6_bb, .Lfunc_end27-_ZN9rocsolver6v33100L18getri_kernel_smallILi28E19rocblas_complex_numIdEPS3_EEvT1_iilPiilS6_bb
                                        ; -- End function
	.section	.AMDGPU.csdata,"",@progbits
; Kernel info:
; codeLenInByte = 43312
; NumSgprs: 32
; NumVgprs: 186
; ScratchSize: 464
; MemoryBound: 0
; FloatMode: 240
; IeeeMode: 1
; LDSByteSize: 1928 bytes/workgroup (compile time only)
; SGPRBlocks: 3
; VGPRBlocks: 23
; NumSGPRsForWavesPerEU: 32
; NumVGPRsForWavesPerEU: 186
; Occupancy: 8
; WaveLimiterHint : 1
; COMPUTE_PGM_RSRC2:SCRATCH_EN: 1
; COMPUTE_PGM_RSRC2:USER_SGPR: 15
; COMPUTE_PGM_RSRC2:TRAP_HANDLER: 0
; COMPUTE_PGM_RSRC2:TGID_X_EN: 1
; COMPUTE_PGM_RSRC2:TGID_Y_EN: 0
; COMPUTE_PGM_RSRC2:TGID_Z_EN: 0
; COMPUTE_PGM_RSRC2:TIDIG_COMP_CNT: 2
	.section	.text._ZN9rocsolver6v33100L18getri_kernel_smallILi29E19rocblas_complex_numIdEPS3_EEvT1_iilPiilS6_bb,"axG",@progbits,_ZN9rocsolver6v33100L18getri_kernel_smallILi29E19rocblas_complex_numIdEPS3_EEvT1_iilPiilS6_bb,comdat
	.globl	_ZN9rocsolver6v33100L18getri_kernel_smallILi29E19rocblas_complex_numIdEPS3_EEvT1_iilPiilS6_bb ; -- Begin function _ZN9rocsolver6v33100L18getri_kernel_smallILi29E19rocblas_complex_numIdEPS3_EEvT1_iilPiilS6_bb
	.p2align	8
	.type	_ZN9rocsolver6v33100L18getri_kernel_smallILi29E19rocblas_complex_numIdEPS3_EEvT1_iilPiilS6_bb,@function
_ZN9rocsolver6v33100L18getri_kernel_smallILi29E19rocblas_complex_numIdEPS3_EEvT1_iilPiilS6_bb: ; @_ZN9rocsolver6v33100L18getri_kernel_smallILi29E19rocblas_complex_numIdEPS3_EEvT1_iilPiilS6_bb
; %bb.0:
	v_and_b32_e32 v100, 0x3ff, v0
	s_mov_b32 s4, exec_lo
	s_delay_alu instid0(VALU_DEP_1)
	v_cmpx_gt_u32_e32 29, v100
	s_cbranch_execz .LBB28_130
; %bb.1:
	s_mov_b32 s18, s15
	s_clause 0x2
	s_load_b32 s21, s[2:3], 0x38
	s_load_b128 s[12:15], s[2:3], 0x10
	s_load_b128 s[4:7], s[2:3], 0x28
                                        ; implicit-def: $sgpr16_sgpr17
	s_waitcnt lgkmcnt(0)
	s_bitcmp1_b32 s21, 8
	s_cselect_b32 s20, -1, 0
	s_bfe_u32 s8, s21, 0x10008
	s_ashr_i32 s19, s18, 31
	s_cmp_eq_u32 s8, 0
	s_cbranch_scc1 .LBB28_3
; %bb.2:
	s_load_b32 s8, s[2:3], 0x20
	s_mul_i32 s5, s18, s5
	s_mul_hi_u32 s9, s18, s4
	s_mul_i32 s10, s19, s4
	s_add_i32 s5, s9, s5
	s_mul_i32 s4, s18, s4
	s_add_i32 s5, s5, s10
	s_delay_alu instid0(SALU_CYCLE_1)
	s_lshl_b64 s[4:5], s[4:5], 2
	s_waitcnt lgkmcnt(0)
	s_ashr_i32 s9, s8, 31
	s_add_u32 s10, s14, s4
	s_addc_u32 s11, s15, s5
	s_lshl_b64 s[4:5], s[8:9], 2
	s_delay_alu instid0(SALU_CYCLE_1)
	s_add_u32 s16, s10, s4
	s_addc_u32 s17, s11, s5
.LBB28_3:
	s_load_b128 s[8:11], s[2:3], 0x0
	s_mul_i32 s2, s18, s13
	s_mul_hi_u32 s3, s18, s12
	s_mul_i32 s4, s19, s12
	s_add_i32 s3, s3, s2
	s_mul_i32 s2, s18, s12
	s_add_i32 s3, s3, s4
	v_lshlrev_b32_e32 v13, 4, v100
	s_lshl_b64 s[2:3], s[2:3], 4
	s_movk_i32 s12, 0xd0
	s_movk_i32 s13, 0xe0
	;; [unrolled: 1-line block ×11, first 2 shown]
	s_waitcnt lgkmcnt(0)
	v_add3_u32 v14, s11, s11, v100
	s_ashr_i32 s5, s10, 31
	s_mov_b32 s4, s10
	s_add_u32 s8, s8, s2
	s_addc_u32 s9, s9, s3
	s_lshl_b64 s[2:3], s[4:5], 4
	v_ashrrev_i32_e32 v15, 31, v14
	s_add_u32 s2, s8, s2
	s_addc_u32 s3, s9, s3
	v_add_co_u32 v42, s8, s2, v13
	s_mov_b32 s4, s11
	s_ashr_i32 s5, s11, 31
	v_add_co_ci_u32_e64 v43, null, s3, 0, s8
	v_lshlrev_b64 v[5:6], 4, v[14:15]
	s_lshl_b64 s[4:5], s[4:5], 4
	global_load_b128 v[1:4], v13, s[2:3]
	v_add_co_u32 v46, vcc_lo, v42, s4
	v_add_co_ci_u32_e32 v47, vcc_lo, s5, v43, vcc_lo
	v_add_co_u32 v44, vcc_lo, s2, v5
	v_add_co_ci_u32_e32 v45, vcc_lo, s3, v6, vcc_lo
	s_clause 0x1
	global_load_b128 v[9:12], v[46:47], off
	global_load_b128 v[5:8], v[44:45], off
	v_add_nc_u32_e32 v14, s11, v14
	s_movk_i32 s4, 0x70
	s_movk_i32 s5, 0x80
	;; [unrolled: 1-line block ×4, first 2 shown]
	v_add_nc_u32_e32 v16, s11, v14
	v_ashrrev_i32_e32 v15, 31, v14
	s_movk_i32 s10, 0xb0
	s_movk_i32 s29, 0x180
	;; [unrolled: 1-line block ×3, first 2 shown]
	v_add_nc_u32_e32 v18, s11, v16
	v_ashrrev_i32_e32 v17, 31, v16
	v_lshlrev_b64 v[14:15], 4, v[14:15]
	s_movk_i32 s31, 0x1a0
	s_movk_i32 s33, 0x1b0
	v_add_nc_u32_e32 v20, s11, v18
	v_ashrrev_i32_e32 v19, 31, v18
	v_lshlrev_b64 v[16:17], 4, v[16:17]
	v_add_co_u32 v48, vcc_lo, s2, v14
	s_delay_alu instid0(VALU_DEP_4) | instskip(SKIP_3) | instid1(VALU_DEP_4)
	v_add_nc_u32_e32 v22, s11, v20
	v_ashrrev_i32_e32 v21, 31, v20
	v_lshlrev_b64 v[24:25], 4, v[18:19]
	v_add_co_ci_u32_e32 v49, vcc_lo, s3, v15, vcc_lo
	v_add_nc_u32_e32 v28, s11, v22
	v_ashrrev_i32_e32 v23, 31, v22
	v_add_co_u32 v50, vcc_lo, s2, v16
	v_lshlrev_b64 v[26:27], 4, v[20:21]
	s_delay_alu instid0(VALU_DEP_4) | instskip(SKIP_2) | instid1(VALU_DEP_3)
	v_add_nc_u32_e32 v32, s11, v28
	v_add_co_ci_u32_e32 v51, vcc_lo, s3, v17, vcc_lo
	v_add_co_u32 v52, vcc_lo, s2, v24
	v_add_nc_u32_e32 v36, s11, v32
	v_lshlrev_b64 v[30:31], 4, v[22:23]
	v_ashrrev_i32_e32 v29, 31, v28
	v_add_co_ci_u32_e32 v53, vcc_lo, s3, v25, vcc_lo
	s_delay_alu instid0(VALU_DEP_4) | instskip(SKIP_3) | instid1(VALU_DEP_4)
	v_add_nc_u32_e32 v38, s11, v36
	v_add_co_u32 v54, vcc_lo, s2, v26
	v_ashrrev_i32_e32 v33, 31, v32
	v_add_co_ci_u32_e32 v55, vcc_lo, s3, v27, vcc_lo
	v_add_nc_u32_e32 v64, s11, v38
	v_lshlrev_b64 v[34:35], 4, v[28:29]
	v_add_co_u32 v56, vcc_lo, s2, v30
	v_ashrrev_i32_e32 v37, 31, v36
	v_add_co_ci_u32_e32 v57, vcc_lo, s3, v31, vcc_lo
	v_lshlrev_b64 v[30:31], 4, v[32:33]
	v_add_nc_u32_e32 v66, s11, v64
	v_ashrrev_i32_e32 v39, 31, v38
	v_add_co_u32 v58, vcc_lo, s2, v34
	v_lshlrev_b64 v[40:41], 4, v[36:37]
	v_ashrrev_i32_e32 v65, 31, v64
	v_add_co_ci_u32_e32 v59, vcc_lo, s3, v35, vcc_lo
	v_add_nc_u32_e32 v70, s11, v66
	v_add_co_u32 v60, vcc_lo, s2, v30
	v_lshlrev_b64 v[38:39], 4, v[38:39]
	v_ashrrev_i32_e32 v67, 31, v66
	v_add_co_ci_u32_e32 v61, vcc_lo, s3, v31, vcc_lo
	v_add_co_u32 v62, vcc_lo, s2, v40
	v_lshlrev_b64 v[68:69], 4, v[64:65]
	v_add_nc_u32_e32 v74, s11, v70
	v_add_co_ci_u32_e32 v63, vcc_lo, s3, v41, vcc_lo
	v_add_co_u32 v64, vcc_lo, s2, v38
	v_lshlrev_b64 v[72:73], 4, v[66:67]
	v_add_co_ci_u32_e32 v65, vcc_lo, s3, v39, vcc_lo
	v_add_co_u32 v66, vcc_lo, s2, v68
	v_ashrrev_i32_e32 v75, 31, v74
	v_add_nc_u32_e32 v76, s11, v74
	v_add_co_ci_u32_e32 v67, vcc_lo, s3, v69, vcc_lo
	v_ashrrev_i32_e32 v71, 31, v70
	v_add_co_u32 v68, vcc_lo, s2, v72
	v_add_co_ci_u32_e32 v69, vcc_lo, s3, v73, vcc_lo
	v_lshlrev_b64 v[72:73], 4, v[74:75]
	v_add_nc_u32_e32 v74, s11, v76
	v_lshlrev_b64 v[70:71], 4, v[70:71]
	v_ashrrev_i32_e32 v77, 31, v76
	s_clause 0x3
	global_load_b128 v[14:17], v[48:49], off
	global_load_b128 v[18:21], v[50:51], off
	;; [unrolled: 1-line block ×4, first 2 shown]
	v_add_nc_u32_e32 v78, s11, v74
	v_ashrrev_i32_e32 v75, 31, v74
	v_add_co_u32 v70, vcc_lo, s2, v70
	v_lshlrev_b64 v[76:77], 4, v[76:77]
	s_delay_alu instid0(VALU_DEP_4)
	v_add_nc_u32_e32 v82, s11, v78
	v_add_co_ci_u32_e32 v71, vcc_lo, s3, v71, vcc_lo
	v_add_co_u32 v72, vcc_lo, s2, v72
	v_lshlrev_b64 v[80:81], 4, v[74:75]
	v_add_co_ci_u32_e32 v73, vcc_lo, s3, v73, vcc_lo
	v_add_co_u32 v74, vcc_lo, s2, v76
	v_ashrrev_i32_e32 v83, 31, v82
	v_add_nc_u32_e32 v84, s11, v82
	v_add_co_ci_u32_e32 v75, vcc_lo, s3, v77, vcc_lo
	v_ashrrev_i32_e32 v79, 31, v78
	v_add_co_u32 v76, vcc_lo, s2, v80
	v_add_co_ci_u32_e32 v77, vcc_lo, s3, v81, vcc_lo
	v_lshlrev_b64 v[80:81], 4, v[82:83]
	v_add_nc_u32_e32 v82, s11, v84
	v_lshlrev_b64 v[78:79], 4, v[78:79]
	v_ashrrev_i32_e32 v85, 31, v84
	s_clause 0x3
	global_load_b128 v[30:33], v[56:57], off
	global_load_b128 v[34:37], v[58:59], off
	;; [unrolled: 1-line block ×4, first 2 shown]
	v_add_nc_u32_e32 v86, s11, v82
	v_ashrrev_i32_e32 v83, 31, v82
	v_add_co_u32 v78, vcc_lo, s2, v78
	v_lshlrev_b64 v[84:85], 4, v[84:85]
	s_delay_alu instid0(VALU_DEP_4)
	v_add_nc_u32_e32 v90, s11, v86
	v_add_co_ci_u32_e32 v79, vcc_lo, s3, v79, vcc_lo
	v_add_co_u32 v80, vcc_lo, s2, v80
	v_lshlrev_b64 v[88:89], 4, v[82:83]
	v_add_co_ci_u32_e32 v81, vcc_lo, s3, v81, vcc_lo
	v_add_co_u32 v82, vcc_lo, s2, v84
	v_ashrrev_i32_e32 v91, 31, v90
	v_add_nc_u32_e32 v92, s11, v90
	v_add_co_ci_u32_e32 v83, vcc_lo, s3, v85, vcc_lo
	v_add_co_u32 v84, vcc_lo, s2, v88
	v_ashrrev_i32_e32 v87, 31, v86
	v_add_co_ci_u32_e32 v85, vcc_lo, s3, v89, vcc_lo
	v_lshlrev_b64 v[88:89], 4, v[90:91]
	v_add_nc_u32_e32 v90, s11, v92
	s_delay_alu instid0(VALU_DEP_4)
	v_lshlrev_b64 v[86:87], 4, v[86:87]
	v_ashrrev_i32_e32 v93, 31, v92
	s_clause 0x3
	global_load_b128 v[122:125], v[64:65], off
	global_load_b128 v[126:129], v[66:67], off
	;; [unrolled: 1-line block ×4, first 2 shown]
	v_add_nc_u32_e32 v94, s11, v90
	v_ashrrev_i32_e32 v91, 31, v90
	v_add_co_u32 v86, vcc_lo, s2, v86
	v_lshlrev_b64 v[92:93], 4, v[92:93]
	s_delay_alu instid0(VALU_DEP_4)
	v_add_nc_u32_e32 v98, s11, v94
	v_add_co_ci_u32_e32 v87, vcc_lo, s3, v87, vcc_lo
	v_add_co_u32 v88, vcc_lo, s2, v88
	v_lshlrev_b64 v[96:97], 4, v[90:91]
	v_ashrrev_i32_e32 v95, 31, v94
	v_add_nc_u32_e32 v101, s11, v98
	v_add_co_ci_u32_e32 v89, vcc_lo, s3, v89, vcc_lo
	v_add_co_u32 v90, vcc_lo, s2, v92
	v_ashrrev_i32_e32 v99, 31, v98
	v_add_co_ci_u32_e32 v91, vcc_lo, s3, v93, vcc_lo
	v_lshlrev_b64 v[94:95], 4, v[94:95]
	v_add_co_u32 v92, vcc_lo, s2, v96
	v_ashrrev_i32_e32 v102, 31, v101
	v_add_co_ci_u32_e32 v93, vcc_lo, s3, v97, vcc_lo
	v_lshlrev_b64 v[96:97], 4, v[98:99]
	v_add_co_u32 v94, vcc_lo, s2, v94
	s_delay_alu instid0(VALU_DEP_4) | instskip(SKIP_1) | instid1(VALU_DEP_4)
	v_lshlrev_b64 v[98:99], 4, v[101:102]
	v_add_co_ci_u32_e32 v95, vcc_lo, s3, v95, vcc_lo
	v_add_co_u32 v96, vcc_lo, s2, v96
	v_add_co_ci_u32_e32 v97, vcc_lo, s3, v97, vcc_lo
	s_delay_alu instid0(VALU_DEP_4)
	v_add_co_u32 v98, vcc_lo, s2, v98
	s_clause 0x9
	global_load_b128 v[138:141], v[72:73], off
	global_load_b128 v[142:145], v[74:75], off
	global_load_b128 v[146:149], v[76:77], off
	global_load_b128 v[150:153], v[78:79], off
	global_load_b128 v[154:157], v[80:81], off
	global_load_b128 v[158:161], v[82:83], off
	global_load_b128 v[162:165], v[84:85], off
	global_load_b128 v[166:169], v[86:87], off
	global_load_b128 v[170:173], v[88:89], off
	global_load_b128 v[174:177], v[90:91], off
	v_add_co_ci_u32_e32 v99, vcc_lo, s3, v99, vcc_lo
	global_load_b128 v[178:181], v[92:93], off
	s_movk_i32 s2, 0x50
	s_movk_i32 s3, 0x60
	;; [unrolled: 1-line block ×4, first 2 shown]
	v_add_nc_u32_e64 v104, 0, 16
	v_add_nc_u32_e64 v103, 0, 32
	;; [unrolled: 1-line block ×17, first 2 shown]
	s_bitcmp0_b32 s21, 0
	s_mov_b32 s3, -1
	s_waitcnt vmcnt(25)
	scratch_store_b128 off, v[1:4], off
	global_load_b128 v[1:4], v[94:95], off
	s_waitcnt vmcnt(25)
	scratch_store_b128 off, v[9:12], off offset:16
	global_load_b128 v[9:12], v[96:97], off
	s_waitcnt vmcnt(25)
	scratch_store_b128 off, v[5:8], off offset:32
	;; [unrolled: 3-line block ×3, first 2 shown]
	s_waitcnt vmcnt(24)
	scratch_store_b128 off, v[18:21], off offset:64
	s_waitcnt vmcnt(23)
	scratch_store_b128 off, v[22:25], off offset:80
	;; [unrolled: 2-line block ×22, first 2 shown]
	v_add_nc_u32_e64 v128, s23, 0
	v_add_nc_u32_e64 v127, s24, 0
	;; [unrolled: 1-line block ×11, first 2 shown]
	s_waitcnt vmcnt(2)
	scratch_store_b128 off, v[1:4], off offset:416
	s_waitcnt vmcnt(1)
	scratch_store_b128 off, v[9:12], off offset:432
	;; [unrolled: 2-line block ×3, first 2 shown]
	s_cbranch_scc1 .LBB28_128
; %bb.4:
	v_cmp_eq_u32_e64 s2, 0, v100
	s_delay_alu instid0(VALU_DEP_1)
	s_and_saveexec_b32 s3, s2
	s_cbranch_execz .LBB28_6
; %bb.5:
	v_mov_b32_e32 v1, 0
	ds_store_b32 v1, v1 offset:928
.LBB28_6:
	s_or_b32 exec_lo, exec_lo, s3
	s_waitcnt lgkmcnt(0)
	s_waitcnt_vscnt null, 0x0
	s_barrier
	buffer_gl0_inv
	scratch_load_b128 v[1:4], v13, off
	s_waitcnt vmcnt(0)
	v_cmp_eq_f64_e32 vcc_lo, 0, v[1:2]
	v_cmp_eq_f64_e64 s3, 0, v[3:4]
	s_delay_alu instid0(VALU_DEP_1) | instskip(NEXT) | instid1(SALU_CYCLE_1)
	s_and_b32 s3, vcc_lo, s3
	s_and_saveexec_b32 s4, s3
	s_cbranch_execz .LBB28_10
; %bb.7:
	v_mov_b32_e32 v1, 0
	s_mov_b32 s5, 0
	ds_load_b32 v2, v1 offset:928
	s_waitcnt lgkmcnt(0)
	v_readfirstlane_b32 s3, v2
	v_add_nc_u32_e32 v2, 1, v100
	s_delay_alu instid0(VALU_DEP_2) | instskip(NEXT) | instid1(VALU_DEP_1)
	s_cmp_eq_u32 s3, 0
	v_cmp_gt_i32_e32 vcc_lo, s3, v2
	s_cselect_b32 s8, -1, 0
	s_delay_alu instid0(SALU_CYCLE_1) | instskip(NEXT) | instid1(SALU_CYCLE_1)
	s_or_b32 s8, s8, vcc_lo
	s_and_b32 exec_lo, exec_lo, s8
	s_cbranch_execz .LBB28_10
; %bb.8:
	v_mov_b32_e32 v3, s3
.LBB28_9:                               ; =>This Inner Loop Header: Depth=1
	ds_cmpstore_rtn_b32 v3, v1, v2, v3 offset:928
	s_waitcnt lgkmcnt(0)
	v_cmp_ne_u32_e32 vcc_lo, 0, v3
	v_cmp_le_i32_e64 s3, v3, v2
	s_delay_alu instid0(VALU_DEP_1) | instskip(NEXT) | instid1(SALU_CYCLE_1)
	s_and_b32 s3, vcc_lo, s3
	s_and_b32 s3, exec_lo, s3
	s_delay_alu instid0(SALU_CYCLE_1) | instskip(NEXT) | instid1(SALU_CYCLE_1)
	s_or_b32 s5, s3, s5
	s_and_not1_b32 exec_lo, exec_lo, s5
	s_cbranch_execnz .LBB28_9
.LBB28_10:
	s_or_b32 exec_lo, exec_lo, s4
	v_mov_b32_e32 v1, 0
	s_barrier
	buffer_gl0_inv
	ds_load_b32 v2, v1 offset:928
	s_and_saveexec_b32 s3, s2
	s_cbranch_execz .LBB28_12
; %bb.11:
	s_lshl_b64 s[4:5], s[18:19], 2
	s_delay_alu instid0(SALU_CYCLE_1)
	s_add_u32 s4, s6, s4
	s_addc_u32 s5, s7, s5
	s_waitcnt lgkmcnt(0)
	global_store_b32 v1, v2, s[4:5]
.LBB28_12:
	s_or_b32 exec_lo, exec_lo, s3
	s_waitcnt lgkmcnt(0)
	v_cmp_ne_u32_e32 vcc_lo, 0, v2
	s_mov_b32 s3, 0
	s_cbranch_vccnz .LBB28_128
; %bb.13:
	v_add_nc_u32_e32 v14, 0, v13
                                        ; implicit-def: $vgpr9_vgpr10
	scratch_load_b128 v[1:4], v14, off
	s_waitcnt vmcnt(0)
	v_mov_b32_e32 v5, v1
	v_cmp_gt_f64_e32 vcc_lo, 0, v[1:2]
	v_xor_b32_e32 v6, 0x80000000, v2
	v_xor_b32_e32 v7, 0x80000000, v4
	s_delay_alu instid0(VALU_DEP_2) | instskip(SKIP_1) | instid1(VALU_DEP_3)
	v_cndmask_b32_e32 v6, v2, v6, vcc_lo
	v_cmp_gt_f64_e32 vcc_lo, 0, v[3:4]
	v_dual_cndmask_b32 v8, v4, v7 :: v_dual_mov_b32 v7, v3
	s_delay_alu instid0(VALU_DEP_1) | instskip(SKIP_1) | instid1(SALU_CYCLE_1)
	v_cmp_ngt_f64_e32 vcc_lo, v[5:6], v[7:8]
                                        ; implicit-def: $vgpr5_vgpr6
	s_and_saveexec_b32 s3, vcc_lo
	s_xor_b32 s3, exec_lo, s3
	s_cbranch_execz .LBB28_15
; %bb.14:
	v_div_scale_f64 v[5:6], null, v[3:4], v[3:4], v[1:2]
	v_div_scale_f64 v[11:12], vcc_lo, v[1:2], v[3:4], v[1:2]
	s_delay_alu instid0(VALU_DEP_2) | instskip(SKIP_2) | instid1(VALU_DEP_1)
	v_rcp_f64_e32 v[7:8], v[5:6]
	s_waitcnt_depctr 0xfff
	v_fma_f64 v[9:10], -v[5:6], v[7:8], 1.0
	v_fma_f64 v[7:8], v[7:8], v[9:10], v[7:8]
	s_delay_alu instid0(VALU_DEP_1) | instskip(NEXT) | instid1(VALU_DEP_1)
	v_fma_f64 v[9:10], -v[5:6], v[7:8], 1.0
	v_fma_f64 v[7:8], v[7:8], v[9:10], v[7:8]
	s_delay_alu instid0(VALU_DEP_1) | instskip(NEXT) | instid1(VALU_DEP_1)
	v_mul_f64 v[9:10], v[11:12], v[7:8]
	v_fma_f64 v[5:6], -v[5:6], v[9:10], v[11:12]
	s_delay_alu instid0(VALU_DEP_1) | instskip(NEXT) | instid1(VALU_DEP_1)
	v_div_fmas_f64 v[5:6], v[5:6], v[7:8], v[9:10]
	v_div_fixup_f64 v[5:6], v[5:6], v[3:4], v[1:2]
	s_delay_alu instid0(VALU_DEP_1) | instskip(NEXT) | instid1(VALU_DEP_1)
	v_fma_f64 v[1:2], v[1:2], v[5:6], v[3:4]
	v_div_scale_f64 v[3:4], null, v[1:2], v[1:2], 1.0
	v_div_scale_f64 v[11:12], vcc_lo, 1.0, v[1:2], 1.0
	s_delay_alu instid0(VALU_DEP_2) | instskip(SKIP_2) | instid1(VALU_DEP_1)
	v_rcp_f64_e32 v[7:8], v[3:4]
	s_waitcnt_depctr 0xfff
	v_fma_f64 v[9:10], -v[3:4], v[7:8], 1.0
	v_fma_f64 v[7:8], v[7:8], v[9:10], v[7:8]
	s_delay_alu instid0(VALU_DEP_1) | instskip(NEXT) | instid1(VALU_DEP_1)
	v_fma_f64 v[9:10], -v[3:4], v[7:8], 1.0
	v_fma_f64 v[7:8], v[7:8], v[9:10], v[7:8]
	s_delay_alu instid0(VALU_DEP_1) | instskip(NEXT) | instid1(VALU_DEP_1)
	v_mul_f64 v[9:10], v[11:12], v[7:8]
	v_fma_f64 v[3:4], -v[3:4], v[9:10], v[11:12]
	s_delay_alu instid0(VALU_DEP_1) | instskip(NEXT) | instid1(VALU_DEP_1)
	v_div_fmas_f64 v[3:4], v[3:4], v[7:8], v[9:10]
	v_div_fixup_f64 v[7:8], v[3:4], v[1:2], 1.0
                                        ; implicit-def: $vgpr1_vgpr2
	s_delay_alu instid0(VALU_DEP_1) | instskip(SKIP_1) | instid1(VALU_DEP_2)
	v_mul_f64 v[5:6], v[5:6], v[7:8]
	v_xor_b32_e32 v8, 0x80000000, v8
	v_xor_b32_e32 v10, 0x80000000, v6
	s_delay_alu instid0(VALU_DEP_3)
	v_mov_b32_e32 v9, v5
.LBB28_15:
	s_and_not1_saveexec_b32 s3, s3
	s_cbranch_execz .LBB28_17
; %bb.16:
	v_div_scale_f64 v[5:6], null, v[1:2], v[1:2], v[3:4]
	v_div_scale_f64 v[11:12], vcc_lo, v[3:4], v[1:2], v[3:4]
	s_delay_alu instid0(VALU_DEP_2) | instskip(SKIP_2) | instid1(VALU_DEP_1)
	v_rcp_f64_e32 v[7:8], v[5:6]
	s_waitcnt_depctr 0xfff
	v_fma_f64 v[9:10], -v[5:6], v[7:8], 1.0
	v_fma_f64 v[7:8], v[7:8], v[9:10], v[7:8]
	s_delay_alu instid0(VALU_DEP_1) | instskip(NEXT) | instid1(VALU_DEP_1)
	v_fma_f64 v[9:10], -v[5:6], v[7:8], 1.0
	v_fma_f64 v[7:8], v[7:8], v[9:10], v[7:8]
	s_delay_alu instid0(VALU_DEP_1) | instskip(NEXT) | instid1(VALU_DEP_1)
	v_mul_f64 v[9:10], v[11:12], v[7:8]
	v_fma_f64 v[5:6], -v[5:6], v[9:10], v[11:12]
	s_delay_alu instid0(VALU_DEP_1) | instskip(NEXT) | instid1(VALU_DEP_1)
	v_div_fmas_f64 v[5:6], v[5:6], v[7:8], v[9:10]
	v_div_fixup_f64 v[7:8], v[5:6], v[1:2], v[3:4]
	s_delay_alu instid0(VALU_DEP_1) | instskip(NEXT) | instid1(VALU_DEP_1)
	v_fma_f64 v[1:2], v[3:4], v[7:8], v[1:2]
	v_div_scale_f64 v[3:4], null, v[1:2], v[1:2], 1.0
	s_delay_alu instid0(VALU_DEP_1) | instskip(SKIP_2) | instid1(VALU_DEP_1)
	v_rcp_f64_e32 v[5:6], v[3:4]
	s_waitcnt_depctr 0xfff
	v_fma_f64 v[9:10], -v[3:4], v[5:6], 1.0
	v_fma_f64 v[5:6], v[5:6], v[9:10], v[5:6]
	s_delay_alu instid0(VALU_DEP_1) | instskip(NEXT) | instid1(VALU_DEP_1)
	v_fma_f64 v[9:10], -v[3:4], v[5:6], 1.0
	v_fma_f64 v[5:6], v[5:6], v[9:10], v[5:6]
	v_div_scale_f64 v[9:10], vcc_lo, 1.0, v[1:2], 1.0
	s_delay_alu instid0(VALU_DEP_1) | instskip(NEXT) | instid1(VALU_DEP_1)
	v_mul_f64 v[11:12], v[9:10], v[5:6]
	v_fma_f64 v[3:4], -v[3:4], v[11:12], v[9:10]
	s_delay_alu instid0(VALU_DEP_1) | instskip(NEXT) | instid1(VALU_DEP_1)
	v_div_fmas_f64 v[3:4], v[3:4], v[5:6], v[11:12]
	v_div_fixup_f64 v[5:6], v[3:4], v[1:2], 1.0
	s_delay_alu instid0(VALU_DEP_1)
	v_mul_f64 v[7:8], v[7:8], -v[5:6]
	v_xor_b32_e32 v10, 0x80000000, v6
	v_mov_b32_e32 v9, v5
.LBB28_17:
	s_or_b32 exec_lo, exec_lo, s3
	scratch_store_b128 v14, v[5:8], off
	scratch_load_b128 v[1:4], v104, off
	v_xor_b32_e32 v12, 0x80000000, v8
	v_mov_b32_e32 v11, v7
	v_add_nc_u32_e32 v5, 0x1d0, v13
	ds_store_b128 v13, v[9:12]
	s_waitcnt vmcnt(0)
	ds_store_b128 v13, v[1:4] offset:464
	s_waitcnt lgkmcnt(0)
	s_waitcnt_vscnt null, 0x0
	s_barrier
	buffer_gl0_inv
	s_and_saveexec_b32 s3, s2
	s_cbranch_execz .LBB28_19
; %bb.18:
	scratch_load_b128 v[1:4], v14, off
	ds_load_b128 v[6:9], v5
	v_mov_b32_e32 v10, 0
	ds_load_b128 v[15:18], v10 offset:16
	s_waitcnt vmcnt(0) lgkmcnt(1)
	v_mul_f64 v[10:11], v[6:7], v[3:4]
	v_mul_f64 v[3:4], v[8:9], v[3:4]
	s_delay_alu instid0(VALU_DEP_2) | instskip(NEXT) | instid1(VALU_DEP_2)
	v_fma_f64 v[8:9], v[8:9], v[1:2], v[10:11]
	v_fma_f64 v[1:2], v[6:7], v[1:2], -v[3:4]
	s_delay_alu instid0(VALU_DEP_2) | instskip(NEXT) | instid1(VALU_DEP_2)
	v_add_f64 v[3:4], v[8:9], 0
	v_add_f64 v[1:2], v[1:2], 0
	s_waitcnt lgkmcnt(0)
	s_delay_alu instid0(VALU_DEP_2) | instskip(NEXT) | instid1(VALU_DEP_2)
	v_mul_f64 v[6:7], v[3:4], v[17:18]
	v_mul_f64 v[8:9], v[1:2], v[17:18]
	s_delay_alu instid0(VALU_DEP_2) | instskip(NEXT) | instid1(VALU_DEP_2)
	v_fma_f64 v[1:2], v[1:2], v[15:16], -v[6:7]
	v_fma_f64 v[3:4], v[3:4], v[15:16], v[8:9]
	scratch_store_b128 off, v[1:4], off offset:16
.LBB28_19:
	s_or_b32 exec_lo, exec_lo, s3
	s_waitcnt_vscnt null, 0x0
	s_barrier
	buffer_gl0_inv
	scratch_load_b128 v[1:4], v103, off
	s_mov_b32 s3, exec_lo
	s_waitcnt vmcnt(0)
	ds_store_b128 v5, v[1:4]
	s_waitcnt lgkmcnt(0)
	s_barrier
	buffer_gl0_inv
	v_cmpx_gt_u32_e32 2, v100
	s_cbranch_execz .LBB28_23
; %bb.20:
	scratch_load_b128 v[1:4], v14, off
	ds_load_b128 v[6:9], v5
	s_waitcnt vmcnt(0) lgkmcnt(0)
	v_mul_f64 v[10:11], v[8:9], v[3:4]
	v_mul_f64 v[3:4], v[6:7], v[3:4]
	s_delay_alu instid0(VALU_DEP_2) | instskip(NEXT) | instid1(VALU_DEP_2)
	v_fma_f64 v[6:7], v[6:7], v[1:2], -v[10:11]
	v_fma_f64 v[3:4], v[8:9], v[1:2], v[3:4]
	s_delay_alu instid0(VALU_DEP_2) | instskip(NEXT) | instid1(VALU_DEP_2)
	v_add_f64 v[1:2], v[6:7], 0
	v_add_f64 v[3:4], v[3:4], 0
	s_and_saveexec_b32 s4, s2
	s_cbranch_execz .LBB28_22
; %bb.21:
	scratch_load_b128 v[6:9], off, off offset:16
	v_mov_b32_e32 v10, 0
	ds_load_b128 v[15:18], v10 offset:480
	s_waitcnt vmcnt(0) lgkmcnt(0)
	v_mul_f64 v[10:11], v[15:16], v[8:9]
	v_mul_f64 v[8:9], v[17:18], v[8:9]
	s_delay_alu instid0(VALU_DEP_2) | instskip(NEXT) | instid1(VALU_DEP_2)
	v_fma_f64 v[10:11], v[17:18], v[6:7], v[10:11]
	v_fma_f64 v[6:7], v[15:16], v[6:7], -v[8:9]
	s_delay_alu instid0(VALU_DEP_2) | instskip(NEXT) | instid1(VALU_DEP_2)
	v_add_f64 v[3:4], v[3:4], v[10:11]
	v_add_f64 v[1:2], v[1:2], v[6:7]
.LBB28_22:
	s_or_b32 exec_lo, exec_lo, s4
	v_mov_b32_e32 v6, 0
	ds_load_b128 v[6:9], v6 offset:32
	s_waitcnt lgkmcnt(0)
	v_mul_f64 v[10:11], v[3:4], v[8:9]
	v_mul_f64 v[8:9], v[1:2], v[8:9]
	s_delay_alu instid0(VALU_DEP_2) | instskip(NEXT) | instid1(VALU_DEP_2)
	v_fma_f64 v[1:2], v[1:2], v[6:7], -v[10:11]
	v_fma_f64 v[3:4], v[3:4], v[6:7], v[8:9]
	scratch_store_b128 off, v[1:4], off offset:32
.LBB28_23:
	s_or_b32 exec_lo, exec_lo, s3
	s_waitcnt_vscnt null, 0x0
	s_barrier
	buffer_gl0_inv
	scratch_load_b128 v[1:4], v102, off
	v_add_nc_u32_e32 v6, -1, v100
	s_mov_b32 s2, exec_lo
	s_waitcnt vmcnt(0)
	ds_store_b128 v5, v[1:4]
	s_waitcnt lgkmcnt(0)
	s_barrier
	buffer_gl0_inv
	v_cmpx_gt_u32_e32 3, v100
	s_cbranch_execz .LBB28_27
; %bb.24:
	v_dual_mov_b32 v1, 0 :: v_dual_add_nc_u32 v8, 0x1d0, v13
	v_dual_mov_b32 v2, 0 :: v_dual_add_nc_u32 v7, -1, v100
	v_or_b32_e32 v9, 8, v14
	s_mov_b32 s3, 0
	s_delay_alu instid0(VALU_DEP_2)
	v_dual_mov_b32 v4, v2 :: v_dual_mov_b32 v3, v1
	.p2align	6
.LBB28_25:                              ; =>This Inner Loop Header: Depth=1
	scratch_load_b128 v[15:18], v9, off offset:-8
	ds_load_b128 v[19:22], v8
	v_add_nc_u32_e32 v7, 1, v7
	v_add_nc_u32_e32 v8, 16, v8
	;; [unrolled: 1-line block ×3, first 2 shown]
	s_delay_alu instid0(VALU_DEP_3) | instskip(SKIP_4) | instid1(VALU_DEP_2)
	v_cmp_lt_u32_e32 vcc_lo, 1, v7
	s_or_b32 s3, vcc_lo, s3
	s_waitcnt vmcnt(0) lgkmcnt(0)
	v_mul_f64 v[10:11], v[21:22], v[17:18]
	v_mul_f64 v[17:18], v[19:20], v[17:18]
	v_fma_f64 v[10:11], v[19:20], v[15:16], -v[10:11]
	s_delay_alu instid0(VALU_DEP_2) | instskip(NEXT) | instid1(VALU_DEP_2)
	v_fma_f64 v[15:16], v[21:22], v[15:16], v[17:18]
	v_add_f64 v[3:4], v[3:4], v[10:11]
	s_delay_alu instid0(VALU_DEP_2)
	v_add_f64 v[1:2], v[1:2], v[15:16]
	s_and_not1_b32 exec_lo, exec_lo, s3
	s_cbranch_execnz .LBB28_25
; %bb.26:
	s_or_b32 exec_lo, exec_lo, s3
	v_mov_b32_e32 v7, 0
	ds_load_b128 v[7:10], v7 offset:48
	s_waitcnt lgkmcnt(0)
	v_mul_f64 v[11:12], v[1:2], v[9:10]
	v_mul_f64 v[15:16], v[3:4], v[9:10]
	s_delay_alu instid0(VALU_DEP_2) | instskip(NEXT) | instid1(VALU_DEP_2)
	v_fma_f64 v[9:10], v[3:4], v[7:8], -v[11:12]
	v_fma_f64 v[11:12], v[1:2], v[7:8], v[15:16]
	scratch_store_b128 off, v[9:12], off offset:48
.LBB28_27:
	s_or_b32 exec_lo, exec_lo, s2
	s_waitcnt_vscnt null, 0x0
	s_barrier
	buffer_gl0_inv
	scratch_load_b128 v[1:4], v101, off
	s_mov_b32 s2, exec_lo
	s_waitcnt vmcnt(0)
	ds_store_b128 v5, v[1:4]
	s_waitcnt lgkmcnt(0)
	s_barrier
	buffer_gl0_inv
	v_cmpx_gt_u32_e32 4, v100
	s_cbranch_execz .LBB28_31
; %bb.28:
	v_dual_mov_b32 v1, 0 :: v_dual_add_nc_u32 v8, 0x1d0, v13
	v_dual_mov_b32 v2, 0 :: v_dual_add_nc_u32 v7, -1, v100
	v_or_b32_e32 v9, 8, v14
	s_mov_b32 s3, 0
	s_delay_alu instid0(VALU_DEP_2)
	v_dual_mov_b32 v4, v2 :: v_dual_mov_b32 v3, v1
	.p2align	6
.LBB28_29:                              ; =>This Inner Loop Header: Depth=1
	scratch_load_b128 v[15:18], v9, off offset:-8
	ds_load_b128 v[19:22], v8
	v_add_nc_u32_e32 v7, 1, v7
	v_add_nc_u32_e32 v8, 16, v8
	;; [unrolled: 1-line block ×3, first 2 shown]
	s_delay_alu instid0(VALU_DEP_3) | instskip(SKIP_4) | instid1(VALU_DEP_2)
	v_cmp_lt_u32_e32 vcc_lo, 2, v7
	s_or_b32 s3, vcc_lo, s3
	s_waitcnt vmcnt(0) lgkmcnt(0)
	v_mul_f64 v[10:11], v[21:22], v[17:18]
	v_mul_f64 v[17:18], v[19:20], v[17:18]
	v_fma_f64 v[10:11], v[19:20], v[15:16], -v[10:11]
	s_delay_alu instid0(VALU_DEP_2) | instskip(NEXT) | instid1(VALU_DEP_2)
	v_fma_f64 v[15:16], v[21:22], v[15:16], v[17:18]
	v_add_f64 v[3:4], v[3:4], v[10:11]
	s_delay_alu instid0(VALU_DEP_2)
	v_add_f64 v[1:2], v[1:2], v[15:16]
	s_and_not1_b32 exec_lo, exec_lo, s3
	s_cbranch_execnz .LBB28_29
; %bb.30:
	s_or_b32 exec_lo, exec_lo, s3
	v_mov_b32_e32 v7, 0
	ds_load_b128 v[7:10], v7 offset:64
	s_waitcnt lgkmcnt(0)
	v_mul_f64 v[11:12], v[1:2], v[9:10]
	v_mul_f64 v[15:16], v[3:4], v[9:10]
	s_delay_alu instid0(VALU_DEP_2) | instskip(NEXT) | instid1(VALU_DEP_2)
	v_fma_f64 v[9:10], v[3:4], v[7:8], -v[11:12]
	v_fma_f64 v[11:12], v[1:2], v[7:8], v[15:16]
	scratch_store_b128 off, v[9:12], off offset:64
.LBB28_31:
	s_or_b32 exec_lo, exec_lo, s2
	s_waitcnt_vscnt null, 0x0
	s_barrier
	buffer_gl0_inv
	scratch_load_b128 v[1:4], v117, off
	s_mov_b32 s2, exec_lo
	s_waitcnt vmcnt(0)
	ds_store_b128 v5, v[1:4]
	s_waitcnt lgkmcnt(0)
	s_barrier
	buffer_gl0_inv
	v_cmpx_gt_u32_e32 5, v100
	s_cbranch_execz .LBB28_35
; %bb.32:
	v_dual_mov_b32 v1, 0 :: v_dual_add_nc_u32 v8, 0x1d0, v13
	v_dual_mov_b32 v2, 0 :: v_dual_add_nc_u32 v7, -1, v100
	v_or_b32_e32 v9, 8, v14
	s_mov_b32 s3, 0
	s_delay_alu instid0(VALU_DEP_2)
	v_dual_mov_b32 v4, v2 :: v_dual_mov_b32 v3, v1
	.p2align	6
.LBB28_33:                              ; =>This Inner Loop Header: Depth=1
	scratch_load_b128 v[15:18], v9, off offset:-8
	ds_load_b128 v[19:22], v8
	v_add_nc_u32_e32 v7, 1, v7
	v_add_nc_u32_e32 v8, 16, v8
	;; [unrolled: 1-line block ×3, first 2 shown]
	s_delay_alu instid0(VALU_DEP_3) | instskip(SKIP_4) | instid1(VALU_DEP_2)
	v_cmp_lt_u32_e32 vcc_lo, 3, v7
	s_or_b32 s3, vcc_lo, s3
	s_waitcnt vmcnt(0) lgkmcnt(0)
	v_mul_f64 v[10:11], v[21:22], v[17:18]
	v_mul_f64 v[17:18], v[19:20], v[17:18]
	v_fma_f64 v[10:11], v[19:20], v[15:16], -v[10:11]
	s_delay_alu instid0(VALU_DEP_2) | instskip(NEXT) | instid1(VALU_DEP_2)
	v_fma_f64 v[15:16], v[21:22], v[15:16], v[17:18]
	v_add_f64 v[3:4], v[3:4], v[10:11]
	s_delay_alu instid0(VALU_DEP_2)
	v_add_f64 v[1:2], v[1:2], v[15:16]
	s_and_not1_b32 exec_lo, exec_lo, s3
	s_cbranch_execnz .LBB28_33
; %bb.34:
	s_or_b32 exec_lo, exec_lo, s3
	v_mov_b32_e32 v7, 0
	ds_load_b128 v[7:10], v7 offset:80
	s_waitcnt lgkmcnt(0)
	v_mul_f64 v[11:12], v[1:2], v[9:10]
	v_mul_f64 v[15:16], v[3:4], v[9:10]
	s_delay_alu instid0(VALU_DEP_2) | instskip(NEXT) | instid1(VALU_DEP_2)
	v_fma_f64 v[9:10], v[3:4], v[7:8], -v[11:12]
	v_fma_f64 v[11:12], v[1:2], v[7:8], v[15:16]
	scratch_store_b128 off, v[9:12], off offset:80
.LBB28_35:
	s_or_b32 exec_lo, exec_lo, s2
	s_waitcnt_vscnt null, 0x0
	s_barrier
	buffer_gl0_inv
	scratch_load_b128 v[1:4], v116, off
	s_mov_b32 s2, exec_lo
	s_waitcnt vmcnt(0)
	ds_store_b128 v5, v[1:4]
	s_waitcnt lgkmcnt(0)
	s_barrier
	buffer_gl0_inv
	v_cmpx_gt_u32_e32 6, v100
	s_cbranch_execz .LBB28_39
; %bb.36:
	v_dual_mov_b32 v1, 0 :: v_dual_add_nc_u32 v8, 0x1d0, v13
	v_dual_mov_b32 v2, 0 :: v_dual_add_nc_u32 v7, -1, v100
	v_or_b32_e32 v9, 8, v14
	s_mov_b32 s3, 0
	s_delay_alu instid0(VALU_DEP_2)
	v_dual_mov_b32 v4, v2 :: v_dual_mov_b32 v3, v1
	.p2align	6
.LBB28_37:                              ; =>This Inner Loop Header: Depth=1
	scratch_load_b128 v[15:18], v9, off offset:-8
	ds_load_b128 v[19:22], v8
	v_add_nc_u32_e32 v7, 1, v7
	v_add_nc_u32_e32 v8, 16, v8
	;; [unrolled: 1-line block ×3, first 2 shown]
	s_delay_alu instid0(VALU_DEP_3) | instskip(SKIP_4) | instid1(VALU_DEP_2)
	v_cmp_lt_u32_e32 vcc_lo, 4, v7
	s_or_b32 s3, vcc_lo, s3
	s_waitcnt vmcnt(0) lgkmcnt(0)
	v_mul_f64 v[10:11], v[21:22], v[17:18]
	v_mul_f64 v[17:18], v[19:20], v[17:18]
	v_fma_f64 v[10:11], v[19:20], v[15:16], -v[10:11]
	s_delay_alu instid0(VALU_DEP_2) | instskip(NEXT) | instid1(VALU_DEP_2)
	v_fma_f64 v[15:16], v[21:22], v[15:16], v[17:18]
	v_add_f64 v[3:4], v[3:4], v[10:11]
	s_delay_alu instid0(VALU_DEP_2)
	v_add_f64 v[1:2], v[1:2], v[15:16]
	s_and_not1_b32 exec_lo, exec_lo, s3
	s_cbranch_execnz .LBB28_37
; %bb.38:
	s_or_b32 exec_lo, exec_lo, s3
	v_mov_b32_e32 v7, 0
	ds_load_b128 v[7:10], v7 offset:96
	s_waitcnt lgkmcnt(0)
	v_mul_f64 v[11:12], v[1:2], v[9:10]
	v_mul_f64 v[15:16], v[3:4], v[9:10]
	s_delay_alu instid0(VALU_DEP_2) | instskip(NEXT) | instid1(VALU_DEP_2)
	v_fma_f64 v[9:10], v[3:4], v[7:8], -v[11:12]
	v_fma_f64 v[11:12], v[1:2], v[7:8], v[15:16]
	scratch_store_b128 off, v[9:12], off offset:96
.LBB28_39:
	s_or_b32 exec_lo, exec_lo, s2
	s_waitcnt_vscnt null, 0x0
	s_barrier
	buffer_gl0_inv
	scratch_load_b128 v[1:4], v115, off
	s_mov_b32 s2, exec_lo
	s_waitcnt vmcnt(0)
	ds_store_b128 v5, v[1:4]
	s_waitcnt lgkmcnt(0)
	s_barrier
	buffer_gl0_inv
	v_cmpx_gt_u32_e32 7, v100
	s_cbranch_execz .LBB28_43
; %bb.40:
	v_dual_mov_b32 v1, 0 :: v_dual_add_nc_u32 v8, 0x1d0, v13
	v_dual_mov_b32 v2, 0 :: v_dual_add_nc_u32 v7, -1, v100
	v_or_b32_e32 v9, 8, v14
	s_mov_b32 s3, 0
	s_delay_alu instid0(VALU_DEP_2)
	v_dual_mov_b32 v4, v2 :: v_dual_mov_b32 v3, v1
	.p2align	6
.LBB28_41:                              ; =>This Inner Loop Header: Depth=1
	scratch_load_b128 v[15:18], v9, off offset:-8
	ds_load_b128 v[19:22], v8
	v_add_nc_u32_e32 v7, 1, v7
	v_add_nc_u32_e32 v8, 16, v8
	;; [unrolled: 1-line block ×3, first 2 shown]
	s_delay_alu instid0(VALU_DEP_3) | instskip(SKIP_4) | instid1(VALU_DEP_2)
	v_cmp_lt_u32_e32 vcc_lo, 5, v7
	s_or_b32 s3, vcc_lo, s3
	s_waitcnt vmcnt(0) lgkmcnt(0)
	v_mul_f64 v[10:11], v[21:22], v[17:18]
	v_mul_f64 v[17:18], v[19:20], v[17:18]
	v_fma_f64 v[10:11], v[19:20], v[15:16], -v[10:11]
	s_delay_alu instid0(VALU_DEP_2) | instskip(NEXT) | instid1(VALU_DEP_2)
	v_fma_f64 v[15:16], v[21:22], v[15:16], v[17:18]
	v_add_f64 v[3:4], v[3:4], v[10:11]
	s_delay_alu instid0(VALU_DEP_2)
	v_add_f64 v[1:2], v[1:2], v[15:16]
	s_and_not1_b32 exec_lo, exec_lo, s3
	s_cbranch_execnz .LBB28_41
; %bb.42:
	s_or_b32 exec_lo, exec_lo, s3
	v_mov_b32_e32 v7, 0
	ds_load_b128 v[7:10], v7 offset:112
	s_waitcnt lgkmcnt(0)
	v_mul_f64 v[11:12], v[1:2], v[9:10]
	v_mul_f64 v[15:16], v[3:4], v[9:10]
	s_delay_alu instid0(VALU_DEP_2) | instskip(NEXT) | instid1(VALU_DEP_2)
	v_fma_f64 v[9:10], v[3:4], v[7:8], -v[11:12]
	v_fma_f64 v[11:12], v[1:2], v[7:8], v[15:16]
	scratch_store_b128 off, v[9:12], off offset:112
.LBB28_43:
	s_or_b32 exec_lo, exec_lo, s2
	s_waitcnt_vscnt null, 0x0
	s_barrier
	buffer_gl0_inv
	scratch_load_b128 v[1:4], v113, off
	s_mov_b32 s2, exec_lo
	s_waitcnt vmcnt(0)
	ds_store_b128 v5, v[1:4]
	s_waitcnt lgkmcnt(0)
	s_barrier
	buffer_gl0_inv
	v_cmpx_gt_u32_e32 8, v100
	s_cbranch_execz .LBB28_47
; %bb.44:
	v_dual_mov_b32 v1, 0 :: v_dual_add_nc_u32 v8, 0x1d0, v13
	v_dual_mov_b32 v2, 0 :: v_dual_add_nc_u32 v7, -1, v100
	v_or_b32_e32 v9, 8, v14
	s_mov_b32 s3, 0
	s_delay_alu instid0(VALU_DEP_2)
	v_dual_mov_b32 v4, v2 :: v_dual_mov_b32 v3, v1
	.p2align	6
.LBB28_45:                              ; =>This Inner Loop Header: Depth=1
	scratch_load_b128 v[15:18], v9, off offset:-8
	ds_load_b128 v[19:22], v8
	v_add_nc_u32_e32 v7, 1, v7
	v_add_nc_u32_e32 v8, 16, v8
	v_add_nc_u32_e32 v9, 16, v9
	s_delay_alu instid0(VALU_DEP_3) | instskip(SKIP_4) | instid1(VALU_DEP_2)
	v_cmp_lt_u32_e32 vcc_lo, 6, v7
	s_or_b32 s3, vcc_lo, s3
	s_waitcnt vmcnt(0) lgkmcnt(0)
	v_mul_f64 v[10:11], v[21:22], v[17:18]
	v_mul_f64 v[17:18], v[19:20], v[17:18]
	v_fma_f64 v[10:11], v[19:20], v[15:16], -v[10:11]
	s_delay_alu instid0(VALU_DEP_2) | instskip(NEXT) | instid1(VALU_DEP_2)
	v_fma_f64 v[15:16], v[21:22], v[15:16], v[17:18]
	v_add_f64 v[3:4], v[3:4], v[10:11]
	s_delay_alu instid0(VALU_DEP_2)
	v_add_f64 v[1:2], v[1:2], v[15:16]
	s_and_not1_b32 exec_lo, exec_lo, s3
	s_cbranch_execnz .LBB28_45
; %bb.46:
	s_or_b32 exec_lo, exec_lo, s3
	v_mov_b32_e32 v7, 0
	ds_load_b128 v[7:10], v7 offset:128
	s_waitcnt lgkmcnt(0)
	v_mul_f64 v[11:12], v[1:2], v[9:10]
	v_mul_f64 v[15:16], v[3:4], v[9:10]
	s_delay_alu instid0(VALU_DEP_2) | instskip(NEXT) | instid1(VALU_DEP_2)
	v_fma_f64 v[9:10], v[3:4], v[7:8], -v[11:12]
	v_fma_f64 v[11:12], v[1:2], v[7:8], v[15:16]
	scratch_store_b128 off, v[9:12], off offset:128
.LBB28_47:
	s_or_b32 exec_lo, exec_lo, s2
	s_waitcnt_vscnt null, 0x0
	s_barrier
	buffer_gl0_inv
	scratch_load_b128 v[1:4], v114, off
	s_mov_b32 s2, exec_lo
	s_waitcnt vmcnt(0)
	ds_store_b128 v5, v[1:4]
	s_waitcnt lgkmcnt(0)
	s_barrier
	buffer_gl0_inv
	v_cmpx_gt_u32_e32 9, v100
	s_cbranch_execz .LBB28_51
; %bb.48:
	v_dual_mov_b32 v1, 0 :: v_dual_add_nc_u32 v8, 0x1d0, v13
	v_dual_mov_b32 v2, 0 :: v_dual_add_nc_u32 v7, -1, v100
	v_or_b32_e32 v9, 8, v14
	s_mov_b32 s3, 0
	s_delay_alu instid0(VALU_DEP_2)
	v_dual_mov_b32 v4, v2 :: v_dual_mov_b32 v3, v1
	.p2align	6
.LBB28_49:                              ; =>This Inner Loop Header: Depth=1
	scratch_load_b128 v[15:18], v9, off offset:-8
	ds_load_b128 v[19:22], v8
	v_add_nc_u32_e32 v7, 1, v7
	v_add_nc_u32_e32 v8, 16, v8
	;; [unrolled: 1-line block ×3, first 2 shown]
	s_delay_alu instid0(VALU_DEP_3) | instskip(SKIP_4) | instid1(VALU_DEP_2)
	v_cmp_lt_u32_e32 vcc_lo, 7, v7
	s_or_b32 s3, vcc_lo, s3
	s_waitcnt vmcnt(0) lgkmcnt(0)
	v_mul_f64 v[10:11], v[21:22], v[17:18]
	v_mul_f64 v[17:18], v[19:20], v[17:18]
	v_fma_f64 v[10:11], v[19:20], v[15:16], -v[10:11]
	s_delay_alu instid0(VALU_DEP_2) | instskip(NEXT) | instid1(VALU_DEP_2)
	v_fma_f64 v[15:16], v[21:22], v[15:16], v[17:18]
	v_add_f64 v[3:4], v[3:4], v[10:11]
	s_delay_alu instid0(VALU_DEP_2)
	v_add_f64 v[1:2], v[1:2], v[15:16]
	s_and_not1_b32 exec_lo, exec_lo, s3
	s_cbranch_execnz .LBB28_49
; %bb.50:
	s_or_b32 exec_lo, exec_lo, s3
	v_mov_b32_e32 v7, 0
	ds_load_b128 v[7:10], v7 offset:144
	s_waitcnt lgkmcnt(0)
	v_mul_f64 v[11:12], v[1:2], v[9:10]
	v_mul_f64 v[15:16], v[3:4], v[9:10]
	s_delay_alu instid0(VALU_DEP_2) | instskip(NEXT) | instid1(VALU_DEP_2)
	v_fma_f64 v[9:10], v[3:4], v[7:8], -v[11:12]
	v_fma_f64 v[11:12], v[1:2], v[7:8], v[15:16]
	scratch_store_b128 off, v[9:12], off offset:144
.LBB28_51:
	s_or_b32 exec_lo, exec_lo, s2
	s_waitcnt_vscnt null, 0x0
	s_barrier
	buffer_gl0_inv
	scratch_load_b128 v[1:4], v112, off
	s_mov_b32 s2, exec_lo
	s_waitcnt vmcnt(0)
	ds_store_b128 v5, v[1:4]
	s_waitcnt lgkmcnt(0)
	s_barrier
	buffer_gl0_inv
	v_cmpx_gt_u32_e32 10, v100
	s_cbranch_execz .LBB28_55
; %bb.52:
	v_dual_mov_b32 v1, 0 :: v_dual_add_nc_u32 v8, 0x1d0, v13
	v_dual_mov_b32 v2, 0 :: v_dual_add_nc_u32 v7, -1, v100
	v_or_b32_e32 v9, 8, v14
	s_mov_b32 s3, 0
	s_delay_alu instid0(VALU_DEP_2)
	v_dual_mov_b32 v4, v2 :: v_dual_mov_b32 v3, v1
	.p2align	6
.LBB28_53:                              ; =>This Inner Loop Header: Depth=1
	scratch_load_b128 v[15:18], v9, off offset:-8
	ds_load_b128 v[19:22], v8
	v_add_nc_u32_e32 v7, 1, v7
	v_add_nc_u32_e32 v8, 16, v8
	;; [unrolled: 1-line block ×3, first 2 shown]
	s_delay_alu instid0(VALU_DEP_3) | instskip(SKIP_4) | instid1(VALU_DEP_2)
	v_cmp_lt_u32_e32 vcc_lo, 8, v7
	s_or_b32 s3, vcc_lo, s3
	s_waitcnt vmcnt(0) lgkmcnt(0)
	v_mul_f64 v[10:11], v[21:22], v[17:18]
	v_mul_f64 v[17:18], v[19:20], v[17:18]
	v_fma_f64 v[10:11], v[19:20], v[15:16], -v[10:11]
	s_delay_alu instid0(VALU_DEP_2) | instskip(NEXT) | instid1(VALU_DEP_2)
	v_fma_f64 v[15:16], v[21:22], v[15:16], v[17:18]
	v_add_f64 v[3:4], v[3:4], v[10:11]
	s_delay_alu instid0(VALU_DEP_2)
	v_add_f64 v[1:2], v[1:2], v[15:16]
	s_and_not1_b32 exec_lo, exec_lo, s3
	s_cbranch_execnz .LBB28_53
; %bb.54:
	s_or_b32 exec_lo, exec_lo, s3
	v_mov_b32_e32 v7, 0
	ds_load_b128 v[7:10], v7 offset:160
	s_waitcnt lgkmcnt(0)
	v_mul_f64 v[11:12], v[1:2], v[9:10]
	v_mul_f64 v[15:16], v[3:4], v[9:10]
	s_delay_alu instid0(VALU_DEP_2) | instskip(NEXT) | instid1(VALU_DEP_2)
	v_fma_f64 v[9:10], v[3:4], v[7:8], -v[11:12]
	v_fma_f64 v[11:12], v[1:2], v[7:8], v[15:16]
	scratch_store_b128 off, v[9:12], off offset:160
.LBB28_55:
	s_or_b32 exec_lo, exec_lo, s2
	s_waitcnt_vscnt null, 0x0
	s_barrier
	buffer_gl0_inv
	scratch_load_b128 v[1:4], v111, off
	s_mov_b32 s2, exec_lo
	s_waitcnt vmcnt(0)
	ds_store_b128 v5, v[1:4]
	s_waitcnt lgkmcnt(0)
	s_barrier
	buffer_gl0_inv
	v_cmpx_gt_u32_e32 11, v100
	s_cbranch_execz .LBB28_59
; %bb.56:
	v_dual_mov_b32 v1, 0 :: v_dual_add_nc_u32 v8, 0x1d0, v13
	v_dual_mov_b32 v2, 0 :: v_dual_add_nc_u32 v7, -1, v100
	v_or_b32_e32 v9, 8, v14
	s_mov_b32 s3, 0
	s_delay_alu instid0(VALU_DEP_2)
	v_dual_mov_b32 v4, v2 :: v_dual_mov_b32 v3, v1
	.p2align	6
.LBB28_57:                              ; =>This Inner Loop Header: Depth=1
	scratch_load_b128 v[15:18], v9, off offset:-8
	ds_load_b128 v[19:22], v8
	v_add_nc_u32_e32 v7, 1, v7
	v_add_nc_u32_e32 v8, 16, v8
	v_add_nc_u32_e32 v9, 16, v9
	s_delay_alu instid0(VALU_DEP_3) | instskip(SKIP_4) | instid1(VALU_DEP_2)
	v_cmp_lt_u32_e32 vcc_lo, 9, v7
	s_or_b32 s3, vcc_lo, s3
	s_waitcnt vmcnt(0) lgkmcnt(0)
	v_mul_f64 v[10:11], v[21:22], v[17:18]
	v_mul_f64 v[17:18], v[19:20], v[17:18]
	v_fma_f64 v[10:11], v[19:20], v[15:16], -v[10:11]
	s_delay_alu instid0(VALU_DEP_2) | instskip(NEXT) | instid1(VALU_DEP_2)
	v_fma_f64 v[15:16], v[21:22], v[15:16], v[17:18]
	v_add_f64 v[3:4], v[3:4], v[10:11]
	s_delay_alu instid0(VALU_DEP_2)
	v_add_f64 v[1:2], v[1:2], v[15:16]
	s_and_not1_b32 exec_lo, exec_lo, s3
	s_cbranch_execnz .LBB28_57
; %bb.58:
	s_or_b32 exec_lo, exec_lo, s3
	v_mov_b32_e32 v7, 0
	ds_load_b128 v[7:10], v7 offset:176
	s_waitcnt lgkmcnt(0)
	v_mul_f64 v[11:12], v[1:2], v[9:10]
	v_mul_f64 v[15:16], v[3:4], v[9:10]
	s_delay_alu instid0(VALU_DEP_2) | instskip(NEXT) | instid1(VALU_DEP_2)
	v_fma_f64 v[9:10], v[3:4], v[7:8], -v[11:12]
	v_fma_f64 v[11:12], v[1:2], v[7:8], v[15:16]
	scratch_store_b128 off, v[9:12], off offset:176
.LBB28_59:
	s_or_b32 exec_lo, exec_lo, s2
	s_waitcnt_vscnt null, 0x0
	s_barrier
	buffer_gl0_inv
	scratch_load_b128 v[1:4], v109, off
	s_mov_b32 s2, exec_lo
	s_waitcnt vmcnt(0)
	ds_store_b128 v5, v[1:4]
	s_waitcnt lgkmcnt(0)
	s_barrier
	buffer_gl0_inv
	v_cmpx_gt_u32_e32 12, v100
	s_cbranch_execz .LBB28_63
; %bb.60:
	v_dual_mov_b32 v1, 0 :: v_dual_add_nc_u32 v8, 0x1d0, v13
	v_dual_mov_b32 v2, 0 :: v_dual_add_nc_u32 v7, -1, v100
	v_or_b32_e32 v9, 8, v14
	s_mov_b32 s3, 0
	s_delay_alu instid0(VALU_DEP_2)
	v_dual_mov_b32 v4, v2 :: v_dual_mov_b32 v3, v1
	.p2align	6
.LBB28_61:                              ; =>This Inner Loop Header: Depth=1
	scratch_load_b128 v[15:18], v9, off offset:-8
	ds_load_b128 v[19:22], v8
	v_add_nc_u32_e32 v7, 1, v7
	v_add_nc_u32_e32 v8, 16, v8
	;; [unrolled: 1-line block ×3, first 2 shown]
	s_delay_alu instid0(VALU_DEP_3) | instskip(SKIP_4) | instid1(VALU_DEP_2)
	v_cmp_lt_u32_e32 vcc_lo, 10, v7
	s_or_b32 s3, vcc_lo, s3
	s_waitcnt vmcnt(0) lgkmcnt(0)
	v_mul_f64 v[10:11], v[21:22], v[17:18]
	v_mul_f64 v[17:18], v[19:20], v[17:18]
	v_fma_f64 v[10:11], v[19:20], v[15:16], -v[10:11]
	s_delay_alu instid0(VALU_DEP_2) | instskip(NEXT) | instid1(VALU_DEP_2)
	v_fma_f64 v[15:16], v[21:22], v[15:16], v[17:18]
	v_add_f64 v[3:4], v[3:4], v[10:11]
	s_delay_alu instid0(VALU_DEP_2)
	v_add_f64 v[1:2], v[1:2], v[15:16]
	s_and_not1_b32 exec_lo, exec_lo, s3
	s_cbranch_execnz .LBB28_61
; %bb.62:
	s_or_b32 exec_lo, exec_lo, s3
	v_mov_b32_e32 v7, 0
	ds_load_b128 v[7:10], v7 offset:192
	s_waitcnt lgkmcnt(0)
	v_mul_f64 v[11:12], v[1:2], v[9:10]
	v_mul_f64 v[15:16], v[3:4], v[9:10]
	s_delay_alu instid0(VALU_DEP_2) | instskip(NEXT) | instid1(VALU_DEP_2)
	v_fma_f64 v[9:10], v[3:4], v[7:8], -v[11:12]
	v_fma_f64 v[11:12], v[1:2], v[7:8], v[15:16]
	scratch_store_b128 off, v[9:12], off offset:192
.LBB28_63:
	s_or_b32 exec_lo, exec_lo, s2
	s_waitcnt_vscnt null, 0x0
	s_barrier
	buffer_gl0_inv
	scratch_load_b128 v[1:4], v110, off
	s_mov_b32 s2, exec_lo
	s_waitcnt vmcnt(0)
	ds_store_b128 v5, v[1:4]
	s_waitcnt lgkmcnt(0)
	s_barrier
	buffer_gl0_inv
	v_cmpx_gt_u32_e32 13, v100
	s_cbranch_execz .LBB28_67
; %bb.64:
	v_dual_mov_b32 v1, 0 :: v_dual_add_nc_u32 v8, 0x1d0, v13
	v_dual_mov_b32 v2, 0 :: v_dual_add_nc_u32 v7, -1, v100
	v_or_b32_e32 v9, 8, v14
	s_mov_b32 s3, 0
	s_delay_alu instid0(VALU_DEP_2)
	v_dual_mov_b32 v4, v2 :: v_dual_mov_b32 v3, v1
	.p2align	6
.LBB28_65:                              ; =>This Inner Loop Header: Depth=1
	scratch_load_b128 v[15:18], v9, off offset:-8
	ds_load_b128 v[19:22], v8
	v_add_nc_u32_e32 v7, 1, v7
	v_add_nc_u32_e32 v8, 16, v8
	;; [unrolled: 1-line block ×3, first 2 shown]
	s_delay_alu instid0(VALU_DEP_3) | instskip(SKIP_4) | instid1(VALU_DEP_2)
	v_cmp_lt_u32_e32 vcc_lo, 11, v7
	s_or_b32 s3, vcc_lo, s3
	s_waitcnt vmcnt(0) lgkmcnt(0)
	v_mul_f64 v[10:11], v[21:22], v[17:18]
	v_mul_f64 v[17:18], v[19:20], v[17:18]
	v_fma_f64 v[10:11], v[19:20], v[15:16], -v[10:11]
	s_delay_alu instid0(VALU_DEP_2) | instskip(NEXT) | instid1(VALU_DEP_2)
	v_fma_f64 v[15:16], v[21:22], v[15:16], v[17:18]
	v_add_f64 v[3:4], v[3:4], v[10:11]
	s_delay_alu instid0(VALU_DEP_2)
	v_add_f64 v[1:2], v[1:2], v[15:16]
	s_and_not1_b32 exec_lo, exec_lo, s3
	s_cbranch_execnz .LBB28_65
; %bb.66:
	s_or_b32 exec_lo, exec_lo, s3
	v_mov_b32_e32 v7, 0
	ds_load_b128 v[7:10], v7 offset:208
	s_waitcnt lgkmcnt(0)
	v_mul_f64 v[11:12], v[1:2], v[9:10]
	v_mul_f64 v[15:16], v[3:4], v[9:10]
	s_delay_alu instid0(VALU_DEP_2) | instskip(NEXT) | instid1(VALU_DEP_2)
	v_fma_f64 v[9:10], v[3:4], v[7:8], -v[11:12]
	v_fma_f64 v[11:12], v[1:2], v[7:8], v[15:16]
	scratch_store_b128 off, v[9:12], off offset:208
.LBB28_67:
	s_or_b32 exec_lo, exec_lo, s2
	s_waitcnt_vscnt null, 0x0
	s_barrier
	buffer_gl0_inv
	scratch_load_b128 v[1:4], v108, off
	s_mov_b32 s2, exec_lo
	s_waitcnt vmcnt(0)
	ds_store_b128 v5, v[1:4]
	s_waitcnt lgkmcnt(0)
	s_barrier
	buffer_gl0_inv
	v_cmpx_gt_u32_e32 14, v100
	s_cbranch_execz .LBB28_71
; %bb.68:
	v_dual_mov_b32 v1, 0 :: v_dual_add_nc_u32 v8, 0x1d0, v13
	v_dual_mov_b32 v2, 0 :: v_dual_add_nc_u32 v7, -1, v100
	v_or_b32_e32 v9, 8, v14
	s_mov_b32 s3, 0
	s_delay_alu instid0(VALU_DEP_2)
	v_dual_mov_b32 v4, v2 :: v_dual_mov_b32 v3, v1
	.p2align	6
.LBB28_69:                              ; =>This Inner Loop Header: Depth=1
	scratch_load_b128 v[15:18], v9, off offset:-8
	ds_load_b128 v[19:22], v8
	v_add_nc_u32_e32 v7, 1, v7
	v_add_nc_u32_e32 v8, 16, v8
	;; [unrolled: 1-line block ×3, first 2 shown]
	s_delay_alu instid0(VALU_DEP_3) | instskip(SKIP_4) | instid1(VALU_DEP_2)
	v_cmp_lt_u32_e32 vcc_lo, 12, v7
	s_or_b32 s3, vcc_lo, s3
	s_waitcnt vmcnt(0) lgkmcnt(0)
	v_mul_f64 v[10:11], v[21:22], v[17:18]
	v_mul_f64 v[17:18], v[19:20], v[17:18]
	v_fma_f64 v[10:11], v[19:20], v[15:16], -v[10:11]
	s_delay_alu instid0(VALU_DEP_2) | instskip(NEXT) | instid1(VALU_DEP_2)
	v_fma_f64 v[15:16], v[21:22], v[15:16], v[17:18]
	v_add_f64 v[3:4], v[3:4], v[10:11]
	s_delay_alu instid0(VALU_DEP_2)
	v_add_f64 v[1:2], v[1:2], v[15:16]
	s_and_not1_b32 exec_lo, exec_lo, s3
	s_cbranch_execnz .LBB28_69
; %bb.70:
	s_or_b32 exec_lo, exec_lo, s3
	v_mov_b32_e32 v7, 0
	ds_load_b128 v[7:10], v7 offset:224
	s_waitcnt lgkmcnt(0)
	v_mul_f64 v[11:12], v[1:2], v[9:10]
	v_mul_f64 v[15:16], v[3:4], v[9:10]
	s_delay_alu instid0(VALU_DEP_2) | instskip(NEXT) | instid1(VALU_DEP_2)
	v_fma_f64 v[9:10], v[3:4], v[7:8], -v[11:12]
	v_fma_f64 v[11:12], v[1:2], v[7:8], v[15:16]
	scratch_store_b128 off, v[9:12], off offset:224
.LBB28_71:
	s_or_b32 exec_lo, exec_lo, s2
	s_waitcnt_vscnt null, 0x0
	s_barrier
	buffer_gl0_inv
	scratch_load_b128 v[1:4], v107, off
	s_mov_b32 s2, exec_lo
	s_waitcnt vmcnt(0)
	ds_store_b128 v5, v[1:4]
	s_waitcnt lgkmcnt(0)
	s_barrier
	buffer_gl0_inv
	v_cmpx_gt_u32_e32 15, v100
	s_cbranch_execz .LBB28_75
; %bb.72:
	v_dual_mov_b32 v1, 0 :: v_dual_add_nc_u32 v8, 0x1d0, v13
	v_dual_mov_b32 v2, 0 :: v_dual_add_nc_u32 v7, -1, v100
	v_or_b32_e32 v9, 8, v14
	s_mov_b32 s3, 0
	s_delay_alu instid0(VALU_DEP_2)
	v_dual_mov_b32 v4, v2 :: v_dual_mov_b32 v3, v1
	.p2align	6
.LBB28_73:                              ; =>This Inner Loop Header: Depth=1
	scratch_load_b128 v[15:18], v9, off offset:-8
	ds_load_b128 v[19:22], v8
	v_add_nc_u32_e32 v7, 1, v7
	v_add_nc_u32_e32 v8, 16, v8
	;; [unrolled: 1-line block ×3, first 2 shown]
	s_delay_alu instid0(VALU_DEP_3) | instskip(SKIP_4) | instid1(VALU_DEP_2)
	v_cmp_lt_u32_e32 vcc_lo, 13, v7
	s_or_b32 s3, vcc_lo, s3
	s_waitcnt vmcnt(0) lgkmcnt(0)
	v_mul_f64 v[10:11], v[21:22], v[17:18]
	v_mul_f64 v[17:18], v[19:20], v[17:18]
	v_fma_f64 v[10:11], v[19:20], v[15:16], -v[10:11]
	s_delay_alu instid0(VALU_DEP_2) | instskip(NEXT) | instid1(VALU_DEP_2)
	v_fma_f64 v[15:16], v[21:22], v[15:16], v[17:18]
	v_add_f64 v[3:4], v[3:4], v[10:11]
	s_delay_alu instid0(VALU_DEP_2)
	v_add_f64 v[1:2], v[1:2], v[15:16]
	s_and_not1_b32 exec_lo, exec_lo, s3
	s_cbranch_execnz .LBB28_73
; %bb.74:
	s_or_b32 exec_lo, exec_lo, s3
	v_mov_b32_e32 v7, 0
	ds_load_b128 v[7:10], v7 offset:240
	s_waitcnt lgkmcnt(0)
	v_mul_f64 v[11:12], v[1:2], v[9:10]
	v_mul_f64 v[15:16], v[3:4], v[9:10]
	s_delay_alu instid0(VALU_DEP_2) | instskip(NEXT) | instid1(VALU_DEP_2)
	v_fma_f64 v[9:10], v[3:4], v[7:8], -v[11:12]
	v_fma_f64 v[11:12], v[1:2], v[7:8], v[15:16]
	scratch_store_b128 off, v[9:12], off offset:240
.LBB28_75:
	s_or_b32 exec_lo, exec_lo, s2
	s_waitcnt_vscnt null, 0x0
	s_barrier
	buffer_gl0_inv
	scratch_load_b128 v[1:4], v105, off
	s_mov_b32 s2, exec_lo
	s_waitcnt vmcnt(0)
	ds_store_b128 v5, v[1:4]
	s_waitcnt lgkmcnt(0)
	s_barrier
	buffer_gl0_inv
	v_cmpx_gt_u32_e32 16, v100
	s_cbranch_execz .LBB28_79
; %bb.76:
	v_dual_mov_b32 v1, 0 :: v_dual_add_nc_u32 v8, 0x1d0, v13
	v_dual_mov_b32 v2, 0 :: v_dual_add_nc_u32 v7, -1, v100
	v_or_b32_e32 v9, 8, v14
	s_mov_b32 s3, 0
	s_delay_alu instid0(VALU_DEP_2)
	v_dual_mov_b32 v4, v2 :: v_dual_mov_b32 v3, v1
	.p2align	6
.LBB28_77:                              ; =>This Inner Loop Header: Depth=1
	scratch_load_b128 v[15:18], v9, off offset:-8
	ds_load_b128 v[19:22], v8
	v_add_nc_u32_e32 v7, 1, v7
	v_add_nc_u32_e32 v8, 16, v8
	;; [unrolled: 1-line block ×3, first 2 shown]
	s_delay_alu instid0(VALU_DEP_3) | instskip(SKIP_4) | instid1(VALU_DEP_2)
	v_cmp_lt_u32_e32 vcc_lo, 14, v7
	s_or_b32 s3, vcc_lo, s3
	s_waitcnt vmcnt(0) lgkmcnt(0)
	v_mul_f64 v[10:11], v[21:22], v[17:18]
	v_mul_f64 v[17:18], v[19:20], v[17:18]
	v_fma_f64 v[10:11], v[19:20], v[15:16], -v[10:11]
	s_delay_alu instid0(VALU_DEP_2) | instskip(NEXT) | instid1(VALU_DEP_2)
	v_fma_f64 v[15:16], v[21:22], v[15:16], v[17:18]
	v_add_f64 v[3:4], v[3:4], v[10:11]
	s_delay_alu instid0(VALU_DEP_2)
	v_add_f64 v[1:2], v[1:2], v[15:16]
	s_and_not1_b32 exec_lo, exec_lo, s3
	s_cbranch_execnz .LBB28_77
; %bb.78:
	s_or_b32 exec_lo, exec_lo, s3
	v_mov_b32_e32 v7, 0
	ds_load_b128 v[7:10], v7 offset:256
	s_waitcnt lgkmcnt(0)
	v_mul_f64 v[11:12], v[1:2], v[9:10]
	v_mul_f64 v[15:16], v[3:4], v[9:10]
	s_delay_alu instid0(VALU_DEP_2) | instskip(NEXT) | instid1(VALU_DEP_2)
	v_fma_f64 v[9:10], v[3:4], v[7:8], -v[11:12]
	v_fma_f64 v[11:12], v[1:2], v[7:8], v[15:16]
	scratch_store_b128 off, v[9:12], off offset:256
.LBB28_79:
	s_or_b32 exec_lo, exec_lo, s2
	s_waitcnt_vscnt null, 0x0
	s_barrier
	buffer_gl0_inv
	scratch_load_b128 v[1:4], v106, off
	s_mov_b32 s2, exec_lo
	s_waitcnt vmcnt(0)
	ds_store_b128 v5, v[1:4]
	s_waitcnt lgkmcnt(0)
	s_barrier
	buffer_gl0_inv
	v_cmpx_gt_u32_e32 17, v100
	s_cbranch_execz .LBB28_83
; %bb.80:
	v_dual_mov_b32 v1, 0 :: v_dual_add_nc_u32 v8, 0x1d0, v13
	v_dual_mov_b32 v2, 0 :: v_dual_add_nc_u32 v7, -1, v100
	v_or_b32_e32 v9, 8, v14
	s_mov_b32 s3, 0
	s_delay_alu instid0(VALU_DEP_2)
	v_dual_mov_b32 v4, v2 :: v_dual_mov_b32 v3, v1
	.p2align	6
.LBB28_81:                              ; =>This Inner Loop Header: Depth=1
	scratch_load_b128 v[15:18], v9, off offset:-8
	ds_load_b128 v[19:22], v8
	v_add_nc_u32_e32 v7, 1, v7
	v_add_nc_u32_e32 v8, 16, v8
	;; [unrolled: 1-line block ×3, first 2 shown]
	s_delay_alu instid0(VALU_DEP_3) | instskip(SKIP_4) | instid1(VALU_DEP_2)
	v_cmp_lt_u32_e32 vcc_lo, 15, v7
	s_or_b32 s3, vcc_lo, s3
	s_waitcnt vmcnt(0) lgkmcnt(0)
	v_mul_f64 v[10:11], v[21:22], v[17:18]
	v_mul_f64 v[17:18], v[19:20], v[17:18]
	v_fma_f64 v[10:11], v[19:20], v[15:16], -v[10:11]
	s_delay_alu instid0(VALU_DEP_2) | instskip(NEXT) | instid1(VALU_DEP_2)
	v_fma_f64 v[15:16], v[21:22], v[15:16], v[17:18]
	v_add_f64 v[3:4], v[3:4], v[10:11]
	s_delay_alu instid0(VALU_DEP_2)
	v_add_f64 v[1:2], v[1:2], v[15:16]
	s_and_not1_b32 exec_lo, exec_lo, s3
	s_cbranch_execnz .LBB28_81
; %bb.82:
	s_or_b32 exec_lo, exec_lo, s3
	v_mov_b32_e32 v7, 0
	ds_load_b128 v[7:10], v7 offset:272
	s_waitcnt lgkmcnt(0)
	v_mul_f64 v[11:12], v[1:2], v[9:10]
	v_mul_f64 v[15:16], v[3:4], v[9:10]
	s_delay_alu instid0(VALU_DEP_2) | instskip(NEXT) | instid1(VALU_DEP_2)
	v_fma_f64 v[9:10], v[3:4], v[7:8], -v[11:12]
	v_fma_f64 v[11:12], v[1:2], v[7:8], v[15:16]
	scratch_store_b128 off, v[9:12], off offset:272
.LBB28_83:
	s_or_b32 exec_lo, exec_lo, s2
	s_waitcnt_vscnt null, 0x0
	s_barrier
	buffer_gl0_inv
	scratch_load_b128 v[1:4], v128, off
	s_mov_b32 s2, exec_lo
	s_waitcnt vmcnt(0)
	ds_store_b128 v5, v[1:4]
	s_waitcnt lgkmcnt(0)
	s_barrier
	buffer_gl0_inv
	v_cmpx_gt_u32_e32 18, v100
	s_cbranch_execz .LBB28_87
; %bb.84:
	v_dual_mov_b32 v1, 0 :: v_dual_add_nc_u32 v8, 0x1d0, v13
	v_dual_mov_b32 v2, 0 :: v_dual_add_nc_u32 v7, -1, v100
	v_or_b32_e32 v9, 8, v14
	s_mov_b32 s3, 0
	s_delay_alu instid0(VALU_DEP_2)
	v_dual_mov_b32 v4, v2 :: v_dual_mov_b32 v3, v1
	.p2align	6
.LBB28_85:                              ; =>This Inner Loop Header: Depth=1
	scratch_load_b128 v[15:18], v9, off offset:-8
	ds_load_b128 v[19:22], v8
	v_add_nc_u32_e32 v7, 1, v7
	v_add_nc_u32_e32 v8, 16, v8
	;; [unrolled: 1-line block ×3, first 2 shown]
	s_delay_alu instid0(VALU_DEP_3) | instskip(SKIP_4) | instid1(VALU_DEP_2)
	v_cmp_lt_u32_e32 vcc_lo, 16, v7
	s_or_b32 s3, vcc_lo, s3
	s_waitcnt vmcnt(0) lgkmcnt(0)
	v_mul_f64 v[10:11], v[21:22], v[17:18]
	v_mul_f64 v[17:18], v[19:20], v[17:18]
	v_fma_f64 v[10:11], v[19:20], v[15:16], -v[10:11]
	s_delay_alu instid0(VALU_DEP_2) | instskip(NEXT) | instid1(VALU_DEP_2)
	v_fma_f64 v[15:16], v[21:22], v[15:16], v[17:18]
	v_add_f64 v[3:4], v[3:4], v[10:11]
	s_delay_alu instid0(VALU_DEP_2)
	v_add_f64 v[1:2], v[1:2], v[15:16]
	s_and_not1_b32 exec_lo, exec_lo, s3
	s_cbranch_execnz .LBB28_85
; %bb.86:
	s_or_b32 exec_lo, exec_lo, s3
	v_mov_b32_e32 v7, 0
	ds_load_b128 v[7:10], v7 offset:288
	s_waitcnt lgkmcnt(0)
	v_mul_f64 v[11:12], v[1:2], v[9:10]
	v_mul_f64 v[15:16], v[3:4], v[9:10]
	s_delay_alu instid0(VALU_DEP_2) | instskip(NEXT) | instid1(VALU_DEP_2)
	v_fma_f64 v[9:10], v[3:4], v[7:8], -v[11:12]
	v_fma_f64 v[11:12], v[1:2], v[7:8], v[15:16]
	scratch_store_b128 off, v[9:12], off offset:288
.LBB28_87:
	s_or_b32 exec_lo, exec_lo, s2
	s_waitcnt_vscnt null, 0x0
	s_barrier
	buffer_gl0_inv
	scratch_load_b128 v[1:4], v127, off
	s_mov_b32 s2, exec_lo
	s_waitcnt vmcnt(0)
	ds_store_b128 v5, v[1:4]
	s_waitcnt lgkmcnt(0)
	s_barrier
	buffer_gl0_inv
	v_cmpx_gt_u32_e32 19, v100
	s_cbranch_execz .LBB28_91
; %bb.88:
	v_dual_mov_b32 v1, 0 :: v_dual_add_nc_u32 v8, 0x1d0, v13
	v_dual_mov_b32 v2, 0 :: v_dual_add_nc_u32 v7, -1, v100
	v_or_b32_e32 v9, 8, v14
	s_mov_b32 s3, 0
	s_delay_alu instid0(VALU_DEP_2)
	v_dual_mov_b32 v4, v2 :: v_dual_mov_b32 v3, v1
	.p2align	6
.LBB28_89:                              ; =>This Inner Loop Header: Depth=1
	scratch_load_b128 v[15:18], v9, off offset:-8
	ds_load_b128 v[19:22], v8
	v_add_nc_u32_e32 v7, 1, v7
	v_add_nc_u32_e32 v8, 16, v8
	;; [unrolled: 1-line block ×3, first 2 shown]
	s_delay_alu instid0(VALU_DEP_3) | instskip(SKIP_4) | instid1(VALU_DEP_2)
	v_cmp_lt_u32_e32 vcc_lo, 17, v7
	s_or_b32 s3, vcc_lo, s3
	s_waitcnt vmcnt(0) lgkmcnt(0)
	v_mul_f64 v[10:11], v[21:22], v[17:18]
	v_mul_f64 v[17:18], v[19:20], v[17:18]
	v_fma_f64 v[10:11], v[19:20], v[15:16], -v[10:11]
	s_delay_alu instid0(VALU_DEP_2) | instskip(NEXT) | instid1(VALU_DEP_2)
	v_fma_f64 v[15:16], v[21:22], v[15:16], v[17:18]
	v_add_f64 v[3:4], v[3:4], v[10:11]
	s_delay_alu instid0(VALU_DEP_2)
	v_add_f64 v[1:2], v[1:2], v[15:16]
	s_and_not1_b32 exec_lo, exec_lo, s3
	s_cbranch_execnz .LBB28_89
; %bb.90:
	s_or_b32 exec_lo, exec_lo, s3
	v_mov_b32_e32 v7, 0
	ds_load_b128 v[7:10], v7 offset:304
	s_waitcnt lgkmcnt(0)
	v_mul_f64 v[11:12], v[1:2], v[9:10]
	v_mul_f64 v[15:16], v[3:4], v[9:10]
	s_delay_alu instid0(VALU_DEP_2) | instskip(NEXT) | instid1(VALU_DEP_2)
	v_fma_f64 v[9:10], v[3:4], v[7:8], -v[11:12]
	v_fma_f64 v[11:12], v[1:2], v[7:8], v[15:16]
	scratch_store_b128 off, v[9:12], off offset:304
.LBB28_91:
	s_or_b32 exec_lo, exec_lo, s2
	s_waitcnt_vscnt null, 0x0
	s_barrier
	buffer_gl0_inv
	scratch_load_b128 v[1:4], v126, off
	s_mov_b32 s2, exec_lo
	s_waitcnt vmcnt(0)
	ds_store_b128 v5, v[1:4]
	s_waitcnt lgkmcnt(0)
	s_barrier
	buffer_gl0_inv
	v_cmpx_gt_u32_e32 20, v100
	s_cbranch_execz .LBB28_95
; %bb.92:
	v_dual_mov_b32 v1, 0 :: v_dual_add_nc_u32 v8, 0x1d0, v13
	v_dual_mov_b32 v2, 0 :: v_dual_add_nc_u32 v7, -1, v100
	v_or_b32_e32 v9, 8, v14
	s_mov_b32 s3, 0
	s_delay_alu instid0(VALU_DEP_2)
	v_dual_mov_b32 v4, v2 :: v_dual_mov_b32 v3, v1
	.p2align	6
.LBB28_93:                              ; =>This Inner Loop Header: Depth=1
	scratch_load_b128 v[15:18], v9, off offset:-8
	ds_load_b128 v[19:22], v8
	v_add_nc_u32_e32 v7, 1, v7
	v_add_nc_u32_e32 v8, 16, v8
	v_add_nc_u32_e32 v9, 16, v9
	s_delay_alu instid0(VALU_DEP_3) | instskip(SKIP_4) | instid1(VALU_DEP_2)
	v_cmp_lt_u32_e32 vcc_lo, 18, v7
	s_or_b32 s3, vcc_lo, s3
	s_waitcnt vmcnt(0) lgkmcnt(0)
	v_mul_f64 v[10:11], v[21:22], v[17:18]
	v_mul_f64 v[17:18], v[19:20], v[17:18]
	v_fma_f64 v[10:11], v[19:20], v[15:16], -v[10:11]
	s_delay_alu instid0(VALU_DEP_2) | instskip(NEXT) | instid1(VALU_DEP_2)
	v_fma_f64 v[15:16], v[21:22], v[15:16], v[17:18]
	v_add_f64 v[3:4], v[3:4], v[10:11]
	s_delay_alu instid0(VALU_DEP_2)
	v_add_f64 v[1:2], v[1:2], v[15:16]
	s_and_not1_b32 exec_lo, exec_lo, s3
	s_cbranch_execnz .LBB28_93
; %bb.94:
	s_or_b32 exec_lo, exec_lo, s3
	v_mov_b32_e32 v7, 0
	ds_load_b128 v[7:10], v7 offset:320
	s_waitcnt lgkmcnt(0)
	v_mul_f64 v[11:12], v[1:2], v[9:10]
	v_mul_f64 v[15:16], v[3:4], v[9:10]
	s_delay_alu instid0(VALU_DEP_2) | instskip(NEXT) | instid1(VALU_DEP_2)
	v_fma_f64 v[9:10], v[3:4], v[7:8], -v[11:12]
	v_fma_f64 v[11:12], v[1:2], v[7:8], v[15:16]
	scratch_store_b128 off, v[9:12], off offset:320
.LBB28_95:
	s_or_b32 exec_lo, exec_lo, s2
	s_waitcnt_vscnt null, 0x0
	s_barrier
	buffer_gl0_inv
	scratch_load_b128 v[1:4], v125, off
	s_mov_b32 s2, exec_lo
	s_waitcnt vmcnt(0)
	ds_store_b128 v5, v[1:4]
	s_waitcnt lgkmcnt(0)
	s_barrier
	buffer_gl0_inv
	v_cmpx_gt_u32_e32 21, v100
	s_cbranch_execz .LBB28_99
; %bb.96:
	v_dual_mov_b32 v1, 0 :: v_dual_add_nc_u32 v8, 0x1d0, v13
	v_dual_mov_b32 v2, 0 :: v_dual_add_nc_u32 v7, -1, v100
	v_or_b32_e32 v9, 8, v14
	s_mov_b32 s3, 0
	s_delay_alu instid0(VALU_DEP_2)
	v_dual_mov_b32 v4, v2 :: v_dual_mov_b32 v3, v1
	.p2align	6
.LBB28_97:                              ; =>This Inner Loop Header: Depth=1
	scratch_load_b128 v[15:18], v9, off offset:-8
	ds_load_b128 v[19:22], v8
	v_add_nc_u32_e32 v7, 1, v7
	v_add_nc_u32_e32 v8, 16, v8
	;; [unrolled: 1-line block ×3, first 2 shown]
	s_delay_alu instid0(VALU_DEP_3) | instskip(SKIP_4) | instid1(VALU_DEP_2)
	v_cmp_lt_u32_e32 vcc_lo, 19, v7
	s_or_b32 s3, vcc_lo, s3
	s_waitcnt vmcnt(0) lgkmcnt(0)
	v_mul_f64 v[10:11], v[21:22], v[17:18]
	v_mul_f64 v[17:18], v[19:20], v[17:18]
	v_fma_f64 v[10:11], v[19:20], v[15:16], -v[10:11]
	s_delay_alu instid0(VALU_DEP_2) | instskip(NEXT) | instid1(VALU_DEP_2)
	v_fma_f64 v[15:16], v[21:22], v[15:16], v[17:18]
	v_add_f64 v[3:4], v[3:4], v[10:11]
	s_delay_alu instid0(VALU_DEP_2)
	v_add_f64 v[1:2], v[1:2], v[15:16]
	s_and_not1_b32 exec_lo, exec_lo, s3
	s_cbranch_execnz .LBB28_97
; %bb.98:
	s_or_b32 exec_lo, exec_lo, s3
	v_mov_b32_e32 v7, 0
	ds_load_b128 v[7:10], v7 offset:336
	s_waitcnt lgkmcnt(0)
	v_mul_f64 v[11:12], v[1:2], v[9:10]
	v_mul_f64 v[15:16], v[3:4], v[9:10]
	s_delay_alu instid0(VALU_DEP_2) | instskip(NEXT) | instid1(VALU_DEP_2)
	v_fma_f64 v[9:10], v[3:4], v[7:8], -v[11:12]
	v_fma_f64 v[11:12], v[1:2], v[7:8], v[15:16]
	scratch_store_b128 off, v[9:12], off offset:336
.LBB28_99:
	s_or_b32 exec_lo, exec_lo, s2
	s_waitcnt_vscnt null, 0x0
	s_barrier
	buffer_gl0_inv
	scratch_load_b128 v[1:4], v124, off
	s_mov_b32 s2, exec_lo
	s_waitcnt vmcnt(0)
	ds_store_b128 v5, v[1:4]
	s_waitcnt lgkmcnt(0)
	s_barrier
	buffer_gl0_inv
	v_cmpx_gt_u32_e32 22, v100
	s_cbranch_execz .LBB28_103
; %bb.100:
	v_dual_mov_b32 v1, 0 :: v_dual_add_nc_u32 v8, 0x1d0, v13
	v_dual_mov_b32 v2, 0 :: v_dual_add_nc_u32 v7, -1, v100
	v_or_b32_e32 v9, 8, v14
	s_mov_b32 s3, 0
	s_delay_alu instid0(VALU_DEP_2)
	v_dual_mov_b32 v4, v2 :: v_dual_mov_b32 v3, v1
	.p2align	6
.LBB28_101:                             ; =>This Inner Loop Header: Depth=1
	scratch_load_b128 v[15:18], v9, off offset:-8
	ds_load_b128 v[19:22], v8
	v_add_nc_u32_e32 v7, 1, v7
	v_add_nc_u32_e32 v8, 16, v8
	;; [unrolled: 1-line block ×3, first 2 shown]
	s_delay_alu instid0(VALU_DEP_3) | instskip(SKIP_4) | instid1(VALU_DEP_2)
	v_cmp_lt_u32_e32 vcc_lo, 20, v7
	s_or_b32 s3, vcc_lo, s3
	s_waitcnt vmcnt(0) lgkmcnt(0)
	v_mul_f64 v[10:11], v[21:22], v[17:18]
	v_mul_f64 v[17:18], v[19:20], v[17:18]
	v_fma_f64 v[10:11], v[19:20], v[15:16], -v[10:11]
	s_delay_alu instid0(VALU_DEP_2) | instskip(NEXT) | instid1(VALU_DEP_2)
	v_fma_f64 v[15:16], v[21:22], v[15:16], v[17:18]
	v_add_f64 v[3:4], v[3:4], v[10:11]
	s_delay_alu instid0(VALU_DEP_2)
	v_add_f64 v[1:2], v[1:2], v[15:16]
	s_and_not1_b32 exec_lo, exec_lo, s3
	s_cbranch_execnz .LBB28_101
; %bb.102:
	s_or_b32 exec_lo, exec_lo, s3
	v_mov_b32_e32 v7, 0
	ds_load_b128 v[7:10], v7 offset:352
	s_waitcnt lgkmcnt(0)
	v_mul_f64 v[11:12], v[1:2], v[9:10]
	v_mul_f64 v[15:16], v[3:4], v[9:10]
	s_delay_alu instid0(VALU_DEP_2) | instskip(NEXT) | instid1(VALU_DEP_2)
	v_fma_f64 v[9:10], v[3:4], v[7:8], -v[11:12]
	v_fma_f64 v[11:12], v[1:2], v[7:8], v[15:16]
	scratch_store_b128 off, v[9:12], off offset:352
.LBB28_103:
	s_or_b32 exec_lo, exec_lo, s2
	s_waitcnt_vscnt null, 0x0
	s_barrier
	buffer_gl0_inv
	scratch_load_b128 v[1:4], v123, off
	s_mov_b32 s2, exec_lo
	s_waitcnt vmcnt(0)
	ds_store_b128 v5, v[1:4]
	s_waitcnt lgkmcnt(0)
	s_barrier
	buffer_gl0_inv
	v_cmpx_gt_u32_e32 23, v100
	s_cbranch_execz .LBB28_107
; %bb.104:
	v_dual_mov_b32 v1, 0 :: v_dual_add_nc_u32 v8, 0x1d0, v13
	v_dual_mov_b32 v2, 0 :: v_dual_add_nc_u32 v7, -1, v100
	v_or_b32_e32 v9, 8, v14
	s_mov_b32 s3, 0
	s_delay_alu instid0(VALU_DEP_2)
	v_dual_mov_b32 v4, v2 :: v_dual_mov_b32 v3, v1
	.p2align	6
.LBB28_105:                             ; =>This Inner Loop Header: Depth=1
	scratch_load_b128 v[15:18], v9, off offset:-8
	ds_load_b128 v[19:22], v8
	v_add_nc_u32_e32 v7, 1, v7
	v_add_nc_u32_e32 v8, 16, v8
	v_add_nc_u32_e32 v9, 16, v9
	s_delay_alu instid0(VALU_DEP_3) | instskip(SKIP_4) | instid1(VALU_DEP_2)
	v_cmp_lt_u32_e32 vcc_lo, 21, v7
	s_or_b32 s3, vcc_lo, s3
	s_waitcnt vmcnt(0) lgkmcnt(0)
	v_mul_f64 v[10:11], v[21:22], v[17:18]
	v_mul_f64 v[17:18], v[19:20], v[17:18]
	v_fma_f64 v[10:11], v[19:20], v[15:16], -v[10:11]
	s_delay_alu instid0(VALU_DEP_2) | instskip(NEXT) | instid1(VALU_DEP_2)
	v_fma_f64 v[15:16], v[21:22], v[15:16], v[17:18]
	v_add_f64 v[3:4], v[3:4], v[10:11]
	s_delay_alu instid0(VALU_DEP_2)
	v_add_f64 v[1:2], v[1:2], v[15:16]
	s_and_not1_b32 exec_lo, exec_lo, s3
	s_cbranch_execnz .LBB28_105
; %bb.106:
	s_or_b32 exec_lo, exec_lo, s3
	v_mov_b32_e32 v7, 0
	ds_load_b128 v[7:10], v7 offset:368
	s_waitcnt lgkmcnt(0)
	v_mul_f64 v[11:12], v[1:2], v[9:10]
	v_mul_f64 v[15:16], v[3:4], v[9:10]
	s_delay_alu instid0(VALU_DEP_2) | instskip(NEXT) | instid1(VALU_DEP_2)
	v_fma_f64 v[9:10], v[3:4], v[7:8], -v[11:12]
	v_fma_f64 v[11:12], v[1:2], v[7:8], v[15:16]
	scratch_store_b128 off, v[9:12], off offset:368
.LBB28_107:
	s_or_b32 exec_lo, exec_lo, s2
	s_waitcnt_vscnt null, 0x0
	s_barrier
	buffer_gl0_inv
	scratch_load_b128 v[1:4], v122, off
	s_mov_b32 s2, exec_lo
	s_waitcnt vmcnt(0)
	ds_store_b128 v5, v[1:4]
	s_waitcnt lgkmcnt(0)
	s_barrier
	buffer_gl0_inv
	v_cmpx_gt_u32_e32 24, v100
	s_cbranch_execz .LBB28_111
; %bb.108:
	v_dual_mov_b32 v1, 0 :: v_dual_add_nc_u32 v8, 0x1d0, v13
	v_dual_mov_b32 v2, 0 :: v_dual_add_nc_u32 v7, -1, v100
	v_or_b32_e32 v9, 8, v14
	s_mov_b32 s3, 0
	s_delay_alu instid0(VALU_DEP_2)
	v_dual_mov_b32 v4, v2 :: v_dual_mov_b32 v3, v1
	.p2align	6
.LBB28_109:                             ; =>This Inner Loop Header: Depth=1
	scratch_load_b128 v[15:18], v9, off offset:-8
	ds_load_b128 v[19:22], v8
	v_add_nc_u32_e32 v7, 1, v7
	v_add_nc_u32_e32 v8, 16, v8
	;; [unrolled: 1-line block ×3, first 2 shown]
	s_delay_alu instid0(VALU_DEP_3) | instskip(SKIP_4) | instid1(VALU_DEP_2)
	v_cmp_lt_u32_e32 vcc_lo, 22, v7
	s_or_b32 s3, vcc_lo, s3
	s_waitcnt vmcnt(0) lgkmcnt(0)
	v_mul_f64 v[10:11], v[21:22], v[17:18]
	v_mul_f64 v[17:18], v[19:20], v[17:18]
	v_fma_f64 v[10:11], v[19:20], v[15:16], -v[10:11]
	s_delay_alu instid0(VALU_DEP_2) | instskip(NEXT) | instid1(VALU_DEP_2)
	v_fma_f64 v[15:16], v[21:22], v[15:16], v[17:18]
	v_add_f64 v[3:4], v[3:4], v[10:11]
	s_delay_alu instid0(VALU_DEP_2)
	v_add_f64 v[1:2], v[1:2], v[15:16]
	s_and_not1_b32 exec_lo, exec_lo, s3
	s_cbranch_execnz .LBB28_109
; %bb.110:
	s_or_b32 exec_lo, exec_lo, s3
	v_mov_b32_e32 v7, 0
	ds_load_b128 v[7:10], v7 offset:384
	s_waitcnt lgkmcnt(0)
	v_mul_f64 v[11:12], v[1:2], v[9:10]
	v_mul_f64 v[15:16], v[3:4], v[9:10]
	s_delay_alu instid0(VALU_DEP_2) | instskip(NEXT) | instid1(VALU_DEP_2)
	v_fma_f64 v[9:10], v[3:4], v[7:8], -v[11:12]
	v_fma_f64 v[11:12], v[1:2], v[7:8], v[15:16]
	scratch_store_b128 off, v[9:12], off offset:384
.LBB28_111:
	s_or_b32 exec_lo, exec_lo, s2
	s_waitcnt_vscnt null, 0x0
	s_barrier
	buffer_gl0_inv
	scratch_load_b128 v[1:4], v121, off
	s_mov_b32 s2, exec_lo
	s_waitcnt vmcnt(0)
	ds_store_b128 v5, v[1:4]
	s_waitcnt lgkmcnt(0)
	s_barrier
	buffer_gl0_inv
	v_cmpx_gt_u32_e32 25, v100
	s_cbranch_execz .LBB28_115
; %bb.112:
	v_dual_mov_b32 v1, 0 :: v_dual_add_nc_u32 v8, 0x1d0, v13
	v_dual_mov_b32 v2, 0 :: v_dual_add_nc_u32 v7, -1, v100
	v_or_b32_e32 v9, 8, v14
	s_mov_b32 s3, 0
	s_delay_alu instid0(VALU_DEP_2)
	v_dual_mov_b32 v4, v2 :: v_dual_mov_b32 v3, v1
	.p2align	6
.LBB28_113:                             ; =>This Inner Loop Header: Depth=1
	scratch_load_b128 v[15:18], v9, off offset:-8
	ds_load_b128 v[19:22], v8
	v_add_nc_u32_e32 v7, 1, v7
	v_add_nc_u32_e32 v8, 16, v8
	;; [unrolled: 1-line block ×3, first 2 shown]
	s_delay_alu instid0(VALU_DEP_3) | instskip(SKIP_4) | instid1(VALU_DEP_2)
	v_cmp_lt_u32_e32 vcc_lo, 23, v7
	s_or_b32 s3, vcc_lo, s3
	s_waitcnt vmcnt(0) lgkmcnt(0)
	v_mul_f64 v[10:11], v[21:22], v[17:18]
	v_mul_f64 v[17:18], v[19:20], v[17:18]
	v_fma_f64 v[10:11], v[19:20], v[15:16], -v[10:11]
	s_delay_alu instid0(VALU_DEP_2) | instskip(NEXT) | instid1(VALU_DEP_2)
	v_fma_f64 v[15:16], v[21:22], v[15:16], v[17:18]
	v_add_f64 v[3:4], v[3:4], v[10:11]
	s_delay_alu instid0(VALU_DEP_2)
	v_add_f64 v[1:2], v[1:2], v[15:16]
	s_and_not1_b32 exec_lo, exec_lo, s3
	s_cbranch_execnz .LBB28_113
; %bb.114:
	s_or_b32 exec_lo, exec_lo, s3
	v_mov_b32_e32 v7, 0
	ds_load_b128 v[7:10], v7 offset:400
	s_waitcnt lgkmcnt(0)
	v_mul_f64 v[11:12], v[1:2], v[9:10]
	v_mul_f64 v[15:16], v[3:4], v[9:10]
	s_delay_alu instid0(VALU_DEP_2) | instskip(NEXT) | instid1(VALU_DEP_2)
	v_fma_f64 v[9:10], v[3:4], v[7:8], -v[11:12]
	v_fma_f64 v[11:12], v[1:2], v[7:8], v[15:16]
	scratch_store_b128 off, v[9:12], off offset:400
.LBB28_115:
	s_or_b32 exec_lo, exec_lo, s2
	s_waitcnt_vscnt null, 0x0
	s_barrier
	buffer_gl0_inv
	scratch_load_b128 v[1:4], v120, off
	s_mov_b32 s2, exec_lo
	s_waitcnt vmcnt(0)
	ds_store_b128 v5, v[1:4]
	s_waitcnt lgkmcnt(0)
	s_barrier
	buffer_gl0_inv
	v_cmpx_gt_u32_e32 26, v100
	s_cbranch_execz .LBB28_119
; %bb.116:
	v_dual_mov_b32 v1, 0 :: v_dual_add_nc_u32 v8, 0x1d0, v13
	v_dual_mov_b32 v2, 0 :: v_dual_add_nc_u32 v7, -1, v100
	v_or_b32_e32 v9, 8, v14
	s_mov_b32 s3, 0
	s_delay_alu instid0(VALU_DEP_2)
	v_dual_mov_b32 v4, v2 :: v_dual_mov_b32 v3, v1
	.p2align	6
.LBB28_117:                             ; =>This Inner Loop Header: Depth=1
	scratch_load_b128 v[15:18], v9, off offset:-8
	ds_load_b128 v[19:22], v8
	v_add_nc_u32_e32 v7, 1, v7
	v_add_nc_u32_e32 v8, 16, v8
	;; [unrolled: 1-line block ×3, first 2 shown]
	s_delay_alu instid0(VALU_DEP_3) | instskip(SKIP_4) | instid1(VALU_DEP_2)
	v_cmp_lt_u32_e32 vcc_lo, 24, v7
	s_or_b32 s3, vcc_lo, s3
	s_waitcnt vmcnt(0) lgkmcnt(0)
	v_mul_f64 v[10:11], v[21:22], v[17:18]
	v_mul_f64 v[17:18], v[19:20], v[17:18]
	v_fma_f64 v[10:11], v[19:20], v[15:16], -v[10:11]
	s_delay_alu instid0(VALU_DEP_2) | instskip(NEXT) | instid1(VALU_DEP_2)
	v_fma_f64 v[15:16], v[21:22], v[15:16], v[17:18]
	v_add_f64 v[3:4], v[3:4], v[10:11]
	s_delay_alu instid0(VALU_DEP_2)
	v_add_f64 v[1:2], v[1:2], v[15:16]
	s_and_not1_b32 exec_lo, exec_lo, s3
	s_cbranch_execnz .LBB28_117
; %bb.118:
	s_or_b32 exec_lo, exec_lo, s3
	v_mov_b32_e32 v7, 0
	ds_load_b128 v[7:10], v7 offset:416
	s_waitcnt lgkmcnt(0)
	v_mul_f64 v[11:12], v[1:2], v[9:10]
	v_mul_f64 v[15:16], v[3:4], v[9:10]
	s_delay_alu instid0(VALU_DEP_2) | instskip(NEXT) | instid1(VALU_DEP_2)
	v_fma_f64 v[9:10], v[3:4], v[7:8], -v[11:12]
	v_fma_f64 v[11:12], v[1:2], v[7:8], v[15:16]
	scratch_store_b128 off, v[9:12], off offset:416
.LBB28_119:
	s_or_b32 exec_lo, exec_lo, s2
	s_waitcnt_vscnt null, 0x0
	s_barrier
	buffer_gl0_inv
	scratch_load_b128 v[1:4], v119, off
	s_mov_b32 s2, exec_lo
	s_waitcnt vmcnt(0)
	ds_store_b128 v5, v[1:4]
	s_waitcnt lgkmcnt(0)
	s_barrier
	buffer_gl0_inv
	v_cmpx_gt_u32_e32 27, v100
	s_cbranch_execz .LBB28_123
; %bb.120:
	v_dual_mov_b32 v1, 0 :: v_dual_add_nc_u32 v8, 0x1d0, v13
	v_dual_mov_b32 v2, 0 :: v_dual_add_nc_u32 v7, -1, v100
	v_or_b32_e32 v9, 8, v14
	s_mov_b32 s3, 0
	s_delay_alu instid0(VALU_DEP_2)
	v_dual_mov_b32 v4, v2 :: v_dual_mov_b32 v3, v1
	.p2align	6
.LBB28_121:                             ; =>This Inner Loop Header: Depth=1
	scratch_load_b128 v[10:13], v9, off offset:-8
	ds_load_b128 v[15:18], v8
	v_add_nc_u32_e32 v7, 1, v7
	v_add_nc_u32_e32 v8, 16, v8
	;; [unrolled: 1-line block ×3, first 2 shown]
	s_delay_alu instid0(VALU_DEP_3) | instskip(SKIP_4) | instid1(VALU_DEP_2)
	v_cmp_lt_u32_e32 vcc_lo, 25, v7
	s_or_b32 s3, vcc_lo, s3
	s_waitcnt vmcnt(0) lgkmcnt(0)
	v_mul_f64 v[19:20], v[17:18], v[12:13]
	v_mul_f64 v[12:13], v[15:16], v[12:13]
	v_fma_f64 v[15:16], v[15:16], v[10:11], -v[19:20]
	s_delay_alu instid0(VALU_DEP_2) | instskip(NEXT) | instid1(VALU_DEP_2)
	v_fma_f64 v[10:11], v[17:18], v[10:11], v[12:13]
	v_add_f64 v[3:4], v[3:4], v[15:16]
	s_delay_alu instid0(VALU_DEP_2)
	v_add_f64 v[1:2], v[1:2], v[10:11]
	s_and_not1_b32 exec_lo, exec_lo, s3
	s_cbranch_execnz .LBB28_121
; %bb.122:
	s_or_b32 exec_lo, exec_lo, s3
	v_mov_b32_e32 v7, 0
	ds_load_b128 v[7:10], v7 offset:432
	s_waitcnt lgkmcnt(0)
	v_mul_f64 v[11:12], v[1:2], v[9:10]
	v_mul_f64 v[15:16], v[3:4], v[9:10]
	s_delay_alu instid0(VALU_DEP_2) | instskip(NEXT) | instid1(VALU_DEP_2)
	v_fma_f64 v[9:10], v[3:4], v[7:8], -v[11:12]
	v_fma_f64 v[11:12], v[1:2], v[7:8], v[15:16]
	scratch_store_b128 off, v[9:12], off offset:432
.LBB28_123:
	s_or_b32 exec_lo, exec_lo, s2
	s_waitcnt_vscnt null, 0x0
	s_barrier
	buffer_gl0_inv
	scratch_load_b128 v[1:4], v118, off
	s_mov_b32 s2, exec_lo
	s_waitcnt vmcnt(0)
	ds_store_b128 v5, v[1:4]
	s_waitcnt lgkmcnt(0)
	s_barrier
	buffer_gl0_inv
	v_cmpx_ne_u32_e32 28, v100
	s_cbranch_execz .LBB28_127
; %bb.124:
	v_mov_b32_e32 v1, 0
	v_mov_b32_e32 v2, 0
	v_or_b32_e32 v7, 8, v14
	s_mov_b32 s3, 0
	s_delay_alu instid0(VALU_DEP_2)
	v_dual_mov_b32 v4, v2 :: v_dual_mov_b32 v3, v1
	.p2align	6
.LBB28_125:                             ; =>This Inner Loop Header: Depth=1
	scratch_load_b128 v[8:11], v7, off offset:-8
	ds_load_b128 v[12:15], v5
	v_add_nc_u32_e32 v6, 1, v6
	v_add_nc_u32_e32 v5, 16, v5
	;; [unrolled: 1-line block ×3, first 2 shown]
	s_delay_alu instid0(VALU_DEP_3) | instskip(SKIP_4) | instid1(VALU_DEP_2)
	v_cmp_lt_u32_e32 vcc_lo, 26, v6
	s_or_b32 s3, vcc_lo, s3
	s_waitcnt vmcnt(0) lgkmcnt(0)
	v_mul_f64 v[16:17], v[14:15], v[10:11]
	v_mul_f64 v[10:11], v[12:13], v[10:11]
	v_fma_f64 v[12:13], v[12:13], v[8:9], -v[16:17]
	s_delay_alu instid0(VALU_DEP_2) | instskip(NEXT) | instid1(VALU_DEP_2)
	v_fma_f64 v[8:9], v[14:15], v[8:9], v[10:11]
	v_add_f64 v[3:4], v[3:4], v[12:13]
	s_delay_alu instid0(VALU_DEP_2)
	v_add_f64 v[1:2], v[1:2], v[8:9]
	s_and_not1_b32 exec_lo, exec_lo, s3
	s_cbranch_execnz .LBB28_125
; %bb.126:
	s_or_b32 exec_lo, exec_lo, s3
	v_mov_b32_e32 v5, 0
	ds_load_b128 v[5:8], v5 offset:448
	s_waitcnt lgkmcnt(0)
	v_mul_f64 v[9:10], v[1:2], v[7:8]
	v_mul_f64 v[7:8], v[3:4], v[7:8]
	s_delay_alu instid0(VALU_DEP_2) | instskip(NEXT) | instid1(VALU_DEP_2)
	v_fma_f64 v[3:4], v[3:4], v[5:6], -v[9:10]
	v_fma_f64 v[5:6], v[1:2], v[5:6], v[7:8]
	scratch_store_b128 off, v[3:6], off offset:448
.LBB28_127:
	s_or_b32 exec_lo, exec_lo, s2
	s_mov_b32 s3, -1
	s_waitcnt_vscnt null, 0x0
	s_barrier
	buffer_gl0_inv
.LBB28_128:
	s_and_b32 vcc_lo, exec_lo, s3
	s_cbranch_vccz .LBB28_130
; %bb.129:
	s_lshl_b64 s[2:3], s[18:19], 2
	v_mov_b32_e32 v1, 0
	s_add_u32 s2, s6, s2
	s_addc_u32 s3, s7, s3
	global_load_b32 v1, v1, s[2:3]
	s_waitcnt vmcnt(0)
	v_cmp_ne_u32_e32 vcc_lo, 0, v1
	s_cbranch_vccz .LBB28_131
.LBB28_130:
	s_endpgm
.LBB28_131:
	v_lshl_add_u32 v38, v100, 4, 0x1d0
	s_mov_b32 s2, exec_lo
	v_cmpx_eq_u32_e32 28, v100
	s_cbranch_execz .LBB28_133
; %bb.132:
	scratch_load_b128 v[1:4], v119, off
	v_mov_b32_e32 v5, 0
	s_delay_alu instid0(VALU_DEP_1)
	v_mov_b32_e32 v6, v5
	v_mov_b32_e32 v7, v5
	;; [unrolled: 1-line block ×3, first 2 shown]
	scratch_store_b128 off, v[5:8], off offset:432
	s_waitcnt vmcnt(0)
	ds_store_b128 v38, v[1:4]
.LBB28_133:
	s_or_b32 exec_lo, exec_lo, s2
	s_waitcnt lgkmcnt(0)
	s_waitcnt_vscnt null, 0x0
	s_barrier
	buffer_gl0_inv
	s_clause 0x1
	scratch_load_b128 v[2:5], off, off offset:448
	scratch_load_b128 v[6:9], off, off offset:432
	v_mov_b32_e32 v1, 0
	s_mov_b32 s2, exec_lo
	ds_load_b128 v[10:13], v1 offset:912
	s_waitcnt vmcnt(1) lgkmcnt(0)
	v_mul_f64 v[14:15], v[12:13], v[4:5]
	v_mul_f64 v[4:5], v[10:11], v[4:5]
	s_delay_alu instid0(VALU_DEP_2) | instskip(NEXT) | instid1(VALU_DEP_2)
	v_fma_f64 v[10:11], v[10:11], v[2:3], -v[14:15]
	v_fma_f64 v[2:3], v[12:13], v[2:3], v[4:5]
	s_delay_alu instid0(VALU_DEP_2) | instskip(NEXT) | instid1(VALU_DEP_2)
	v_add_f64 v[4:5], v[10:11], 0
	v_add_f64 v[10:11], v[2:3], 0
	s_waitcnt vmcnt(0)
	s_delay_alu instid0(VALU_DEP_2) | instskip(NEXT) | instid1(VALU_DEP_2)
	v_add_f64 v[2:3], v[6:7], -v[4:5]
	v_add_f64 v[4:5], v[8:9], -v[10:11]
	scratch_store_b128 off, v[2:5], off offset:432
	v_cmpx_lt_u32_e32 26, v100
	s_cbranch_execz .LBB28_135
; %bb.134:
	scratch_load_b128 v[5:8], v120, off
	v_mov_b32_e32 v2, v1
	v_mov_b32_e32 v3, v1
	;; [unrolled: 1-line block ×3, first 2 shown]
	scratch_store_b128 off, v[1:4], off offset:416
	s_waitcnt vmcnt(0)
	ds_store_b128 v38, v[5:8]
.LBB28_135:
	s_or_b32 exec_lo, exec_lo, s2
	s_waitcnt lgkmcnt(0)
	s_waitcnt_vscnt null, 0x0
	s_barrier
	buffer_gl0_inv
	s_clause 0x2
	scratch_load_b128 v[2:5], off, off offset:432
	scratch_load_b128 v[6:9], off, off offset:448
	;; [unrolled: 1-line block ×3, first 2 shown]
	ds_load_b128 v[14:17], v1 offset:896
	ds_load_b128 v[18:21], v1 offset:912
	s_mov_b32 s2, exec_lo
	s_waitcnt vmcnt(2) lgkmcnt(1)
	v_mul_f64 v[22:23], v[16:17], v[4:5]
	v_mul_f64 v[4:5], v[14:15], v[4:5]
	s_waitcnt vmcnt(1) lgkmcnt(0)
	v_mul_f64 v[24:25], v[18:19], v[8:9]
	v_mul_f64 v[8:9], v[20:21], v[8:9]
	s_delay_alu instid0(VALU_DEP_4) | instskip(NEXT) | instid1(VALU_DEP_4)
	v_fma_f64 v[14:15], v[14:15], v[2:3], -v[22:23]
	v_fma_f64 v[1:2], v[16:17], v[2:3], v[4:5]
	s_delay_alu instid0(VALU_DEP_4) | instskip(NEXT) | instid1(VALU_DEP_4)
	v_fma_f64 v[3:4], v[20:21], v[6:7], v[24:25]
	v_fma_f64 v[5:6], v[18:19], v[6:7], -v[8:9]
	s_delay_alu instid0(VALU_DEP_4) | instskip(NEXT) | instid1(VALU_DEP_4)
	v_add_f64 v[7:8], v[14:15], 0
	v_add_f64 v[1:2], v[1:2], 0
	s_delay_alu instid0(VALU_DEP_2) | instskip(NEXT) | instid1(VALU_DEP_2)
	v_add_f64 v[5:6], v[7:8], v[5:6]
	v_add_f64 v[3:4], v[1:2], v[3:4]
	s_waitcnt vmcnt(0)
	s_delay_alu instid0(VALU_DEP_2) | instskip(NEXT) | instid1(VALU_DEP_2)
	v_add_f64 v[1:2], v[10:11], -v[5:6]
	v_add_f64 v[3:4], v[12:13], -v[3:4]
	scratch_store_b128 off, v[1:4], off offset:416
	v_cmpx_lt_u32_e32 25, v100
	s_cbranch_execz .LBB28_137
; %bb.136:
	scratch_load_b128 v[1:4], v121, off
	v_mov_b32_e32 v5, 0
	s_delay_alu instid0(VALU_DEP_1)
	v_mov_b32_e32 v6, v5
	v_mov_b32_e32 v7, v5
	;; [unrolled: 1-line block ×3, first 2 shown]
	scratch_store_b128 off, v[5:8], off offset:400
	s_waitcnt vmcnt(0)
	ds_store_b128 v38, v[1:4]
.LBB28_137:
	s_or_b32 exec_lo, exec_lo, s2
	s_waitcnt lgkmcnt(0)
	s_waitcnt_vscnt null, 0x0
	s_barrier
	buffer_gl0_inv
	s_clause 0x3
	scratch_load_b128 v[2:5], off, off offset:416
	scratch_load_b128 v[6:9], off, off offset:432
	;; [unrolled: 1-line block ×4, first 2 shown]
	v_mov_b32_e32 v1, 0
	ds_load_b128 v[18:21], v1 offset:880
	ds_load_b128 v[22:25], v1 offset:896
	s_mov_b32 s2, exec_lo
	s_waitcnt vmcnt(3) lgkmcnt(1)
	v_mul_f64 v[26:27], v[20:21], v[4:5]
	v_mul_f64 v[4:5], v[18:19], v[4:5]
	s_waitcnt vmcnt(2) lgkmcnt(0)
	v_mul_f64 v[28:29], v[22:23], v[8:9]
	v_mul_f64 v[8:9], v[24:25], v[8:9]
	s_delay_alu instid0(VALU_DEP_4) | instskip(NEXT) | instid1(VALU_DEP_4)
	v_fma_f64 v[18:19], v[18:19], v[2:3], -v[26:27]
	v_fma_f64 v[20:21], v[20:21], v[2:3], v[4:5]
	ds_load_b128 v[2:5], v1 offset:912
	v_fma_f64 v[24:25], v[24:25], v[6:7], v[28:29]
	v_fma_f64 v[6:7], v[22:23], v[6:7], -v[8:9]
	s_waitcnt vmcnt(1) lgkmcnt(0)
	v_mul_f64 v[26:27], v[2:3], v[12:13]
	v_mul_f64 v[12:13], v[4:5], v[12:13]
	v_add_f64 v[8:9], v[18:19], 0
	v_add_f64 v[18:19], v[20:21], 0
	s_delay_alu instid0(VALU_DEP_4) | instskip(NEXT) | instid1(VALU_DEP_4)
	v_fma_f64 v[4:5], v[4:5], v[10:11], v[26:27]
	v_fma_f64 v[2:3], v[2:3], v[10:11], -v[12:13]
	s_delay_alu instid0(VALU_DEP_4) | instskip(NEXT) | instid1(VALU_DEP_4)
	v_add_f64 v[6:7], v[8:9], v[6:7]
	v_add_f64 v[8:9], v[18:19], v[24:25]
	s_delay_alu instid0(VALU_DEP_2) | instskip(NEXT) | instid1(VALU_DEP_2)
	v_add_f64 v[2:3], v[6:7], v[2:3]
	v_add_f64 v[4:5], v[8:9], v[4:5]
	s_waitcnt vmcnt(0)
	s_delay_alu instid0(VALU_DEP_2) | instskip(NEXT) | instid1(VALU_DEP_2)
	v_add_f64 v[2:3], v[14:15], -v[2:3]
	v_add_f64 v[4:5], v[16:17], -v[4:5]
	scratch_store_b128 off, v[2:5], off offset:400
	v_cmpx_lt_u32_e32 24, v100
	s_cbranch_execz .LBB28_139
; %bb.138:
	scratch_load_b128 v[5:8], v122, off
	v_mov_b32_e32 v2, v1
	v_mov_b32_e32 v3, v1
	;; [unrolled: 1-line block ×3, first 2 shown]
	scratch_store_b128 off, v[1:4], off offset:384
	s_waitcnt vmcnt(0)
	ds_store_b128 v38, v[5:8]
.LBB28_139:
	s_or_b32 exec_lo, exec_lo, s2
	s_waitcnt lgkmcnt(0)
	s_waitcnt_vscnt null, 0x0
	s_barrier
	buffer_gl0_inv
	s_clause 0x4
	scratch_load_b128 v[2:5], off, off offset:400
	scratch_load_b128 v[6:9], off, off offset:416
	;; [unrolled: 1-line block ×5, first 2 shown]
	ds_load_b128 v[22:25], v1 offset:864
	ds_load_b128 v[26:29], v1 offset:880
	s_mov_b32 s2, exec_lo
	s_waitcnt vmcnt(4) lgkmcnt(1)
	v_mul_f64 v[30:31], v[24:25], v[4:5]
	v_mul_f64 v[4:5], v[22:23], v[4:5]
	s_waitcnt vmcnt(3) lgkmcnt(0)
	v_mul_f64 v[32:33], v[26:27], v[8:9]
	v_mul_f64 v[8:9], v[28:29], v[8:9]
	s_delay_alu instid0(VALU_DEP_4) | instskip(NEXT) | instid1(VALU_DEP_4)
	v_fma_f64 v[30:31], v[22:23], v[2:3], -v[30:31]
	v_fma_f64 v[34:35], v[24:25], v[2:3], v[4:5]
	ds_load_b128 v[2:5], v1 offset:896
	ds_load_b128 v[22:25], v1 offset:912
	v_fma_f64 v[28:29], v[28:29], v[6:7], v[32:33]
	v_fma_f64 v[6:7], v[26:27], v[6:7], -v[8:9]
	s_waitcnt vmcnt(2) lgkmcnt(1)
	v_mul_f64 v[36:37], v[2:3], v[12:13]
	v_mul_f64 v[12:13], v[4:5], v[12:13]
	v_add_f64 v[8:9], v[30:31], 0
	v_add_f64 v[26:27], v[34:35], 0
	s_waitcnt vmcnt(1) lgkmcnt(0)
	v_mul_f64 v[30:31], v[22:23], v[16:17]
	v_mul_f64 v[16:17], v[24:25], v[16:17]
	v_fma_f64 v[4:5], v[4:5], v[10:11], v[36:37]
	v_fma_f64 v[1:2], v[2:3], v[10:11], -v[12:13]
	v_add_f64 v[6:7], v[8:9], v[6:7]
	v_add_f64 v[8:9], v[26:27], v[28:29]
	v_fma_f64 v[10:11], v[24:25], v[14:15], v[30:31]
	v_fma_f64 v[12:13], v[22:23], v[14:15], -v[16:17]
	s_delay_alu instid0(VALU_DEP_4) | instskip(NEXT) | instid1(VALU_DEP_4)
	v_add_f64 v[1:2], v[6:7], v[1:2]
	v_add_f64 v[3:4], v[8:9], v[4:5]
	s_delay_alu instid0(VALU_DEP_2) | instskip(NEXT) | instid1(VALU_DEP_2)
	v_add_f64 v[1:2], v[1:2], v[12:13]
	v_add_f64 v[3:4], v[3:4], v[10:11]
	s_waitcnt vmcnt(0)
	s_delay_alu instid0(VALU_DEP_2) | instskip(NEXT) | instid1(VALU_DEP_2)
	v_add_f64 v[1:2], v[18:19], -v[1:2]
	v_add_f64 v[3:4], v[20:21], -v[3:4]
	scratch_store_b128 off, v[1:4], off offset:384
	v_cmpx_lt_u32_e32 23, v100
	s_cbranch_execz .LBB28_141
; %bb.140:
	scratch_load_b128 v[1:4], v123, off
	v_mov_b32_e32 v5, 0
	s_delay_alu instid0(VALU_DEP_1)
	v_mov_b32_e32 v6, v5
	v_mov_b32_e32 v7, v5
	;; [unrolled: 1-line block ×3, first 2 shown]
	scratch_store_b128 off, v[5:8], off offset:368
	s_waitcnt vmcnt(0)
	ds_store_b128 v38, v[1:4]
.LBB28_141:
	s_or_b32 exec_lo, exec_lo, s2
	s_waitcnt lgkmcnt(0)
	s_waitcnt_vscnt null, 0x0
	s_barrier
	buffer_gl0_inv
	s_clause 0x5
	scratch_load_b128 v[2:5], off, off offset:384
	scratch_load_b128 v[6:9], off, off offset:400
	scratch_load_b128 v[10:13], off, off offset:416
	scratch_load_b128 v[14:17], off, off offset:432
	scratch_load_b128 v[18:21], off, off offset:448
	scratch_load_b128 v[22:25], off, off offset:368
	v_mov_b32_e32 v1, 0
	ds_load_b128 v[26:29], v1 offset:848
	ds_load_b128 v[30:33], v1 offset:864
	s_mov_b32 s2, exec_lo
	s_waitcnt vmcnt(5) lgkmcnt(1)
	v_mul_f64 v[34:35], v[28:29], v[4:5]
	v_mul_f64 v[4:5], v[26:27], v[4:5]
	s_waitcnt vmcnt(4) lgkmcnt(0)
	v_mul_f64 v[36:37], v[30:31], v[8:9]
	v_mul_f64 v[8:9], v[32:33], v[8:9]
	s_delay_alu instid0(VALU_DEP_4) | instskip(NEXT) | instid1(VALU_DEP_4)
	v_fma_f64 v[34:35], v[26:27], v[2:3], -v[34:35]
	v_fma_f64 v[39:40], v[28:29], v[2:3], v[4:5]
	ds_load_b128 v[2:5], v1 offset:880
	ds_load_b128 v[26:29], v1 offset:896
	v_fma_f64 v[32:33], v[32:33], v[6:7], v[36:37]
	v_fma_f64 v[6:7], v[30:31], v[6:7], -v[8:9]
	s_waitcnt vmcnt(3) lgkmcnt(1)
	v_mul_f64 v[129:130], v[2:3], v[12:13]
	v_mul_f64 v[12:13], v[4:5], v[12:13]
	v_add_f64 v[8:9], v[34:35], 0
	v_add_f64 v[30:31], v[39:40], 0
	s_waitcnt vmcnt(2) lgkmcnt(0)
	v_mul_f64 v[34:35], v[26:27], v[16:17]
	v_mul_f64 v[16:17], v[28:29], v[16:17]
	v_fma_f64 v[36:37], v[4:5], v[10:11], v[129:130]
	v_fma_f64 v[10:11], v[2:3], v[10:11], -v[12:13]
	ds_load_b128 v[2:5], v1 offset:912
	v_add_f64 v[6:7], v[8:9], v[6:7]
	v_add_f64 v[8:9], v[30:31], v[32:33]
	v_fma_f64 v[28:29], v[28:29], v[14:15], v[34:35]
	v_fma_f64 v[14:15], v[26:27], v[14:15], -v[16:17]
	s_waitcnt vmcnt(1) lgkmcnt(0)
	v_mul_f64 v[12:13], v[2:3], v[20:21]
	v_mul_f64 v[20:21], v[4:5], v[20:21]
	v_add_f64 v[6:7], v[6:7], v[10:11]
	v_add_f64 v[8:9], v[8:9], v[36:37]
	s_delay_alu instid0(VALU_DEP_4) | instskip(NEXT) | instid1(VALU_DEP_4)
	v_fma_f64 v[4:5], v[4:5], v[18:19], v[12:13]
	v_fma_f64 v[2:3], v[2:3], v[18:19], -v[20:21]
	s_delay_alu instid0(VALU_DEP_4) | instskip(NEXT) | instid1(VALU_DEP_4)
	v_add_f64 v[6:7], v[6:7], v[14:15]
	v_add_f64 v[8:9], v[8:9], v[28:29]
	s_delay_alu instid0(VALU_DEP_2) | instskip(NEXT) | instid1(VALU_DEP_2)
	v_add_f64 v[2:3], v[6:7], v[2:3]
	v_add_f64 v[4:5], v[8:9], v[4:5]
	s_waitcnt vmcnt(0)
	s_delay_alu instid0(VALU_DEP_2) | instskip(NEXT) | instid1(VALU_DEP_2)
	v_add_f64 v[2:3], v[22:23], -v[2:3]
	v_add_f64 v[4:5], v[24:25], -v[4:5]
	scratch_store_b128 off, v[2:5], off offset:368
	v_cmpx_lt_u32_e32 22, v100
	s_cbranch_execz .LBB28_143
; %bb.142:
	scratch_load_b128 v[5:8], v124, off
	v_mov_b32_e32 v2, v1
	v_mov_b32_e32 v3, v1
	;; [unrolled: 1-line block ×3, first 2 shown]
	scratch_store_b128 off, v[1:4], off offset:352
	s_waitcnt vmcnt(0)
	ds_store_b128 v38, v[5:8]
.LBB28_143:
	s_or_b32 exec_lo, exec_lo, s2
	s_waitcnt lgkmcnt(0)
	s_waitcnt_vscnt null, 0x0
	s_barrier
	buffer_gl0_inv
	s_clause 0x5
	scratch_load_b128 v[2:5], off, off offset:368
	scratch_load_b128 v[6:9], off, off offset:384
	;; [unrolled: 1-line block ×6, first 2 shown]
	ds_load_b128 v[26:29], v1 offset:832
	ds_load_b128 v[34:37], v1 offset:848
	scratch_load_b128 v[30:33], off, off offset:352
	s_mov_b32 s2, exec_lo
	s_waitcnt vmcnt(6) lgkmcnt(1)
	v_mul_f64 v[39:40], v[28:29], v[4:5]
	v_mul_f64 v[4:5], v[26:27], v[4:5]
	s_waitcnt vmcnt(5) lgkmcnt(0)
	v_mul_f64 v[129:130], v[34:35], v[8:9]
	v_mul_f64 v[8:9], v[36:37], v[8:9]
	s_delay_alu instid0(VALU_DEP_4) | instskip(NEXT) | instid1(VALU_DEP_4)
	v_fma_f64 v[39:40], v[26:27], v[2:3], -v[39:40]
	v_fma_f64 v[131:132], v[28:29], v[2:3], v[4:5]
	ds_load_b128 v[2:5], v1 offset:864
	ds_load_b128 v[26:29], v1 offset:880
	v_fma_f64 v[36:37], v[36:37], v[6:7], v[129:130]
	v_fma_f64 v[6:7], v[34:35], v[6:7], -v[8:9]
	s_waitcnt vmcnt(4) lgkmcnt(1)
	v_mul_f64 v[133:134], v[2:3], v[12:13]
	v_mul_f64 v[12:13], v[4:5], v[12:13]
	v_add_f64 v[8:9], v[39:40], 0
	v_add_f64 v[34:35], v[131:132], 0
	s_waitcnt vmcnt(3) lgkmcnt(0)
	v_mul_f64 v[39:40], v[26:27], v[16:17]
	v_mul_f64 v[16:17], v[28:29], v[16:17]
	v_fma_f64 v[129:130], v[4:5], v[10:11], v[133:134]
	v_fma_f64 v[10:11], v[2:3], v[10:11], -v[12:13]
	v_add_f64 v[12:13], v[8:9], v[6:7]
	v_add_f64 v[34:35], v[34:35], v[36:37]
	ds_load_b128 v[2:5], v1 offset:896
	ds_load_b128 v[6:9], v1 offset:912
	v_fma_f64 v[28:29], v[28:29], v[14:15], v[39:40]
	v_fma_f64 v[14:15], v[26:27], v[14:15], -v[16:17]
	s_waitcnt vmcnt(2) lgkmcnt(1)
	v_mul_f64 v[36:37], v[2:3], v[20:21]
	v_mul_f64 v[20:21], v[4:5], v[20:21]
	s_waitcnt vmcnt(1) lgkmcnt(0)
	v_mul_f64 v[16:17], v[6:7], v[24:25]
	v_mul_f64 v[24:25], v[8:9], v[24:25]
	v_add_f64 v[10:11], v[12:13], v[10:11]
	v_add_f64 v[12:13], v[34:35], v[129:130]
	v_fma_f64 v[4:5], v[4:5], v[18:19], v[36:37]
	v_fma_f64 v[1:2], v[2:3], v[18:19], -v[20:21]
	v_fma_f64 v[8:9], v[8:9], v[22:23], v[16:17]
	v_fma_f64 v[6:7], v[6:7], v[22:23], -v[24:25]
	v_add_f64 v[10:11], v[10:11], v[14:15]
	v_add_f64 v[12:13], v[12:13], v[28:29]
	s_delay_alu instid0(VALU_DEP_2) | instskip(NEXT) | instid1(VALU_DEP_2)
	v_add_f64 v[1:2], v[10:11], v[1:2]
	v_add_f64 v[3:4], v[12:13], v[4:5]
	s_delay_alu instid0(VALU_DEP_2) | instskip(NEXT) | instid1(VALU_DEP_2)
	v_add_f64 v[1:2], v[1:2], v[6:7]
	v_add_f64 v[3:4], v[3:4], v[8:9]
	s_waitcnt vmcnt(0)
	s_delay_alu instid0(VALU_DEP_2) | instskip(NEXT) | instid1(VALU_DEP_2)
	v_add_f64 v[1:2], v[30:31], -v[1:2]
	v_add_f64 v[3:4], v[32:33], -v[3:4]
	scratch_store_b128 off, v[1:4], off offset:352
	v_cmpx_lt_u32_e32 21, v100
	s_cbranch_execz .LBB28_145
; %bb.144:
	scratch_load_b128 v[1:4], v125, off
	v_mov_b32_e32 v5, 0
	s_delay_alu instid0(VALU_DEP_1)
	v_mov_b32_e32 v6, v5
	v_mov_b32_e32 v7, v5
	;; [unrolled: 1-line block ×3, first 2 shown]
	scratch_store_b128 off, v[5:8], off offset:336
	s_waitcnt vmcnt(0)
	ds_store_b128 v38, v[1:4]
.LBB28_145:
	s_or_b32 exec_lo, exec_lo, s2
	s_waitcnt lgkmcnt(0)
	s_waitcnt_vscnt null, 0x0
	s_barrier
	buffer_gl0_inv
	s_clause 0x6
	scratch_load_b128 v[2:5], off, off offset:352
	scratch_load_b128 v[6:9], off, off offset:368
	;; [unrolled: 1-line block ×7, first 2 shown]
	v_mov_b32_e32 v1, 0
	scratch_load_b128 v[34:37], off, off offset:336
	s_mov_b32 s2, exec_lo
	ds_load_b128 v[30:33], v1 offset:816
	ds_load_b128 v[129:132], v1 offset:832
	s_waitcnt vmcnt(7) lgkmcnt(1)
	v_mul_f64 v[39:40], v[32:33], v[4:5]
	v_mul_f64 v[4:5], v[30:31], v[4:5]
	s_waitcnt vmcnt(6) lgkmcnt(0)
	v_mul_f64 v[133:134], v[129:130], v[8:9]
	v_mul_f64 v[8:9], v[131:132], v[8:9]
	s_delay_alu instid0(VALU_DEP_4) | instskip(NEXT) | instid1(VALU_DEP_4)
	v_fma_f64 v[39:40], v[30:31], v[2:3], -v[39:40]
	v_fma_f64 v[135:136], v[32:33], v[2:3], v[4:5]
	ds_load_b128 v[2:5], v1 offset:848
	ds_load_b128 v[30:33], v1 offset:864
	v_fma_f64 v[131:132], v[131:132], v[6:7], v[133:134]
	v_fma_f64 v[6:7], v[129:130], v[6:7], -v[8:9]
	s_waitcnt vmcnt(5) lgkmcnt(1)
	v_mul_f64 v[137:138], v[2:3], v[12:13]
	v_mul_f64 v[12:13], v[4:5], v[12:13]
	s_waitcnt vmcnt(4) lgkmcnt(0)
	v_mul_f64 v[129:130], v[30:31], v[16:17]
	v_mul_f64 v[16:17], v[32:33], v[16:17]
	v_add_f64 v[8:9], v[39:40], 0
	v_add_f64 v[39:40], v[135:136], 0
	v_fma_f64 v[133:134], v[4:5], v[10:11], v[137:138]
	v_fma_f64 v[10:11], v[2:3], v[10:11], -v[12:13]
	v_fma_f64 v[32:33], v[32:33], v[14:15], v[129:130]
	v_fma_f64 v[14:15], v[30:31], v[14:15], -v[16:17]
	v_add_f64 v[12:13], v[8:9], v[6:7]
	v_add_f64 v[39:40], v[39:40], v[131:132]
	ds_load_b128 v[2:5], v1 offset:880
	ds_load_b128 v[6:9], v1 offset:896
	s_waitcnt vmcnt(3) lgkmcnt(1)
	v_mul_f64 v[131:132], v[2:3], v[20:21]
	v_mul_f64 v[20:21], v[4:5], v[20:21]
	s_waitcnt vmcnt(2) lgkmcnt(0)
	v_mul_f64 v[16:17], v[6:7], v[24:25]
	v_mul_f64 v[24:25], v[8:9], v[24:25]
	v_add_f64 v[10:11], v[12:13], v[10:11]
	v_add_f64 v[12:13], v[39:40], v[133:134]
	v_fma_f64 v[30:31], v[4:5], v[18:19], v[131:132]
	v_fma_f64 v[18:19], v[2:3], v[18:19], -v[20:21]
	ds_load_b128 v[2:5], v1 offset:912
	v_fma_f64 v[8:9], v[8:9], v[22:23], v[16:17]
	v_fma_f64 v[6:7], v[6:7], v[22:23], -v[24:25]
	v_add_f64 v[10:11], v[10:11], v[14:15]
	v_add_f64 v[12:13], v[12:13], v[32:33]
	s_waitcnt vmcnt(1) lgkmcnt(0)
	v_mul_f64 v[14:15], v[2:3], v[28:29]
	v_mul_f64 v[20:21], v[4:5], v[28:29]
	s_delay_alu instid0(VALU_DEP_4) | instskip(NEXT) | instid1(VALU_DEP_4)
	v_add_f64 v[10:11], v[10:11], v[18:19]
	v_add_f64 v[12:13], v[12:13], v[30:31]
	s_delay_alu instid0(VALU_DEP_4) | instskip(NEXT) | instid1(VALU_DEP_4)
	v_fma_f64 v[4:5], v[4:5], v[26:27], v[14:15]
	v_fma_f64 v[2:3], v[2:3], v[26:27], -v[20:21]
	s_delay_alu instid0(VALU_DEP_4) | instskip(NEXT) | instid1(VALU_DEP_4)
	v_add_f64 v[6:7], v[10:11], v[6:7]
	v_add_f64 v[8:9], v[12:13], v[8:9]
	s_delay_alu instid0(VALU_DEP_2) | instskip(NEXT) | instid1(VALU_DEP_2)
	v_add_f64 v[2:3], v[6:7], v[2:3]
	v_add_f64 v[4:5], v[8:9], v[4:5]
	s_waitcnt vmcnt(0)
	s_delay_alu instid0(VALU_DEP_2) | instskip(NEXT) | instid1(VALU_DEP_2)
	v_add_f64 v[2:3], v[34:35], -v[2:3]
	v_add_f64 v[4:5], v[36:37], -v[4:5]
	scratch_store_b128 off, v[2:5], off offset:336
	v_cmpx_lt_u32_e32 20, v100
	s_cbranch_execz .LBB28_147
; %bb.146:
	scratch_load_b128 v[5:8], v126, off
	v_mov_b32_e32 v2, v1
	v_mov_b32_e32 v3, v1
	;; [unrolled: 1-line block ×3, first 2 shown]
	scratch_store_b128 off, v[1:4], off offset:320
	s_waitcnt vmcnt(0)
	ds_store_b128 v38, v[5:8]
.LBB28_147:
	s_or_b32 exec_lo, exec_lo, s2
	s_waitcnt lgkmcnt(0)
	s_waitcnt_vscnt null, 0x0
	s_barrier
	buffer_gl0_inv
	s_clause 0x7
	scratch_load_b128 v[2:5], off, off offset:336
	scratch_load_b128 v[6:9], off, off offset:352
	;; [unrolled: 1-line block ×8, first 2 shown]
	ds_load_b128 v[34:37], v1 offset:800
	ds_load_b128 v[129:132], v1 offset:816
	scratch_load_b128 v[133:136], off, off offset:320
	s_mov_b32 s2, exec_lo
	s_waitcnt vmcnt(8) lgkmcnt(1)
	v_mul_f64 v[39:40], v[36:37], v[4:5]
	v_mul_f64 v[4:5], v[34:35], v[4:5]
	s_waitcnt vmcnt(7) lgkmcnt(0)
	v_mul_f64 v[137:138], v[129:130], v[8:9]
	v_mul_f64 v[8:9], v[131:132], v[8:9]
	s_delay_alu instid0(VALU_DEP_4) | instskip(NEXT) | instid1(VALU_DEP_4)
	v_fma_f64 v[39:40], v[34:35], v[2:3], -v[39:40]
	v_fma_f64 v[139:140], v[36:37], v[2:3], v[4:5]
	ds_load_b128 v[2:5], v1 offset:832
	ds_load_b128 v[34:37], v1 offset:848
	v_fma_f64 v[131:132], v[131:132], v[6:7], v[137:138]
	v_fma_f64 v[6:7], v[129:130], v[6:7], -v[8:9]
	s_waitcnt vmcnt(6) lgkmcnt(1)
	v_mul_f64 v[141:142], v[2:3], v[12:13]
	v_mul_f64 v[12:13], v[4:5], v[12:13]
	s_waitcnt vmcnt(5) lgkmcnt(0)
	v_mul_f64 v[129:130], v[34:35], v[16:17]
	v_mul_f64 v[16:17], v[36:37], v[16:17]
	v_add_f64 v[8:9], v[39:40], 0
	v_add_f64 v[39:40], v[139:140], 0
	v_fma_f64 v[137:138], v[4:5], v[10:11], v[141:142]
	v_fma_f64 v[10:11], v[2:3], v[10:11], -v[12:13]
	v_fma_f64 v[36:37], v[36:37], v[14:15], v[129:130]
	v_fma_f64 v[14:15], v[34:35], v[14:15], -v[16:17]
	v_add_f64 v[12:13], v[8:9], v[6:7]
	v_add_f64 v[39:40], v[39:40], v[131:132]
	ds_load_b128 v[2:5], v1 offset:864
	ds_load_b128 v[6:9], v1 offset:880
	s_waitcnt vmcnt(4) lgkmcnt(1)
	v_mul_f64 v[131:132], v[2:3], v[20:21]
	v_mul_f64 v[20:21], v[4:5], v[20:21]
	s_waitcnt vmcnt(3) lgkmcnt(0)
	v_mul_f64 v[16:17], v[6:7], v[24:25]
	v_mul_f64 v[24:25], v[8:9], v[24:25]
	v_add_f64 v[10:11], v[12:13], v[10:11]
	v_add_f64 v[12:13], v[39:40], v[137:138]
	v_fma_f64 v[34:35], v[4:5], v[18:19], v[131:132]
	v_fma_f64 v[18:19], v[2:3], v[18:19], -v[20:21]
	v_fma_f64 v[8:9], v[8:9], v[22:23], v[16:17]
	v_fma_f64 v[6:7], v[6:7], v[22:23], -v[24:25]
	v_add_f64 v[14:15], v[10:11], v[14:15]
	v_add_f64 v[20:21], v[12:13], v[36:37]
	ds_load_b128 v[2:5], v1 offset:896
	ds_load_b128 v[10:13], v1 offset:912
	s_waitcnt vmcnt(2) lgkmcnt(1)
	v_mul_f64 v[36:37], v[2:3], v[28:29]
	v_mul_f64 v[28:29], v[4:5], v[28:29]
	v_add_f64 v[14:15], v[14:15], v[18:19]
	v_add_f64 v[16:17], v[20:21], v[34:35]
	s_waitcnt vmcnt(1) lgkmcnt(0)
	v_mul_f64 v[18:19], v[10:11], v[32:33]
	v_mul_f64 v[20:21], v[12:13], v[32:33]
	v_fma_f64 v[4:5], v[4:5], v[26:27], v[36:37]
	v_fma_f64 v[1:2], v[2:3], v[26:27], -v[28:29]
	v_add_f64 v[6:7], v[14:15], v[6:7]
	v_add_f64 v[8:9], v[16:17], v[8:9]
	v_fma_f64 v[12:13], v[12:13], v[30:31], v[18:19]
	v_fma_f64 v[10:11], v[10:11], v[30:31], -v[20:21]
	s_delay_alu instid0(VALU_DEP_4) | instskip(NEXT) | instid1(VALU_DEP_4)
	v_add_f64 v[1:2], v[6:7], v[1:2]
	v_add_f64 v[3:4], v[8:9], v[4:5]
	s_delay_alu instid0(VALU_DEP_2) | instskip(NEXT) | instid1(VALU_DEP_2)
	v_add_f64 v[1:2], v[1:2], v[10:11]
	v_add_f64 v[3:4], v[3:4], v[12:13]
	s_waitcnt vmcnt(0)
	s_delay_alu instid0(VALU_DEP_2) | instskip(NEXT) | instid1(VALU_DEP_2)
	v_add_f64 v[1:2], v[133:134], -v[1:2]
	v_add_f64 v[3:4], v[135:136], -v[3:4]
	scratch_store_b128 off, v[1:4], off offset:320
	v_cmpx_lt_u32_e32 19, v100
	s_cbranch_execz .LBB28_149
; %bb.148:
	scratch_load_b128 v[1:4], v127, off
	v_mov_b32_e32 v5, 0
	s_delay_alu instid0(VALU_DEP_1)
	v_mov_b32_e32 v6, v5
	v_mov_b32_e32 v7, v5
	;; [unrolled: 1-line block ×3, first 2 shown]
	scratch_store_b128 off, v[5:8], off offset:304
	s_waitcnt vmcnt(0)
	ds_store_b128 v38, v[1:4]
.LBB28_149:
	s_or_b32 exec_lo, exec_lo, s2
	s_waitcnt lgkmcnt(0)
	s_waitcnt_vscnt null, 0x0
	s_barrier
	buffer_gl0_inv
	s_clause 0x7
	scratch_load_b128 v[2:5], off, off offset:320
	scratch_load_b128 v[6:9], off, off offset:336
	;; [unrolled: 1-line block ×8, first 2 shown]
	v_mov_b32_e32 v1, 0
	scratch_load_b128 v[129:132], off, off offset:448
	s_mov_b32 s2, exec_lo
	ds_load_b128 v[34:37], v1 offset:784
	ds_load_b128 v[133:136], v1 offset:800
	s_waitcnt vmcnt(8) lgkmcnt(1)
	v_mul_f64 v[39:40], v[36:37], v[4:5]
	v_mul_f64 v[4:5], v[34:35], v[4:5]
	s_waitcnt vmcnt(7) lgkmcnt(0)
	v_mul_f64 v[137:138], v[133:134], v[8:9]
	v_mul_f64 v[8:9], v[135:136], v[8:9]
	s_delay_alu instid0(VALU_DEP_4) | instskip(NEXT) | instid1(VALU_DEP_4)
	v_fma_f64 v[34:35], v[34:35], v[2:3], -v[39:40]
	v_fma_f64 v[36:37], v[36:37], v[2:3], v[4:5]
	ds_load_b128 v[2:5], v1 offset:816
	v_fma_f64 v[135:136], v[135:136], v[6:7], v[137:138]
	v_fma_f64 v[133:134], v[133:134], v[6:7], -v[8:9]
	ds_load_b128 v[6:9], v1 offset:832
	s_waitcnt vmcnt(6) lgkmcnt(1)
	v_mul_f64 v[39:40], v[2:3], v[12:13]
	v_mul_f64 v[12:13], v[4:5], v[12:13]
	s_waitcnt vmcnt(5) lgkmcnt(0)
	v_mul_f64 v[141:142], v[6:7], v[16:17]
	v_mul_f64 v[16:17], v[8:9], v[16:17]
	v_add_f64 v[137:138], v[34:35], 0
	v_add_f64 v[139:140], v[36:37], 0
	scratch_load_b128 v[34:37], off, off offset:304
	v_fma_f64 v[39:40], v[4:5], v[10:11], v[39:40]
	v_fma_f64 v[10:11], v[2:3], v[10:11], -v[12:13]
	ds_load_b128 v[2:5], v1 offset:848
	v_add_f64 v[12:13], v[137:138], v[133:134]
	v_add_f64 v[133:134], v[139:140], v[135:136]
	v_fma_f64 v[137:138], v[8:9], v[14:15], v[141:142]
	v_fma_f64 v[14:15], v[6:7], v[14:15], -v[16:17]
	ds_load_b128 v[6:9], v1 offset:864
	s_waitcnt vmcnt(5) lgkmcnt(1)
	v_mul_f64 v[135:136], v[2:3], v[20:21]
	v_mul_f64 v[20:21], v[4:5], v[20:21]
	s_waitcnt vmcnt(4) lgkmcnt(0)
	v_mul_f64 v[16:17], v[6:7], v[24:25]
	v_mul_f64 v[24:25], v[8:9], v[24:25]
	v_add_f64 v[10:11], v[12:13], v[10:11]
	v_add_f64 v[12:13], v[133:134], v[39:40]
	v_fma_f64 v[39:40], v[4:5], v[18:19], v[135:136]
	v_fma_f64 v[18:19], v[2:3], v[18:19], -v[20:21]
	ds_load_b128 v[2:5], v1 offset:880
	v_fma_f64 v[16:17], v[8:9], v[22:23], v[16:17]
	v_fma_f64 v[22:23], v[6:7], v[22:23], -v[24:25]
	ds_load_b128 v[6:9], v1 offset:896
	s_waitcnt vmcnt(3) lgkmcnt(1)
	v_mul_f64 v[20:21], v[4:5], v[28:29]
	v_add_f64 v[10:11], v[10:11], v[14:15]
	v_add_f64 v[12:13], v[12:13], v[137:138]
	v_mul_f64 v[14:15], v[2:3], v[28:29]
	s_waitcnt vmcnt(2) lgkmcnt(0)
	v_mul_f64 v[24:25], v[8:9], v[32:33]
	v_fma_f64 v[20:21], v[2:3], v[26:27], -v[20:21]
	v_add_f64 v[10:11], v[10:11], v[18:19]
	v_add_f64 v[12:13], v[12:13], v[39:40]
	v_mul_f64 v[18:19], v[6:7], v[32:33]
	v_fma_f64 v[14:15], v[4:5], v[26:27], v[14:15]
	ds_load_b128 v[2:5], v1 offset:912
	v_fma_f64 v[6:7], v[6:7], v[30:31], -v[24:25]
	v_add_f64 v[10:11], v[10:11], v[22:23]
	v_add_f64 v[12:13], v[12:13], v[16:17]
	s_waitcnt vmcnt(1) lgkmcnt(0)
	v_mul_f64 v[16:17], v[2:3], v[131:132]
	v_mul_f64 v[22:23], v[4:5], v[131:132]
	v_fma_f64 v[8:9], v[8:9], v[30:31], v[18:19]
	v_add_f64 v[10:11], v[10:11], v[20:21]
	v_add_f64 v[12:13], v[12:13], v[14:15]
	v_fma_f64 v[4:5], v[4:5], v[129:130], v[16:17]
	v_fma_f64 v[2:3], v[2:3], v[129:130], -v[22:23]
	s_delay_alu instid0(VALU_DEP_4) | instskip(NEXT) | instid1(VALU_DEP_4)
	v_add_f64 v[6:7], v[10:11], v[6:7]
	v_add_f64 v[8:9], v[12:13], v[8:9]
	s_delay_alu instid0(VALU_DEP_2) | instskip(NEXT) | instid1(VALU_DEP_2)
	v_add_f64 v[2:3], v[6:7], v[2:3]
	v_add_f64 v[4:5], v[8:9], v[4:5]
	s_waitcnt vmcnt(0)
	s_delay_alu instid0(VALU_DEP_2) | instskip(NEXT) | instid1(VALU_DEP_2)
	v_add_f64 v[2:3], v[34:35], -v[2:3]
	v_add_f64 v[4:5], v[36:37], -v[4:5]
	scratch_store_b128 off, v[2:5], off offset:304
	v_cmpx_lt_u32_e32 18, v100
	s_cbranch_execz .LBB28_151
; %bb.150:
	scratch_load_b128 v[5:8], v128, off
	v_mov_b32_e32 v2, v1
	v_mov_b32_e32 v3, v1
	;; [unrolled: 1-line block ×3, first 2 shown]
	scratch_store_b128 off, v[1:4], off offset:288
	s_waitcnt vmcnt(0)
	ds_store_b128 v38, v[5:8]
.LBB28_151:
	s_or_b32 exec_lo, exec_lo, s2
	s_waitcnt lgkmcnt(0)
	s_waitcnt_vscnt null, 0x0
	s_barrier
	buffer_gl0_inv
	s_clause 0x7
	scratch_load_b128 v[2:5], off, off offset:304
	scratch_load_b128 v[6:9], off, off offset:320
	;; [unrolled: 1-line block ×8, first 2 shown]
	ds_load_b128 v[34:37], v1 offset:768
	ds_load_b128 v[133:136], v1 offset:784
	s_clause 0x1
	scratch_load_b128 v[129:132], off, off offset:432
	scratch_load_b128 v[137:140], off, off offset:448
	s_mov_b32 s2, exec_lo
	s_waitcnt vmcnt(9) lgkmcnt(1)
	v_mul_f64 v[39:40], v[36:37], v[4:5]
	v_mul_f64 v[4:5], v[34:35], v[4:5]
	s_waitcnt vmcnt(8) lgkmcnt(0)
	v_mul_f64 v[141:142], v[133:134], v[8:9]
	v_mul_f64 v[8:9], v[135:136], v[8:9]
	s_delay_alu instid0(VALU_DEP_4) | instskip(NEXT) | instid1(VALU_DEP_4)
	v_fma_f64 v[34:35], v[34:35], v[2:3], -v[39:40]
	v_fma_f64 v[36:37], v[36:37], v[2:3], v[4:5]
	ds_load_b128 v[2:5], v1 offset:800
	v_fma_f64 v[135:136], v[135:136], v[6:7], v[141:142]
	v_fma_f64 v[133:134], v[133:134], v[6:7], -v[8:9]
	ds_load_b128 v[6:9], v1 offset:816
	s_waitcnt vmcnt(7) lgkmcnt(1)
	v_mul_f64 v[39:40], v[2:3], v[12:13]
	v_mul_f64 v[12:13], v[4:5], v[12:13]
	s_waitcnt vmcnt(6) lgkmcnt(0)
	v_mul_f64 v[141:142], v[6:7], v[16:17]
	v_mul_f64 v[16:17], v[8:9], v[16:17]
	v_add_f64 v[34:35], v[34:35], 0
	v_add_f64 v[36:37], v[36:37], 0
	v_fma_f64 v[39:40], v[4:5], v[10:11], v[39:40]
	v_fma_f64 v[143:144], v[2:3], v[10:11], -v[12:13]
	ds_load_b128 v[2:5], v1 offset:832
	scratch_load_b128 v[10:13], off, off offset:288
	v_add_f64 v[34:35], v[34:35], v[133:134]
	v_add_f64 v[36:37], v[36:37], v[135:136]
	v_fma_f64 v[135:136], v[8:9], v[14:15], v[141:142]
	v_fma_f64 v[14:15], v[6:7], v[14:15], -v[16:17]
	ds_load_b128 v[6:9], v1 offset:848
	s_waitcnt vmcnt(6) lgkmcnt(1)
	v_mul_f64 v[133:134], v[2:3], v[20:21]
	v_mul_f64 v[20:21], v[4:5], v[20:21]
	v_add_f64 v[16:17], v[34:35], v[143:144]
	v_add_f64 v[34:35], v[36:37], v[39:40]
	s_waitcnt vmcnt(5) lgkmcnt(0)
	v_mul_f64 v[36:37], v[6:7], v[24:25]
	v_mul_f64 v[24:25], v[8:9], v[24:25]
	v_fma_f64 v[39:40], v[4:5], v[18:19], v[133:134]
	v_fma_f64 v[18:19], v[2:3], v[18:19], -v[20:21]
	ds_load_b128 v[2:5], v1 offset:864
	v_add_f64 v[14:15], v[16:17], v[14:15]
	v_add_f64 v[16:17], v[34:35], v[135:136]
	v_fma_f64 v[34:35], v[8:9], v[22:23], v[36:37]
	v_fma_f64 v[22:23], v[6:7], v[22:23], -v[24:25]
	ds_load_b128 v[6:9], v1 offset:880
	s_waitcnt vmcnt(4) lgkmcnt(1)
	v_mul_f64 v[20:21], v[2:3], v[28:29]
	v_mul_f64 v[28:29], v[4:5], v[28:29]
	s_waitcnt vmcnt(3) lgkmcnt(0)
	v_mul_f64 v[24:25], v[8:9], v[32:33]
	v_add_f64 v[14:15], v[14:15], v[18:19]
	v_add_f64 v[16:17], v[16:17], v[39:40]
	v_mul_f64 v[18:19], v[6:7], v[32:33]
	v_fma_f64 v[20:21], v[4:5], v[26:27], v[20:21]
	v_fma_f64 v[26:27], v[2:3], v[26:27], -v[28:29]
	ds_load_b128 v[2:5], v1 offset:896
	v_fma_f64 v[24:25], v[6:7], v[30:31], -v[24:25]
	v_add_f64 v[14:15], v[14:15], v[22:23]
	v_add_f64 v[16:17], v[16:17], v[34:35]
	v_fma_f64 v[18:19], v[8:9], v[30:31], v[18:19]
	ds_load_b128 v[6:9], v1 offset:912
	s_waitcnt vmcnt(2) lgkmcnt(1)
	v_mul_f64 v[22:23], v[2:3], v[131:132]
	v_mul_f64 v[28:29], v[4:5], v[131:132]
	v_add_f64 v[14:15], v[14:15], v[26:27]
	v_add_f64 v[16:17], v[16:17], v[20:21]
	s_waitcnt vmcnt(1) lgkmcnt(0)
	v_mul_f64 v[20:21], v[6:7], v[139:140]
	v_mul_f64 v[26:27], v[8:9], v[139:140]
	v_fma_f64 v[4:5], v[4:5], v[129:130], v[22:23]
	v_fma_f64 v[1:2], v[2:3], v[129:130], -v[28:29]
	v_add_f64 v[14:15], v[14:15], v[24:25]
	v_add_f64 v[16:17], v[16:17], v[18:19]
	v_fma_f64 v[8:9], v[8:9], v[137:138], v[20:21]
	v_fma_f64 v[6:7], v[6:7], v[137:138], -v[26:27]
	s_delay_alu instid0(VALU_DEP_4) | instskip(NEXT) | instid1(VALU_DEP_4)
	v_add_f64 v[1:2], v[14:15], v[1:2]
	v_add_f64 v[3:4], v[16:17], v[4:5]
	s_delay_alu instid0(VALU_DEP_2) | instskip(NEXT) | instid1(VALU_DEP_2)
	v_add_f64 v[1:2], v[1:2], v[6:7]
	v_add_f64 v[3:4], v[3:4], v[8:9]
	s_waitcnt vmcnt(0)
	s_delay_alu instid0(VALU_DEP_2) | instskip(NEXT) | instid1(VALU_DEP_2)
	v_add_f64 v[1:2], v[10:11], -v[1:2]
	v_add_f64 v[3:4], v[12:13], -v[3:4]
	scratch_store_b128 off, v[1:4], off offset:288
	v_cmpx_lt_u32_e32 17, v100
	s_cbranch_execz .LBB28_153
; %bb.152:
	scratch_load_b128 v[1:4], v106, off
	v_mov_b32_e32 v5, 0
	s_delay_alu instid0(VALU_DEP_1)
	v_mov_b32_e32 v6, v5
	v_mov_b32_e32 v7, v5
	;; [unrolled: 1-line block ×3, first 2 shown]
	scratch_store_b128 off, v[5:8], off offset:272
	s_waitcnt vmcnt(0)
	ds_store_b128 v38, v[1:4]
.LBB28_153:
	s_or_b32 exec_lo, exec_lo, s2
	s_waitcnt lgkmcnt(0)
	s_waitcnt_vscnt null, 0x0
	s_barrier
	buffer_gl0_inv
	s_clause 0x7
	scratch_load_b128 v[2:5], off, off offset:288
	scratch_load_b128 v[6:9], off, off offset:304
	;; [unrolled: 1-line block ×8, first 2 shown]
	v_mov_b32_e32 v1, 0
	s_clause 0x1
	scratch_load_b128 v[129:132], off, off offset:416
	scratch_load_b128 v[137:140], off, off offset:432
	s_mov_b32 s2, exec_lo
	ds_load_b128 v[34:37], v1 offset:752
	ds_load_b128 v[133:136], v1 offset:768
	s_waitcnt vmcnt(9) lgkmcnt(1)
	v_mul_f64 v[39:40], v[36:37], v[4:5]
	v_mul_f64 v[4:5], v[34:35], v[4:5]
	s_waitcnt vmcnt(8) lgkmcnt(0)
	v_mul_f64 v[141:142], v[133:134], v[8:9]
	v_mul_f64 v[8:9], v[135:136], v[8:9]
	s_delay_alu instid0(VALU_DEP_4) | instskip(NEXT) | instid1(VALU_DEP_4)
	v_fma_f64 v[39:40], v[34:35], v[2:3], -v[39:40]
	v_fma_f64 v[143:144], v[36:37], v[2:3], v[4:5]
	ds_load_b128 v[2:5], v1 offset:784
	scratch_load_b128 v[34:37], off, off offset:448
	v_fma_f64 v[135:136], v[135:136], v[6:7], v[141:142]
	v_fma_f64 v[133:134], v[133:134], v[6:7], -v[8:9]
	ds_load_b128 v[6:9], v1 offset:800
	s_waitcnt vmcnt(8) lgkmcnt(1)
	v_mul_f64 v[145:146], v[2:3], v[12:13]
	v_mul_f64 v[12:13], v[4:5], v[12:13]
	v_add_f64 v[39:40], v[39:40], 0
	v_add_f64 v[141:142], v[143:144], 0
	s_waitcnt vmcnt(7) lgkmcnt(0)
	v_mul_f64 v[143:144], v[6:7], v[16:17]
	v_mul_f64 v[16:17], v[8:9], v[16:17]
	v_fma_f64 v[145:146], v[4:5], v[10:11], v[145:146]
	v_fma_f64 v[10:11], v[2:3], v[10:11], -v[12:13]
	ds_load_b128 v[2:5], v1 offset:816
	v_add_f64 v[12:13], v[39:40], v[133:134]
	v_add_f64 v[39:40], v[141:142], v[135:136]
	v_fma_f64 v[135:136], v[8:9], v[14:15], v[143:144]
	v_fma_f64 v[14:15], v[6:7], v[14:15], -v[16:17]
	ds_load_b128 v[6:9], v1 offset:832
	s_waitcnt vmcnt(6) lgkmcnt(1)
	v_mul_f64 v[133:134], v[2:3], v[20:21]
	v_mul_f64 v[20:21], v[4:5], v[20:21]
	s_waitcnt vmcnt(5) lgkmcnt(0)
	v_mul_f64 v[141:142], v[6:7], v[24:25]
	v_mul_f64 v[24:25], v[8:9], v[24:25]
	v_add_f64 v[16:17], v[12:13], v[10:11]
	v_add_f64 v[39:40], v[39:40], v[145:146]
	scratch_load_b128 v[10:13], off, off offset:272
	v_fma_f64 v[133:134], v[4:5], v[18:19], v[133:134]
	v_fma_f64 v[18:19], v[2:3], v[18:19], -v[20:21]
	ds_load_b128 v[2:5], v1 offset:848
	v_add_f64 v[14:15], v[16:17], v[14:15]
	v_add_f64 v[16:17], v[39:40], v[135:136]
	v_fma_f64 v[39:40], v[8:9], v[22:23], v[141:142]
	v_fma_f64 v[22:23], v[6:7], v[22:23], -v[24:25]
	ds_load_b128 v[6:9], v1 offset:864
	s_waitcnt vmcnt(5) lgkmcnt(1)
	v_mul_f64 v[20:21], v[2:3], v[28:29]
	v_mul_f64 v[28:29], v[4:5], v[28:29]
	s_waitcnt vmcnt(4) lgkmcnt(0)
	v_mul_f64 v[24:25], v[8:9], v[32:33]
	v_add_f64 v[14:15], v[14:15], v[18:19]
	v_add_f64 v[16:17], v[16:17], v[133:134]
	v_mul_f64 v[18:19], v[6:7], v[32:33]
	v_fma_f64 v[20:21], v[4:5], v[26:27], v[20:21]
	v_fma_f64 v[26:27], v[2:3], v[26:27], -v[28:29]
	ds_load_b128 v[2:5], v1 offset:880
	v_fma_f64 v[24:25], v[6:7], v[30:31], -v[24:25]
	v_add_f64 v[14:15], v[14:15], v[22:23]
	v_add_f64 v[16:17], v[16:17], v[39:40]
	v_fma_f64 v[18:19], v[8:9], v[30:31], v[18:19]
	ds_load_b128 v[6:9], v1 offset:896
	s_waitcnt vmcnt(3) lgkmcnt(1)
	v_mul_f64 v[22:23], v[2:3], v[131:132]
	v_mul_f64 v[28:29], v[4:5], v[131:132]
	v_add_f64 v[14:15], v[14:15], v[26:27]
	v_add_f64 v[16:17], v[16:17], v[20:21]
	s_waitcnt vmcnt(2) lgkmcnt(0)
	v_mul_f64 v[20:21], v[6:7], v[139:140]
	v_mul_f64 v[26:27], v[8:9], v[139:140]
	v_fma_f64 v[22:23], v[4:5], v[129:130], v[22:23]
	v_fma_f64 v[28:29], v[2:3], v[129:130], -v[28:29]
	ds_load_b128 v[2:5], v1 offset:912
	v_add_f64 v[14:15], v[14:15], v[24:25]
	v_add_f64 v[16:17], v[16:17], v[18:19]
	v_fma_f64 v[8:9], v[8:9], v[137:138], v[20:21]
	v_fma_f64 v[6:7], v[6:7], v[137:138], -v[26:27]
	s_waitcnt vmcnt(1) lgkmcnt(0)
	v_mul_f64 v[18:19], v[2:3], v[36:37]
	v_mul_f64 v[24:25], v[4:5], v[36:37]
	v_add_f64 v[14:15], v[14:15], v[28:29]
	v_add_f64 v[16:17], v[16:17], v[22:23]
	s_delay_alu instid0(VALU_DEP_4) | instskip(NEXT) | instid1(VALU_DEP_4)
	v_fma_f64 v[4:5], v[4:5], v[34:35], v[18:19]
	v_fma_f64 v[2:3], v[2:3], v[34:35], -v[24:25]
	s_delay_alu instid0(VALU_DEP_4) | instskip(NEXT) | instid1(VALU_DEP_4)
	v_add_f64 v[6:7], v[14:15], v[6:7]
	v_add_f64 v[8:9], v[16:17], v[8:9]
	s_delay_alu instid0(VALU_DEP_2) | instskip(NEXT) | instid1(VALU_DEP_2)
	v_add_f64 v[2:3], v[6:7], v[2:3]
	v_add_f64 v[4:5], v[8:9], v[4:5]
	s_waitcnt vmcnt(0)
	s_delay_alu instid0(VALU_DEP_2) | instskip(NEXT) | instid1(VALU_DEP_2)
	v_add_f64 v[2:3], v[10:11], -v[2:3]
	v_add_f64 v[4:5], v[12:13], -v[4:5]
	scratch_store_b128 off, v[2:5], off offset:272
	v_cmpx_lt_u32_e32 16, v100
	s_cbranch_execz .LBB28_155
; %bb.154:
	scratch_load_b128 v[5:8], v105, off
	v_mov_b32_e32 v2, v1
	v_mov_b32_e32 v3, v1
	;; [unrolled: 1-line block ×3, first 2 shown]
	scratch_store_b128 off, v[1:4], off offset:256
	s_waitcnt vmcnt(0)
	ds_store_b128 v38, v[5:8]
.LBB28_155:
	s_or_b32 exec_lo, exec_lo, s2
	s_waitcnt lgkmcnt(0)
	s_waitcnt_vscnt null, 0x0
	s_barrier
	buffer_gl0_inv
	s_clause 0x8
	scratch_load_b128 v[2:5], off, off offset:272
	scratch_load_b128 v[6:9], off, off offset:288
	;; [unrolled: 1-line block ×9, first 2 shown]
	ds_load_b128 v[129:132], v1 offset:736
	ds_load_b128 v[133:136], v1 offset:752
	s_clause 0x1
	scratch_load_b128 v[137:140], off, off offset:256
	scratch_load_b128 v[141:144], off, off offset:416
	s_mov_b32 s2, exec_lo
	ds_load_b128 v[145:148], v1 offset:784
	s_waitcnt vmcnt(10) lgkmcnt(2)
	v_mul_f64 v[39:40], v[131:132], v[4:5]
	v_mul_f64 v[4:5], v[129:130], v[4:5]
	s_waitcnt vmcnt(9) lgkmcnt(1)
	v_mul_f64 v[149:150], v[133:134], v[8:9]
	v_mul_f64 v[8:9], v[135:136], v[8:9]
	s_delay_alu instid0(VALU_DEP_4) | instskip(NEXT) | instid1(VALU_DEP_4)
	v_fma_f64 v[39:40], v[129:130], v[2:3], -v[39:40]
	v_fma_f64 v[151:152], v[131:132], v[2:3], v[4:5]
	ds_load_b128 v[2:5], v1 offset:768
	scratch_load_b128 v[129:132], off, off offset:432
	v_fma_f64 v[135:136], v[135:136], v[6:7], v[149:150]
	v_fma_f64 v[133:134], v[133:134], v[6:7], -v[8:9]
	scratch_load_b128 v[6:9], off, off offset:448
	s_waitcnt vmcnt(10) lgkmcnt(0)
	v_mul_f64 v[153:154], v[2:3], v[12:13]
	v_mul_f64 v[12:13], v[4:5], v[12:13]
	v_add_f64 v[39:40], v[39:40], 0
	v_add_f64 v[149:150], v[151:152], 0
	s_waitcnt vmcnt(9)
	v_mul_f64 v[151:152], v[145:146], v[16:17]
	v_mul_f64 v[16:17], v[147:148], v[16:17]
	v_fma_f64 v[153:154], v[4:5], v[10:11], v[153:154]
	v_fma_f64 v[155:156], v[2:3], v[10:11], -v[12:13]
	ds_load_b128 v[2:5], v1 offset:800
	ds_load_b128 v[10:13], v1 offset:816
	v_add_f64 v[39:40], v[39:40], v[133:134]
	v_add_f64 v[133:134], v[149:150], v[135:136]
	v_fma_f64 v[147:148], v[147:148], v[14:15], v[151:152]
	v_fma_f64 v[14:15], v[145:146], v[14:15], -v[16:17]
	s_waitcnt vmcnt(8) lgkmcnt(1)
	v_mul_f64 v[135:136], v[2:3], v[20:21]
	v_mul_f64 v[20:21], v[4:5], v[20:21]
	v_add_f64 v[16:17], v[39:40], v[155:156]
	v_add_f64 v[39:40], v[133:134], v[153:154]
	s_waitcnt vmcnt(7) lgkmcnt(0)
	v_mul_f64 v[133:134], v[10:11], v[24:25]
	v_mul_f64 v[24:25], v[12:13], v[24:25]
	v_fma_f64 v[135:136], v[4:5], v[18:19], v[135:136]
	v_fma_f64 v[18:19], v[2:3], v[18:19], -v[20:21]
	v_add_f64 v[20:21], v[16:17], v[14:15]
	v_add_f64 v[39:40], v[39:40], v[147:148]
	ds_load_b128 v[2:5], v1 offset:832
	ds_load_b128 v[14:17], v1 offset:848
	v_fma_f64 v[12:13], v[12:13], v[22:23], v[133:134]
	v_fma_f64 v[10:11], v[10:11], v[22:23], -v[24:25]
	s_waitcnt vmcnt(6) lgkmcnt(1)
	v_mul_f64 v[145:146], v[2:3], v[28:29]
	v_mul_f64 v[28:29], v[4:5], v[28:29]
	s_waitcnt vmcnt(5) lgkmcnt(0)
	v_mul_f64 v[22:23], v[14:15], v[32:33]
	v_mul_f64 v[24:25], v[16:17], v[32:33]
	v_add_f64 v[18:19], v[20:21], v[18:19]
	v_add_f64 v[20:21], v[39:40], v[135:136]
	v_fma_f64 v[32:33], v[4:5], v[26:27], v[145:146]
	v_fma_f64 v[26:27], v[2:3], v[26:27], -v[28:29]
	v_fma_f64 v[16:17], v[16:17], v[30:31], v[22:23]
	v_fma_f64 v[14:15], v[14:15], v[30:31], -v[24:25]
	v_add_f64 v[18:19], v[18:19], v[10:11]
	v_add_f64 v[20:21], v[20:21], v[12:13]
	ds_load_b128 v[2:5], v1 offset:864
	ds_load_b128 v[10:13], v1 offset:880
	s_waitcnt vmcnt(4) lgkmcnt(1)
	v_mul_f64 v[28:29], v[2:3], v[36:37]
	v_mul_f64 v[36:37], v[4:5], v[36:37]
	s_waitcnt vmcnt(2) lgkmcnt(0)
	v_mul_f64 v[22:23], v[10:11], v[143:144]
	v_mul_f64 v[24:25], v[12:13], v[143:144]
	v_add_f64 v[18:19], v[18:19], v[26:27]
	v_add_f64 v[20:21], v[20:21], v[32:33]
	v_fma_f64 v[26:27], v[4:5], v[34:35], v[28:29]
	v_fma_f64 v[28:29], v[2:3], v[34:35], -v[36:37]
	v_fma_f64 v[12:13], v[12:13], v[141:142], v[22:23]
	v_fma_f64 v[10:11], v[10:11], v[141:142], -v[24:25]
	v_add_f64 v[18:19], v[18:19], v[14:15]
	v_add_f64 v[20:21], v[20:21], v[16:17]
	ds_load_b128 v[2:5], v1 offset:896
	ds_load_b128 v[14:17], v1 offset:912
	s_waitcnt vmcnt(1) lgkmcnt(1)
	v_mul_f64 v[30:31], v[2:3], v[131:132]
	v_mul_f64 v[32:33], v[4:5], v[131:132]
	s_waitcnt vmcnt(0) lgkmcnt(0)
	v_mul_f64 v[22:23], v[14:15], v[8:9]
	v_mul_f64 v[8:9], v[16:17], v[8:9]
	v_add_f64 v[18:19], v[18:19], v[28:29]
	v_add_f64 v[20:21], v[20:21], v[26:27]
	v_fma_f64 v[4:5], v[4:5], v[129:130], v[30:31]
	v_fma_f64 v[1:2], v[2:3], v[129:130], -v[32:33]
	v_fma_f64 v[16:17], v[16:17], v[6:7], v[22:23]
	v_fma_f64 v[6:7], v[14:15], v[6:7], -v[8:9]
	v_add_f64 v[10:11], v[18:19], v[10:11]
	v_add_f64 v[12:13], v[20:21], v[12:13]
	s_delay_alu instid0(VALU_DEP_2) | instskip(NEXT) | instid1(VALU_DEP_2)
	v_add_f64 v[1:2], v[10:11], v[1:2]
	v_add_f64 v[3:4], v[12:13], v[4:5]
	s_delay_alu instid0(VALU_DEP_2) | instskip(NEXT) | instid1(VALU_DEP_2)
	;; [unrolled: 3-line block ×3, first 2 shown]
	v_add_f64 v[1:2], v[137:138], -v[1:2]
	v_add_f64 v[3:4], v[139:140], -v[3:4]
	scratch_store_b128 off, v[1:4], off offset:256
	v_cmpx_lt_u32_e32 15, v100
	s_cbranch_execz .LBB28_157
; %bb.156:
	scratch_load_b128 v[1:4], v107, off
	v_mov_b32_e32 v5, 0
	s_delay_alu instid0(VALU_DEP_1)
	v_mov_b32_e32 v6, v5
	v_mov_b32_e32 v7, v5
	;; [unrolled: 1-line block ×3, first 2 shown]
	scratch_store_b128 off, v[5:8], off offset:240
	s_waitcnt vmcnt(0)
	ds_store_b128 v38, v[1:4]
.LBB28_157:
	s_or_b32 exec_lo, exec_lo, s2
	s_waitcnt lgkmcnt(0)
	s_waitcnt_vscnt null, 0x0
	s_barrier
	buffer_gl0_inv
	s_clause 0x7
	scratch_load_b128 v[2:5], off, off offset:256
	scratch_load_b128 v[6:9], off, off offset:272
	;; [unrolled: 1-line block ×8, first 2 shown]
	v_mov_b32_e32 v1, 0
	s_mov_b32 s2, exec_lo
	ds_load_b128 v[34:37], v1 offset:720
	s_clause 0x1
	scratch_load_b128 v[129:132], off, off offset:384
	scratch_load_b128 v[133:136], off, off offset:240
	ds_load_b128 v[137:140], v1 offset:736
	scratch_load_b128 v[141:144], off, off offset:400
	ds_load_b128 v[145:148], v1 offset:768
	s_waitcnt vmcnt(10) lgkmcnt(2)
	v_mul_f64 v[39:40], v[36:37], v[4:5]
	v_mul_f64 v[4:5], v[34:35], v[4:5]
	s_delay_alu instid0(VALU_DEP_2) | instskip(NEXT) | instid1(VALU_DEP_2)
	v_fma_f64 v[39:40], v[34:35], v[2:3], -v[39:40]
	v_fma_f64 v[151:152], v[36:37], v[2:3], v[4:5]
	ds_load_b128 v[2:5], v1 offset:752
	s_waitcnt vmcnt(9) lgkmcnt(2)
	v_mul_f64 v[149:150], v[137:138], v[8:9]
	v_mul_f64 v[8:9], v[139:140], v[8:9]
	scratch_load_b128 v[34:37], off, off offset:416
	s_waitcnt vmcnt(9) lgkmcnt(0)
	v_mul_f64 v[153:154], v[2:3], v[12:13]
	v_mul_f64 v[12:13], v[4:5], v[12:13]
	v_add_f64 v[39:40], v[39:40], 0
	v_fma_f64 v[139:140], v[139:140], v[6:7], v[149:150]
	v_fma_f64 v[137:138], v[137:138], v[6:7], -v[8:9]
	v_add_f64 v[149:150], v[151:152], 0
	scratch_load_b128 v[6:9], off, off offset:432
	v_fma_f64 v[153:154], v[4:5], v[10:11], v[153:154]
	v_fma_f64 v[155:156], v[2:3], v[10:11], -v[12:13]
	scratch_load_b128 v[10:13], off, off offset:448
	ds_load_b128 v[2:5], v1 offset:784
	s_waitcnt vmcnt(10)
	v_mul_f64 v[151:152], v[145:146], v[16:17]
	v_mul_f64 v[16:17], v[147:148], v[16:17]
	v_add_f64 v[39:40], v[39:40], v[137:138]
	v_add_f64 v[149:150], v[149:150], v[139:140]
	ds_load_b128 v[137:140], v1 offset:800
	s_waitcnt vmcnt(9) lgkmcnt(1)
	v_mul_f64 v[157:158], v[2:3], v[20:21]
	v_mul_f64 v[20:21], v[4:5], v[20:21]
	v_fma_f64 v[147:148], v[147:148], v[14:15], v[151:152]
	v_fma_f64 v[14:15], v[145:146], v[14:15], -v[16:17]
	s_waitcnt vmcnt(8) lgkmcnt(0)
	v_mul_f64 v[145:146], v[137:138], v[24:25]
	v_mul_f64 v[24:25], v[139:140], v[24:25]
	v_add_f64 v[16:17], v[39:40], v[155:156]
	v_add_f64 v[39:40], v[149:150], v[153:154]
	v_fma_f64 v[149:150], v[4:5], v[18:19], v[157:158]
	v_fma_f64 v[18:19], v[2:3], v[18:19], -v[20:21]
	v_fma_f64 v[139:140], v[139:140], v[22:23], v[145:146]
	v_fma_f64 v[22:23], v[137:138], v[22:23], -v[24:25]
	v_add_f64 v[20:21], v[16:17], v[14:15]
	v_add_f64 v[39:40], v[39:40], v[147:148]
	ds_load_b128 v[2:5], v1 offset:816
	ds_load_b128 v[14:17], v1 offset:832
	s_waitcnt vmcnt(7) lgkmcnt(1)
	v_mul_f64 v[147:148], v[2:3], v[28:29]
	v_mul_f64 v[28:29], v[4:5], v[28:29]
	s_waitcnt vmcnt(6) lgkmcnt(0)
	v_mul_f64 v[24:25], v[14:15], v[32:33]
	v_mul_f64 v[32:33], v[16:17], v[32:33]
	v_add_f64 v[18:19], v[20:21], v[18:19]
	v_add_f64 v[20:21], v[39:40], v[149:150]
	v_fma_f64 v[39:40], v[4:5], v[26:27], v[147:148]
	v_fma_f64 v[26:27], v[2:3], v[26:27], -v[28:29]
	v_fma_f64 v[16:17], v[16:17], v[30:31], v[24:25]
	v_fma_f64 v[14:15], v[14:15], v[30:31], -v[32:33]
	v_add_f64 v[22:23], v[18:19], v[22:23]
	v_add_f64 v[28:29], v[20:21], v[139:140]
	ds_load_b128 v[2:5], v1 offset:848
	ds_load_b128 v[18:21], v1 offset:864
	s_waitcnt vmcnt(5) lgkmcnt(1)
	v_mul_f64 v[137:138], v[2:3], v[131:132]
	v_mul_f64 v[131:132], v[4:5], v[131:132]
	v_add_f64 v[22:23], v[22:23], v[26:27]
	v_add_f64 v[24:25], v[28:29], v[39:40]
	s_waitcnt vmcnt(3) lgkmcnt(0)
	v_mul_f64 v[26:27], v[18:19], v[143:144]
	v_mul_f64 v[28:29], v[20:21], v[143:144]
	v_fma_f64 v[30:31], v[4:5], v[129:130], v[137:138]
	v_fma_f64 v[32:33], v[2:3], v[129:130], -v[131:132]
	v_add_f64 v[22:23], v[22:23], v[14:15]
	v_add_f64 v[24:25], v[24:25], v[16:17]
	ds_load_b128 v[2:5], v1 offset:880
	ds_load_b128 v[14:17], v1 offset:896
	v_fma_f64 v[20:21], v[20:21], v[141:142], v[26:27]
	v_fma_f64 v[18:19], v[18:19], v[141:142], -v[28:29]
	s_waitcnt vmcnt(2) lgkmcnt(1)
	v_mul_f64 v[39:40], v[2:3], v[36:37]
	v_mul_f64 v[36:37], v[4:5], v[36:37]
	v_add_f64 v[22:23], v[22:23], v[32:33]
	v_add_f64 v[24:25], v[24:25], v[30:31]
	s_waitcnt vmcnt(1) lgkmcnt(0)
	v_mul_f64 v[26:27], v[14:15], v[8:9]
	v_mul_f64 v[8:9], v[16:17], v[8:9]
	v_fma_f64 v[28:29], v[4:5], v[34:35], v[39:40]
	v_fma_f64 v[30:31], v[2:3], v[34:35], -v[36:37]
	ds_load_b128 v[2:5], v1 offset:912
	v_add_f64 v[18:19], v[22:23], v[18:19]
	v_add_f64 v[20:21], v[24:25], v[20:21]
	s_waitcnt vmcnt(0) lgkmcnt(0)
	v_mul_f64 v[22:23], v[2:3], v[12:13]
	v_mul_f64 v[12:13], v[4:5], v[12:13]
	v_fma_f64 v[16:17], v[16:17], v[6:7], v[26:27]
	v_fma_f64 v[6:7], v[14:15], v[6:7], -v[8:9]
	v_add_f64 v[8:9], v[18:19], v[30:31]
	v_add_f64 v[14:15], v[20:21], v[28:29]
	v_fma_f64 v[4:5], v[4:5], v[10:11], v[22:23]
	v_fma_f64 v[2:3], v[2:3], v[10:11], -v[12:13]
	s_delay_alu instid0(VALU_DEP_4) | instskip(NEXT) | instid1(VALU_DEP_4)
	v_add_f64 v[6:7], v[8:9], v[6:7]
	v_add_f64 v[8:9], v[14:15], v[16:17]
	s_delay_alu instid0(VALU_DEP_2) | instskip(NEXT) | instid1(VALU_DEP_2)
	v_add_f64 v[2:3], v[6:7], v[2:3]
	v_add_f64 v[4:5], v[8:9], v[4:5]
	s_delay_alu instid0(VALU_DEP_2) | instskip(NEXT) | instid1(VALU_DEP_2)
	v_add_f64 v[2:3], v[133:134], -v[2:3]
	v_add_f64 v[4:5], v[135:136], -v[4:5]
	scratch_store_b128 off, v[2:5], off offset:240
	v_cmpx_lt_u32_e32 14, v100
	s_cbranch_execz .LBB28_159
; %bb.158:
	scratch_load_b128 v[5:8], v108, off
	v_mov_b32_e32 v2, v1
	v_mov_b32_e32 v3, v1
	;; [unrolled: 1-line block ×3, first 2 shown]
	scratch_store_b128 off, v[1:4], off offset:224
	s_waitcnt vmcnt(0)
	ds_store_b128 v38, v[5:8]
.LBB28_159:
	s_or_b32 exec_lo, exec_lo, s2
	s_waitcnt lgkmcnt(0)
	s_waitcnt_vscnt null, 0x0
	s_barrier
	buffer_gl0_inv
	s_clause 0x8
	scratch_load_b128 v[2:5], off, off offset:240
	scratch_load_b128 v[6:9], off, off offset:256
	;; [unrolled: 1-line block ×9, first 2 shown]
	ds_load_b128 v[129:132], v1 offset:704
	ds_load_b128 v[133:136], v1 offset:720
	s_clause 0x1
	scratch_load_b128 v[137:140], off, off offset:224
	scratch_load_b128 v[141:144], off, off offset:384
	s_mov_b32 s2, exec_lo
	ds_load_b128 v[145:148], v1 offset:752
	s_waitcnt vmcnt(10) lgkmcnt(2)
	v_mul_f64 v[39:40], v[131:132], v[4:5]
	v_mul_f64 v[4:5], v[129:130], v[4:5]
	s_waitcnt vmcnt(9) lgkmcnt(1)
	v_mul_f64 v[149:150], v[133:134], v[8:9]
	v_mul_f64 v[8:9], v[135:136], v[8:9]
	s_delay_alu instid0(VALU_DEP_4) | instskip(NEXT) | instid1(VALU_DEP_4)
	v_fma_f64 v[39:40], v[129:130], v[2:3], -v[39:40]
	v_fma_f64 v[151:152], v[131:132], v[2:3], v[4:5]
	ds_load_b128 v[2:5], v1 offset:736
	scratch_load_b128 v[129:132], off, off offset:400
	v_fma_f64 v[135:136], v[135:136], v[6:7], v[149:150]
	v_fma_f64 v[133:134], v[133:134], v[6:7], -v[8:9]
	scratch_load_b128 v[6:9], off, off offset:416
	s_waitcnt vmcnt(10) lgkmcnt(0)
	v_mul_f64 v[153:154], v[2:3], v[12:13]
	v_mul_f64 v[12:13], v[4:5], v[12:13]
	v_add_f64 v[39:40], v[39:40], 0
	v_add_f64 v[149:150], v[151:152], 0
	s_waitcnt vmcnt(9)
	v_mul_f64 v[151:152], v[145:146], v[16:17]
	v_mul_f64 v[16:17], v[147:148], v[16:17]
	v_fma_f64 v[153:154], v[4:5], v[10:11], v[153:154]
	v_fma_f64 v[155:156], v[2:3], v[10:11], -v[12:13]
	ds_load_b128 v[2:5], v1 offset:768
	scratch_load_b128 v[10:13], off, off offset:432
	v_add_f64 v[39:40], v[39:40], v[133:134]
	v_add_f64 v[149:150], v[149:150], v[135:136]
	ds_load_b128 v[133:136], v1 offset:784
	v_fma_f64 v[147:148], v[147:148], v[14:15], v[151:152]
	v_fma_f64 v[145:146], v[145:146], v[14:15], -v[16:17]
	scratch_load_b128 v[14:17], off, off offset:448
	s_waitcnt vmcnt(10) lgkmcnt(1)
	v_mul_f64 v[157:158], v[2:3], v[20:21]
	v_mul_f64 v[20:21], v[4:5], v[20:21]
	s_waitcnt vmcnt(9) lgkmcnt(0)
	v_mul_f64 v[151:152], v[133:134], v[24:25]
	v_mul_f64 v[24:25], v[135:136], v[24:25]
	v_add_f64 v[39:40], v[39:40], v[155:156]
	v_add_f64 v[149:150], v[149:150], v[153:154]
	v_fma_f64 v[153:154], v[4:5], v[18:19], v[157:158]
	v_fma_f64 v[155:156], v[2:3], v[18:19], -v[20:21]
	ds_load_b128 v[2:5], v1 offset:800
	ds_load_b128 v[18:21], v1 offset:816
	v_fma_f64 v[135:136], v[135:136], v[22:23], v[151:152]
	v_fma_f64 v[22:23], v[133:134], v[22:23], -v[24:25]
	s_waitcnt vmcnt(7) lgkmcnt(0)
	v_mul_f64 v[133:134], v[18:19], v[32:33]
	v_mul_f64 v[32:33], v[20:21], v[32:33]
	v_add_f64 v[39:40], v[39:40], v[145:146]
	v_add_f64 v[145:146], v[149:150], v[147:148]
	v_mul_f64 v[147:148], v[2:3], v[28:29]
	v_mul_f64 v[28:29], v[4:5], v[28:29]
	v_fma_f64 v[20:21], v[20:21], v[30:31], v[133:134]
	v_fma_f64 v[18:19], v[18:19], v[30:31], -v[32:33]
	v_add_f64 v[24:25], v[39:40], v[155:156]
	v_add_f64 v[39:40], v[145:146], v[153:154]
	v_fma_f64 v[145:146], v[4:5], v[26:27], v[147:148]
	v_fma_f64 v[26:27], v[2:3], v[26:27], -v[28:29]
	s_delay_alu instid0(VALU_DEP_4) | instskip(NEXT) | instid1(VALU_DEP_4)
	v_add_f64 v[28:29], v[24:25], v[22:23]
	v_add_f64 v[39:40], v[39:40], v[135:136]
	ds_load_b128 v[2:5], v1 offset:832
	ds_load_b128 v[22:25], v1 offset:848
	s_waitcnt vmcnt(6) lgkmcnt(1)
	v_mul_f64 v[135:136], v[2:3], v[36:37]
	v_mul_f64 v[36:37], v[4:5], v[36:37]
	s_waitcnt vmcnt(4) lgkmcnt(0)
	v_mul_f64 v[30:31], v[22:23], v[143:144]
	v_mul_f64 v[32:33], v[24:25], v[143:144]
	v_add_f64 v[26:27], v[28:29], v[26:27]
	v_add_f64 v[28:29], v[39:40], v[145:146]
	v_fma_f64 v[39:40], v[4:5], v[34:35], v[135:136]
	v_fma_f64 v[34:35], v[2:3], v[34:35], -v[36:37]
	v_fma_f64 v[24:25], v[24:25], v[141:142], v[30:31]
	v_fma_f64 v[22:23], v[22:23], v[141:142], -v[32:33]
	v_add_f64 v[26:27], v[26:27], v[18:19]
	v_add_f64 v[28:29], v[28:29], v[20:21]
	ds_load_b128 v[2:5], v1 offset:864
	ds_load_b128 v[18:21], v1 offset:880
	s_waitcnt vmcnt(3) lgkmcnt(1)
	v_mul_f64 v[36:37], v[2:3], v[131:132]
	v_mul_f64 v[131:132], v[4:5], v[131:132]
	s_waitcnt vmcnt(2) lgkmcnt(0)
	v_mul_f64 v[30:31], v[18:19], v[8:9]
	v_mul_f64 v[8:9], v[20:21], v[8:9]
	v_add_f64 v[26:27], v[26:27], v[34:35]
	v_add_f64 v[28:29], v[28:29], v[39:40]
	v_fma_f64 v[32:33], v[4:5], v[129:130], v[36:37]
	v_fma_f64 v[34:35], v[2:3], v[129:130], -v[131:132]
	v_fma_f64 v[20:21], v[20:21], v[6:7], v[30:31]
	v_fma_f64 v[6:7], v[18:19], v[6:7], -v[8:9]
	v_add_f64 v[26:27], v[26:27], v[22:23]
	v_add_f64 v[28:29], v[28:29], v[24:25]
	ds_load_b128 v[2:5], v1 offset:896
	ds_load_b128 v[22:25], v1 offset:912
	s_waitcnt vmcnt(1) lgkmcnt(1)
	v_mul_f64 v[36:37], v[2:3], v[12:13]
	v_mul_f64 v[12:13], v[4:5], v[12:13]
	v_add_f64 v[8:9], v[26:27], v[34:35]
	v_add_f64 v[18:19], v[28:29], v[32:33]
	s_waitcnt vmcnt(0) lgkmcnt(0)
	v_mul_f64 v[26:27], v[22:23], v[16:17]
	v_mul_f64 v[16:17], v[24:25], v[16:17]
	v_fma_f64 v[4:5], v[4:5], v[10:11], v[36:37]
	v_fma_f64 v[1:2], v[2:3], v[10:11], -v[12:13]
	v_add_f64 v[6:7], v[8:9], v[6:7]
	v_add_f64 v[8:9], v[18:19], v[20:21]
	v_fma_f64 v[10:11], v[24:25], v[14:15], v[26:27]
	v_fma_f64 v[12:13], v[22:23], v[14:15], -v[16:17]
	s_delay_alu instid0(VALU_DEP_4) | instskip(NEXT) | instid1(VALU_DEP_4)
	v_add_f64 v[1:2], v[6:7], v[1:2]
	v_add_f64 v[3:4], v[8:9], v[4:5]
	s_delay_alu instid0(VALU_DEP_2) | instskip(NEXT) | instid1(VALU_DEP_2)
	v_add_f64 v[1:2], v[1:2], v[12:13]
	v_add_f64 v[3:4], v[3:4], v[10:11]
	s_delay_alu instid0(VALU_DEP_2) | instskip(NEXT) | instid1(VALU_DEP_2)
	v_add_f64 v[1:2], v[137:138], -v[1:2]
	v_add_f64 v[3:4], v[139:140], -v[3:4]
	scratch_store_b128 off, v[1:4], off offset:224
	v_cmpx_lt_u32_e32 13, v100
	s_cbranch_execz .LBB28_161
; %bb.160:
	scratch_load_b128 v[1:4], v110, off
	v_mov_b32_e32 v5, 0
	s_delay_alu instid0(VALU_DEP_1)
	v_mov_b32_e32 v6, v5
	v_mov_b32_e32 v7, v5
	;; [unrolled: 1-line block ×3, first 2 shown]
	scratch_store_b128 off, v[5:8], off offset:208
	s_waitcnt vmcnt(0)
	ds_store_b128 v38, v[1:4]
.LBB28_161:
	s_or_b32 exec_lo, exec_lo, s2
	s_waitcnt lgkmcnt(0)
	s_waitcnt_vscnt null, 0x0
	s_barrier
	buffer_gl0_inv
	s_clause 0x7
	scratch_load_b128 v[2:5], off, off offset:224
	scratch_load_b128 v[6:9], off, off offset:240
	;; [unrolled: 1-line block ×8, first 2 shown]
	v_mov_b32_e32 v1, 0
	s_mov_b32 s2, exec_lo
	ds_load_b128 v[34:37], v1 offset:688
	s_clause 0x1
	scratch_load_b128 v[129:132], off, off offset:352
	scratch_load_b128 v[133:136], off, off offset:208
	ds_load_b128 v[137:140], v1 offset:704
	scratch_load_b128 v[141:144], off, off offset:368
	ds_load_b128 v[145:148], v1 offset:736
	s_waitcnt vmcnt(10) lgkmcnt(2)
	v_mul_f64 v[39:40], v[36:37], v[4:5]
	v_mul_f64 v[4:5], v[34:35], v[4:5]
	s_delay_alu instid0(VALU_DEP_2) | instskip(NEXT) | instid1(VALU_DEP_2)
	v_fma_f64 v[39:40], v[34:35], v[2:3], -v[39:40]
	v_fma_f64 v[151:152], v[36:37], v[2:3], v[4:5]
	ds_load_b128 v[2:5], v1 offset:720
	s_waitcnt vmcnt(9) lgkmcnt(2)
	v_mul_f64 v[149:150], v[137:138], v[8:9]
	v_mul_f64 v[8:9], v[139:140], v[8:9]
	scratch_load_b128 v[34:37], off, off offset:384
	s_waitcnt vmcnt(9) lgkmcnt(0)
	v_mul_f64 v[153:154], v[2:3], v[12:13]
	v_mul_f64 v[12:13], v[4:5], v[12:13]
	v_add_f64 v[39:40], v[39:40], 0
	v_fma_f64 v[139:140], v[139:140], v[6:7], v[149:150]
	v_fma_f64 v[137:138], v[137:138], v[6:7], -v[8:9]
	v_add_f64 v[149:150], v[151:152], 0
	scratch_load_b128 v[6:9], off, off offset:400
	v_fma_f64 v[153:154], v[4:5], v[10:11], v[153:154]
	v_fma_f64 v[155:156], v[2:3], v[10:11], -v[12:13]
	scratch_load_b128 v[10:13], off, off offset:416
	ds_load_b128 v[2:5], v1 offset:752
	s_waitcnt vmcnt(10)
	v_mul_f64 v[151:152], v[145:146], v[16:17]
	v_mul_f64 v[16:17], v[147:148], v[16:17]
	v_add_f64 v[39:40], v[39:40], v[137:138]
	v_add_f64 v[149:150], v[149:150], v[139:140]
	ds_load_b128 v[137:140], v1 offset:768
	s_waitcnt vmcnt(9) lgkmcnt(1)
	v_mul_f64 v[157:158], v[2:3], v[20:21]
	v_mul_f64 v[20:21], v[4:5], v[20:21]
	v_fma_f64 v[147:148], v[147:148], v[14:15], v[151:152]
	v_fma_f64 v[145:146], v[145:146], v[14:15], -v[16:17]
	scratch_load_b128 v[14:17], off, off offset:432
	v_add_f64 v[39:40], v[39:40], v[155:156]
	v_add_f64 v[149:150], v[149:150], v[153:154]
	v_fma_f64 v[153:154], v[4:5], v[18:19], v[157:158]
	v_fma_f64 v[155:156], v[2:3], v[18:19], -v[20:21]
	scratch_load_b128 v[18:21], off, off offset:448
	ds_load_b128 v[2:5], v1 offset:784
	s_waitcnt vmcnt(10) lgkmcnt(1)
	v_mul_f64 v[151:152], v[137:138], v[24:25]
	v_mul_f64 v[24:25], v[139:140], v[24:25]
	s_waitcnt vmcnt(9) lgkmcnt(0)
	v_mul_f64 v[157:158], v[2:3], v[28:29]
	v_mul_f64 v[28:29], v[4:5], v[28:29]
	v_add_f64 v[39:40], v[39:40], v[145:146]
	v_add_f64 v[149:150], v[149:150], v[147:148]
	ds_load_b128 v[145:148], v1 offset:800
	v_fma_f64 v[139:140], v[139:140], v[22:23], v[151:152]
	v_fma_f64 v[22:23], v[137:138], v[22:23], -v[24:25]
	s_waitcnt vmcnt(8) lgkmcnt(0)
	v_mul_f64 v[137:138], v[145:146], v[32:33]
	v_mul_f64 v[32:33], v[147:148], v[32:33]
	v_add_f64 v[24:25], v[39:40], v[155:156]
	v_add_f64 v[39:40], v[149:150], v[153:154]
	v_fma_f64 v[149:150], v[4:5], v[26:27], v[157:158]
	v_fma_f64 v[26:27], v[2:3], v[26:27], -v[28:29]
	v_fma_f64 v[137:138], v[147:148], v[30:31], v[137:138]
	v_fma_f64 v[30:31], v[145:146], v[30:31], -v[32:33]
	v_add_f64 v[28:29], v[24:25], v[22:23]
	v_add_f64 v[39:40], v[39:40], v[139:140]
	ds_load_b128 v[2:5], v1 offset:816
	ds_load_b128 v[22:25], v1 offset:832
	s_waitcnt vmcnt(7) lgkmcnt(1)
	v_mul_f64 v[139:140], v[2:3], v[131:132]
	v_mul_f64 v[131:132], v[4:5], v[131:132]
	s_waitcnt vmcnt(5) lgkmcnt(0)
	v_mul_f64 v[32:33], v[22:23], v[143:144]
	v_add_f64 v[26:27], v[28:29], v[26:27]
	v_add_f64 v[28:29], v[39:40], v[149:150]
	v_mul_f64 v[39:40], v[24:25], v[143:144]
	v_fma_f64 v[139:140], v[4:5], v[129:130], v[139:140]
	v_fma_f64 v[129:130], v[2:3], v[129:130], -v[131:132]
	v_fma_f64 v[24:25], v[24:25], v[141:142], v[32:33]
	v_add_f64 v[30:31], v[26:27], v[30:31]
	v_add_f64 v[131:132], v[28:29], v[137:138]
	ds_load_b128 v[2:5], v1 offset:848
	ds_load_b128 v[26:29], v1 offset:864
	v_fma_f64 v[22:23], v[22:23], v[141:142], -v[39:40]
	s_waitcnt vmcnt(4) lgkmcnt(1)
	v_mul_f64 v[137:138], v[2:3], v[36:37]
	v_mul_f64 v[36:37], v[4:5], v[36:37]
	v_add_f64 v[30:31], v[30:31], v[129:130]
	v_add_f64 v[32:33], v[131:132], v[139:140]
	s_waitcnt vmcnt(3) lgkmcnt(0)
	v_mul_f64 v[39:40], v[26:27], v[8:9]
	v_mul_f64 v[8:9], v[28:29], v[8:9]
	v_fma_f64 v[129:130], v[4:5], v[34:35], v[137:138]
	v_fma_f64 v[34:35], v[2:3], v[34:35], -v[36:37]
	v_add_f64 v[30:31], v[30:31], v[22:23]
	v_add_f64 v[32:33], v[32:33], v[24:25]
	ds_load_b128 v[2:5], v1 offset:880
	ds_load_b128 v[22:25], v1 offset:896
	v_fma_f64 v[28:29], v[28:29], v[6:7], v[39:40]
	v_fma_f64 v[6:7], v[26:27], v[6:7], -v[8:9]
	s_waitcnt vmcnt(2) lgkmcnt(1)
	v_mul_f64 v[36:37], v[2:3], v[12:13]
	v_mul_f64 v[12:13], v[4:5], v[12:13]
	v_add_f64 v[8:9], v[30:31], v[34:35]
	v_add_f64 v[26:27], v[32:33], v[129:130]
	s_waitcnt vmcnt(1) lgkmcnt(0)
	v_mul_f64 v[30:31], v[22:23], v[16:17]
	v_mul_f64 v[16:17], v[24:25], v[16:17]
	v_fma_f64 v[32:33], v[4:5], v[10:11], v[36:37]
	v_fma_f64 v[10:11], v[2:3], v[10:11], -v[12:13]
	ds_load_b128 v[2:5], v1 offset:912
	v_add_f64 v[6:7], v[8:9], v[6:7]
	v_add_f64 v[8:9], v[26:27], v[28:29]
	v_fma_f64 v[24:25], v[24:25], v[14:15], v[30:31]
	v_fma_f64 v[14:15], v[22:23], v[14:15], -v[16:17]
	s_waitcnt vmcnt(0) lgkmcnt(0)
	v_mul_f64 v[12:13], v[2:3], v[20:21]
	v_mul_f64 v[20:21], v[4:5], v[20:21]
	v_add_f64 v[6:7], v[6:7], v[10:11]
	v_add_f64 v[8:9], v[8:9], v[32:33]
	s_delay_alu instid0(VALU_DEP_4) | instskip(NEXT) | instid1(VALU_DEP_4)
	v_fma_f64 v[4:5], v[4:5], v[18:19], v[12:13]
	v_fma_f64 v[2:3], v[2:3], v[18:19], -v[20:21]
	s_delay_alu instid0(VALU_DEP_4) | instskip(NEXT) | instid1(VALU_DEP_4)
	v_add_f64 v[6:7], v[6:7], v[14:15]
	v_add_f64 v[8:9], v[8:9], v[24:25]
	s_delay_alu instid0(VALU_DEP_2) | instskip(NEXT) | instid1(VALU_DEP_2)
	v_add_f64 v[2:3], v[6:7], v[2:3]
	v_add_f64 v[4:5], v[8:9], v[4:5]
	s_delay_alu instid0(VALU_DEP_2) | instskip(NEXT) | instid1(VALU_DEP_2)
	v_add_f64 v[2:3], v[133:134], -v[2:3]
	v_add_f64 v[4:5], v[135:136], -v[4:5]
	scratch_store_b128 off, v[2:5], off offset:208
	v_cmpx_lt_u32_e32 12, v100
	s_cbranch_execz .LBB28_163
; %bb.162:
	scratch_load_b128 v[5:8], v109, off
	v_mov_b32_e32 v2, v1
	v_mov_b32_e32 v3, v1
	;; [unrolled: 1-line block ×3, first 2 shown]
	scratch_store_b128 off, v[1:4], off offset:192
	s_waitcnt vmcnt(0)
	ds_store_b128 v38, v[5:8]
.LBB28_163:
	s_or_b32 exec_lo, exec_lo, s2
	s_waitcnt lgkmcnt(0)
	s_waitcnt_vscnt null, 0x0
	s_barrier
	buffer_gl0_inv
	s_clause 0x8
	scratch_load_b128 v[2:5], off, off offset:208
	scratch_load_b128 v[6:9], off, off offset:224
	;; [unrolled: 1-line block ×9, first 2 shown]
	ds_load_b128 v[129:132], v1 offset:672
	ds_load_b128 v[133:136], v1 offset:688
	s_clause 0x1
	scratch_load_b128 v[137:140], off, off offset:192
	scratch_load_b128 v[141:144], off, off offset:352
	s_mov_b32 s2, exec_lo
	ds_load_b128 v[145:148], v1 offset:720
	s_waitcnt vmcnt(10) lgkmcnt(2)
	v_mul_f64 v[39:40], v[131:132], v[4:5]
	v_mul_f64 v[4:5], v[129:130], v[4:5]
	s_waitcnt vmcnt(9) lgkmcnt(1)
	v_mul_f64 v[149:150], v[133:134], v[8:9]
	v_mul_f64 v[8:9], v[135:136], v[8:9]
	s_delay_alu instid0(VALU_DEP_4) | instskip(NEXT) | instid1(VALU_DEP_4)
	v_fma_f64 v[39:40], v[129:130], v[2:3], -v[39:40]
	v_fma_f64 v[151:152], v[131:132], v[2:3], v[4:5]
	ds_load_b128 v[2:5], v1 offset:704
	scratch_load_b128 v[129:132], off, off offset:368
	v_fma_f64 v[135:136], v[135:136], v[6:7], v[149:150]
	v_fma_f64 v[133:134], v[133:134], v[6:7], -v[8:9]
	scratch_load_b128 v[6:9], off, off offset:384
	s_waitcnt vmcnt(10) lgkmcnt(0)
	v_mul_f64 v[153:154], v[2:3], v[12:13]
	v_mul_f64 v[12:13], v[4:5], v[12:13]
	v_add_f64 v[39:40], v[39:40], 0
	v_add_f64 v[149:150], v[151:152], 0
	s_waitcnt vmcnt(9)
	v_mul_f64 v[151:152], v[145:146], v[16:17]
	v_mul_f64 v[16:17], v[147:148], v[16:17]
	v_fma_f64 v[153:154], v[4:5], v[10:11], v[153:154]
	v_fma_f64 v[155:156], v[2:3], v[10:11], -v[12:13]
	ds_load_b128 v[2:5], v1 offset:736
	scratch_load_b128 v[10:13], off, off offset:400
	v_add_f64 v[39:40], v[39:40], v[133:134]
	v_add_f64 v[149:150], v[149:150], v[135:136]
	ds_load_b128 v[133:136], v1 offset:752
	v_fma_f64 v[147:148], v[147:148], v[14:15], v[151:152]
	v_fma_f64 v[145:146], v[145:146], v[14:15], -v[16:17]
	scratch_load_b128 v[14:17], off, off offset:416
	s_waitcnt vmcnt(10) lgkmcnt(1)
	v_mul_f64 v[157:158], v[2:3], v[20:21]
	v_mul_f64 v[20:21], v[4:5], v[20:21]
	s_waitcnt vmcnt(9) lgkmcnt(0)
	v_mul_f64 v[151:152], v[133:134], v[24:25]
	v_mul_f64 v[24:25], v[135:136], v[24:25]
	v_add_f64 v[39:40], v[39:40], v[155:156]
	v_add_f64 v[149:150], v[149:150], v[153:154]
	v_fma_f64 v[153:154], v[4:5], v[18:19], v[157:158]
	v_fma_f64 v[155:156], v[2:3], v[18:19], -v[20:21]
	ds_load_b128 v[2:5], v1 offset:768
	scratch_load_b128 v[18:21], off, off offset:432
	v_fma_f64 v[135:136], v[135:136], v[22:23], v[151:152]
	v_fma_f64 v[133:134], v[133:134], v[22:23], -v[24:25]
	scratch_load_b128 v[22:25], off, off offset:448
	v_add_f64 v[39:40], v[39:40], v[145:146]
	v_add_f64 v[149:150], v[149:150], v[147:148]
	ds_load_b128 v[145:148], v1 offset:784
	s_waitcnt vmcnt(10) lgkmcnt(1)
	v_mul_f64 v[157:158], v[2:3], v[28:29]
	v_mul_f64 v[28:29], v[4:5], v[28:29]
	s_waitcnt vmcnt(9) lgkmcnt(0)
	v_mul_f64 v[151:152], v[145:146], v[32:33]
	v_mul_f64 v[32:33], v[147:148], v[32:33]
	v_add_f64 v[39:40], v[39:40], v[155:156]
	v_add_f64 v[149:150], v[149:150], v[153:154]
	v_fma_f64 v[153:154], v[4:5], v[26:27], v[157:158]
	v_fma_f64 v[155:156], v[2:3], v[26:27], -v[28:29]
	ds_load_b128 v[2:5], v1 offset:800
	ds_load_b128 v[26:29], v1 offset:816
	v_fma_f64 v[147:148], v[147:148], v[30:31], v[151:152]
	v_fma_f64 v[30:31], v[145:146], v[30:31], -v[32:33]
	v_add_f64 v[39:40], v[39:40], v[133:134]
	v_add_f64 v[133:134], v[149:150], v[135:136]
	s_waitcnt vmcnt(8) lgkmcnt(1)
	v_mul_f64 v[135:136], v[2:3], v[36:37]
	v_mul_f64 v[36:37], v[4:5], v[36:37]
	s_delay_alu instid0(VALU_DEP_4) | instskip(NEXT) | instid1(VALU_DEP_4)
	v_add_f64 v[32:33], v[39:40], v[155:156]
	v_add_f64 v[39:40], v[133:134], v[153:154]
	s_waitcnt vmcnt(6) lgkmcnt(0)
	v_mul_f64 v[133:134], v[26:27], v[143:144]
	v_mul_f64 v[143:144], v[28:29], v[143:144]
	v_fma_f64 v[135:136], v[4:5], v[34:35], v[135:136]
	v_fma_f64 v[34:35], v[2:3], v[34:35], -v[36:37]
	v_add_f64 v[36:37], v[32:33], v[30:31]
	v_add_f64 v[39:40], v[39:40], v[147:148]
	ds_load_b128 v[2:5], v1 offset:832
	ds_load_b128 v[30:33], v1 offset:848
	v_fma_f64 v[28:29], v[28:29], v[141:142], v[133:134]
	v_fma_f64 v[26:27], v[26:27], v[141:142], -v[143:144]
	s_waitcnt vmcnt(5) lgkmcnt(1)
	v_mul_f64 v[145:146], v[2:3], v[131:132]
	v_mul_f64 v[131:132], v[4:5], v[131:132]
	v_add_f64 v[34:35], v[36:37], v[34:35]
	v_add_f64 v[36:37], v[39:40], v[135:136]
	s_waitcnt vmcnt(4) lgkmcnt(0)
	v_mul_f64 v[39:40], v[30:31], v[8:9]
	v_mul_f64 v[8:9], v[32:33], v[8:9]
	v_fma_f64 v[133:134], v[4:5], v[129:130], v[145:146]
	v_fma_f64 v[129:130], v[2:3], v[129:130], -v[131:132]
	v_add_f64 v[34:35], v[34:35], v[26:27]
	v_add_f64 v[36:37], v[36:37], v[28:29]
	ds_load_b128 v[2:5], v1 offset:864
	ds_load_b128 v[26:29], v1 offset:880
	v_fma_f64 v[32:33], v[32:33], v[6:7], v[39:40]
	v_fma_f64 v[6:7], v[30:31], v[6:7], -v[8:9]
	s_waitcnt vmcnt(3) lgkmcnt(1)
	v_mul_f64 v[131:132], v[2:3], v[12:13]
	v_mul_f64 v[12:13], v[4:5], v[12:13]
	;; [unrolled: 16-line block ×3, first 2 shown]
	s_waitcnt vmcnt(0) lgkmcnt(0)
	v_mul_f64 v[16:17], v[6:7], v[24:25]
	v_mul_f64 v[24:25], v[8:9], v[24:25]
	v_add_f64 v[10:11], v[12:13], v[10:11]
	v_add_f64 v[12:13], v[30:31], v[36:37]
	v_fma_f64 v[4:5], v[4:5], v[18:19], v[32:33]
	v_fma_f64 v[1:2], v[2:3], v[18:19], -v[20:21]
	v_fma_f64 v[8:9], v[8:9], v[22:23], v[16:17]
	v_fma_f64 v[6:7], v[6:7], v[22:23], -v[24:25]
	v_add_f64 v[10:11], v[10:11], v[14:15]
	v_add_f64 v[12:13], v[12:13], v[28:29]
	s_delay_alu instid0(VALU_DEP_2) | instskip(NEXT) | instid1(VALU_DEP_2)
	v_add_f64 v[1:2], v[10:11], v[1:2]
	v_add_f64 v[3:4], v[12:13], v[4:5]
	s_delay_alu instid0(VALU_DEP_2) | instskip(NEXT) | instid1(VALU_DEP_2)
	;; [unrolled: 3-line block ×3, first 2 shown]
	v_add_f64 v[1:2], v[137:138], -v[1:2]
	v_add_f64 v[3:4], v[139:140], -v[3:4]
	scratch_store_b128 off, v[1:4], off offset:192
	v_cmpx_lt_u32_e32 11, v100
	s_cbranch_execz .LBB28_165
; %bb.164:
	scratch_load_b128 v[1:4], v111, off
	v_mov_b32_e32 v5, 0
	s_delay_alu instid0(VALU_DEP_1)
	v_mov_b32_e32 v6, v5
	v_mov_b32_e32 v7, v5
	;; [unrolled: 1-line block ×3, first 2 shown]
	scratch_store_b128 off, v[5:8], off offset:176
	s_waitcnt vmcnt(0)
	ds_store_b128 v38, v[1:4]
.LBB28_165:
	s_or_b32 exec_lo, exec_lo, s2
	s_waitcnt lgkmcnt(0)
	s_waitcnt_vscnt null, 0x0
	s_barrier
	buffer_gl0_inv
	s_clause 0x7
	scratch_load_b128 v[2:5], off, off offset:192
	scratch_load_b128 v[6:9], off, off offset:208
	scratch_load_b128 v[10:13], off, off offset:224
	scratch_load_b128 v[14:17], off, off offset:240
	scratch_load_b128 v[18:21], off, off offset:256
	scratch_load_b128 v[22:25], off, off offset:272
	scratch_load_b128 v[26:29], off, off offset:288
	scratch_load_b128 v[30:33], off, off offset:304
	v_mov_b32_e32 v1, 0
	s_mov_b32 s2, exec_lo
	ds_load_b128 v[34:37], v1 offset:656
	s_clause 0x1
	scratch_load_b128 v[129:132], off, off offset:320
	scratch_load_b128 v[133:136], off, off offset:176
	ds_load_b128 v[137:140], v1 offset:672
	scratch_load_b128 v[141:144], off, off offset:336
	ds_load_b128 v[145:148], v1 offset:704
	s_waitcnt vmcnt(10) lgkmcnt(2)
	v_mul_f64 v[39:40], v[36:37], v[4:5]
	v_mul_f64 v[4:5], v[34:35], v[4:5]
	s_delay_alu instid0(VALU_DEP_2) | instskip(NEXT) | instid1(VALU_DEP_2)
	v_fma_f64 v[39:40], v[34:35], v[2:3], -v[39:40]
	v_fma_f64 v[151:152], v[36:37], v[2:3], v[4:5]
	ds_load_b128 v[2:5], v1 offset:688
	s_waitcnt vmcnt(9) lgkmcnt(2)
	v_mul_f64 v[149:150], v[137:138], v[8:9]
	v_mul_f64 v[8:9], v[139:140], v[8:9]
	scratch_load_b128 v[34:37], off, off offset:352
	s_waitcnt vmcnt(9) lgkmcnt(0)
	v_mul_f64 v[153:154], v[2:3], v[12:13]
	v_mul_f64 v[12:13], v[4:5], v[12:13]
	v_add_f64 v[39:40], v[39:40], 0
	v_fma_f64 v[139:140], v[139:140], v[6:7], v[149:150]
	v_fma_f64 v[137:138], v[137:138], v[6:7], -v[8:9]
	v_add_f64 v[149:150], v[151:152], 0
	scratch_load_b128 v[6:9], off, off offset:368
	v_fma_f64 v[153:154], v[4:5], v[10:11], v[153:154]
	v_fma_f64 v[155:156], v[2:3], v[10:11], -v[12:13]
	scratch_load_b128 v[10:13], off, off offset:384
	ds_load_b128 v[2:5], v1 offset:720
	s_waitcnt vmcnt(10)
	v_mul_f64 v[151:152], v[145:146], v[16:17]
	v_mul_f64 v[16:17], v[147:148], v[16:17]
	v_add_f64 v[39:40], v[39:40], v[137:138]
	v_add_f64 v[149:150], v[149:150], v[139:140]
	ds_load_b128 v[137:140], v1 offset:736
	s_waitcnt vmcnt(9) lgkmcnt(1)
	v_mul_f64 v[157:158], v[2:3], v[20:21]
	v_mul_f64 v[20:21], v[4:5], v[20:21]
	v_fma_f64 v[147:148], v[147:148], v[14:15], v[151:152]
	v_fma_f64 v[145:146], v[145:146], v[14:15], -v[16:17]
	scratch_load_b128 v[14:17], off, off offset:400
	v_add_f64 v[39:40], v[39:40], v[155:156]
	v_add_f64 v[149:150], v[149:150], v[153:154]
	v_fma_f64 v[153:154], v[4:5], v[18:19], v[157:158]
	v_fma_f64 v[155:156], v[2:3], v[18:19], -v[20:21]
	scratch_load_b128 v[18:21], off, off offset:416
	ds_load_b128 v[2:5], v1 offset:752
	s_waitcnt vmcnt(10) lgkmcnt(1)
	v_mul_f64 v[151:152], v[137:138], v[24:25]
	v_mul_f64 v[24:25], v[139:140], v[24:25]
	s_waitcnt vmcnt(9) lgkmcnt(0)
	v_mul_f64 v[157:158], v[2:3], v[28:29]
	v_mul_f64 v[28:29], v[4:5], v[28:29]
	v_add_f64 v[39:40], v[39:40], v[145:146]
	v_add_f64 v[149:150], v[149:150], v[147:148]
	ds_load_b128 v[145:148], v1 offset:768
	v_fma_f64 v[139:140], v[139:140], v[22:23], v[151:152]
	v_fma_f64 v[137:138], v[137:138], v[22:23], -v[24:25]
	scratch_load_b128 v[22:25], off, off offset:432
	v_add_f64 v[39:40], v[39:40], v[155:156]
	v_add_f64 v[149:150], v[149:150], v[153:154]
	v_fma_f64 v[153:154], v[4:5], v[26:27], v[157:158]
	v_fma_f64 v[155:156], v[2:3], v[26:27], -v[28:29]
	scratch_load_b128 v[26:29], off, off offset:448
	ds_load_b128 v[2:5], v1 offset:784
	s_waitcnt vmcnt(10) lgkmcnt(1)
	v_mul_f64 v[151:152], v[145:146], v[32:33]
	v_mul_f64 v[32:33], v[147:148], v[32:33]
	s_waitcnt vmcnt(9) lgkmcnt(0)
	v_mul_f64 v[157:158], v[2:3], v[131:132]
	v_mul_f64 v[131:132], v[4:5], v[131:132]
	v_add_f64 v[39:40], v[39:40], v[137:138]
	v_add_f64 v[149:150], v[149:150], v[139:140]
	ds_load_b128 v[137:140], v1 offset:800
	v_fma_f64 v[147:148], v[147:148], v[30:31], v[151:152]
	v_fma_f64 v[30:31], v[145:146], v[30:31], -v[32:33]
	s_waitcnt vmcnt(7) lgkmcnt(0)
	v_mul_f64 v[145:146], v[137:138], v[143:144]
	v_mul_f64 v[143:144], v[139:140], v[143:144]
	v_add_f64 v[32:33], v[39:40], v[155:156]
	v_add_f64 v[39:40], v[149:150], v[153:154]
	v_fma_f64 v[149:150], v[4:5], v[129:130], v[157:158]
	v_fma_f64 v[129:130], v[2:3], v[129:130], -v[131:132]
	v_fma_f64 v[139:140], v[139:140], v[141:142], v[145:146]
	v_fma_f64 v[137:138], v[137:138], v[141:142], -v[143:144]
	v_add_f64 v[131:132], v[32:33], v[30:31]
	v_add_f64 v[39:40], v[39:40], v[147:148]
	ds_load_b128 v[2:5], v1 offset:816
	ds_load_b128 v[30:33], v1 offset:832
	s_waitcnt vmcnt(6) lgkmcnt(1)
	v_mul_f64 v[147:148], v[2:3], v[36:37]
	v_mul_f64 v[36:37], v[4:5], v[36:37]
	v_add_f64 v[129:130], v[131:132], v[129:130]
	v_add_f64 v[39:40], v[39:40], v[149:150]
	s_waitcnt vmcnt(5) lgkmcnt(0)
	v_mul_f64 v[131:132], v[30:31], v[8:9]
	v_mul_f64 v[8:9], v[32:33], v[8:9]
	v_fma_f64 v[141:142], v[4:5], v[34:35], v[147:148]
	v_fma_f64 v[143:144], v[2:3], v[34:35], -v[36:37]
	ds_load_b128 v[2:5], v1 offset:848
	ds_load_b128 v[34:37], v1 offset:864
	v_add_f64 v[129:130], v[129:130], v[137:138]
	v_add_f64 v[39:40], v[39:40], v[139:140]
	s_waitcnt vmcnt(4) lgkmcnt(1)
	v_mul_f64 v[137:138], v[2:3], v[12:13]
	v_mul_f64 v[12:13], v[4:5], v[12:13]
	v_fma_f64 v[32:33], v[32:33], v[6:7], v[131:132]
	v_fma_f64 v[6:7], v[30:31], v[6:7], -v[8:9]
	v_add_f64 v[8:9], v[129:130], v[143:144]
	v_add_f64 v[30:31], v[39:40], v[141:142]
	s_waitcnt vmcnt(3) lgkmcnt(0)
	v_mul_f64 v[39:40], v[34:35], v[16:17]
	v_mul_f64 v[16:17], v[36:37], v[16:17]
	v_fma_f64 v[129:130], v[4:5], v[10:11], v[137:138]
	v_fma_f64 v[10:11], v[2:3], v[10:11], -v[12:13]
	v_add_f64 v[12:13], v[8:9], v[6:7]
	v_add_f64 v[30:31], v[30:31], v[32:33]
	ds_load_b128 v[2:5], v1 offset:880
	ds_load_b128 v[6:9], v1 offset:896
	v_fma_f64 v[36:37], v[36:37], v[14:15], v[39:40]
	v_fma_f64 v[14:15], v[34:35], v[14:15], -v[16:17]
	s_waitcnt vmcnt(2) lgkmcnt(1)
	v_mul_f64 v[32:33], v[2:3], v[20:21]
	v_mul_f64 v[20:21], v[4:5], v[20:21]
	s_waitcnt vmcnt(1) lgkmcnt(0)
	v_mul_f64 v[16:17], v[6:7], v[24:25]
	v_mul_f64 v[24:25], v[8:9], v[24:25]
	v_add_f64 v[10:11], v[12:13], v[10:11]
	v_add_f64 v[12:13], v[30:31], v[129:130]
	v_fma_f64 v[30:31], v[4:5], v[18:19], v[32:33]
	v_fma_f64 v[18:19], v[2:3], v[18:19], -v[20:21]
	ds_load_b128 v[2:5], v1 offset:912
	v_fma_f64 v[8:9], v[8:9], v[22:23], v[16:17]
	v_fma_f64 v[6:7], v[6:7], v[22:23], -v[24:25]
	v_add_f64 v[10:11], v[10:11], v[14:15]
	v_add_f64 v[12:13], v[12:13], v[36:37]
	s_waitcnt vmcnt(0) lgkmcnt(0)
	v_mul_f64 v[14:15], v[2:3], v[28:29]
	v_mul_f64 v[20:21], v[4:5], v[28:29]
	s_delay_alu instid0(VALU_DEP_4) | instskip(NEXT) | instid1(VALU_DEP_4)
	v_add_f64 v[10:11], v[10:11], v[18:19]
	v_add_f64 v[12:13], v[12:13], v[30:31]
	s_delay_alu instid0(VALU_DEP_4) | instskip(NEXT) | instid1(VALU_DEP_4)
	v_fma_f64 v[4:5], v[4:5], v[26:27], v[14:15]
	v_fma_f64 v[2:3], v[2:3], v[26:27], -v[20:21]
	s_delay_alu instid0(VALU_DEP_4) | instskip(NEXT) | instid1(VALU_DEP_4)
	v_add_f64 v[6:7], v[10:11], v[6:7]
	v_add_f64 v[8:9], v[12:13], v[8:9]
	s_delay_alu instid0(VALU_DEP_2) | instskip(NEXT) | instid1(VALU_DEP_2)
	v_add_f64 v[2:3], v[6:7], v[2:3]
	v_add_f64 v[4:5], v[8:9], v[4:5]
	s_delay_alu instid0(VALU_DEP_2) | instskip(NEXT) | instid1(VALU_DEP_2)
	v_add_f64 v[2:3], v[133:134], -v[2:3]
	v_add_f64 v[4:5], v[135:136], -v[4:5]
	scratch_store_b128 off, v[2:5], off offset:176
	v_cmpx_lt_u32_e32 10, v100
	s_cbranch_execz .LBB28_167
; %bb.166:
	scratch_load_b128 v[5:8], v112, off
	v_mov_b32_e32 v2, v1
	v_mov_b32_e32 v3, v1
	;; [unrolled: 1-line block ×3, first 2 shown]
	scratch_store_b128 off, v[1:4], off offset:160
	s_waitcnt vmcnt(0)
	ds_store_b128 v38, v[5:8]
.LBB28_167:
	s_or_b32 exec_lo, exec_lo, s2
	s_waitcnt lgkmcnt(0)
	s_waitcnt_vscnt null, 0x0
	s_barrier
	buffer_gl0_inv
	s_clause 0x8
	scratch_load_b128 v[2:5], off, off offset:176
	scratch_load_b128 v[6:9], off, off offset:192
	;; [unrolled: 1-line block ×9, first 2 shown]
	ds_load_b128 v[129:132], v1 offset:640
	ds_load_b128 v[133:136], v1 offset:656
	s_clause 0x1
	scratch_load_b128 v[137:140], off, off offset:160
	scratch_load_b128 v[141:144], off, off offset:320
	s_mov_b32 s2, exec_lo
	ds_load_b128 v[145:148], v1 offset:688
	s_waitcnt vmcnt(10) lgkmcnt(2)
	v_mul_f64 v[39:40], v[131:132], v[4:5]
	v_mul_f64 v[4:5], v[129:130], v[4:5]
	s_waitcnt vmcnt(9) lgkmcnt(1)
	v_mul_f64 v[149:150], v[133:134], v[8:9]
	v_mul_f64 v[8:9], v[135:136], v[8:9]
	s_delay_alu instid0(VALU_DEP_4) | instskip(NEXT) | instid1(VALU_DEP_4)
	v_fma_f64 v[39:40], v[129:130], v[2:3], -v[39:40]
	v_fma_f64 v[151:152], v[131:132], v[2:3], v[4:5]
	ds_load_b128 v[2:5], v1 offset:672
	scratch_load_b128 v[129:132], off, off offset:336
	v_fma_f64 v[135:136], v[135:136], v[6:7], v[149:150]
	v_fma_f64 v[133:134], v[133:134], v[6:7], -v[8:9]
	scratch_load_b128 v[6:9], off, off offset:352
	s_waitcnt vmcnt(10) lgkmcnt(0)
	v_mul_f64 v[153:154], v[2:3], v[12:13]
	v_mul_f64 v[12:13], v[4:5], v[12:13]
	v_add_f64 v[39:40], v[39:40], 0
	v_add_f64 v[149:150], v[151:152], 0
	s_waitcnt vmcnt(9)
	v_mul_f64 v[151:152], v[145:146], v[16:17]
	v_mul_f64 v[16:17], v[147:148], v[16:17]
	v_fma_f64 v[153:154], v[4:5], v[10:11], v[153:154]
	v_fma_f64 v[155:156], v[2:3], v[10:11], -v[12:13]
	ds_load_b128 v[2:5], v1 offset:704
	scratch_load_b128 v[10:13], off, off offset:368
	v_add_f64 v[39:40], v[39:40], v[133:134]
	v_add_f64 v[149:150], v[149:150], v[135:136]
	ds_load_b128 v[133:136], v1 offset:720
	v_fma_f64 v[147:148], v[147:148], v[14:15], v[151:152]
	v_fma_f64 v[145:146], v[145:146], v[14:15], -v[16:17]
	scratch_load_b128 v[14:17], off, off offset:384
	s_waitcnt vmcnt(10) lgkmcnt(1)
	v_mul_f64 v[157:158], v[2:3], v[20:21]
	v_mul_f64 v[20:21], v[4:5], v[20:21]
	s_waitcnt vmcnt(9) lgkmcnt(0)
	v_mul_f64 v[151:152], v[133:134], v[24:25]
	v_mul_f64 v[24:25], v[135:136], v[24:25]
	v_add_f64 v[39:40], v[39:40], v[155:156]
	v_add_f64 v[149:150], v[149:150], v[153:154]
	v_fma_f64 v[153:154], v[4:5], v[18:19], v[157:158]
	v_fma_f64 v[155:156], v[2:3], v[18:19], -v[20:21]
	ds_load_b128 v[2:5], v1 offset:736
	scratch_load_b128 v[18:21], off, off offset:400
	v_fma_f64 v[135:136], v[135:136], v[22:23], v[151:152]
	v_fma_f64 v[133:134], v[133:134], v[22:23], -v[24:25]
	scratch_load_b128 v[22:25], off, off offset:416
	v_add_f64 v[39:40], v[39:40], v[145:146]
	v_add_f64 v[149:150], v[149:150], v[147:148]
	ds_load_b128 v[145:148], v1 offset:752
	s_waitcnt vmcnt(10) lgkmcnt(1)
	v_mul_f64 v[157:158], v[2:3], v[28:29]
	v_mul_f64 v[28:29], v[4:5], v[28:29]
	s_waitcnt vmcnt(9) lgkmcnt(0)
	v_mul_f64 v[151:152], v[145:146], v[32:33]
	v_mul_f64 v[32:33], v[147:148], v[32:33]
	v_add_f64 v[39:40], v[39:40], v[155:156]
	v_add_f64 v[149:150], v[149:150], v[153:154]
	v_fma_f64 v[153:154], v[4:5], v[26:27], v[157:158]
	v_fma_f64 v[155:156], v[2:3], v[26:27], -v[28:29]
	ds_load_b128 v[2:5], v1 offset:768
	scratch_load_b128 v[26:29], off, off offset:432
	v_fma_f64 v[147:148], v[147:148], v[30:31], v[151:152]
	v_fma_f64 v[145:146], v[145:146], v[30:31], -v[32:33]
	scratch_load_b128 v[30:33], off, off offset:448
	v_add_f64 v[39:40], v[39:40], v[133:134]
	v_add_f64 v[149:150], v[149:150], v[135:136]
	ds_load_b128 v[133:136], v1 offset:784
	s_waitcnt vmcnt(10) lgkmcnt(1)
	v_mul_f64 v[157:158], v[2:3], v[36:37]
	v_mul_f64 v[36:37], v[4:5], v[36:37]
	s_waitcnt vmcnt(8) lgkmcnt(0)
	v_mul_f64 v[151:152], v[133:134], v[143:144]
	v_mul_f64 v[143:144], v[135:136], v[143:144]
	v_add_f64 v[39:40], v[39:40], v[155:156]
	v_add_f64 v[149:150], v[149:150], v[153:154]
	v_fma_f64 v[153:154], v[4:5], v[34:35], v[157:158]
	v_fma_f64 v[155:156], v[2:3], v[34:35], -v[36:37]
	ds_load_b128 v[2:5], v1 offset:800
	ds_load_b128 v[34:37], v1 offset:816
	v_fma_f64 v[135:136], v[135:136], v[141:142], v[151:152]
	v_fma_f64 v[133:134], v[133:134], v[141:142], -v[143:144]
	v_add_f64 v[39:40], v[39:40], v[145:146]
	v_add_f64 v[145:146], v[149:150], v[147:148]
	s_waitcnt vmcnt(7) lgkmcnt(1)
	v_mul_f64 v[147:148], v[2:3], v[131:132]
	v_mul_f64 v[131:132], v[4:5], v[131:132]
	s_waitcnt vmcnt(6) lgkmcnt(0)
	v_mul_f64 v[143:144], v[34:35], v[8:9]
	v_mul_f64 v[8:9], v[36:37], v[8:9]
	v_add_f64 v[39:40], v[39:40], v[155:156]
	v_add_f64 v[141:142], v[145:146], v[153:154]
	v_fma_f64 v[145:146], v[4:5], v[129:130], v[147:148]
	v_fma_f64 v[147:148], v[2:3], v[129:130], -v[131:132]
	ds_load_b128 v[2:5], v1 offset:832
	ds_load_b128 v[129:132], v1 offset:848
	v_fma_f64 v[36:37], v[36:37], v[6:7], v[143:144]
	v_fma_f64 v[6:7], v[34:35], v[6:7], -v[8:9]
	v_add_f64 v[39:40], v[39:40], v[133:134]
	v_add_f64 v[133:134], v[141:142], v[135:136]
	s_waitcnt vmcnt(5) lgkmcnt(1)
	v_mul_f64 v[135:136], v[2:3], v[12:13]
	v_mul_f64 v[12:13], v[4:5], v[12:13]
	s_delay_alu instid0(VALU_DEP_4) | instskip(NEXT) | instid1(VALU_DEP_4)
	v_add_f64 v[8:9], v[39:40], v[147:148]
	v_add_f64 v[34:35], v[133:134], v[145:146]
	s_waitcnt vmcnt(4) lgkmcnt(0)
	v_mul_f64 v[39:40], v[129:130], v[16:17]
	v_mul_f64 v[16:17], v[131:132], v[16:17]
	v_fma_f64 v[133:134], v[4:5], v[10:11], v[135:136]
	v_fma_f64 v[10:11], v[2:3], v[10:11], -v[12:13]
	v_add_f64 v[12:13], v[8:9], v[6:7]
	v_add_f64 v[34:35], v[34:35], v[36:37]
	ds_load_b128 v[2:5], v1 offset:864
	ds_load_b128 v[6:9], v1 offset:880
	v_fma_f64 v[39:40], v[131:132], v[14:15], v[39:40]
	v_fma_f64 v[14:15], v[129:130], v[14:15], -v[16:17]
	s_waitcnt vmcnt(3) lgkmcnt(1)
	v_mul_f64 v[36:37], v[2:3], v[20:21]
	v_mul_f64 v[20:21], v[4:5], v[20:21]
	s_waitcnt vmcnt(2) lgkmcnt(0)
	v_mul_f64 v[16:17], v[6:7], v[24:25]
	v_mul_f64 v[24:25], v[8:9], v[24:25]
	v_add_f64 v[10:11], v[12:13], v[10:11]
	v_add_f64 v[12:13], v[34:35], v[133:134]
	v_fma_f64 v[34:35], v[4:5], v[18:19], v[36:37]
	v_fma_f64 v[18:19], v[2:3], v[18:19], -v[20:21]
	v_fma_f64 v[8:9], v[8:9], v[22:23], v[16:17]
	v_fma_f64 v[6:7], v[6:7], v[22:23], -v[24:25]
	v_add_f64 v[14:15], v[10:11], v[14:15]
	v_add_f64 v[20:21], v[12:13], v[39:40]
	ds_load_b128 v[2:5], v1 offset:896
	ds_load_b128 v[10:13], v1 offset:912
	s_waitcnt vmcnt(1) lgkmcnt(1)
	v_mul_f64 v[36:37], v[2:3], v[28:29]
	v_mul_f64 v[28:29], v[4:5], v[28:29]
	v_add_f64 v[14:15], v[14:15], v[18:19]
	v_add_f64 v[16:17], v[20:21], v[34:35]
	s_waitcnt vmcnt(0) lgkmcnt(0)
	v_mul_f64 v[18:19], v[10:11], v[32:33]
	v_mul_f64 v[20:21], v[12:13], v[32:33]
	v_fma_f64 v[4:5], v[4:5], v[26:27], v[36:37]
	v_fma_f64 v[1:2], v[2:3], v[26:27], -v[28:29]
	v_add_f64 v[6:7], v[14:15], v[6:7]
	v_add_f64 v[8:9], v[16:17], v[8:9]
	v_fma_f64 v[12:13], v[12:13], v[30:31], v[18:19]
	v_fma_f64 v[10:11], v[10:11], v[30:31], -v[20:21]
	s_delay_alu instid0(VALU_DEP_4) | instskip(NEXT) | instid1(VALU_DEP_4)
	v_add_f64 v[1:2], v[6:7], v[1:2]
	v_add_f64 v[3:4], v[8:9], v[4:5]
	s_delay_alu instid0(VALU_DEP_2) | instskip(NEXT) | instid1(VALU_DEP_2)
	v_add_f64 v[1:2], v[1:2], v[10:11]
	v_add_f64 v[3:4], v[3:4], v[12:13]
	s_delay_alu instid0(VALU_DEP_2) | instskip(NEXT) | instid1(VALU_DEP_2)
	v_add_f64 v[1:2], v[137:138], -v[1:2]
	v_add_f64 v[3:4], v[139:140], -v[3:4]
	scratch_store_b128 off, v[1:4], off offset:160
	v_cmpx_lt_u32_e32 9, v100
	s_cbranch_execz .LBB28_169
; %bb.168:
	scratch_load_b128 v[1:4], v114, off
	v_mov_b32_e32 v5, 0
	s_delay_alu instid0(VALU_DEP_1)
	v_mov_b32_e32 v6, v5
	v_mov_b32_e32 v7, v5
	;; [unrolled: 1-line block ×3, first 2 shown]
	scratch_store_b128 off, v[5:8], off offset:144
	s_waitcnt vmcnt(0)
	ds_store_b128 v38, v[1:4]
.LBB28_169:
	s_or_b32 exec_lo, exec_lo, s2
	s_waitcnt lgkmcnt(0)
	s_waitcnt_vscnt null, 0x0
	s_barrier
	buffer_gl0_inv
	s_clause 0x7
	scratch_load_b128 v[2:5], off, off offset:160
	scratch_load_b128 v[6:9], off, off offset:176
	;; [unrolled: 1-line block ×8, first 2 shown]
	v_mov_b32_e32 v1, 0
	s_mov_b32 s2, exec_lo
	ds_load_b128 v[34:37], v1 offset:624
	s_clause 0x1
	scratch_load_b128 v[129:132], off, off offset:288
	scratch_load_b128 v[133:136], off, off offset:144
	ds_load_b128 v[137:140], v1 offset:640
	scratch_load_b128 v[141:144], off, off offset:304
	ds_load_b128 v[145:148], v1 offset:672
	s_waitcnt vmcnt(10) lgkmcnt(2)
	v_mul_f64 v[39:40], v[36:37], v[4:5]
	v_mul_f64 v[4:5], v[34:35], v[4:5]
	s_delay_alu instid0(VALU_DEP_2) | instskip(NEXT) | instid1(VALU_DEP_2)
	v_fma_f64 v[39:40], v[34:35], v[2:3], -v[39:40]
	v_fma_f64 v[151:152], v[36:37], v[2:3], v[4:5]
	ds_load_b128 v[2:5], v1 offset:656
	s_waitcnt vmcnt(9) lgkmcnt(2)
	v_mul_f64 v[149:150], v[137:138], v[8:9]
	v_mul_f64 v[8:9], v[139:140], v[8:9]
	scratch_load_b128 v[34:37], off, off offset:320
	s_waitcnt vmcnt(9) lgkmcnt(0)
	v_mul_f64 v[153:154], v[2:3], v[12:13]
	v_mul_f64 v[12:13], v[4:5], v[12:13]
	v_add_f64 v[39:40], v[39:40], 0
	v_fma_f64 v[139:140], v[139:140], v[6:7], v[149:150]
	v_fma_f64 v[137:138], v[137:138], v[6:7], -v[8:9]
	v_add_f64 v[149:150], v[151:152], 0
	scratch_load_b128 v[6:9], off, off offset:336
	v_fma_f64 v[153:154], v[4:5], v[10:11], v[153:154]
	v_fma_f64 v[155:156], v[2:3], v[10:11], -v[12:13]
	scratch_load_b128 v[10:13], off, off offset:352
	ds_load_b128 v[2:5], v1 offset:688
	s_waitcnt vmcnt(10)
	v_mul_f64 v[151:152], v[145:146], v[16:17]
	v_mul_f64 v[16:17], v[147:148], v[16:17]
	v_add_f64 v[39:40], v[39:40], v[137:138]
	v_add_f64 v[149:150], v[149:150], v[139:140]
	ds_load_b128 v[137:140], v1 offset:704
	s_waitcnt vmcnt(9) lgkmcnt(1)
	v_mul_f64 v[157:158], v[2:3], v[20:21]
	v_mul_f64 v[20:21], v[4:5], v[20:21]
	v_fma_f64 v[147:148], v[147:148], v[14:15], v[151:152]
	v_fma_f64 v[145:146], v[145:146], v[14:15], -v[16:17]
	scratch_load_b128 v[14:17], off, off offset:368
	v_add_f64 v[39:40], v[39:40], v[155:156]
	v_add_f64 v[149:150], v[149:150], v[153:154]
	v_fma_f64 v[153:154], v[4:5], v[18:19], v[157:158]
	v_fma_f64 v[155:156], v[2:3], v[18:19], -v[20:21]
	scratch_load_b128 v[18:21], off, off offset:384
	ds_load_b128 v[2:5], v1 offset:720
	s_waitcnt vmcnt(10) lgkmcnt(1)
	v_mul_f64 v[151:152], v[137:138], v[24:25]
	v_mul_f64 v[24:25], v[139:140], v[24:25]
	s_waitcnt vmcnt(9) lgkmcnt(0)
	v_mul_f64 v[157:158], v[2:3], v[28:29]
	v_mul_f64 v[28:29], v[4:5], v[28:29]
	v_add_f64 v[39:40], v[39:40], v[145:146]
	v_add_f64 v[149:150], v[149:150], v[147:148]
	ds_load_b128 v[145:148], v1 offset:736
	v_fma_f64 v[139:140], v[139:140], v[22:23], v[151:152]
	v_fma_f64 v[137:138], v[137:138], v[22:23], -v[24:25]
	scratch_load_b128 v[22:25], off, off offset:400
	v_add_f64 v[39:40], v[39:40], v[155:156]
	v_add_f64 v[149:150], v[149:150], v[153:154]
	v_fma_f64 v[153:154], v[4:5], v[26:27], v[157:158]
	v_fma_f64 v[155:156], v[2:3], v[26:27], -v[28:29]
	scratch_load_b128 v[26:29], off, off offset:416
	ds_load_b128 v[2:5], v1 offset:752
	s_waitcnt vmcnt(10) lgkmcnt(1)
	v_mul_f64 v[151:152], v[145:146], v[32:33]
	v_mul_f64 v[32:33], v[147:148], v[32:33]
	s_waitcnt vmcnt(9) lgkmcnt(0)
	v_mul_f64 v[157:158], v[2:3], v[131:132]
	v_mul_f64 v[131:132], v[4:5], v[131:132]
	v_add_f64 v[39:40], v[39:40], v[137:138]
	v_add_f64 v[149:150], v[149:150], v[139:140]
	ds_load_b128 v[137:140], v1 offset:768
	v_fma_f64 v[147:148], v[147:148], v[30:31], v[151:152]
	v_fma_f64 v[145:146], v[145:146], v[30:31], -v[32:33]
	scratch_load_b128 v[30:33], off, off offset:432
	v_add_f64 v[39:40], v[39:40], v[155:156]
	v_add_f64 v[149:150], v[149:150], v[153:154]
	v_fma_f64 v[155:156], v[4:5], v[129:130], v[157:158]
	v_fma_f64 v[157:158], v[2:3], v[129:130], -v[131:132]
	scratch_load_b128 v[129:132], off, off offset:448
	ds_load_b128 v[2:5], v1 offset:784
	s_waitcnt vmcnt(9) lgkmcnt(1)
	v_mul_f64 v[151:152], v[137:138], v[143:144]
	v_mul_f64 v[153:154], v[139:140], v[143:144]
	v_add_f64 v[39:40], v[39:40], v[145:146]
	v_add_f64 v[147:148], v[149:150], v[147:148]
	ds_load_b128 v[143:146], v1 offset:800
	v_fma_f64 v[139:140], v[139:140], v[141:142], v[151:152]
	v_fma_f64 v[137:138], v[137:138], v[141:142], -v[153:154]
	s_waitcnt vmcnt(8) lgkmcnt(1)
	v_mul_f64 v[149:150], v[2:3], v[36:37]
	v_mul_f64 v[36:37], v[4:5], v[36:37]
	v_add_f64 v[39:40], v[39:40], v[157:158]
	v_add_f64 v[141:142], v[147:148], v[155:156]
	s_delay_alu instid0(VALU_DEP_4)
	v_fma_f64 v[149:150], v[4:5], v[34:35], v[149:150]
	s_waitcnt vmcnt(7) lgkmcnt(0)
	v_mul_f64 v[147:148], v[143:144], v[8:9]
	v_mul_f64 v[8:9], v[145:146], v[8:9]
	v_fma_f64 v[151:152], v[2:3], v[34:35], -v[36:37]
	ds_load_b128 v[2:5], v1 offset:816
	ds_load_b128 v[34:37], v1 offset:832
	v_add_f64 v[39:40], v[39:40], v[137:138]
	v_add_f64 v[137:138], v[141:142], v[139:140]
	s_waitcnt vmcnt(6) lgkmcnt(1)
	v_mul_f64 v[139:140], v[2:3], v[12:13]
	v_mul_f64 v[12:13], v[4:5], v[12:13]
	v_fma_f64 v[141:142], v[145:146], v[6:7], v[147:148]
	v_fma_f64 v[6:7], v[143:144], v[6:7], -v[8:9]
	v_add_f64 v[8:9], v[39:40], v[151:152]
	v_add_f64 v[39:40], v[137:138], v[149:150]
	s_waitcnt vmcnt(5) lgkmcnt(0)
	v_mul_f64 v[137:138], v[34:35], v[16:17]
	v_mul_f64 v[16:17], v[36:37], v[16:17]
	v_fma_f64 v[139:140], v[4:5], v[10:11], v[139:140]
	v_fma_f64 v[10:11], v[2:3], v[10:11], -v[12:13]
	v_add_f64 v[12:13], v[8:9], v[6:7]
	v_add_f64 v[39:40], v[39:40], v[141:142]
	ds_load_b128 v[2:5], v1 offset:848
	ds_load_b128 v[6:9], v1 offset:864
	v_fma_f64 v[36:37], v[36:37], v[14:15], v[137:138]
	v_fma_f64 v[14:15], v[34:35], v[14:15], -v[16:17]
	s_waitcnt vmcnt(4) lgkmcnt(1)
	v_mul_f64 v[141:142], v[2:3], v[20:21]
	v_mul_f64 v[20:21], v[4:5], v[20:21]
	s_waitcnt vmcnt(3) lgkmcnt(0)
	v_mul_f64 v[16:17], v[6:7], v[24:25]
	v_mul_f64 v[24:25], v[8:9], v[24:25]
	v_add_f64 v[10:11], v[12:13], v[10:11]
	v_add_f64 v[12:13], v[39:40], v[139:140]
	v_fma_f64 v[34:35], v[4:5], v[18:19], v[141:142]
	v_fma_f64 v[18:19], v[2:3], v[18:19], -v[20:21]
	v_fma_f64 v[8:9], v[8:9], v[22:23], v[16:17]
	v_fma_f64 v[6:7], v[6:7], v[22:23], -v[24:25]
	v_add_f64 v[14:15], v[10:11], v[14:15]
	v_add_f64 v[20:21], v[12:13], v[36:37]
	ds_load_b128 v[2:5], v1 offset:880
	ds_load_b128 v[10:13], v1 offset:896
	s_waitcnt vmcnt(2) lgkmcnt(1)
	v_mul_f64 v[36:37], v[2:3], v[28:29]
	v_mul_f64 v[28:29], v[4:5], v[28:29]
	v_add_f64 v[14:15], v[14:15], v[18:19]
	v_add_f64 v[16:17], v[20:21], v[34:35]
	s_waitcnt vmcnt(1) lgkmcnt(0)
	v_mul_f64 v[18:19], v[10:11], v[32:33]
	v_mul_f64 v[20:21], v[12:13], v[32:33]
	v_fma_f64 v[22:23], v[4:5], v[26:27], v[36:37]
	v_fma_f64 v[24:25], v[2:3], v[26:27], -v[28:29]
	ds_load_b128 v[2:5], v1 offset:912
	v_add_f64 v[6:7], v[14:15], v[6:7]
	v_add_f64 v[8:9], v[16:17], v[8:9]
	v_fma_f64 v[12:13], v[12:13], v[30:31], v[18:19]
	v_fma_f64 v[10:11], v[10:11], v[30:31], -v[20:21]
	s_waitcnt vmcnt(0) lgkmcnt(0)
	v_mul_f64 v[14:15], v[2:3], v[131:132]
	v_mul_f64 v[16:17], v[4:5], v[131:132]
	v_add_f64 v[6:7], v[6:7], v[24:25]
	v_add_f64 v[8:9], v[8:9], v[22:23]
	s_delay_alu instid0(VALU_DEP_4) | instskip(NEXT) | instid1(VALU_DEP_4)
	v_fma_f64 v[4:5], v[4:5], v[129:130], v[14:15]
	v_fma_f64 v[2:3], v[2:3], v[129:130], -v[16:17]
	s_delay_alu instid0(VALU_DEP_4) | instskip(NEXT) | instid1(VALU_DEP_4)
	v_add_f64 v[6:7], v[6:7], v[10:11]
	v_add_f64 v[8:9], v[8:9], v[12:13]
	s_delay_alu instid0(VALU_DEP_2) | instskip(NEXT) | instid1(VALU_DEP_2)
	v_add_f64 v[2:3], v[6:7], v[2:3]
	v_add_f64 v[4:5], v[8:9], v[4:5]
	s_delay_alu instid0(VALU_DEP_2) | instskip(NEXT) | instid1(VALU_DEP_2)
	v_add_f64 v[2:3], v[133:134], -v[2:3]
	v_add_f64 v[4:5], v[135:136], -v[4:5]
	scratch_store_b128 off, v[2:5], off offset:144
	v_cmpx_lt_u32_e32 8, v100
	s_cbranch_execz .LBB28_171
; %bb.170:
	scratch_load_b128 v[5:8], v113, off
	v_mov_b32_e32 v2, v1
	v_mov_b32_e32 v3, v1
	;; [unrolled: 1-line block ×3, first 2 shown]
	scratch_store_b128 off, v[1:4], off offset:128
	s_waitcnt vmcnt(0)
	ds_store_b128 v38, v[5:8]
.LBB28_171:
	s_or_b32 exec_lo, exec_lo, s2
	s_waitcnt lgkmcnt(0)
	s_waitcnt_vscnt null, 0x0
	s_barrier
	buffer_gl0_inv
	s_clause 0x8
	scratch_load_b128 v[2:5], off, off offset:144
	scratch_load_b128 v[6:9], off, off offset:160
	scratch_load_b128 v[10:13], off, off offset:176
	scratch_load_b128 v[14:17], off, off offset:192
	scratch_load_b128 v[18:21], off, off offset:208
	scratch_load_b128 v[22:25], off, off offset:224
	scratch_load_b128 v[26:29], off, off offset:240
	scratch_load_b128 v[30:33], off, off offset:256
	scratch_load_b128 v[34:37], off, off offset:272
	ds_load_b128 v[129:132], v1 offset:608
	ds_load_b128 v[133:136], v1 offset:624
	s_clause 0x1
	scratch_load_b128 v[137:140], off, off offset:128
	scratch_load_b128 v[141:144], off, off offset:288
	s_mov_b32 s2, exec_lo
	ds_load_b128 v[145:148], v1 offset:656
	s_waitcnt vmcnt(10) lgkmcnt(2)
	v_mul_f64 v[39:40], v[131:132], v[4:5]
	v_mul_f64 v[4:5], v[129:130], v[4:5]
	s_waitcnt vmcnt(9) lgkmcnt(1)
	v_mul_f64 v[149:150], v[133:134], v[8:9]
	v_mul_f64 v[8:9], v[135:136], v[8:9]
	s_delay_alu instid0(VALU_DEP_4) | instskip(NEXT) | instid1(VALU_DEP_4)
	v_fma_f64 v[39:40], v[129:130], v[2:3], -v[39:40]
	v_fma_f64 v[151:152], v[131:132], v[2:3], v[4:5]
	ds_load_b128 v[2:5], v1 offset:640
	scratch_load_b128 v[129:132], off, off offset:304
	v_fma_f64 v[135:136], v[135:136], v[6:7], v[149:150]
	v_fma_f64 v[133:134], v[133:134], v[6:7], -v[8:9]
	scratch_load_b128 v[6:9], off, off offset:320
	s_waitcnt vmcnt(10) lgkmcnt(0)
	v_mul_f64 v[153:154], v[2:3], v[12:13]
	v_mul_f64 v[12:13], v[4:5], v[12:13]
	v_add_f64 v[39:40], v[39:40], 0
	v_add_f64 v[149:150], v[151:152], 0
	s_waitcnt vmcnt(9)
	v_mul_f64 v[151:152], v[145:146], v[16:17]
	v_mul_f64 v[16:17], v[147:148], v[16:17]
	v_fma_f64 v[153:154], v[4:5], v[10:11], v[153:154]
	v_fma_f64 v[155:156], v[2:3], v[10:11], -v[12:13]
	ds_load_b128 v[2:5], v1 offset:672
	scratch_load_b128 v[10:13], off, off offset:336
	v_add_f64 v[39:40], v[39:40], v[133:134]
	v_add_f64 v[149:150], v[149:150], v[135:136]
	ds_load_b128 v[133:136], v1 offset:688
	v_fma_f64 v[147:148], v[147:148], v[14:15], v[151:152]
	v_fma_f64 v[145:146], v[145:146], v[14:15], -v[16:17]
	scratch_load_b128 v[14:17], off, off offset:352
	s_waitcnt vmcnt(10) lgkmcnt(1)
	v_mul_f64 v[157:158], v[2:3], v[20:21]
	v_mul_f64 v[20:21], v[4:5], v[20:21]
	s_waitcnt vmcnt(9) lgkmcnt(0)
	v_mul_f64 v[151:152], v[133:134], v[24:25]
	v_mul_f64 v[24:25], v[135:136], v[24:25]
	v_add_f64 v[39:40], v[39:40], v[155:156]
	v_add_f64 v[149:150], v[149:150], v[153:154]
	v_fma_f64 v[153:154], v[4:5], v[18:19], v[157:158]
	v_fma_f64 v[155:156], v[2:3], v[18:19], -v[20:21]
	ds_load_b128 v[2:5], v1 offset:704
	scratch_load_b128 v[18:21], off, off offset:368
	v_fma_f64 v[135:136], v[135:136], v[22:23], v[151:152]
	v_fma_f64 v[133:134], v[133:134], v[22:23], -v[24:25]
	scratch_load_b128 v[22:25], off, off offset:384
	v_add_f64 v[39:40], v[39:40], v[145:146]
	v_add_f64 v[149:150], v[149:150], v[147:148]
	ds_load_b128 v[145:148], v1 offset:720
	s_waitcnt vmcnt(10) lgkmcnt(1)
	v_mul_f64 v[157:158], v[2:3], v[28:29]
	v_mul_f64 v[28:29], v[4:5], v[28:29]
	s_waitcnt vmcnt(9) lgkmcnt(0)
	v_mul_f64 v[151:152], v[145:146], v[32:33]
	v_mul_f64 v[32:33], v[147:148], v[32:33]
	v_add_f64 v[39:40], v[39:40], v[155:156]
	v_add_f64 v[149:150], v[149:150], v[153:154]
	v_fma_f64 v[153:154], v[4:5], v[26:27], v[157:158]
	v_fma_f64 v[155:156], v[2:3], v[26:27], -v[28:29]
	ds_load_b128 v[2:5], v1 offset:736
	scratch_load_b128 v[26:29], off, off offset:400
	v_fma_f64 v[147:148], v[147:148], v[30:31], v[151:152]
	v_fma_f64 v[145:146], v[145:146], v[30:31], -v[32:33]
	scratch_load_b128 v[30:33], off, off offset:416
	v_add_f64 v[39:40], v[39:40], v[133:134]
	v_add_f64 v[149:150], v[149:150], v[135:136]
	ds_load_b128 v[133:136], v1 offset:752
	s_waitcnt vmcnt(10) lgkmcnt(1)
	v_mul_f64 v[157:158], v[2:3], v[36:37]
	v_mul_f64 v[36:37], v[4:5], v[36:37]
	s_waitcnt vmcnt(8) lgkmcnt(0)
	v_mul_f64 v[151:152], v[133:134], v[143:144]
	v_add_f64 v[39:40], v[39:40], v[155:156]
	v_add_f64 v[149:150], v[149:150], v[153:154]
	v_mul_f64 v[153:154], v[135:136], v[143:144]
	v_fma_f64 v[155:156], v[4:5], v[34:35], v[157:158]
	v_fma_f64 v[157:158], v[2:3], v[34:35], -v[36:37]
	ds_load_b128 v[2:5], v1 offset:768
	scratch_load_b128 v[34:37], off, off offset:432
	v_fma_f64 v[135:136], v[135:136], v[141:142], v[151:152]
	v_add_f64 v[39:40], v[39:40], v[145:146]
	v_add_f64 v[147:148], v[149:150], v[147:148]
	ds_load_b128 v[143:146], v1 offset:784
	v_fma_f64 v[141:142], v[133:134], v[141:142], -v[153:154]
	s_waitcnt vmcnt(8) lgkmcnt(1)
	v_mul_f64 v[149:150], v[2:3], v[131:132]
	v_mul_f64 v[159:160], v[4:5], v[131:132]
	scratch_load_b128 v[131:134], off, off offset:448
	s_waitcnt vmcnt(8) lgkmcnt(0)
	v_mul_f64 v[151:152], v[143:144], v[8:9]
	v_mul_f64 v[8:9], v[145:146], v[8:9]
	v_add_f64 v[39:40], v[39:40], v[157:158]
	v_add_f64 v[147:148], v[147:148], v[155:156]
	v_fma_f64 v[153:154], v[4:5], v[129:130], v[149:150]
	v_fma_f64 v[129:130], v[2:3], v[129:130], -v[159:160]
	v_fma_f64 v[145:146], v[145:146], v[6:7], v[151:152]
	v_fma_f64 v[6:7], v[143:144], v[6:7], -v[8:9]
	v_add_f64 v[39:40], v[39:40], v[141:142]
	v_add_f64 v[135:136], v[147:148], v[135:136]
	ds_load_b128 v[2:5], v1 offset:800
	ds_load_b128 v[147:150], v1 offset:816
	s_waitcnt vmcnt(7) lgkmcnt(1)
	v_mul_f64 v[141:142], v[2:3], v[12:13]
	v_mul_f64 v[12:13], v[4:5], v[12:13]
	v_add_f64 v[8:9], v[39:40], v[129:130]
	v_add_f64 v[39:40], v[135:136], v[153:154]
	s_waitcnt vmcnt(6) lgkmcnt(0)
	v_mul_f64 v[129:130], v[147:148], v[16:17]
	v_mul_f64 v[16:17], v[149:150], v[16:17]
	v_fma_f64 v[135:136], v[4:5], v[10:11], v[141:142]
	v_fma_f64 v[10:11], v[2:3], v[10:11], -v[12:13]
	v_add_f64 v[12:13], v[8:9], v[6:7]
	v_add_f64 v[39:40], v[39:40], v[145:146]
	ds_load_b128 v[2:5], v1 offset:832
	ds_load_b128 v[6:9], v1 offset:848
	v_fma_f64 v[129:130], v[149:150], v[14:15], v[129:130]
	v_fma_f64 v[14:15], v[147:148], v[14:15], -v[16:17]
	s_waitcnt vmcnt(5) lgkmcnt(1)
	v_mul_f64 v[141:142], v[2:3], v[20:21]
	v_mul_f64 v[20:21], v[4:5], v[20:21]
	s_waitcnt vmcnt(4) lgkmcnt(0)
	v_mul_f64 v[16:17], v[6:7], v[24:25]
	v_mul_f64 v[24:25], v[8:9], v[24:25]
	v_add_f64 v[10:11], v[12:13], v[10:11]
	v_add_f64 v[12:13], v[39:40], v[135:136]
	v_fma_f64 v[39:40], v[4:5], v[18:19], v[141:142]
	v_fma_f64 v[18:19], v[2:3], v[18:19], -v[20:21]
	v_fma_f64 v[8:9], v[8:9], v[22:23], v[16:17]
	v_fma_f64 v[6:7], v[6:7], v[22:23], -v[24:25]
	v_add_f64 v[14:15], v[10:11], v[14:15]
	v_add_f64 v[20:21], v[12:13], v[129:130]
	ds_load_b128 v[2:5], v1 offset:864
	ds_load_b128 v[10:13], v1 offset:880
	s_waitcnt vmcnt(3) lgkmcnt(1)
	v_mul_f64 v[129:130], v[2:3], v[28:29]
	v_mul_f64 v[28:29], v[4:5], v[28:29]
	v_add_f64 v[14:15], v[14:15], v[18:19]
	v_add_f64 v[16:17], v[20:21], v[39:40]
	s_waitcnt vmcnt(2) lgkmcnt(0)
	v_mul_f64 v[18:19], v[10:11], v[32:33]
	v_mul_f64 v[20:21], v[12:13], v[32:33]
	v_fma_f64 v[22:23], v[4:5], v[26:27], v[129:130]
	v_fma_f64 v[24:25], v[2:3], v[26:27], -v[28:29]
	v_add_f64 v[14:15], v[14:15], v[6:7]
	v_add_f64 v[16:17], v[16:17], v[8:9]
	ds_load_b128 v[2:5], v1 offset:896
	ds_load_b128 v[6:9], v1 offset:912
	v_fma_f64 v[12:13], v[12:13], v[30:31], v[18:19]
	v_fma_f64 v[10:11], v[10:11], v[30:31], -v[20:21]
	s_waitcnt vmcnt(1) lgkmcnt(1)
	v_mul_f64 v[26:27], v[2:3], v[36:37]
	v_mul_f64 v[28:29], v[4:5], v[36:37]
	s_waitcnt vmcnt(0) lgkmcnt(0)
	v_mul_f64 v[18:19], v[6:7], v[133:134]
	v_add_f64 v[14:15], v[14:15], v[24:25]
	v_add_f64 v[16:17], v[16:17], v[22:23]
	v_mul_f64 v[20:21], v[8:9], v[133:134]
	v_fma_f64 v[4:5], v[4:5], v[34:35], v[26:27]
	v_fma_f64 v[1:2], v[2:3], v[34:35], -v[28:29]
	v_fma_f64 v[8:9], v[8:9], v[131:132], v[18:19]
	v_add_f64 v[10:11], v[14:15], v[10:11]
	v_add_f64 v[12:13], v[16:17], v[12:13]
	v_fma_f64 v[6:7], v[6:7], v[131:132], -v[20:21]
	s_delay_alu instid0(VALU_DEP_3) | instskip(NEXT) | instid1(VALU_DEP_3)
	v_add_f64 v[1:2], v[10:11], v[1:2]
	v_add_f64 v[3:4], v[12:13], v[4:5]
	s_delay_alu instid0(VALU_DEP_2) | instskip(NEXT) | instid1(VALU_DEP_2)
	v_add_f64 v[1:2], v[1:2], v[6:7]
	v_add_f64 v[3:4], v[3:4], v[8:9]
	s_delay_alu instid0(VALU_DEP_2) | instskip(NEXT) | instid1(VALU_DEP_2)
	v_add_f64 v[1:2], v[137:138], -v[1:2]
	v_add_f64 v[3:4], v[139:140], -v[3:4]
	scratch_store_b128 off, v[1:4], off offset:128
	v_cmpx_lt_u32_e32 7, v100
	s_cbranch_execz .LBB28_173
; %bb.172:
	scratch_load_b128 v[1:4], v115, off
	v_mov_b32_e32 v5, 0
	s_delay_alu instid0(VALU_DEP_1)
	v_mov_b32_e32 v6, v5
	v_mov_b32_e32 v7, v5
	;; [unrolled: 1-line block ×3, first 2 shown]
	scratch_store_b128 off, v[5:8], off offset:112
	s_waitcnt vmcnt(0)
	ds_store_b128 v38, v[1:4]
.LBB28_173:
	s_or_b32 exec_lo, exec_lo, s2
	s_waitcnt lgkmcnt(0)
	s_waitcnt_vscnt null, 0x0
	s_barrier
	buffer_gl0_inv
	s_clause 0x7
	scratch_load_b128 v[2:5], off, off offset:128
	scratch_load_b128 v[6:9], off, off offset:144
	;; [unrolled: 1-line block ×8, first 2 shown]
	v_mov_b32_e32 v1, 0
	s_mov_b32 s2, exec_lo
	ds_load_b128 v[34:37], v1 offset:592
	s_clause 0x1
	scratch_load_b128 v[129:132], off, off offset:256
	scratch_load_b128 v[133:136], off, off offset:112
	ds_load_b128 v[137:140], v1 offset:608
	scratch_load_b128 v[141:144], off, off offset:272
	ds_load_b128 v[145:148], v1 offset:640
	s_waitcnt vmcnt(10) lgkmcnt(2)
	v_mul_f64 v[39:40], v[36:37], v[4:5]
	v_mul_f64 v[4:5], v[34:35], v[4:5]
	s_delay_alu instid0(VALU_DEP_2) | instskip(NEXT) | instid1(VALU_DEP_2)
	v_fma_f64 v[39:40], v[34:35], v[2:3], -v[39:40]
	v_fma_f64 v[151:152], v[36:37], v[2:3], v[4:5]
	ds_load_b128 v[2:5], v1 offset:624
	s_waitcnt vmcnt(9) lgkmcnt(2)
	v_mul_f64 v[149:150], v[137:138], v[8:9]
	v_mul_f64 v[8:9], v[139:140], v[8:9]
	scratch_load_b128 v[34:37], off, off offset:288
	s_waitcnt vmcnt(9) lgkmcnt(0)
	v_mul_f64 v[153:154], v[2:3], v[12:13]
	v_mul_f64 v[12:13], v[4:5], v[12:13]
	v_add_f64 v[39:40], v[39:40], 0
	v_fma_f64 v[139:140], v[139:140], v[6:7], v[149:150]
	v_fma_f64 v[137:138], v[137:138], v[6:7], -v[8:9]
	v_add_f64 v[149:150], v[151:152], 0
	scratch_load_b128 v[6:9], off, off offset:304
	v_fma_f64 v[153:154], v[4:5], v[10:11], v[153:154]
	v_fma_f64 v[155:156], v[2:3], v[10:11], -v[12:13]
	scratch_load_b128 v[10:13], off, off offset:320
	ds_load_b128 v[2:5], v1 offset:656
	s_waitcnt vmcnt(10)
	v_mul_f64 v[151:152], v[145:146], v[16:17]
	v_mul_f64 v[16:17], v[147:148], v[16:17]
	v_add_f64 v[39:40], v[39:40], v[137:138]
	v_add_f64 v[149:150], v[149:150], v[139:140]
	ds_load_b128 v[137:140], v1 offset:672
	s_waitcnt vmcnt(9) lgkmcnt(1)
	v_mul_f64 v[157:158], v[2:3], v[20:21]
	v_mul_f64 v[20:21], v[4:5], v[20:21]
	v_fma_f64 v[147:148], v[147:148], v[14:15], v[151:152]
	v_fma_f64 v[145:146], v[145:146], v[14:15], -v[16:17]
	scratch_load_b128 v[14:17], off, off offset:336
	v_add_f64 v[39:40], v[39:40], v[155:156]
	v_add_f64 v[149:150], v[149:150], v[153:154]
	v_fma_f64 v[153:154], v[4:5], v[18:19], v[157:158]
	v_fma_f64 v[155:156], v[2:3], v[18:19], -v[20:21]
	scratch_load_b128 v[18:21], off, off offset:352
	ds_load_b128 v[2:5], v1 offset:688
	s_waitcnt vmcnt(10) lgkmcnt(1)
	v_mul_f64 v[151:152], v[137:138], v[24:25]
	v_mul_f64 v[24:25], v[139:140], v[24:25]
	s_waitcnt vmcnt(9) lgkmcnt(0)
	v_mul_f64 v[157:158], v[2:3], v[28:29]
	v_mul_f64 v[28:29], v[4:5], v[28:29]
	v_add_f64 v[39:40], v[39:40], v[145:146]
	v_add_f64 v[149:150], v[149:150], v[147:148]
	ds_load_b128 v[145:148], v1 offset:704
	v_fma_f64 v[139:140], v[139:140], v[22:23], v[151:152]
	v_fma_f64 v[137:138], v[137:138], v[22:23], -v[24:25]
	scratch_load_b128 v[22:25], off, off offset:368
	v_add_f64 v[39:40], v[39:40], v[155:156]
	v_add_f64 v[149:150], v[149:150], v[153:154]
	v_fma_f64 v[153:154], v[4:5], v[26:27], v[157:158]
	v_fma_f64 v[155:156], v[2:3], v[26:27], -v[28:29]
	scratch_load_b128 v[26:29], off, off offset:384
	ds_load_b128 v[2:5], v1 offset:720
	s_waitcnt vmcnt(10) lgkmcnt(1)
	v_mul_f64 v[151:152], v[145:146], v[32:33]
	v_mul_f64 v[32:33], v[147:148], v[32:33]
	s_waitcnt vmcnt(9) lgkmcnt(0)
	v_mul_f64 v[157:158], v[2:3], v[131:132]
	v_mul_f64 v[131:132], v[4:5], v[131:132]
	v_add_f64 v[39:40], v[39:40], v[137:138]
	v_add_f64 v[149:150], v[149:150], v[139:140]
	ds_load_b128 v[137:140], v1 offset:736
	v_fma_f64 v[147:148], v[147:148], v[30:31], v[151:152]
	v_fma_f64 v[145:146], v[145:146], v[30:31], -v[32:33]
	scratch_load_b128 v[30:33], off, off offset:400
	v_add_f64 v[39:40], v[39:40], v[155:156]
	v_add_f64 v[149:150], v[149:150], v[153:154]
	v_fma_f64 v[155:156], v[4:5], v[129:130], v[157:158]
	v_fma_f64 v[157:158], v[2:3], v[129:130], -v[131:132]
	scratch_load_b128 v[129:132], off, off offset:416
	ds_load_b128 v[2:5], v1 offset:752
	s_waitcnt vmcnt(9) lgkmcnt(1)
	v_mul_f64 v[151:152], v[137:138], v[143:144]
	v_mul_f64 v[153:154], v[139:140], v[143:144]
	v_add_f64 v[39:40], v[39:40], v[145:146]
	v_add_f64 v[147:148], v[149:150], v[147:148]
	ds_load_b128 v[143:146], v1 offset:768
	v_fma_f64 v[151:152], v[139:140], v[141:142], v[151:152]
	v_fma_f64 v[141:142], v[137:138], v[141:142], -v[153:154]
	scratch_load_b128 v[137:140], off, off offset:432
	s_waitcnt vmcnt(9) lgkmcnt(1)
	v_mul_f64 v[149:150], v[2:3], v[36:37]
	v_mul_f64 v[36:37], v[4:5], v[36:37]
	v_add_f64 v[39:40], v[39:40], v[157:158]
	v_add_f64 v[147:148], v[147:148], v[155:156]
	s_delay_alu instid0(VALU_DEP_4) | instskip(NEXT) | instid1(VALU_DEP_4)
	v_fma_f64 v[155:156], v[4:5], v[34:35], v[149:150]
	v_fma_f64 v[157:158], v[2:3], v[34:35], -v[36:37]
	scratch_load_b128 v[34:37], off, off offset:448
	ds_load_b128 v[2:5], v1 offset:784
	s_waitcnt vmcnt(9) lgkmcnt(1)
	v_mul_f64 v[153:154], v[143:144], v[8:9]
	v_mul_f64 v[8:9], v[145:146], v[8:9]
	v_add_f64 v[39:40], v[39:40], v[141:142]
	v_add_f64 v[141:142], v[147:148], v[151:152]
	s_waitcnt vmcnt(8) lgkmcnt(0)
	v_mul_f64 v[151:152], v[2:3], v[12:13]
	v_mul_f64 v[12:13], v[4:5], v[12:13]
	ds_load_b128 v[147:150], v1 offset:800
	v_fma_f64 v[145:146], v[145:146], v[6:7], v[153:154]
	v_fma_f64 v[6:7], v[143:144], v[6:7], -v[8:9]
	v_add_f64 v[8:9], v[39:40], v[157:158]
	v_add_f64 v[39:40], v[141:142], v[155:156]
	s_waitcnt vmcnt(7) lgkmcnt(0)
	v_mul_f64 v[141:142], v[147:148], v[16:17]
	v_mul_f64 v[16:17], v[149:150], v[16:17]
	v_fma_f64 v[143:144], v[4:5], v[10:11], v[151:152]
	v_fma_f64 v[10:11], v[2:3], v[10:11], -v[12:13]
	v_add_f64 v[12:13], v[8:9], v[6:7]
	v_add_f64 v[39:40], v[39:40], v[145:146]
	ds_load_b128 v[2:5], v1 offset:816
	ds_load_b128 v[6:9], v1 offset:832
	v_fma_f64 v[141:142], v[149:150], v[14:15], v[141:142]
	v_fma_f64 v[14:15], v[147:148], v[14:15], -v[16:17]
	s_waitcnt vmcnt(6) lgkmcnt(1)
	v_mul_f64 v[145:146], v[2:3], v[20:21]
	v_mul_f64 v[20:21], v[4:5], v[20:21]
	s_waitcnt vmcnt(5) lgkmcnt(0)
	v_mul_f64 v[16:17], v[6:7], v[24:25]
	v_mul_f64 v[24:25], v[8:9], v[24:25]
	v_add_f64 v[10:11], v[12:13], v[10:11]
	v_add_f64 v[12:13], v[39:40], v[143:144]
	v_fma_f64 v[39:40], v[4:5], v[18:19], v[145:146]
	v_fma_f64 v[18:19], v[2:3], v[18:19], -v[20:21]
	v_fma_f64 v[8:9], v[8:9], v[22:23], v[16:17]
	v_fma_f64 v[6:7], v[6:7], v[22:23], -v[24:25]
	v_add_f64 v[14:15], v[10:11], v[14:15]
	v_add_f64 v[20:21], v[12:13], v[141:142]
	ds_load_b128 v[2:5], v1 offset:848
	ds_load_b128 v[10:13], v1 offset:864
	s_waitcnt vmcnt(4) lgkmcnt(1)
	v_mul_f64 v[141:142], v[2:3], v[28:29]
	v_mul_f64 v[28:29], v[4:5], v[28:29]
	v_add_f64 v[14:15], v[14:15], v[18:19]
	v_add_f64 v[16:17], v[20:21], v[39:40]
	s_waitcnt vmcnt(3) lgkmcnt(0)
	v_mul_f64 v[18:19], v[10:11], v[32:33]
	v_mul_f64 v[20:21], v[12:13], v[32:33]
	v_fma_f64 v[22:23], v[4:5], v[26:27], v[141:142]
	v_fma_f64 v[24:25], v[2:3], v[26:27], -v[28:29]
	v_add_f64 v[14:15], v[14:15], v[6:7]
	v_add_f64 v[16:17], v[16:17], v[8:9]
	ds_load_b128 v[2:5], v1 offset:880
	ds_load_b128 v[6:9], v1 offset:896
	v_fma_f64 v[12:13], v[12:13], v[30:31], v[18:19]
	v_fma_f64 v[10:11], v[10:11], v[30:31], -v[20:21]
	s_waitcnt vmcnt(2) lgkmcnt(1)
	v_mul_f64 v[26:27], v[2:3], v[131:132]
	v_mul_f64 v[28:29], v[4:5], v[131:132]
	s_waitcnt vmcnt(1) lgkmcnt(0)
	v_mul_f64 v[18:19], v[6:7], v[139:140]
	v_mul_f64 v[20:21], v[8:9], v[139:140]
	v_add_f64 v[14:15], v[14:15], v[24:25]
	v_add_f64 v[16:17], v[16:17], v[22:23]
	v_fma_f64 v[22:23], v[4:5], v[129:130], v[26:27]
	v_fma_f64 v[24:25], v[2:3], v[129:130], -v[28:29]
	ds_load_b128 v[2:5], v1 offset:912
	v_fma_f64 v[8:9], v[8:9], v[137:138], v[18:19]
	v_fma_f64 v[6:7], v[6:7], v[137:138], -v[20:21]
	v_add_f64 v[10:11], v[14:15], v[10:11]
	v_add_f64 v[12:13], v[16:17], v[12:13]
	s_waitcnt vmcnt(0) lgkmcnt(0)
	v_mul_f64 v[14:15], v[2:3], v[36:37]
	v_mul_f64 v[16:17], v[4:5], v[36:37]
	s_delay_alu instid0(VALU_DEP_4) | instskip(NEXT) | instid1(VALU_DEP_4)
	v_add_f64 v[10:11], v[10:11], v[24:25]
	v_add_f64 v[12:13], v[12:13], v[22:23]
	s_delay_alu instid0(VALU_DEP_4) | instskip(NEXT) | instid1(VALU_DEP_4)
	v_fma_f64 v[4:5], v[4:5], v[34:35], v[14:15]
	v_fma_f64 v[2:3], v[2:3], v[34:35], -v[16:17]
	s_delay_alu instid0(VALU_DEP_4) | instskip(NEXT) | instid1(VALU_DEP_4)
	v_add_f64 v[6:7], v[10:11], v[6:7]
	v_add_f64 v[8:9], v[12:13], v[8:9]
	s_delay_alu instid0(VALU_DEP_2) | instskip(NEXT) | instid1(VALU_DEP_2)
	v_add_f64 v[2:3], v[6:7], v[2:3]
	v_add_f64 v[4:5], v[8:9], v[4:5]
	s_delay_alu instid0(VALU_DEP_2) | instskip(NEXT) | instid1(VALU_DEP_2)
	v_add_f64 v[2:3], v[133:134], -v[2:3]
	v_add_f64 v[4:5], v[135:136], -v[4:5]
	scratch_store_b128 off, v[2:5], off offset:112
	v_cmpx_lt_u32_e32 6, v100
	s_cbranch_execz .LBB28_175
; %bb.174:
	scratch_load_b128 v[5:8], v116, off
	v_mov_b32_e32 v2, v1
	v_mov_b32_e32 v3, v1
	;; [unrolled: 1-line block ×3, first 2 shown]
	scratch_store_b128 off, v[1:4], off offset:96
	s_waitcnt vmcnt(0)
	ds_store_b128 v38, v[5:8]
.LBB28_175:
	s_or_b32 exec_lo, exec_lo, s2
	s_waitcnt lgkmcnt(0)
	s_waitcnt_vscnt null, 0x0
	s_barrier
	buffer_gl0_inv
	s_clause 0x8
	scratch_load_b128 v[2:5], off, off offset:112
	scratch_load_b128 v[6:9], off, off offset:128
	;; [unrolled: 1-line block ×9, first 2 shown]
	ds_load_b128 v[129:132], v1 offset:576
	ds_load_b128 v[133:136], v1 offset:592
	s_clause 0x1
	scratch_load_b128 v[137:140], off, off offset:96
	scratch_load_b128 v[141:144], off, off offset:256
	s_mov_b32 s2, exec_lo
	ds_load_b128 v[145:148], v1 offset:624
	s_waitcnt vmcnt(10) lgkmcnt(2)
	v_mul_f64 v[39:40], v[131:132], v[4:5]
	v_mul_f64 v[4:5], v[129:130], v[4:5]
	s_waitcnt vmcnt(9) lgkmcnt(1)
	v_mul_f64 v[149:150], v[133:134], v[8:9]
	v_mul_f64 v[8:9], v[135:136], v[8:9]
	s_delay_alu instid0(VALU_DEP_4) | instskip(NEXT) | instid1(VALU_DEP_4)
	v_fma_f64 v[39:40], v[129:130], v[2:3], -v[39:40]
	v_fma_f64 v[151:152], v[131:132], v[2:3], v[4:5]
	ds_load_b128 v[2:5], v1 offset:608
	scratch_load_b128 v[129:132], off, off offset:272
	v_fma_f64 v[135:136], v[135:136], v[6:7], v[149:150]
	v_fma_f64 v[133:134], v[133:134], v[6:7], -v[8:9]
	scratch_load_b128 v[6:9], off, off offset:288
	s_waitcnt vmcnt(10) lgkmcnt(0)
	v_mul_f64 v[153:154], v[2:3], v[12:13]
	v_mul_f64 v[12:13], v[4:5], v[12:13]
	v_add_f64 v[39:40], v[39:40], 0
	v_add_f64 v[149:150], v[151:152], 0
	s_waitcnt vmcnt(9)
	v_mul_f64 v[151:152], v[145:146], v[16:17]
	v_mul_f64 v[16:17], v[147:148], v[16:17]
	v_fma_f64 v[153:154], v[4:5], v[10:11], v[153:154]
	v_fma_f64 v[155:156], v[2:3], v[10:11], -v[12:13]
	ds_load_b128 v[2:5], v1 offset:640
	scratch_load_b128 v[10:13], off, off offset:304
	v_add_f64 v[39:40], v[39:40], v[133:134]
	v_add_f64 v[149:150], v[149:150], v[135:136]
	ds_load_b128 v[133:136], v1 offset:656
	v_fma_f64 v[147:148], v[147:148], v[14:15], v[151:152]
	v_fma_f64 v[145:146], v[145:146], v[14:15], -v[16:17]
	scratch_load_b128 v[14:17], off, off offset:320
	s_waitcnt vmcnt(10) lgkmcnt(1)
	v_mul_f64 v[157:158], v[2:3], v[20:21]
	v_mul_f64 v[20:21], v[4:5], v[20:21]
	s_waitcnt vmcnt(9) lgkmcnt(0)
	v_mul_f64 v[151:152], v[133:134], v[24:25]
	v_mul_f64 v[24:25], v[135:136], v[24:25]
	v_add_f64 v[39:40], v[39:40], v[155:156]
	v_add_f64 v[149:150], v[149:150], v[153:154]
	v_fma_f64 v[153:154], v[4:5], v[18:19], v[157:158]
	v_fma_f64 v[155:156], v[2:3], v[18:19], -v[20:21]
	ds_load_b128 v[2:5], v1 offset:672
	scratch_load_b128 v[18:21], off, off offset:336
	v_fma_f64 v[135:136], v[135:136], v[22:23], v[151:152]
	v_fma_f64 v[133:134], v[133:134], v[22:23], -v[24:25]
	scratch_load_b128 v[22:25], off, off offset:352
	v_add_f64 v[39:40], v[39:40], v[145:146]
	v_add_f64 v[149:150], v[149:150], v[147:148]
	ds_load_b128 v[145:148], v1 offset:688
	s_waitcnt vmcnt(10) lgkmcnt(1)
	v_mul_f64 v[157:158], v[2:3], v[28:29]
	v_mul_f64 v[28:29], v[4:5], v[28:29]
	s_waitcnt vmcnt(9) lgkmcnt(0)
	v_mul_f64 v[151:152], v[145:146], v[32:33]
	v_mul_f64 v[32:33], v[147:148], v[32:33]
	v_add_f64 v[39:40], v[39:40], v[155:156]
	v_add_f64 v[149:150], v[149:150], v[153:154]
	v_fma_f64 v[153:154], v[4:5], v[26:27], v[157:158]
	v_fma_f64 v[155:156], v[2:3], v[26:27], -v[28:29]
	ds_load_b128 v[2:5], v1 offset:704
	scratch_load_b128 v[26:29], off, off offset:368
	v_fma_f64 v[147:148], v[147:148], v[30:31], v[151:152]
	v_fma_f64 v[145:146], v[145:146], v[30:31], -v[32:33]
	scratch_load_b128 v[30:33], off, off offset:384
	v_add_f64 v[39:40], v[39:40], v[133:134]
	v_add_f64 v[149:150], v[149:150], v[135:136]
	ds_load_b128 v[133:136], v1 offset:720
	s_waitcnt vmcnt(10) lgkmcnt(1)
	v_mul_f64 v[157:158], v[2:3], v[36:37]
	v_mul_f64 v[36:37], v[4:5], v[36:37]
	s_waitcnt vmcnt(8) lgkmcnt(0)
	v_mul_f64 v[151:152], v[133:134], v[143:144]
	v_add_f64 v[39:40], v[39:40], v[155:156]
	v_add_f64 v[149:150], v[149:150], v[153:154]
	v_mul_f64 v[153:154], v[135:136], v[143:144]
	v_fma_f64 v[155:156], v[4:5], v[34:35], v[157:158]
	v_fma_f64 v[157:158], v[2:3], v[34:35], -v[36:37]
	ds_load_b128 v[2:5], v1 offset:736
	scratch_load_b128 v[34:37], off, off offset:400
	v_fma_f64 v[135:136], v[135:136], v[141:142], v[151:152]
	v_add_f64 v[39:40], v[39:40], v[145:146]
	v_add_f64 v[147:148], v[149:150], v[147:148]
	ds_load_b128 v[143:146], v1 offset:752
	v_fma_f64 v[141:142], v[133:134], v[141:142], -v[153:154]
	ds_load_b128 v[151:154], v1 offset:784
	s_waitcnt vmcnt(8) lgkmcnt(2)
	v_mul_f64 v[149:150], v[2:3], v[131:132]
	v_mul_f64 v[159:160], v[4:5], v[131:132]
	scratch_load_b128 v[131:134], off, off offset:416
	v_add_f64 v[39:40], v[39:40], v[157:158]
	v_add_f64 v[147:148], v[147:148], v[155:156]
	s_waitcnt vmcnt(8) lgkmcnt(1)
	v_mul_f64 v[155:156], v[143:144], v[8:9]
	v_mul_f64 v[8:9], v[145:146], v[8:9]
	v_fma_f64 v[157:158], v[4:5], v[129:130], v[149:150]
	v_fma_f64 v[129:130], v[2:3], v[129:130], -v[159:160]
	ds_load_b128 v[2:5], v1 offset:768
	v_add_f64 v[39:40], v[39:40], v[141:142]
	v_add_f64 v[135:136], v[147:148], v[135:136]
	scratch_load_b128 v[147:150], off, off offset:432
	s_waitcnt vmcnt(8) lgkmcnt(0)
	v_mul_f64 v[141:142], v[2:3], v[12:13]
	v_mul_f64 v[12:13], v[4:5], v[12:13]
	v_fma_f64 v[145:146], v[145:146], v[6:7], v[155:156]
	v_fma_f64 v[143:144], v[143:144], v[6:7], -v[8:9]
	scratch_load_b128 v[6:9], off, off offset:448
	v_add_f64 v[39:40], v[39:40], v[129:130]
	v_add_f64 v[129:130], v[135:136], v[157:158]
	s_waitcnt vmcnt(8)
	v_mul_f64 v[135:136], v[151:152], v[16:17]
	v_mul_f64 v[16:17], v[153:154], v[16:17]
	v_fma_f64 v[141:142], v[4:5], v[10:11], v[141:142]
	v_fma_f64 v[155:156], v[2:3], v[10:11], -v[12:13]
	ds_load_b128 v[2:5], v1 offset:800
	ds_load_b128 v[10:13], v1 offset:816
	v_add_f64 v[39:40], v[39:40], v[143:144]
	v_add_f64 v[129:130], v[129:130], v[145:146]
	s_waitcnt vmcnt(7) lgkmcnt(1)
	v_mul_f64 v[143:144], v[2:3], v[20:21]
	v_mul_f64 v[20:21], v[4:5], v[20:21]
	v_fma_f64 v[135:136], v[153:154], v[14:15], v[135:136]
	v_fma_f64 v[14:15], v[151:152], v[14:15], -v[16:17]
	v_add_f64 v[16:17], v[39:40], v[155:156]
	v_add_f64 v[39:40], v[129:130], v[141:142]
	s_waitcnt vmcnt(6) lgkmcnt(0)
	v_mul_f64 v[129:130], v[10:11], v[24:25]
	v_mul_f64 v[24:25], v[12:13], v[24:25]
	v_fma_f64 v[141:142], v[4:5], v[18:19], v[143:144]
	v_fma_f64 v[18:19], v[2:3], v[18:19], -v[20:21]
	v_add_f64 v[20:21], v[16:17], v[14:15]
	v_add_f64 v[39:40], v[39:40], v[135:136]
	ds_load_b128 v[2:5], v1 offset:832
	ds_load_b128 v[14:17], v1 offset:848
	v_fma_f64 v[12:13], v[12:13], v[22:23], v[129:130]
	v_fma_f64 v[10:11], v[10:11], v[22:23], -v[24:25]
	s_waitcnt vmcnt(5) lgkmcnt(1)
	v_mul_f64 v[135:136], v[2:3], v[28:29]
	v_mul_f64 v[28:29], v[4:5], v[28:29]
	s_waitcnt vmcnt(4) lgkmcnt(0)
	v_mul_f64 v[22:23], v[14:15], v[32:33]
	v_mul_f64 v[24:25], v[16:17], v[32:33]
	v_add_f64 v[18:19], v[20:21], v[18:19]
	v_add_f64 v[20:21], v[39:40], v[141:142]
	v_fma_f64 v[32:33], v[4:5], v[26:27], v[135:136]
	v_fma_f64 v[26:27], v[2:3], v[26:27], -v[28:29]
	v_fma_f64 v[16:17], v[16:17], v[30:31], v[22:23]
	v_fma_f64 v[14:15], v[14:15], v[30:31], -v[24:25]
	v_add_f64 v[18:19], v[18:19], v[10:11]
	v_add_f64 v[20:21], v[20:21], v[12:13]
	ds_load_b128 v[2:5], v1 offset:864
	ds_load_b128 v[10:13], v1 offset:880
	s_waitcnt vmcnt(3) lgkmcnt(1)
	v_mul_f64 v[28:29], v[2:3], v[36:37]
	v_mul_f64 v[36:37], v[4:5], v[36:37]
	s_waitcnt vmcnt(2) lgkmcnt(0)
	v_mul_f64 v[22:23], v[10:11], v[133:134]
	v_add_f64 v[18:19], v[18:19], v[26:27]
	v_add_f64 v[20:21], v[20:21], v[32:33]
	v_mul_f64 v[24:25], v[12:13], v[133:134]
	v_fma_f64 v[26:27], v[4:5], v[34:35], v[28:29]
	v_fma_f64 v[28:29], v[2:3], v[34:35], -v[36:37]
	v_fma_f64 v[12:13], v[12:13], v[131:132], v[22:23]
	v_add_f64 v[18:19], v[18:19], v[14:15]
	v_add_f64 v[20:21], v[20:21], v[16:17]
	ds_load_b128 v[2:5], v1 offset:896
	ds_load_b128 v[14:17], v1 offset:912
	v_fma_f64 v[10:11], v[10:11], v[131:132], -v[24:25]
	s_waitcnt vmcnt(1) lgkmcnt(1)
	v_mul_f64 v[30:31], v[2:3], v[149:150]
	v_mul_f64 v[32:33], v[4:5], v[149:150]
	s_waitcnt vmcnt(0) lgkmcnt(0)
	v_mul_f64 v[22:23], v[14:15], v[8:9]
	v_mul_f64 v[8:9], v[16:17], v[8:9]
	v_add_f64 v[18:19], v[18:19], v[28:29]
	v_add_f64 v[20:21], v[20:21], v[26:27]
	v_fma_f64 v[4:5], v[4:5], v[147:148], v[30:31]
	v_fma_f64 v[1:2], v[2:3], v[147:148], -v[32:33]
	v_fma_f64 v[16:17], v[16:17], v[6:7], v[22:23]
	v_fma_f64 v[6:7], v[14:15], v[6:7], -v[8:9]
	v_add_f64 v[10:11], v[18:19], v[10:11]
	v_add_f64 v[12:13], v[20:21], v[12:13]
	s_delay_alu instid0(VALU_DEP_2) | instskip(NEXT) | instid1(VALU_DEP_2)
	v_add_f64 v[1:2], v[10:11], v[1:2]
	v_add_f64 v[3:4], v[12:13], v[4:5]
	s_delay_alu instid0(VALU_DEP_2) | instskip(NEXT) | instid1(VALU_DEP_2)
	;; [unrolled: 3-line block ×3, first 2 shown]
	v_add_f64 v[1:2], v[137:138], -v[1:2]
	v_add_f64 v[3:4], v[139:140], -v[3:4]
	scratch_store_b128 off, v[1:4], off offset:96
	v_cmpx_lt_u32_e32 5, v100
	s_cbranch_execz .LBB28_177
; %bb.176:
	scratch_load_b128 v[1:4], v117, off
	v_mov_b32_e32 v5, 0
	s_delay_alu instid0(VALU_DEP_1)
	v_mov_b32_e32 v6, v5
	v_mov_b32_e32 v7, v5
	;; [unrolled: 1-line block ×3, first 2 shown]
	scratch_store_b128 off, v[5:8], off offset:80
	s_waitcnt vmcnt(0)
	ds_store_b128 v38, v[1:4]
.LBB28_177:
	s_or_b32 exec_lo, exec_lo, s2
	s_waitcnt lgkmcnt(0)
	s_waitcnt_vscnt null, 0x0
	s_barrier
	buffer_gl0_inv
	s_clause 0x7
	scratch_load_b128 v[2:5], off, off offset:96
	scratch_load_b128 v[6:9], off, off offset:112
	;; [unrolled: 1-line block ×8, first 2 shown]
	v_mov_b32_e32 v1, 0
	s_mov_b32 s2, exec_lo
	ds_load_b128 v[34:37], v1 offset:560
	s_clause 0x1
	scratch_load_b128 v[129:132], off, off offset:224
	scratch_load_b128 v[133:136], off, off offset:80
	ds_load_b128 v[137:140], v1 offset:576
	scratch_load_b128 v[141:144], off, off offset:240
	ds_load_b128 v[145:148], v1 offset:608
	s_waitcnt vmcnt(10) lgkmcnt(2)
	v_mul_f64 v[39:40], v[36:37], v[4:5]
	v_mul_f64 v[4:5], v[34:35], v[4:5]
	s_delay_alu instid0(VALU_DEP_2) | instskip(NEXT) | instid1(VALU_DEP_2)
	v_fma_f64 v[39:40], v[34:35], v[2:3], -v[39:40]
	v_fma_f64 v[151:152], v[36:37], v[2:3], v[4:5]
	ds_load_b128 v[2:5], v1 offset:592
	s_waitcnt vmcnt(9) lgkmcnt(2)
	v_mul_f64 v[149:150], v[137:138], v[8:9]
	v_mul_f64 v[8:9], v[139:140], v[8:9]
	scratch_load_b128 v[34:37], off, off offset:256
	s_waitcnt vmcnt(9) lgkmcnt(0)
	v_mul_f64 v[153:154], v[2:3], v[12:13]
	v_mul_f64 v[12:13], v[4:5], v[12:13]
	v_add_f64 v[39:40], v[39:40], 0
	v_fma_f64 v[139:140], v[139:140], v[6:7], v[149:150]
	v_fma_f64 v[137:138], v[137:138], v[6:7], -v[8:9]
	v_add_f64 v[149:150], v[151:152], 0
	scratch_load_b128 v[6:9], off, off offset:272
	v_fma_f64 v[153:154], v[4:5], v[10:11], v[153:154]
	v_fma_f64 v[155:156], v[2:3], v[10:11], -v[12:13]
	scratch_load_b128 v[10:13], off, off offset:288
	ds_load_b128 v[2:5], v1 offset:624
	s_waitcnt vmcnt(10)
	v_mul_f64 v[151:152], v[145:146], v[16:17]
	v_mul_f64 v[16:17], v[147:148], v[16:17]
	v_add_f64 v[39:40], v[39:40], v[137:138]
	v_add_f64 v[149:150], v[149:150], v[139:140]
	ds_load_b128 v[137:140], v1 offset:640
	s_waitcnt vmcnt(9) lgkmcnt(1)
	v_mul_f64 v[157:158], v[2:3], v[20:21]
	v_mul_f64 v[20:21], v[4:5], v[20:21]
	v_fma_f64 v[147:148], v[147:148], v[14:15], v[151:152]
	v_fma_f64 v[145:146], v[145:146], v[14:15], -v[16:17]
	scratch_load_b128 v[14:17], off, off offset:304
	v_add_f64 v[39:40], v[39:40], v[155:156]
	v_add_f64 v[149:150], v[149:150], v[153:154]
	v_fma_f64 v[153:154], v[4:5], v[18:19], v[157:158]
	v_fma_f64 v[155:156], v[2:3], v[18:19], -v[20:21]
	scratch_load_b128 v[18:21], off, off offset:320
	ds_load_b128 v[2:5], v1 offset:656
	s_waitcnt vmcnt(10) lgkmcnt(1)
	v_mul_f64 v[151:152], v[137:138], v[24:25]
	v_mul_f64 v[24:25], v[139:140], v[24:25]
	s_waitcnt vmcnt(9) lgkmcnt(0)
	v_mul_f64 v[157:158], v[2:3], v[28:29]
	v_mul_f64 v[28:29], v[4:5], v[28:29]
	v_add_f64 v[39:40], v[39:40], v[145:146]
	v_add_f64 v[149:150], v[149:150], v[147:148]
	ds_load_b128 v[145:148], v1 offset:672
	v_fma_f64 v[139:140], v[139:140], v[22:23], v[151:152]
	v_fma_f64 v[137:138], v[137:138], v[22:23], -v[24:25]
	scratch_load_b128 v[22:25], off, off offset:336
	v_add_f64 v[39:40], v[39:40], v[155:156]
	v_add_f64 v[149:150], v[149:150], v[153:154]
	v_fma_f64 v[153:154], v[4:5], v[26:27], v[157:158]
	v_fma_f64 v[155:156], v[2:3], v[26:27], -v[28:29]
	scratch_load_b128 v[26:29], off, off offset:352
	ds_load_b128 v[2:5], v1 offset:688
	s_waitcnt vmcnt(10) lgkmcnt(1)
	v_mul_f64 v[151:152], v[145:146], v[32:33]
	v_mul_f64 v[32:33], v[147:148], v[32:33]
	s_waitcnt vmcnt(9) lgkmcnt(0)
	v_mul_f64 v[157:158], v[2:3], v[131:132]
	v_mul_f64 v[131:132], v[4:5], v[131:132]
	v_add_f64 v[39:40], v[39:40], v[137:138]
	v_add_f64 v[149:150], v[149:150], v[139:140]
	ds_load_b128 v[137:140], v1 offset:704
	v_fma_f64 v[147:148], v[147:148], v[30:31], v[151:152]
	v_fma_f64 v[145:146], v[145:146], v[30:31], -v[32:33]
	scratch_load_b128 v[30:33], off, off offset:368
	v_add_f64 v[39:40], v[39:40], v[155:156]
	v_add_f64 v[149:150], v[149:150], v[153:154]
	v_fma_f64 v[155:156], v[4:5], v[129:130], v[157:158]
	v_fma_f64 v[157:158], v[2:3], v[129:130], -v[131:132]
	scratch_load_b128 v[129:132], off, off offset:384
	ds_load_b128 v[2:5], v1 offset:720
	s_waitcnt vmcnt(9) lgkmcnt(1)
	v_mul_f64 v[151:152], v[137:138], v[143:144]
	v_mul_f64 v[153:154], v[139:140], v[143:144]
	v_add_f64 v[39:40], v[39:40], v[145:146]
	v_add_f64 v[147:148], v[149:150], v[147:148]
	ds_load_b128 v[143:146], v1 offset:736
	v_fma_f64 v[151:152], v[139:140], v[141:142], v[151:152]
	v_fma_f64 v[141:142], v[137:138], v[141:142], -v[153:154]
	scratch_load_b128 v[137:140], off, off offset:400
	s_waitcnt vmcnt(9) lgkmcnt(1)
	v_mul_f64 v[149:150], v[2:3], v[36:37]
	v_mul_f64 v[36:37], v[4:5], v[36:37]
	v_add_f64 v[39:40], v[39:40], v[157:158]
	v_add_f64 v[147:148], v[147:148], v[155:156]
	s_delay_alu instid0(VALU_DEP_4) | instskip(NEXT) | instid1(VALU_DEP_4)
	v_fma_f64 v[155:156], v[4:5], v[34:35], v[149:150]
	v_fma_f64 v[157:158], v[2:3], v[34:35], -v[36:37]
	scratch_load_b128 v[34:37], off, off offset:416
	ds_load_b128 v[2:5], v1 offset:752
	s_waitcnt vmcnt(9) lgkmcnt(1)
	v_mul_f64 v[153:154], v[143:144], v[8:9]
	v_mul_f64 v[8:9], v[145:146], v[8:9]
	v_add_f64 v[39:40], v[39:40], v[141:142]
	v_add_f64 v[141:142], v[147:148], v[151:152]
	s_waitcnt vmcnt(8) lgkmcnt(0)
	v_mul_f64 v[151:152], v[2:3], v[12:13]
	v_mul_f64 v[12:13], v[4:5], v[12:13]
	ds_load_b128 v[147:150], v1 offset:768
	v_fma_f64 v[145:146], v[145:146], v[6:7], v[153:154]
	v_fma_f64 v[143:144], v[143:144], v[6:7], -v[8:9]
	scratch_load_b128 v[6:9], off, off offset:432
	v_add_f64 v[39:40], v[39:40], v[157:158]
	v_add_f64 v[141:142], v[141:142], v[155:156]
	v_fma_f64 v[151:152], v[4:5], v[10:11], v[151:152]
	v_fma_f64 v[155:156], v[2:3], v[10:11], -v[12:13]
	scratch_load_b128 v[10:13], off, off offset:448
	ds_load_b128 v[2:5], v1 offset:784
	s_waitcnt vmcnt(9) lgkmcnt(1)
	v_mul_f64 v[153:154], v[147:148], v[16:17]
	v_mul_f64 v[16:17], v[149:150], v[16:17]
	s_waitcnt vmcnt(8) lgkmcnt(0)
	v_mul_f64 v[157:158], v[2:3], v[20:21]
	v_mul_f64 v[20:21], v[4:5], v[20:21]
	v_add_f64 v[39:40], v[39:40], v[143:144]
	v_add_f64 v[145:146], v[141:142], v[145:146]
	ds_load_b128 v[141:144], v1 offset:800
	v_fma_f64 v[149:150], v[149:150], v[14:15], v[153:154]
	v_fma_f64 v[14:15], v[147:148], v[14:15], -v[16:17]
	v_fma_f64 v[147:148], v[4:5], v[18:19], v[157:158]
	v_fma_f64 v[18:19], v[2:3], v[18:19], -v[20:21]
	v_add_f64 v[16:17], v[39:40], v[155:156]
	v_add_f64 v[39:40], v[145:146], v[151:152]
	s_waitcnt vmcnt(7) lgkmcnt(0)
	v_mul_f64 v[145:146], v[141:142], v[24:25]
	v_mul_f64 v[24:25], v[143:144], v[24:25]
	s_delay_alu instid0(VALU_DEP_4) | instskip(NEXT) | instid1(VALU_DEP_4)
	v_add_f64 v[20:21], v[16:17], v[14:15]
	v_add_f64 v[39:40], v[39:40], v[149:150]
	ds_load_b128 v[2:5], v1 offset:816
	ds_load_b128 v[14:17], v1 offset:832
	v_fma_f64 v[143:144], v[143:144], v[22:23], v[145:146]
	v_fma_f64 v[22:23], v[141:142], v[22:23], -v[24:25]
	s_waitcnt vmcnt(6) lgkmcnt(1)
	v_mul_f64 v[149:150], v[2:3], v[28:29]
	v_mul_f64 v[28:29], v[4:5], v[28:29]
	s_waitcnt vmcnt(5) lgkmcnt(0)
	v_mul_f64 v[24:25], v[14:15], v[32:33]
	v_mul_f64 v[32:33], v[16:17], v[32:33]
	v_add_f64 v[18:19], v[20:21], v[18:19]
	v_add_f64 v[20:21], v[39:40], v[147:148]
	v_fma_f64 v[39:40], v[4:5], v[26:27], v[149:150]
	v_fma_f64 v[26:27], v[2:3], v[26:27], -v[28:29]
	v_fma_f64 v[16:17], v[16:17], v[30:31], v[24:25]
	v_fma_f64 v[14:15], v[14:15], v[30:31], -v[32:33]
	v_add_f64 v[22:23], v[18:19], v[22:23]
	v_add_f64 v[28:29], v[20:21], v[143:144]
	ds_load_b128 v[2:5], v1 offset:848
	ds_load_b128 v[18:21], v1 offset:864
	s_waitcnt vmcnt(4) lgkmcnt(1)
	v_mul_f64 v[141:142], v[2:3], v[131:132]
	v_mul_f64 v[131:132], v[4:5], v[131:132]
	v_add_f64 v[22:23], v[22:23], v[26:27]
	v_add_f64 v[24:25], v[28:29], v[39:40]
	s_waitcnt vmcnt(3) lgkmcnt(0)
	v_mul_f64 v[26:27], v[18:19], v[139:140]
	v_mul_f64 v[28:29], v[20:21], v[139:140]
	v_fma_f64 v[30:31], v[4:5], v[129:130], v[141:142]
	v_fma_f64 v[32:33], v[2:3], v[129:130], -v[131:132]
	v_add_f64 v[22:23], v[22:23], v[14:15]
	v_add_f64 v[24:25], v[24:25], v[16:17]
	ds_load_b128 v[2:5], v1 offset:880
	ds_load_b128 v[14:17], v1 offset:896
	v_fma_f64 v[20:21], v[20:21], v[137:138], v[26:27]
	v_fma_f64 v[18:19], v[18:19], v[137:138], -v[28:29]
	s_waitcnt vmcnt(2) lgkmcnt(1)
	v_mul_f64 v[39:40], v[2:3], v[36:37]
	v_mul_f64 v[36:37], v[4:5], v[36:37]
	v_add_f64 v[22:23], v[22:23], v[32:33]
	v_add_f64 v[24:25], v[24:25], v[30:31]
	s_waitcnt vmcnt(1) lgkmcnt(0)
	v_mul_f64 v[26:27], v[14:15], v[8:9]
	v_mul_f64 v[8:9], v[16:17], v[8:9]
	v_fma_f64 v[28:29], v[4:5], v[34:35], v[39:40]
	v_fma_f64 v[30:31], v[2:3], v[34:35], -v[36:37]
	ds_load_b128 v[2:5], v1 offset:912
	v_add_f64 v[18:19], v[22:23], v[18:19]
	v_add_f64 v[20:21], v[24:25], v[20:21]
	v_fma_f64 v[16:17], v[16:17], v[6:7], v[26:27]
	v_fma_f64 v[6:7], v[14:15], v[6:7], -v[8:9]
	s_waitcnt vmcnt(0) lgkmcnt(0)
	v_mul_f64 v[22:23], v[2:3], v[12:13]
	v_mul_f64 v[12:13], v[4:5], v[12:13]
	v_add_f64 v[8:9], v[18:19], v[30:31]
	v_add_f64 v[14:15], v[20:21], v[28:29]
	s_delay_alu instid0(VALU_DEP_4) | instskip(NEXT) | instid1(VALU_DEP_4)
	v_fma_f64 v[4:5], v[4:5], v[10:11], v[22:23]
	v_fma_f64 v[2:3], v[2:3], v[10:11], -v[12:13]
	s_delay_alu instid0(VALU_DEP_4) | instskip(NEXT) | instid1(VALU_DEP_4)
	v_add_f64 v[6:7], v[8:9], v[6:7]
	v_add_f64 v[8:9], v[14:15], v[16:17]
	s_delay_alu instid0(VALU_DEP_2) | instskip(NEXT) | instid1(VALU_DEP_2)
	v_add_f64 v[2:3], v[6:7], v[2:3]
	v_add_f64 v[4:5], v[8:9], v[4:5]
	s_delay_alu instid0(VALU_DEP_2) | instskip(NEXT) | instid1(VALU_DEP_2)
	v_add_f64 v[2:3], v[133:134], -v[2:3]
	v_add_f64 v[4:5], v[135:136], -v[4:5]
	scratch_store_b128 off, v[2:5], off offset:80
	v_cmpx_lt_u32_e32 4, v100
	s_cbranch_execz .LBB28_179
; %bb.178:
	scratch_load_b128 v[5:8], v101, off
	v_mov_b32_e32 v2, v1
	v_mov_b32_e32 v3, v1
	;; [unrolled: 1-line block ×3, first 2 shown]
	scratch_store_b128 off, v[1:4], off offset:64
	s_waitcnt vmcnt(0)
	ds_store_b128 v38, v[5:8]
.LBB28_179:
	s_or_b32 exec_lo, exec_lo, s2
	s_waitcnt lgkmcnt(0)
	s_waitcnt_vscnt null, 0x0
	s_barrier
	buffer_gl0_inv
	s_clause 0x8
	scratch_load_b128 v[2:5], off, off offset:80
	scratch_load_b128 v[6:9], off, off offset:96
	;; [unrolled: 1-line block ×9, first 2 shown]
	ds_load_b128 v[129:132], v1 offset:544
	ds_load_b128 v[133:136], v1 offset:560
	s_clause 0x1
	scratch_load_b128 v[137:140], off, off offset:64
	scratch_load_b128 v[141:144], off, off offset:224
	s_mov_b32 s2, exec_lo
	ds_load_b128 v[145:148], v1 offset:592
	s_waitcnt vmcnt(10) lgkmcnt(2)
	v_mul_f64 v[39:40], v[131:132], v[4:5]
	v_mul_f64 v[4:5], v[129:130], v[4:5]
	s_waitcnt vmcnt(9) lgkmcnt(1)
	v_mul_f64 v[149:150], v[133:134], v[8:9]
	v_mul_f64 v[8:9], v[135:136], v[8:9]
	s_delay_alu instid0(VALU_DEP_4) | instskip(NEXT) | instid1(VALU_DEP_4)
	v_fma_f64 v[39:40], v[129:130], v[2:3], -v[39:40]
	v_fma_f64 v[151:152], v[131:132], v[2:3], v[4:5]
	ds_load_b128 v[2:5], v1 offset:576
	scratch_load_b128 v[129:132], off, off offset:240
	v_fma_f64 v[135:136], v[135:136], v[6:7], v[149:150]
	v_fma_f64 v[133:134], v[133:134], v[6:7], -v[8:9]
	scratch_load_b128 v[6:9], off, off offset:256
	s_waitcnt vmcnt(10) lgkmcnt(0)
	v_mul_f64 v[153:154], v[2:3], v[12:13]
	v_mul_f64 v[12:13], v[4:5], v[12:13]
	v_add_f64 v[39:40], v[39:40], 0
	v_add_f64 v[149:150], v[151:152], 0
	s_waitcnt vmcnt(9)
	v_mul_f64 v[151:152], v[145:146], v[16:17]
	v_mul_f64 v[16:17], v[147:148], v[16:17]
	v_fma_f64 v[153:154], v[4:5], v[10:11], v[153:154]
	v_fma_f64 v[155:156], v[2:3], v[10:11], -v[12:13]
	ds_load_b128 v[2:5], v1 offset:608
	scratch_load_b128 v[10:13], off, off offset:272
	v_add_f64 v[39:40], v[39:40], v[133:134]
	v_add_f64 v[149:150], v[149:150], v[135:136]
	ds_load_b128 v[133:136], v1 offset:624
	v_fma_f64 v[147:148], v[147:148], v[14:15], v[151:152]
	v_fma_f64 v[145:146], v[145:146], v[14:15], -v[16:17]
	scratch_load_b128 v[14:17], off, off offset:288
	s_waitcnt vmcnt(10) lgkmcnt(1)
	v_mul_f64 v[157:158], v[2:3], v[20:21]
	v_mul_f64 v[20:21], v[4:5], v[20:21]
	s_waitcnt vmcnt(9) lgkmcnt(0)
	v_mul_f64 v[151:152], v[133:134], v[24:25]
	v_mul_f64 v[24:25], v[135:136], v[24:25]
	v_add_f64 v[39:40], v[39:40], v[155:156]
	v_add_f64 v[149:150], v[149:150], v[153:154]
	v_fma_f64 v[153:154], v[4:5], v[18:19], v[157:158]
	v_fma_f64 v[155:156], v[2:3], v[18:19], -v[20:21]
	ds_load_b128 v[2:5], v1 offset:640
	scratch_load_b128 v[18:21], off, off offset:304
	v_fma_f64 v[135:136], v[135:136], v[22:23], v[151:152]
	v_fma_f64 v[133:134], v[133:134], v[22:23], -v[24:25]
	scratch_load_b128 v[22:25], off, off offset:320
	v_add_f64 v[39:40], v[39:40], v[145:146]
	v_add_f64 v[149:150], v[149:150], v[147:148]
	ds_load_b128 v[145:148], v1 offset:656
	s_waitcnt vmcnt(10) lgkmcnt(1)
	v_mul_f64 v[157:158], v[2:3], v[28:29]
	v_mul_f64 v[28:29], v[4:5], v[28:29]
	s_waitcnt vmcnt(9) lgkmcnt(0)
	v_mul_f64 v[151:152], v[145:146], v[32:33]
	v_mul_f64 v[32:33], v[147:148], v[32:33]
	v_add_f64 v[39:40], v[39:40], v[155:156]
	v_add_f64 v[149:150], v[149:150], v[153:154]
	v_fma_f64 v[153:154], v[4:5], v[26:27], v[157:158]
	v_fma_f64 v[155:156], v[2:3], v[26:27], -v[28:29]
	ds_load_b128 v[2:5], v1 offset:672
	scratch_load_b128 v[26:29], off, off offset:336
	v_fma_f64 v[147:148], v[147:148], v[30:31], v[151:152]
	v_fma_f64 v[145:146], v[145:146], v[30:31], -v[32:33]
	scratch_load_b128 v[30:33], off, off offset:352
	v_add_f64 v[39:40], v[39:40], v[133:134]
	v_add_f64 v[149:150], v[149:150], v[135:136]
	ds_load_b128 v[133:136], v1 offset:688
	s_waitcnt vmcnt(10) lgkmcnt(1)
	v_mul_f64 v[157:158], v[2:3], v[36:37]
	v_mul_f64 v[36:37], v[4:5], v[36:37]
	s_waitcnt vmcnt(8) lgkmcnt(0)
	v_mul_f64 v[151:152], v[133:134], v[143:144]
	v_add_f64 v[39:40], v[39:40], v[155:156]
	v_add_f64 v[149:150], v[149:150], v[153:154]
	v_mul_f64 v[153:154], v[135:136], v[143:144]
	v_fma_f64 v[155:156], v[4:5], v[34:35], v[157:158]
	v_fma_f64 v[157:158], v[2:3], v[34:35], -v[36:37]
	ds_load_b128 v[2:5], v1 offset:704
	scratch_load_b128 v[34:37], off, off offset:368
	v_fma_f64 v[135:136], v[135:136], v[141:142], v[151:152]
	v_add_f64 v[39:40], v[39:40], v[145:146]
	v_add_f64 v[147:148], v[149:150], v[147:148]
	ds_load_b128 v[143:146], v1 offset:720
	v_fma_f64 v[141:142], v[133:134], v[141:142], -v[153:154]
	ds_load_b128 v[151:154], v1 offset:752
	s_waitcnt vmcnt(8) lgkmcnt(2)
	v_mul_f64 v[149:150], v[2:3], v[131:132]
	v_mul_f64 v[159:160], v[4:5], v[131:132]
	scratch_load_b128 v[131:134], off, off offset:384
	v_add_f64 v[39:40], v[39:40], v[157:158]
	v_add_f64 v[147:148], v[147:148], v[155:156]
	s_waitcnt vmcnt(8) lgkmcnt(1)
	v_mul_f64 v[155:156], v[143:144], v[8:9]
	v_mul_f64 v[8:9], v[145:146], v[8:9]
	v_fma_f64 v[157:158], v[4:5], v[129:130], v[149:150]
	v_fma_f64 v[129:130], v[2:3], v[129:130], -v[159:160]
	ds_load_b128 v[2:5], v1 offset:736
	v_add_f64 v[39:40], v[39:40], v[141:142]
	v_add_f64 v[135:136], v[147:148], v[135:136]
	scratch_load_b128 v[147:150], off, off offset:400
	s_waitcnt vmcnt(8) lgkmcnt(0)
	v_mul_f64 v[141:142], v[2:3], v[12:13]
	v_mul_f64 v[12:13], v[4:5], v[12:13]
	v_fma_f64 v[145:146], v[145:146], v[6:7], v[155:156]
	v_fma_f64 v[143:144], v[143:144], v[6:7], -v[8:9]
	scratch_load_b128 v[6:9], off, off offset:416
	v_add_f64 v[39:40], v[39:40], v[129:130]
	v_add_f64 v[129:130], v[135:136], v[157:158]
	s_waitcnt vmcnt(8)
	v_mul_f64 v[135:136], v[151:152], v[16:17]
	v_mul_f64 v[16:17], v[153:154], v[16:17]
	v_fma_f64 v[155:156], v[4:5], v[10:11], v[141:142]
	v_fma_f64 v[157:158], v[2:3], v[10:11], -v[12:13]
	ds_load_b128 v[2:5], v1 offset:768
	scratch_load_b128 v[10:13], off, off offset:432
	v_add_f64 v[39:40], v[39:40], v[143:144]
	v_add_f64 v[129:130], v[129:130], v[145:146]
	ds_load_b128 v[141:144], v1 offset:784
	s_waitcnt vmcnt(8) lgkmcnt(1)
	v_mul_f64 v[145:146], v[2:3], v[20:21]
	v_mul_f64 v[20:21], v[4:5], v[20:21]
	v_fma_f64 v[135:136], v[153:154], v[14:15], v[135:136]
	v_fma_f64 v[151:152], v[151:152], v[14:15], -v[16:17]
	scratch_load_b128 v[14:17], off, off offset:448
	s_waitcnt vmcnt(8) lgkmcnt(0)
	v_mul_f64 v[153:154], v[141:142], v[24:25]
	v_mul_f64 v[24:25], v[143:144], v[24:25]
	v_add_f64 v[39:40], v[39:40], v[157:158]
	v_add_f64 v[129:130], v[129:130], v[155:156]
	v_fma_f64 v[145:146], v[4:5], v[18:19], v[145:146]
	v_fma_f64 v[155:156], v[2:3], v[18:19], -v[20:21]
	ds_load_b128 v[2:5], v1 offset:800
	ds_load_b128 v[18:21], v1 offset:816
	v_fma_f64 v[143:144], v[143:144], v[22:23], v[153:154]
	v_fma_f64 v[22:23], v[141:142], v[22:23], -v[24:25]
	v_add_f64 v[39:40], v[39:40], v[151:152]
	v_add_f64 v[129:130], v[129:130], v[135:136]
	s_waitcnt vmcnt(7) lgkmcnt(1)
	v_mul_f64 v[135:136], v[2:3], v[28:29]
	v_mul_f64 v[28:29], v[4:5], v[28:29]
	s_delay_alu instid0(VALU_DEP_4) | instskip(NEXT) | instid1(VALU_DEP_4)
	v_add_f64 v[24:25], v[39:40], v[155:156]
	v_add_f64 v[39:40], v[129:130], v[145:146]
	s_waitcnt vmcnt(6) lgkmcnt(0)
	v_mul_f64 v[129:130], v[18:19], v[32:33]
	v_mul_f64 v[32:33], v[20:21], v[32:33]
	v_fma_f64 v[135:136], v[4:5], v[26:27], v[135:136]
	v_fma_f64 v[26:27], v[2:3], v[26:27], -v[28:29]
	v_add_f64 v[28:29], v[24:25], v[22:23]
	v_add_f64 v[39:40], v[39:40], v[143:144]
	ds_load_b128 v[2:5], v1 offset:832
	ds_load_b128 v[22:25], v1 offset:848
	v_fma_f64 v[20:21], v[20:21], v[30:31], v[129:130]
	v_fma_f64 v[18:19], v[18:19], v[30:31], -v[32:33]
	s_waitcnt vmcnt(5) lgkmcnt(1)
	v_mul_f64 v[141:142], v[2:3], v[36:37]
	v_mul_f64 v[36:37], v[4:5], v[36:37]
	s_waitcnt vmcnt(4) lgkmcnt(0)
	v_mul_f64 v[30:31], v[22:23], v[133:134]
	v_add_f64 v[26:27], v[28:29], v[26:27]
	v_add_f64 v[28:29], v[39:40], v[135:136]
	v_mul_f64 v[32:33], v[24:25], v[133:134]
	v_fma_f64 v[39:40], v[4:5], v[34:35], v[141:142]
	v_fma_f64 v[34:35], v[2:3], v[34:35], -v[36:37]
	v_fma_f64 v[24:25], v[24:25], v[131:132], v[30:31]
	v_add_f64 v[26:27], v[26:27], v[18:19]
	v_add_f64 v[28:29], v[28:29], v[20:21]
	ds_load_b128 v[2:5], v1 offset:864
	ds_load_b128 v[18:21], v1 offset:880
	v_fma_f64 v[22:23], v[22:23], v[131:132], -v[32:33]
	s_waitcnt vmcnt(3) lgkmcnt(1)
	v_mul_f64 v[36:37], v[2:3], v[149:150]
	v_mul_f64 v[129:130], v[4:5], v[149:150]
	s_waitcnt vmcnt(2) lgkmcnt(0)
	v_mul_f64 v[30:31], v[18:19], v[8:9]
	v_mul_f64 v[8:9], v[20:21], v[8:9]
	v_add_f64 v[26:27], v[26:27], v[34:35]
	v_add_f64 v[28:29], v[28:29], v[39:40]
	v_fma_f64 v[32:33], v[4:5], v[147:148], v[36:37]
	v_fma_f64 v[34:35], v[2:3], v[147:148], -v[129:130]
	v_fma_f64 v[20:21], v[20:21], v[6:7], v[30:31]
	v_fma_f64 v[6:7], v[18:19], v[6:7], -v[8:9]
	v_add_f64 v[26:27], v[26:27], v[22:23]
	v_add_f64 v[28:29], v[28:29], v[24:25]
	ds_load_b128 v[2:5], v1 offset:896
	ds_load_b128 v[22:25], v1 offset:912
	s_waitcnt vmcnt(1) lgkmcnt(1)
	v_mul_f64 v[36:37], v[2:3], v[12:13]
	v_mul_f64 v[12:13], v[4:5], v[12:13]
	v_add_f64 v[8:9], v[26:27], v[34:35]
	v_add_f64 v[18:19], v[28:29], v[32:33]
	s_waitcnt vmcnt(0) lgkmcnt(0)
	v_mul_f64 v[26:27], v[22:23], v[16:17]
	v_mul_f64 v[16:17], v[24:25], v[16:17]
	v_fma_f64 v[4:5], v[4:5], v[10:11], v[36:37]
	v_fma_f64 v[1:2], v[2:3], v[10:11], -v[12:13]
	v_add_f64 v[6:7], v[8:9], v[6:7]
	v_add_f64 v[8:9], v[18:19], v[20:21]
	v_fma_f64 v[10:11], v[24:25], v[14:15], v[26:27]
	v_fma_f64 v[12:13], v[22:23], v[14:15], -v[16:17]
	s_delay_alu instid0(VALU_DEP_4) | instskip(NEXT) | instid1(VALU_DEP_4)
	v_add_f64 v[1:2], v[6:7], v[1:2]
	v_add_f64 v[3:4], v[8:9], v[4:5]
	s_delay_alu instid0(VALU_DEP_2) | instskip(NEXT) | instid1(VALU_DEP_2)
	v_add_f64 v[1:2], v[1:2], v[12:13]
	v_add_f64 v[3:4], v[3:4], v[10:11]
	s_delay_alu instid0(VALU_DEP_2) | instskip(NEXT) | instid1(VALU_DEP_2)
	v_add_f64 v[1:2], v[137:138], -v[1:2]
	v_add_f64 v[3:4], v[139:140], -v[3:4]
	scratch_store_b128 off, v[1:4], off offset:64
	v_cmpx_lt_u32_e32 3, v100
	s_cbranch_execz .LBB28_181
; %bb.180:
	scratch_load_b128 v[1:4], v102, off
	v_mov_b32_e32 v5, 0
	s_delay_alu instid0(VALU_DEP_1)
	v_mov_b32_e32 v6, v5
	v_mov_b32_e32 v7, v5
	;; [unrolled: 1-line block ×3, first 2 shown]
	scratch_store_b128 off, v[5:8], off offset:48
	s_waitcnt vmcnt(0)
	ds_store_b128 v38, v[1:4]
.LBB28_181:
	s_or_b32 exec_lo, exec_lo, s2
	s_waitcnt lgkmcnt(0)
	s_waitcnt_vscnt null, 0x0
	s_barrier
	buffer_gl0_inv
	s_clause 0x7
	scratch_load_b128 v[2:5], off, off offset:64
	scratch_load_b128 v[6:9], off, off offset:80
	;; [unrolled: 1-line block ×8, first 2 shown]
	v_mov_b32_e32 v1, 0
	s_mov_b32 s2, exec_lo
	ds_load_b128 v[34:37], v1 offset:528
	s_clause 0x1
	scratch_load_b128 v[129:132], off, off offset:192
	scratch_load_b128 v[133:136], off, off offset:48
	ds_load_b128 v[137:140], v1 offset:544
	scratch_load_b128 v[141:144], off, off offset:208
	ds_load_b128 v[145:148], v1 offset:576
	s_waitcnt vmcnt(10) lgkmcnt(2)
	v_mul_f64 v[39:40], v[36:37], v[4:5]
	v_mul_f64 v[4:5], v[34:35], v[4:5]
	s_delay_alu instid0(VALU_DEP_2) | instskip(NEXT) | instid1(VALU_DEP_2)
	v_fma_f64 v[39:40], v[34:35], v[2:3], -v[39:40]
	v_fma_f64 v[151:152], v[36:37], v[2:3], v[4:5]
	ds_load_b128 v[2:5], v1 offset:560
	s_waitcnt vmcnt(9) lgkmcnt(2)
	v_mul_f64 v[149:150], v[137:138], v[8:9]
	v_mul_f64 v[8:9], v[139:140], v[8:9]
	scratch_load_b128 v[34:37], off, off offset:224
	s_waitcnt vmcnt(9) lgkmcnt(0)
	v_mul_f64 v[153:154], v[2:3], v[12:13]
	v_mul_f64 v[12:13], v[4:5], v[12:13]
	v_add_f64 v[39:40], v[39:40], 0
	v_fma_f64 v[139:140], v[139:140], v[6:7], v[149:150]
	v_fma_f64 v[137:138], v[137:138], v[6:7], -v[8:9]
	v_add_f64 v[149:150], v[151:152], 0
	scratch_load_b128 v[6:9], off, off offset:240
	v_fma_f64 v[153:154], v[4:5], v[10:11], v[153:154]
	v_fma_f64 v[155:156], v[2:3], v[10:11], -v[12:13]
	scratch_load_b128 v[10:13], off, off offset:256
	ds_load_b128 v[2:5], v1 offset:592
	s_waitcnt vmcnt(10)
	v_mul_f64 v[151:152], v[145:146], v[16:17]
	v_mul_f64 v[16:17], v[147:148], v[16:17]
	v_add_f64 v[39:40], v[39:40], v[137:138]
	v_add_f64 v[149:150], v[149:150], v[139:140]
	ds_load_b128 v[137:140], v1 offset:608
	s_waitcnt vmcnt(9) lgkmcnt(1)
	v_mul_f64 v[157:158], v[2:3], v[20:21]
	v_mul_f64 v[20:21], v[4:5], v[20:21]
	v_fma_f64 v[147:148], v[147:148], v[14:15], v[151:152]
	v_fma_f64 v[145:146], v[145:146], v[14:15], -v[16:17]
	scratch_load_b128 v[14:17], off, off offset:272
	v_add_f64 v[39:40], v[39:40], v[155:156]
	v_add_f64 v[149:150], v[149:150], v[153:154]
	v_fma_f64 v[153:154], v[4:5], v[18:19], v[157:158]
	v_fma_f64 v[155:156], v[2:3], v[18:19], -v[20:21]
	scratch_load_b128 v[18:21], off, off offset:288
	ds_load_b128 v[2:5], v1 offset:624
	s_waitcnt vmcnt(10) lgkmcnt(1)
	v_mul_f64 v[151:152], v[137:138], v[24:25]
	v_mul_f64 v[24:25], v[139:140], v[24:25]
	s_waitcnt vmcnt(9) lgkmcnt(0)
	v_mul_f64 v[157:158], v[2:3], v[28:29]
	v_mul_f64 v[28:29], v[4:5], v[28:29]
	v_add_f64 v[39:40], v[39:40], v[145:146]
	v_add_f64 v[149:150], v[149:150], v[147:148]
	ds_load_b128 v[145:148], v1 offset:640
	v_fma_f64 v[139:140], v[139:140], v[22:23], v[151:152]
	v_fma_f64 v[137:138], v[137:138], v[22:23], -v[24:25]
	scratch_load_b128 v[22:25], off, off offset:304
	v_add_f64 v[39:40], v[39:40], v[155:156]
	v_add_f64 v[149:150], v[149:150], v[153:154]
	v_fma_f64 v[153:154], v[4:5], v[26:27], v[157:158]
	v_fma_f64 v[155:156], v[2:3], v[26:27], -v[28:29]
	scratch_load_b128 v[26:29], off, off offset:320
	ds_load_b128 v[2:5], v1 offset:656
	s_waitcnt vmcnt(10) lgkmcnt(1)
	v_mul_f64 v[151:152], v[145:146], v[32:33]
	v_mul_f64 v[32:33], v[147:148], v[32:33]
	s_waitcnt vmcnt(9) lgkmcnt(0)
	v_mul_f64 v[157:158], v[2:3], v[131:132]
	v_mul_f64 v[131:132], v[4:5], v[131:132]
	v_add_f64 v[39:40], v[39:40], v[137:138]
	v_add_f64 v[149:150], v[149:150], v[139:140]
	ds_load_b128 v[137:140], v1 offset:672
	v_fma_f64 v[147:148], v[147:148], v[30:31], v[151:152]
	v_fma_f64 v[145:146], v[145:146], v[30:31], -v[32:33]
	scratch_load_b128 v[30:33], off, off offset:336
	v_add_f64 v[39:40], v[39:40], v[155:156]
	v_add_f64 v[149:150], v[149:150], v[153:154]
	v_fma_f64 v[155:156], v[4:5], v[129:130], v[157:158]
	v_fma_f64 v[157:158], v[2:3], v[129:130], -v[131:132]
	scratch_load_b128 v[129:132], off, off offset:352
	ds_load_b128 v[2:5], v1 offset:688
	s_waitcnt vmcnt(9) lgkmcnt(1)
	v_mul_f64 v[151:152], v[137:138], v[143:144]
	v_mul_f64 v[153:154], v[139:140], v[143:144]
	v_add_f64 v[39:40], v[39:40], v[145:146]
	v_add_f64 v[147:148], v[149:150], v[147:148]
	ds_load_b128 v[143:146], v1 offset:704
	v_fma_f64 v[151:152], v[139:140], v[141:142], v[151:152]
	v_fma_f64 v[141:142], v[137:138], v[141:142], -v[153:154]
	scratch_load_b128 v[137:140], off, off offset:368
	s_waitcnt vmcnt(9) lgkmcnt(1)
	v_mul_f64 v[149:150], v[2:3], v[36:37]
	v_mul_f64 v[36:37], v[4:5], v[36:37]
	v_add_f64 v[39:40], v[39:40], v[157:158]
	v_add_f64 v[147:148], v[147:148], v[155:156]
	s_delay_alu instid0(VALU_DEP_4) | instskip(NEXT) | instid1(VALU_DEP_4)
	v_fma_f64 v[155:156], v[4:5], v[34:35], v[149:150]
	v_fma_f64 v[157:158], v[2:3], v[34:35], -v[36:37]
	scratch_load_b128 v[34:37], off, off offset:384
	ds_load_b128 v[2:5], v1 offset:720
	s_waitcnt vmcnt(9) lgkmcnt(1)
	v_mul_f64 v[153:154], v[143:144], v[8:9]
	v_mul_f64 v[8:9], v[145:146], v[8:9]
	v_add_f64 v[39:40], v[39:40], v[141:142]
	v_add_f64 v[141:142], v[147:148], v[151:152]
	s_waitcnt vmcnt(8) lgkmcnt(0)
	v_mul_f64 v[151:152], v[2:3], v[12:13]
	v_mul_f64 v[12:13], v[4:5], v[12:13]
	ds_load_b128 v[147:150], v1 offset:736
	v_fma_f64 v[145:146], v[145:146], v[6:7], v[153:154]
	v_fma_f64 v[143:144], v[143:144], v[6:7], -v[8:9]
	scratch_load_b128 v[6:9], off, off offset:400
	v_add_f64 v[39:40], v[39:40], v[157:158]
	v_add_f64 v[141:142], v[141:142], v[155:156]
	v_fma_f64 v[151:152], v[4:5], v[10:11], v[151:152]
	v_fma_f64 v[155:156], v[2:3], v[10:11], -v[12:13]
	scratch_load_b128 v[10:13], off, off offset:416
	ds_load_b128 v[2:5], v1 offset:752
	s_waitcnt vmcnt(9) lgkmcnt(1)
	v_mul_f64 v[153:154], v[147:148], v[16:17]
	v_mul_f64 v[16:17], v[149:150], v[16:17]
	s_waitcnt vmcnt(8) lgkmcnt(0)
	v_mul_f64 v[157:158], v[2:3], v[20:21]
	v_mul_f64 v[20:21], v[4:5], v[20:21]
	v_add_f64 v[39:40], v[39:40], v[143:144]
	v_add_f64 v[145:146], v[141:142], v[145:146]
	ds_load_b128 v[141:144], v1 offset:768
	v_fma_f64 v[149:150], v[149:150], v[14:15], v[153:154]
	v_fma_f64 v[147:148], v[147:148], v[14:15], -v[16:17]
	scratch_load_b128 v[14:17], off, off offset:432
	v_fma_f64 v[153:154], v[4:5], v[18:19], v[157:158]
	v_add_f64 v[39:40], v[39:40], v[155:156]
	v_add_f64 v[145:146], v[145:146], v[151:152]
	v_fma_f64 v[155:156], v[2:3], v[18:19], -v[20:21]
	scratch_load_b128 v[18:21], off, off offset:448
	ds_load_b128 v[2:5], v1 offset:784
	s_waitcnt vmcnt(9) lgkmcnt(1)
	v_mul_f64 v[151:152], v[141:142], v[24:25]
	v_mul_f64 v[24:25], v[143:144], v[24:25]
	s_waitcnt vmcnt(8) lgkmcnt(0)
	v_mul_f64 v[157:158], v[2:3], v[28:29]
	v_mul_f64 v[28:29], v[4:5], v[28:29]
	v_add_f64 v[39:40], v[39:40], v[147:148]
	v_add_f64 v[149:150], v[145:146], v[149:150]
	ds_load_b128 v[145:148], v1 offset:800
	v_fma_f64 v[143:144], v[143:144], v[22:23], v[151:152]
	v_fma_f64 v[22:23], v[141:142], v[22:23], -v[24:25]
	s_waitcnt vmcnt(7) lgkmcnt(0)
	v_mul_f64 v[141:142], v[145:146], v[32:33]
	v_mul_f64 v[32:33], v[147:148], v[32:33]
	v_add_f64 v[24:25], v[39:40], v[155:156]
	v_add_f64 v[39:40], v[149:150], v[153:154]
	v_fma_f64 v[149:150], v[4:5], v[26:27], v[157:158]
	v_fma_f64 v[26:27], v[2:3], v[26:27], -v[28:29]
	v_fma_f64 v[141:142], v[147:148], v[30:31], v[141:142]
	v_fma_f64 v[30:31], v[145:146], v[30:31], -v[32:33]
	v_add_f64 v[28:29], v[24:25], v[22:23]
	v_add_f64 v[39:40], v[39:40], v[143:144]
	ds_load_b128 v[2:5], v1 offset:816
	ds_load_b128 v[22:25], v1 offset:832
	s_waitcnt vmcnt(6) lgkmcnt(1)
	v_mul_f64 v[143:144], v[2:3], v[131:132]
	v_mul_f64 v[131:132], v[4:5], v[131:132]
	s_waitcnt vmcnt(5) lgkmcnt(0)
	v_mul_f64 v[32:33], v[22:23], v[139:140]
	v_add_f64 v[26:27], v[28:29], v[26:27]
	v_add_f64 v[28:29], v[39:40], v[149:150]
	v_mul_f64 v[39:40], v[24:25], v[139:140]
	v_fma_f64 v[139:140], v[4:5], v[129:130], v[143:144]
	v_fma_f64 v[129:130], v[2:3], v[129:130], -v[131:132]
	v_fma_f64 v[24:25], v[24:25], v[137:138], v[32:33]
	v_add_f64 v[30:31], v[26:27], v[30:31]
	v_add_f64 v[131:132], v[28:29], v[141:142]
	ds_load_b128 v[2:5], v1 offset:848
	ds_load_b128 v[26:29], v1 offset:864
	v_fma_f64 v[22:23], v[22:23], v[137:138], -v[39:40]
	s_waitcnt vmcnt(4) lgkmcnt(1)
	v_mul_f64 v[141:142], v[2:3], v[36:37]
	v_mul_f64 v[36:37], v[4:5], v[36:37]
	v_add_f64 v[30:31], v[30:31], v[129:130]
	v_add_f64 v[32:33], v[131:132], v[139:140]
	s_waitcnt vmcnt(3) lgkmcnt(0)
	v_mul_f64 v[39:40], v[26:27], v[8:9]
	v_mul_f64 v[8:9], v[28:29], v[8:9]
	v_fma_f64 v[129:130], v[4:5], v[34:35], v[141:142]
	v_fma_f64 v[34:35], v[2:3], v[34:35], -v[36:37]
	v_add_f64 v[30:31], v[30:31], v[22:23]
	v_add_f64 v[32:33], v[32:33], v[24:25]
	ds_load_b128 v[2:5], v1 offset:880
	ds_load_b128 v[22:25], v1 offset:896
	v_fma_f64 v[28:29], v[28:29], v[6:7], v[39:40]
	v_fma_f64 v[6:7], v[26:27], v[6:7], -v[8:9]
	s_waitcnt vmcnt(2) lgkmcnt(1)
	v_mul_f64 v[36:37], v[2:3], v[12:13]
	v_mul_f64 v[12:13], v[4:5], v[12:13]
	v_add_f64 v[8:9], v[30:31], v[34:35]
	v_add_f64 v[26:27], v[32:33], v[129:130]
	s_waitcnt vmcnt(1) lgkmcnt(0)
	v_mul_f64 v[30:31], v[22:23], v[16:17]
	v_mul_f64 v[16:17], v[24:25], v[16:17]
	v_fma_f64 v[32:33], v[4:5], v[10:11], v[36:37]
	v_fma_f64 v[10:11], v[2:3], v[10:11], -v[12:13]
	ds_load_b128 v[2:5], v1 offset:912
	v_add_f64 v[6:7], v[8:9], v[6:7]
	v_add_f64 v[8:9], v[26:27], v[28:29]
	v_fma_f64 v[24:25], v[24:25], v[14:15], v[30:31]
	v_fma_f64 v[14:15], v[22:23], v[14:15], -v[16:17]
	s_waitcnt vmcnt(0) lgkmcnt(0)
	v_mul_f64 v[12:13], v[2:3], v[20:21]
	v_mul_f64 v[20:21], v[4:5], v[20:21]
	v_add_f64 v[6:7], v[6:7], v[10:11]
	v_add_f64 v[8:9], v[8:9], v[32:33]
	s_delay_alu instid0(VALU_DEP_4) | instskip(NEXT) | instid1(VALU_DEP_4)
	v_fma_f64 v[4:5], v[4:5], v[18:19], v[12:13]
	v_fma_f64 v[2:3], v[2:3], v[18:19], -v[20:21]
	s_delay_alu instid0(VALU_DEP_4) | instskip(NEXT) | instid1(VALU_DEP_4)
	v_add_f64 v[6:7], v[6:7], v[14:15]
	v_add_f64 v[8:9], v[8:9], v[24:25]
	s_delay_alu instid0(VALU_DEP_2) | instskip(NEXT) | instid1(VALU_DEP_2)
	v_add_f64 v[2:3], v[6:7], v[2:3]
	v_add_f64 v[4:5], v[8:9], v[4:5]
	s_delay_alu instid0(VALU_DEP_2) | instskip(NEXT) | instid1(VALU_DEP_2)
	v_add_f64 v[2:3], v[133:134], -v[2:3]
	v_add_f64 v[4:5], v[135:136], -v[4:5]
	scratch_store_b128 off, v[2:5], off offset:48
	v_cmpx_lt_u32_e32 2, v100
	s_cbranch_execz .LBB28_183
; %bb.182:
	scratch_load_b128 v[5:8], v103, off
	v_mov_b32_e32 v2, v1
	v_mov_b32_e32 v3, v1
	;; [unrolled: 1-line block ×3, first 2 shown]
	scratch_store_b128 off, v[1:4], off offset:32
	s_waitcnt vmcnt(0)
	ds_store_b128 v38, v[5:8]
.LBB28_183:
	s_or_b32 exec_lo, exec_lo, s2
	s_waitcnt lgkmcnt(0)
	s_waitcnt_vscnt null, 0x0
	s_barrier
	buffer_gl0_inv
	s_clause 0x8
	scratch_load_b128 v[2:5], off, off offset:48
	scratch_load_b128 v[6:9], off, off offset:64
	;; [unrolled: 1-line block ×9, first 2 shown]
	ds_load_b128 v[129:132], v1 offset:512
	ds_load_b128 v[133:136], v1 offset:528
	s_clause 0x1
	scratch_load_b128 v[137:140], off, off offset:32
	scratch_load_b128 v[141:144], off, off offset:192
	s_mov_b32 s2, exec_lo
	ds_load_b128 v[145:148], v1 offset:560
	s_waitcnt vmcnt(10) lgkmcnt(2)
	v_mul_f64 v[39:40], v[131:132], v[4:5]
	v_mul_f64 v[4:5], v[129:130], v[4:5]
	s_waitcnt vmcnt(9) lgkmcnt(1)
	v_mul_f64 v[149:150], v[133:134], v[8:9]
	v_mul_f64 v[8:9], v[135:136], v[8:9]
	s_delay_alu instid0(VALU_DEP_4) | instskip(NEXT) | instid1(VALU_DEP_4)
	v_fma_f64 v[39:40], v[129:130], v[2:3], -v[39:40]
	v_fma_f64 v[151:152], v[131:132], v[2:3], v[4:5]
	ds_load_b128 v[2:5], v1 offset:544
	scratch_load_b128 v[129:132], off, off offset:208
	v_fma_f64 v[135:136], v[135:136], v[6:7], v[149:150]
	v_fma_f64 v[133:134], v[133:134], v[6:7], -v[8:9]
	scratch_load_b128 v[6:9], off, off offset:224
	s_waitcnt vmcnt(10) lgkmcnt(0)
	v_mul_f64 v[153:154], v[2:3], v[12:13]
	v_mul_f64 v[12:13], v[4:5], v[12:13]
	v_add_f64 v[39:40], v[39:40], 0
	v_add_f64 v[149:150], v[151:152], 0
	s_waitcnt vmcnt(9)
	v_mul_f64 v[151:152], v[145:146], v[16:17]
	v_mul_f64 v[16:17], v[147:148], v[16:17]
	v_fma_f64 v[153:154], v[4:5], v[10:11], v[153:154]
	v_fma_f64 v[155:156], v[2:3], v[10:11], -v[12:13]
	ds_load_b128 v[2:5], v1 offset:576
	scratch_load_b128 v[10:13], off, off offset:240
	v_add_f64 v[39:40], v[39:40], v[133:134]
	v_add_f64 v[149:150], v[149:150], v[135:136]
	ds_load_b128 v[133:136], v1 offset:592
	v_fma_f64 v[147:148], v[147:148], v[14:15], v[151:152]
	v_fma_f64 v[145:146], v[145:146], v[14:15], -v[16:17]
	scratch_load_b128 v[14:17], off, off offset:256
	s_waitcnt vmcnt(10) lgkmcnt(1)
	v_mul_f64 v[157:158], v[2:3], v[20:21]
	v_mul_f64 v[20:21], v[4:5], v[20:21]
	s_waitcnt vmcnt(9) lgkmcnt(0)
	v_mul_f64 v[151:152], v[133:134], v[24:25]
	v_mul_f64 v[24:25], v[135:136], v[24:25]
	v_add_f64 v[39:40], v[39:40], v[155:156]
	v_add_f64 v[149:150], v[149:150], v[153:154]
	v_fma_f64 v[153:154], v[4:5], v[18:19], v[157:158]
	v_fma_f64 v[155:156], v[2:3], v[18:19], -v[20:21]
	ds_load_b128 v[2:5], v1 offset:608
	scratch_load_b128 v[18:21], off, off offset:272
	v_fma_f64 v[135:136], v[135:136], v[22:23], v[151:152]
	v_fma_f64 v[133:134], v[133:134], v[22:23], -v[24:25]
	scratch_load_b128 v[22:25], off, off offset:288
	v_add_f64 v[39:40], v[39:40], v[145:146]
	v_add_f64 v[149:150], v[149:150], v[147:148]
	ds_load_b128 v[145:148], v1 offset:624
	s_waitcnt vmcnt(10) lgkmcnt(1)
	v_mul_f64 v[157:158], v[2:3], v[28:29]
	v_mul_f64 v[28:29], v[4:5], v[28:29]
	s_waitcnt vmcnt(9) lgkmcnt(0)
	v_mul_f64 v[151:152], v[145:146], v[32:33]
	v_mul_f64 v[32:33], v[147:148], v[32:33]
	v_add_f64 v[39:40], v[39:40], v[155:156]
	v_add_f64 v[149:150], v[149:150], v[153:154]
	v_fma_f64 v[153:154], v[4:5], v[26:27], v[157:158]
	v_fma_f64 v[155:156], v[2:3], v[26:27], -v[28:29]
	ds_load_b128 v[2:5], v1 offset:640
	scratch_load_b128 v[26:29], off, off offset:304
	v_fma_f64 v[147:148], v[147:148], v[30:31], v[151:152]
	v_fma_f64 v[145:146], v[145:146], v[30:31], -v[32:33]
	scratch_load_b128 v[30:33], off, off offset:320
	v_add_f64 v[39:40], v[39:40], v[133:134]
	v_add_f64 v[149:150], v[149:150], v[135:136]
	ds_load_b128 v[133:136], v1 offset:656
	s_waitcnt vmcnt(10) lgkmcnt(1)
	v_mul_f64 v[157:158], v[2:3], v[36:37]
	v_mul_f64 v[36:37], v[4:5], v[36:37]
	s_waitcnt vmcnt(8) lgkmcnt(0)
	v_mul_f64 v[151:152], v[133:134], v[143:144]
	v_add_f64 v[39:40], v[39:40], v[155:156]
	v_add_f64 v[149:150], v[149:150], v[153:154]
	v_mul_f64 v[153:154], v[135:136], v[143:144]
	v_fma_f64 v[155:156], v[4:5], v[34:35], v[157:158]
	v_fma_f64 v[157:158], v[2:3], v[34:35], -v[36:37]
	ds_load_b128 v[2:5], v1 offset:672
	scratch_load_b128 v[34:37], off, off offset:336
	v_fma_f64 v[135:136], v[135:136], v[141:142], v[151:152]
	v_add_f64 v[39:40], v[39:40], v[145:146]
	v_add_f64 v[147:148], v[149:150], v[147:148]
	ds_load_b128 v[143:146], v1 offset:688
	v_fma_f64 v[141:142], v[133:134], v[141:142], -v[153:154]
	ds_load_b128 v[151:154], v1 offset:720
	s_waitcnt vmcnt(8) lgkmcnt(2)
	v_mul_f64 v[149:150], v[2:3], v[131:132]
	v_mul_f64 v[159:160], v[4:5], v[131:132]
	scratch_load_b128 v[131:134], off, off offset:352
	v_add_f64 v[39:40], v[39:40], v[157:158]
	v_add_f64 v[147:148], v[147:148], v[155:156]
	s_waitcnt vmcnt(8) lgkmcnt(1)
	v_mul_f64 v[155:156], v[143:144], v[8:9]
	v_mul_f64 v[8:9], v[145:146], v[8:9]
	v_fma_f64 v[157:158], v[4:5], v[129:130], v[149:150]
	v_fma_f64 v[129:130], v[2:3], v[129:130], -v[159:160]
	ds_load_b128 v[2:5], v1 offset:704
	v_add_f64 v[39:40], v[39:40], v[141:142]
	v_add_f64 v[135:136], v[147:148], v[135:136]
	scratch_load_b128 v[147:150], off, off offset:368
	s_waitcnt vmcnt(8) lgkmcnt(0)
	v_mul_f64 v[141:142], v[2:3], v[12:13]
	v_mul_f64 v[12:13], v[4:5], v[12:13]
	v_fma_f64 v[145:146], v[145:146], v[6:7], v[155:156]
	v_fma_f64 v[143:144], v[143:144], v[6:7], -v[8:9]
	scratch_load_b128 v[6:9], off, off offset:384
	v_add_f64 v[39:40], v[39:40], v[129:130]
	v_add_f64 v[129:130], v[135:136], v[157:158]
	s_waitcnt vmcnt(8)
	v_mul_f64 v[135:136], v[151:152], v[16:17]
	v_mul_f64 v[16:17], v[153:154], v[16:17]
	v_fma_f64 v[155:156], v[4:5], v[10:11], v[141:142]
	v_fma_f64 v[157:158], v[2:3], v[10:11], -v[12:13]
	ds_load_b128 v[2:5], v1 offset:736
	scratch_load_b128 v[10:13], off, off offset:400
	v_add_f64 v[39:40], v[39:40], v[143:144]
	v_add_f64 v[129:130], v[129:130], v[145:146]
	ds_load_b128 v[141:144], v1 offset:752
	s_waitcnt vmcnt(8) lgkmcnt(1)
	v_mul_f64 v[145:146], v[2:3], v[20:21]
	v_mul_f64 v[20:21], v[4:5], v[20:21]
	v_fma_f64 v[135:136], v[153:154], v[14:15], v[135:136]
	v_fma_f64 v[151:152], v[151:152], v[14:15], -v[16:17]
	scratch_load_b128 v[14:17], off, off offset:416
	v_add_f64 v[39:40], v[39:40], v[157:158]
	v_add_f64 v[129:130], v[129:130], v[155:156]
	s_waitcnt vmcnt(8) lgkmcnt(0)
	v_mul_f64 v[155:156], v[141:142], v[24:25]
	v_mul_f64 v[24:25], v[143:144], v[24:25]
	v_fma_f64 v[145:146], v[4:5], v[18:19], v[145:146]
	v_fma_f64 v[157:158], v[2:3], v[18:19], -v[20:21]
	ds_load_b128 v[2:5], v1 offset:768
	scratch_load_b128 v[18:21], off, off offset:432
	v_add_f64 v[39:40], v[39:40], v[151:152]
	v_add_f64 v[129:130], v[129:130], v[135:136]
	ds_load_b128 v[151:154], v1 offset:784
	s_waitcnt vmcnt(8) lgkmcnt(1)
	v_mul_f64 v[135:136], v[2:3], v[28:29]
	v_mul_f64 v[28:29], v[4:5], v[28:29]
	v_fma_f64 v[143:144], v[143:144], v[22:23], v[155:156]
	v_fma_f64 v[141:142], v[141:142], v[22:23], -v[24:25]
	scratch_load_b128 v[22:25], off, off offset:448
	v_add_f64 v[39:40], v[39:40], v[157:158]
	v_add_f64 v[129:130], v[129:130], v[145:146]
	s_waitcnt vmcnt(8) lgkmcnt(0)
	v_mul_f64 v[145:146], v[151:152], v[32:33]
	v_mul_f64 v[32:33], v[153:154], v[32:33]
	v_fma_f64 v[135:136], v[4:5], v[26:27], v[135:136]
	v_fma_f64 v[155:156], v[2:3], v[26:27], -v[28:29]
	ds_load_b128 v[2:5], v1 offset:800
	ds_load_b128 v[26:29], v1 offset:816
	v_add_f64 v[39:40], v[39:40], v[141:142]
	v_add_f64 v[129:130], v[129:130], v[143:144]
	s_waitcnt vmcnt(7) lgkmcnt(1)
	v_mul_f64 v[141:142], v[2:3], v[36:37]
	v_mul_f64 v[36:37], v[4:5], v[36:37]
	v_fma_f64 v[143:144], v[153:154], v[30:31], v[145:146]
	v_fma_f64 v[30:31], v[151:152], v[30:31], -v[32:33]
	v_add_f64 v[32:33], v[39:40], v[155:156]
	v_add_f64 v[39:40], v[129:130], v[135:136]
	s_waitcnt vmcnt(6) lgkmcnt(0)
	v_mul_f64 v[129:130], v[26:27], v[133:134]
	v_mul_f64 v[133:134], v[28:29], v[133:134]
	v_fma_f64 v[135:136], v[4:5], v[34:35], v[141:142]
	v_fma_f64 v[34:35], v[2:3], v[34:35], -v[36:37]
	v_add_f64 v[36:37], v[32:33], v[30:31]
	v_add_f64 v[39:40], v[39:40], v[143:144]
	ds_load_b128 v[2:5], v1 offset:832
	ds_load_b128 v[30:33], v1 offset:848
	v_fma_f64 v[28:29], v[28:29], v[131:132], v[129:130]
	v_fma_f64 v[26:27], v[26:27], v[131:132], -v[133:134]
	s_waitcnt vmcnt(5) lgkmcnt(1)
	v_mul_f64 v[141:142], v[2:3], v[149:150]
	v_mul_f64 v[143:144], v[4:5], v[149:150]
	v_add_f64 v[34:35], v[36:37], v[34:35]
	v_add_f64 v[36:37], v[39:40], v[135:136]
	s_waitcnt vmcnt(4) lgkmcnt(0)
	v_mul_f64 v[39:40], v[30:31], v[8:9]
	v_mul_f64 v[8:9], v[32:33], v[8:9]
	v_fma_f64 v[129:130], v[4:5], v[147:148], v[141:142]
	v_fma_f64 v[131:132], v[2:3], v[147:148], -v[143:144]
	v_add_f64 v[34:35], v[34:35], v[26:27]
	v_add_f64 v[36:37], v[36:37], v[28:29]
	ds_load_b128 v[2:5], v1 offset:864
	ds_load_b128 v[26:29], v1 offset:880
	v_fma_f64 v[32:33], v[32:33], v[6:7], v[39:40]
	v_fma_f64 v[6:7], v[30:31], v[6:7], -v[8:9]
	s_waitcnt vmcnt(3) lgkmcnt(1)
	v_mul_f64 v[133:134], v[2:3], v[12:13]
	v_mul_f64 v[12:13], v[4:5], v[12:13]
	;; [unrolled: 16-line block ×3, first 2 shown]
	s_waitcnt vmcnt(0) lgkmcnt(0)
	v_mul_f64 v[16:17], v[6:7], v[24:25]
	v_mul_f64 v[24:25], v[8:9], v[24:25]
	v_add_f64 v[10:11], v[12:13], v[10:11]
	v_add_f64 v[12:13], v[30:31], v[36:37]
	v_fma_f64 v[4:5], v[4:5], v[18:19], v[32:33]
	v_fma_f64 v[1:2], v[2:3], v[18:19], -v[20:21]
	v_fma_f64 v[8:9], v[8:9], v[22:23], v[16:17]
	v_fma_f64 v[6:7], v[6:7], v[22:23], -v[24:25]
	v_add_f64 v[10:11], v[10:11], v[14:15]
	v_add_f64 v[12:13], v[12:13], v[28:29]
	s_delay_alu instid0(VALU_DEP_2) | instskip(NEXT) | instid1(VALU_DEP_2)
	v_add_f64 v[1:2], v[10:11], v[1:2]
	v_add_f64 v[3:4], v[12:13], v[4:5]
	s_delay_alu instid0(VALU_DEP_2) | instskip(NEXT) | instid1(VALU_DEP_2)
	;; [unrolled: 3-line block ×3, first 2 shown]
	v_add_f64 v[1:2], v[137:138], -v[1:2]
	v_add_f64 v[3:4], v[139:140], -v[3:4]
	scratch_store_b128 off, v[1:4], off offset:32
	v_cmpx_lt_u32_e32 1, v100
	s_cbranch_execz .LBB28_185
; %bb.184:
	scratch_load_b128 v[1:4], v104, off
	v_mov_b32_e32 v5, 0
	s_delay_alu instid0(VALU_DEP_1)
	v_mov_b32_e32 v6, v5
	v_mov_b32_e32 v7, v5
	;; [unrolled: 1-line block ×3, first 2 shown]
	scratch_store_b128 off, v[5:8], off offset:16
	s_waitcnt vmcnt(0)
	ds_store_b128 v38, v[1:4]
.LBB28_185:
	s_or_b32 exec_lo, exec_lo, s2
	s_waitcnt lgkmcnt(0)
	s_waitcnt_vscnt null, 0x0
	s_barrier
	buffer_gl0_inv
	s_clause 0x7
	scratch_load_b128 v[2:5], off, off offset:32
	scratch_load_b128 v[6:9], off, off offset:48
	;; [unrolled: 1-line block ×8, first 2 shown]
	v_mov_b32_e32 v1, 0
	s_mov_b32 s2, exec_lo
	ds_load_b128 v[129:132], v1 offset:496
	s_clause 0x1
	scratch_load_b128 v[34:37], off, off offset:160
	scratch_load_b128 v[133:136], off, off offset:16
	ds_load_b128 v[137:140], v1 offset:512
	scratch_load_b128 v[141:144], off, off offset:176
	ds_load_b128 v[145:148], v1 offset:544
	s_waitcnt vmcnt(10) lgkmcnt(2)
	v_mul_f64 v[39:40], v[131:132], v[4:5]
	v_mul_f64 v[4:5], v[129:130], v[4:5]
	s_delay_alu instid0(VALU_DEP_2) | instskip(NEXT) | instid1(VALU_DEP_2)
	v_fma_f64 v[39:40], v[129:130], v[2:3], -v[39:40]
	v_fma_f64 v[151:152], v[131:132], v[2:3], v[4:5]
	ds_load_b128 v[2:5], v1 offset:528
	s_waitcnt vmcnt(9) lgkmcnt(2)
	v_mul_f64 v[149:150], v[137:138], v[8:9]
	v_mul_f64 v[8:9], v[139:140], v[8:9]
	scratch_load_b128 v[129:132], off, off offset:192
	s_waitcnt vmcnt(9) lgkmcnt(0)
	v_mul_f64 v[153:154], v[2:3], v[12:13]
	v_mul_f64 v[12:13], v[4:5], v[12:13]
	v_add_f64 v[39:40], v[39:40], 0
	v_fma_f64 v[139:140], v[139:140], v[6:7], v[149:150]
	v_fma_f64 v[137:138], v[137:138], v[6:7], -v[8:9]
	v_add_f64 v[149:150], v[151:152], 0
	scratch_load_b128 v[6:9], off, off offset:208
	v_fma_f64 v[153:154], v[4:5], v[10:11], v[153:154]
	v_fma_f64 v[155:156], v[2:3], v[10:11], -v[12:13]
	scratch_load_b128 v[10:13], off, off offset:224
	ds_load_b128 v[2:5], v1 offset:560
	s_waitcnt vmcnt(10)
	v_mul_f64 v[151:152], v[145:146], v[16:17]
	v_mul_f64 v[16:17], v[147:148], v[16:17]
	v_add_f64 v[39:40], v[39:40], v[137:138]
	v_add_f64 v[149:150], v[149:150], v[139:140]
	ds_load_b128 v[137:140], v1 offset:576
	s_waitcnt vmcnt(9) lgkmcnt(1)
	v_mul_f64 v[157:158], v[2:3], v[20:21]
	v_mul_f64 v[20:21], v[4:5], v[20:21]
	v_fma_f64 v[147:148], v[147:148], v[14:15], v[151:152]
	v_fma_f64 v[145:146], v[145:146], v[14:15], -v[16:17]
	scratch_load_b128 v[14:17], off, off offset:240
	v_add_f64 v[39:40], v[39:40], v[155:156]
	v_add_f64 v[149:150], v[149:150], v[153:154]
	v_fma_f64 v[153:154], v[4:5], v[18:19], v[157:158]
	v_fma_f64 v[155:156], v[2:3], v[18:19], -v[20:21]
	scratch_load_b128 v[18:21], off, off offset:256
	ds_load_b128 v[2:5], v1 offset:592
	s_waitcnt vmcnt(10) lgkmcnt(1)
	v_mul_f64 v[151:152], v[137:138], v[24:25]
	v_mul_f64 v[24:25], v[139:140], v[24:25]
	s_waitcnt vmcnt(9) lgkmcnt(0)
	v_mul_f64 v[157:158], v[2:3], v[28:29]
	v_mul_f64 v[28:29], v[4:5], v[28:29]
	v_add_f64 v[39:40], v[39:40], v[145:146]
	v_add_f64 v[149:150], v[149:150], v[147:148]
	ds_load_b128 v[145:148], v1 offset:608
	v_fma_f64 v[139:140], v[139:140], v[22:23], v[151:152]
	v_fma_f64 v[137:138], v[137:138], v[22:23], -v[24:25]
	scratch_load_b128 v[22:25], off, off offset:272
	v_add_f64 v[39:40], v[39:40], v[155:156]
	v_add_f64 v[149:150], v[149:150], v[153:154]
	v_fma_f64 v[153:154], v[4:5], v[26:27], v[157:158]
	v_fma_f64 v[155:156], v[2:3], v[26:27], -v[28:29]
	scratch_load_b128 v[26:29], off, off offset:288
	ds_load_b128 v[2:5], v1 offset:624
	s_waitcnt vmcnt(10) lgkmcnt(1)
	v_mul_f64 v[151:152], v[145:146], v[32:33]
	v_mul_f64 v[32:33], v[147:148], v[32:33]
	s_waitcnt vmcnt(9) lgkmcnt(0)
	v_mul_f64 v[157:158], v[2:3], v[36:37]
	v_mul_f64 v[36:37], v[4:5], v[36:37]
	v_add_f64 v[39:40], v[39:40], v[137:138]
	v_add_f64 v[149:150], v[149:150], v[139:140]
	ds_load_b128 v[137:140], v1 offset:640
	v_fma_f64 v[147:148], v[147:148], v[30:31], v[151:152]
	v_fma_f64 v[145:146], v[145:146], v[30:31], -v[32:33]
	scratch_load_b128 v[30:33], off, off offset:304
	v_add_f64 v[39:40], v[39:40], v[155:156]
	v_add_f64 v[149:150], v[149:150], v[153:154]
	v_fma_f64 v[155:156], v[4:5], v[34:35], v[157:158]
	v_fma_f64 v[157:158], v[2:3], v[34:35], -v[36:37]
	scratch_load_b128 v[34:37], off, off offset:320
	ds_load_b128 v[2:5], v1 offset:656
	s_waitcnt vmcnt(9) lgkmcnt(1)
	v_mul_f64 v[151:152], v[137:138], v[143:144]
	v_mul_f64 v[153:154], v[139:140], v[143:144]
	v_add_f64 v[39:40], v[39:40], v[145:146]
	v_add_f64 v[147:148], v[149:150], v[147:148]
	ds_load_b128 v[143:146], v1 offset:672
	v_fma_f64 v[151:152], v[139:140], v[141:142], v[151:152]
	v_fma_f64 v[141:142], v[137:138], v[141:142], -v[153:154]
	scratch_load_b128 v[137:140], off, off offset:336
	s_waitcnt vmcnt(9) lgkmcnt(1)
	v_mul_f64 v[149:150], v[2:3], v[131:132]
	v_mul_f64 v[131:132], v[4:5], v[131:132]
	v_add_f64 v[39:40], v[39:40], v[157:158]
	v_add_f64 v[147:148], v[147:148], v[155:156]
	s_delay_alu instid0(VALU_DEP_4) | instskip(NEXT) | instid1(VALU_DEP_4)
	v_fma_f64 v[155:156], v[4:5], v[129:130], v[149:150]
	v_fma_f64 v[157:158], v[2:3], v[129:130], -v[131:132]
	scratch_load_b128 v[129:132], off, off offset:352
	ds_load_b128 v[2:5], v1 offset:688
	s_waitcnt vmcnt(9) lgkmcnt(1)
	v_mul_f64 v[153:154], v[143:144], v[8:9]
	v_mul_f64 v[8:9], v[145:146], v[8:9]
	v_add_f64 v[39:40], v[39:40], v[141:142]
	v_add_f64 v[141:142], v[147:148], v[151:152]
	s_waitcnt vmcnt(8) lgkmcnt(0)
	v_mul_f64 v[151:152], v[2:3], v[12:13]
	v_mul_f64 v[12:13], v[4:5], v[12:13]
	ds_load_b128 v[147:150], v1 offset:704
	v_fma_f64 v[145:146], v[145:146], v[6:7], v[153:154]
	v_fma_f64 v[143:144], v[143:144], v[6:7], -v[8:9]
	scratch_load_b128 v[6:9], off, off offset:368
	v_add_f64 v[39:40], v[39:40], v[157:158]
	v_add_f64 v[141:142], v[141:142], v[155:156]
	v_fma_f64 v[151:152], v[4:5], v[10:11], v[151:152]
	v_fma_f64 v[155:156], v[2:3], v[10:11], -v[12:13]
	scratch_load_b128 v[10:13], off, off offset:384
	ds_load_b128 v[2:5], v1 offset:720
	s_waitcnt vmcnt(9) lgkmcnt(1)
	v_mul_f64 v[153:154], v[147:148], v[16:17]
	v_mul_f64 v[16:17], v[149:150], v[16:17]
	s_waitcnt vmcnt(8) lgkmcnt(0)
	v_mul_f64 v[157:158], v[2:3], v[20:21]
	v_mul_f64 v[20:21], v[4:5], v[20:21]
	v_add_f64 v[39:40], v[39:40], v[143:144]
	v_add_f64 v[145:146], v[141:142], v[145:146]
	ds_load_b128 v[141:144], v1 offset:736
	v_fma_f64 v[149:150], v[149:150], v[14:15], v[153:154]
	v_fma_f64 v[147:148], v[147:148], v[14:15], -v[16:17]
	scratch_load_b128 v[14:17], off, off offset:400
	v_fma_f64 v[153:154], v[4:5], v[18:19], v[157:158]
	v_add_f64 v[39:40], v[39:40], v[155:156]
	v_add_f64 v[145:146], v[145:146], v[151:152]
	v_fma_f64 v[155:156], v[2:3], v[18:19], -v[20:21]
	scratch_load_b128 v[18:21], off, off offset:416
	ds_load_b128 v[2:5], v1 offset:752
	s_waitcnt vmcnt(9) lgkmcnt(1)
	v_mul_f64 v[151:152], v[141:142], v[24:25]
	v_mul_f64 v[24:25], v[143:144], v[24:25]
	s_waitcnt vmcnt(8) lgkmcnt(0)
	v_mul_f64 v[157:158], v[2:3], v[28:29]
	v_mul_f64 v[28:29], v[4:5], v[28:29]
	v_add_f64 v[39:40], v[39:40], v[147:148]
	v_add_f64 v[149:150], v[145:146], v[149:150]
	ds_load_b128 v[145:148], v1 offset:768
	v_fma_f64 v[143:144], v[143:144], v[22:23], v[151:152]
	v_fma_f64 v[141:142], v[141:142], v[22:23], -v[24:25]
	scratch_load_b128 v[22:25], off, off offset:432
	v_add_f64 v[39:40], v[39:40], v[155:156]
	v_add_f64 v[149:150], v[149:150], v[153:154]
	v_fma_f64 v[153:154], v[4:5], v[26:27], v[157:158]
	v_fma_f64 v[155:156], v[2:3], v[26:27], -v[28:29]
	scratch_load_b128 v[26:29], off, off offset:448
	ds_load_b128 v[2:5], v1 offset:784
	s_waitcnt vmcnt(9) lgkmcnt(1)
	v_mul_f64 v[151:152], v[145:146], v[32:33]
	v_mul_f64 v[32:33], v[147:148], v[32:33]
	s_waitcnt vmcnt(8) lgkmcnt(0)
	v_mul_f64 v[157:158], v[2:3], v[36:37]
	v_mul_f64 v[36:37], v[4:5], v[36:37]
	v_add_f64 v[39:40], v[39:40], v[141:142]
	v_add_f64 v[149:150], v[149:150], v[143:144]
	ds_load_b128 v[141:144], v1 offset:800
	v_fma_f64 v[147:148], v[147:148], v[30:31], v[151:152]
	v_fma_f64 v[30:31], v[145:146], v[30:31], -v[32:33]
	s_waitcnt vmcnt(7) lgkmcnt(0)
	v_mul_f64 v[145:146], v[141:142], v[139:140]
	v_mul_f64 v[139:140], v[143:144], v[139:140]
	v_add_f64 v[32:33], v[39:40], v[155:156]
	v_add_f64 v[39:40], v[149:150], v[153:154]
	v_fma_f64 v[149:150], v[4:5], v[34:35], v[157:158]
	v_fma_f64 v[34:35], v[2:3], v[34:35], -v[36:37]
	v_fma_f64 v[143:144], v[143:144], v[137:138], v[145:146]
	v_fma_f64 v[137:138], v[141:142], v[137:138], -v[139:140]
	v_add_f64 v[36:37], v[32:33], v[30:31]
	v_add_f64 v[39:40], v[39:40], v[147:148]
	ds_load_b128 v[2:5], v1 offset:816
	ds_load_b128 v[30:33], v1 offset:832
	s_waitcnt vmcnt(6) lgkmcnt(1)
	v_mul_f64 v[147:148], v[2:3], v[131:132]
	v_mul_f64 v[131:132], v[4:5], v[131:132]
	v_add_f64 v[34:35], v[36:37], v[34:35]
	v_add_f64 v[36:37], v[39:40], v[149:150]
	s_waitcnt vmcnt(5) lgkmcnt(0)
	v_mul_f64 v[39:40], v[30:31], v[8:9]
	v_mul_f64 v[8:9], v[32:33], v[8:9]
	v_fma_f64 v[139:140], v[4:5], v[129:130], v[147:148]
	v_fma_f64 v[129:130], v[2:3], v[129:130], -v[131:132]
	v_add_f64 v[131:132], v[34:35], v[137:138]
	v_add_f64 v[137:138], v[36:37], v[143:144]
	ds_load_b128 v[2:5], v1 offset:848
	ds_load_b128 v[34:37], v1 offset:864
	v_fma_f64 v[32:33], v[32:33], v[6:7], v[39:40]
	v_fma_f64 v[6:7], v[30:31], v[6:7], -v[8:9]
	s_waitcnt vmcnt(4) lgkmcnt(1)
	v_mul_f64 v[141:142], v[2:3], v[12:13]
	v_mul_f64 v[12:13], v[4:5], v[12:13]
	s_waitcnt vmcnt(3) lgkmcnt(0)
	v_mul_f64 v[39:40], v[34:35], v[16:17]
	v_mul_f64 v[16:17], v[36:37], v[16:17]
	v_add_f64 v[8:9], v[131:132], v[129:130]
	v_add_f64 v[30:31], v[137:138], v[139:140]
	v_fma_f64 v[129:130], v[4:5], v[10:11], v[141:142]
	v_fma_f64 v[10:11], v[2:3], v[10:11], -v[12:13]
	v_fma_f64 v[36:37], v[36:37], v[14:15], v[39:40]
	v_fma_f64 v[14:15], v[34:35], v[14:15], -v[16:17]
	v_add_f64 v[12:13], v[8:9], v[6:7]
	v_add_f64 v[30:31], v[30:31], v[32:33]
	ds_load_b128 v[2:5], v1 offset:880
	ds_load_b128 v[6:9], v1 offset:896
	s_waitcnt vmcnt(2) lgkmcnt(1)
	v_mul_f64 v[32:33], v[2:3], v[20:21]
	v_mul_f64 v[20:21], v[4:5], v[20:21]
	s_waitcnt vmcnt(1) lgkmcnt(0)
	v_mul_f64 v[16:17], v[6:7], v[24:25]
	v_mul_f64 v[24:25], v[8:9], v[24:25]
	v_add_f64 v[10:11], v[12:13], v[10:11]
	v_add_f64 v[12:13], v[30:31], v[129:130]
	v_fma_f64 v[30:31], v[4:5], v[18:19], v[32:33]
	v_fma_f64 v[18:19], v[2:3], v[18:19], -v[20:21]
	ds_load_b128 v[2:5], v1 offset:912
	v_fma_f64 v[8:9], v[8:9], v[22:23], v[16:17]
	v_fma_f64 v[6:7], v[6:7], v[22:23], -v[24:25]
	v_add_f64 v[10:11], v[10:11], v[14:15]
	v_add_f64 v[12:13], v[12:13], v[36:37]
	s_waitcnt vmcnt(0) lgkmcnt(0)
	v_mul_f64 v[14:15], v[2:3], v[28:29]
	v_mul_f64 v[20:21], v[4:5], v[28:29]
	s_delay_alu instid0(VALU_DEP_4) | instskip(NEXT) | instid1(VALU_DEP_4)
	v_add_f64 v[10:11], v[10:11], v[18:19]
	v_add_f64 v[12:13], v[12:13], v[30:31]
	s_delay_alu instid0(VALU_DEP_4) | instskip(NEXT) | instid1(VALU_DEP_4)
	v_fma_f64 v[4:5], v[4:5], v[26:27], v[14:15]
	v_fma_f64 v[2:3], v[2:3], v[26:27], -v[20:21]
	s_delay_alu instid0(VALU_DEP_4) | instskip(NEXT) | instid1(VALU_DEP_4)
	v_add_f64 v[6:7], v[10:11], v[6:7]
	v_add_f64 v[8:9], v[12:13], v[8:9]
	s_delay_alu instid0(VALU_DEP_2) | instskip(NEXT) | instid1(VALU_DEP_2)
	v_add_f64 v[2:3], v[6:7], v[2:3]
	v_add_f64 v[4:5], v[8:9], v[4:5]
	s_delay_alu instid0(VALU_DEP_2) | instskip(NEXT) | instid1(VALU_DEP_2)
	v_add_f64 v[2:3], v[133:134], -v[2:3]
	v_add_f64 v[4:5], v[135:136], -v[4:5]
	scratch_store_b128 off, v[2:5], off offset:16
	v_cmpx_ne_u32_e32 0, v100
	s_cbranch_execz .LBB28_187
; %bb.186:
	scratch_load_b128 v[5:8], off, off
	v_mov_b32_e32 v2, v1
	v_mov_b32_e32 v3, v1
	;; [unrolled: 1-line block ×3, first 2 shown]
	scratch_store_b128 off, v[1:4], off
	s_waitcnt vmcnt(0)
	ds_store_b128 v38, v[5:8]
.LBB28_187:
	s_or_b32 exec_lo, exec_lo, s2
	s_waitcnt lgkmcnt(0)
	s_waitcnt_vscnt null, 0x0
	s_barrier
	buffer_gl0_inv
	s_clause 0x8
	scratch_load_b128 v[2:5], off, off offset:16
	scratch_load_b128 v[6:9], off, off offset:32
	;; [unrolled: 1-line block ×9, first 2 shown]
	ds_load_b128 v[129:132], v1 offset:480
	ds_load_b128 v[38:41], v1 offset:496
	s_clause 0x1
	scratch_load_b128 v[133:136], off, off
	scratch_load_b128 v[137:140], off, off offset:160
	s_and_b32 vcc_lo, exec_lo, s20
	s_waitcnt vmcnt(10) lgkmcnt(1)
	v_mul_f64 v[141:142], v[131:132], v[4:5]
	v_mul_f64 v[4:5], v[129:130], v[4:5]
	s_waitcnt vmcnt(9) lgkmcnt(0)
	v_mul_f64 v[145:146], v[38:39], v[8:9]
	v_mul_f64 v[8:9], v[40:41], v[8:9]
	s_delay_alu instid0(VALU_DEP_4) | instskip(NEXT) | instid1(VALU_DEP_4)
	v_fma_f64 v[147:148], v[129:130], v[2:3], -v[141:142]
	v_fma_f64 v[149:150], v[131:132], v[2:3], v[4:5]
	ds_load_b128 v[2:5], v1 offset:512
	ds_load_b128 v[141:144], v1 offset:528
	scratch_load_b128 v[129:132], off, off offset:176
	v_fma_f64 v[40:41], v[40:41], v[6:7], v[145:146]
	v_fma_f64 v[38:39], v[38:39], v[6:7], -v[8:9]
	scratch_load_b128 v[6:9], off, off offset:192
	s_waitcnt vmcnt(10) lgkmcnt(1)
	v_mul_f64 v[151:152], v[2:3], v[12:13]
	v_mul_f64 v[12:13], v[4:5], v[12:13]
	v_add_f64 v[145:146], v[147:148], 0
	v_add_f64 v[147:148], v[149:150], 0
	s_waitcnt vmcnt(9) lgkmcnt(0)
	v_mul_f64 v[149:150], v[141:142], v[16:17]
	v_mul_f64 v[16:17], v[143:144], v[16:17]
	v_fma_f64 v[151:152], v[4:5], v[10:11], v[151:152]
	v_fma_f64 v[153:154], v[2:3], v[10:11], -v[12:13]
	ds_load_b128 v[2:5], v1 offset:544
	scratch_load_b128 v[10:13], off, off offset:208
	v_add_f64 v[145:146], v[145:146], v[38:39]
	v_add_f64 v[147:148], v[147:148], v[40:41]
	ds_load_b128 v[38:41], v1 offset:560
	v_fma_f64 v[143:144], v[143:144], v[14:15], v[149:150]
	v_fma_f64 v[141:142], v[141:142], v[14:15], -v[16:17]
	scratch_load_b128 v[14:17], off, off offset:224
	s_waitcnt vmcnt(10) lgkmcnt(1)
	v_mul_f64 v[155:156], v[2:3], v[20:21]
	v_mul_f64 v[20:21], v[4:5], v[20:21]
	s_waitcnt vmcnt(9) lgkmcnt(0)
	v_mul_f64 v[149:150], v[38:39], v[24:25]
	v_mul_f64 v[24:25], v[40:41], v[24:25]
	v_add_f64 v[145:146], v[145:146], v[153:154]
	v_add_f64 v[147:148], v[147:148], v[151:152]
	v_fma_f64 v[151:152], v[4:5], v[18:19], v[155:156]
	v_fma_f64 v[153:154], v[2:3], v[18:19], -v[20:21]
	ds_load_b128 v[2:5], v1 offset:576
	scratch_load_b128 v[18:21], off, off offset:240
	v_fma_f64 v[40:41], v[40:41], v[22:23], v[149:150]
	v_fma_f64 v[38:39], v[38:39], v[22:23], -v[24:25]
	scratch_load_b128 v[22:25], off, off offset:256
	v_add_f64 v[145:146], v[145:146], v[141:142]
	v_add_f64 v[147:148], v[147:148], v[143:144]
	ds_load_b128 v[141:144], v1 offset:592
	s_waitcnt vmcnt(10) lgkmcnt(1)
	v_mul_f64 v[155:156], v[2:3], v[28:29]
	v_mul_f64 v[28:29], v[4:5], v[28:29]
	s_waitcnt vmcnt(9) lgkmcnt(0)
	v_mul_f64 v[149:150], v[141:142], v[32:33]
	v_mul_f64 v[32:33], v[143:144], v[32:33]
	v_add_f64 v[145:146], v[145:146], v[153:154]
	v_add_f64 v[147:148], v[147:148], v[151:152]
	v_fma_f64 v[151:152], v[4:5], v[26:27], v[155:156]
	v_fma_f64 v[153:154], v[2:3], v[26:27], -v[28:29]
	ds_load_b128 v[2:5], v1 offset:608
	scratch_load_b128 v[26:29], off, off offset:272
	v_fma_f64 v[143:144], v[143:144], v[30:31], v[149:150]
	v_fma_f64 v[141:142], v[141:142], v[30:31], -v[32:33]
	scratch_load_b128 v[30:33], off, off offset:288
	v_add_f64 v[145:146], v[145:146], v[38:39]
	v_add_f64 v[147:148], v[147:148], v[40:41]
	ds_load_b128 v[38:41], v1 offset:624
	s_waitcnt vmcnt(10) lgkmcnt(1)
	v_mul_f64 v[155:156], v[2:3], v[36:37]
	v_mul_f64 v[36:37], v[4:5], v[36:37]
	s_waitcnt vmcnt(8) lgkmcnt(0)
	v_mul_f64 v[149:150], v[38:39], v[139:140]
	v_add_f64 v[145:146], v[145:146], v[153:154]
	v_add_f64 v[147:148], v[147:148], v[151:152]
	v_mul_f64 v[151:152], v[40:41], v[139:140]
	v_fma_f64 v[153:154], v[4:5], v[34:35], v[155:156]
	v_fma_f64 v[155:156], v[2:3], v[34:35], -v[36:37]
	ds_load_b128 v[2:5], v1 offset:640
	scratch_load_b128 v[34:37], off, off offset:304
	v_fma_f64 v[149:150], v[40:41], v[137:138], v[149:150]
	v_add_f64 v[145:146], v[145:146], v[141:142]
	v_add_f64 v[143:144], v[147:148], v[143:144]
	ds_load_b128 v[139:142], v1 offset:656
	v_fma_f64 v[137:138], v[38:39], v[137:138], -v[151:152]
	scratch_load_b128 v[38:41], off, off offset:320
	s_waitcnt vmcnt(9) lgkmcnt(1)
	v_mul_f64 v[147:148], v[2:3], v[131:132]
	v_mul_f64 v[131:132], v[4:5], v[131:132]
	s_waitcnt vmcnt(8) lgkmcnt(0)
	v_mul_f64 v[151:152], v[139:140], v[8:9]
	v_mul_f64 v[8:9], v[141:142], v[8:9]
	v_add_f64 v[145:146], v[145:146], v[155:156]
	v_add_f64 v[143:144], v[143:144], v[153:154]
	v_fma_f64 v[147:148], v[4:5], v[129:130], v[147:148]
	v_fma_f64 v[153:154], v[2:3], v[129:130], -v[131:132]
	ds_load_b128 v[2:5], v1 offset:672
	scratch_load_b128 v[129:132], off, off offset:336
	v_fma_f64 v[141:142], v[141:142], v[6:7], v[151:152]
	v_fma_f64 v[139:140], v[139:140], v[6:7], -v[8:9]
	scratch_load_b128 v[6:9], off, off offset:352
	v_add_f64 v[137:138], v[145:146], v[137:138]
	v_add_f64 v[149:150], v[143:144], v[149:150]
	ds_load_b128 v[143:146], v1 offset:688
	s_waitcnt vmcnt(9) lgkmcnt(1)
	v_mul_f64 v[155:156], v[2:3], v[12:13]
	v_mul_f64 v[12:13], v[4:5], v[12:13]
	v_add_f64 v[137:138], v[137:138], v[153:154]
	v_add_f64 v[147:148], v[149:150], v[147:148]
	s_waitcnt vmcnt(8) lgkmcnt(0)
	v_mul_f64 v[149:150], v[143:144], v[16:17]
	v_mul_f64 v[16:17], v[145:146], v[16:17]
	v_fma_f64 v[151:152], v[4:5], v[10:11], v[155:156]
	v_fma_f64 v[153:154], v[2:3], v[10:11], -v[12:13]
	ds_load_b128 v[2:5], v1 offset:704
	scratch_load_b128 v[10:13], off, off offset:368
	v_add_f64 v[155:156], v[137:138], v[139:140]
	v_add_f64 v[141:142], v[147:148], v[141:142]
	ds_load_b128 v[137:140], v1 offset:720
	s_waitcnt vmcnt(8) lgkmcnt(1)
	v_mul_f64 v[147:148], v[2:3], v[20:21]
	v_mul_f64 v[20:21], v[4:5], v[20:21]
	v_fma_f64 v[145:146], v[145:146], v[14:15], v[149:150]
	v_fma_f64 v[143:144], v[143:144], v[14:15], -v[16:17]
	scratch_load_b128 v[14:17], off, off offset:384
	v_add_f64 v[149:150], v[155:156], v[153:154]
	v_add_f64 v[141:142], v[141:142], v[151:152]
	s_waitcnt vmcnt(8) lgkmcnt(0)
	v_mul_f64 v[151:152], v[137:138], v[24:25]
	v_mul_f64 v[24:25], v[139:140], v[24:25]
	v_fma_f64 v[147:148], v[4:5], v[18:19], v[147:148]
	v_fma_f64 v[153:154], v[2:3], v[18:19], -v[20:21]
	ds_load_b128 v[2:5], v1 offset:736
	scratch_load_b128 v[18:21], off, off offset:400
	v_add_f64 v[149:150], v[149:150], v[143:144]
	v_add_f64 v[145:146], v[141:142], v[145:146]
	ds_load_b128 v[141:144], v1 offset:752
	s_waitcnt vmcnt(8) lgkmcnt(1)
	v_mul_f64 v[155:156], v[2:3], v[28:29]
	v_mul_f64 v[28:29], v[4:5], v[28:29]
	v_fma_f64 v[139:140], v[139:140], v[22:23], v[151:152]
	v_fma_f64 v[137:138], v[137:138], v[22:23], -v[24:25]
	scratch_load_b128 v[22:25], off, off offset:416
	;; [unrolled: 18-line block ×3, first 2 shown]
	v_add_f64 v[147:148], v[149:150], v[153:154]
	v_add_f64 v[145:146], v[145:146], v[151:152]
	s_waitcnt vmcnt(8) lgkmcnt(0)
	v_mul_f64 v[149:150], v[137:138], v[40:41]
	v_mul_f64 v[40:41], v[139:140], v[40:41]
	v_fma_f64 v[151:152], v[4:5], v[34:35], v[155:156]
	v_fma_f64 v[153:154], v[2:3], v[34:35], -v[36:37]
	ds_load_b128 v[2:5], v1 offset:800
	ds_load_b128 v[34:37], v1 offset:816
	v_add_f64 v[141:142], v[147:148], v[141:142]
	v_add_f64 v[143:144], v[145:146], v[143:144]
	s_waitcnt vmcnt(7) lgkmcnt(1)
	v_mul_f64 v[145:146], v[2:3], v[131:132]
	v_mul_f64 v[131:132], v[4:5], v[131:132]
	v_fma_f64 v[139:140], v[139:140], v[38:39], v[149:150]
	v_fma_f64 v[38:39], v[137:138], v[38:39], -v[40:41]
	v_add_f64 v[40:41], v[141:142], v[153:154]
	v_add_f64 v[137:138], v[143:144], v[151:152]
	s_waitcnt vmcnt(6) lgkmcnt(0)
	v_mul_f64 v[141:142], v[34:35], v[8:9]
	v_mul_f64 v[8:9], v[36:37], v[8:9]
	v_fma_f64 v[143:144], v[4:5], v[129:130], v[145:146]
	v_fma_f64 v[129:130], v[2:3], v[129:130], -v[131:132]
	v_add_f64 v[131:132], v[40:41], v[38:39]
	v_add_f64 v[137:138], v[137:138], v[139:140]
	ds_load_b128 v[2:5], v1 offset:832
	ds_load_b128 v[38:41], v1 offset:848
	v_fma_f64 v[36:37], v[36:37], v[6:7], v[141:142]
	v_fma_f64 v[6:7], v[34:35], v[6:7], -v[8:9]
	s_waitcnt vmcnt(5) lgkmcnt(1)
	v_mul_f64 v[139:140], v[2:3], v[12:13]
	v_mul_f64 v[12:13], v[4:5], v[12:13]
	v_add_f64 v[8:9], v[131:132], v[129:130]
	v_add_f64 v[34:35], v[137:138], v[143:144]
	s_waitcnt vmcnt(4) lgkmcnt(0)
	v_mul_f64 v[129:130], v[38:39], v[16:17]
	v_mul_f64 v[16:17], v[40:41], v[16:17]
	v_fma_f64 v[131:132], v[4:5], v[10:11], v[139:140]
	v_fma_f64 v[10:11], v[2:3], v[10:11], -v[12:13]
	v_add_f64 v[12:13], v[8:9], v[6:7]
	v_add_f64 v[34:35], v[34:35], v[36:37]
	ds_load_b128 v[2:5], v1 offset:864
	ds_load_b128 v[6:9], v1 offset:880
	v_fma_f64 v[40:41], v[40:41], v[14:15], v[129:130]
	v_fma_f64 v[14:15], v[38:39], v[14:15], -v[16:17]
	s_waitcnt vmcnt(3) lgkmcnt(1)
	v_mul_f64 v[36:37], v[2:3], v[20:21]
	v_mul_f64 v[20:21], v[4:5], v[20:21]
	s_waitcnt vmcnt(2) lgkmcnt(0)
	v_mul_f64 v[16:17], v[6:7], v[24:25]
	v_mul_f64 v[24:25], v[8:9], v[24:25]
	v_add_f64 v[10:11], v[12:13], v[10:11]
	v_add_f64 v[12:13], v[34:35], v[131:132]
	v_fma_f64 v[34:35], v[4:5], v[18:19], v[36:37]
	v_fma_f64 v[18:19], v[2:3], v[18:19], -v[20:21]
	v_fma_f64 v[8:9], v[8:9], v[22:23], v[16:17]
	v_fma_f64 v[6:7], v[6:7], v[22:23], -v[24:25]
	v_add_f64 v[14:15], v[10:11], v[14:15]
	v_add_f64 v[20:21], v[12:13], v[40:41]
	ds_load_b128 v[2:5], v1 offset:896
	ds_load_b128 v[10:13], v1 offset:912
	s_waitcnt vmcnt(1) lgkmcnt(1)
	v_mul_f64 v[36:37], v[2:3], v[28:29]
	v_mul_f64 v[28:29], v[4:5], v[28:29]
	v_add_f64 v[14:15], v[14:15], v[18:19]
	v_add_f64 v[16:17], v[20:21], v[34:35]
	s_waitcnt vmcnt(0) lgkmcnt(0)
	v_mul_f64 v[18:19], v[10:11], v[32:33]
	v_mul_f64 v[20:21], v[12:13], v[32:33]
	v_fma_f64 v[4:5], v[4:5], v[26:27], v[36:37]
	v_fma_f64 v[1:2], v[2:3], v[26:27], -v[28:29]
	v_add_f64 v[6:7], v[14:15], v[6:7]
	v_add_f64 v[8:9], v[16:17], v[8:9]
	v_fma_f64 v[12:13], v[12:13], v[30:31], v[18:19]
	v_fma_f64 v[10:11], v[10:11], v[30:31], -v[20:21]
	s_delay_alu instid0(VALU_DEP_4) | instskip(NEXT) | instid1(VALU_DEP_4)
	v_add_f64 v[1:2], v[6:7], v[1:2]
	v_add_f64 v[3:4], v[8:9], v[4:5]
	s_delay_alu instid0(VALU_DEP_2) | instskip(NEXT) | instid1(VALU_DEP_2)
	v_add_f64 v[1:2], v[1:2], v[10:11]
	v_add_f64 v[3:4], v[3:4], v[12:13]
	s_delay_alu instid0(VALU_DEP_2) | instskip(NEXT) | instid1(VALU_DEP_2)
	v_add_f64 v[1:2], v[133:134], -v[1:2]
	v_add_f64 v[3:4], v[135:136], -v[3:4]
	scratch_store_b128 off, v[1:4], off
	s_cbranch_vccz .LBB28_245
; %bb.188:
	v_dual_mov_b32 v1, s16 :: v_dual_mov_b32 v2, s17
	s_load_b64 s[0:1], s[0:1], 0x4
	flat_load_b32 v1, v[1:2] offset:108
	v_bfe_u32 v2, v0, 10, 10
	v_bfe_u32 v0, v0, 20, 10
	s_waitcnt lgkmcnt(0)
	s_lshr_b32 s0, s0, 16
	s_delay_alu instid0(VALU_DEP_2) | instskip(SKIP_1) | instid1(SALU_CYCLE_1)
	v_mul_u32_u24_e32 v2, s1, v2
	s_mul_i32 s0, s0, s1
	v_mul_u32_u24_e32 v3, s0, v100
	s_mov_b32 s0, exec_lo
	s_delay_alu instid0(VALU_DEP_1) | instskip(NEXT) | instid1(VALU_DEP_1)
	v_add3_u32 v0, v3, v2, v0
	v_lshl_add_u32 v0, v0, 4, 0x3a8
	s_waitcnt vmcnt(0)
	v_cmpx_ne_u32_e32 28, v1
	s_cbranch_execz .LBB28_190
; %bb.189:
	v_lshl_add_u32 v9, v1, 4, 0
	s_clause 0x1
	scratch_load_b128 v[1:4], v119, off
	scratch_load_b128 v[5:8], v9, off offset:-16
	s_waitcnt vmcnt(1)
	ds_store_2addr_b64 v0, v[1:2], v[3:4] offset1:1
	s_waitcnt vmcnt(0)
	s_clause 0x1
	scratch_store_b128 v119, v[5:8], off
	scratch_store_b128 v9, v[1:4], off offset:-16
.LBB28_190:
	s_or_b32 exec_lo, exec_lo, s0
	v_dual_mov_b32 v1, s16 :: v_dual_mov_b32 v2, s17
	s_mov_b32 s0, exec_lo
	flat_load_b32 v1, v[1:2] offset:104
	s_waitcnt vmcnt(0) lgkmcnt(0)
	v_cmpx_ne_u32_e32 27, v1
	s_cbranch_execz .LBB28_192
; %bb.191:
	v_lshl_add_u32 v9, v1, 4, 0
	s_clause 0x1
	scratch_load_b128 v[1:4], v120, off
	scratch_load_b128 v[5:8], v9, off offset:-16
	s_waitcnt vmcnt(1)
	ds_store_2addr_b64 v0, v[1:2], v[3:4] offset1:1
	s_waitcnt vmcnt(0)
	s_clause 0x1
	scratch_store_b128 v120, v[5:8], off
	scratch_store_b128 v9, v[1:4], off offset:-16
.LBB28_192:
	s_or_b32 exec_lo, exec_lo, s0
	v_dual_mov_b32 v1, s16 :: v_dual_mov_b32 v2, s17
	s_mov_b32 s0, exec_lo
	flat_load_b32 v1, v[1:2] offset:100
	s_waitcnt vmcnt(0) lgkmcnt(0)
	v_cmpx_ne_u32_e32 26, v1
	s_cbranch_execz .LBB28_194
; %bb.193:
	v_lshl_add_u32 v9, v1, 4, 0
	s_clause 0x1
	scratch_load_b128 v[1:4], v121, off
	scratch_load_b128 v[5:8], v9, off offset:-16
	s_waitcnt vmcnt(1)
	ds_store_2addr_b64 v0, v[1:2], v[3:4] offset1:1
	s_waitcnt vmcnt(0)
	s_clause 0x1
	scratch_store_b128 v121, v[5:8], off
	scratch_store_b128 v9, v[1:4], off offset:-16
.LBB28_194:
	s_or_b32 exec_lo, exec_lo, s0
	v_dual_mov_b32 v1, s16 :: v_dual_mov_b32 v2, s17
	s_mov_b32 s0, exec_lo
	flat_load_b32 v1, v[1:2] offset:96
	s_waitcnt vmcnt(0) lgkmcnt(0)
	v_cmpx_ne_u32_e32 25, v1
	s_cbranch_execz .LBB28_196
; %bb.195:
	v_lshl_add_u32 v9, v1, 4, 0
	s_clause 0x1
	scratch_load_b128 v[1:4], v122, off
	scratch_load_b128 v[5:8], v9, off offset:-16
	s_waitcnt vmcnt(1)
	ds_store_2addr_b64 v0, v[1:2], v[3:4] offset1:1
	s_waitcnt vmcnt(0)
	s_clause 0x1
	scratch_store_b128 v122, v[5:8], off
	scratch_store_b128 v9, v[1:4], off offset:-16
.LBB28_196:
	s_or_b32 exec_lo, exec_lo, s0
	v_dual_mov_b32 v1, s16 :: v_dual_mov_b32 v2, s17
	s_mov_b32 s0, exec_lo
	flat_load_b32 v1, v[1:2] offset:92
	s_waitcnt vmcnt(0) lgkmcnt(0)
	v_cmpx_ne_u32_e32 24, v1
	s_cbranch_execz .LBB28_198
; %bb.197:
	v_lshl_add_u32 v9, v1, 4, 0
	s_clause 0x1
	scratch_load_b128 v[1:4], v123, off
	scratch_load_b128 v[5:8], v9, off offset:-16
	s_waitcnt vmcnt(1)
	ds_store_2addr_b64 v0, v[1:2], v[3:4] offset1:1
	s_waitcnt vmcnt(0)
	s_clause 0x1
	scratch_store_b128 v123, v[5:8], off
	scratch_store_b128 v9, v[1:4], off offset:-16
.LBB28_198:
	s_or_b32 exec_lo, exec_lo, s0
	v_dual_mov_b32 v1, s16 :: v_dual_mov_b32 v2, s17
	s_mov_b32 s0, exec_lo
	flat_load_b32 v1, v[1:2] offset:88
	s_waitcnt vmcnt(0) lgkmcnt(0)
	v_cmpx_ne_u32_e32 23, v1
	s_cbranch_execz .LBB28_200
; %bb.199:
	v_lshl_add_u32 v9, v1, 4, 0
	s_clause 0x1
	scratch_load_b128 v[1:4], v124, off
	scratch_load_b128 v[5:8], v9, off offset:-16
	s_waitcnt vmcnt(1)
	ds_store_2addr_b64 v0, v[1:2], v[3:4] offset1:1
	s_waitcnt vmcnt(0)
	s_clause 0x1
	scratch_store_b128 v124, v[5:8], off
	scratch_store_b128 v9, v[1:4], off offset:-16
.LBB28_200:
	s_or_b32 exec_lo, exec_lo, s0
	v_dual_mov_b32 v1, s16 :: v_dual_mov_b32 v2, s17
	s_mov_b32 s0, exec_lo
	flat_load_b32 v1, v[1:2] offset:84
	s_waitcnt vmcnt(0) lgkmcnt(0)
	v_cmpx_ne_u32_e32 22, v1
	s_cbranch_execz .LBB28_202
; %bb.201:
	v_lshl_add_u32 v9, v1, 4, 0
	s_clause 0x1
	scratch_load_b128 v[1:4], v125, off
	scratch_load_b128 v[5:8], v9, off offset:-16
	s_waitcnt vmcnt(1)
	ds_store_2addr_b64 v0, v[1:2], v[3:4] offset1:1
	s_waitcnt vmcnt(0)
	s_clause 0x1
	scratch_store_b128 v125, v[5:8], off
	scratch_store_b128 v9, v[1:4], off offset:-16
.LBB28_202:
	s_or_b32 exec_lo, exec_lo, s0
	v_dual_mov_b32 v1, s16 :: v_dual_mov_b32 v2, s17
	s_mov_b32 s0, exec_lo
	flat_load_b32 v1, v[1:2] offset:80
	s_waitcnt vmcnt(0) lgkmcnt(0)
	v_cmpx_ne_u32_e32 21, v1
	s_cbranch_execz .LBB28_204
; %bb.203:
	v_lshl_add_u32 v9, v1, 4, 0
	s_clause 0x1
	scratch_load_b128 v[1:4], v126, off
	scratch_load_b128 v[5:8], v9, off offset:-16
	s_waitcnt vmcnt(1)
	ds_store_2addr_b64 v0, v[1:2], v[3:4] offset1:1
	s_waitcnt vmcnt(0)
	s_clause 0x1
	scratch_store_b128 v126, v[5:8], off
	scratch_store_b128 v9, v[1:4], off offset:-16
.LBB28_204:
	s_or_b32 exec_lo, exec_lo, s0
	v_dual_mov_b32 v1, s16 :: v_dual_mov_b32 v2, s17
	s_mov_b32 s0, exec_lo
	flat_load_b32 v1, v[1:2] offset:76
	s_waitcnt vmcnt(0) lgkmcnt(0)
	v_cmpx_ne_u32_e32 20, v1
	s_cbranch_execz .LBB28_206
; %bb.205:
	v_lshl_add_u32 v9, v1, 4, 0
	s_clause 0x1
	scratch_load_b128 v[1:4], v127, off
	scratch_load_b128 v[5:8], v9, off offset:-16
	s_waitcnt vmcnt(1)
	ds_store_2addr_b64 v0, v[1:2], v[3:4] offset1:1
	s_waitcnt vmcnt(0)
	s_clause 0x1
	scratch_store_b128 v127, v[5:8], off
	scratch_store_b128 v9, v[1:4], off offset:-16
.LBB28_206:
	s_or_b32 exec_lo, exec_lo, s0
	v_dual_mov_b32 v1, s16 :: v_dual_mov_b32 v2, s17
	s_mov_b32 s0, exec_lo
	flat_load_b32 v1, v[1:2] offset:72
	s_waitcnt vmcnt(0) lgkmcnt(0)
	v_cmpx_ne_u32_e32 19, v1
	s_cbranch_execz .LBB28_208
; %bb.207:
	v_lshl_add_u32 v9, v1, 4, 0
	s_clause 0x1
	scratch_load_b128 v[1:4], v128, off
	scratch_load_b128 v[5:8], v9, off offset:-16
	s_waitcnt vmcnt(1)
	ds_store_2addr_b64 v0, v[1:2], v[3:4] offset1:1
	s_waitcnt vmcnt(0)
	s_clause 0x1
	scratch_store_b128 v128, v[5:8], off
	scratch_store_b128 v9, v[1:4], off offset:-16
.LBB28_208:
	s_or_b32 exec_lo, exec_lo, s0
	v_dual_mov_b32 v1, s16 :: v_dual_mov_b32 v2, s17
	s_mov_b32 s0, exec_lo
	flat_load_b32 v1, v[1:2] offset:68
	s_waitcnt vmcnt(0) lgkmcnt(0)
	v_cmpx_ne_u32_e32 18, v1
	s_cbranch_execz .LBB28_210
; %bb.209:
	v_lshl_add_u32 v9, v1, 4, 0
	s_clause 0x1
	scratch_load_b128 v[1:4], v106, off
	scratch_load_b128 v[5:8], v9, off offset:-16
	s_waitcnt vmcnt(1)
	ds_store_2addr_b64 v0, v[1:2], v[3:4] offset1:1
	s_waitcnt vmcnt(0)
	s_clause 0x1
	scratch_store_b128 v106, v[5:8], off
	scratch_store_b128 v9, v[1:4], off offset:-16
.LBB28_210:
	s_or_b32 exec_lo, exec_lo, s0
	v_dual_mov_b32 v1, s16 :: v_dual_mov_b32 v2, s17
	s_mov_b32 s0, exec_lo
	flat_load_b32 v1, v[1:2] offset:64
	s_waitcnt vmcnt(0) lgkmcnt(0)
	v_cmpx_ne_u32_e32 17, v1
	s_cbranch_execz .LBB28_212
; %bb.211:
	v_lshl_add_u32 v9, v1, 4, 0
	s_clause 0x1
	scratch_load_b128 v[1:4], v105, off
	scratch_load_b128 v[5:8], v9, off offset:-16
	s_waitcnt vmcnt(1)
	ds_store_2addr_b64 v0, v[1:2], v[3:4] offset1:1
	s_waitcnt vmcnt(0)
	s_clause 0x1
	scratch_store_b128 v105, v[5:8], off
	scratch_store_b128 v9, v[1:4], off offset:-16
.LBB28_212:
	s_or_b32 exec_lo, exec_lo, s0
	v_dual_mov_b32 v1, s16 :: v_dual_mov_b32 v2, s17
	s_mov_b32 s0, exec_lo
	flat_load_b32 v1, v[1:2] offset:60
	s_waitcnt vmcnt(0) lgkmcnt(0)
	v_cmpx_ne_u32_e32 16, v1
	s_cbranch_execz .LBB28_214
; %bb.213:
	v_lshl_add_u32 v9, v1, 4, 0
	s_clause 0x1
	scratch_load_b128 v[1:4], v107, off
	scratch_load_b128 v[5:8], v9, off offset:-16
	s_waitcnt vmcnt(1)
	ds_store_2addr_b64 v0, v[1:2], v[3:4] offset1:1
	s_waitcnt vmcnt(0)
	s_clause 0x1
	scratch_store_b128 v107, v[5:8], off
	scratch_store_b128 v9, v[1:4], off offset:-16
.LBB28_214:
	s_or_b32 exec_lo, exec_lo, s0
	v_dual_mov_b32 v1, s16 :: v_dual_mov_b32 v2, s17
	s_mov_b32 s0, exec_lo
	flat_load_b32 v1, v[1:2] offset:56
	s_waitcnt vmcnt(0) lgkmcnt(0)
	v_cmpx_ne_u32_e32 15, v1
	s_cbranch_execz .LBB28_216
; %bb.215:
	v_lshl_add_u32 v9, v1, 4, 0
	s_clause 0x1
	scratch_load_b128 v[1:4], v108, off
	scratch_load_b128 v[5:8], v9, off offset:-16
	s_waitcnt vmcnt(1)
	ds_store_2addr_b64 v0, v[1:2], v[3:4] offset1:1
	s_waitcnt vmcnt(0)
	s_clause 0x1
	scratch_store_b128 v108, v[5:8], off
	scratch_store_b128 v9, v[1:4], off offset:-16
.LBB28_216:
	s_or_b32 exec_lo, exec_lo, s0
	v_dual_mov_b32 v1, s16 :: v_dual_mov_b32 v2, s17
	s_mov_b32 s0, exec_lo
	flat_load_b32 v1, v[1:2] offset:52
	s_waitcnt vmcnt(0) lgkmcnt(0)
	v_cmpx_ne_u32_e32 14, v1
	s_cbranch_execz .LBB28_218
; %bb.217:
	v_lshl_add_u32 v9, v1, 4, 0
	s_clause 0x1
	scratch_load_b128 v[1:4], v110, off
	scratch_load_b128 v[5:8], v9, off offset:-16
	s_waitcnt vmcnt(1)
	ds_store_2addr_b64 v0, v[1:2], v[3:4] offset1:1
	s_waitcnt vmcnt(0)
	s_clause 0x1
	scratch_store_b128 v110, v[5:8], off
	scratch_store_b128 v9, v[1:4], off offset:-16
.LBB28_218:
	s_or_b32 exec_lo, exec_lo, s0
	v_dual_mov_b32 v1, s16 :: v_dual_mov_b32 v2, s17
	s_mov_b32 s0, exec_lo
	flat_load_b32 v1, v[1:2] offset:48
	s_waitcnt vmcnt(0) lgkmcnt(0)
	v_cmpx_ne_u32_e32 13, v1
	s_cbranch_execz .LBB28_220
; %bb.219:
	v_lshl_add_u32 v9, v1, 4, 0
	s_clause 0x1
	scratch_load_b128 v[1:4], v109, off
	scratch_load_b128 v[5:8], v9, off offset:-16
	s_waitcnt vmcnt(1)
	ds_store_2addr_b64 v0, v[1:2], v[3:4] offset1:1
	s_waitcnt vmcnt(0)
	s_clause 0x1
	scratch_store_b128 v109, v[5:8], off
	scratch_store_b128 v9, v[1:4], off offset:-16
.LBB28_220:
	s_or_b32 exec_lo, exec_lo, s0
	v_dual_mov_b32 v1, s16 :: v_dual_mov_b32 v2, s17
	s_mov_b32 s0, exec_lo
	flat_load_b32 v1, v[1:2] offset:44
	s_waitcnt vmcnt(0) lgkmcnt(0)
	v_cmpx_ne_u32_e32 12, v1
	s_cbranch_execz .LBB28_222
; %bb.221:
	v_lshl_add_u32 v9, v1, 4, 0
	s_clause 0x1
	scratch_load_b128 v[1:4], v111, off
	scratch_load_b128 v[5:8], v9, off offset:-16
	s_waitcnt vmcnt(1)
	ds_store_2addr_b64 v0, v[1:2], v[3:4] offset1:1
	s_waitcnt vmcnt(0)
	s_clause 0x1
	scratch_store_b128 v111, v[5:8], off
	scratch_store_b128 v9, v[1:4], off offset:-16
.LBB28_222:
	s_or_b32 exec_lo, exec_lo, s0
	v_dual_mov_b32 v1, s16 :: v_dual_mov_b32 v2, s17
	s_mov_b32 s0, exec_lo
	flat_load_b32 v1, v[1:2] offset:40
	s_waitcnt vmcnt(0) lgkmcnt(0)
	v_cmpx_ne_u32_e32 11, v1
	s_cbranch_execz .LBB28_224
; %bb.223:
	v_lshl_add_u32 v9, v1, 4, 0
	s_clause 0x1
	scratch_load_b128 v[1:4], v112, off
	scratch_load_b128 v[5:8], v9, off offset:-16
	s_waitcnt vmcnt(1)
	ds_store_2addr_b64 v0, v[1:2], v[3:4] offset1:1
	s_waitcnt vmcnt(0)
	s_clause 0x1
	scratch_store_b128 v112, v[5:8], off
	scratch_store_b128 v9, v[1:4], off offset:-16
.LBB28_224:
	s_or_b32 exec_lo, exec_lo, s0
	v_dual_mov_b32 v1, s16 :: v_dual_mov_b32 v2, s17
	s_mov_b32 s0, exec_lo
	flat_load_b32 v1, v[1:2] offset:36
	s_waitcnt vmcnt(0) lgkmcnt(0)
	v_cmpx_ne_u32_e32 10, v1
	s_cbranch_execz .LBB28_226
; %bb.225:
	v_lshl_add_u32 v9, v1, 4, 0
	s_clause 0x1
	scratch_load_b128 v[1:4], v114, off
	scratch_load_b128 v[5:8], v9, off offset:-16
	s_waitcnt vmcnt(1)
	ds_store_2addr_b64 v0, v[1:2], v[3:4] offset1:1
	s_waitcnt vmcnt(0)
	s_clause 0x1
	scratch_store_b128 v114, v[5:8], off
	scratch_store_b128 v9, v[1:4], off offset:-16
.LBB28_226:
	s_or_b32 exec_lo, exec_lo, s0
	v_dual_mov_b32 v1, s16 :: v_dual_mov_b32 v2, s17
	s_mov_b32 s0, exec_lo
	flat_load_b32 v1, v[1:2] offset:32
	s_waitcnt vmcnt(0) lgkmcnt(0)
	v_cmpx_ne_u32_e32 9, v1
	s_cbranch_execz .LBB28_228
; %bb.227:
	v_lshl_add_u32 v9, v1, 4, 0
	s_clause 0x1
	scratch_load_b128 v[1:4], v113, off
	scratch_load_b128 v[5:8], v9, off offset:-16
	s_waitcnt vmcnt(1)
	ds_store_2addr_b64 v0, v[1:2], v[3:4] offset1:1
	s_waitcnt vmcnt(0)
	s_clause 0x1
	scratch_store_b128 v113, v[5:8], off
	scratch_store_b128 v9, v[1:4], off offset:-16
.LBB28_228:
	s_or_b32 exec_lo, exec_lo, s0
	v_dual_mov_b32 v1, s16 :: v_dual_mov_b32 v2, s17
	s_mov_b32 s0, exec_lo
	flat_load_b32 v1, v[1:2] offset:28
	s_waitcnt vmcnt(0) lgkmcnt(0)
	v_cmpx_ne_u32_e32 8, v1
	s_cbranch_execz .LBB28_230
; %bb.229:
	v_lshl_add_u32 v9, v1, 4, 0
	s_clause 0x1
	scratch_load_b128 v[1:4], v115, off
	scratch_load_b128 v[5:8], v9, off offset:-16
	s_waitcnt vmcnt(1)
	ds_store_2addr_b64 v0, v[1:2], v[3:4] offset1:1
	s_waitcnt vmcnt(0)
	s_clause 0x1
	scratch_store_b128 v115, v[5:8], off
	scratch_store_b128 v9, v[1:4], off offset:-16
.LBB28_230:
	s_or_b32 exec_lo, exec_lo, s0
	v_dual_mov_b32 v1, s16 :: v_dual_mov_b32 v2, s17
	s_mov_b32 s0, exec_lo
	flat_load_b32 v1, v[1:2] offset:24
	s_waitcnt vmcnt(0) lgkmcnt(0)
	v_cmpx_ne_u32_e32 7, v1
	s_cbranch_execz .LBB28_232
; %bb.231:
	v_lshl_add_u32 v9, v1, 4, 0
	s_clause 0x1
	scratch_load_b128 v[1:4], v116, off
	scratch_load_b128 v[5:8], v9, off offset:-16
	s_waitcnt vmcnt(1)
	ds_store_2addr_b64 v0, v[1:2], v[3:4] offset1:1
	s_waitcnt vmcnt(0)
	s_clause 0x1
	scratch_store_b128 v116, v[5:8], off
	scratch_store_b128 v9, v[1:4], off offset:-16
.LBB28_232:
	s_or_b32 exec_lo, exec_lo, s0
	v_dual_mov_b32 v1, s16 :: v_dual_mov_b32 v2, s17
	s_mov_b32 s0, exec_lo
	flat_load_b32 v1, v[1:2] offset:20
	s_waitcnt vmcnt(0) lgkmcnt(0)
	v_cmpx_ne_u32_e32 6, v1
	s_cbranch_execz .LBB28_234
; %bb.233:
	v_lshl_add_u32 v9, v1, 4, 0
	s_clause 0x1
	scratch_load_b128 v[1:4], v117, off
	scratch_load_b128 v[5:8], v9, off offset:-16
	s_waitcnt vmcnt(1)
	ds_store_2addr_b64 v0, v[1:2], v[3:4] offset1:1
	s_waitcnt vmcnt(0)
	s_clause 0x1
	scratch_store_b128 v117, v[5:8], off
	scratch_store_b128 v9, v[1:4], off offset:-16
.LBB28_234:
	s_or_b32 exec_lo, exec_lo, s0
	v_dual_mov_b32 v1, s16 :: v_dual_mov_b32 v2, s17
	s_mov_b32 s0, exec_lo
	flat_load_b32 v1, v[1:2] offset:16
	s_waitcnt vmcnt(0) lgkmcnt(0)
	v_cmpx_ne_u32_e32 5, v1
	s_cbranch_execz .LBB28_236
; %bb.235:
	v_lshl_add_u32 v9, v1, 4, 0
	s_clause 0x1
	scratch_load_b128 v[1:4], v101, off
	scratch_load_b128 v[5:8], v9, off offset:-16
	s_waitcnt vmcnt(1)
	ds_store_2addr_b64 v0, v[1:2], v[3:4] offset1:1
	s_waitcnt vmcnt(0)
	s_clause 0x1
	scratch_store_b128 v101, v[5:8], off
	scratch_store_b128 v9, v[1:4], off offset:-16
.LBB28_236:
	s_or_b32 exec_lo, exec_lo, s0
	v_dual_mov_b32 v1, s16 :: v_dual_mov_b32 v2, s17
	s_mov_b32 s0, exec_lo
	flat_load_b32 v1, v[1:2] offset:12
	s_waitcnt vmcnt(0) lgkmcnt(0)
	v_cmpx_ne_u32_e32 4, v1
	s_cbranch_execz .LBB28_238
; %bb.237:
	v_lshl_add_u32 v9, v1, 4, 0
	s_clause 0x1
	scratch_load_b128 v[1:4], v102, off
	scratch_load_b128 v[5:8], v9, off offset:-16
	s_waitcnt vmcnt(1)
	ds_store_2addr_b64 v0, v[1:2], v[3:4] offset1:1
	s_waitcnt vmcnt(0)
	s_clause 0x1
	scratch_store_b128 v102, v[5:8], off
	scratch_store_b128 v9, v[1:4], off offset:-16
.LBB28_238:
	s_or_b32 exec_lo, exec_lo, s0
	v_dual_mov_b32 v1, s16 :: v_dual_mov_b32 v2, s17
	s_mov_b32 s0, exec_lo
	flat_load_b32 v1, v[1:2] offset:8
	s_waitcnt vmcnt(0) lgkmcnt(0)
	v_cmpx_ne_u32_e32 3, v1
	s_cbranch_execz .LBB28_240
; %bb.239:
	v_lshl_add_u32 v9, v1, 4, 0
	s_clause 0x1
	scratch_load_b128 v[1:4], v103, off
	scratch_load_b128 v[5:8], v9, off offset:-16
	s_waitcnt vmcnt(1)
	ds_store_2addr_b64 v0, v[1:2], v[3:4] offset1:1
	s_waitcnt vmcnt(0)
	s_clause 0x1
	scratch_store_b128 v103, v[5:8], off
	scratch_store_b128 v9, v[1:4], off offset:-16
.LBB28_240:
	s_or_b32 exec_lo, exec_lo, s0
	v_dual_mov_b32 v1, s16 :: v_dual_mov_b32 v2, s17
	s_mov_b32 s0, exec_lo
	flat_load_b32 v1, v[1:2] offset:4
	s_waitcnt vmcnt(0) lgkmcnt(0)
	v_cmpx_ne_u32_e32 2, v1
	s_cbranch_execz .LBB28_242
; %bb.241:
	v_lshl_add_u32 v9, v1, 4, 0
	s_clause 0x1
	scratch_load_b128 v[1:4], v104, off
	scratch_load_b128 v[5:8], v9, off offset:-16
	s_waitcnt vmcnt(1)
	ds_store_2addr_b64 v0, v[1:2], v[3:4] offset1:1
	s_waitcnt vmcnt(0)
	s_clause 0x1
	scratch_store_b128 v104, v[5:8], off
	scratch_store_b128 v9, v[1:4], off offset:-16
.LBB28_242:
	s_or_b32 exec_lo, exec_lo, s0
	v_dual_mov_b32 v1, s16 :: v_dual_mov_b32 v2, s17
	s_mov_b32 s0, exec_lo
	flat_load_b32 v1, v[1:2]
	s_waitcnt vmcnt(0) lgkmcnt(0)
	v_cmpx_ne_u32_e32 1, v1
	s_cbranch_execz .LBB28_244
; %bb.243:
	v_lshl_add_u32 v9, v1, 4, 0
	scratch_load_b128 v[1:4], off, off
	scratch_load_b128 v[5:8], v9, off offset:-16
	s_waitcnt vmcnt(1)
	ds_store_2addr_b64 v0, v[1:2], v[3:4] offset1:1
	s_waitcnt vmcnt(0)
	scratch_store_b128 off, v[5:8], off
	scratch_store_b128 v9, v[1:4], off offset:-16
.LBB28_244:
	s_or_b32 exec_lo, exec_lo, s0
.LBB28_245:
	scratch_load_b128 v[0:3], off, off
	s_clause 0x17
	scratch_load_b128 v[4:7], v104, off
	scratch_load_b128 v[8:11], v103, off
	;; [unrolled: 1-line block ×24, first 2 shown]
	s_waitcnt vmcnt(24)
	global_store_b128 v[42:43], v[0:3], off
	s_clause 0x1
	scratch_load_b128 v[0:3], v121, off
	scratch_load_b128 v[40:43], v120, off
	s_waitcnt vmcnt(25)
	global_store_b128 v[46:47], v[4:7], off
	s_clause 0x1
	scratch_load_b128 v[4:7], v119, off
	scratch_load_b128 v[115:118], v118, off
	s_waitcnt vmcnt(26)
	global_store_b128 v[44:45], v[8:11], off
	s_waitcnt vmcnt(25)
	global_store_b128 v[48:49], v[12:15], off
	;; [unrolled: 2-line block ×27, first 2 shown]
	s_endpgm
	.section	.rodata,"a",@progbits
	.p2align	6, 0x0
	.amdhsa_kernel _ZN9rocsolver6v33100L18getri_kernel_smallILi29E19rocblas_complex_numIdEPS3_EEvT1_iilPiilS6_bb
		.amdhsa_group_segment_fixed_size 1960
		.amdhsa_private_segment_fixed_size 480
		.amdhsa_kernarg_size 60
		.amdhsa_user_sgpr_count 15
		.amdhsa_user_sgpr_dispatch_ptr 1
		.amdhsa_user_sgpr_queue_ptr 0
		.amdhsa_user_sgpr_kernarg_segment_ptr 1
		.amdhsa_user_sgpr_dispatch_id 0
		.amdhsa_user_sgpr_private_segment_size 0
		.amdhsa_wavefront_size32 1
		.amdhsa_uses_dynamic_stack 0
		.amdhsa_enable_private_segment 1
		.amdhsa_system_sgpr_workgroup_id_x 1
		.amdhsa_system_sgpr_workgroup_id_y 0
		.amdhsa_system_sgpr_workgroup_id_z 0
		.amdhsa_system_sgpr_workgroup_info 0
		.amdhsa_system_vgpr_workitem_id 2
		.amdhsa_next_free_vgpr 182
		.amdhsa_next_free_sgpr 35
		.amdhsa_reserve_vcc 1
		.amdhsa_float_round_mode_32 0
		.amdhsa_float_round_mode_16_64 0
		.amdhsa_float_denorm_mode_32 3
		.amdhsa_float_denorm_mode_16_64 3
		.amdhsa_dx10_clamp 1
		.amdhsa_ieee_mode 1
		.amdhsa_fp16_overflow 0
		.amdhsa_workgroup_processor_mode 1
		.amdhsa_memory_ordered 1
		.amdhsa_forward_progress 0
		.amdhsa_shared_vgpr_count 0
		.amdhsa_exception_fp_ieee_invalid_op 0
		.amdhsa_exception_fp_denorm_src 0
		.amdhsa_exception_fp_ieee_div_zero 0
		.amdhsa_exception_fp_ieee_overflow 0
		.amdhsa_exception_fp_ieee_underflow 0
		.amdhsa_exception_fp_ieee_inexact 0
		.amdhsa_exception_int_div_zero 0
	.end_amdhsa_kernel
	.section	.text._ZN9rocsolver6v33100L18getri_kernel_smallILi29E19rocblas_complex_numIdEPS3_EEvT1_iilPiilS6_bb,"axG",@progbits,_ZN9rocsolver6v33100L18getri_kernel_smallILi29E19rocblas_complex_numIdEPS3_EEvT1_iilPiilS6_bb,comdat
.Lfunc_end28:
	.size	_ZN9rocsolver6v33100L18getri_kernel_smallILi29E19rocblas_complex_numIdEPS3_EEvT1_iilPiilS6_bb, .Lfunc_end28-_ZN9rocsolver6v33100L18getri_kernel_smallILi29E19rocblas_complex_numIdEPS3_EEvT1_iilPiilS6_bb
                                        ; -- End function
	.section	.AMDGPU.csdata,"",@progbits
; Kernel info:
; codeLenInByte = 45808
; NumSgprs: 37
; NumVgprs: 182
; ScratchSize: 480
; MemoryBound: 0
; FloatMode: 240
; IeeeMode: 1
; LDSByteSize: 1960 bytes/workgroup (compile time only)
; SGPRBlocks: 4
; VGPRBlocks: 22
; NumSGPRsForWavesPerEU: 37
; NumVGPRsForWavesPerEU: 182
; Occupancy: 8
; WaveLimiterHint : 1
; COMPUTE_PGM_RSRC2:SCRATCH_EN: 1
; COMPUTE_PGM_RSRC2:USER_SGPR: 15
; COMPUTE_PGM_RSRC2:TRAP_HANDLER: 0
; COMPUTE_PGM_RSRC2:TGID_X_EN: 1
; COMPUTE_PGM_RSRC2:TGID_Y_EN: 0
; COMPUTE_PGM_RSRC2:TGID_Z_EN: 0
; COMPUTE_PGM_RSRC2:TIDIG_COMP_CNT: 2
	.section	.text._ZN9rocsolver6v33100L18getri_kernel_smallILi30E19rocblas_complex_numIdEPS3_EEvT1_iilPiilS6_bb,"axG",@progbits,_ZN9rocsolver6v33100L18getri_kernel_smallILi30E19rocblas_complex_numIdEPS3_EEvT1_iilPiilS6_bb,comdat
	.globl	_ZN9rocsolver6v33100L18getri_kernel_smallILi30E19rocblas_complex_numIdEPS3_EEvT1_iilPiilS6_bb ; -- Begin function _ZN9rocsolver6v33100L18getri_kernel_smallILi30E19rocblas_complex_numIdEPS3_EEvT1_iilPiilS6_bb
	.p2align	8
	.type	_ZN9rocsolver6v33100L18getri_kernel_smallILi30E19rocblas_complex_numIdEPS3_EEvT1_iilPiilS6_bb,@function
_ZN9rocsolver6v33100L18getri_kernel_smallILi30E19rocblas_complex_numIdEPS3_EEvT1_iilPiilS6_bb: ; @_ZN9rocsolver6v33100L18getri_kernel_smallILi30E19rocblas_complex_numIdEPS3_EEvT1_iilPiilS6_bb
; %bb.0:
	v_and_b32_e32 v102, 0x3ff, v0
	s_mov_b32 s4, exec_lo
	s_delay_alu instid0(VALU_DEP_1)
	v_cmpx_gt_u32_e32 30, v102
	s_cbranch_execz .LBB29_134
; %bb.1:
	s_mov_b32 s18, s15
	s_clause 0x2
	s_load_b32 s21, s[2:3], 0x38
	s_load_b128 s[12:15], s[2:3], 0x10
	s_load_b128 s[4:7], s[2:3], 0x28
                                        ; implicit-def: $sgpr16_sgpr17
	s_waitcnt lgkmcnt(0)
	s_bitcmp1_b32 s21, 8
	s_cselect_b32 s20, -1, 0
	s_bfe_u32 s8, s21, 0x10008
	s_ashr_i32 s19, s18, 31
	s_cmp_eq_u32 s8, 0
	s_cbranch_scc1 .LBB29_3
; %bb.2:
	s_load_b32 s8, s[2:3], 0x20
	s_mul_i32 s5, s18, s5
	s_mul_hi_u32 s9, s18, s4
	s_mul_i32 s10, s19, s4
	s_add_i32 s5, s9, s5
	s_mul_i32 s4, s18, s4
	s_add_i32 s5, s5, s10
	s_delay_alu instid0(SALU_CYCLE_1)
	s_lshl_b64 s[4:5], s[4:5], 2
	s_waitcnt lgkmcnt(0)
	s_ashr_i32 s9, s8, 31
	s_add_u32 s10, s14, s4
	s_addc_u32 s11, s15, s5
	s_lshl_b64 s[4:5], s[8:9], 2
	s_delay_alu instid0(SALU_CYCLE_1)
	s_add_u32 s16, s10, s4
	s_addc_u32 s17, s11, s5
.LBB29_3:
	s_load_b128 s[8:11], s[2:3], 0x0
	s_mul_i32 s2, s18, s13
	s_mul_hi_u32 s3, s18, s12
	s_mul_i32 s4, s19, s12
	s_add_i32 s3, s3, s2
	s_mul_i32 s2, s18, s12
	s_add_i32 s3, s3, s4
	v_lshlrev_b32_e32 v21, 4, v102
	s_lshl_b64 s[2:3], s[2:3], 4
	s_movk_i32 s12, 0xd0
	s_movk_i32 s13, 0xe0
	;; [unrolled: 1-line block ×11, first 2 shown]
	s_waitcnt lgkmcnt(0)
	v_add3_u32 v5, s11, s11, v102
	s_ashr_i32 s5, s10, 31
	s_mov_b32 s4, s10
	s_add_u32 s8, s8, s2
	s_addc_u32 s9, s9, s3
	v_add_nc_u32_e32 v7, s11, v5
	s_lshl_b64 s[2:3], s[4:5], 4
	v_ashrrev_i32_e32 v6, 31, v5
	s_add_u32 s2, s8, s2
	s_addc_u32 s3, s9, s3
	v_add_co_u32 v42, s8, s2, v21
	v_add_nc_u32_e32 v22, s11, v7
	s_mov_b32 s4, s11
	s_ashr_i32 s5, s11, 31
	v_add_co_ci_u32_e64 v43, null, s3, 0, s8
	v_lshlrev_b64 v[5:6], 4, v[5:6]
	v_ashrrev_i32_e32 v8, 31, v7
	s_lshl_b64 s[4:5], s[4:5], 4
	v_ashrrev_i32_e32 v23, 31, v22
	v_add_co_u32 v44, vcc_lo, v42, s4
	v_add_co_ci_u32_e32 v45, vcc_lo, s5, v43, vcc_lo
	v_lshlrev_b64 v[7:8], 4, v[7:8]
	v_add_co_u32 v46, vcc_lo, s2, v5
	v_add_co_ci_u32_e32 v47, vcc_lo, s3, v6, vcc_lo
	v_lshlrev_b64 v[5:6], 4, v[22:23]
	s_delay_alu instid0(VALU_DEP_4)
	v_add_co_u32 v48, vcc_lo, s2, v7
	v_add_co_ci_u32_e32 v49, vcc_lo, s3, v8, vcc_lo
	global_load_b128 v[1:4], v21, s[2:3]
	v_add_co_u32 v50, vcc_lo, s2, v5
	s_clause 0x2
	global_load_b128 v[9:12], v[44:45], off
	global_load_b128 v[13:16], v[46:47], off
	;; [unrolled: 1-line block ×3, first 2 shown]
	v_add_co_ci_u32_e32 v51, vcc_lo, s3, v6, vcc_lo
	v_add_nc_u32_e32 v22, s11, v22
	s_movk_i32 s4, 0x70
	s_movk_i32 s5, 0x80
	global_load_b128 v[5:8], v[50:51], off
	s_movk_i32 s8, 0x90
	v_add_nc_u32_e32 v24, s11, v22
	v_ashrrev_i32_e32 v23, 31, v22
	s_movk_i32 s9, 0xa0
	s_movk_i32 s10, 0xb0
	;; [unrolled: 1-line block ×3, first 2 shown]
	v_add_nc_u32_e32 v26, s11, v24
	v_ashrrev_i32_e32 v25, 31, v24
	v_lshlrev_b64 v[22:23], 4, v[22:23]
	s_movk_i32 s30, 0x190
	s_movk_i32 s31, 0x1a0
	v_add_nc_u32_e32 v28, s11, v26
	v_ashrrev_i32_e32 v27, 31, v26
	v_lshlrev_b64 v[24:25], 4, v[24:25]
	v_add_co_u32 v52, vcc_lo, s2, v22
	s_delay_alu instid0(VALU_DEP_4) | instskip(SKIP_3) | instid1(VALU_DEP_4)
	v_add_nc_u32_e32 v30, s11, v28
	v_ashrrev_i32_e32 v29, 31, v28
	v_lshlrev_b64 v[32:33], 4, v[26:27]
	v_add_co_ci_u32_e32 v53, vcc_lo, s3, v23, vcc_lo
	v_add_nc_u32_e32 v34, s11, v30
	v_ashrrev_i32_e32 v31, 31, v30
	v_add_co_u32 v54, vcc_lo, s2, v24
	v_lshlrev_b64 v[36:37], 4, v[28:29]
	s_delay_alu instid0(VALU_DEP_4) | instskip(SKIP_3) | instid1(VALU_DEP_4)
	v_add_nc_u32_e32 v38, s11, v34
	v_ashrrev_i32_e32 v35, 31, v34
	v_add_co_ci_u32_e32 v55, vcc_lo, s3, v25, vcc_lo
	v_add_co_u32 v56, vcc_lo, s2, v32
	v_add_nc_u32_e32 v64, s11, v38
	v_lshlrev_b64 v[40:41], 4, v[30:31]
	v_ashrrev_i32_e32 v39, 31, v38
	v_add_co_ci_u32_e32 v57, vcc_lo, s3, v33, vcc_lo
	s_delay_alu instid0(VALU_DEP_4)
	v_add_nc_u32_e32 v66, s11, v64
	v_add_co_u32 v58, vcc_lo, s2, v36
	v_lshlrev_b64 v[62:63], 4, v[34:35]
	v_ashrrev_i32_e32 v65, 31, v64
	v_add_co_ci_u32_e32 v59, vcc_lo, s3, v37, vcc_lo
	v_add_nc_u32_e32 v70, s11, v66
	v_add_co_u32 v60, vcc_lo, s2, v40
	v_lshlrev_b64 v[68:69], 4, v[38:39]
	v_add_co_ci_u32_e32 v61, vcc_lo, s3, v41, vcc_lo
	v_add_co_u32 v62, vcc_lo, s2, v62
	v_lshlrev_b64 v[72:73], 4, v[64:65]
	v_ashrrev_i32_e32 v67, 31, v66
	v_add_nc_u32_e32 v74, s11, v70
	v_add_co_ci_u32_e32 v63, vcc_lo, s3, v63, vcc_lo
	v_add_co_u32 v64, vcc_lo, s2, v68
	v_add_co_ci_u32_e32 v65, vcc_lo, s3, v69, vcc_lo
	v_lshlrev_b64 v[68:69], 4, v[66:67]
	v_add_co_u32 v66, vcc_lo, s2, v72
	v_add_nc_u32_e32 v72, s11, v74
	v_ashrrev_i32_e32 v71, 31, v70
	v_ashrrev_i32_e32 v75, 31, v74
	v_add_co_ci_u32_e32 v67, vcc_lo, s3, v73, vcc_lo
	s_delay_alu instid0(VALU_DEP_4) | instskip(NEXT) | instid1(VALU_DEP_4)
	v_add_nc_u32_e32 v76, s11, v72
	v_lshlrev_b64 v[70:71], 4, v[70:71]
	v_ashrrev_i32_e32 v73, 31, v72
	v_add_co_u32 v68, vcc_lo, s2, v68
	s_delay_alu instid0(VALU_DEP_4) | instskip(SKIP_3) | instid1(VALU_DEP_4)
	v_add_nc_u32_e32 v78, s11, v76
	v_lshlrev_b64 v[74:75], 4, v[74:75]
	v_ashrrev_i32_e32 v77, 31, v76
	v_add_co_ci_u32_e32 v69, vcc_lo, s3, v69, vcc_lo
	v_add_nc_u32_e32 v82, s11, v78
	v_add_co_u32 v70, vcc_lo, s2, v70
	v_lshlrev_b64 v[80:81], 4, v[72:73]
	v_ashrrev_i32_e32 v79, 31, v78
	s_delay_alu instid0(VALU_DEP_4) | instskip(SKIP_2) | instid1(VALU_DEP_3)
	v_add_nc_u32_e32 v84, s11, v82
	v_add_co_ci_u32_e32 v71, vcc_lo, s3, v71, vcc_lo
	v_add_co_u32 v72, vcc_lo, s2, v74
	v_add_nc_u32_e32 v86, s11, v84
	v_lshlrev_b64 v[76:77], 4, v[76:77]
	v_ashrrev_i32_e32 v83, 31, v82
	v_add_co_ci_u32_e32 v73, vcc_lo, s3, v75, vcc_lo
	s_delay_alu instid0(VALU_DEP_4) | instskip(SKIP_3) | instid1(VALU_DEP_4)
	v_add_nc_u32_e32 v88, s11, v86
	v_add_co_u32 v74, vcc_lo, s2, v80
	v_lshlrev_b64 v[78:79], 4, v[78:79]
	v_ashrrev_i32_e32 v85, 31, v84
	v_add_nc_u32_e32 v90, s11, v88
	v_add_co_ci_u32_e32 v75, vcc_lo, s3, v81, vcc_lo
	v_add_co_u32 v76, vcc_lo, s2, v76
	s_delay_alu instid0(VALU_DEP_3)
	v_add_nc_u32_e32 v92, s11, v90
	v_lshlrev_b64 v[80:81], 4, v[82:83]
	v_ashrrev_i32_e32 v87, 31, v86
	v_ashrrev_i32_e32 v89, 31, v88
	;; [unrolled: 1-line block ×3, first 2 shown]
	v_add_nc_u32_e32 v94, s11, v92
	v_add_co_ci_u32_e32 v77, vcc_lo, s3, v77, vcc_lo
	v_add_co_u32 v78, vcc_lo, s2, v78
	s_delay_alu instid0(VALU_DEP_3) | instskip(SKIP_3) | instid1(VALU_DEP_4)
	v_add_nc_u32_e32 v96, s11, v94
	v_lshlrev_b64 v[82:83], 4, v[84:85]
	v_add_co_ci_u32_e32 v79, vcc_lo, s3, v79, vcc_lo
	v_lshlrev_b64 v[84:85], 4, v[86:87]
	v_add_nc_u32_e32 v98, s11, v96
	v_lshlrev_b64 v[86:87], 4, v[88:89]
	v_lshlrev_b64 v[88:89], 4, v[90:91]
	v_add_co_u32 v80, vcc_lo, s2, v80
	s_delay_alu instid0(VALU_DEP_4) | instskip(SKIP_2) | instid1(VALU_DEP_3)
	v_add_nc_u32_e32 v100, s11, v98
	v_add_co_ci_u32_e32 v81, vcc_lo, s3, v81, vcc_lo
	v_add_co_u32 v82, vcc_lo, s2, v82
	v_add_nc_u32_e32 v90, s11, v100
	v_add_co_ci_u32_e32 v83, vcc_lo, s3, v83, vcc_lo
	v_add_co_u32 v84, vcc_lo, s2, v84
	s_delay_alu instid0(VALU_DEP_3) | instskip(SKIP_3) | instid1(VALU_DEP_4)
	v_ashrrev_i32_e32 v91, 31, v90
	v_ashrrev_i32_e32 v93, 31, v92
	v_add_co_ci_u32_e32 v85, vcc_lo, s3, v85, vcc_lo
	v_add_co_u32 v86, vcc_lo, s2, v86
	v_lshlrev_b64 v[90:91], 4, v[90:91]
	v_ashrrev_i32_e32 v95, 31, v94
	v_add_co_ci_u32_e32 v87, vcc_lo, s3, v87, vcc_lo
	v_lshlrev_b64 v[92:93], 4, v[92:93]
	v_add_co_u32 v88, vcc_lo, s2, v88
	v_ashrrev_i32_e32 v97, 31, v96
	v_add_co_ci_u32_e32 v89, vcc_lo, s3, v89, vcc_lo
	v_lshlrev_b64 v[94:95], 4, v[94:95]
	v_add_co_u32 v90, vcc_lo, s2, v90
	v_ashrrev_i32_e32 v99, 31, v98
	v_add_co_ci_u32_e32 v91, vcc_lo, s3, v91, vcc_lo
	v_add_co_u32 v92, vcc_lo, s2, v92
	v_lshlrev_b64 v[96:97], 4, v[96:97]
	v_ashrrev_i32_e32 v101, 31, v100
	v_add_co_ci_u32_e32 v93, vcc_lo, s3, v93, vcc_lo
	v_add_co_u32 v94, vcc_lo, s2, v94
	v_lshlrev_b64 v[98:99], 4, v[98:99]
	v_add_co_ci_u32_e32 v95, vcc_lo, s3, v95, vcc_lo
	v_add_co_u32 v96, vcc_lo, s2, v96
	v_lshlrev_b64 v[100:101], 4, v[100:101]
	v_add_co_ci_u32_e32 v97, vcc_lo, s3, v97, vcc_lo
	v_add_co_u32 v98, vcc_lo, s2, v98
	v_add_co_ci_u32_e32 v99, vcc_lo, s3, v99, vcc_lo
	s_clause 0x11
	global_load_b128 v[22:25], v[52:53], off
	global_load_b128 v[26:29], v[54:55], off
	;; [unrolled: 1-line block ×18, first 2 shown]
	v_add_co_u32 v100, vcc_lo, s2, v100
	global_load_b128 v[177:180], v[90:91], off
	v_add_co_ci_u32_e32 v101, vcc_lo, s3, v101, vcc_lo
	s_movk_i32 s2, 0x50
	s_movk_i32 s3, 0x60
	s_movk_i32 s11, 0xc0
	s_movk_i32 s33, 0x1b0
	s_movk_i32 s34, 0x1c0
	s_movk_i32 s35, 0x1d0
	v_add_nc_u32_e64 v106, 0, 16
	v_add_nc_u32_e64 v104, 0, 32
	;; [unrolled: 1-line block ×22, first 2 shown]
	s_bitcmp0_b32 s21, 0
	s_mov_b32 s3, -1
	s_waitcnt vmcnt(23)
	scratch_store_b128 off, v[1:4], off
	s_clause 0x1
	global_load_b128 v[1:4], v[88:89], off
	global_load_b128 v[181:184], v[92:93], off
	s_waitcnt vmcnt(24)
	scratch_store_b128 off, v[9:12], off offset:16
	s_waitcnt vmcnt(23)
	scratch_store_b128 off, v[13:16], off offset:32
	s_clause 0x1
	global_load_b128 v[9:12], v[94:95], off
	global_load_b128 v[13:16], v[96:97], off
	s_waitcnt vmcnt(24)
	scratch_store_b128 off, v[17:20], off offset:48
	global_load_b128 v[17:20], v[98:99], off
	s_waitcnt vmcnt(24)
	scratch_store_b128 off, v[5:8], off offset:64
	;; [unrolled: 3-line block ×3, first 2 shown]
	s_waitcnt vmcnt(23)
	scratch_store_b128 off, v[26:29], off offset:96
	s_waitcnt vmcnt(22)
	scratch_store_b128 off, v[30:33], off offset:112
	;; [unrolled: 2-line block ×22, first 2 shown]
	v_add_nc_u32_e64 v131, s28, 0
	v_add_nc_u32_e64 v130, s29, 0
	;; [unrolled: 1-line block ×7, first 2 shown]
	s_waitcnt vmcnt(0)
	s_clause 0x1
	scratch_store_b128 off, v[5:8], off offset:448
	scratch_store_b128 off, v[177:180], off offset:464
	s_cbranch_scc1 .LBB29_132
; %bb.4:
	v_cmp_eq_u32_e64 s2, 0, v102
	s_delay_alu instid0(VALU_DEP_1)
	s_and_saveexec_b32 s3, s2
	s_cbranch_execz .LBB29_6
; %bb.5:
	v_mov_b32_e32 v1, 0
	ds_store_b32 v1, v1 offset:960
.LBB29_6:
	s_or_b32 exec_lo, exec_lo, s3
	s_waitcnt lgkmcnt(0)
	s_waitcnt_vscnt null, 0x0
	s_barrier
	buffer_gl0_inv
	scratch_load_b128 v[1:4], v21, off
	s_waitcnt vmcnt(0)
	v_cmp_eq_f64_e32 vcc_lo, 0, v[1:2]
	v_cmp_eq_f64_e64 s3, 0, v[3:4]
	s_delay_alu instid0(VALU_DEP_1) | instskip(NEXT) | instid1(SALU_CYCLE_1)
	s_and_b32 s3, vcc_lo, s3
	s_and_saveexec_b32 s4, s3
	s_cbranch_execz .LBB29_10
; %bb.7:
	v_mov_b32_e32 v1, 0
	s_mov_b32 s5, 0
	ds_load_b32 v2, v1 offset:960
	s_waitcnt lgkmcnt(0)
	v_readfirstlane_b32 s3, v2
	v_add_nc_u32_e32 v2, 1, v102
	s_delay_alu instid0(VALU_DEP_2) | instskip(NEXT) | instid1(VALU_DEP_1)
	s_cmp_eq_u32 s3, 0
	v_cmp_gt_i32_e32 vcc_lo, s3, v2
	s_cselect_b32 s8, -1, 0
	s_delay_alu instid0(SALU_CYCLE_1) | instskip(NEXT) | instid1(SALU_CYCLE_1)
	s_or_b32 s8, s8, vcc_lo
	s_and_b32 exec_lo, exec_lo, s8
	s_cbranch_execz .LBB29_10
; %bb.8:
	v_mov_b32_e32 v3, s3
.LBB29_9:                               ; =>This Inner Loop Header: Depth=1
	ds_cmpstore_rtn_b32 v3, v1, v2, v3 offset:960
	s_waitcnt lgkmcnt(0)
	v_cmp_ne_u32_e32 vcc_lo, 0, v3
	v_cmp_le_i32_e64 s3, v3, v2
	s_delay_alu instid0(VALU_DEP_1) | instskip(NEXT) | instid1(SALU_CYCLE_1)
	s_and_b32 s3, vcc_lo, s3
	s_and_b32 s3, exec_lo, s3
	s_delay_alu instid0(SALU_CYCLE_1) | instskip(NEXT) | instid1(SALU_CYCLE_1)
	s_or_b32 s5, s3, s5
	s_and_not1_b32 exec_lo, exec_lo, s5
	s_cbranch_execnz .LBB29_9
.LBB29_10:
	s_or_b32 exec_lo, exec_lo, s4
	v_mov_b32_e32 v1, 0
	s_barrier
	buffer_gl0_inv
	ds_load_b32 v2, v1 offset:960
	s_and_saveexec_b32 s3, s2
	s_cbranch_execz .LBB29_12
; %bb.11:
	s_lshl_b64 s[4:5], s[18:19], 2
	s_delay_alu instid0(SALU_CYCLE_1)
	s_add_u32 s4, s6, s4
	s_addc_u32 s5, s7, s5
	s_waitcnt lgkmcnt(0)
	global_store_b32 v1, v2, s[4:5]
.LBB29_12:
	s_or_b32 exec_lo, exec_lo, s3
	s_waitcnt lgkmcnt(0)
	v_cmp_ne_u32_e32 vcc_lo, 0, v2
	s_mov_b32 s3, 0
	s_cbranch_vccnz .LBB29_132
; %bb.13:
	v_add_nc_u32_e32 v13, 0, v21
                                        ; implicit-def: $vgpr9_vgpr10
	scratch_load_b128 v[1:4], v13, off
	s_waitcnt vmcnt(0)
	v_cmp_gt_f64_e32 vcc_lo, 0, v[1:2]
	v_xor_b32_e32 v6, 0x80000000, v2
	v_xor_b32_e32 v7, 0x80000000, v4
	s_delay_alu instid0(VALU_DEP_2) | instskip(SKIP_1) | instid1(VALU_DEP_3)
	v_cndmask_b32_e32 v6, v2, v6, vcc_lo
	v_cmp_gt_f64_e32 vcc_lo, 0, v[3:4]
	v_dual_mov_b32 v5, v1 :: v_dual_cndmask_b32 v8, v4, v7
	v_mov_b32_e32 v7, v3
	s_delay_alu instid0(VALU_DEP_1) | instskip(SKIP_1) | instid1(SALU_CYCLE_1)
	v_cmp_ngt_f64_e32 vcc_lo, v[5:6], v[7:8]
                                        ; implicit-def: $vgpr5_vgpr6
	s_and_saveexec_b32 s3, vcc_lo
	s_xor_b32 s3, exec_lo, s3
	s_cbranch_execz .LBB29_15
; %bb.14:
	v_div_scale_f64 v[5:6], null, v[3:4], v[3:4], v[1:2]
	v_div_scale_f64 v[11:12], vcc_lo, v[1:2], v[3:4], v[1:2]
	s_delay_alu instid0(VALU_DEP_2) | instskip(SKIP_2) | instid1(VALU_DEP_1)
	v_rcp_f64_e32 v[7:8], v[5:6]
	s_waitcnt_depctr 0xfff
	v_fma_f64 v[9:10], -v[5:6], v[7:8], 1.0
	v_fma_f64 v[7:8], v[7:8], v[9:10], v[7:8]
	s_delay_alu instid0(VALU_DEP_1) | instskip(NEXT) | instid1(VALU_DEP_1)
	v_fma_f64 v[9:10], -v[5:6], v[7:8], 1.0
	v_fma_f64 v[7:8], v[7:8], v[9:10], v[7:8]
	s_delay_alu instid0(VALU_DEP_1) | instskip(NEXT) | instid1(VALU_DEP_1)
	v_mul_f64 v[9:10], v[11:12], v[7:8]
	v_fma_f64 v[5:6], -v[5:6], v[9:10], v[11:12]
	s_delay_alu instid0(VALU_DEP_1) | instskip(NEXT) | instid1(VALU_DEP_1)
	v_div_fmas_f64 v[5:6], v[5:6], v[7:8], v[9:10]
	v_div_fixup_f64 v[5:6], v[5:6], v[3:4], v[1:2]
	s_delay_alu instid0(VALU_DEP_1) | instskip(NEXT) | instid1(VALU_DEP_1)
	v_fma_f64 v[1:2], v[1:2], v[5:6], v[3:4]
	v_div_scale_f64 v[3:4], null, v[1:2], v[1:2], 1.0
	v_div_scale_f64 v[11:12], vcc_lo, 1.0, v[1:2], 1.0
	s_delay_alu instid0(VALU_DEP_2) | instskip(SKIP_2) | instid1(VALU_DEP_1)
	v_rcp_f64_e32 v[7:8], v[3:4]
	s_waitcnt_depctr 0xfff
	v_fma_f64 v[9:10], -v[3:4], v[7:8], 1.0
	v_fma_f64 v[7:8], v[7:8], v[9:10], v[7:8]
	s_delay_alu instid0(VALU_DEP_1) | instskip(NEXT) | instid1(VALU_DEP_1)
	v_fma_f64 v[9:10], -v[3:4], v[7:8], 1.0
	v_fma_f64 v[7:8], v[7:8], v[9:10], v[7:8]
	s_delay_alu instid0(VALU_DEP_1) | instskip(NEXT) | instid1(VALU_DEP_1)
	v_mul_f64 v[9:10], v[11:12], v[7:8]
	v_fma_f64 v[3:4], -v[3:4], v[9:10], v[11:12]
	s_delay_alu instid0(VALU_DEP_1) | instskip(NEXT) | instid1(VALU_DEP_1)
	v_div_fmas_f64 v[3:4], v[3:4], v[7:8], v[9:10]
	v_div_fixup_f64 v[7:8], v[3:4], v[1:2], 1.0
                                        ; implicit-def: $vgpr1_vgpr2
	s_delay_alu instid0(VALU_DEP_1) | instskip(SKIP_1) | instid1(VALU_DEP_2)
	v_mul_f64 v[5:6], v[5:6], v[7:8]
	v_xor_b32_e32 v8, 0x80000000, v8
	v_xor_b32_e32 v10, 0x80000000, v6
	s_delay_alu instid0(VALU_DEP_3)
	v_mov_b32_e32 v9, v5
.LBB29_15:
	s_and_not1_saveexec_b32 s3, s3
	s_cbranch_execz .LBB29_17
; %bb.16:
	v_div_scale_f64 v[5:6], null, v[1:2], v[1:2], v[3:4]
	v_div_scale_f64 v[11:12], vcc_lo, v[3:4], v[1:2], v[3:4]
	s_delay_alu instid0(VALU_DEP_2) | instskip(SKIP_2) | instid1(VALU_DEP_1)
	v_rcp_f64_e32 v[7:8], v[5:6]
	s_waitcnt_depctr 0xfff
	v_fma_f64 v[9:10], -v[5:6], v[7:8], 1.0
	v_fma_f64 v[7:8], v[7:8], v[9:10], v[7:8]
	s_delay_alu instid0(VALU_DEP_1) | instskip(NEXT) | instid1(VALU_DEP_1)
	v_fma_f64 v[9:10], -v[5:6], v[7:8], 1.0
	v_fma_f64 v[7:8], v[7:8], v[9:10], v[7:8]
	s_delay_alu instid0(VALU_DEP_1) | instskip(NEXT) | instid1(VALU_DEP_1)
	v_mul_f64 v[9:10], v[11:12], v[7:8]
	v_fma_f64 v[5:6], -v[5:6], v[9:10], v[11:12]
	s_delay_alu instid0(VALU_DEP_1) | instskip(NEXT) | instid1(VALU_DEP_1)
	v_div_fmas_f64 v[5:6], v[5:6], v[7:8], v[9:10]
	v_div_fixup_f64 v[7:8], v[5:6], v[1:2], v[3:4]
	s_delay_alu instid0(VALU_DEP_1) | instskip(NEXT) | instid1(VALU_DEP_1)
	v_fma_f64 v[1:2], v[3:4], v[7:8], v[1:2]
	v_div_scale_f64 v[3:4], null, v[1:2], v[1:2], 1.0
	s_delay_alu instid0(VALU_DEP_1) | instskip(SKIP_2) | instid1(VALU_DEP_1)
	v_rcp_f64_e32 v[5:6], v[3:4]
	s_waitcnt_depctr 0xfff
	v_fma_f64 v[9:10], -v[3:4], v[5:6], 1.0
	v_fma_f64 v[5:6], v[5:6], v[9:10], v[5:6]
	s_delay_alu instid0(VALU_DEP_1) | instskip(NEXT) | instid1(VALU_DEP_1)
	v_fma_f64 v[9:10], -v[3:4], v[5:6], 1.0
	v_fma_f64 v[5:6], v[5:6], v[9:10], v[5:6]
	v_div_scale_f64 v[9:10], vcc_lo, 1.0, v[1:2], 1.0
	s_delay_alu instid0(VALU_DEP_1) | instskip(NEXT) | instid1(VALU_DEP_1)
	v_mul_f64 v[11:12], v[9:10], v[5:6]
	v_fma_f64 v[3:4], -v[3:4], v[11:12], v[9:10]
	s_delay_alu instid0(VALU_DEP_1) | instskip(NEXT) | instid1(VALU_DEP_1)
	v_div_fmas_f64 v[3:4], v[3:4], v[5:6], v[11:12]
	v_div_fixup_f64 v[5:6], v[3:4], v[1:2], 1.0
	s_delay_alu instid0(VALU_DEP_1)
	v_mul_f64 v[7:8], v[7:8], -v[5:6]
	v_xor_b32_e32 v10, 0x80000000, v6
	v_mov_b32_e32 v9, v5
.LBB29_17:
	s_or_b32 exec_lo, exec_lo, s3
	scratch_store_b128 v13, v[5:8], off
	scratch_load_b128 v[1:4], v106, off
	v_xor_b32_e32 v12, 0x80000000, v8
	v_mov_b32_e32 v11, v7
	v_add_nc_u32_e32 v5, 0x1e0, v21
	ds_store_b128 v21, v[9:12]
	s_waitcnt vmcnt(0)
	ds_store_b128 v21, v[1:4] offset:480
	s_waitcnt lgkmcnt(0)
	s_waitcnt_vscnt null, 0x0
	s_barrier
	buffer_gl0_inv
	s_and_saveexec_b32 s3, s2
	s_cbranch_execz .LBB29_19
; %bb.18:
	scratch_load_b128 v[1:4], v13, off
	ds_load_b128 v[6:9], v5
	v_mov_b32_e32 v10, 0
	ds_load_b128 v[14:17], v10 offset:16
	s_waitcnt vmcnt(0) lgkmcnt(1)
	v_mul_f64 v[10:11], v[6:7], v[3:4]
	v_mul_f64 v[3:4], v[8:9], v[3:4]
	s_delay_alu instid0(VALU_DEP_2) | instskip(NEXT) | instid1(VALU_DEP_2)
	v_fma_f64 v[8:9], v[8:9], v[1:2], v[10:11]
	v_fma_f64 v[1:2], v[6:7], v[1:2], -v[3:4]
	s_delay_alu instid0(VALU_DEP_2) | instskip(NEXT) | instid1(VALU_DEP_2)
	v_add_f64 v[3:4], v[8:9], 0
	v_add_f64 v[1:2], v[1:2], 0
	s_waitcnt lgkmcnt(0)
	s_delay_alu instid0(VALU_DEP_2) | instskip(NEXT) | instid1(VALU_DEP_2)
	v_mul_f64 v[6:7], v[3:4], v[16:17]
	v_mul_f64 v[8:9], v[1:2], v[16:17]
	s_delay_alu instid0(VALU_DEP_2) | instskip(NEXT) | instid1(VALU_DEP_2)
	v_fma_f64 v[1:2], v[1:2], v[14:15], -v[6:7]
	v_fma_f64 v[3:4], v[3:4], v[14:15], v[8:9]
	scratch_store_b128 off, v[1:4], off offset:16
.LBB29_19:
	s_or_b32 exec_lo, exec_lo, s3
	s_waitcnt_vscnt null, 0x0
	s_barrier
	buffer_gl0_inv
	scratch_load_b128 v[1:4], v104, off
	s_mov_b32 s3, exec_lo
	s_waitcnt vmcnt(0)
	ds_store_b128 v5, v[1:4]
	s_waitcnt lgkmcnt(0)
	s_barrier
	buffer_gl0_inv
	v_cmpx_gt_u32_e32 2, v102
	s_cbranch_execz .LBB29_23
; %bb.20:
	scratch_load_b128 v[1:4], v13, off
	ds_load_b128 v[6:9], v5
	s_waitcnt vmcnt(0) lgkmcnt(0)
	v_mul_f64 v[10:11], v[8:9], v[3:4]
	v_mul_f64 v[3:4], v[6:7], v[3:4]
	s_delay_alu instid0(VALU_DEP_2) | instskip(NEXT) | instid1(VALU_DEP_2)
	v_fma_f64 v[6:7], v[6:7], v[1:2], -v[10:11]
	v_fma_f64 v[3:4], v[8:9], v[1:2], v[3:4]
	s_delay_alu instid0(VALU_DEP_2) | instskip(NEXT) | instid1(VALU_DEP_2)
	v_add_f64 v[1:2], v[6:7], 0
	v_add_f64 v[3:4], v[3:4], 0
	s_and_saveexec_b32 s4, s2
	s_cbranch_execz .LBB29_22
; %bb.21:
	scratch_load_b128 v[6:9], off, off offset:16
	v_mov_b32_e32 v10, 0
	ds_load_b128 v[14:17], v10 offset:496
	s_waitcnt vmcnt(0) lgkmcnt(0)
	v_mul_f64 v[10:11], v[14:15], v[8:9]
	v_mul_f64 v[8:9], v[16:17], v[8:9]
	s_delay_alu instid0(VALU_DEP_2) | instskip(NEXT) | instid1(VALU_DEP_2)
	v_fma_f64 v[10:11], v[16:17], v[6:7], v[10:11]
	v_fma_f64 v[6:7], v[14:15], v[6:7], -v[8:9]
	s_delay_alu instid0(VALU_DEP_2) | instskip(NEXT) | instid1(VALU_DEP_2)
	v_add_f64 v[3:4], v[3:4], v[10:11]
	v_add_f64 v[1:2], v[1:2], v[6:7]
.LBB29_22:
	s_or_b32 exec_lo, exec_lo, s4
	v_mov_b32_e32 v6, 0
	ds_load_b128 v[6:9], v6 offset:32
	s_waitcnt lgkmcnt(0)
	v_mul_f64 v[10:11], v[3:4], v[8:9]
	v_mul_f64 v[8:9], v[1:2], v[8:9]
	s_delay_alu instid0(VALU_DEP_2) | instskip(NEXT) | instid1(VALU_DEP_2)
	v_fma_f64 v[1:2], v[1:2], v[6:7], -v[10:11]
	v_fma_f64 v[3:4], v[3:4], v[6:7], v[8:9]
	scratch_store_b128 off, v[1:4], off offset:32
.LBB29_23:
	s_or_b32 exec_lo, exec_lo, s3
	s_waitcnt_vscnt null, 0x0
	s_barrier
	buffer_gl0_inv
	scratch_load_b128 v[1:4], v105, off
	v_add_nc_u32_e32 v6, -1, v102
	s_mov_b32 s2, exec_lo
	s_waitcnt vmcnt(0)
	ds_store_b128 v5, v[1:4]
	s_waitcnt lgkmcnt(0)
	s_barrier
	buffer_gl0_inv
	v_cmpx_gt_u32_e32 3, v102
	s_cbranch_execz .LBB29_27
; %bb.24:
	v_dual_mov_b32 v1, 0 :: v_dual_add_nc_u32 v8, 0x1e0, v21
	v_dual_mov_b32 v2, 0 :: v_dual_add_nc_u32 v7, -1, v102
	v_or_b32_e32 v9, 8, v13
	s_mov_b32 s3, 0
	s_delay_alu instid0(VALU_DEP_2)
	v_dual_mov_b32 v4, v2 :: v_dual_mov_b32 v3, v1
	.p2align	6
.LBB29_25:                              ; =>This Inner Loop Header: Depth=1
	scratch_load_b128 v[14:17], v9, off offset:-8
	ds_load_b128 v[22:25], v8
	v_add_nc_u32_e32 v7, 1, v7
	v_add_nc_u32_e32 v8, 16, v8
	;; [unrolled: 1-line block ×3, first 2 shown]
	s_delay_alu instid0(VALU_DEP_3) | instskip(SKIP_4) | instid1(VALU_DEP_2)
	v_cmp_lt_u32_e32 vcc_lo, 1, v7
	s_or_b32 s3, vcc_lo, s3
	s_waitcnt vmcnt(0) lgkmcnt(0)
	v_mul_f64 v[10:11], v[24:25], v[16:17]
	v_mul_f64 v[16:17], v[22:23], v[16:17]
	v_fma_f64 v[10:11], v[22:23], v[14:15], -v[10:11]
	s_delay_alu instid0(VALU_DEP_2) | instskip(NEXT) | instid1(VALU_DEP_2)
	v_fma_f64 v[14:15], v[24:25], v[14:15], v[16:17]
	v_add_f64 v[3:4], v[3:4], v[10:11]
	s_delay_alu instid0(VALU_DEP_2)
	v_add_f64 v[1:2], v[1:2], v[14:15]
	s_and_not1_b32 exec_lo, exec_lo, s3
	s_cbranch_execnz .LBB29_25
; %bb.26:
	s_or_b32 exec_lo, exec_lo, s3
	v_mov_b32_e32 v7, 0
	ds_load_b128 v[7:10], v7 offset:48
	s_waitcnt lgkmcnt(0)
	v_mul_f64 v[11:12], v[1:2], v[9:10]
	v_mul_f64 v[14:15], v[3:4], v[9:10]
	s_delay_alu instid0(VALU_DEP_2) | instskip(NEXT) | instid1(VALU_DEP_2)
	v_fma_f64 v[9:10], v[3:4], v[7:8], -v[11:12]
	v_fma_f64 v[11:12], v[1:2], v[7:8], v[14:15]
	scratch_store_b128 off, v[9:12], off offset:48
.LBB29_27:
	s_or_b32 exec_lo, exec_lo, s2
	s_waitcnt_vscnt null, 0x0
	s_barrier
	buffer_gl0_inv
	scratch_load_b128 v[1:4], v103, off
	s_mov_b32 s2, exec_lo
	s_waitcnt vmcnt(0)
	ds_store_b128 v5, v[1:4]
	s_waitcnt lgkmcnt(0)
	s_barrier
	buffer_gl0_inv
	v_cmpx_gt_u32_e32 4, v102
	s_cbranch_execz .LBB29_31
; %bb.28:
	v_dual_mov_b32 v1, 0 :: v_dual_add_nc_u32 v8, 0x1e0, v21
	v_dual_mov_b32 v2, 0 :: v_dual_add_nc_u32 v7, -1, v102
	v_or_b32_e32 v9, 8, v13
	s_mov_b32 s3, 0
	s_delay_alu instid0(VALU_DEP_2)
	v_dual_mov_b32 v4, v2 :: v_dual_mov_b32 v3, v1
	.p2align	6
.LBB29_29:                              ; =>This Inner Loop Header: Depth=1
	scratch_load_b128 v[14:17], v9, off offset:-8
	ds_load_b128 v[22:25], v8
	v_add_nc_u32_e32 v7, 1, v7
	v_add_nc_u32_e32 v8, 16, v8
	;; [unrolled: 1-line block ×3, first 2 shown]
	s_delay_alu instid0(VALU_DEP_3) | instskip(SKIP_4) | instid1(VALU_DEP_2)
	v_cmp_lt_u32_e32 vcc_lo, 2, v7
	s_or_b32 s3, vcc_lo, s3
	s_waitcnt vmcnt(0) lgkmcnt(0)
	v_mul_f64 v[10:11], v[24:25], v[16:17]
	v_mul_f64 v[16:17], v[22:23], v[16:17]
	v_fma_f64 v[10:11], v[22:23], v[14:15], -v[10:11]
	s_delay_alu instid0(VALU_DEP_2) | instskip(NEXT) | instid1(VALU_DEP_2)
	v_fma_f64 v[14:15], v[24:25], v[14:15], v[16:17]
	v_add_f64 v[3:4], v[3:4], v[10:11]
	s_delay_alu instid0(VALU_DEP_2)
	v_add_f64 v[1:2], v[1:2], v[14:15]
	s_and_not1_b32 exec_lo, exec_lo, s3
	s_cbranch_execnz .LBB29_29
; %bb.30:
	s_or_b32 exec_lo, exec_lo, s3
	v_mov_b32_e32 v7, 0
	ds_load_b128 v[7:10], v7 offset:64
	s_waitcnt lgkmcnt(0)
	v_mul_f64 v[11:12], v[1:2], v[9:10]
	v_mul_f64 v[14:15], v[3:4], v[9:10]
	s_delay_alu instid0(VALU_DEP_2) | instskip(NEXT) | instid1(VALU_DEP_2)
	v_fma_f64 v[9:10], v[3:4], v[7:8], -v[11:12]
	v_fma_f64 v[11:12], v[1:2], v[7:8], v[14:15]
	scratch_store_b128 off, v[9:12], off offset:64
.LBB29_31:
	s_or_b32 exec_lo, exec_lo, s2
	s_waitcnt_vscnt null, 0x0
	s_barrier
	buffer_gl0_inv
	scratch_load_b128 v[1:4], v124, off
	s_mov_b32 s2, exec_lo
	s_waitcnt vmcnt(0)
	ds_store_b128 v5, v[1:4]
	s_waitcnt lgkmcnt(0)
	s_barrier
	buffer_gl0_inv
	v_cmpx_gt_u32_e32 5, v102
	s_cbranch_execz .LBB29_35
; %bb.32:
	v_dual_mov_b32 v1, 0 :: v_dual_add_nc_u32 v8, 0x1e0, v21
	v_dual_mov_b32 v2, 0 :: v_dual_add_nc_u32 v7, -1, v102
	v_or_b32_e32 v9, 8, v13
	s_mov_b32 s3, 0
	s_delay_alu instid0(VALU_DEP_2)
	v_dual_mov_b32 v4, v2 :: v_dual_mov_b32 v3, v1
	.p2align	6
.LBB29_33:                              ; =>This Inner Loop Header: Depth=1
	scratch_load_b128 v[14:17], v9, off offset:-8
	ds_load_b128 v[22:25], v8
	v_add_nc_u32_e32 v7, 1, v7
	v_add_nc_u32_e32 v8, 16, v8
	;; [unrolled: 1-line block ×3, first 2 shown]
	s_delay_alu instid0(VALU_DEP_3) | instskip(SKIP_4) | instid1(VALU_DEP_2)
	v_cmp_lt_u32_e32 vcc_lo, 3, v7
	s_or_b32 s3, vcc_lo, s3
	s_waitcnt vmcnt(0) lgkmcnt(0)
	v_mul_f64 v[10:11], v[24:25], v[16:17]
	v_mul_f64 v[16:17], v[22:23], v[16:17]
	v_fma_f64 v[10:11], v[22:23], v[14:15], -v[10:11]
	s_delay_alu instid0(VALU_DEP_2) | instskip(NEXT) | instid1(VALU_DEP_2)
	v_fma_f64 v[14:15], v[24:25], v[14:15], v[16:17]
	v_add_f64 v[3:4], v[3:4], v[10:11]
	s_delay_alu instid0(VALU_DEP_2)
	v_add_f64 v[1:2], v[1:2], v[14:15]
	s_and_not1_b32 exec_lo, exec_lo, s3
	s_cbranch_execnz .LBB29_33
; %bb.34:
	s_or_b32 exec_lo, exec_lo, s3
	v_mov_b32_e32 v7, 0
	ds_load_b128 v[7:10], v7 offset:80
	s_waitcnt lgkmcnt(0)
	v_mul_f64 v[11:12], v[1:2], v[9:10]
	v_mul_f64 v[14:15], v[3:4], v[9:10]
	s_delay_alu instid0(VALU_DEP_2) | instskip(NEXT) | instid1(VALU_DEP_2)
	v_fma_f64 v[9:10], v[3:4], v[7:8], -v[11:12]
	v_fma_f64 v[11:12], v[1:2], v[7:8], v[14:15]
	scratch_store_b128 off, v[9:12], off offset:80
.LBB29_35:
	s_or_b32 exec_lo, exec_lo, s2
	s_waitcnt_vscnt null, 0x0
	s_barrier
	buffer_gl0_inv
	scratch_load_b128 v[1:4], v122, off
	s_mov_b32 s2, exec_lo
	s_waitcnt vmcnt(0)
	ds_store_b128 v5, v[1:4]
	s_waitcnt lgkmcnt(0)
	s_barrier
	buffer_gl0_inv
	v_cmpx_gt_u32_e32 6, v102
	s_cbranch_execz .LBB29_39
; %bb.36:
	v_dual_mov_b32 v1, 0 :: v_dual_add_nc_u32 v8, 0x1e0, v21
	v_dual_mov_b32 v2, 0 :: v_dual_add_nc_u32 v7, -1, v102
	v_or_b32_e32 v9, 8, v13
	s_mov_b32 s3, 0
	s_delay_alu instid0(VALU_DEP_2)
	v_dual_mov_b32 v4, v2 :: v_dual_mov_b32 v3, v1
	.p2align	6
.LBB29_37:                              ; =>This Inner Loop Header: Depth=1
	scratch_load_b128 v[14:17], v9, off offset:-8
	ds_load_b128 v[22:25], v8
	v_add_nc_u32_e32 v7, 1, v7
	v_add_nc_u32_e32 v8, 16, v8
	;; [unrolled: 1-line block ×3, first 2 shown]
	s_delay_alu instid0(VALU_DEP_3) | instskip(SKIP_4) | instid1(VALU_DEP_2)
	v_cmp_lt_u32_e32 vcc_lo, 4, v7
	s_or_b32 s3, vcc_lo, s3
	s_waitcnt vmcnt(0) lgkmcnt(0)
	v_mul_f64 v[10:11], v[24:25], v[16:17]
	v_mul_f64 v[16:17], v[22:23], v[16:17]
	v_fma_f64 v[10:11], v[22:23], v[14:15], -v[10:11]
	s_delay_alu instid0(VALU_DEP_2) | instskip(NEXT) | instid1(VALU_DEP_2)
	v_fma_f64 v[14:15], v[24:25], v[14:15], v[16:17]
	v_add_f64 v[3:4], v[3:4], v[10:11]
	s_delay_alu instid0(VALU_DEP_2)
	v_add_f64 v[1:2], v[1:2], v[14:15]
	s_and_not1_b32 exec_lo, exec_lo, s3
	s_cbranch_execnz .LBB29_37
; %bb.38:
	s_or_b32 exec_lo, exec_lo, s3
	v_mov_b32_e32 v7, 0
	ds_load_b128 v[7:10], v7 offset:96
	s_waitcnt lgkmcnt(0)
	v_mul_f64 v[11:12], v[1:2], v[9:10]
	v_mul_f64 v[14:15], v[3:4], v[9:10]
	s_delay_alu instid0(VALU_DEP_2) | instskip(NEXT) | instid1(VALU_DEP_2)
	v_fma_f64 v[9:10], v[3:4], v[7:8], -v[11:12]
	v_fma_f64 v[11:12], v[1:2], v[7:8], v[14:15]
	scratch_store_b128 off, v[9:12], off offset:96
.LBB29_39:
	s_or_b32 exec_lo, exec_lo, s2
	s_waitcnt_vscnt null, 0x0
	s_barrier
	buffer_gl0_inv
	scratch_load_b128 v[1:4], v123, off
	s_mov_b32 s2, exec_lo
	s_waitcnt vmcnt(0)
	ds_store_b128 v5, v[1:4]
	s_waitcnt lgkmcnt(0)
	s_barrier
	buffer_gl0_inv
	v_cmpx_gt_u32_e32 7, v102
	s_cbranch_execz .LBB29_43
; %bb.40:
	v_dual_mov_b32 v1, 0 :: v_dual_add_nc_u32 v8, 0x1e0, v21
	v_dual_mov_b32 v2, 0 :: v_dual_add_nc_u32 v7, -1, v102
	v_or_b32_e32 v9, 8, v13
	s_mov_b32 s3, 0
	s_delay_alu instid0(VALU_DEP_2)
	v_dual_mov_b32 v4, v2 :: v_dual_mov_b32 v3, v1
	.p2align	6
.LBB29_41:                              ; =>This Inner Loop Header: Depth=1
	scratch_load_b128 v[14:17], v9, off offset:-8
	ds_load_b128 v[22:25], v8
	v_add_nc_u32_e32 v7, 1, v7
	v_add_nc_u32_e32 v8, 16, v8
	;; [unrolled: 1-line block ×3, first 2 shown]
	s_delay_alu instid0(VALU_DEP_3) | instskip(SKIP_4) | instid1(VALU_DEP_2)
	v_cmp_lt_u32_e32 vcc_lo, 5, v7
	s_or_b32 s3, vcc_lo, s3
	s_waitcnt vmcnt(0) lgkmcnt(0)
	v_mul_f64 v[10:11], v[24:25], v[16:17]
	v_mul_f64 v[16:17], v[22:23], v[16:17]
	v_fma_f64 v[10:11], v[22:23], v[14:15], -v[10:11]
	s_delay_alu instid0(VALU_DEP_2) | instskip(NEXT) | instid1(VALU_DEP_2)
	v_fma_f64 v[14:15], v[24:25], v[14:15], v[16:17]
	v_add_f64 v[3:4], v[3:4], v[10:11]
	s_delay_alu instid0(VALU_DEP_2)
	v_add_f64 v[1:2], v[1:2], v[14:15]
	s_and_not1_b32 exec_lo, exec_lo, s3
	s_cbranch_execnz .LBB29_41
; %bb.42:
	s_or_b32 exec_lo, exec_lo, s3
	v_mov_b32_e32 v7, 0
	ds_load_b128 v[7:10], v7 offset:112
	s_waitcnt lgkmcnt(0)
	v_mul_f64 v[11:12], v[1:2], v[9:10]
	v_mul_f64 v[14:15], v[3:4], v[9:10]
	s_delay_alu instid0(VALU_DEP_2) | instskip(NEXT) | instid1(VALU_DEP_2)
	v_fma_f64 v[9:10], v[3:4], v[7:8], -v[11:12]
	v_fma_f64 v[11:12], v[1:2], v[7:8], v[14:15]
	scratch_store_b128 off, v[9:12], off offset:112
.LBB29_43:
	s_or_b32 exec_lo, exec_lo, s2
	s_waitcnt_vscnt null, 0x0
	s_barrier
	buffer_gl0_inv
	scratch_load_b128 v[1:4], v121, off
	s_mov_b32 s2, exec_lo
	s_waitcnt vmcnt(0)
	ds_store_b128 v5, v[1:4]
	s_waitcnt lgkmcnt(0)
	s_barrier
	buffer_gl0_inv
	v_cmpx_gt_u32_e32 8, v102
	s_cbranch_execz .LBB29_47
; %bb.44:
	v_dual_mov_b32 v1, 0 :: v_dual_add_nc_u32 v8, 0x1e0, v21
	v_dual_mov_b32 v2, 0 :: v_dual_add_nc_u32 v7, -1, v102
	v_or_b32_e32 v9, 8, v13
	s_mov_b32 s3, 0
	s_delay_alu instid0(VALU_DEP_2)
	v_dual_mov_b32 v4, v2 :: v_dual_mov_b32 v3, v1
	.p2align	6
.LBB29_45:                              ; =>This Inner Loop Header: Depth=1
	scratch_load_b128 v[14:17], v9, off offset:-8
	ds_load_b128 v[22:25], v8
	v_add_nc_u32_e32 v7, 1, v7
	v_add_nc_u32_e32 v8, 16, v8
	;; [unrolled: 1-line block ×3, first 2 shown]
	s_delay_alu instid0(VALU_DEP_3) | instskip(SKIP_4) | instid1(VALU_DEP_2)
	v_cmp_lt_u32_e32 vcc_lo, 6, v7
	s_or_b32 s3, vcc_lo, s3
	s_waitcnt vmcnt(0) lgkmcnt(0)
	v_mul_f64 v[10:11], v[24:25], v[16:17]
	v_mul_f64 v[16:17], v[22:23], v[16:17]
	v_fma_f64 v[10:11], v[22:23], v[14:15], -v[10:11]
	s_delay_alu instid0(VALU_DEP_2) | instskip(NEXT) | instid1(VALU_DEP_2)
	v_fma_f64 v[14:15], v[24:25], v[14:15], v[16:17]
	v_add_f64 v[3:4], v[3:4], v[10:11]
	s_delay_alu instid0(VALU_DEP_2)
	v_add_f64 v[1:2], v[1:2], v[14:15]
	s_and_not1_b32 exec_lo, exec_lo, s3
	s_cbranch_execnz .LBB29_45
; %bb.46:
	s_or_b32 exec_lo, exec_lo, s3
	v_mov_b32_e32 v7, 0
	ds_load_b128 v[7:10], v7 offset:128
	s_waitcnt lgkmcnt(0)
	v_mul_f64 v[11:12], v[1:2], v[9:10]
	v_mul_f64 v[14:15], v[3:4], v[9:10]
	s_delay_alu instid0(VALU_DEP_2) | instskip(NEXT) | instid1(VALU_DEP_2)
	v_fma_f64 v[9:10], v[3:4], v[7:8], -v[11:12]
	v_fma_f64 v[11:12], v[1:2], v[7:8], v[14:15]
	scratch_store_b128 off, v[9:12], off offset:128
.LBB29_47:
	s_or_b32 exec_lo, exec_lo, s2
	s_waitcnt_vscnt null, 0x0
	s_barrier
	buffer_gl0_inv
	scratch_load_b128 v[1:4], v120, off
	s_mov_b32 s2, exec_lo
	s_waitcnt vmcnt(0)
	ds_store_b128 v5, v[1:4]
	s_waitcnt lgkmcnt(0)
	s_barrier
	buffer_gl0_inv
	v_cmpx_gt_u32_e32 9, v102
	s_cbranch_execz .LBB29_51
; %bb.48:
	v_dual_mov_b32 v1, 0 :: v_dual_add_nc_u32 v8, 0x1e0, v21
	v_dual_mov_b32 v2, 0 :: v_dual_add_nc_u32 v7, -1, v102
	v_or_b32_e32 v9, 8, v13
	s_mov_b32 s3, 0
	s_delay_alu instid0(VALU_DEP_2)
	v_dual_mov_b32 v4, v2 :: v_dual_mov_b32 v3, v1
	.p2align	6
.LBB29_49:                              ; =>This Inner Loop Header: Depth=1
	scratch_load_b128 v[14:17], v9, off offset:-8
	ds_load_b128 v[22:25], v8
	v_add_nc_u32_e32 v7, 1, v7
	v_add_nc_u32_e32 v8, 16, v8
	;; [unrolled: 1-line block ×3, first 2 shown]
	s_delay_alu instid0(VALU_DEP_3) | instskip(SKIP_4) | instid1(VALU_DEP_2)
	v_cmp_lt_u32_e32 vcc_lo, 7, v7
	s_or_b32 s3, vcc_lo, s3
	s_waitcnt vmcnt(0) lgkmcnt(0)
	v_mul_f64 v[10:11], v[24:25], v[16:17]
	v_mul_f64 v[16:17], v[22:23], v[16:17]
	v_fma_f64 v[10:11], v[22:23], v[14:15], -v[10:11]
	s_delay_alu instid0(VALU_DEP_2) | instskip(NEXT) | instid1(VALU_DEP_2)
	v_fma_f64 v[14:15], v[24:25], v[14:15], v[16:17]
	v_add_f64 v[3:4], v[3:4], v[10:11]
	s_delay_alu instid0(VALU_DEP_2)
	v_add_f64 v[1:2], v[1:2], v[14:15]
	s_and_not1_b32 exec_lo, exec_lo, s3
	s_cbranch_execnz .LBB29_49
; %bb.50:
	s_or_b32 exec_lo, exec_lo, s3
	v_mov_b32_e32 v7, 0
	ds_load_b128 v[7:10], v7 offset:144
	s_waitcnt lgkmcnt(0)
	v_mul_f64 v[11:12], v[1:2], v[9:10]
	v_mul_f64 v[14:15], v[3:4], v[9:10]
	s_delay_alu instid0(VALU_DEP_2) | instskip(NEXT) | instid1(VALU_DEP_2)
	v_fma_f64 v[9:10], v[3:4], v[7:8], -v[11:12]
	v_fma_f64 v[11:12], v[1:2], v[7:8], v[14:15]
	scratch_store_b128 off, v[9:12], off offset:144
.LBB29_51:
	s_or_b32 exec_lo, exec_lo, s2
	s_waitcnt_vscnt null, 0x0
	s_barrier
	buffer_gl0_inv
	scratch_load_b128 v[1:4], v118, off
	s_mov_b32 s2, exec_lo
	s_waitcnt vmcnt(0)
	ds_store_b128 v5, v[1:4]
	s_waitcnt lgkmcnt(0)
	s_barrier
	buffer_gl0_inv
	v_cmpx_gt_u32_e32 10, v102
	s_cbranch_execz .LBB29_55
; %bb.52:
	v_dual_mov_b32 v1, 0 :: v_dual_add_nc_u32 v8, 0x1e0, v21
	v_dual_mov_b32 v2, 0 :: v_dual_add_nc_u32 v7, -1, v102
	v_or_b32_e32 v9, 8, v13
	s_mov_b32 s3, 0
	s_delay_alu instid0(VALU_DEP_2)
	v_dual_mov_b32 v4, v2 :: v_dual_mov_b32 v3, v1
	.p2align	6
.LBB29_53:                              ; =>This Inner Loop Header: Depth=1
	scratch_load_b128 v[14:17], v9, off offset:-8
	ds_load_b128 v[22:25], v8
	v_add_nc_u32_e32 v7, 1, v7
	v_add_nc_u32_e32 v8, 16, v8
	;; [unrolled: 1-line block ×3, first 2 shown]
	s_delay_alu instid0(VALU_DEP_3) | instskip(SKIP_4) | instid1(VALU_DEP_2)
	v_cmp_lt_u32_e32 vcc_lo, 8, v7
	s_or_b32 s3, vcc_lo, s3
	s_waitcnt vmcnt(0) lgkmcnt(0)
	v_mul_f64 v[10:11], v[24:25], v[16:17]
	v_mul_f64 v[16:17], v[22:23], v[16:17]
	v_fma_f64 v[10:11], v[22:23], v[14:15], -v[10:11]
	s_delay_alu instid0(VALU_DEP_2) | instskip(NEXT) | instid1(VALU_DEP_2)
	v_fma_f64 v[14:15], v[24:25], v[14:15], v[16:17]
	v_add_f64 v[3:4], v[3:4], v[10:11]
	s_delay_alu instid0(VALU_DEP_2)
	v_add_f64 v[1:2], v[1:2], v[14:15]
	s_and_not1_b32 exec_lo, exec_lo, s3
	s_cbranch_execnz .LBB29_53
; %bb.54:
	s_or_b32 exec_lo, exec_lo, s3
	v_mov_b32_e32 v7, 0
	ds_load_b128 v[7:10], v7 offset:160
	s_waitcnt lgkmcnt(0)
	v_mul_f64 v[11:12], v[1:2], v[9:10]
	v_mul_f64 v[14:15], v[3:4], v[9:10]
	s_delay_alu instid0(VALU_DEP_2) | instskip(NEXT) | instid1(VALU_DEP_2)
	v_fma_f64 v[9:10], v[3:4], v[7:8], -v[11:12]
	v_fma_f64 v[11:12], v[1:2], v[7:8], v[14:15]
	scratch_store_b128 off, v[9:12], off offset:160
.LBB29_55:
	s_or_b32 exec_lo, exec_lo, s2
	s_waitcnt_vscnt null, 0x0
	s_barrier
	buffer_gl0_inv
	scratch_load_b128 v[1:4], v119, off
	s_mov_b32 s2, exec_lo
	s_waitcnt vmcnt(0)
	ds_store_b128 v5, v[1:4]
	s_waitcnt lgkmcnt(0)
	s_barrier
	buffer_gl0_inv
	v_cmpx_gt_u32_e32 11, v102
	s_cbranch_execz .LBB29_59
; %bb.56:
	v_dual_mov_b32 v1, 0 :: v_dual_add_nc_u32 v8, 0x1e0, v21
	v_dual_mov_b32 v2, 0 :: v_dual_add_nc_u32 v7, -1, v102
	v_or_b32_e32 v9, 8, v13
	s_mov_b32 s3, 0
	s_delay_alu instid0(VALU_DEP_2)
	v_dual_mov_b32 v4, v2 :: v_dual_mov_b32 v3, v1
	.p2align	6
.LBB29_57:                              ; =>This Inner Loop Header: Depth=1
	scratch_load_b128 v[14:17], v9, off offset:-8
	ds_load_b128 v[22:25], v8
	v_add_nc_u32_e32 v7, 1, v7
	v_add_nc_u32_e32 v8, 16, v8
	;; [unrolled: 1-line block ×3, first 2 shown]
	s_delay_alu instid0(VALU_DEP_3) | instskip(SKIP_4) | instid1(VALU_DEP_2)
	v_cmp_lt_u32_e32 vcc_lo, 9, v7
	s_or_b32 s3, vcc_lo, s3
	s_waitcnt vmcnt(0) lgkmcnt(0)
	v_mul_f64 v[10:11], v[24:25], v[16:17]
	v_mul_f64 v[16:17], v[22:23], v[16:17]
	v_fma_f64 v[10:11], v[22:23], v[14:15], -v[10:11]
	s_delay_alu instid0(VALU_DEP_2) | instskip(NEXT) | instid1(VALU_DEP_2)
	v_fma_f64 v[14:15], v[24:25], v[14:15], v[16:17]
	v_add_f64 v[3:4], v[3:4], v[10:11]
	s_delay_alu instid0(VALU_DEP_2)
	v_add_f64 v[1:2], v[1:2], v[14:15]
	s_and_not1_b32 exec_lo, exec_lo, s3
	s_cbranch_execnz .LBB29_57
; %bb.58:
	s_or_b32 exec_lo, exec_lo, s3
	v_mov_b32_e32 v7, 0
	ds_load_b128 v[7:10], v7 offset:176
	s_waitcnt lgkmcnt(0)
	v_mul_f64 v[11:12], v[1:2], v[9:10]
	v_mul_f64 v[14:15], v[3:4], v[9:10]
	s_delay_alu instid0(VALU_DEP_2) | instskip(NEXT) | instid1(VALU_DEP_2)
	v_fma_f64 v[9:10], v[3:4], v[7:8], -v[11:12]
	v_fma_f64 v[11:12], v[1:2], v[7:8], v[14:15]
	scratch_store_b128 off, v[9:12], off offset:176
.LBB29_59:
	s_or_b32 exec_lo, exec_lo, s2
	s_waitcnt_vscnt null, 0x0
	s_barrier
	buffer_gl0_inv
	scratch_load_b128 v[1:4], v117, off
	s_mov_b32 s2, exec_lo
	s_waitcnt vmcnt(0)
	ds_store_b128 v5, v[1:4]
	s_waitcnt lgkmcnt(0)
	s_barrier
	buffer_gl0_inv
	v_cmpx_gt_u32_e32 12, v102
	s_cbranch_execz .LBB29_63
; %bb.60:
	v_dual_mov_b32 v1, 0 :: v_dual_add_nc_u32 v8, 0x1e0, v21
	v_dual_mov_b32 v2, 0 :: v_dual_add_nc_u32 v7, -1, v102
	v_or_b32_e32 v9, 8, v13
	s_mov_b32 s3, 0
	s_delay_alu instid0(VALU_DEP_2)
	v_dual_mov_b32 v4, v2 :: v_dual_mov_b32 v3, v1
	.p2align	6
.LBB29_61:                              ; =>This Inner Loop Header: Depth=1
	scratch_load_b128 v[14:17], v9, off offset:-8
	ds_load_b128 v[22:25], v8
	v_add_nc_u32_e32 v7, 1, v7
	v_add_nc_u32_e32 v8, 16, v8
	;; [unrolled: 1-line block ×3, first 2 shown]
	s_delay_alu instid0(VALU_DEP_3) | instskip(SKIP_4) | instid1(VALU_DEP_2)
	v_cmp_lt_u32_e32 vcc_lo, 10, v7
	s_or_b32 s3, vcc_lo, s3
	s_waitcnt vmcnt(0) lgkmcnt(0)
	v_mul_f64 v[10:11], v[24:25], v[16:17]
	v_mul_f64 v[16:17], v[22:23], v[16:17]
	v_fma_f64 v[10:11], v[22:23], v[14:15], -v[10:11]
	s_delay_alu instid0(VALU_DEP_2) | instskip(NEXT) | instid1(VALU_DEP_2)
	v_fma_f64 v[14:15], v[24:25], v[14:15], v[16:17]
	v_add_f64 v[3:4], v[3:4], v[10:11]
	s_delay_alu instid0(VALU_DEP_2)
	v_add_f64 v[1:2], v[1:2], v[14:15]
	s_and_not1_b32 exec_lo, exec_lo, s3
	s_cbranch_execnz .LBB29_61
; %bb.62:
	s_or_b32 exec_lo, exec_lo, s3
	v_mov_b32_e32 v7, 0
	ds_load_b128 v[7:10], v7 offset:192
	s_waitcnt lgkmcnt(0)
	v_mul_f64 v[11:12], v[1:2], v[9:10]
	v_mul_f64 v[14:15], v[3:4], v[9:10]
	s_delay_alu instid0(VALU_DEP_2) | instskip(NEXT) | instid1(VALU_DEP_2)
	v_fma_f64 v[9:10], v[3:4], v[7:8], -v[11:12]
	v_fma_f64 v[11:12], v[1:2], v[7:8], v[14:15]
	scratch_store_b128 off, v[9:12], off offset:192
.LBB29_63:
	s_or_b32 exec_lo, exec_lo, s2
	s_waitcnt_vscnt null, 0x0
	s_barrier
	buffer_gl0_inv
	scratch_load_b128 v[1:4], v116, off
	s_mov_b32 s2, exec_lo
	s_waitcnt vmcnt(0)
	ds_store_b128 v5, v[1:4]
	s_waitcnt lgkmcnt(0)
	s_barrier
	buffer_gl0_inv
	v_cmpx_gt_u32_e32 13, v102
	s_cbranch_execz .LBB29_67
; %bb.64:
	v_dual_mov_b32 v1, 0 :: v_dual_add_nc_u32 v8, 0x1e0, v21
	v_dual_mov_b32 v2, 0 :: v_dual_add_nc_u32 v7, -1, v102
	v_or_b32_e32 v9, 8, v13
	s_mov_b32 s3, 0
	s_delay_alu instid0(VALU_DEP_2)
	v_dual_mov_b32 v4, v2 :: v_dual_mov_b32 v3, v1
	.p2align	6
.LBB29_65:                              ; =>This Inner Loop Header: Depth=1
	scratch_load_b128 v[14:17], v9, off offset:-8
	ds_load_b128 v[22:25], v8
	v_add_nc_u32_e32 v7, 1, v7
	v_add_nc_u32_e32 v8, 16, v8
	;; [unrolled: 1-line block ×3, first 2 shown]
	s_delay_alu instid0(VALU_DEP_3) | instskip(SKIP_4) | instid1(VALU_DEP_2)
	v_cmp_lt_u32_e32 vcc_lo, 11, v7
	s_or_b32 s3, vcc_lo, s3
	s_waitcnt vmcnt(0) lgkmcnt(0)
	v_mul_f64 v[10:11], v[24:25], v[16:17]
	v_mul_f64 v[16:17], v[22:23], v[16:17]
	v_fma_f64 v[10:11], v[22:23], v[14:15], -v[10:11]
	s_delay_alu instid0(VALU_DEP_2) | instskip(NEXT) | instid1(VALU_DEP_2)
	v_fma_f64 v[14:15], v[24:25], v[14:15], v[16:17]
	v_add_f64 v[3:4], v[3:4], v[10:11]
	s_delay_alu instid0(VALU_DEP_2)
	v_add_f64 v[1:2], v[1:2], v[14:15]
	s_and_not1_b32 exec_lo, exec_lo, s3
	s_cbranch_execnz .LBB29_65
; %bb.66:
	s_or_b32 exec_lo, exec_lo, s3
	v_mov_b32_e32 v7, 0
	ds_load_b128 v[7:10], v7 offset:208
	s_waitcnt lgkmcnt(0)
	v_mul_f64 v[11:12], v[1:2], v[9:10]
	v_mul_f64 v[14:15], v[3:4], v[9:10]
	s_delay_alu instid0(VALU_DEP_2) | instskip(NEXT) | instid1(VALU_DEP_2)
	v_fma_f64 v[9:10], v[3:4], v[7:8], -v[11:12]
	v_fma_f64 v[11:12], v[1:2], v[7:8], v[14:15]
	scratch_store_b128 off, v[9:12], off offset:208
.LBB29_67:
	s_or_b32 exec_lo, exec_lo, s2
	s_waitcnt_vscnt null, 0x0
	s_barrier
	buffer_gl0_inv
	scratch_load_b128 v[1:4], v114, off
	s_mov_b32 s2, exec_lo
	s_waitcnt vmcnt(0)
	ds_store_b128 v5, v[1:4]
	s_waitcnt lgkmcnt(0)
	s_barrier
	buffer_gl0_inv
	v_cmpx_gt_u32_e32 14, v102
	s_cbranch_execz .LBB29_71
; %bb.68:
	v_dual_mov_b32 v1, 0 :: v_dual_add_nc_u32 v8, 0x1e0, v21
	v_dual_mov_b32 v2, 0 :: v_dual_add_nc_u32 v7, -1, v102
	v_or_b32_e32 v9, 8, v13
	s_mov_b32 s3, 0
	s_delay_alu instid0(VALU_DEP_2)
	v_dual_mov_b32 v4, v2 :: v_dual_mov_b32 v3, v1
	.p2align	6
.LBB29_69:                              ; =>This Inner Loop Header: Depth=1
	scratch_load_b128 v[14:17], v9, off offset:-8
	ds_load_b128 v[22:25], v8
	v_add_nc_u32_e32 v7, 1, v7
	v_add_nc_u32_e32 v8, 16, v8
	;; [unrolled: 1-line block ×3, first 2 shown]
	s_delay_alu instid0(VALU_DEP_3) | instskip(SKIP_4) | instid1(VALU_DEP_2)
	v_cmp_lt_u32_e32 vcc_lo, 12, v7
	s_or_b32 s3, vcc_lo, s3
	s_waitcnt vmcnt(0) lgkmcnt(0)
	v_mul_f64 v[10:11], v[24:25], v[16:17]
	v_mul_f64 v[16:17], v[22:23], v[16:17]
	v_fma_f64 v[10:11], v[22:23], v[14:15], -v[10:11]
	s_delay_alu instid0(VALU_DEP_2) | instskip(NEXT) | instid1(VALU_DEP_2)
	v_fma_f64 v[14:15], v[24:25], v[14:15], v[16:17]
	v_add_f64 v[3:4], v[3:4], v[10:11]
	s_delay_alu instid0(VALU_DEP_2)
	v_add_f64 v[1:2], v[1:2], v[14:15]
	s_and_not1_b32 exec_lo, exec_lo, s3
	s_cbranch_execnz .LBB29_69
; %bb.70:
	s_or_b32 exec_lo, exec_lo, s3
	v_mov_b32_e32 v7, 0
	ds_load_b128 v[7:10], v7 offset:224
	s_waitcnt lgkmcnt(0)
	v_mul_f64 v[11:12], v[1:2], v[9:10]
	v_mul_f64 v[14:15], v[3:4], v[9:10]
	s_delay_alu instid0(VALU_DEP_2) | instskip(NEXT) | instid1(VALU_DEP_2)
	v_fma_f64 v[9:10], v[3:4], v[7:8], -v[11:12]
	v_fma_f64 v[11:12], v[1:2], v[7:8], v[14:15]
	scratch_store_b128 off, v[9:12], off offset:224
.LBB29_71:
	s_or_b32 exec_lo, exec_lo, s2
	s_waitcnt_vscnt null, 0x0
	s_barrier
	buffer_gl0_inv
	scratch_load_b128 v[1:4], v115, off
	s_mov_b32 s2, exec_lo
	s_waitcnt vmcnt(0)
	ds_store_b128 v5, v[1:4]
	s_waitcnt lgkmcnt(0)
	s_barrier
	buffer_gl0_inv
	v_cmpx_gt_u32_e32 15, v102
	s_cbranch_execz .LBB29_75
; %bb.72:
	v_dual_mov_b32 v1, 0 :: v_dual_add_nc_u32 v8, 0x1e0, v21
	v_dual_mov_b32 v2, 0 :: v_dual_add_nc_u32 v7, -1, v102
	v_or_b32_e32 v9, 8, v13
	s_mov_b32 s3, 0
	s_delay_alu instid0(VALU_DEP_2)
	v_dual_mov_b32 v4, v2 :: v_dual_mov_b32 v3, v1
	.p2align	6
.LBB29_73:                              ; =>This Inner Loop Header: Depth=1
	scratch_load_b128 v[14:17], v9, off offset:-8
	ds_load_b128 v[22:25], v8
	v_add_nc_u32_e32 v7, 1, v7
	v_add_nc_u32_e32 v8, 16, v8
	;; [unrolled: 1-line block ×3, first 2 shown]
	s_delay_alu instid0(VALU_DEP_3) | instskip(SKIP_4) | instid1(VALU_DEP_2)
	v_cmp_lt_u32_e32 vcc_lo, 13, v7
	s_or_b32 s3, vcc_lo, s3
	s_waitcnt vmcnt(0) lgkmcnt(0)
	v_mul_f64 v[10:11], v[24:25], v[16:17]
	v_mul_f64 v[16:17], v[22:23], v[16:17]
	v_fma_f64 v[10:11], v[22:23], v[14:15], -v[10:11]
	s_delay_alu instid0(VALU_DEP_2) | instskip(NEXT) | instid1(VALU_DEP_2)
	v_fma_f64 v[14:15], v[24:25], v[14:15], v[16:17]
	v_add_f64 v[3:4], v[3:4], v[10:11]
	s_delay_alu instid0(VALU_DEP_2)
	v_add_f64 v[1:2], v[1:2], v[14:15]
	s_and_not1_b32 exec_lo, exec_lo, s3
	s_cbranch_execnz .LBB29_73
; %bb.74:
	s_or_b32 exec_lo, exec_lo, s3
	v_mov_b32_e32 v7, 0
	ds_load_b128 v[7:10], v7 offset:240
	s_waitcnt lgkmcnt(0)
	v_mul_f64 v[11:12], v[1:2], v[9:10]
	v_mul_f64 v[14:15], v[3:4], v[9:10]
	s_delay_alu instid0(VALU_DEP_2) | instskip(NEXT) | instid1(VALU_DEP_2)
	v_fma_f64 v[9:10], v[3:4], v[7:8], -v[11:12]
	v_fma_f64 v[11:12], v[1:2], v[7:8], v[14:15]
	scratch_store_b128 off, v[9:12], off offset:240
.LBB29_75:
	s_or_b32 exec_lo, exec_lo, s2
	s_waitcnt_vscnt null, 0x0
	s_barrier
	buffer_gl0_inv
	scratch_load_b128 v[1:4], v113, off
	s_mov_b32 s2, exec_lo
	s_waitcnt vmcnt(0)
	ds_store_b128 v5, v[1:4]
	s_waitcnt lgkmcnt(0)
	s_barrier
	buffer_gl0_inv
	v_cmpx_gt_u32_e32 16, v102
	s_cbranch_execz .LBB29_79
; %bb.76:
	v_dual_mov_b32 v1, 0 :: v_dual_add_nc_u32 v8, 0x1e0, v21
	v_dual_mov_b32 v2, 0 :: v_dual_add_nc_u32 v7, -1, v102
	v_or_b32_e32 v9, 8, v13
	s_mov_b32 s3, 0
	s_delay_alu instid0(VALU_DEP_2)
	v_dual_mov_b32 v4, v2 :: v_dual_mov_b32 v3, v1
	.p2align	6
.LBB29_77:                              ; =>This Inner Loop Header: Depth=1
	scratch_load_b128 v[14:17], v9, off offset:-8
	ds_load_b128 v[22:25], v8
	v_add_nc_u32_e32 v7, 1, v7
	v_add_nc_u32_e32 v8, 16, v8
	;; [unrolled: 1-line block ×3, first 2 shown]
	s_delay_alu instid0(VALU_DEP_3) | instskip(SKIP_4) | instid1(VALU_DEP_2)
	v_cmp_lt_u32_e32 vcc_lo, 14, v7
	s_or_b32 s3, vcc_lo, s3
	s_waitcnt vmcnt(0) lgkmcnt(0)
	v_mul_f64 v[10:11], v[24:25], v[16:17]
	v_mul_f64 v[16:17], v[22:23], v[16:17]
	v_fma_f64 v[10:11], v[22:23], v[14:15], -v[10:11]
	s_delay_alu instid0(VALU_DEP_2) | instskip(NEXT) | instid1(VALU_DEP_2)
	v_fma_f64 v[14:15], v[24:25], v[14:15], v[16:17]
	v_add_f64 v[3:4], v[3:4], v[10:11]
	s_delay_alu instid0(VALU_DEP_2)
	v_add_f64 v[1:2], v[1:2], v[14:15]
	s_and_not1_b32 exec_lo, exec_lo, s3
	s_cbranch_execnz .LBB29_77
; %bb.78:
	s_or_b32 exec_lo, exec_lo, s3
	v_mov_b32_e32 v7, 0
	ds_load_b128 v[7:10], v7 offset:256
	s_waitcnt lgkmcnt(0)
	v_mul_f64 v[11:12], v[1:2], v[9:10]
	v_mul_f64 v[14:15], v[3:4], v[9:10]
	s_delay_alu instid0(VALU_DEP_2) | instskip(NEXT) | instid1(VALU_DEP_2)
	v_fma_f64 v[9:10], v[3:4], v[7:8], -v[11:12]
	v_fma_f64 v[11:12], v[1:2], v[7:8], v[14:15]
	scratch_store_b128 off, v[9:12], off offset:256
.LBB29_79:
	s_or_b32 exec_lo, exec_lo, s2
	s_waitcnt_vscnt null, 0x0
	s_barrier
	buffer_gl0_inv
	scratch_load_b128 v[1:4], v112, off
	s_mov_b32 s2, exec_lo
	s_waitcnt vmcnt(0)
	ds_store_b128 v5, v[1:4]
	s_waitcnt lgkmcnt(0)
	s_barrier
	buffer_gl0_inv
	v_cmpx_gt_u32_e32 17, v102
	s_cbranch_execz .LBB29_83
; %bb.80:
	v_dual_mov_b32 v1, 0 :: v_dual_add_nc_u32 v8, 0x1e0, v21
	v_dual_mov_b32 v2, 0 :: v_dual_add_nc_u32 v7, -1, v102
	v_or_b32_e32 v9, 8, v13
	s_mov_b32 s3, 0
	s_delay_alu instid0(VALU_DEP_2)
	v_dual_mov_b32 v4, v2 :: v_dual_mov_b32 v3, v1
	.p2align	6
.LBB29_81:                              ; =>This Inner Loop Header: Depth=1
	scratch_load_b128 v[14:17], v9, off offset:-8
	ds_load_b128 v[22:25], v8
	v_add_nc_u32_e32 v7, 1, v7
	v_add_nc_u32_e32 v8, 16, v8
	v_add_nc_u32_e32 v9, 16, v9
	s_delay_alu instid0(VALU_DEP_3) | instskip(SKIP_4) | instid1(VALU_DEP_2)
	v_cmp_lt_u32_e32 vcc_lo, 15, v7
	s_or_b32 s3, vcc_lo, s3
	s_waitcnt vmcnt(0) lgkmcnt(0)
	v_mul_f64 v[10:11], v[24:25], v[16:17]
	v_mul_f64 v[16:17], v[22:23], v[16:17]
	v_fma_f64 v[10:11], v[22:23], v[14:15], -v[10:11]
	s_delay_alu instid0(VALU_DEP_2) | instskip(NEXT) | instid1(VALU_DEP_2)
	v_fma_f64 v[14:15], v[24:25], v[14:15], v[16:17]
	v_add_f64 v[3:4], v[3:4], v[10:11]
	s_delay_alu instid0(VALU_DEP_2)
	v_add_f64 v[1:2], v[1:2], v[14:15]
	s_and_not1_b32 exec_lo, exec_lo, s3
	s_cbranch_execnz .LBB29_81
; %bb.82:
	s_or_b32 exec_lo, exec_lo, s3
	v_mov_b32_e32 v7, 0
	ds_load_b128 v[7:10], v7 offset:272
	s_waitcnt lgkmcnt(0)
	v_mul_f64 v[11:12], v[1:2], v[9:10]
	v_mul_f64 v[14:15], v[3:4], v[9:10]
	s_delay_alu instid0(VALU_DEP_2) | instskip(NEXT) | instid1(VALU_DEP_2)
	v_fma_f64 v[9:10], v[3:4], v[7:8], -v[11:12]
	v_fma_f64 v[11:12], v[1:2], v[7:8], v[14:15]
	scratch_store_b128 off, v[9:12], off offset:272
.LBB29_83:
	s_or_b32 exec_lo, exec_lo, s2
	s_waitcnt_vscnt null, 0x0
	s_barrier
	buffer_gl0_inv
	scratch_load_b128 v[1:4], v110, off
	s_mov_b32 s2, exec_lo
	s_waitcnt vmcnt(0)
	ds_store_b128 v5, v[1:4]
	s_waitcnt lgkmcnt(0)
	s_barrier
	buffer_gl0_inv
	v_cmpx_gt_u32_e32 18, v102
	s_cbranch_execz .LBB29_87
; %bb.84:
	v_dual_mov_b32 v1, 0 :: v_dual_add_nc_u32 v8, 0x1e0, v21
	v_dual_mov_b32 v2, 0 :: v_dual_add_nc_u32 v7, -1, v102
	v_or_b32_e32 v9, 8, v13
	s_mov_b32 s3, 0
	s_delay_alu instid0(VALU_DEP_2)
	v_dual_mov_b32 v4, v2 :: v_dual_mov_b32 v3, v1
	.p2align	6
.LBB29_85:                              ; =>This Inner Loop Header: Depth=1
	scratch_load_b128 v[14:17], v9, off offset:-8
	ds_load_b128 v[22:25], v8
	v_add_nc_u32_e32 v7, 1, v7
	v_add_nc_u32_e32 v8, 16, v8
	;; [unrolled: 1-line block ×3, first 2 shown]
	s_delay_alu instid0(VALU_DEP_3) | instskip(SKIP_4) | instid1(VALU_DEP_2)
	v_cmp_lt_u32_e32 vcc_lo, 16, v7
	s_or_b32 s3, vcc_lo, s3
	s_waitcnt vmcnt(0) lgkmcnt(0)
	v_mul_f64 v[10:11], v[24:25], v[16:17]
	v_mul_f64 v[16:17], v[22:23], v[16:17]
	v_fma_f64 v[10:11], v[22:23], v[14:15], -v[10:11]
	s_delay_alu instid0(VALU_DEP_2) | instskip(NEXT) | instid1(VALU_DEP_2)
	v_fma_f64 v[14:15], v[24:25], v[14:15], v[16:17]
	v_add_f64 v[3:4], v[3:4], v[10:11]
	s_delay_alu instid0(VALU_DEP_2)
	v_add_f64 v[1:2], v[1:2], v[14:15]
	s_and_not1_b32 exec_lo, exec_lo, s3
	s_cbranch_execnz .LBB29_85
; %bb.86:
	s_or_b32 exec_lo, exec_lo, s3
	v_mov_b32_e32 v7, 0
	ds_load_b128 v[7:10], v7 offset:288
	s_waitcnt lgkmcnt(0)
	v_mul_f64 v[11:12], v[1:2], v[9:10]
	v_mul_f64 v[14:15], v[3:4], v[9:10]
	s_delay_alu instid0(VALU_DEP_2) | instskip(NEXT) | instid1(VALU_DEP_2)
	v_fma_f64 v[9:10], v[3:4], v[7:8], -v[11:12]
	v_fma_f64 v[11:12], v[1:2], v[7:8], v[14:15]
	scratch_store_b128 off, v[9:12], off offset:288
.LBB29_87:
	s_or_b32 exec_lo, exec_lo, s2
	s_waitcnt_vscnt null, 0x0
	s_barrier
	buffer_gl0_inv
	scratch_load_b128 v[1:4], v111, off
	s_mov_b32 s2, exec_lo
	s_waitcnt vmcnt(0)
	ds_store_b128 v5, v[1:4]
	s_waitcnt lgkmcnt(0)
	s_barrier
	buffer_gl0_inv
	v_cmpx_gt_u32_e32 19, v102
	s_cbranch_execz .LBB29_91
; %bb.88:
	v_dual_mov_b32 v1, 0 :: v_dual_add_nc_u32 v8, 0x1e0, v21
	v_dual_mov_b32 v2, 0 :: v_dual_add_nc_u32 v7, -1, v102
	v_or_b32_e32 v9, 8, v13
	s_mov_b32 s3, 0
	s_delay_alu instid0(VALU_DEP_2)
	v_dual_mov_b32 v4, v2 :: v_dual_mov_b32 v3, v1
	.p2align	6
.LBB29_89:                              ; =>This Inner Loop Header: Depth=1
	scratch_load_b128 v[14:17], v9, off offset:-8
	ds_load_b128 v[22:25], v8
	v_add_nc_u32_e32 v7, 1, v7
	v_add_nc_u32_e32 v8, 16, v8
	;; [unrolled: 1-line block ×3, first 2 shown]
	s_delay_alu instid0(VALU_DEP_3) | instskip(SKIP_4) | instid1(VALU_DEP_2)
	v_cmp_lt_u32_e32 vcc_lo, 17, v7
	s_or_b32 s3, vcc_lo, s3
	s_waitcnt vmcnt(0) lgkmcnt(0)
	v_mul_f64 v[10:11], v[24:25], v[16:17]
	v_mul_f64 v[16:17], v[22:23], v[16:17]
	v_fma_f64 v[10:11], v[22:23], v[14:15], -v[10:11]
	s_delay_alu instid0(VALU_DEP_2) | instskip(NEXT) | instid1(VALU_DEP_2)
	v_fma_f64 v[14:15], v[24:25], v[14:15], v[16:17]
	v_add_f64 v[3:4], v[3:4], v[10:11]
	s_delay_alu instid0(VALU_DEP_2)
	v_add_f64 v[1:2], v[1:2], v[14:15]
	s_and_not1_b32 exec_lo, exec_lo, s3
	s_cbranch_execnz .LBB29_89
; %bb.90:
	s_or_b32 exec_lo, exec_lo, s3
	v_mov_b32_e32 v7, 0
	ds_load_b128 v[7:10], v7 offset:304
	s_waitcnt lgkmcnt(0)
	v_mul_f64 v[11:12], v[1:2], v[9:10]
	v_mul_f64 v[14:15], v[3:4], v[9:10]
	s_delay_alu instid0(VALU_DEP_2) | instskip(NEXT) | instid1(VALU_DEP_2)
	v_fma_f64 v[9:10], v[3:4], v[7:8], -v[11:12]
	v_fma_f64 v[11:12], v[1:2], v[7:8], v[14:15]
	scratch_store_b128 off, v[9:12], off offset:304
.LBB29_91:
	s_or_b32 exec_lo, exec_lo, s2
	s_waitcnt_vscnt null, 0x0
	s_barrier
	buffer_gl0_inv
	scratch_load_b128 v[1:4], v109, off
	s_mov_b32 s2, exec_lo
	s_waitcnt vmcnt(0)
	ds_store_b128 v5, v[1:4]
	s_waitcnt lgkmcnt(0)
	s_barrier
	buffer_gl0_inv
	v_cmpx_gt_u32_e32 20, v102
	s_cbranch_execz .LBB29_95
; %bb.92:
	v_dual_mov_b32 v1, 0 :: v_dual_add_nc_u32 v8, 0x1e0, v21
	v_dual_mov_b32 v2, 0 :: v_dual_add_nc_u32 v7, -1, v102
	v_or_b32_e32 v9, 8, v13
	s_mov_b32 s3, 0
	s_delay_alu instid0(VALU_DEP_2)
	v_dual_mov_b32 v4, v2 :: v_dual_mov_b32 v3, v1
	.p2align	6
.LBB29_93:                              ; =>This Inner Loop Header: Depth=1
	scratch_load_b128 v[14:17], v9, off offset:-8
	ds_load_b128 v[22:25], v8
	v_add_nc_u32_e32 v7, 1, v7
	v_add_nc_u32_e32 v8, 16, v8
	;; [unrolled: 1-line block ×3, first 2 shown]
	s_delay_alu instid0(VALU_DEP_3) | instskip(SKIP_4) | instid1(VALU_DEP_2)
	v_cmp_lt_u32_e32 vcc_lo, 18, v7
	s_or_b32 s3, vcc_lo, s3
	s_waitcnt vmcnt(0) lgkmcnt(0)
	v_mul_f64 v[10:11], v[24:25], v[16:17]
	v_mul_f64 v[16:17], v[22:23], v[16:17]
	v_fma_f64 v[10:11], v[22:23], v[14:15], -v[10:11]
	s_delay_alu instid0(VALU_DEP_2) | instskip(NEXT) | instid1(VALU_DEP_2)
	v_fma_f64 v[14:15], v[24:25], v[14:15], v[16:17]
	v_add_f64 v[3:4], v[3:4], v[10:11]
	s_delay_alu instid0(VALU_DEP_2)
	v_add_f64 v[1:2], v[1:2], v[14:15]
	s_and_not1_b32 exec_lo, exec_lo, s3
	s_cbranch_execnz .LBB29_93
; %bb.94:
	s_or_b32 exec_lo, exec_lo, s3
	v_mov_b32_e32 v7, 0
	ds_load_b128 v[7:10], v7 offset:320
	s_waitcnt lgkmcnt(0)
	v_mul_f64 v[11:12], v[1:2], v[9:10]
	v_mul_f64 v[14:15], v[3:4], v[9:10]
	s_delay_alu instid0(VALU_DEP_2) | instskip(NEXT) | instid1(VALU_DEP_2)
	v_fma_f64 v[9:10], v[3:4], v[7:8], -v[11:12]
	v_fma_f64 v[11:12], v[1:2], v[7:8], v[14:15]
	scratch_store_b128 off, v[9:12], off offset:320
.LBB29_95:
	s_or_b32 exec_lo, exec_lo, s2
	s_waitcnt_vscnt null, 0x0
	s_barrier
	buffer_gl0_inv
	scratch_load_b128 v[1:4], v108, off
	s_mov_b32 s2, exec_lo
	s_waitcnt vmcnt(0)
	ds_store_b128 v5, v[1:4]
	s_waitcnt lgkmcnt(0)
	s_barrier
	buffer_gl0_inv
	v_cmpx_gt_u32_e32 21, v102
	s_cbranch_execz .LBB29_99
; %bb.96:
	v_dual_mov_b32 v1, 0 :: v_dual_add_nc_u32 v8, 0x1e0, v21
	v_dual_mov_b32 v2, 0 :: v_dual_add_nc_u32 v7, -1, v102
	v_or_b32_e32 v9, 8, v13
	s_mov_b32 s3, 0
	s_delay_alu instid0(VALU_DEP_2)
	v_dual_mov_b32 v4, v2 :: v_dual_mov_b32 v3, v1
	.p2align	6
.LBB29_97:                              ; =>This Inner Loop Header: Depth=1
	scratch_load_b128 v[14:17], v9, off offset:-8
	ds_load_b128 v[22:25], v8
	v_add_nc_u32_e32 v7, 1, v7
	v_add_nc_u32_e32 v8, 16, v8
	;; [unrolled: 1-line block ×3, first 2 shown]
	s_delay_alu instid0(VALU_DEP_3) | instskip(SKIP_4) | instid1(VALU_DEP_2)
	v_cmp_lt_u32_e32 vcc_lo, 19, v7
	s_or_b32 s3, vcc_lo, s3
	s_waitcnt vmcnt(0) lgkmcnt(0)
	v_mul_f64 v[10:11], v[24:25], v[16:17]
	v_mul_f64 v[16:17], v[22:23], v[16:17]
	v_fma_f64 v[10:11], v[22:23], v[14:15], -v[10:11]
	s_delay_alu instid0(VALU_DEP_2) | instskip(NEXT) | instid1(VALU_DEP_2)
	v_fma_f64 v[14:15], v[24:25], v[14:15], v[16:17]
	v_add_f64 v[3:4], v[3:4], v[10:11]
	s_delay_alu instid0(VALU_DEP_2)
	v_add_f64 v[1:2], v[1:2], v[14:15]
	s_and_not1_b32 exec_lo, exec_lo, s3
	s_cbranch_execnz .LBB29_97
; %bb.98:
	s_or_b32 exec_lo, exec_lo, s3
	v_mov_b32_e32 v7, 0
	ds_load_b128 v[7:10], v7 offset:336
	s_waitcnt lgkmcnt(0)
	v_mul_f64 v[11:12], v[1:2], v[9:10]
	v_mul_f64 v[14:15], v[3:4], v[9:10]
	s_delay_alu instid0(VALU_DEP_2) | instskip(NEXT) | instid1(VALU_DEP_2)
	v_fma_f64 v[9:10], v[3:4], v[7:8], -v[11:12]
	v_fma_f64 v[11:12], v[1:2], v[7:8], v[14:15]
	scratch_store_b128 off, v[9:12], off offset:336
.LBB29_99:
	s_or_b32 exec_lo, exec_lo, s2
	s_waitcnt_vscnt null, 0x0
	s_barrier
	buffer_gl0_inv
	scratch_load_b128 v[1:4], v107, off
	s_mov_b32 s2, exec_lo
	s_waitcnt vmcnt(0)
	ds_store_b128 v5, v[1:4]
	s_waitcnt lgkmcnt(0)
	s_barrier
	buffer_gl0_inv
	v_cmpx_gt_u32_e32 22, v102
	s_cbranch_execz .LBB29_103
; %bb.100:
	v_dual_mov_b32 v1, 0 :: v_dual_add_nc_u32 v8, 0x1e0, v21
	v_dual_mov_b32 v2, 0 :: v_dual_add_nc_u32 v7, -1, v102
	v_or_b32_e32 v9, 8, v13
	s_mov_b32 s3, 0
	s_delay_alu instid0(VALU_DEP_2)
	v_dual_mov_b32 v4, v2 :: v_dual_mov_b32 v3, v1
	.p2align	6
.LBB29_101:                             ; =>This Inner Loop Header: Depth=1
	scratch_load_b128 v[14:17], v9, off offset:-8
	ds_load_b128 v[22:25], v8
	v_add_nc_u32_e32 v7, 1, v7
	v_add_nc_u32_e32 v8, 16, v8
	v_add_nc_u32_e32 v9, 16, v9
	s_delay_alu instid0(VALU_DEP_3) | instskip(SKIP_4) | instid1(VALU_DEP_2)
	v_cmp_lt_u32_e32 vcc_lo, 20, v7
	s_or_b32 s3, vcc_lo, s3
	s_waitcnt vmcnt(0) lgkmcnt(0)
	v_mul_f64 v[10:11], v[24:25], v[16:17]
	v_mul_f64 v[16:17], v[22:23], v[16:17]
	v_fma_f64 v[10:11], v[22:23], v[14:15], -v[10:11]
	s_delay_alu instid0(VALU_DEP_2) | instskip(NEXT) | instid1(VALU_DEP_2)
	v_fma_f64 v[14:15], v[24:25], v[14:15], v[16:17]
	v_add_f64 v[3:4], v[3:4], v[10:11]
	s_delay_alu instid0(VALU_DEP_2)
	v_add_f64 v[1:2], v[1:2], v[14:15]
	s_and_not1_b32 exec_lo, exec_lo, s3
	s_cbranch_execnz .LBB29_101
; %bb.102:
	s_or_b32 exec_lo, exec_lo, s3
	v_mov_b32_e32 v7, 0
	ds_load_b128 v[7:10], v7 offset:352
	s_waitcnt lgkmcnt(0)
	v_mul_f64 v[11:12], v[1:2], v[9:10]
	v_mul_f64 v[14:15], v[3:4], v[9:10]
	s_delay_alu instid0(VALU_DEP_2) | instskip(NEXT) | instid1(VALU_DEP_2)
	v_fma_f64 v[9:10], v[3:4], v[7:8], -v[11:12]
	v_fma_f64 v[11:12], v[1:2], v[7:8], v[14:15]
	scratch_store_b128 off, v[9:12], off offset:352
.LBB29_103:
	s_or_b32 exec_lo, exec_lo, s2
	s_waitcnt_vscnt null, 0x0
	s_barrier
	buffer_gl0_inv
	scratch_load_b128 v[1:4], v131, off
	s_mov_b32 s2, exec_lo
	s_waitcnt vmcnt(0)
	ds_store_b128 v5, v[1:4]
	s_waitcnt lgkmcnt(0)
	s_barrier
	buffer_gl0_inv
	v_cmpx_gt_u32_e32 23, v102
	s_cbranch_execz .LBB29_107
; %bb.104:
	v_dual_mov_b32 v1, 0 :: v_dual_add_nc_u32 v8, 0x1e0, v21
	v_dual_mov_b32 v2, 0 :: v_dual_add_nc_u32 v7, -1, v102
	v_or_b32_e32 v9, 8, v13
	s_mov_b32 s3, 0
	s_delay_alu instid0(VALU_DEP_2)
	v_dual_mov_b32 v4, v2 :: v_dual_mov_b32 v3, v1
	.p2align	6
.LBB29_105:                             ; =>This Inner Loop Header: Depth=1
	scratch_load_b128 v[14:17], v9, off offset:-8
	ds_load_b128 v[22:25], v8
	v_add_nc_u32_e32 v7, 1, v7
	v_add_nc_u32_e32 v8, 16, v8
	v_add_nc_u32_e32 v9, 16, v9
	s_delay_alu instid0(VALU_DEP_3) | instskip(SKIP_4) | instid1(VALU_DEP_2)
	v_cmp_lt_u32_e32 vcc_lo, 21, v7
	s_or_b32 s3, vcc_lo, s3
	s_waitcnt vmcnt(0) lgkmcnt(0)
	v_mul_f64 v[10:11], v[24:25], v[16:17]
	v_mul_f64 v[16:17], v[22:23], v[16:17]
	v_fma_f64 v[10:11], v[22:23], v[14:15], -v[10:11]
	s_delay_alu instid0(VALU_DEP_2) | instskip(NEXT) | instid1(VALU_DEP_2)
	v_fma_f64 v[14:15], v[24:25], v[14:15], v[16:17]
	v_add_f64 v[3:4], v[3:4], v[10:11]
	s_delay_alu instid0(VALU_DEP_2)
	v_add_f64 v[1:2], v[1:2], v[14:15]
	s_and_not1_b32 exec_lo, exec_lo, s3
	s_cbranch_execnz .LBB29_105
; %bb.106:
	s_or_b32 exec_lo, exec_lo, s3
	v_mov_b32_e32 v7, 0
	ds_load_b128 v[7:10], v7 offset:368
	s_waitcnt lgkmcnt(0)
	v_mul_f64 v[11:12], v[1:2], v[9:10]
	v_mul_f64 v[14:15], v[3:4], v[9:10]
	s_delay_alu instid0(VALU_DEP_2) | instskip(NEXT) | instid1(VALU_DEP_2)
	v_fma_f64 v[9:10], v[3:4], v[7:8], -v[11:12]
	v_fma_f64 v[11:12], v[1:2], v[7:8], v[14:15]
	scratch_store_b128 off, v[9:12], off offset:368
.LBB29_107:
	s_or_b32 exec_lo, exec_lo, s2
	s_waitcnt_vscnt null, 0x0
	s_barrier
	buffer_gl0_inv
	scratch_load_b128 v[1:4], v130, off
	s_mov_b32 s2, exec_lo
	s_waitcnt vmcnt(0)
	ds_store_b128 v5, v[1:4]
	s_waitcnt lgkmcnt(0)
	s_barrier
	buffer_gl0_inv
	v_cmpx_gt_u32_e32 24, v102
	s_cbranch_execz .LBB29_111
; %bb.108:
	v_dual_mov_b32 v1, 0 :: v_dual_add_nc_u32 v8, 0x1e0, v21
	v_dual_mov_b32 v2, 0 :: v_dual_add_nc_u32 v7, -1, v102
	v_or_b32_e32 v9, 8, v13
	s_mov_b32 s3, 0
	s_delay_alu instid0(VALU_DEP_2)
	v_dual_mov_b32 v4, v2 :: v_dual_mov_b32 v3, v1
	.p2align	6
.LBB29_109:                             ; =>This Inner Loop Header: Depth=1
	scratch_load_b128 v[14:17], v9, off offset:-8
	ds_load_b128 v[22:25], v8
	v_add_nc_u32_e32 v7, 1, v7
	v_add_nc_u32_e32 v8, 16, v8
	v_add_nc_u32_e32 v9, 16, v9
	s_delay_alu instid0(VALU_DEP_3) | instskip(SKIP_4) | instid1(VALU_DEP_2)
	v_cmp_lt_u32_e32 vcc_lo, 22, v7
	s_or_b32 s3, vcc_lo, s3
	s_waitcnt vmcnt(0) lgkmcnt(0)
	v_mul_f64 v[10:11], v[24:25], v[16:17]
	v_mul_f64 v[16:17], v[22:23], v[16:17]
	v_fma_f64 v[10:11], v[22:23], v[14:15], -v[10:11]
	s_delay_alu instid0(VALU_DEP_2) | instskip(NEXT) | instid1(VALU_DEP_2)
	v_fma_f64 v[14:15], v[24:25], v[14:15], v[16:17]
	v_add_f64 v[3:4], v[3:4], v[10:11]
	s_delay_alu instid0(VALU_DEP_2)
	v_add_f64 v[1:2], v[1:2], v[14:15]
	s_and_not1_b32 exec_lo, exec_lo, s3
	s_cbranch_execnz .LBB29_109
; %bb.110:
	s_or_b32 exec_lo, exec_lo, s3
	v_mov_b32_e32 v7, 0
	ds_load_b128 v[7:10], v7 offset:384
	s_waitcnt lgkmcnt(0)
	v_mul_f64 v[11:12], v[1:2], v[9:10]
	v_mul_f64 v[14:15], v[3:4], v[9:10]
	s_delay_alu instid0(VALU_DEP_2) | instskip(NEXT) | instid1(VALU_DEP_2)
	v_fma_f64 v[9:10], v[3:4], v[7:8], -v[11:12]
	v_fma_f64 v[11:12], v[1:2], v[7:8], v[14:15]
	scratch_store_b128 off, v[9:12], off offset:384
.LBB29_111:
	s_or_b32 exec_lo, exec_lo, s2
	s_waitcnt_vscnt null, 0x0
	s_barrier
	buffer_gl0_inv
	scratch_load_b128 v[1:4], v129, off
	s_mov_b32 s2, exec_lo
	s_waitcnt vmcnt(0)
	ds_store_b128 v5, v[1:4]
	s_waitcnt lgkmcnt(0)
	s_barrier
	buffer_gl0_inv
	v_cmpx_gt_u32_e32 25, v102
	s_cbranch_execz .LBB29_115
; %bb.112:
	v_dual_mov_b32 v1, 0 :: v_dual_add_nc_u32 v8, 0x1e0, v21
	v_dual_mov_b32 v2, 0 :: v_dual_add_nc_u32 v7, -1, v102
	v_or_b32_e32 v9, 8, v13
	s_mov_b32 s3, 0
	s_delay_alu instid0(VALU_DEP_2)
	v_dual_mov_b32 v4, v2 :: v_dual_mov_b32 v3, v1
	.p2align	6
.LBB29_113:                             ; =>This Inner Loop Header: Depth=1
	scratch_load_b128 v[14:17], v9, off offset:-8
	ds_load_b128 v[22:25], v8
	v_add_nc_u32_e32 v7, 1, v7
	v_add_nc_u32_e32 v8, 16, v8
	;; [unrolled: 1-line block ×3, first 2 shown]
	s_delay_alu instid0(VALU_DEP_3) | instskip(SKIP_4) | instid1(VALU_DEP_2)
	v_cmp_lt_u32_e32 vcc_lo, 23, v7
	s_or_b32 s3, vcc_lo, s3
	s_waitcnt vmcnt(0) lgkmcnt(0)
	v_mul_f64 v[10:11], v[24:25], v[16:17]
	v_mul_f64 v[16:17], v[22:23], v[16:17]
	v_fma_f64 v[10:11], v[22:23], v[14:15], -v[10:11]
	s_delay_alu instid0(VALU_DEP_2) | instskip(NEXT) | instid1(VALU_DEP_2)
	v_fma_f64 v[14:15], v[24:25], v[14:15], v[16:17]
	v_add_f64 v[3:4], v[3:4], v[10:11]
	s_delay_alu instid0(VALU_DEP_2)
	v_add_f64 v[1:2], v[1:2], v[14:15]
	s_and_not1_b32 exec_lo, exec_lo, s3
	s_cbranch_execnz .LBB29_113
; %bb.114:
	s_or_b32 exec_lo, exec_lo, s3
	v_mov_b32_e32 v7, 0
	ds_load_b128 v[7:10], v7 offset:400
	s_waitcnt lgkmcnt(0)
	v_mul_f64 v[11:12], v[1:2], v[9:10]
	v_mul_f64 v[14:15], v[3:4], v[9:10]
	s_delay_alu instid0(VALU_DEP_2) | instskip(NEXT) | instid1(VALU_DEP_2)
	v_fma_f64 v[9:10], v[3:4], v[7:8], -v[11:12]
	v_fma_f64 v[11:12], v[1:2], v[7:8], v[14:15]
	scratch_store_b128 off, v[9:12], off offset:400
.LBB29_115:
	s_or_b32 exec_lo, exec_lo, s2
	s_waitcnt_vscnt null, 0x0
	s_barrier
	buffer_gl0_inv
	scratch_load_b128 v[1:4], v128, off
	s_mov_b32 s2, exec_lo
	s_waitcnt vmcnt(0)
	ds_store_b128 v5, v[1:4]
	s_waitcnt lgkmcnt(0)
	s_barrier
	buffer_gl0_inv
	v_cmpx_gt_u32_e32 26, v102
	s_cbranch_execz .LBB29_119
; %bb.116:
	v_dual_mov_b32 v1, 0 :: v_dual_add_nc_u32 v8, 0x1e0, v21
	v_dual_mov_b32 v2, 0 :: v_dual_add_nc_u32 v7, -1, v102
	v_or_b32_e32 v9, 8, v13
	s_mov_b32 s3, 0
	s_delay_alu instid0(VALU_DEP_2)
	v_dual_mov_b32 v4, v2 :: v_dual_mov_b32 v3, v1
	.p2align	6
.LBB29_117:                             ; =>This Inner Loop Header: Depth=1
	scratch_load_b128 v[14:17], v9, off offset:-8
	ds_load_b128 v[22:25], v8
	v_add_nc_u32_e32 v7, 1, v7
	v_add_nc_u32_e32 v8, 16, v8
	;; [unrolled: 1-line block ×3, first 2 shown]
	s_delay_alu instid0(VALU_DEP_3) | instskip(SKIP_4) | instid1(VALU_DEP_2)
	v_cmp_lt_u32_e32 vcc_lo, 24, v7
	s_or_b32 s3, vcc_lo, s3
	s_waitcnt vmcnt(0) lgkmcnt(0)
	v_mul_f64 v[10:11], v[24:25], v[16:17]
	v_mul_f64 v[16:17], v[22:23], v[16:17]
	v_fma_f64 v[10:11], v[22:23], v[14:15], -v[10:11]
	s_delay_alu instid0(VALU_DEP_2) | instskip(NEXT) | instid1(VALU_DEP_2)
	v_fma_f64 v[14:15], v[24:25], v[14:15], v[16:17]
	v_add_f64 v[3:4], v[3:4], v[10:11]
	s_delay_alu instid0(VALU_DEP_2)
	v_add_f64 v[1:2], v[1:2], v[14:15]
	s_and_not1_b32 exec_lo, exec_lo, s3
	s_cbranch_execnz .LBB29_117
; %bb.118:
	s_or_b32 exec_lo, exec_lo, s3
	v_mov_b32_e32 v7, 0
	ds_load_b128 v[7:10], v7 offset:416
	s_waitcnt lgkmcnt(0)
	v_mul_f64 v[11:12], v[1:2], v[9:10]
	v_mul_f64 v[14:15], v[3:4], v[9:10]
	s_delay_alu instid0(VALU_DEP_2) | instskip(NEXT) | instid1(VALU_DEP_2)
	v_fma_f64 v[9:10], v[3:4], v[7:8], -v[11:12]
	v_fma_f64 v[11:12], v[1:2], v[7:8], v[14:15]
	scratch_store_b128 off, v[9:12], off offset:416
.LBB29_119:
	s_or_b32 exec_lo, exec_lo, s2
	s_waitcnt_vscnt null, 0x0
	s_barrier
	buffer_gl0_inv
	scratch_load_b128 v[1:4], v127, off
	s_mov_b32 s2, exec_lo
	s_waitcnt vmcnt(0)
	ds_store_b128 v5, v[1:4]
	s_waitcnt lgkmcnt(0)
	s_barrier
	buffer_gl0_inv
	v_cmpx_gt_u32_e32 27, v102
	s_cbranch_execz .LBB29_123
; %bb.120:
	v_dual_mov_b32 v1, 0 :: v_dual_add_nc_u32 v8, 0x1e0, v21
	v_dual_mov_b32 v2, 0 :: v_dual_add_nc_u32 v7, -1, v102
	v_or_b32_e32 v9, 8, v13
	s_mov_b32 s3, 0
	s_delay_alu instid0(VALU_DEP_2)
	v_dual_mov_b32 v4, v2 :: v_dual_mov_b32 v3, v1
	.p2align	6
.LBB29_121:                             ; =>This Inner Loop Header: Depth=1
	scratch_load_b128 v[14:17], v9, off offset:-8
	ds_load_b128 v[22:25], v8
	v_add_nc_u32_e32 v7, 1, v7
	v_add_nc_u32_e32 v8, 16, v8
	;; [unrolled: 1-line block ×3, first 2 shown]
	s_delay_alu instid0(VALU_DEP_3) | instskip(SKIP_4) | instid1(VALU_DEP_2)
	v_cmp_lt_u32_e32 vcc_lo, 25, v7
	s_or_b32 s3, vcc_lo, s3
	s_waitcnt vmcnt(0) lgkmcnt(0)
	v_mul_f64 v[10:11], v[24:25], v[16:17]
	v_mul_f64 v[16:17], v[22:23], v[16:17]
	v_fma_f64 v[10:11], v[22:23], v[14:15], -v[10:11]
	s_delay_alu instid0(VALU_DEP_2) | instskip(NEXT) | instid1(VALU_DEP_2)
	v_fma_f64 v[14:15], v[24:25], v[14:15], v[16:17]
	v_add_f64 v[3:4], v[3:4], v[10:11]
	s_delay_alu instid0(VALU_DEP_2)
	v_add_f64 v[1:2], v[1:2], v[14:15]
	s_and_not1_b32 exec_lo, exec_lo, s3
	s_cbranch_execnz .LBB29_121
; %bb.122:
	s_or_b32 exec_lo, exec_lo, s3
	v_mov_b32_e32 v7, 0
	ds_load_b128 v[7:10], v7 offset:432
	s_waitcnt lgkmcnt(0)
	v_mul_f64 v[11:12], v[1:2], v[9:10]
	v_mul_f64 v[14:15], v[3:4], v[9:10]
	s_delay_alu instid0(VALU_DEP_2) | instskip(NEXT) | instid1(VALU_DEP_2)
	v_fma_f64 v[9:10], v[3:4], v[7:8], -v[11:12]
	v_fma_f64 v[11:12], v[1:2], v[7:8], v[14:15]
	scratch_store_b128 off, v[9:12], off offset:432
.LBB29_123:
	s_or_b32 exec_lo, exec_lo, s2
	s_waitcnt_vscnt null, 0x0
	s_barrier
	buffer_gl0_inv
	scratch_load_b128 v[1:4], v126, off
	s_mov_b32 s2, exec_lo
	s_waitcnt vmcnt(0)
	ds_store_b128 v5, v[1:4]
	s_waitcnt lgkmcnt(0)
	s_barrier
	buffer_gl0_inv
	v_cmpx_gt_u32_e32 28, v102
	s_cbranch_execz .LBB29_127
; %bb.124:
	v_dual_mov_b32 v1, 0 :: v_dual_add_nc_u32 v8, 0x1e0, v21
	v_dual_mov_b32 v2, 0 :: v_dual_add_nc_u32 v7, -1, v102
	v_or_b32_e32 v9, 8, v13
	s_mov_b32 s3, 0
	s_delay_alu instid0(VALU_DEP_2)
	v_dual_mov_b32 v4, v2 :: v_dual_mov_b32 v3, v1
	.p2align	6
.LBB29_125:                             ; =>This Inner Loop Header: Depth=1
	scratch_load_b128 v[14:17], v9, off offset:-8
	ds_load_b128 v[18:21], v8
	v_add_nc_u32_e32 v7, 1, v7
	v_add_nc_u32_e32 v8, 16, v8
	;; [unrolled: 1-line block ×3, first 2 shown]
	s_delay_alu instid0(VALU_DEP_3) | instskip(SKIP_4) | instid1(VALU_DEP_2)
	v_cmp_lt_u32_e32 vcc_lo, 26, v7
	s_or_b32 s3, vcc_lo, s3
	s_waitcnt vmcnt(0) lgkmcnt(0)
	v_mul_f64 v[10:11], v[20:21], v[16:17]
	v_mul_f64 v[16:17], v[18:19], v[16:17]
	v_fma_f64 v[10:11], v[18:19], v[14:15], -v[10:11]
	s_delay_alu instid0(VALU_DEP_2) | instskip(NEXT) | instid1(VALU_DEP_2)
	v_fma_f64 v[14:15], v[20:21], v[14:15], v[16:17]
	v_add_f64 v[3:4], v[3:4], v[10:11]
	s_delay_alu instid0(VALU_DEP_2)
	v_add_f64 v[1:2], v[1:2], v[14:15]
	s_and_not1_b32 exec_lo, exec_lo, s3
	s_cbranch_execnz .LBB29_125
; %bb.126:
	s_or_b32 exec_lo, exec_lo, s3
	v_mov_b32_e32 v7, 0
	ds_load_b128 v[7:10], v7 offset:448
	s_waitcnt lgkmcnt(0)
	v_mul_f64 v[11:12], v[1:2], v[9:10]
	v_mul_f64 v[14:15], v[3:4], v[9:10]
	s_delay_alu instid0(VALU_DEP_2) | instskip(NEXT) | instid1(VALU_DEP_2)
	v_fma_f64 v[9:10], v[3:4], v[7:8], -v[11:12]
	v_fma_f64 v[11:12], v[1:2], v[7:8], v[14:15]
	scratch_store_b128 off, v[9:12], off offset:448
.LBB29_127:
	s_or_b32 exec_lo, exec_lo, s2
	s_waitcnt_vscnt null, 0x0
	s_barrier
	buffer_gl0_inv
	scratch_load_b128 v[1:4], v125, off
	s_mov_b32 s2, exec_lo
	s_waitcnt vmcnt(0)
	ds_store_b128 v5, v[1:4]
	s_waitcnt lgkmcnt(0)
	s_barrier
	buffer_gl0_inv
	v_cmpx_ne_u32_e32 29, v102
	s_cbranch_execz .LBB29_131
; %bb.128:
	v_mov_b32_e32 v1, 0
	v_mov_b32_e32 v2, 0
	v_or_b32_e32 v7, 8, v13
	s_mov_b32 s3, 0
	s_delay_alu instid0(VALU_DEP_2)
	v_dual_mov_b32 v4, v2 :: v_dual_mov_b32 v3, v1
	.p2align	6
.LBB29_129:                             ; =>This Inner Loop Header: Depth=1
	scratch_load_b128 v[8:11], v7, off offset:-8
	ds_load_b128 v[12:15], v5
	v_add_nc_u32_e32 v6, 1, v6
	v_add_nc_u32_e32 v5, 16, v5
	;; [unrolled: 1-line block ×3, first 2 shown]
	s_delay_alu instid0(VALU_DEP_3) | instskip(SKIP_4) | instid1(VALU_DEP_2)
	v_cmp_lt_u32_e32 vcc_lo, 27, v6
	s_or_b32 s3, vcc_lo, s3
	s_waitcnt vmcnt(0) lgkmcnt(0)
	v_mul_f64 v[16:17], v[14:15], v[10:11]
	v_mul_f64 v[10:11], v[12:13], v[10:11]
	v_fma_f64 v[12:13], v[12:13], v[8:9], -v[16:17]
	s_delay_alu instid0(VALU_DEP_2) | instskip(NEXT) | instid1(VALU_DEP_2)
	v_fma_f64 v[8:9], v[14:15], v[8:9], v[10:11]
	v_add_f64 v[3:4], v[3:4], v[12:13]
	s_delay_alu instid0(VALU_DEP_2)
	v_add_f64 v[1:2], v[1:2], v[8:9]
	s_and_not1_b32 exec_lo, exec_lo, s3
	s_cbranch_execnz .LBB29_129
; %bb.130:
	s_or_b32 exec_lo, exec_lo, s3
	v_mov_b32_e32 v5, 0
	ds_load_b128 v[5:8], v5 offset:464
	s_waitcnt lgkmcnt(0)
	v_mul_f64 v[9:10], v[1:2], v[7:8]
	v_mul_f64 v[7:8], v[3:4], v[7:8]
	s_delay_alu instid0(VALU_DEP_2) | instskip(NEXT) | instid1(VALU_DEP_2)
	v_fma_f64 v[3:4], v[3:4], v[5:6], -v[9:10]
	v_fma_f64 v[5:6], v[1:2], v[5:6], v[7:8]
	scratch_store_b128 off, v[3:6], off offset:464
.LBB29_131:
	s_or_b32 exec_lo, exec_lo, s2
	s_mov_b32 s3, -1
	s_waitcnt_vscnt null, 0x0
	s_barrier
	buffer_gl0_inv
.LBB29_132:
	s_and_b32 vcc_lo, exec_lo, s3
	s_cbranch_vccz .LBB29_134
; %bb.133:
	s_lshl_b64 s[2:3], s[18:19], 2
	v_mov_b32_e32 v1, 0
	s_add_u32 s2, s6, s2
	s_addc_u32 s3, s7, s3
	global_load_b32 v1, v1, s[2:3]
	s_waitcnt vmcnt(0)
	v_cmp_ne_u32_e32 vcc_lo, 0, v1
	s_cbranch_vccz .LBB29_135
.LBB29_134:
	s_endpgm
.LBB29_135:
	v_lshl_add_u32 v132, v102, 4, 0x1e0
	s_mov_b32 s2, exec_lo
	v_cmpx_eq_u32_e32 29, v102
	s_cbranch_execz .LBB29_137
; %bb.136:
	scratch_load_b128 v[1:4], v126, off
	v_mov_b32_e32 v5, 0
	s_delay_alu instid0(VALU_DEP_1)
	v_mov_b32_e32 v6, v5
	v_mov_b32_e32 v7, v5
	;; [unrolled: 1-line block ×3, first 2 shown]
	scratch_store_b128 off, v[5:8], off offset:448
	s_waitcnt vmcnt(0)
	ds_store_b128 v132, v[1:4]
.LBB29_137:
	s_or_b32 exec_lo, exec_lo, s2
	s_waitcnt lgkmcnt(0)
	s_waitcnt_vscnt null, 0x0
	s_barrier
	buffer_gl0_inv
	s_clause 0x1
	scratch_load_b128 v[2:5], off, off offset:464
	scratch_load_b128 v[6:9], off, off offset:448
	v_mov_b32_e32 v1, 0
	s_mov_b32 s2, exec_lo
	ds_load_b128 v[10:13], v1 offset:944
	s_waitcnt vmcnt(1) lgkmcnt(0)
	v_mul_f64 v[14:15], v[12:13], v[4:5]
	v_mul_f64 v[4:5], v[10:11], v[4:5]
	s_delay_alu instid0(VALU_DEP_2) | instskip(NEXT) | instid1(VALU_DEP_2)
	v_fma_f64 v[10:11], v[10:11], v[2:3], -v[14:15]
	v_fma_f64 v[2:3], v[12:13], v[2:3], v[4:5]
	s_delay_alu instid0(VALU_DEP_2) | instskip(NEXT) | instid1(VALU_DEP_2)
	v_add_f64 v[4:5], v[10:11], 0
	v_add_f64 v[10:11], v[2:3], 0
	s_waitcnt vmcnt(0)
	s_delay_alu instid0(VALU_DEP_2) | instskip(NEXT) | instid1(VALU_DEP_2)
	v_add_f64 v[2:3], v[6:7], -v[4:5]
	v_add_f64 v[4:5], v[8:9], -v[10:11]
	scratch_store_b128 off, v[2:5], off offset:448
	v_cmpx_lt_u32_e32 27, v102
	s_cbranch_execz .LBB29_139
; %bb.138:
	scratch_load_b128 v[5:8], v127, off
	v_mov_b32_e32 v2, v1
	v_mov_b32_e32 v3, v1
	;; [unrolled: 1-line block ×3, first 2 shown]
	scratch_store_b128 off, v[1:4], off offset:432
	s_waitcnt vmcnt(0)
	ds_store_b128 v132, v[5:8]
.LBB29_139:
	s_or_b32 exec_lo, exec_lo, s2
	s_waitcnt lgkmcnt(0)
	s_waitcnt_vscnt null, 0x0
	s_barrier
	buffer_gl0_inv
	s_clause 0x2
	scratch_load_b128 v[2:5], off, off offset:448
	scratch_load_b128 v[6:9], off, off offset:464
	;; [unrolled: 1-line block ×3, first 2 shown]
	ds_load_b128 v[14:17], v1 offset:928
	ds_load_b128 v[18:21], v1 offset:944
	s_mov_b32 s2, exec_lo
	s_waitcnt vmcnt(2) lgkmcnt(1)
	v_mul_f64 v[22:23], v[16:17], v[4:5]
	v_mul_f64 v[4:5], v[14:15], v[4:5]
	s_waitcnt vmcnt(1) lgkmcnt(0)
	v_mul_f64 v[24:25], v[18:19], v[8:9]
	v_mul_f64 v[8:9], v[20:21], v[8:9]
	s_delay_alu instid0(VALU_DEP_4) | instskip(NEXT) | instid1(VALU_DEP_4)
	v_fma_f64 v[14:15], v[14:15], v[2:3], -v[22:23]
	v_fma_f64 v[1:2], v[16:17], v[2:3], v[4:5]
	s_delay_alu instid0(VALU_DEP_4) | instskip(NEXT) | instid1(VALU_DEP_4)
	v_fma_f64 v[3:4], v[20:21], v[6:7], v[24:25]
	v_fma_f64 v[5:6], v[18:19], v[6:7], -v[8:9]
	s_delay_alu instid0(VALU_DEP_4) | instskip(NEXT) | instid1(VALU_DEP_4)
	v_add_f64 v[7:8], v[14:15], 0
	v_add_f64 v[1:2], v[1:2], 0
	s_delay_alu instid0(VALU_DEP_2) | instskip(NEXT) | instid1(VALU_DEP_2)
	v_add_f64 v[5:6], v[7:8], v[5:6]
	v_add_f64 v[3:4], v[1:2], v[3:4]
	s_waitcnt vmcnt(0)
	s_delay_alu instid0(VALU_DEP_2) | instskip(NEXT) | instid1(VALU_DEP_2)
	v_add_f64 v[1:2], v[10:11], -v[5:6]
	v_add_f64 v[3:4], v[12:13], -v[3:4]
	scratch_store_b128 off, v[1:4], off offset:432
	v_cmpx_lt_u32_e32 26, v102
	s_cbranch_execz .LBB29_141
; %bb.140:
	scratch_load_b128 v[1:4], v128, off
	v_mov_b32_e32 v5, 0
	s_delay_alu instid0(VALU_DEP_1)
	v_mov_b32_e32 v6, v5
	v_mov_b32_e32 v7, v5
	;; [unrolled: 1-line block ×3, first 2 shown]
	scratch_store_b128 off, v[5:8], off offset:416
	s_waitcnt vmcnt(0)
	ds_store_b128 v132, v[1:4]
.LBB29_141:
	s_or_b32 exec_lo, exec_lo, s2
	s_waitcnt lgkmcnt(0)
	s_waitcnt_vscnt null, 0x0
	s_barrier
	buffer_gl0_inv
	s_clause 0x3
	scratch_load_b128 v[2:5], off, off offset:432
	scratch_load_b128 v[6:9], off, off offset:448
	;; [unrolled: 1-line block ×4, first 2 shown]
	v_mov_b32_e32 v1, 0
	ds_load_b128 v[18:21], v1 offset:912
	ds_load_b128 v[22:25], v1 offset:928
	s_mov_b32 s2, exec_lo
	s_waitcnt vmcnt(3) lgkmcnt(1)
	v_mul_f64 v[26:27], v[20:21], v[4:5]
	v_mul_f64 v[4:5], v[18:19], v[4:5]
	s_waitcnt vmcnt(2) lgkmcnt(0)
	v_mul_f64 v[28:29], v[22:23], v[8:9]
	v_mul_f64 v[8:9], v[24:25], v[8:9]
	s_delay_alu instid0(VALU_DEP_4) | instskip(NEXT) | instid1(VALU_DEP_4)
	v_fma_f64 v[18:19], v[18:19], v[2:3], -v[26:27]
	v_fma_f64 v[20:21], v[20:21], v[2:3], v[4:5]
	ds_load_b128 v[2:5], v1 offset:944
	v_fma_f64 v[24:25], v[24:25], v[6:7], v[28:29]
	v_fma_f64 v[6:7], v[22:23], v[6:7], -v[8:9]
	s_waitcnt vmcnt(1) lgkmcnt(0)
	v_mul_f64 v[26:27], v[2:3], v[12:13]
	v_mul_f64 v[12:13], v[4:5], v[12:13]
	v_add_f64 v[8:9], v[18:19], 0
	v_add_f64 v[18:19], v[20:21], 0
	s_delay_alu instid0(VALU_DEP_4) | instskip(NEXT) | instid1(VALU_DEP_4)
	v_fma_f64 v[4:5], v[4:5], v[10:11], v[26:27]
	v_fma_f64 v[2:3], v[2:3], v[10:11], -v[12:13]
	s_delay_alu instid0(VALU_DEP_4) | instskip(NEXT) | instid1(VALU_DEP_4)
	v_add_f64 v[6:7], v[8:9], v[6:7]
	v_add_f64 v[8:9], v[18:19], v[24:25]
	s_delay_alu instid0(VALU_DEP_2) | instskip(NEXT) | instid1(VALU_DEP_2)
	v_add_f64 v[2:3], v[6:7], v[2:3]
	v_add_f64 v[4:5], v[8:9], v[4:5]
	s_waitcnt vmcnt(0)
	s_delay_alu instid0(VALU_DEP_2) | instskip(NEXT) | instid1(VALU_DEP_2)
	v_add_f64 v[2:3], v[14:15], -v[2:3]
	v_add_f64 v[4:5], v[16:17], -v[4:5]
	scratch_store_b128 off, v[2:5], off offset:416
	v_cmpx_lt_u32_e32 25, v102
	s_cbranch_execz .LBB29_143
; %bb.142:
	scratch_load_b128 v[5:8], v129, off
	v_mov_b32_e32 v2, v1
	v_mov_b32_e32 v3, v1
	;; [unrolled: 1-line block ×3, first 2 shown]
	scratch_store_b128 off, v[1:4], off offset:400
	s_waitcnt vmcnt(0)
	ds_store_b128 v132, v[5:8]
.LBB29_143:
	s_or_b32 exec_lo, exec_lo, s2
	s_waitcnt lgkmcnt(0)
	s_waitcnt_vscnt null, 0x0
	s_barrier
	buffer_gl0_inv
	s_clause 0x4
	scratch_load_b128 v[2:5], off, off offset:416
	scratch_load_b128 v[6:9], off, off offset:432
	;; [unrolled: 1-line block ×5, first 2 shown]
	ds_load_b128 v[22:25], v1 offset:896
	ds_load_b128 v[26:29], v1 offset:912
	s_mov_b32 s2, exec_lo
	s_waitcnt vmcnt(4) lgkmcnt(1)
	v_mul_f64 v[30:31], v[24:25], v[4:5]
	v_mul_f64 v[4:5], v[22:23], v[4:5]
	s_waitcnt vmcnt(3) lgkmcnt(0)
	v_mul_f64 v[32:33], v[26:27], v[8:9]
	v_mul_f64 v[8:9], v[28:29], v[8:9]
	s_delay_alu instid0(VALU_DEP_4) | instskip(NEXT) | instid1(VALU_DEP_4)
	v_fma_f64 v[30:31], v[22:23], v[2:3], -v[30:31]
	v_fma_f64 v[34:35], v[24:25], v[2:3], v[4:5]
	ds_load_b128 v[2:5], v1 offset:928
	ds_load_b128 v[22:25], v1 offset:944
	v_fma_f64 v[28:29], v[28:29], v[6:7], v[32:33]
	v_fma_f64 v[6:7], v[26:27], v[6:7], -v[8:9]
	s_waitcnt vmcnt(2) lgkmcnt(1)
	v_mul_f64 v[36:37], v[2:3], v[12:13]
	v_mul_f64 v[12:13], v[4:5], v[12:13]
	v_add_f64 v[8:9], v[30:31], 0
	v_add_f64 v[26:27], v[34:35], 0
	s_waitcnt vmcnt(1) lgkmcnt(0)
	v_mul_f64 v[30:31], v[22:23], v[16:17]
	v_mul_f64 v[16:17], v[24:25], v[16:17]
	v_fma_f64 v[4:5], v[4:5], v[10:11], v[36:37]
	v_fma_f64 v[1:2], v[2:3], v[10:11], -v[12:13]
	v_add_f64 v[6:7], v[8:9], v[6:7]
	v_add_f64 v[8:9], v[26:27], v[28:29]
	v_fma_f64 v[10:11], v[24:25], v[14:15], v[30:31]
	v_fma_f64 v[12:13], v[22:23], v[14:15], -v[16:17]
	s_delay_alu instid0(VALU_DEP_4) | instskip(NEXT) | instid1(VALU_DEP_4)
	v_add_f64 v[1:2], v[6:7], v[1:2]
	v_add_f64 v[3:4], v[8:9], v[4:5]
	s_delay_alu instid0(VALU_DEP_2) | instskip(NEXT) | instid1(VALU_DEP_2)
	v_add_f64 v[1:2], v[1:2], v[12:13]
	v_add_f64 v[3:4], v[3:4], v[10:11]
	s_waitcnt vmcnt(0)
	s_delay_alu instid0(VALU_DEP_2) | instskip(NEXT) | instid1(VALU_DEP_2)
	v_add_f64 v[1:2], v[18:19], -v[1:2]
	v_add_f64 v[3:4], v[20:21], -v[3:4]
	scratch_store_b128 off, v[1:4], off offset:400
	v_cmpx_lt_u32_e32 24, v102
	s_cbranch_execz .LBB29_145
; %bb.144:
	scratch_load_b128 v[1:4], v130, off
	v_mov_b32_e32 v5, 0
	s_delay_alu instid0(VALU_DEP_1)
	v_mov_b32_e32 v6, v5
	v_mov_b32_e32 v7, v5
	;; [unrolled: 1-line block ×3, first 2 shown]
	scratch_store_b128 off, v[5:8], off offset:384
	s_waitcnt vmcnt(0)
	ds_store_b128 v132, v[1:4]
.LBB29_145:
	s_or_b32 exec_lo, exec_lo, s2
	s_waitcnt lgkmcnt(0)
	s_waitcnt_vscnt null, 0x0
	s_barrier
	buffer_gl0_inv
	s_clause 0x5
	scratch_load_b128 v[2:5], off, off offset:400
	scratch_load_b128 v[6:9], off, off offset:416
	;; [unrolled: 1-line block ×6, first 2 shown]
	v_mov_b32_e32 v1, 0
	ds_load_b128 v[26:29], v1 offset:880
	ds_load_b128 v[30:33], v1 offset:896
	s_mov_b32 s2, exec_lo
	s_waitcnt vmcnt(5) lgkmcnt(1)
	v_mul_f64 v[34:35], v[28:29], v[4:5]
	v_mul_f64 v[4:5], v[26:27], v[4:5]
	s_waitcnt vmcnt(4) lgkmcnt(0)
	v_mul_f64 v[36:37], v[30:31], v[8:9]
	v_mul_f64 v[8:9], v[32:33], v[8:9]
	s_delay_alu instid0(VALU_DEP_4) | instskip(NEXT) | instid1(VALU_DEP_4)
	v_fma_f64 v[34:35], v[26:27], v[2:3], -v[34:35]
	v_fma_f64 v[38:39], v[28:29], v[2:3], v[4:5]
	ds_load_b128 v[2:5], v1 offset:912
	ds_load_b128 v[26:29], v1 offset:928
	v_fma_f64 v[32:33], v[32:33], v[6:7], v[36:37]
	v_fma_f64 v[6:7], v[30:31], v[6:7], -v[8:9]
	s_waitcnt vmcnt(3) lgkmcnt(1)
	v_mul_f64 v[40:41], v[2:3], v[12:13]
	v_mul_f64 v[12:13], v[4:5], v[12:13]
	v_add_f64 v[8:9], v[34:35], 0
	v_add_f64 v[30:31], v[38:39], 0
	s_waitcnt vmcnt(2) lgkmcnt(0)
	v_mul_f64 v[34:35], v[26:27], v[16:17]
	v_mul_f64 v[16:17], v[28:29], v[16:17]
	v_fma_f64 v[36:37], v[4:5], v[10:11], v[40:41]
	v_fma_f64 v[10:11], v[2:3], v[10:11], -v[12:13]
	ds_load_b128 v[2:5], v1 offset:944
	v_add_f64 v[6:7], v[8:9], v[6:7]
	v_add_f64 v[8:9], v[30:31], v[32:33]
	v_fma_f64 v[28:29], v[28:29], v[14:15], v[34:35]
	v_fma_f64 v[14:15], v[26:27], v[14:15], -v[16:17]
	s_waitcnt vmcnt(1) lgkmcnt(0)
	v_mul_f64 v[12:13], v[2:3], v[20:21]
	v_mul_f64 v[20:21], v[4:5], v[20:21]
	v_add_f64 v[6:7], v[6:7], v[10:11]
	v_add_f64 v[8:9], v[8:9], v[36:37]
	s_delay_alu instid0(VALU_DEP_4) | instskip(NEXT) | instid1(VALU_DEP_4)
	v_fma_f64 v[4:5], v[4:5], v[18:19], v[12:13]
	v_fma_f64 v[2:3], v[2:3], v[18:19], -v[20:21]
	s_delay_alu instid0(VALU_DEP_4) | instskip(NEXT) | instid1(VALU_DEP_4)
	v_add_f64 v[6:7], v[6:7], v[14:15]
	v_add_f64 v[8:9], v[8:9], v[28:29]
	s_delay_alu instid0(VALU_DEP_2) | instskip(NEXT) | instid1(VALU_DEP_2)
	v_add_f64 v[2:3], v[6:7], v[2:3]
	v_add_f64 v[4:5], v[8:9], v[4:5]
	s_waitcnt vmcnt(0)
	s_delay_alu instid0(VALU_DEP_2) | instskip(NEXT) | instid1(VALU_DEP_2)
	v_add_f64 v[2:3], v[22:23], -v[2:3]
	v_add_f64 v[4:5], v[24:25], -v[4:5]
	scratch_store_b128 off, v[2:5], off offset:384
	v_cmpx_lt_u32_e32 23, v102
	s_cbranch_execz .LBB29_147
; %bb.146:
	scratch_load_b128 v[5:8], v131, off
	v_mov_b32_e32 v2, v1
	v_mov_b32_e32 v3, v1
	v_mov_b32_e32 v4, v1
	scratch_store_b128 off, v[1:4], off offset:368
	s_waitcnt vmcnt(0)
	ds_store_b128 v132, v[5:8]
.LBB29_147:
	s_or_b32 exec_lo, exec_lo, s2
	s_waitcnt lgkmcnt(0)
	s_waitcnt_vscnt null, 0x0
	s_barrier
	buffer_gl0_inv
	s_clause 0x5
	scratch_load_b128 v[2:5], off, off offset:384
	scratch_load_b128 v[6:9], off, off offset:400
	;; [unrolled: 1-line block ×6, first 2 shown]
	ds_load_b128 v[26:29], v1 offset:864
	ds_load_b128 v[34:37], v1 offset:880
	scratch_load_b128 v[30:33], off, off offset:368
	s_mov_b32 s2, exec_lo
	s_waitcnt vmcnt(6) lgkmcnt(1)
	v_mul_f64 v[38:39], v[28:29], v[4:5]
	v_mul_f64 v[4:5], v[26:27], v[4:5]
	s_waitcnt vmcnt(5) lgkmcnt(0)
	v_mul_f64 v[40:41], v[34:35], v[8:9]
	v_mul_f64 v[8:9], v[36:37], v[8:9]
	s_delay_alu instid0(VALU_DEP_4) | instskip(NEXT) | instid1(VALU_DEP_4)
	v_fma_f64 v[38:39], v[26:27], v[2:3], -v[38:39]
	v_fma_f64 v[133:134], v[28:29], v[2:3], v[4:5]
	ds_load_b128 v[2:5], v1 offset:896
	ds_load_b128 v[26:29], v1 offset:912
	v_fma_f64 v[36:37], v[36:37], v[6:7], v[40:41]
	v_fma_f64 v[6:7], v[34:35], v[6:7], -v[8:9]
	s_waitcnt vmcnt(4) lgkmcnt(1)
	v_mul_f64 v[135:136], v[2:3], v[12:13]
	v_mul_f64 v[12:13], v[4:5], v[12:13]
	v_add_f64 v[8:9], v[38:39], 0
	v_add_f64 v[34:35], v[133:134], 0
	s_waitcnt vmcnt(3) lgkmcnt(0)
	v_mul_f64 v[38:39], v[26:27], v[16:17]
	v_mul_f64 v[16:17], v[28:29], v[16:17]
	v_fma_f64 v[40:41], v[4:5], v[10:11], v[135:136]
	v_fma_f64 v[10:11], v[2:3], v[10:11], -v[12:13]
	v_add_f64 v[12:13], v[8:9], v[6:7]
	v_add_f64 v[34:35], v[34:35], v[36:37]
	ds_load_b128 v[2:5], v1 offset:928
	ds_load_b128 v[6:9], v1 offset:944
	v_fma_f64 v[28:29], v[28:29], v[14:15], v[38:39]
	v_fma_f64 v[14:15], v[26:27], v[14:15], -v[16:17]
	s_waitcnt vmcnt(2) lgkmcnt(1)
	v_mul_f64 v[36:37], v[2:3], v[20:21]
	v_mul_f64 v[20:21], v[4:5], v[20:21]
	s_waitcnt vmcnt(1) lgkmcnt(0)
	v_mul_f64 v[16:17], v[6:7], v[24:25]
	v_mul_f64 v[24:25], v[8:9], v[24:25]
	v_add_f64 v[10:11], v[12:13], v[10:11]
	v_add_f64 v[12:13], v[34:35], v[40:41]
	v_fma_f64 v[4:5], v[4:5], v[18:19], v[36:37]
	v_fma_f64 v[1:2], v[2:3], v[18:19], -v[20:21]
	v_fma_f64 v[8:9], v[8:9], v[22:23], v[16:17]
	v_fma_f64 v[6:7], v[6:7], v[22:23], -v[24:25]
	v_add_f64 v[10:11], v[10:11], v[14:15]
	v_add_f64 v[12:13], v[12:13], v[28:29]
	s_delay_alu instid0(VALU_DEP_2) | instskip(NEXT) | instid1(VALU_DEP_2)
	v_add_f64 v[1:2], v[10:11], v[1:2]
	v_add_f64 v[3:4], v[12:13], v[4:5]
	s_delay_alu instid0(VALU_DEP_2) | instskip(NEXT) | instid1(VALU_DEP_2)
	v_add_f64 v[1:2], v[1:2], v[6:7]
	v_add_f64 v[3:4], v[3:4], v[8:9]
	s_waitcnt vmcnt(0)
	s_delay_alu instid0(VALU_DEP_2) | instskip(NEXT) | instid1(VALU_DEP_2)
	v_add_f64 v[1:2], v[30:31], -v[1:2]
	v_add_f64 v[3:4], v[32:33], -v[3:4]
	scratch_store_b128 off, v[1:4], off offset:368
	v_cmpx_lt_u32_e32 22, v102
	s_cbranch_execz .LBB29_149
; %bb.148:
	scratch_load_b128 v[1:4], v107, off
	v_mov_b32_e32 v5, 0
	s_delay_alu instid0(VALU_DEP_1)
	v_mov_b32_e32 v6, v5
	v_mov_b32_e32 v7, v5
	;; [unrolled: 1-line block ×3, first 2 shown]
	scratch_store_b128 off, v[5:8], off offset:352
	s_waitcnt vmcnt(0)
	ds_store_b128 v132, v[1:4]
.LBB29_149:
	s_or_b32 exec_lo, exec_lo, s2
	s_waitcnt lgkmcnt(0)
	s_waitcnt_vscnt null, 0x0
	s_barrier
	buffer_gl0_inv
	s_clause 0x6
	scratch_load_b128 v[2:5], off, off offset:368
	scratch_load_b128 v[6:9], off, off offset:384
	;; [unrolled: 1-line block ×7, first 2 shown]
	v_mov_b32_e32 v1, 0
	scratch_load_b128 v[34:37], off, off offset:352
	s_mov_b32 s2, exec_lo
	ds_load_b128 v[30:33], v1 offset:848
	ds_load_b128 v[38:41], v1 offset:864
	s_waitcnt vmcnt(7) lgkmcnt(1)
	v_mul_f64 v[133:134], v[32:33], v[4:5]
	v_mul_f64 v[4:5], v[30:31], v[4:5]
	s_waitcnt vmcnt(6) lgkmcnt(0)
	v_mul_f64 v[135:136], v[38:39], v[8:9]
	v_mul_f64 v[8:9], v[40:41], v[8:9]
	s_delay_alu instid0(VALU_DEP_4) | instskip(NEXT) | instid1(VALU_DEP_4)
	v_fma_f64 v[133:134], v[30:31], v[2:3], -v[133:134]
	v_fma_f64 v[137:138], v[32:33], v[2:3], v[4:5]
	ds_load_b128 v[2:5], v1 offset:880
	ds_load_b128 v[30:33], v1 offset:896
	v_fma_f64 v[40:41], v[40:41], v[6:7], v[135:136]
	v_fma_f64 v[6:7], v[38:39], v[6:7], -v[8:9]
	s_waitcnt vmcnt(5) lgkmcnt(1)
	v_mul_f64 v[139:140], v[2:3], v[12:13]
	v_mul_f64 v[12:13], v[4:5], v[12:13]
	v_add_f64 v[8:9], v[133:134], 0
	v_add_f64 v[38:39], v[137:138], 0
	s_waitcnt vmcnt(4) lgkmcnt(0)
	v_mul_f64 v[133:134], v[30:31], v[16:17]
	v_mul_f64 v[16:17], v[32:33], v[16:17]
	v_fma_f64 v[135:136], v[4:5], v[10:11], v[139:140]
	v_fma_f64 v[10:11], v[2:3], v[10:11], -v[12:13]
	v_add_f64 v[12:13], v[8:9], v[6:7]
	v_add_f64 v[38:39], v[38:39], v[40:41]
	ds_load_b128 v[2:5], v1 offset:912
	ds_load_b128 v[6:9], v1 offset:928
	v_fma_f64 v[32:33], v[32:33], v[14:15], v[133:134]
	v_fma_f64 v[14:15], v[30:31], v[14:15], -v[16:17]
	s_waitcnt vmcnt(3) lgkmcnt(1)
	v_mul_f64 v[40:41], v[2:3], v[20:21]
	v_mul_f64 v[20:21], v[4:5], v[20:21]
	s_waitcnt vmcnt(2) lgkmcnt(0)
	v_mul_f64 v[16:17], v[6:7], v[24:25]
	v_mul_f64 v[24:25], v[8:9], v[24:25]
	v_add_f64 v[10:11], v[12:13], v[10:11]
	v_add_f64 v[12:13], v[38:39], v[135:136]
	v_fma_f64 v[30:31], v[4:5], v[18:19], v[40:41]
	v_fma_f64 v[18:19], v[2:3], v[18:19], -v[20:21]
	ds_load_b128 v[2:5], v1 offset:944
	v_fma_f64 v[8:9], v[8:9], v[22:23], v[16:17]
	v_fma_f64 v[6:7], v[6:7], v[22:23], -v[24:25]
	v_add_f64 v[10:11], v[10:11], v[14:15]
	v_add_f64 v[12:13], v[12:13], v[32:33]
	s_waitcnt vmcnt(1) lgkmcnt(0)
	v_mul_f64 v[14:15], v[2:3], v[28:29]
	v_mul_f64 v[20:21], v[4:5], v[28:29]
	s_delay_alu instid0(VALU_DEP_4) | instskip(NEXT) | instid1(VALU_DEP_4)
	v_add_f64 v[10:11], v[10:11], v[18:19]
	v_add_f64 v[12:13], v[12:13], v[30:31]
	s_delay_alu instid0(VALU_DEP_4) | instskip(NEXT) | instid1(VALU_DEP_4)
	v_fma_f64 v[4:5], v[4:5], v[26:27], v[14:15]
	v_fma_f64 v[2:3], v[2:3], v[26:27], -v[20:21]
	s_delay_alu instid0(VALU_DEP_4) | instskip(NEXT) | instid1(VALU_DEP_4)
	v_add_f64 v[6:7], v[10:11], v[6:7]
	v_add_f64 v[8:9], v[12:13], v[8:9]
	s_delay_alu instid0(VALU_DEP_2) | instskip(NEXT) | instid1(VALU_DEP_2)
	v_add_f64 v[2:3], v[6:7], v[2:3]
	v_add_f64 v[4:5], v[8:9], v[4:5]
	s_waitcnt vmcnt(0)
	s_delay_alu instid0(VALU_DEP_2) | instskip(NEXT) | instid1(VALU_DEP_2)
	v_add_f64 v[2:3], v[34:35], -v[2:3]
	v_add_f64 v[4:5], v[36:37], -v[4:5]
	scratch_store_b128 off, v[2:5], off offset:352
	v_cmpx_lt_u32_e32 21, v102
	s_cbranch_execz .LBB29_151
; %bb.150:
	scratch_load_b128 v[5:8], v108, off
	v_mov_b32_e32 v2, v1
	v_mov_b32_e32 v3, v1
	;; [unrolled: 1-line block ×3, first 2 shown]
	scratch_store_b128 off, v[1:4], off offset:336
	s_waitcnt vmcnt(0)
	ds_store_b128 v132, v[5:8]
.LBB29_151:
	s_or_b32 exec_lo, exec_lo, s2
	s_waitcnt lgkmcnt(0)
	s_waitcnt_vscnt null, 0x0
	s_barrier
	buffer_gl0_inv
	s_clause 0x7
	scratch_load_b128 v[2:5], off, off offset:352
	scratch_load_b128 v[6:9], off, off offset:368
	;; [unrolled: 1-line block ×8, first 2 shown]
	ds_load_b128 v[34:37], v1 offset:832
	ds_load_b128 v[38:41], v1 offset:848
	s_mov_b32 s2, exec_lo
	s_waitcnt vmcnt(7) lgkmcnt(1)
	v_mul_f64 v[133:134], v[36:37], v[4:5]
	v_mul_f64 v[4:5], v[34:35], v[4:5]
	s_waitcnt vmcnt(6) lgkmcnt(0)
	v_mul_f64 v[135:136], v[38:39], v[8:9]
	v_mul_f64 v[8:9], v[40:41], v[8:9]
	s_delay_alu instid0(VALU_DEP_4) | instskip(NEXT) | instid1(VALU_DEP_4)
	v_fma_f64 v[133:134], v[34:35], v[2:3], -v[133:134]
	v_fma_f64 v[137:138], v[36:37], v[2:3], v[4:5]
	ds_load_b128 v[2:5], v1 offset:864
	scratch_load_b128 v[34:37], off, off offset:336
	v_fma_f64 v[40:41], v[40:41], v[6:7], v[135:136]
	v_fma_f64 v[38:39], v[38:39], v[6:7], -v[8:9]
	ds_load_b128 v[6:9], v1 offset:880
	s_waitcnt vmcnt(6) lgkmcnt(1)
	v_mul_f64 v[139:140], v[2:3], v[12:13]
	v_mul_f64 v[12:13], v[4:5], v[12:13]
	v_add_f64 v[133:134], v[133:134], 0
	v_add_f64 v[135:136], v[137:138], 0
	s_waitcnt vmcnt(5) lgkmcnt(0)
	v_mul_f64 v[137:138], v[6:7], v[16:17]
	v_mul_f64 v[16:17], v[8:9], v[16:17]
	v_fma_f64 v[139:140], v[4:5], v[10:11], v[139:140]
	v_fma_f64 v[10:11], v[2:3], v[10:11], -v[12:13]
	ds_load_b128 v[2:5], v1 offset:896
	v_add_f64 v[12:13], v[133:134], v[38:39]
	v_add_f64 v[38:39], v[135:136], v[40:41]
	v_fma_f64 v[133:134], v[8:9], v[14:15], v[137:138]
	v_fma_f64 v[14:15], v[6:7], v[14:15], -v[16:17]
	ds_load_b128 v[6:9], v1 offset:912
	s_waitcnt vmcnt(4) lgkmcnt(1)
	v_mul_f64 v[40:41], v[2:3], v[20:21]
	v_mul_f64 v[20:21], v[4:5], v[20:21]
	s_waitcnt vmcnt(3) lgkmcnt(0)
	v_mul_f64 v[16:17], v[6:7], v[24:25]
	v_mul_f64 v[24:25], v[8:9], v[24:25]
	v_add_f64 v[10:11], v[12:13], v[10:11]
	v_add_f64 v[12:13], v[38:39], v[139:140]
	v_fma_f64 v[38:39], v[4:5], v[18:19], v[40:41]
	v_fma_f64 v[18:19], v[2:3], v[18:19], -v[20:21]
	ds_load_b128 v[2:5], v1 offset:928
	v_fma_f64 v[16:17], v[8:9], v[22:23], v[16:17]
	v_fma_f64 v[22:23], v[6:7], v[22:23], -v[24:25]
	ds_load_b128 v[6:9], v1 offset:944
	s_waitcnt vmcnt(2) lgkmcnt(1)
	v_mul_f64 v[20:21], v[4:5], v[28:29]
	v_add_f64 v[10:11], v[10:11], v[14:15]
	v_add_f64 v[12:13], v[12:13], v[133:134]
	v_mul_f64 v[14:15], v[2:3], v[28:29]
	s_waitcnt vmcnt(1) lgkmcnt(0)
	v_mul_f64 v[24:25], v[8:9], v[32:33]
	v_fma_f64 v[1:2], v[2:3], v[26:27], -v[20:21]
	v_add_f64 v[10:11], v[10:11], v[18:19]
	v_add_f64 v[12:13], v[12:13], v[38:39]
	v_mul_f64 v[18:19], v[6:7], v[32:33]
	v_fma_f64 v[4:5], v[4:5], v[26:27], v[14:15]
	v_fma_f64 v[6:7], v[6:7], v[30:31], -v[24:25]
	v_add_f64 v[10:11], v[10:11], v[22:23]
	v_add_f64 v[12:13], v[12:13], v[16:17]
	v_fma_f64 v[8:9], v[8:9], v[30:31], v[18:19]
	s_delay_alu instid0(VALU_DEP_3) | instskip(NEXT) | instid1(VALU_DEP_3)
	v_add_f64 v[1:2], v[10:11], v[1:2]
	v_add_f64 v[3:4], v[12:13], v[4:5]
	s_delay_alu instid0(VALU_DEP_2) | instskip(NEXT) | instid1(VALU_DEP_2)
	v_add_f64 v[1:2], v[1:2], v[6:7]
	v_add_f64 v[3:4], v[3:4], v[8:9]
	s_waitcnt vmcnt(0)
	s_delay_alu instid0(VALU_DEP_2) | instskip(NEXT) | instid1(VALU_DEP_2)
	v_add_f64 v[1:2], v[34:35], -v[1:2]
	v_add_f64 v[3:4], v[36:37], -v[3:4]
	scratch_store_b128 off, v[1:4], off offset:336
	v_cmpx_lt_u32_e32 20, v102
	s_cbranch_execz .LBB29_153
; %bb.152:
	scratch_load_b128 v[1:4], v109, off
	v_mov_b32_e32 v5, 0
	s_delay_alu instid0(VALU_DEP_1)
	v_mov_b32_e32 v6, v5
	v_mov_b32_e32 v7, v5
	;; [unrolled: 1-line block ×3, first 2 shown]
	scratch_store_b128 off, v[5:8], off offset:320
	s_waitcnt vmcnt(0)
	ds_store_b128 v132, v[1:4]
.LBB29_153:
	s_or_b32 exec_lo, exec_lo, s2
	s_waitcnt lgkmcnt(0)
	s_waitcnt_vscnt null, 0x0
	s_barrier
	buffer_gl0_inv
	s_clause 0x7
	scratch_load_b128 v[2:5], off, off offset:336
	scratch_load_b128 v[6:9], off, off offset:352
	;; [unrolled: 1-line block ×8, first 2 shown]
	v_mov_b32_e32 v1, 0
	scratch_load_b128 v[38:41], off, off offset:464
	s_mov_b32 s2, exec_lo
	ds_load_b128 v[34:37], v1 offset:816
	ds_load_b128 v[133:136], v1 offset:832
	s_waitcnt vmcnt(8) lgkmcnt(1)
	v_mul_f64 v[137:138], v[36:37], v[4:5]
	v_mul_f64 v[4:5], v[34:35], v[4:5]
	s_waitcnt vmcnt(7) lgkmcnt(0)
	v_mul_f64 v[139:140], v[133:134], v[8:9]
	v_mul_f64 v[8:9], v[135:136], v[8:9]
	s_delay_alu instid0(VALU_DEP_4) | instskip(NEXT) | instid1(VALU_DEP_4)
	v_fma_f64 v[34:35], v[34:35], v[2:3], -v[137:138]
	v_fma_f64 v[36:37], v[36:37], v[2:3], v[4:5]
	ds_load_b128 v[2:5], v1 offset:848
	v_fma_f64 v[135:136], v[135:136], v[6:7], v[139:140]
	v_fma_f64 v[133:134], v[133:134], v[6:7], -v[8:9]
	ds_load_b128 v[6:9], v1 offset:864
	s_waitcnt vmcnt(6) lgkmcnt(1)
	v_mul_f64 v[137:138], v[2:3], v[12:13]
	v_mul_f64 v[12:13], v[4:5], v[12:13]
	s_waitcnt vmcnt(5) lgkmcnt(0)
	v_mul_f64 v[143:144], v[6:7], v[16:17]
	v_mul_f64 v[16:17], v[8:9], v[16:17]
	v_add_f64 v[139:140], v[34:35], 0
	v_add_f64 v[141:142], v[36:37], 0
	scratch_load_b128 v[34:37], off, off offset:320
	v_fma_f64 v[137:138], v[4:5], v[10:11], v[137:138]
	v_fma_f64 v[10:11], v[2:3], v[10:11], -v[12:13]
	ds_load_b128 v[2:5], v1 offset:880
	v_add_f64 v[12:13], v[139:140], v[133:134]
	v_add_f64 v[133:134], v[141:142], v[135:136]
	v_fma_f64 v[139:140], v[8:9], v[14:15], v[143:144]
	v_fma_f64 v[14:15], v[6:7], v[14:15], -v[16:17]
	ds_load_b128 v[6:9], v1 offset:896
	s_waitcnt vmcnt(5) lgkmcnt(1)
	v_mul_f64 v[135:136], v[2:3], v[20:21]
	v_mul_f64 v[20:21], v[4:5], v[20:21]
	s_waitcnt vmcnt(4) lgkmcnt(0)
	v_mul_f64 v[16:17], v[6:7], v[24:25]
	v_mul_f64 v[24:25], v[8:9], v[24:25]
	v_add_f64 v[10:11], v[12:13], v[10:11]
	v_add_f64 v[12:13], v[133:134], v[137:138]
	v_fma_f64 v[133:134], v[4:5], v[18:19], v[135:136]
	v_fma_f64 v[18:19], v[2:3], v[18:19], -v[20:21]
	ds_load_b128 v[2:5], v1 offset:912
	v_fma_f64 v[16:17], v[8:9], v[22:23], v[16:17]
	v_fma_f64 v[22:23], v[6:7], v[22:23], -v[24:25]
	ds_load_b128 v[6:9], v1 offset:928
	s_waitcnt vmcnt(3) lgkmcnt(1)
	v_mul_f64 v[20:21], v[4:5], v[28:29]
	v_add_f64 v[10:11], v[10:11], v[14:15]
	v_add_f64 v[12:13], v[12:13], v[139:140]
	v_mul_f64 v[14:15], v[2:3], v[28:29]
	s_waitcnt vmcnt(2) lgkmcnt(0)
	v_mul_f64 v[24:25], v[8:9], v[32:33]
	v_fma_f64 v[20:21], v[2:3], v[26:27], -v[20:21]
	v_add_f64 v[10:11], v[10:11], v[18:19]
	v_add_f64 v[12:13], v[12:13], v[133:134]
	v_mul_f64 v[18:19], v[6:7], v[32:33]
	v_fma_f64 v[14:15], v[4:5], v[26:27], v[14:15]
	ds_load_b128 v[2:5], v1 offset:944
	v_fma_f64 v[6:7], v[6:7], v[30:31], -v[24:25]
	v_add_f64 v[10:11], v[10:11], v[22:23]
	v_add_f64 v[12:13], v[12:13], v[16:17]
	s_waitcnt vmcnt(1) lgkmcnt(0)
	v_mul_f64 v[16:17], v[2:3], v[40:41]
	v_mul_f64 v[22:23], v[4:5], v[40:41]
	v_fma_f64 v[8:9], v[8:9], v[30:31], v[18:19]
	v_add_f64 v[10:11], v[10:11], v[20:21]
	v_add_f64 v[12:13], v[12:13], v[14:15]
	v_fma_f64 v[4:5], v[4:5], v[38:39], v[16:17]
	v_fma_f64 v[2:3], v[2:3], v[38:39], -v[22:23]
	s_delay_alu instid0(VALU_DEP_4) | instskip(NEXT) | instid1(VALU_DEP_4)
	v_add_f64 v[6:7], v[10:11], v[6:7]
	v_add_f64 v[8:9], v[12:13], v[8:9]
	s_delay_alu instid0(VALU_DEP_2) | instskip(NEXT) | instid1(VALU_DEP_2)
	v_add_f64 v[2:3], v[6:7], v[2:3]
	v_add_f64 v[4:5], v[8:9], v[4:5]
	s_waitcnt vmcnt(0)
	s_delay_alu instid0(VALU_DEP_2) | instskip(NEXT) | instid1(VALU_DEP_2)
	v_add_f64 v[2:3], v[34:35], -v[2:3]
	v_add_f64 v[4:5], v[36:37], -v[4:5]
	scratch_store_b128 off, v[2:5], off offset:320
	v_cmpx_lt_u32_e32 19, v102
	s_cbranch_execz .LBB29_155
; %bb.154:
	scratch_load_b128 v[5:8], v111, off
	v_mov_b32_e32 v2, v1
	v_mov_b32_e32 v3, v1
	;; [unrolled: 1-line block ×3, first 2 shown]
	scratch_store_b128 off, v[1:4], off offset:304
	s_waitcnt vmcnt(0)
	ds_store_b128 v132, v[5:8]
.LBB29_155:
	s_or_b32 exec_lo, exec_lo, s2
	s_waitcnt lgkmcnt(0)
	s_waitcnt_vscnt null, 0x0
	s_barrier
	buffer_gl0_inv
	s_clause 0x8
	scratch_load_b128 v[2:5], off, off offset:320
	scratch_load_b128 v[6:9], off, off offset:336
	;; [unrolled: 1-line block ×9, first 2 shown]
	ds_load_b128 v[38:41], v1 offset:800
	ds_load_b128 v[133:136], v1 offset:816
	s_clause 0x1
	scratch_load_b128 v[137:140], off, off offset:304
	scratch_load_b128 v[141:144], off, off offset:464
	s_mov_b32 s2, exec_lo
	s_waitcnt vmcnt(10) lgkmcnt(1)
	v_mul_f64 v[145:146], v[40:41], v[4:5]
	v_mul_f64 v[4:5], v[38:39], v[4:5]
	s_waitcnt vmcnt(9) lgkmcnt(0)
	v_mul_f64 v[147:148], v[133:134], v[8:9]
	v_mul_f64 v[8:9], v[135:136], v[8:9]
	s_delay_alu instid0(VALU_DEP_4) | instskip(NEXT) | instid1(VALU_DEP_4)
	v_fma_f64 v[145:146], v[38:39], v[2:3], -v[145:146]
	v_fma_f64 v[149:150], v[40:41], v[2:3], v[4:5]
	ds_load_b128 v[2:5], v1 offset:832
	ds_load_b128 v[38:41], v1 offset:848
	v_fma_f64 v[135:136], v[135:136], v[6:7], v[147:148]
	v_fma_f64 v[6:7], v[133:134], v[6:7], -v[8:9]
	s_waitcnt vmcnt(8) lgkmcnt(1)
	v_mul_f64 v[151:152], v[2:3], v[12:13]
	v_mul_f64 v[12:13], v[4:5], v[12:13]
	v_add_f64 v[8:9], v[145:146], 0
	v_add_f64 v[133:134], v[149:150], 0
	s_waitcnt vmcnt(7) lgkmcnt(0)
	v_mul_f64 v[145:146], v[38:39], v[16:17]
	v_mul_f64 v[16:17], v[40:41], v[16:17]
	v_fma_f64 v[147:148], v[4:5], v[10:11], v[151:152]
	v_fma_f64 v[10:11], v[2:3], v[10:11], -v[12:13]
	v_add_f64 v[12:13], v[8:9], v[6:7]
	v_add_f64 v[133:134], v[133:134], v[135:136]
	ds_load_b128 v[2:5], v1 offset:864
	ds_load_b128 v[6:9], v1 offset:880
	v_fma_f64 v[40:41], v[40:41], v[14:15], v[145:146]
	v_fma_f64 v[14:15], v[38:39], v[14:15], -v[16:17]
	s_waitcnt vmcnt(6) lgkmcnt(1)
	v_mul_f64 v[135:136], v[2:3], v[20:21]
	v_mul_f64 v[20:21], v[4:5], v[20:21]
	s_waitcnt vmcnt(5) lgkmcnt(0)
	v_mul_f64 v[16:17], v[6:7], v[24:25]
	v_mul_f64 v[24:25], v[8:9], v[24:25]
	v_add_f64 v[10:11], v[12:13], v[10:11]
	v_add_f64 v[12:13], v[133:134], v[147:148]
	v_fma_f64 v[38:39], v[4:5], v[18:19], v[135:136]
	v_fma_f64 v[18:19], v[2:3], v[18:19], -v[20:21]
	v_fma_f64 v[8:9], v[8:9], v[22:23], v[16:17]
	v_fma_f64 v[6:7], v[6:7], v[22:23], -v[24:25]
	v_add_f64 v[14:15], v[10:11], v[14:15]
	v_add_f64 v[20:21], v[12:13], v[40:41]
	ds_load_b128 v[2:5], v1 offset:896
	ds_load_b128 v[10:13], v1 offset:912
	s_waitcnt vmcnt(4) lgkmcnt(1)
	v_mul_f64 v[40:41], v[2:3], v[28:29]
	v_mul_f64 v[28:29], v[4:5], v[28:29]
	v_add_f64 v[14:15], v[14:15], v[18:19]
	v_add_f64 v[16:17], v[20:21], v[38:39]
	s_waitcnt vmcnt(3) lgkmcnt(0)
	v_mul_f64 v[18:19], v[10:11], v[32:33]
	v_mul_f64 v[20:21], v[12:13], v[32:33]
	v_fma_f64 v[22:23], v[4:5], v[26:27], v[40:41]
	v_fma_f64 v[24:25], v[2:3], v[26:27], -v[28:29]
	v_add_f64 v[14:15], v[14:15], v[6:7]
	v_add_f64 v[16:17], v[16:17], v[8:9]
	ds_load_b128 v[2:5], v1 offset:928
	ds_load_b128 v[6:9], v1 offset:944
	v_fma_f64 v[12:13], v[12:13], v[30:31], v[18:19]
	v_fma_f64 v[10:11], v[10:11], v[30:31], -v[20:21]
	s_waitcnt vmcnt(2) lgkmcnt(1)
	v_mul_f64 v[26:27], v[2:3], v[36:37]
	v_mul_f64 v[28:29], v[4:5], v[36:37]
	s_waitcnt vmcnt(0) lgkmcnt(0)
	v_mul_f64 v[18:19], v[6:7], v[143:144]
	v_mul_f64 v[20:21], v[8:9], v[143:144]
	v_add_f64 v[14:15], v[14:15], v[24:25]
	v_add_f64 v[16:17], v[16:17], v[22:23]
	v_fma_f64 v[4:5], v[4:5], v[34:35], v[26:27]
	v_fma_f64 v[1:2], v[2:3], v[34:35], -v[28:29]
	v_fma_f64 v[8:9], v[8:9], v[141:142], v[18:19]
	v_fma_f64 v[6:7], v[6:7], v[141:142], -v[20:21]
	v_add_f64 v[10:11], v[14:15], v[10:11]
	v_add_f64 v[12:13], v[16:17], v[12:13]
	s_delay_alu instid0(VALU_DEP_2) | instskip(NEXT) | instid1(VALU_DEP_2)
	v_add_f64 v[1:2], v[10:11], v[1:2]
	v_add_f64 v[3:4], v[12:13], v[4:5]
	s_delay_alu instid0(VALU_DEP_2) | instskip(NEXT) | instid1(VALU_DEP_2)
	v_add_f64 v[1:2], v[1:2], v[6:7]
	v_add_f64 v[3:4], v[3:4], v[8:9]
	s_delay_alu instid0(VALU_DEP_2) | instskip(NEXT) | instid1(VALU_DEP_2)
	v_add_f64 v[1:2], v[137:138], -v[1:2]
	v_add_f64 v[3:4], v[139:140], -v[3:4]
	scratch_store_b128 off, v[1:4], off offset:304
	v_cmpx_lt_u32_e32 18, v102
	s_cbranch_execz .LBB29_157
; %bb.156:
	scratch_load_b128 v[1:4], v110, off
	v_mov_b32_e32 v5, 0
	s_delay_alu instid0(VALU_DEP_1)
	v_mov_b32_e32 v6, v5
	v_mov_b32_e32 v7, v5
	;; [unrolled: 1-line block ×3, first 2 shown]
	scratch_store_b128 off, v[5:8], off offset:288
	s_waitcnt vmcnt(0)
	ds_store_b128 v132, v[1:4]
.LBB29_157:
	s_or_b32 exec_lo, exec_lo, s2
	s_waitcnt lgkmcnt(0)
	s_waitcnt_vscnt null, 0x0
	s_barrier
	buffer_gl0_inv
	s_clause 0x7
	scratch_load_b128 v[2:5], off, off offset:304
	scratch_load_b128 v[6:9], off, off offset:320
	;; [unrolled: 1-line block ×8, first 2 shown]
	v_mov_b32_e32 v1, 0
	s_mov_b32 s2, exec_lo
	ds_load_b128 v[34:37], v1 offset:784
	s_clause 0x1
	scratch_load_b128 v[38:41], off, off offset:432
	scratch_load_b128 v[133:136], off, off offset:288
	ds_load_b128 v[137:140], v1 offset:800
	scratch_load_b128 v[141:144], off, off offset:448
	s_waitcnt vmcnt(10) lgkmcnt(1)
	v_mul_f64 v[145:146], v[36:37], v[4:5]
	v_mul_f64 v[4:5], v[34:35], v[4:5]
	s_delay_alu instid0(VALU_DEP_2) | instskip(NEXT) | instid1(VALU_DEP_2)
	v_fma_f64 v[151:152], v[34:35], v[2:3], -v[145:146]
	v_fma_f64 v[153:154], v[36:37], v[2:3], v[4:5]
	scratch_load_b128 v[34:37], off, off offset:464
	ds_load_b128 v[2:5], v1 offset:816
	s_waitcnt vmcnt(10) lgkmcnt(1)
	v_mul_f64 v[149:150], v[137:138], v[8:9]
	v_mul_f64 v[8:9], v[139:140], v[8:9]
	ds_load_b128 v[145:148], v1 offset:832
	s_waitcnt vmcnt(9) lgkmcnt(1)
	v_mul_f64 v[155:156], v[2:3], v[12:13]
	v_mul_f64 v[12:13], v[4:5], v[12:13]
	v_fma_f64 v[139:140], v[139:140], v[6:7], v[149:150]
	v_fma_f64 v[6:7], v[137:138], v[6:7], -v[8:9]
	v_add_f64 v[8:9], v[151:152], 0
	v_add_f64 v[137:138], v[153:154], 0
	s_waitcnt vmcnt(8) lgkmcnt(0)
	v_mul_f64 v[149:150], v[145:146], v[16:17]
	v_mul_f64 v[16:17], v[147:148], v[16:17]
	v_fma_f64 v[151:152], v[4:5], v[10:11], v[155:156]
	v_fma_f64 v[10:11], v[2:3], v[10:11], -v[12:13]
	v_add_f64 v[12:13], v[8:9], v[6:7]
	v_add_f64 v[137:138], v[137:138], v[139:140]
	ds_load_b128 v[2:5], v1 offset:848
	ds_load_b128 v[6:9], v1 offset:864
	v_fma_f64 v[147:148], v[147:148], v[14:15], v[149:150]
	v_fma_f64 v[14:15], v[145:146], v[14:15], -v[16:17]
	s_waitcnt vmcnt(7) lgkmcnt(1)
	v_mul_f64 v[139:140], v[2:3], v[20:21]
	v_mul_f64 v[20:21], v[4:5], v[20:21]
	s_waitcnt vmcnt(6) lgkmcnt(0)
	v_mul_f64 v[16:17], v[6:7], v[24:25]
	v_mul_f64 v[24:25], v[8:9], v[24:25]
	v_add_f64 v[10:11], v[12:13], v[10:11]
	v_add_f64 v[12:13], v[137:138], v[151:152]
	v_fma_f64 v[137:138], v[4:5], v[18:19], v[139:140]
	v_fma_f64 v[18:19], v[2:3], v[18:19], -v[20:21]
	v_fma_f64 v[8:9], v[8:9], v[22:23], v[16:17]
	v_fma_f64 v[6:7], v[6:7], v[22:23], -v[24:25]
	v_add_f64 v[14:15], v[10:11], v[14:15]
	v_add_f64 v[20:21], v[12:13], v[147:148]
	ds_load_b128 v[2:5], v1 offset:880
	ds_load_b128 v[10:13], v1 offset:896
	s_waitcnt vmcnt(5) lgkmcnt(1)
	v_mul_f64 v[139:140], v[2:3], v[28:29]
	v_mul_f64 v[28:29], v[4:5], v[28:29]
	v_add_f64 v[14:15], v[14:15], v[18:19]
	v_add_f64 v[16:17], v[20:21], v[137:138]
	s_waitcnt vmcnt(4) lgkmcnt(0)
	v_mul_f64 v[18:19], v[10:11], v[32:33]
	v_mul_f64 v[20:21], v[12:13], v[32:33]
	v_fma_f64 v[22:23], v[4:5], v[26:27], v[139:140]
	v_fma_f64 v[24:25], v[2:3], v[26:27], -v[28:29]
	v_add_f64 v[14:15], v[14:15], v[6:7]
	v_add_f64 v[16:17], v[16:17], v[8:9]
	ds_load_b128 v[2:5], v1 offset:912
	ds_load_b128 v[6:9], v1 offset:928
	v_fma_f64 v[12:13], v[12:13], v[30:31], v[18:19]
	v_fma_f64 v[10:11], v[10:11], v[30:31], -v[20:21]
	s_waitcnt vmcnt(3) lgkmcnt(1)
	v_mul_f64 v[26:27], v[2:3], v[40:41]
	v_mul_f64 v[28:29], v[4:5], v[40:41]
	s_waitcnt vmcnt(1) lgkmcnt(0)
	v_mul_f64 v[18:19], v[6:7], v[143:144]
	v_mul_f64 v[20:21], v[8:9], v[143:144]
	v_add_f64 v[14:15], v[14:15], v[24:25]
	v_add_f64 v[16:17], v[16:17], v[22:23]
	v_fma_f64 v[22:23], v[4:5], v[38:39], v[26:27]
	v_fma_f64 v[24:25], v[2:3], v[38:39], -v[28:29]
	ds_load_b128 v[2:5], v1 offset:944
	v_fma_f64 v[8:9], v[8:9], v[141:142], v[18:19]
	v_fma_f64 v[6:7], v[6:7], v[141:142], -v[20:21]
	v_add_f64 v[10:11], v[14:15], v[10:11]
	v_add_f64 v[12:13], v[16:17], v[12:13]
	s_waitcnt vmcnt(0) lgkmcnt(0)
	v_mul_f64 v[14:15], v[2:3], v[36:37]
	v_mul_f64 v[16:17], v[4:5], v[36:37]
	s_delay_alu instid0(VALU_DEP_4) | instskip(NEXT) | instid1(VALU_DEP_4)
	v_add_f64 v[10:11], v[10:11], v[24:25]
	v_add_f64 v[12:13], v[12:13], v[22:23]
	s_delay_alu instid0(VALU_DEP_4) | instskip(NEXT) | instid1(VALU_DEP_4)
	v_fma_f64 v[4:5], v[4:5], v[34:35], v[14:15]
	v_fma_f64 v[2:3], v[2:3], v[34:35], -v[16:17]
	s_delay_alu instid0(VALU_DEP_4) | instskip(NEXT) | instid1(VALU_DEP_4)
	v_add_f64 v[6:7], v[10:11], v[6:7]
	v_add_f64 v[8:9], v[12:13], v[8:9]
	s_delay_alu instid0(VALU_DEP_2) | instskip(NEXT) | instid1(VALU_DEP_2)
	v_add_f64 v[2:3], v[6:7], v[2:3]
	v_add_f64 v[4:5], v[8:9], v[4:5]
	s_delay_alu instid0(VALU_DEP_2) | instskip(NEXT) | instid1(VALU_DEP_2)
	v_add_f64 v[2:3], v[133:134], -v[2:3]
	v_add_f64 v[4:5], v[135:136], -v[4:5]
	scratch_store_b128 off, v[2:5], off offset:288
	v_cmpx_lt_u32_e32 17, v102
	s_cbranch_execz .LBB29_159
; %bb.158:
	scratch_load_b128 v[5:8], v112, off
	v_mov_b32_e32 v2, v1
	v_mov_b32_e32 v3, v1
	;; [unrolled: 1-line block ×3, first 2 shown]
	scratch_store_b128 off, v[1:4], off offset:272
	s_waitcnt vmcnt(0)
	ds_store_b128 v132, v[5:8]
.LBB29_159:
	s_or_b32 exec_lo, exec_lo, s2
	s_waitcnt lgkmcnt(0)
	s_waitcnt_vscnt null, 0x0
	s_barrier
	buffer_gl0_inv
	s_clause 0x8
	scratch_load_b128 v[2:5], off, off offset:288
	scratch_load_b128 v[6:9], off, off offset:304
	;; [unrolled: 1-line block ×9, first 2 shown]
	ds_load_b128 v[38:41], v1 offset:768
	ds_load_b128 v[133:136], v1 offset:784
	s_clause 0x1
	scratch_load_b128 v[137:140], off, off offset:272
	scratch_load_b128 v[141:144], off, off offset:432
	s_mov_b32 s2, exec_lo
	s_waitcnt vmcnt(10) lgkmcnt(1)
	v_mul_f64 v[145:146], v[40:41], v[4:5]
	v_mul_f64 v[4:5], v[38:39], v[4:5]
	s_waitcnt vmcnt(9) lgkmcnt(0)
	v_mul_f64 v[149:150], v[133:134], v[8:9]
	v_mul_f64 v[8:9], v[135:136], v[8:9]
	s_delay_alu instid0(VALU_DEP_4) | instskip(NEXT) | instid1(VALU_DEP_4)
	v_fma_f64 v[151:152], v[38:39], v[2:3], -v[145:146]
	v_fma_f64 v[153:154], v[40:41], v[2:3], v[4:5]
	ds_load_b128 v[2:5], v1 offset:800
	ds_load_b128 v[145:148], v1 offset:816
	scratch_load_b128 v[38:41], off, off offset:448
	v_fma_f64 v[135:136], v[135:136], v[6:7], v[149:150]
	v_fma_f64 v[133:134], v[133:134], v[6:7], -v[8:9]
	scratch_load_b128 v[6:9], off, off offset:464
	s_waitcnt vmcnt(10) lgkmcnt(1)
	v_mul_f64 v[155:156], v[2:3], v[12:13]
	v_mul_f64 v[12:13], v[4:5], v[12:13]
	v_add_f64 v[149:150], v[151:152], 0
	v_add_f64 v[151:152], v[153:154], 0
	s_waitcnt vmcnt(9) lgkmcnt(0)
	v_mul_f64 v[153:154], v[145:146], v[16:17]
	v_mul_f64 v[16:17], v[147:148], v[16:17]
	v_fma_f64 v[155:156], v[4:5], v[10:11], v[155:156]
	v_fma_f64 v[157:158], v[2:3], v[10:11], -v[12:13]
	ds_load_b128 v[2:5], v1 offset:832
	ds_load_b128 v[10:13], v1 offset:848
	v_add_f64 v[133:134], v[149:150], v[133:134]
	v_add_f64 v[135:136], v[151:152], v[135:136]
	v_fma_f64 v[147:148], v[147:148], v[14:15], v[153:154]
	v_fma_f64 v[14:15], v[145:146], v[14:15], -v[16:17]
	s_waitcnt vmcnt(8) lgkmcnt(1)
	v_mul_f64 v[149:150], v[2:3], v[20:21]
	v_mul_f64 v[20:21], v[4:5], v[20:21]
	v_add_f64 v[16:17], v[133:134], v[157:158]
	v_add_f64 v[133:134], v[135:136], v[155:156]
	s_waitcnt vmcnt(7) lgkmcnt(0)
	v_mul_f64 v[135:136], v[10:11], v[24:25]
	v_mul_f64 v[24:25], v[12:13], v[24:25]
	v_fma_f64 v[145:146], v[4:5], v[18:19], v[149:150]
	v_fma_f64 v[18:19], v[2:3], v[18:19], -v[20:21]
	v_add_f64 v[20:21], v[16:17], v[14:15]
	v_add_f64 v[133:134], v[133:134], v[147:148]
	ds_load_b128 v[2:5], v1 offset:864
	ds_load_b128 v[14:17], v1 offset:880
	v_fma_f64 v[12:13], v[12:13], v[22:23], v[135:136]
	v_fma_f64 v[10:11], v[10:11], v[22:23], -v[24:25]
	s_waitcnt vmcnt(6) lgkmcnt(1)
	v_mul_f64 v[147:148], v[2:3], v[28:29]
	v_mul_f64 v[28:29], v[4:5], v[28:29]
	s_waitcnt vmcnt(5) lgkmcnt(0)
	v_mul_f64 v[22:23], v[14:15], v[32:33]
	v_mul_f64 v[24:25], v[16:17], v[32:33]
	v_add_f64 v[18:19], v[20:21], v[18:19]
	v_add_f64 v[20:21], v[133:134], v[145:146]
	v_fma_f64 v[32:33], v[4:5], v[26:27], v[147:148]
	v_fma_f64 v[26:27], v[2:3], v[26:27], -v[28:29]
	v_fma_f64 v[16:17], v[16:17], v[30:31], v[22:23]
	v_fma_f64 v[14:15], v[14:15], v[30:31], -v[24:25]
	v_add_f64 v[18:19], v[18:19], v[10:11]
	v_add_f64 v[20:21], v[20:21], v[12:13]
	ds_load_b128 v[2:5], v1 offset:896
	ds_load_b128 v[10:13], v1 offset:912
	s_waitcnt vmcnt(4) lgkmcnt(1)
	v_mul_f64 v[28:29], v[2:3], v[36:37]
	v_mul_f64 v[36:37], v[4:5], v[36:37]
	s_waitcnt vmcnt(2) lgkmcnt(0)
	v_mul_f64 v[22:23], v[10:11], v[143:144]
	v_mul_f64 v[24:25], v[12:13], v[143:144]
	v_add_f64 v[18:19], v[18:19], v[26:27]
	v_add_f64 v[20:21], v[20:21], v[32:33]
	v_fma_f64 v[26:27], v[4:5], v[34:35], v[28:29]
	v_fma_f64 v[28:29], v[2:3], v[34:35], -v[36:37]
	v_fma_f64 v[12:13], v[12:13], v[141:142], v[22:23]
	v_fma_f64 v[10:11], v[10:11], v[141:142], -v[24:25]
	v_add_f64 v[18:19], v[18:19], v[14:15]
	v_add_f64 v[20:21], v[20:21], v[16:17]
	ds_load_b128 v[2:5], v1 offset:928
	ds_load_b128 v[14:17], v1 offset:944
	s_waitcnt vmcnt(1) lgkmcnt(1)
	v_mul_f64 v[30:31], v[2:3], v[40:41]
	v_mul_f64 v[32:33], v[4:5], v[40:41]
	s_waitcnt vmcnt(0) lgkmcnt(0)
	v_mul_f64 v[22:23], v[14:15], v[8:9]
	v_mul_f64 v[8:9], v[16:17], v[8:9]
	v_add_f64 v[18:19], v[18:19], v[28:29]
	v_add_f64 v[20:21], v[20:21], v[26:27]
	v_fma_f64 v[4:5], v[4:5], v[38:39], v[30:31]
	v_fma_f64 v[1:2], v[2:3], v[38:39], -v[32:33]
	v_fma_f64 v[16:17], v[16:17], v[6:7], v[22:23]
	v_fma_f64 v[6:7], v[14:15], v[6:7], -v[8:9]
	v_add_f64 v[10:11], v[18:19], v[10:11]
	v_add_f64 v[12:13], v[20:21], v[12:13]
	s_delay_alu instid0(VALU_DEP_2) | instskip(NEXT) | instid1(VALU_DEP_2)
	v_add_f64 v[1:2], v[10:11], v[1:2]
	v_add_f64 v[3:4], v[12:13], v[4:5]
	s_delay_alu instid0(VALU_DEP_2) | instskip(NEXT) | instid1(VALU_DEP_2)
	;; [unrolled: 3-line block ×3, first 2 shown]
	v_add_f64 v[1:2], v[137:138], -v[1:2]
	v_add_f64 v[3:4], v[139:140], -v[3:4]
	scratch_store_b128 off, v[1:4], off offset:272
	v_cmpx_lt_u32_e32 16, v102
	s_cbranch_execz .LBB29_161
; %bb.160:
	scratch_load_b128 v[1:4], v113, off
	v_mov_b32_e32 v5, 0
	s_delay_alu instid0(VALU_DEP_1)
	v_mov_b32_e32 v6, v5
	v_mov_b32_e32 v7, v5
	;; [unrolled: 1-line block ×3, first 2 shown]
	scratch_store_b128 off, v[5:8], off offset:256
	s_waitcnt vmcnt(0)
	ds_store_b128 v132, v[1:4]
.LBB29_161:
	s_or_b32 exec_lo, exec_lo, s2
	s_waitcnt lgkmcnt(0)
	s_waitcnt_vscnt null, 0x0
	s_barrier
	buffer_gl0_inv
	s_clause 0x7
	scratch_load_b128 v[2:5], off, off offset:272
	scratch_load_b128 v[6:9], off, off offset:288
	;; [unrolled: 1-line block ×8, first 2 shown]
	v_mov_b32_e32 v1, 0
	s_mov_b32 s2, exec_lo
	ds_load_b128 v[34:37], v1 offset:752
	s_clause 0x1
	scratch_load_b128 v[38:41], off, off offset:400
	scratch_load_b128 v[133:136], off, off offset:256
	ds_load_b128 v[137:140], v1 offset:768
	scratch_load_b128 v[141:144], off, off offset:416
	s_waitcnt vmcnt(10) lgkmcnt(1)
	v_mul_f64 v[145:146], v[36:37], v[4:5]
	v_mul_f64 v[4:5], v[34:35], v[4:5]
	s_delay_alu instid0(VALU_DEP_2) | instskip(NEXT) | instid1(VALU_DEP_2)
	v_fma_f64 v[151:152], v[34:35], v[2:3], -v[145:146]
	v_fma_f64 v[153:154], v[36:37], v[2:3], v[4:5]
	scratch_load_b128 v[34:37], off, off offset:432
	ds_load_b128 v[2:5], v1 offset:784
	s_waitcnt vmcnt(10) lgkmcnt(1)
	v_mul_f64 v[149:150], v[137:138], v[8:9]
	v_mul_f64 v[8:9], v[139:140], v[8:9]
	ds_load_b128 v[145:148], v1 offset:800
	s_waitcnt vmcnt(9) lgkmcnt(1)
	v_mul_f64 v[155:156], v[2:3], v[12:13]
	v_mul_f64 v[12:13], v[4:5], v[12:13]
	v_fma_f64 v[139:140], v[139:140], v[6:7], v[149:150]
	v_fma_f64 v[137:138], v[137:138], v[6:7], -v[8:9]
	v_add_f64 v[149:150], v[151:152], 0
	v_add_f64 v[151:152], v[153:154], 0
	scratch_load_b128 v[6:9], off, off offset:448
	v_fma_f64 v[155:156], v[4:5], v[10:11], v[155:156]
	v_fma_f64 v[157:158], v[2:3], v[10:11], -v[12:13]
	scratch_load_b128 v[10:13], off, off offset:464
	ds_load_b128 v[2:5], v1 offset:816
	s_waitcnt vmcnt(10) lgkmcnt(1)
	v_mul_f64 v[153:154], v[145:146], v[16:17]
	v_mul_f64 v[16:17], v[147:148], v[16:17]
	v_add_f64 v[149:150], v[149:150], v[137:138]
	v_add_f64 v[151:152], v[151:152], v[139:140]
	s_waitcnt vmcnt(9) lgkmcnt(0)
	v_mul_f64 v[159:160], v[2:3], v[20:21]
	v_mul_f64 v[20:21], v[4:5], v[20:21]
	ds_load_b128 v[137:140], v1 offset:832
	v_fma_f64 v[147:148], v[147:148], v[14:15], v[153:154]
	v_fma_f64 v[14:15], v[145:146], v[14:15], -v[16:17]
	v_add_f64 v[16:17], v[149:150], v[157:158]
	v_add_f64 v[145:146], v[151:152], v[155:156]
	s_waitcnt vmcnt(8) lgkmcnt(0)
	v_mul_f64 v[149:150], v[137:138], v[24:25]
	v_mul_f64 v[24:25], v[139:140], v[24:25]
	v_fma_f64 v[151:152], v[4:5], v[18:19], v[159:160]
	v_fma_f64 v[18:19], v[2:3], v[18:19], -v[20:21]
	v_add_f64 v[20:21], v[16:17], v[14:15]
	v_add_f64 v[145:146], v[145:146], v[147:148]
	ds_load_b128 v[2:5], v1 offset:848
	ds_load_b128 v[14:17], v1 offset:864
	v_fma_f64 v[139:140], v[139:140], v[22:23], v[149:150]
	v_fma_f64 v[22:23], v[137:138], v[22:23], -v[24:25]
	s_waitcnt vmcnt(7) lgkmcnt(1)
	v_mul_f64 v[147:148], v[2:3], v[28:29]
	v_mul_f64 v[28:29], v[4:5], v[28:29]
	s_waitcnt vmcnt(6) lgkmcnt(0)
	v_mul_f64 v[24:25], v[14:15], v[32:33]
	v_mul_f64 v[32:33], v[16:17], v[32:33]
	v_add_f64 v[18:19], v[20:21], v[18:19]
	v_add_f64 v[20:21], v[145:146], v[151:152]
	v_fma_f64 v[137:138], v[4:5], v[26:27], v[147:148]
	v_fma_f64 v[26:27], v[2:3], v[26:27], -v[28:29]
	v_fma_f64 v[16:17], v[16:17], v[30:31], v[24:25]
	v_fma_f64 v[14:15], v[14:15], v[30:31], -v[32:33]
	v_add_f64 v[22:23], v[18:19], v[22:23]
	v_add_f64 v[28:29], v[20:21], v[139:140]
	ds_load_b128 v[2:5], v1 offset:880
	ds_load_b128 v[18:21], v1 offset:896
	s_waitcnt vmcnt(5) lgkmcnt(1)
	v_mul_f64 v[139:140], v[2:3], v[40:41]
	v_mul_f64 v[40:41], v[4:5], v[40:41]
	v_add_f64 v[22:23], v[22:23], v[26:27]
	v_add_f64 v[24:25], v[28:29], v[137:138]
	s_waitcnt vmcnt(3) lgkmcnt(0)
	v_mul_f64 v[26:27], v[18:19], v[143:144]
	v_mul_f64 v[28:29], v[20:21], v[143:144]
	v_fma_f64 v[30:31], v[4:5], v[38:39], v[139:140]
	v_fma_f64 v[32:33], v[2:3], v[38:39], -v[40:41]
	v_add_f64 v[22:23], v[22:23], v[14:15]
	v_add_f64 v[24:25], v[24:25], v[16:17]
	ds_load_b128 v[2:5], v1 offset:912
	ds_load_b128 v[14:17], v1 offset:928
	v_fma_f64 v[20:21], v[20:21], v[141:142], v[26:27]
	v_fma_f64 v[18:19], v[18:19], v[141:142], -v[28:29]
	s_waitcnt vmcnt(2) lgkmcnt(1)
	v_mul_f64 v[38:39], v[2:3], v[36:37]
	v_mul_f64 v[36:37], v[4:5], v[36:37]
	v_add_f64 v[22:23], v[22:23], v[32:33]
	v_add_f64 v[24:25], v[24:25], v[30:31]
	s_waitcnt vmcnt(1) lgkmcnt(0)
	v_mul_f64 v[26:27], v[14:15], v[8:9]
	v_mul_f64 v[8:9], v[16:17], v[8:9]
	v_fma_f64 v[28:29], v[4:5], v[34:35], v[38:39]
	v_fma_f64 v[30:31], v[2:3], v[34:35], -v[36:37]
	ds_load_b128 v[2:5], v1 offset:944
	v_add_f64 v[18:19], v[22:23], v[18:19]
	v_add_f64 v[20:21], v[24:25], v[20:21]
	s_waitcnt vmcnt(0) lgkmcnt(0)
	v_mul_f64 v[22:23], v[2:3], v[12:13]
	v_mul_f64 v[12:13], v[4:5], v[12:13]
	v_fma_f64 v[16:17], v[16:17], v[6:7], v[26:27]
	v_fma_f64 v[6:7], v[14:15], v[6:7], -v[8:9]
	v_add_f64 v[8:9], v[18:19], v[30:31]
	v_add_f64 v[14:15], v[20:21], v[28:29]
	v_fma_f64 v[4:5], v[4:5], v[10:11], v[22:23]
	v_fma_f64 v[2:3], v[2:3], v[10:11], -v[12:13]
	s_delay_alu instid0(VALU_DEP_4) | instskip(NEXT) | instid1(VALU_DEP_4)
	v_add_f64 v[6:7], v[8:9], v[6:7]
	v_add_f64 v[8:9], v[14:15], v[16:17]
	s_delay_alu instid0(VALU_DEP_2) | instskip(NEXT) | instid1(VALU_DEP_2)
	v_add_f64 v[2:3], v[6:7], v[2:3]
	v_add_f64 v[4:5], v[8:9], v[4:5]
	s_delay_alu instid0(VALU_DEP_2) | instskip(NEXT) | instid1(VALU_DEP_2)
	v_add_f64 v[2:3], v[133:134], -v[2:3]
	v_add_f64 v[4:5], v[135:136], -v[4:5]
	scratch_store_b128 off, v[2:5], off offset:256
	v_cmpx_lt_u32_e32 15, v102
	s_cbranch_execz .LBB29_163
; %bb.162:
	scratch_load_b128 v[5:8], v115, off
	v_mov_b32_e32 v2, v1
	v_mov_b32_e32 v3, v1
	;; [unrolled: 1-line block ×3, first 2 shown]
	scratch_store_b128 off, v[1:4], off offset:240
	s_waitcnt vmcnt(0)
	ds_store_b128 v132, v[5:8]
.LBB29_163:
	s_or_b32 exec_lo, exec_lo, s2
	s_waitcnt lgkmcnt(0)
	s_waitcnt_vscnt null, 0x0
	s_barrier
	buffer_gl0_inv
	s_clause 0x8
	scratch_load_b128 v[2:5], off, off offset:256
	scratch_load_b128 v[6:9], off, off offset:272
	;; [unrolled: 1-line block ×9, first 2 shown]
	ds_load_b128 v[38:41], v1 offset:736
	ds_load_b128 v[133:136], v1 offset:752
	s_clause 0x1
	scratch_load_b128 v[137:140], off, off offset:240
	scratch_load_b128 v[141:144], off, off offset:400
	s_mov_b32 s2, exec_lo
	s_waitcnt vmcnt(10) lgkmcnt(1)
	v_mul_f64 v[145:146], v[40:41], v[4:5]
	v_mul_f64 v[4:5], v[38:39], v[4:5]
	s_waitcnt vmcnt(9) lgkmcnt(0)
	v_mul_f64 v[149:150], v[133:134], v[8:9]
	v_mul_f64 v[8:9], v[135:136], v[8:9]
	s_delay_alu instid0(VALU_DEP_4) | instskip(NEXT) | instid1(VALU_DEP_4)
	v_fma_f64 v[151:152], v[38:39], v[2:3], -v[145:146]
	v_fma_f64 v[153:154], v[40:41], v[2:3], v[4:5]
	ds_load_b128 v[2:5], v1 offset:768
	ds_load_b128 v[145:148], v1 offset:784
	scratch_load_b128 v[38:41], off, off offset:416
	v_fma_f64 v[135:136], v[135:136], v[6:7], v[149:150]
	v_fma_f64 v[133:134], v[133:134], v[6:7], -v[8:9]
	scratch_load_b128 v[6:9], off, off offset:432
	s_waitcnt vmcnt(10) lgkmcnt(1)
	v_mul_f64 v[155:156], v[2:3], v[12:13]
	v_mul_f64 v[12:13], v[4:5], v[12:13]
	v_add_f64 v[149:150], v[151:152], 0
	v_add_f64 v[151:152], v[153:154], 0
	s_waitcnt vmcnt(9) lgkmcnt(0)
	v_mul_f64 v[153:154], v[145:146], v[16:17]
	v_mul_f64 v[16:17], v[147:148], v[16:17]
	v_fma_f64 v[155:156], v[4:5], v[10:11], v[155:156]
	v_fma_f64 v[157:158], v[2:3], v[10:11], -v[12:13]
	ds_load_b128 v[2:5], v1 offset:800
	scratch_load_b128 v[10:13], off, off offset:448
	v_add_f64 v[149:150], v[149:150], v[133:134]
	v_add_f64 v[151:152], v[151:152], v[135:136]
	ds_load_b128 v[133:136], v1 offset:816
	v_fma_f64 v[147:148], v[147:148], v[14:15], v[153:154]
	v_fma_f64 v[145:146], v[145:146], v[14:15], -v[16:17]
	scratch_load_b128 v[14:17], off, off offset:464
	s_waitcnt vmcnt(10) lgkmcnt(1)
	v_mul_f64 v[159:160], v[2:3], v[20:21]
	v_mul_f64 v[20:21], v[4:5], v[20:21]
	s_waitcnt vmcnt(9) lgkmcnt(0)
	v_mul_f64 v[153:154], v[133:134], v[24:25]
	v_mul_f64 v[24:25], v[135:136], v[24:25]
	v_add_f64 v[149:150], v[149:150], v[157:158]
	v_add_f64 v[151:152], v[151:152], v[155:156]
	v_fma_f64 v[155:156], v[4:5], v[18:19], v[159:160]
	v_fma_f64 v[157:158], v[2:3], v[18:19], -v[20:21]
	ds_load_b128 v[2:5], v1 offset:832
	ds_load_b128 v[18:21], v1 offset:848
	v_fma_f64 v[135:136], v[135:136], v[22:23], v[153:154]
	v_fma_f64 v[22:23], v[133:134], v[22:23], -v[24:25]
	v_add_f64 v[145:146], v[149:150], v[145:146]
	v_add_f64 v[147:148], v[151:152], v[147:148]
	s_waitcnt vmcnt(8) lgkmcnt(1)
	v_mul_f64 v[149:150], v[2:3], v[28:29]
	v_mul_f64 v[28:29], v[4:5], v[28:29]
	s_delay_alu instid0(VALU_DEP_4) | instskip(NEXT) | instid1(VALU_DEP_4)
	v_add_f64 v[24:25], v[145:146], v[157:158]
	v_add_f64 v[133:134], v[147:148], v[155:156]
	s_waitcnt vmcnt(7) lgkmcnt(0)
	v_mul_f64 v[145:146], v[18:19], v[32:33]
	v_mul_f64 v[32:33], v[20:21], v[32:33]
	v_fma_f64 v[147:148], v[4:5], v[26:27], v[149:150]
	v_fma_f64 v[26:27], v[2:3], v[26:27], -v[28:29]
	v_add_f64 v[28:29], v[24:25], v[22:23]
	v_add_f64 v[133:134], v[133:134], v[135:136]
	ds_load_b128 v[2:5], v1 offset:864
	ds_load_b128 v[22:25], v1 offset:880
	v_fma_f64 v[20:21], v[20:21], v[30:31], v[145:146]
	v_fma_f64 v[18:19], v[18:19], v[30:31], -v[32:33]
	s_waitcnt vmcnt(6) lgkmcnt(1)
	v_mul_f64 v[135:136], v[2:3], v[36:37]
	v_mul_f64 v[36:37], v[4:5], v[36:37]
	s_waitcnt vmcnt(4) lgkmcnt(0)
	v_mul_f64 v[30:31], v[22:23], v[143:144]
	v_mul_f64 v[32:33], v[24:25], v[143:144]
	v_add_f64 v[26:27], v[28:29], v[26:27]
	v_add_f64 v[28:29], v[133:134], v[147:148]
	v_fma_f64 v[133:134], v[4:5], v[34:35], v[135:136]
	v_fma_f64 v[34:35], v[2:3], v[34:35], -v[36:37]
	v_fma_f64 v[24:25], v[24:25], v[141:142], v[30:31]
	v_fma_f64 v[22:23], v[22:23], v[141:142], -v[32:33]
	v_add_f64 v[26:27], v[26:27], v[18:19]
	v_add_f64 v[28:29], v[28:29], v[20:21]
	ds_load_b128 v[2:5], v1 offset:896
	ds_load_b128 v[18:21], v1 offset:912
	s_waitcnt vmcnt(3) lgkmcnt(1)
	v_mul_f64 v[36:37], v[2:3], v[40:41]
	v_mul_f64 v[40:41], v[4:5], v[40:41]
	s_waitcnt vmcnt(2) lgkmcnt(0)
	v_mul_f64 v[30:31], v[18:19], v[8:9]
	v_mul_f64 v[8:9], v[20:21], v[8:9]
	v_add_f64 v[26:27], v[26:27], v[34:35]
	v_add_f64 v[28:29], v[28:29], v[133:134]
	v_fma_f64 v[32:33], v[4:5], v[38:39], v[36:37]
	v_fma_f64 v[34:35], v[2:3], v[38:39], -v[40:41]
	v_fma_f64 v[20:21], v[20:21], v[6:7], v[30:31]
	v_fma_f64 v[6:7], v[18:19], v[6:7], -v[8:9]
	v_add_f64 v[26:27], v[26:27], v[22:23]
	v_add_f64 v[28:29], v[28:29], v[24:25]
	ds_load_b128 v[2:5], v1 offset:928
	ds_load_b128 v[22:25], v1 offset:944
	s_waitcnt vmcnt(1) lgkmcnt(1)
	v_mul_f64 v[36:37], v[2:3], v[12:13]
	v_mul_f64 v[12:13], v[4:5], v[12:13]
	v_add_f64 v[8:9], v[26:27], v[34:35]
	v_add_f64 v[18:19], v[28:29], v[32:33]
	s_waitcnt vmcnt(0) lgkmcnt(0)
	v_mul_f64 v[26:27], v[22:23], v[16:17]
	v_mul_f64 v[16:17], v[24:25], v[16:17]
	v_fma_f64 v[4:5], v[4:5], v[10:11], v[36:37]
	v_fma_f64 v[1:2], v[2:3], v[10:11], -v[12:13]
	v_add_f64 v[6:7], v[8:9], v[6:7]
	v_add_f64 v[8:9], v[18:19], v[20:21]
	v_fma_f64 v[10:11], v[24:25], v[14:15], v[26:27]
	v_fma_f64 v[12:13], v[22:23], v[14:15], -v[16:17]
	s_delay_alu instid0(VALU_DEP_4) | instskip(NEXT) | instid1(VALU_DEP_4)
	v_add_f64 v[1:2], v[6:7], v[1:2]
	v_add_f64 v[3:4], v[8:9], v[4:5]
	s_delay_alu instid0(VALU_DEP_2) | instskip(NEXT) | instid1(VALU_DEP_2)
	v_add_f64 v[1:2], v[1:2], v[12:13]
	v_add_f64 v[3:4], v[3:4], v[10:11]
	s_delay_alu instid0(VALU_DEP_2) | instskip(NEXT) | instid1(VALU_DEP_2)
	v_add_f64 v[1:2], v[137:138], -v[1:2]
	v_add_f64 v[3:4], v[139:140], -v[3:4]
	scratch_store_b128 off, v[1:4], off offset:240
	v_cmpx_lt_u32_e32 14, v102
	s_cbranch_execz .LBB29_165
; %bb.164:
	scratch_load_b128 v[1:4], v114, off
	v_mov_b32_e32 v5, 0
	s_delay_alu instid0(VALU_DEP_1)
	v_mov_b32_e32 v6, v5
	v_mov_b32_e32 v7, v5
	;; [unrolled: 1-line block ×3, first 2 shown]
	scratch_store_b128 off, v[5:8], off offset:224
	s_waitcnt vmcnt(0)
	ds_store_b128 v132, v[1:4]
.LBB29_165:
	s_or_b32 exec_lo, exec_lo, s2
	s_waitcnt lgkmcnt(0)
	s_waitcnt_vscnt null, 0x0
	s_barrier
	buffer_gl0_inv
	s_clause 0x7
	scratch_load_b128 v[2:5], off, off offset:240
	scratch_load_b128 v[6:9], off, off offset:256
	;; [unrolled: 1-line block ×8, first 2 shown]
	v_mov_b32_e32 v1, 0
	s_mov_b32 s2, exec_lo
	ds_load_b128 v[34:37], v1 offset:720
	s_clause 0x1
	scratch_load_b128 v[38:41], off, off offset:368
	scratch_load_b128 v[133:136], off, off offset:224
	ds_load_b128 v[137:140], v1 offset:736
	scratch_load_b128 v[141:144], off, off offset:384
	s_waitcnt vmcnt(10) lgkmcnt(1)
	v_mul_f64 v[145:146], v[36:37], v[4:5]
	v_mul_f64 v[4:5], v[34:35], v[4:5]
	s_delay_alu instid0(VALU_DEP_2) | instskip(NEXT) | instid1(VALU_DEP_2)
	v_fma_f64 v[151:152], v[34:35], v[2:3], -v[145:146]
	v_fma_f64 v[153:154], v[36:37], v[2:3], v[4:5]
	scratch_load_b128 v[34:37], off, off offset:400
	ds_load_b128 v[2:5], v1 offset:752
	s_waitcnt vmcnt(10) lgkmcnt(1)
	v_mul_f64 v[149:150], v[137:138], v[8:9]
	v_mul_f64 v[8:9], v[139:140], v[8:9]
	ds_load_b128 v[145:148], v1 offset:768
	s_waitcnt vmcnt(9) lgkmcnt(1)
	v_mul_f64 v[155:156], v[2:3], v[12:13]
	v_mul_f64 v[12:13], v[4:5], v[12:13]
	v_fma_f64 v[139:140], v[139:140], v[6:7], v[149:150]
	v_fma_f64 v[137:138], v[137:138], v[6:7], -v[8:9]
	v_add_f64 v[149:150], v[151:152], 0
	v_add_f64 v[151:152], v[153:154], 0
	scratch_load_b128 v[6:9], off, off offset:416
	v_fma_f64 v[155:156], v[4:5], v[10:11], v[155:156]
	v_fma_f64 v[157:158], v[2:3], v[10:11], -v[12:13]
	scratch_load_b128 v[10:13], off, off offset:432
	ds_load_b128 v[2:5], v1 offset:784
	s_waitcnt vmcnt(10) lgkmcnt(1)
	v_mul_f64 v[153:154], v[145:146], v[16:17]
	v_mul_f64 v[16:17], v[147:148], v[16:17]
	v_add_f64 v[149:150], v[149:150], v[137:138]
	v_add_f64 v[151:152], v[151:152], v[139:140]
	s_waitcnt vmcnt(9) lgkmcnt(0)
	v_mul_f64 v[159:160], v[2:3], v[20:21]
	v_mul_f64 v[20:21], v[4:5], v[20:21]
	ds_load_b128 v[137:140], v1 offset:800
	v_fma_f64 v[147:148], v[147:148], v[14:15], v[153:154]
	v_fma_f64 v[145:146], v[145:146], v[14:15], -v[16:17]
	scratch_load_b128 v[14:17], off, off offset:448
	v_add_f64 v[149:150], v[149:150], v[157:158]
	v_add_f64 v[151:152], v[151:152], v[155:156]
	v_fma_f64 v[155:156], v[4:5], v[18:19], v[159:160]
	v_fma_f64 v[157:158], v[2:3], v[18:19], -v[20:21]
	scratch_load_b128 v[18:21], off, off offset:464
	ds_load_b128 v[2:5], v1 offset:816
	s_waitcnt vmcnt(10) lgkmcnt(1)
	v_mul_f64 v[153:154], v[137:138], v[24:25]
	v_mul_f64 v[24:25], v[139:140], v[24:25]
	s_waitcnt vmcnt(9) lgkmcnt(0)
	v_mul_f64 v[159:160], v[2:3], v[28:29]
	v_mul_f64 v[28:29], v[4:5], v[28:29]
	v_add_f64 v[149:150], v[149:150], v[145:146]
	v_add_f64 v[151:152], v[151:152], v[147:148]
	ds_load_b128 v[145:148], v1 offset:832
	v_fma_f64 v[139:140], v[139:140], v[22:23], v[153:154]
	v_fma_f64 v[22:23], v[137:138], v[22:23], -v[24:25]
	v_add_f64 v[24:25], v[149:150], v[157:158]
	v_add_f64 v[137:138], v[151:152], v[155:156]
	s_waitcnt vmcnt(8) lgkmcnt(0)
	v_mul_f64 v[149:150], v[145:146], v[32:33]
	v_mul_f64 v[32:33], v[147:148], v[32:33]
	v_fma_f64 v[151:152], v[4:5], v[26:27], v[159:160]
	v_fma_f64 v[26:27], v[2:3], v[26:27], -v[28:29]
	v_add_f64 v[28:29], v[24:25], v[22:23]
	v_add_f64 v[137:138], v[137:138], v[139:140]
	ds_load_b128 v[2:5], v1 offset:848
	ds_load_b128 v[22:25], v1 offset:864
	v_fma_f64 v[147:148], v[147:148], v[30:31], v[149:150]
	v_fma_f64 v[30:31], v[145:146], v[30:31], -v[32:33]
	s_waitcnt vmcnt(7) lgkmcnt(1)
	v_mul_f64 v[139:140], v[2:3], v[40:41]
	v_mul_f64 v[40:41], v[4:5], v[40:41]
	s_waitcnt vmcnt(5) lgkmcnt(0)
	v_mul_f64 v[32:33], v[22:23], v[143:144]
	v_add_f64 v[26:27], v[28:29], v[26:27]
	v_add_f64 v[28:29], v[137:138], v[151:152]
	v_mul_f64 v[137:138], v[24:25], v[143:144]
	v_fma_f64 v[139:140], v[4:5], v[38:39], v[139:140]
	v_fma_f64 v[38:39], v[2:3], v[38:39], -v[40:41]
	v_fma_f64 v[24:25], v[24:25], v[141:142], v[32:33]
	v_add_f64 v[30:31], v[26:27], v[30:31]
	v_add_f64 v[40:41], v[28:29], v[147:148]
	ds_load_b128 v[2:5], v1 offset:880
	ds_load_b128 v[26:29], v1 offset:896
	v_fma_f64 v[22:23], v[22:23], v[141:142], -v[137:138]
	s_waitcnt vmcnt(4) lgkmcnt(1)
	v_mul_f64 v[143:144], v[2:3], v[36:37]
	v_mul_f64 v[36:37], v[4:5], v[36:37]
	v_add_f64 v[30:31], v[30:31], v[38:39]
	v_add_f64 v[32:33], v[40:41], v[139:140]
	s_waitcnt vmcnt(3) lgkmcnt(0)
	v_mul_f64 v[38:39], v[26:27], v[8:9]
	v_mul_f64 v[8:9], v[28:29], v[8:9]
	v_fma_f64 v[40:41], v[4:5], v[34:35], v[143:144]
	v_fma_f64 v[34:35], v[2:3], v[34:35], -v[36:37]
	v_add_f64 v[30:31], v[30:31], v[22:23]
	v_add_f64 v[32:33], v[32:33], v[24:25]
	ds_load_b128 v[2:5], v1 offset:912
	ds_load_b128 v[22:25], v1 offset:928
	v_fma_f64 v[28:29], v[28:29], v[6:7], v[38:39]
	v_fma_f64 v[6:7], v[26:27], v[6:7], -v[8:9]
	s_waitcnt vmcnt(2) lgkmcnt(1)
	v_mul_f64 v[36:37], v[2:3], v[12:13]
	v_mul_f64 v[12:13], v[4:5], v[12:13]
	v_add_f64 v[8:9], v[30:31], v[34:35]
	v_add_f64 v[26:27], v[32:33], v[40:41]
	s_waitcnt vmcnt(1) lgkmcnt(0)
	v_mul_f64 v[30:31], v[22:23], v[16:17]
	v_mul_f64 v[16:17], v[24:25], v[16:17]
	v_fma_f64 v[32:33], v[4:5], v[10:11], v[36:37]
	v_fma_f64 v[10:11], v[2:3], v[10:11], -v[12:13]
	ds_load_b128 v[2:5], v1 offset:944
	v_add_f64 v[6:7], v[8:9], v[6:7]
	v_add_f64 v[8:9], v[26:27], v[28:29]
	v_fma_f64 v[24:25], v[24:25], v[14:15], v[30:31]
	v_fma_f64 v[14:15], v[22:23], v[14:15], -v[16:17]
	s_waitcnt vmcnt(0) lgkmcnt(0)
	v_mul_f64 v[12:13], v[2:3], v[20:21]
	v_mul_f64 v[20:21], v[4:5], v[20:21]
	v_add_f64 v[6:7], v[6:7], v[10:11]
	v_add_f64 v[8:9], v[8:9], v[32:33]
	s_delay_alu instid0(VALU_DEP_4) | instskip(NEXT) | instid1(VALU_DEP_4)
	v_fma_f64 v[4:5], v[4:5], v[18:19], v[12:13]
	v_fma_f64 v[2:3], v[2:3], v[18:19], -v[20:21]
	s_delay_alu instid0(VALU_DEP_4) | instskip(NEXT) | instid1(VALU_DEP_4)
	v_add_f64 v[6:7], v[6:7], v[14:15]
	v_add_f64 v[8:9], v[8:9], v[24:25]
	s_delay_alu instid0(VALU_DEP_2) | instskip(NEXT) | instid1(VALU_DEP_2)
	v_add_f64 v[2:3], v[6:7], v[2:3]
	v_add_f64 v[4:5], v[8:9], v[4:5]
	s_delay_alu instid0(VALU_DEP_2) | instskip(NEXT) | instid1(VALU_DEP_2)
	v_add_f64 v[2:3], v[133:134], -v[2:3]
	v_add_f64 v[4:5], v[135:136], -v[4:5]
	scratch_store_b128 off, v[2:5], off offset:224
	v_cmpx_lt_u32_e32 13, v102
	s_cbranch_execz .LBB29_167
; %bb.166:
	scratch_load_b128 v[5:8], v116, off
	v_mov_b32_e32 v2, v1
	v_mov_b32_e32 v3, v1
	;; [unrolled: 1-line block ×3, first 2 shown]
	scratch_store_b128 off, v[1:4], off offset:208
	s_waitcnt vmcnt(0)
	ds_store_b128 v132, v[5:8]
.LBB29_167:
	s_or_b32 exec_lo, exec_lo, s2
	s_waitcnt lgkmcnt(0)
	s_waitcnt_vscnt null, 0x0
	s_barrier
	buffer_gl0_inv
	s_clause 0x8
	scratch_load_b128 v[2:5], off, off offset:224
	scratch_load_b128 v[6:9], off, off offset:240
	;; [unrolled: 1-line block ×9, first 2 shown]
	ds_load_b128 v[38:41], v1 offset:704
	ds_load_b128 v[133:136], v1 offset:720
	s_clause 0x1
	scratch_load_b128 v[137:140], off, off offset:208
	scratch_load_b128 v[141:144], off, off offset:368
	s_mov_b32 s2, exec_lo
	s_waitcnt vmcnt(10) lgkmcnt(1)
	v_mul_f64 v[145:146], v[40:41], v[4:5]
	v_mul_f64 v[4:5], v[38:39], v[4:5]
	s_waitcnt vmcnt(9) lgkmcnt(0)
	v_mul_f64 v[149:150], v[133:134], v[8:9]
	v_mul_f64 v[8:9], v[135:136], v[8:9]
	s_delay_alu instid0(VALU_DEP_4) | instskip(NEXT) | instid1(VALU_DEP_4)
	v_fma_f64 v[151:152], v[38:39], v[2:3], -v[145:146]
	v_fma_f64 v[153:154], v[40:41], v[2:3], v[4:5]
	ds_load_b128 v[2:5], v1 offset:736
	ds_load_b128 v[145:148], v1 offset:752
	scratch_load_b128 v[38:41], off, off offset:384
	v_fma_f64 v[135:136], v[135:136], v[6:7], v[149:150]
	v_fma_f64 v[133:134], v[133:134], v[6:7], -v[8:9]
	scratch_load_b128 v[6:9], off, off offset:400
	s_waitcnt vmcnt(10) lgkmcnt(1)
	v_mul_f64 v[155:156], v[2:3], v[12:13]
	v_mul_f64 v[12:13], v[4:5], v[12:13]
	v_add_f64 v[149:150], v[151:152], 0
	v_add_f64 v[151:152], v[153:154], 0
	s_waitcnt vmcnt(9) lgkmcnt(0)
	v_mul_f64 v[153:154], v[145:146], v[16:17]
	v_mul_f64 v[16:17], v[147:148], v[16:17]
	v_fma_f64 v[155:156], v[4:5], v[10:11], v[155:156]
	v_fma_f64 v[157:158], v[2:3], v[10:11], -v[12:13]
	ds_load_b128 v[2:5], v1 offset:768
	scratch_load_b128 v[10:13], off, off offset:416
	v_add_f64 v[149:150], v[149:150], v[133:134]
	v_add_f64 v[151:152], v[151:152], v[135:136]
	ds_load_b128 v[133:136], v1 offset:784
	v_fma_f64 v[147:148], v[147:148], v[14:15], v[153:154]
	v_fma_f64 v[145:146], v[145:146], v[14:15], -v[16:17]
	scratch_load_b128 v[14:17], off, off offset:432
	s_waitcnt vmcnt(10) lgkmcnt(1)
	v_mul_f64 v[159:160], v[2:3], v[20:21]
	v_mul_f64 v[20:21], v[4:5], v[20:21]
	s_waitcnt vmcnt(9) lgkmcnt(0)
	v_mul_f64 v[153:154], v[133:134], v[24:25]
	v_mul_f64 v[24:25], v[135:136], v[24:25]
	v_add_f64 v[149:150], v[149:150], v[157:158]
	v_add_f64 v[151:152], v[151:152], v[155:156]
	v_fma_f64 v[155:156], v[4:5], v[18:19], v[159:160]
	v_fma_f64 v[157:158], v[2:3], v[18:19], -v[20:21]
	ds_load_b128 v[2:5], v1 offset:800
	scratch_load_b128 v[18:21], off, off offset:448
	v_fma_f64 v[135:136], v[135:136], v[22:23], v[153:154]
	v_fma_f64 v[133:134], v[133:134], v[22:23], -v[24:25]
	scratch_load_b128 v[22:25], off, off offset:464
	v_add_f64 v[149:150], v[149:150], v[145:146]
	v_add_f64 v[151:152], v[151:152], v[147:148]
	ds_load_b128 v[145:148], v1 offset:816
	s_waitcnt vmcnt(10) lgkmcnt(1)
	v_mul_f64 v[159:160], v[2:3], v[28:29]
	v_mul_f64 v[28:29], v[4:5], v[28:29]
	s_waitcnt vmcnt(9) lgkmcnt(0)
	v_mul_f64 v[153:154], v[145:146], v[32:33]
	v_mul_f64 v[32:33], v[147:148], v[32:33]
	v_add_f64 v[149:150], v[149:150], v[157:158]
	v_add_f64 v[151:152], v[151:152], v[155:156]
	v_fma_f64 v[155:156], v[4:5], v[26:27], v[159:160]
	v_fma_f64 v[157:158], v[2:3], v[26:27], -v[28:29]
	ds_load_b128 v[2:5], v1 offset:832
	ds_load_b128 v[26:29], v1 offset:848
	v_fma_f64 v[147:148], v[147:148], v[30:31], v[153:154]
	v_fma_f64 v[30:31], v[145:146], v[30:31], -v[32:33]
	v_add_f64 v[133:134], v[149:150], v[133:134]
	v_add_f64 v[135:136], v[151:152], v[135:136]
	s_waitcnt vmcnt(8) lgkmcnt(1)
	v_mul_f64 v[149:150], v[2:3], v[36:37]
	v_mul_f64 v[36:37], v[4:5], v[36:37]
	s_delay_alu instid0(VALU_DEP_4) | instskip(NEXT) | instid1(VALU_DEP_4)
	v_add_f64 v[32:33], v[133:134], v[157:158]
	v_add_f64 v[133:134], v[135:136], v[155:156]
	s_waitcnt vmcnt(6) lgkmcnt(0)
	v_mul_f64 v[135:136], v[26:27], v[143:144]
	v_mul_f64 v[143:144], v[28:29], v[143:144]
	v_fma_f64 v[145:146], v[4:5], v[34:35], v[149:150]
	v_fma_f64 v[34:35], v[2:3], v[34:35], -v[36:37]
	v_add_f64 v[36:37], v[32:33], v[30:31]
	v_add_f64 v[133:134], v[133:134], v[147:148]
	ds_load_b128 v[2:5], v1 offset:864
	ds_load_b128 v[30:33], v1 offset:880
	v_fma_f64 v[28:29], v[28:29], v[141:142], v[135:136]
	v_fma_f64 v[26:27], v[26:27], v[141:142], -v[143:144]
	s_waitcnt vmcnt(5) lgkmcnt(1)
	v_mul_f64 v[147:148], v[2:3], v[40:41]
	v_mul_f64 v[40:41], v[4:5], v[40:41]
	v_add_f64 v[34:35], v[36:37], v[34:35]
	v_add_f64 v[36:37], v[133:134], v[145:146]
	s_waitcnt vmcnt(4) lgkmcnt(0)
	v_mul_f64 v[133:134], v[30:31], v[8:9]
	v_mul_f64 v[8:9], v[32:33], v[8:9]
	v_fma_f64 v[135:136], v[4:5], v[38:39], v[147:148]
	v_fma_f64 v[38:39], v[2:3], v[38:39], -v[40:41]
	v_add_f64 v[34:35], v[34:35], v[26:27]
	v_add_f64 v[36:37], v[36:37], v[28:29]
	ds_load_b128 v[2:5], v1 offset:896
	ds_load_b128 v[26:29], v1 offset:912
	v_fma_f64 v[32:33], v[32:33], v[6:7], v[133:134]
	v_fma_f64 v[6:7], v[30:31], v[6:7], -v[8:9]
	s_waitcnt vmcnt(3) lgkmcnt(1)
	v_mul_f64 v[40:41], v[2:3], v[12:13]
	v_mul_f64 v[12:13], v[4:5], v[12:13]
	;; [unrolled: 16-line block ×3, first 2 shown]
	s_waitcnt vmcnt(0) lgkmcnt(0)
	v_mul_f64 v[16:17], v[6:7], v[24:25]
	v_mul_f64 v[24:25], v[8:9], v[24:25]
	v_add_f64 v[10:11], v[12:13], v[10:11]
	v_add_f64 v[12:13], v[30:31], v[36:37]
	v_fma_f64 v[4:5], v[4:5], v[18:19], v[32:33]
	v_fma_f64 v[1:2], v[2:3], v[18:19], -v[20:21]
	v_fma_f64 v[8:9], v[8:9], v[22:23], v[16:17]
	v_fma_f64 v[6:7], v[6:7], v[22:23], -v[24:25]
	v_add_f64 v[10:11], v[10:11], v[14:15]
	v_add_f64 v[12:13], v[12:13], v[28:29]
	s_delay_alu instid0(VALU_DEP_2) | instskip(NEXT) | instid1(VALU_DEP_2)
	v_add_f64 v[1:2], v[10:11], v[1:2]
	v_add_f64 v[3:4], v[12:13], v[4:5]
	s_delay_alu instid0(VALU_DEP_2) | instskip(NEXT) | instid1(VALU_DEP_2)
	;; [unrolled: 3-line block ×3, first 2 shown]
	v_add_f64 v[1:2], v[137:138], -v[1:2]
	v_add_f64 v[3:4], v[139:140], -v[3:4]
	scratch_store_b128 off, v[1:4], off offset:208
	v_cmpx_lt_u32_e32 12, v102
	s_cbranch_execz .LBB29_169
; %bb.168:
	scratch_load_b128 v[1:4], v117, off
	v_mov_b32_e32 v5, 0
	s_delay_alu instid0(VALU_DEP_1)
	v_mov_b32_e32 v6, v5
	v_mov_b32_e32 v7, v5
	;; [unrolled: 1-line block ×3, first 2 shown]
	scratch_store_b128 off, v[5:8], off offset:192
	s_waitcnt vmcnt(0)
	ds_store_b128 v132, v[1:4]
.LBB29_169:
	s_or_b32 exec_lo, exec_lo, s2
	s_waitcnt lgkmcnt(0)
	s_waitcnt_vscnt null, 0x0
	s_barrier
	buffer_gl0_inv
	s_clause 0x7
	scratch_load_b128 v[2:5], off, off offset:208
	scratch_load_b128 v[6:9], off, off offset:224
	;; [unrolled: 1-line block ×8, first 2 shown]
	v_mov_b32_e32 v1, 0
	s_mov_b32 s2, exec_lo
	ds_load_b128 v[34:37], v1 offset:688
	s_clause 0x1
	scratch_load_b128 v[38:41], off, off offset:336
	scratch_load_b128 v[133:136], off, off offset:192
	ds_load_b128 v[137:140], v1 offset:704
	scratch_load_b128 v[141:144], off, off offset:352
	s_waitcnt vmcnt(10) lgkmcnt(1)
	v_mul_f64 v[145:146], v[36:37], v[4:5]
	v_mul_f64 v[4:5], v[34:35], v[4:5]
	s_delay_alu instid0(VALU_DEP_2) | instskip(NEXT) | instid1(VALU_DEP_2)
	v_fma_f64 v[151:152], v[34:35], v[2:3], -v[145:146]
	v_fma_f64 v[153:154], v[36:37], v[2:3], v[4:5]
	scratch_load_b128 v[34:37], off, off offset:368
	ds_load_b128 v[2:5], v1 offset:720
	s_waitcnt vmcnt(10) lgkmcnt(1)
	v_mul_f64 v[149:150], v[137:138], v[8:9]
	v_mul_f64 v[8:9], v[139:140], v[8:9]
	ds_load_b128 v[145:148], v1 offset:736
	s_waitcnt vmcnt(9) lgkmcnt(1)
	v_mul_f64 v[155:156], v[2:3], v[12:13]
	v_mul_f64 v[12:13], v[4:5], v[12:13]
	v_fma_f64 v[139:140], v[139:140], v[6:7], v[149:150]
	v_fma_f64 v[137:138], v[137:138], v[6:7], -v[8:9]
	v_add_f64 v[149:150], v[151:152], 0
	v_add_f64 v[151:152], v[153:154], 0
	scratch_load_b128 v[6:9], off, off offset:384
	v_fma_f64 v[155:156], v[4:5], v[10:11], v[155:156]
	v_fma_f64 v[157:158], v[2:3], v[10:11], -v[12:13]
	scratch_load_b128 v[10:13], off, off offset:400
	ds_load_b128 v[2:5], v1 offset:752
	s_waitcnt vmcnt(10) lgkmcnt(1)
	v_mul_f64 v[153:154], v[145:146], v[16:17]
	v_mul_f64 v[16:17], v[147:148], v[16:17]
	v_add_f64 v[149:150], v[149:150], v[137:138]
	v_add_f64 v[151:152], v[151:152], v[139:140]
	s_waitcnt vmcnt(9) lgkmcnt(0)
	v_mul_f64 v[159:160], v[2:3], v[20:21]
	v_mul_f64 v[20:21], v[4:5], v[20:21]
	ds_load_b128 v[137:140], v1 offset:768
	v_fma_f64 v[147:148], v[147:148], v[14:15], v[153:154]
	v_fma_f64 v[145:146], v[145:146], v[14:15], -v[16:17]
	scratch_load_b128 v[14:17], off, off offset:416
	v_add_f64 v[149:150], v[149:150], v[157:158]
	v_add_f64 v[151:152], v[151:152], v[155:156]
	v_fma_f64 v[155:156], v[4:5], v[18:19], v[159:160]
	v_fma_f64 v[157:158], v[2:3], v[18:19], -v[20:21]
	scratch_load_b128 v[18:21], off, off offset:432
	ds_load_b128 v[2:5], v1 offset:784
	s_waitcnt vmcnt(10) lgkmcnt(1)
	v_mul_f64 v[153:154], v[137:138], v[24:25]
	v_mul_f64 v[24:25], v[139:140], v[24:25]
	s_waitcnt vmcnt(9) lgkmcnt(0)
	v_mul_f64 v[159:160], v[2:3], v[28:29]
	v_mul_f64 v[28:29], v[4:5], v[28:29]
	v_add_f64 v[149:150], v[149:150], v[145:146]
	v_add_f64 v[151:152], v[151:152], v[147:148]
	ds_load_b128 v[145:148], v1 offset:800
	v_fma_f64 v[139:140], v[139:140], v[22:23], v[153:154]
	v_fma_f64 v[137:138], v[137:138], v[22:23], -v[24:25]
	scratch_load_b128 v[22:25], off, off offset:448
	v_add_f64 v[149:150], v[149:150], v[157:158]
	v_add_f64 v[151:152], v[151:152], v[155:156]
	v_fma_f64 v[155:156], v[4:5], v[26:27], v[159:160]
	v_fma_f64 v[157:158], v[2:3], v[26:27], -v[28:29]
	scratch_load_b128 v[26:29], off, off offset:464
	ds_load_b128 v[2:5], v1 offset:816
	s_waitcnt vmcnt(10) lgkmcnt(1)
	v_mul_f64 v[153:154], v[145:146], v[32:33]
	v_mul_f64 v[32:33], v[147:148], v[32:33]
	s_waitcnt vmcnt(9) lgkmcnt(0)
	v_mul_f64 v[159:160], v[2:3], v[40:41]
	v_mul_f64 v[40:41], v[4:5], v[40:41]
	v_add_f64 v[149:150], v[149:150], v[137:138]
	v_add_f64 v[151:152], v[151:152], v[139:140]
	ds_load_b128 v[137:140], v1 offset:832
	v_fma_f64 v[147:148], v[147:148], v[30:31], v[153:154]
	v_fma_f64 v[30:31], v[145:146], v[30:31], -v[32:33]
	v_add_f64 v[32:33], v[149:150], v[157:158]
	v_add_f64 v[145:146], v[151:152], v[155:156]
	s_waitcnt vmcnt(7) lgkmcnt(0)
	v_mul_f64 v[149:150], v[137:138], v[143:144]
	v_mul_f64 v[143:144], v[139:140], v[143:144]
	v_fma_f64 v[151:152], v[4:5], v[38:39], v[159:160]
	v_fma_f64 v[38:39], v[2:3], v[38:39], -v[40:41]
	v_add_f64 v[40:41], v[32:33], v[30:31]
	v_add_f64 v[145:146], v[145:146], v[147:148]
	ds_load_b128 v[2:5], v1 offset:848
	ds_load_b128 v[30:33], v1 offset:864
	v_fma_f64 v[139:140], v[139:140], v[141:142], v[149:150]
	v_fma_f64 v[137:138], v[137:138], v[141:142], -v[143:144]
	s_waitcnt vmcnt(6) lgkmcnt(1)
	v_mul_f64 v[147:148], v[2:3], v[36:37]
	v_mul_f64 v[36:37], v[4:5], v[36:37]
	v_add_f64 v[38:39], v[40:41], v[38:39]
	v_add_f64 v[40:41], v[145:146], v[151:152]
	s_waitcnt vmcnt(5) lgkmcnt(0)
	v_mul_f64 v[141:142], v[30:31], v[8:9]
	v_mul_f64 v[8:9], v[32:33], v[8:9]
	v_fma_f64 v[143:144], v[4:5], v[34:35], v[147:148]
	v_fma_f64 v[145:146], v[2:3], v[34:35], -v[36:37]
	ds_load_b128 v[2:5], v1 offset:880
	ds_load_b128 v[34:37], v1 offset:896
	v_add_f64 v[38:39], v[38:39], v[137:138]
	v_add_f64 v[40:41], v[40:41], v[139:140]
	s_waitcnt vmcnt(4) lgkmcnt(1)
	v_mul_f64 v[137:138], v[2:3], v[12:13]
	v_mul_f64 v[12:13], v[4:5], v[12:13]
	v_fma_f64 v[32:33], v[32:33], v[6:7], v[141:142]
	v_fma_f64 v[6:7], v[30:31], v[6:7], -v[8:9]
	v_add_f64 v[8:9], v[38:39], v[145:146]
	v_add_f64 v[30:31], v[40:41], v[143:144]
	s_waitcnt vmcnt(3) lgkmcnt(0)
	v_mul_f64 v[38:39], v[34:35], v[16:17]
	v_mul_f64 v[16:17], v[36:37], v[16:17]
	v_fma_f64 v[40:41], v[4:5], v[10:11], v[137:138]
	v_fma_f64 v[10:11], v[2:3], v[10:11], -v[12:13]
	v_add_f64 v[12:13], v[8:9], v[6:7]
	v_add_f64 v[30:31], v[30:31], v[32:33]
	ds_load_b128 v[2:5], v1 offset:912
	ds_load_b128 v[6:9], v1 offset:928
	v_fma_f64 v[36:37], v[36:37], v[14:15], v[38:39]
	v_fma_f64 v[14:15], v[34:35], v[14:15], -v[16:17]
	s_waitcnt vmcnt(2) lgkmcnt(1)
	v_mul_f64 v[32:33], v[2:3], v[20:21]
	v_mul_f64 v[20:21], v[4:5], v[20:21]
	s_waitcnt vmcnt(1) lgkmcnt(0)
	v_mul_f64 v[16:17], v[6:7], v[24:25]
	v_mul_f64 v[24:25], v[8:9], v[24:25]
	v_add_f64 v[10:11], v[12:13], v[10:11]
	v_add_f64 v[12:13], v[30:31], v[40:41]
	v_fma_f64 v[30:31], v[4:5], v[18:19], v[32:33]
	v_fma_f64 v[18:19], v[2:3], v[18:19], -v[20:21]
	ds_load_b128 v[2:5], v1 offset:944
	v_fma_f64 v[8:9], v[8:9], v[22:23], v[16:17]
	v_fma_f64 v[6:7], v[6:7], v[22:23], -v[24:25]
	v_add_f64 v[10:11], v[10:11], v[14:15]
	v_add_f64 v[12:13], v[12:13], v[36:37]
	s_waitcnt vmcnt(0) lgkmcnt(0)
	v_mul_f64 v[14:15], v[2:3], v[28:29]
	v_mul_f64 v[20:21], v[4:5], v[28:29]
	s_delay_alu instid0(VALU_DEP_4) | instskip(NEXT) | instid1(VALU_DEP_4)
	v_add_f64 v[10:11], v[10:11], v[18:19]
	v_add_f64 v[12:13], v[12:13], v[30:31]
	s_delay_alu instid0(VALU_DEP_4) | instskip(NEXT) | instid1(VALU_DEP_4)
	v_fma_f64 v[4:5], v[4:5], v[26:27], v[14:15]
	v_fma_f64 v[2:3], v[2:3], v[26:27], -v[20:21]
	s_delay_alu instid0(VALU_DEP_4) | instskip(NEXT) | instid1(VALU_DEP_4)
	v_add_f64 v[6:7], v[10:11], v[6:7]
	v_add_f64 v[8:9], v[12:13], v[8:9]
	s_delay_alu instid0(VALU_DEP_2) | instskip(NEXT) | instid1(VALU_DEP_2)
	v_add_f64 v[2:3], v[6:7], v[2:3]
	v_add_f64 v[4:5], v[8:9], v[4:5]
	s_delay_alu instid0(VALU_DEP_2) | instskip(NEXT) | instid1(VALU_DEP_2)
	v_add_f64 v[2:3], v[133:134], -v[2:3]
	v_add_f64 v[4:5], v[135:136], -v[4:5]
	scratch_store_b128 off, v[2:5], off offset:192
	v_cmpx_lt_u32_e32 11, v102
	s_cbranch_execz .LBB29_171
; %bb.170:
	scratch_load_b128 v[5:8], v119, off
	v_mov_b32_e32 v2, v1
	v_mov_b32_e32 v3, v1
	;; [unrolled: 1-line block ×3, first 2 shown]
	scratch_store_b128 off, v[1:4], off offset:176
	s_waitcnt vmcnt(0)
	ds_store_b128 v132, v[5:8]
.LBB29_171:
	s_or_b32 exec_lo, exec_lo, s2
	s_waitcnt lgkmcnt(0)
	s_waitcnt_vscnt null, 0x0
	s_barrier
	buffer_gl0_inv
	s_clause 0x8
	scratch_load_b128 v[2:5], off, off offset:192
	scratch_load_b128 v[6:9], off, off offset:208
	;; [unrolled: 1-line block ×9, first 2 shown]
	ds_load_b128 v[38:41], v1 offset:672
	ds_load_b128 v[133:136], v1 offset:688
	s_clause 0x1
	scratch_load_b128 v[137:140], off, off offset:176
	scratch_load_b128 v[141:144], off, off offset:336
	s_mov_b32 s2, exec_lo
	s_waitcnt vmcnt(10) lgkmcnt(1)
	v_mul_f64 v[145:146], v[40:41], v[4:5]
	v_mul_f64 v[4:5], v[38:39], v[4:5]
	s_waitcnt vmcnt(9) lgkmcnt(0)
	v_mul_f64 v[149:150], v[133:134], v[8:9]
	v_mul_f64 v[8:9], v[135:136], v[8:9]
	s_delay_alu instid0(VALU_DEP_4) | instskip(NEXT) | instid1(VALU_DEP_4)
	v_fma_f64 v[151:152], v[38:39], v[2:3], -v[145:146]
	v_fma_f64 v[153:154], v[40:41], v[2:3], v[4:5]
	ds_load_b128 v[2:5], v1 offset:704
	ds_load_b128 v[145:148], v1 offset:720
	scratch_load_b128 v[38:41], off, off offset:352
	v_fma_f64 v[135:136], v[135:136], v[6:7], v[149:150]
	v_fma_f64 v[133:134], v[133:134], v[6:7], -v[8:9]
	scratch_load_b128 v[6:9], off, off offset:368
	s_waitcnt vmcnt(10) lgkmcnt(1)
	v_mul_f64 v[155:156], v[2:3], v[12:13]
	v_mul_f64 v[12:13], v[4:5], v[12:13]
	v_add_f64 v[149:150], v[151:152], 0
	v_add_f64 v[151:152], v[153:154], 0
	s_waitcnt vmcnt(9) lgkmcnt(0)
	v_mul_f64 v[153:154], v[145:146], v[16:17]
	v_mul_f64 v[16:17], v[147:148], v[16:17]
	v_fma_f64 v[155:156], v[4:5], v[10:11], v[155:156]
	v_fma_f64 v[157:158], v[2:3], v[10:11], -v[12:13]
	ds_load_b128 v[2:5], v1 offset:736
	scratch_load_b128 v[10:13], off, off offset:384
	v_add_f64 v[149:150], v[149:150], v[133:134]
	v_add_f64 v[151:152], v[151:152], v[135:136]
	ds_load_b128 v[133:136], v1 offset:752
	v_fma_f64 v[147:148], v[147:148], v[14:15], v[153:154]
	v_fma_f64 v[145:146], v[145:146], v[14:15], -v[16:17]
	scratch_load_b128 v[14:17], off, off offset:400
	s_waitcnt vmcnt(10) lgkmcnt(1)
	v_mul_f64 v[159:160], v[2:3], v[20:21]
	v_mul_f64 v[20:21], v[4:5], v[20:21]
	s_waitcnt vmcnt(9) lgkmcnt(0)
	v_mul_f64 v[153:154], v[133:134], v[24:25]
	v_mul_f64 v[24:25], v[135:136], v[24:25]
	v_add_f64 v[149:150], v[149:150], v[157:158]
	v_add_f64 v[151:152], v[151:152], v[155:156]
	v_fma_f64 v[155:156], v[4:5], v[18:19], v[159:160]
	v_fma_f64 v[157:158], v[2:3], v[18:19], -v[20:21]
	ds_load_b128 v[2:5], v1 offset:768
	scratch_load_b128 v[18:21], off, off offset:416
	v_fma_f64 v[135:136], v[135:136], v[22:23], v[153:154]
	v_fma_f64 v[133:134], v[133:134], v[22:23], -v[24:25]
	scratch_load_b128 v[22:25], off, off offset:432
	v_add_f64 v[149:150], v[149:150], v[145:146]
	v_add_f64 v[151:152], v[151:152], v[147:148]
	ds_load_b128 v[145:148], v1 offset:784
	s_waitcnt vmcnt(10) lgkmcnt(1)
	v_mul_f64 v[159:160], v[2:3], v[28:29]
	v_mul_f64 v[28:29], v[4:5], v[28:29]
	s_waitcnt vmcnt(9) lgkmcnt(0)
	v_mul_f64 v[153:154], v[145:146], v[32:33]
	v_mul_f64 v[32:33], v[147:148], v[32:33]
	v_add_f64 v[149:150], v[149:150], v[157:158]
	v_add_f64 v[151:152], v[151:152], v[155:156]
	v_fma_f64 v[155:156], v[4:5], v[26:27], v[159:160]
	v_fma_f64 v[157:158], v[2:3], v[26:27], -v[28:29]
	ds_load_b128 v[2:5], v1 offset:800
	scratch_load_b128 v[26:29], off, off offset:448
	v_fma_f64 v[147:148], v[147:148], v[30:31], v[153:154]
	v_fma_f64 v[145:146], v[145:146], v[30:31], -v[32:33]
	scratch_load_b128 v[30:33], off, off offset:464
	v_add_f64 v[149:150], v[149:150], v[133:134]
	v_add_f64 v[151:152], v[151:152], v[135:136]
	ds_load_b128 v[133:136], v1 offset:816
	s_waitcnt vmcnt(10) lgkmcnt(1)
	v_mul_f64 v[159:160], v[2:3], v[36:37]
	v_mul_f64 v[36:37], v[4:5], v[36:37]
	s_waitcnt vmcnt(8) lgkmcnt(0)
	v_mul_f64 v[153:154], v[133:134], v[143:144]
	v_mul_f64 v[143:144], v[135:136], v[143:144]
	v_add_f64 v[149:150], v[149:150], v[157:158]
	v_add_f64 v[151:152], v[151:152], v[155:156]
	v_fma_f64 v[155:156], v[4:5], v[34:35], v[159:160]
	v_fma_f64 v[157:158], v[2:3], v[34:35], -v[36:37]
	ds_load_b128 v[2:5], v1 offset:832
	ds_load_b128 v[34:37], v1 offset:848
	v_fma_f64 v[135:136], v[135:136], v[141:142], v[153:154]
	v_fma_f64 v[133:134], v[133:134], v[141:142], -v[143:144]
	v_add_f64 v[145:146], v[149:150], v[145:146]
	v_add_f64 v[147:148], v[151:152], v[147:148]
	s_waitcnt vmcnt(7) lgkmcnt(1)
	v_mul_f64 v[149:150], v[2:3], v[40:41]
	v_mul_f64 v[40:41], v[4:5], v[40:41]
	s_delay_alu instid0(VALU_DEP_4) | instskip(NEXT) | instid1(VALU_DEP_4)
	v_add_f64 v[141:142], v[145:146], v[157:158]
	v_add_f64 v[143:144], v[147:148], v[155:156]
	s_waitcnt vmcnt(6) lgkmcnt(0)
	v_mul_f64 v[145:146], v[34:35], v[8:9]
	v_mul_f64 v[8:9], v[36:37], v[8:9]
	v_fma_f64 v[147:148], v[4:5], v[38:39], v[149:150]
	v_fma_f64 v[149:150], v[2:3], v[38:39], -v[40:41]
	ds_load_b128 v[2:5], v1 offset:864
	ds_load_b128 v[38:41], v1 offset:880
	v_add_f64 v[133:134], v[141:142], v[133:134]
	v_add_f64 v[135:136], v[143:144], v[135:136]
	v_fma_f64 v[36:37], v[36:37], v[6:7], v[145:146]
	s_waitcnt vmcnt(5) lgkmcnt(1)
	v_mul_f64 v[141:142], v[2:3], v[12:13]
	v_mul_f64 v[12:13], v[4:5], v[12:13]
	v_fma_f64 v[6:7], v[34:35], v[6:7], -v[8:9]
	v_add_f64 v[8:9], v[133:134], v[149:150]
	v_add_f64 v[34:35], v[135:136], v[147:148]
	s_waitcnt vmcnt(4) lgkmcnt(0)
	v_mul_f64 v[133:134], v[38:39], v[16:17]
	v_mul_f64 v[16:17], v[40:41], v[16:17]
	v_fma_f64 v[135:136], v[4:5], v[10:11], v[141:142]
	v_fma_f64 v[10:11], v[2:3], v[10:11], -v[12:13]
	v_add_f64 v[12:13], v[8:9], v[6:7]
	v_add_f64 v[34:35], v[34:35], v[36:37]
	ds_load_b128 v[2:5], v1 offset:896
	ds_load_b128 v[6:9], v1 offset:912
	v_fma_f64 v[40:41], v[40:41], v[14:15], v[133:134]
	v_fma_f64 v[14:15], v[38:39], v[14:15], -v[16:17]
	s_waitcnt vmcnt(3) lgkmcnt(1)
	v_mul_f64 v[36:37], v[2:3], v[20:21]
	v_mul_f64 v[20:21], v[4:5], v[20:21]
	s_waitcnt vmcnt(2) lgkmcnt(0)
	v_mul_f64 v[16:17], v[6:7], v[24:25]
	v_mul_f64 v[24:25], v[8:9], v[24:25]
	v_add_f64 v[10:11], v[12:13], v[10:11]
	v_add_f64 v[12:13], v[34:35], v[135:136]
	v_fma_f64 v[34:35], v[4:5], v[18:19], v[36:37]
	v_fma_f64 v[18:19], v[2:3], v[18:19], -v[20:21]
	v_fma_f64 v[8:9], v[8:9], v[22:23], v[16:17]
	v_fma_f64 v[6:7], v[6:7], v[22:23], -v[24:25]
	v_add_f64 v[14:15], v[10:11], v[14:15]
	v_add_f64 v[20:21], v[12:13], v[40:41]
	ds_load_b128 v[2:5], v1 offset:928
	ds_load_b128 v[10:13], v1 offset:944
	s_waitcnt vmcnt(1) lgkmcnt(1)
	v_mul_f64 v[36:37], v[2:3], v[28:29]
	v_mul_f64 v[28:29], v[4:5], v[28:29]
	v_add_f64 v[14:15], v[14:15], v[18:19]
	v_add_f64 v[16:17], v[20:21], v[34:35]
	s_waitcnt vmcnt(0) lgkmcnt(0)
	v_mul_f64 v[18:19], v[10:11], v[32:33]
	v_mul_f64 v[20:21], v[12:13], v[32:33]
	v_fma_f64 v[4:5], v[4:5], v[26:27], v[36:37]
	v_fma_f64 v[1:2], v[2:3], v[26:27], -v[28:29]
	v_add_f64 v[6:7], v[14:15], v[6:7]
	v_add_f64 v[8:9], v[16:17], v[8:9]
	v_fma_f64 v[12:13], v[12:13], v[30:31], v[18:19]
	v_fma_f64 v[10:11], v[10:11], v[30:31], -v[20:21]
	s_delay_alu instid0(VALU_DEP_4) | instskip(NEXT) | instid1(VALU_DEP_4)
	v_add_f64 v[1:2], v[6:7], v[1:2]
	v_add_f64 v[3:4], v[8:9], v[4:5]
	s_delay_alu instid0(VALU_DEP_2) | instskip(NEXT) | instid1(VALU_DEP_2)
	v_add_f64 v[1:2], v[1:2], v[10:11]
	v_add_f64 v[3:4], v[3:4], v[12:13]
	s_delay_alu instid0(VALU_DEP_2) | instskip(NEXT) | instid1(VALU_DEP_2)
	v_add_f64 v[1:2], v[137:138], -v[1:2]
	v_add_f64 v[3:4], v[139:140], -v[3:4]
	scratch_store_b128 off, v[1:4], off offset:176
	v_cmpx_lt_u32_e32 10, v102
	s_cbranch_execz .LBB29_173
; %bb.172:
	scratch_load_b128 v[1:4], v118, off
	v_mov_b32_e32 v5, 0
	s_delay_alu instid0(VALU_DEP_1)
	v_mov_b32_e32 v6, v5
	v_mov_b32_e32 v7, v5
	;; [unrolled: 1-line block ×3, first 2 shown]
	scratch_store_b128 off, v[5:8], off offset:160
	s_waitcnt vmcnt(0)
	ds_store_b128 v132, v[1:4]
.LBB29_173:
	s_or_b32 exec_lo, exec_lo, s2
	s_waitcnt lgkmcnt(0)
	s_waitcnt_vscnt null, 0x0
	s_barrier
	buffer_gl0_inv
	s_clause 0x7
	scratch_load_b128 v[2:5], off, off offset:176
	scratch_load_b128 v[6:9], off, off offset:192
	;; [unrolled: 1-line block ×8, first 2 shown]
	v_mov_b32_e32 v1, 0
	s_mov_b32 s2, exec_lo
	ds_load_b128 v[34:37], v1 offset:656
	s_clause 0x1
	scratch_load_b128 v[38:41], off, off offset:304
	scratch_load_b128 v[133:136], off, off offset:160
	ds_load_b128 v[137:140], v1 offset:672
	scratch_load_b128 v[141:144], off, off offset:320
	s_waitcnt vmcnt(10) lgkmcnt(1)
	v_mul_f64 v[145:146], v[36:37], v[4:5]
	v_mul_f64 v[4:5], v[34:35], v[4:5]
	s_delay_alu instid0(VALU_DEP_2) | instskip(NEXT) | instid1(VALU_DEP_2)
	v_fma_f64 v[151:152], v[34:35], v[2:3], -v[145:146]
	v_fma_f64 v[153:154], v[36:37], v[2:3], v[4:5]
	scratch_load_b128 v[34:37], off, off offset:336
	ds_load_b128 v[2:5], v1 offset:688
	s_waitcnt vmcnt(10) lgkmcnt(1)
	v_mul_f64 v[149:150], v[137:138], v[8:9]
	v_mul_f64 v[8:9], v[139:140], v[8:9]
	ds_load_b128 v[145:148], v1 offset:704
	s_waitcnt vmcnt(9) lgkmcnt(1)
	v_mul_f64 v[155:156], v[2:3], v[12:13]
	v_mul_f64 v[12:13], v[4:5], v[12:13]
	v_fma_f64 v[139:140], v[139:140], v[6:7], v[149:150]
	v_fma_f64 v[137:138], v[137:138], v[6:7], -v[8:9]
	v_add_f64 v[149:150], v[151:152], 0
	v_add_f64 v[151:152], v[153:154], 0
	scratch_load_b128 v[6:9], off, off offset:352
	v_fma_f64 v[155:156], v[4:5], v[10:11], v[155:156]
	v_fma_f64 v[157:158], v[2:3], v[10:11], -v[12:13]
	scratch_load_b128 v[10:13], off, off offset:368
	ds_load_b128 v[2:5], v1 offset:720
	s_waitcnt vmcnt(10) lgkmcnt(1)
	v_mul_f64 v[153:154], v[145:146], v[16:17]
	v_mul_f64 v[16:17], v[147:148], v[16:17]
	v_add_f64 v[149:150], v[149:150], v[137:138]
	v_add_f64 v[151:152], v[151:152], v[139:140]
	s_waitcnt vmcnt(9) lgkmcnt(0)
	v_mul_f64 v[159:160], v[2:3], v[20:21]
	v_mul_f64 v[20:21], v[4:5], v[20:21]
	ds_load_b128 v[137:140], v1 offset:736
	v_fma_f64 v[147:148], v[147:148], v[14:15], v[153:154]
	v_fma_f64 v[145:146], v[145:146], v[14:15], -v[16:17]
	scratch_load_b128 v[14:17], off, off offset:384
	v_add_f64 v[149:150], v[149:150], v[157:158]
	v_add_f64 v[151:152], v[151:152], v[155:156]
	v_fma_f64 v[155:156], v[4:5], v[18:19], v[159:160]
	v_fma_f64 v[157:158], v[2:3], v[18:19], -v[20:21]
	scratch_load_b128 v[18:21], off, off offset:400
	ds_load_b128 v[2:5], v1 offset:752
	s_waitcnt vmcnt(10) lgkmcnt(1)
	v_mul_f64 v[153:154], v[137:138], v[24:25]
	v_mul_f64 v[24:25], v[139:140], v[24:25]
	s_waitcnt vmcnt(9) lgkmcnt(0)
	v_mul_f64 v[159:160], v[2:3], v[28:29]
	v_mul_f64 v[28:29], v[4:5], v[28:29]
	v_add_f64 v[149:150], v[149:150], v[145:146]
	v_add_f64 v[151:152], v[151:152], v[147:148]
	ds_load_b128 v[145:148], v1 offset:768
	v_fma_f64 v[139:140], v[139:140], v[22:23], v[153:154]
	v_fma_f64 v[137:138], v[137:138], v[22:23], -v[24:25]
	scratch_load_b128 v[22:25], off, off offset:416
	v_add_f64 v[149:150], v[149:150], v[157:158]
	v_add_f64 v[151:152], v[151:152], v[155:156]
	v_fma_f64 v[155:156], v[4:5], v[26:27], v[159:160]
	v_fma_f64 v[157:158], v[2:3], v[26:27], -v[28:29]
	scratch_load_b128 v[26:29], off, off offset:432
	ds_load_b128 v[2:5], v1 offset:784
	s_waitcnt vmcnt(10) lgkmcnt(1)
	v_mul_f64 v[153:154], v[145:146], v[32:33]
	v_mul_f64 v[32:33], v[147:148], v[32:33]
	s_waitcnt vmcnt(9) lgkmcnt(0)
	v_mul_f64 v[159:160], v[2:3], v[40:41]
	v_mul_f64 v[40:41], v[4:5], v[40:41]
	v_add_f64 v[149:150], v[149:150], v[137:138]
	v_add_f64 v[151:152], v[151:152], v[139:140]
	ds_load_b128 v[137:140], v1 offset:800
	v_fma_f64 v[147:148], v[147:148], v[30:31], v[153:154]
	v_fma_f64 v[145:146], v[145:146], v[30:31], -v[32:33]
	scratch_load_b128 v[30:33], off, off offset:448
	v_add_f64 v[149:150], v[149:150], v[157:158]
	v_add_f64 v[151:152], v[151:152], v[155:156]
	v_fma_f64 v[157:158], v[4:5], v[38:39], v[159:160]
	v_fma_f64 v[159:160], v[2:3], v[38:39], -v[40:41]
	scratch_load_b128 v[38:41], off, off offset:464
	ds_load_b128 v[2:5], v1 offset:816
	s_waitcnt vmcnt(9) lgkmcnt(1)
	v_mul_f64 v[153:154], v[137:138], v[143:144]
	v_mul_f64 v[155:156], v[139:140], v[143:144]
	v_add_f64 v[149:150], v[149:150], v[145:146]
	v_add_f64 v[147:148], v[151:152], v[147:148]
	ds_load_b128 v[143:146], v1 offset:832
	v_fma_f64 v[139:140], v[139:140], v[141:142], v[153:154]
	v_fma_f64 v[137:138], v[137:138], v[141:142], -v[155:156]
	s_waitcnt vmcnt(8) lgkmcnt(1)
	v_mul_f64 v[151:152], v[2:3], v[36:37]
	v_mul_f64 v[36:37], v[4:5], v[36:37]
	v_add_f64 v[141:142], v[149:150], v[159:160]
	v_add_f64 v[147:148], v[147:148], v[157:158]
	s_delay_alu instid0(VALU_DEP_4) | instskip(NEXT) | instid1(VALU_DEP_4)
	v_fma_f64 v[151:152], v[4:5], v[34:35], v[151:152]
	v_fma_f64 v[153:154], v[2:3], v[34:35], -v[36:37]
	ds_load_b128 v[2:5], v1 offset:848
	ds_load_b128 v[34:37], v1 offset:864
	s_waitcnt vmcnt(7) lgkmcnt(2)
	v_mul_f64 v[149:150], v[143:144], v[8:9]
	v_mul_f64 v[8:9], v[145:146], v[8:9]
	v_add_f64 v[137:138], v[141:142], v[137:138]
	v_add_f64 v[139:140], v[147:148], v[139:140]
	s_waitcnt vmcnt(6) lgkmcnt(1)
	v_mul_f64 v[141:142], v[2:3], v[12:13]
	v_mul_f64 v[12:13], v[4:5], v[12:13]
	v_fma_f64 v[145:146], v[145:146], v[6:7], v[149:150]
	v_fma_f64 v[6:7], v[143:144], v[6:7], -v[8:9]
	v_add_f64 v[8:9], v[137:138], v[153:154]
	v_add_f64 v[137:138], v[139:140], v[151:152]
	s_waitcnt vmcnt(5) lgkmcnt(0)
	v_mul_f64 v[139:140], v[34:35], v[16:17]
	v_mul_f64 v[16:17], v[36:37], v[16:17]
	v_fma_f64 v[141:142], v[4:5], v[10:11], v[141:142]
	v_fma_f64 v[10:11], v[2:3], v[10:11], -v[12:13]
	v_add_f64 v[12:13], v[8:9], v[6:7]
	v_add_f64 v[137:138], v[137:138], v[145:146]
	ds_load_b128 v[2:5], v1 offset:880
	ds_load_b128 v[6:9], v1 offset:896
	v_fma_f64 v[36:37], v[36:37], v[14:15], v[139:140]
	v_fma_f64 v[14:15], v[34:35], v[14:15], -v[16:17]
	s_waitcnt vmcnt(4) lgkmcnt(1)
	v_mul_f64 v[143:144], v[2:3], v[20:21]
	v_mul_f64 v[20:21], v[4:5], v[20:21]
	s_waitcnt vmcnt(3) lgkmcnt(0)
	v_mul_f64 v[16:17], v[6:7], v[24:25]
	v_mul_f64 v[24:25], v[8:9], v[24:25]
	v_add_f64 v[10:11], v[12:13], v[10:11]
	v_add_f64 v[12:13], v[137:138], v[141:142]
	v_fma_f64 v[34:35], v[4:5], v[18:19], v[143:144]
	v_fma_f64 v[18:19], v[2:3], v[18:19], -v[20:21]
	v_fma_f64 v[8:9], v[8:9], v[22:23], v[16:17]
	v_fma_f64 v[6:7], v[6:7], v[22:23], -v[24:25]
	v_add_f64 v[14:15], v[10:11], v[14:15]
	v_add_f64 v[20:21], v[12:13], v[36:37]
	ds_load_b128 v[2:5], v1 offset:912
	ds_load_b128 v[10:13], v1 offset:928
	s_waitcnt vmcnt(2) lgkmcnt(1)
	v_mul_f64 v[36:37], v[2:3], v[28:29]
	v_mul_f64 v[28:29], v[4:5], v[28:29]
	v_add_f64 v[14:15], v[14:15], v[18:19]
	v_add_f64 v[16:17], v[20:21], v[34:35]
	s_waitcnt vmcnt(1) lgkmcnt(0)
	v_mul_f64 v[18:19], v[10:11], v[32:33]
	v_mul_f64 v[20:21], v[12:13], v[32:33]
	v_fma_f64 v[22:23], v[4:5], v[26:27], v[36:37]
	v_fma_f64 v[24:25], v[2:3], v[26:27], -v[28:29]
	ds_load_b128 v[2:5], v1 offset:944
	v_add_f64 v[6:7], v[14:15], v[6:7]
	v_add_f64 v[8:9], v[16:17], v[8:9]
	v_fma_f64 v[12:13], v[12:13], v[30:31], v[18:19]
	v_fma_f64 v[10:11], v[10:11], v[30:31], -v[20:21]
	s_waitcnt vmcnt(0) lgkmcnt(0)
	v_mul_f64 v[14:15], v[2:3], v[40:41]
	v_mul_f64 v[16:17], v[4:5], v[40:41]
	v_add_f64 v[6:7], v[6:7], v[24:25]
	v_add_f64 v[8:9], v[8:9], v[22:23]
	s_delay_alu instid0(VALU_DEP_4) | instskip(NEXT) | instid1(VALU_DEP_4)
	v_fma_f64 v[4:5], v[4:5], v[38:39], v[14:15]
	v_fma_f64 v[2:3], v[2:3], v[38:39], -v[16:17]
	s_delay_alu instid0(VALU_DEP_4) | instskip(NEXT) | instid1(VALU_DEP_4)
	v_add_f64 v[6:7], v[6:7], v[10:11]
	v_add_f64 v[8:9], v[8:9], v[12:13]
	s_delay_alu instid0(VALU_DEP_2) | instskip(NEXT) | instid1(VALU_DEP_2)
	v_add_f64 v[2:3], v[6:7], v[2:3]
	v_add_f64 v[4:5], v[8:9], v[4:5]
	s_delay_alu instid0(VALU_DEP_2) | instskip(NEXT) | instid1(VALU_DEP_2)
	v_add_f64 v[2:3], v[133:134], -v[2:3]
	v_add_f64 v[4:5], v[135:136], -v[4:5]
	scratch_store_b128 off, v[2:5], off offset:160
	v_cmpx_lt_u32_e32 9, v102
	s_cbranch_execz .LBB29_175
; %bb.174:
	scratch_load_b128 v[5:8], v120, off
	v_mov_b32_e32 v2, v1
	v_mov_b32_e32 v3, v1
	;; [unrolled: 1-line block ×3, first 2 shown]
	scratch_store_b128 off, v[1:4], off offset:144
	s_waitcnt vmcnt(0)
	ds_store_b128 v132, v[5:8]
.LBB29_175:
	s_or_b32 exec_lo, exec_lo, s2
	s_waitcnt lgkmcnt(0)
	s_waitcnt_vscnt null, 0x0
	s_barrier
	buffer_gl0_inv
	s_clause 0x8
	scratch_load_b128 v[2:5], off, off offset:160
	scratch_load_b128 v[6:9], off, off offset:176
	;; [unrolled: 1-line block ×9, first 2 shown]
	ds_load_b128 v[38:41], v1 offset:640
	ds_load_b128 v[133:136], v1 offset:656
	s_clause 0x1
	scratch_load_b128 v[137:140], off, off offset:144
	scratch_load_b128 v[141:144], off, off offset:304
	s_mov_b32 s2, exec_lo
	s_waitcnt vmcnt(10) lgkmcnt(1)
	v_mul_f64 v[145:146], v[40:41], v[4:5]
	v_mul_f64 v[4:5], v[38:39], v[4:5]
	s_waitcnt vmcnt(9) lgkmcnt(0)
	v_mul_f64 v[149:150], v[133:134], v[8:9]
	v_mul_f64 v[8:9], v[135:136], v[8:9]
	s_delay_alu instid0(VALU_DEP_4) | instskip(NEXT) | instid1(VALU_DEP_4)
	v_fma_f64 v[151:152], v[38:39], v[2:3], -v[145:146]
	v_fma_f64 v[153:154], v[40:41], v[2:3], v[4:5]
	ds_load_b128 v[2:5], v1 offset:672
	ds_load_b128 v[145:148], v1 offset:688
	scratch_load_b128 v[38:41], off, off offset:320
	v_fma_f64 v[135:136], v[135:136], v[6:7], v[149:150]
	v_fma_f64 v[133:134], v[133:134], v[6:7], -v[8:9]
	scratch_load_b128 v[6:9], off, off offset:336
	s_waitcnt vmcnt(10) lgkmcnt(1)
	v_mul_f64 v[155:156], v[2:3], v[12:13]
	v_mul_f64 v[12:13], v[4:5], v[12:13]
	v_add_f64 v[149:150], v[151:152], 0
	v_add_f64 v[151:152], v[153:154], 0
	s_waitcnt vmcnt(9) lgkmcnt(0)
	v_mul_f64 v[153:154], v[145:146], v[16:17]
	v_mul_f64 v[16:17], v[147:148], v[16:17]
	v_fma_f64 v[155:156], v[4:5], v[10:11], v[155:156]
	v_fma_f64 v[157:158], v[2:3], v[10:11], -v[12:13]
	ds_load_b128 v[2:5], v1 offset:704
	scratch_load_b128 v[10:13], off, off offset:352
	v_add_f64 v[149:150], v[149:150], v[133:134]
	v_add_f64 v[151:152], v[151:152], v[135:136]
	ds_load_b128 v[133:136], v1 offset:720
	v_fma_f64 v[147:148], v[147:148], v[14:15], v[153:154]
	v_fma_f64 v[145:146], v[145:146], v[14:15], -v[16:17]
	scratch_load_b128 v[14:17], off, off offset:368
	s_waitcnt vmcnt(10) lgkmcnt(1)
	v_mul_f64 v[159:160], v[2:3], v[20:21]
	v_mul_f64 v[20:21], v[4:5], v[20:21]
	s_waitcnt vmcnt(9) lgkmcnt(0)
	v_mul_f64 v[153:154], v[133:134], v[24:25]
	v_mul_f64 v[24:25], v[135:136], v[24:25]
	v_add_f64 v[149:150], v[149:150], v[157:158]
	v_add_f64 v[151:152], v[151:152], v[155:156]
	v_fma_f64 v[155:156], v[4:5], v[18:19], v[159:160]
	v_fma_f64 v[157:158], v[2:3], v[18:19], -v[20:21]
	ds_load_b128 v[2:5], v1 offset:736
	scratch_load_b128 v[18:21], off, off offset:384
	v_fma_f64 v[135:136], v[135:136], v[22:23], v[153:154]
	v_fma_f64 v[133:134], v[133:134], v[22:23], -v[24:25]
	scratch_load_b128 v[22:25], off, off offset:400
	v_add_f64 v[149:150], v[149:150], v[145:146]
	v_add_f64 v[151:152], v[151:152], v[147:148]
	ds_load_b128 v[145:148], v1 offset:752
	s_waitcnt vmcnt(10) lgkmcnt(1)
	v_mul_f64 v[159:160], v[2:3], v[28:29]
	v_mul_f64 v[28:29], v[4:5], v[28:29]
	s_waitcnt vmcnt(9) lgkmcnt(0)
	v_mul_f64 v[153:154], v[145:146], v[32:33]
	v_mul_f64 v[32:33], v[147:148], v[32:33]
	v_add_f64 v[149:150], v[149:150], v[157:158]
	v_add_f64 v[151:152], v[151:152], v[155:156]
	v_fma_f64 v[155:156], v[4:5], v[26:27], v[159:160]
	v_fma_f64 v[157:158], v[2:3], v[26:27], -v[28:29]
	ds_load_b128 v[2:5], v1 offset:768
	scratch_load_b128 v[26:29], off, off offset:416
	v_fma_f64 v[147:148], v[147:148], v[30:31], v[153:154]
	v_fma_f64 v[145:146], v[145:146], v[30:31], -v[32:33]
	scratch_load_b128 v[30:33], off, off offset:432
	v_add_f64 v[149:150], v[149:150], v[133:134]
	v_add_f64 v[151:152], v[151:152], v[135:136]
	ds_load_b128 v[133:136], v1 offset:784
	s_waitcnt vmcnt(10) lgkmcnt(1)
	v_mul_f64 v[159:160], v[2:3], v[36:37]
	v_mul_f64 v[36:37], v[4:5], v[36:37]
	s_waitcnt vmcnt(8) lgkmcnt(0)
	v_mul_f64 v[153:154], v[133:134], v[143:144]
	v_add_f64 v[149:150], v[149:150], v[157:158]
	v_add_f64 v[151:152], v[151:152], v[155:156]
	v_mul_f64 v[155:156], v[135:136], v[143:144]
	v_fma_f64 v[157:158], v[4:5], v[34:35], v[159:160]
	v_fma_f64 v[159:160], v[2:3], v[34:35], -v[36:37]
	ds_load_b128 v[2:5], v1 offset:800
	scratch_load_b128 v[34:37], off, off offset:448
	v_fma_f64 v[153:154], v[135:136], v[141:142], v[153:154]
	v_add_f64 v[149:150], v[149:150], v[145:146]
	v_add_f64 v[147:148], v[151:152], v[147:148]
	ds_load_b128 v[143:146], v1 offset:816
	v_fma_f64 v[141:142], v[133:134], v[141:142], -v[155:156]
	scratch_load_b128 v[133:136], off, off offset:464
	s_waitcnt vmcnt(9) lgkmcnt(1)
	v_mul_f64 v[151:152], v[2:3], v[40:41]
	v_mul_f64 v[40:41], v[4:5], v[40:41]
	s_waitcnt vmcnt(8) lgkmcnt(0)
	v_mul_f64 v[155:156], v[143:144], v[8:9]
	v_mul_f64 v[8:9], v[145:146], v[8:9]
	v_add_f64 v[149:150], v[149:150], v[159:160]
	v_add_f64 v[147:148], v[147:148], v[157:158]
	v_fma_f64 v[151:152], v[4:5], v[38:39], v[151:152]
	v_fma_f64 v[157:158], v[2:3], v[38:39], -v[40:41]
	ds_load_b128 v[2:5], v1 offset:832
	ds_load_b128 v[38:41], v1 offset:848
	v_fma_f64 v[145:146], v[145:146], v[6:7], v[155:156]
	v_fma_f64 v[6:7], v[143:144], v[6:7], -v[8:9]
	v_add_f64 v[141:142], v[149:150], v[141:142]
	v_add_f64 v[147:148], v[147:148], v[153:154]
	s_waitcnt vmcnt(7) lgkmcnt(1)
	v_mul_f64 v[149:150], v[2:3], v[12:13]
	v_mul_f64 v[12:13], v[4:5], v[12:13]
	s_waitcnt vmcnt(6) lgkmcnt(0)
	v_mul_f64 v[143:144], v[38:39], v[16:17]
	v_mul_f64 v[16:17], v[40:41], v[16:17]
	v_add_f64 v[8:9], v[141:142], v[157:158]
	v_add_f64 v[141:142], v[147:148], v[151:152]
	v_fma_f64 v[147:148], v[4:5], v[10:11], v[149:150]
	v_fma_f64 v[10:11], v[2:3], v[10:11], -v[12:13]
	v_fma_f64 v[40:41], v[40:41], v[14:15], v[143:144]
	v_fma_f64 v[14:15], v[38:39], v[14:15], -v[16:17]
	v_add_f64 v[12:13], v[8:9], v[6:7]
	v_add_f64 v[141:142], v[141:142], v[145:146]
	ds_load_b128 v[2:5], v1 offset:864
	ds_load_b128 v[6:9], v1 offset:880
	s_waitcnt vmcnt(5) lgkmcnt(1)
	v_mul_f64 v[145:146], v[2:3], v[20:21]
	v_mul_f64 v[20:21], v[4:5], v[20:21]
	s_waitcnt vmcnt(4) lgkmcnt(0)
	v_mul_f64 v[16:17], v[6:7], v[24:25]
	v_mul_f64 v[24:25], v[8:9], v[24:25]
	v_add_f64 v[10:11], v[12:13], v[10:11]
	v_add_f64 v[12:13], v[141:142], v[147:148]
	v_fma_f64 v[38:39], v[4:5], v[18:19], v[145:146]
	v_fma_f64 v[18:19], v[2:3], v[18:19], -v[20:21]
	v_fma_f64 v[8:9], v[8:9], v[22:23], v[16:17]
	v_fma_f64 v[6:7], v[6:7], v[22:23], -v[24:25]
	v_add_f64 v[14:15], v[10:11], v[14:15]
	v_add_f64 v[20:21], v[12:13], v[40:41]
	ds_load_b128 v[2:5], v1 offset:896
	ds_load_b128 v[10:13], v1 offset:912
	s_waitcnt vmcnt(3) lgkmcnt(1)
	v_mul_f64 v[40:41], v[2:3], v[28:29]
	v_mul_f64 v[28:29], v[4:5], v[28:29]
	v_add_f64 v[14:15], v[14:15], v[18:19]
	v_add_f64 v[16:17], v[20:21], v[38:39]
	s_waitcnt vmcnt(2) lgkmcnt(0)
	v_mul_f64 v[18:19], v[10:11], v[32:33]
	v_mul_f64 v[20:21], v[12:13], v[32:33]
	v_fma_f64 v[22:23], v[4:5], v[26:27], v[40:41]
	v_fma_f64 v[24:25], v[2:3], v[26:27], -v[28:29]
	v_add_f64 v[14:15], v[14:15], v[6:7]
	v_add_f64 v[16:17], v[16:17], v[8:9]
	ds_load_b128 v[2:5], v1 offset:928
	ds_load_b128 v[6:9], v1 offset:944
	v_fma_f64 v[12:13], v[12:13], v[30:31], v[18:19]
	v_fma_f64 v[10:11], v[10:11], v[30:31], -v[20:21]
	s_waitcnt vmcnt(1) lgkmcnt(1)
	v_mul_f64 v[26:27], v[2:3], v[36:37]
	v_mul_f64 v[28:29], v[4:5], v[36:37]
	s_waitcnt vmcnt(0) lgkmcnt(0)
	v_mul_f64 v[18:19], v[6:7], v[135:136]
	v_mul_f64 v[20:21], v[8:9], v[135:136]
	v_add_f64 v[14:15], v[14:15], v[24:25]
	v_add_f64 v[16:17], v[16:17], v[22:23]
	v_fma_f64 v[4:5], v[4:5], v[34:35], v[26:27]
	v_fma_f64 v[1:2], v[2:3], v[34:35], -v[28:29]
	v_fma_f64 v[8:9], v[8:9], v[133:134], v[18:19]
	v_fma_f64 v[6:7], v[6:7], v[133:134], -v[20:21]
	v_add_f64 v[10:11], v[14:15], v[10:11]
	v_add_f64 v[12:13], v[16:17], v[12:13]
	s_delay_alu instid0(VALU_DEP_2) | instskip(NEXT) | instid1(VALU_DEP_2)
	v_add_f64 v[1:2], v[10:11], v[1:2]
	v_add_f64 v[3:4], v[12:13], v[4:5]
	s_delay_alu instid0(VALU_DEP_2) | instskip(NEXT) | instid1(VALU_DEP_2)
	;; [unrolled: 3-line block ×3, first 2 shown]
	v_add_f64 v[1:2], v[137:138], -v[1:2]
	v_add_f64 v[3:4], v[139:140], -v[3:4]
	scratch_store_b128 off, v[1:4], off offset:144
	v_cmpx_lt_u32_e32 8, v102
	s_cbranch_execz .LBB29_177
; %bb.176:
	scratch_load_b128 v[1:4], v121, off
	v_mov_b32_e32 v5, 0
	s_delay_alu instid0(VALU_DEP_1)
	v_mov_b32_e32 v6, v5
	v_mov_b32_e32 v7, v5
	;; [unrolled: 1-line block ×3, first 2 shown]
	scratch_store_b128 off, v[5:8], off offset:128
	s_waitcnt vmcnt(0)
	ds_store_b128 v132, v[1:4]
.LBB29_177:
	s_or_b32 exec_lo, exec_lo, s2
	s_waitcnt lgkmcnt(0)
	s_waitcnt_vscnt null, 0x0
	s_barrier
	buffer_gl0_inv
	s_clause 0x7
	scratch_load_b128 v[2:5], off, off offset:144
	scratch_load_b128 v[6:9], off, off offset:160
	scratch_load_b128 v[10:13], off, off offset:176
	scratch_load_b128 v[14:17], off, off offset:192
	scratch_load_b128 v[18:21], off, off offset:208
	scratch_load_b128 v[22:25], off, off offset:224
	scratch_load_b128 v[26:29], off, off offset:240
	scratch_load_b128 v[30:33], off, off offset:256
	v_mov_b32_e32 v1, 0
	s_mov_b32 s2, exec_lo
	ds_load_b128 v[34:37], v1 offset:624
	s_clause 0x1
	scratch_load_b128 v[38:41], off, off offset:272
	scratch_load_b128 v[133:136], off, off offset:128
	ds_load_b128 v[137:140], v1 offset:640
	scratch_load_b128 v[141:144], off, off offset:288
	s_waitcnt vmcnt(10) lgkmcnt(1)
	v_mul_f64 v[145:146], v[36:37], v[4:5]
	v_mul_f64 v[4:5], v[34:35], v[4:5]
	s_delay_alu instid0(VALU_DEP_2) | instskip(NEXT) | instid1(VALU_DEP_2)
	v_fma_f64 v[151:152], v[34:35], v[2:3], -v[145:146]
	v_fma_f64 v[153:154], v[36:37], v[2:3], v[4:5]
	scratch_load_b128 v[34:37], off, off offset:304
	ds_load_b128 v[2:5], v1 offset:656
	s_waitcnt vmcnt(10) lgkmcnt(1)
	v_mul_f64 v[149:150], v[137:138], v[8:9]
	v_mul_f64 v[8:9], v[139:140], v[8:9]
	ds_load_b128 v[145:148], v1 offset:672
	s_waitcnt vmcnt(9) lgkmcnt(1)
	v_mul_f64 v[155:156], v[2:3], v[12:13]
	v_mul_f64 v[12:13], v[4:5], v[12:13]
	v_fma_f64 v[139:140], v[139:140], v[6:7], v[149:150]
	v_fma_f64 v[137:138], v[137:138], v[6:7], -v[8:9]
	v_add_f64 v[149:150], v[151:152], 0
	v_add_f64 v[151:152], v[153:154], 0
	scratch_load_b128 v[6:9], off, off offset:320
	v_fma_f64 v[155:156], v[4:5], v[10:11], v[155:156]
	v_fma_f64 v[157:158], v[2:3], v[10:11], -v[12:13]
	scratch_load_b128 v[10:13], off, off offset:336
	ds_load_b128 v[2:5], v1 offset:688
	s_waitcnt vmcnt(10) lgkmcnt(1)
	v_mul_f64 v[153:154], v[145:146], v[16:17]
	v_mul_f64 v[16:17], v[147:148], v[16:17]
	v_add_f64 v[149:150], v[149:150], v[137:138]
	v_add_f64 v[151:152], v[151:152], v[139:140]
	s_waitcnt vmcnt(9) lgkmcnt(0)
	v_mul_f64 v[159:160], v[2:3], v[20:21]
	v_mul_f64 v[20:21], v[4:5], v[20:21]
	ds_load_b128 v[137:140], v1 offset:704
	v_fma_f64 v[147:148], v[147:148], v[14:15], v[153:154]
	v_fma_f64 v[145:146], v[145:146], v[14:15], -v[16:17]
	scratch_load_b128 v[14:17], off, off offset:352
	v_add_f64 v[149:150], v[149:150], v[157:158]
	v_add_f64 v[151:152], v[151:152], v[155:156]
	v_fma_f64 v[155:156], v[4:5], v[18:19], v[159:160]
	v_fma_f64 v[157:158], v[2:3], v[18:19], -v[20:21]
	scratch_load_b128 v[18:21], off, off offset:368
	ds_load_b128 v[2:5], v1 offset:720
	s_waitcnt vmcnt(10) lgkmcnt(1)
	v_mul_f64 v[153:154], v[137:138], v[24:25]
	v_mul_f64 v[24:25], v[139:140], v[24:25]
	s_waitcnt vmcnt(9) lgkmcnt(0)
	v_mul_f64 v[159:160], v[2:3], v[28:29]
	v_mul_f64 v[28:29], v[4:5], v[28:29]
	v_add_f64 v[149:150], v[149:150], v[145:146]
	v_add_f64 v[151:152], v[151:152], v[147:148]
	ds_load_b128 v[145:148], v1 offset:736
	v_fma_f64 v[139:140], v[139:140], v[22:23], v[153:154]
	v_fma_f64 v[137:138], v[137:138], v[22:23], -v[24:25]
	scratch_load_b128 v[22:25], off, off offset:384
	v_add_f64 v[149:150], v[149:150], v[157:158]
	v_add_f64 v[151:152], v[151:152], v[155:156]
	v_fma_f64 v[155:156], v[4:5], v[26:27], v[159:160]
	v_fma_f64 v[157:158], v[2:3], v[26:27], -v[28:29]
	scratch_load_b128 v[26:29], off, off offset:400
	ds_load_b128 v[2:5], v1 offset:752
	s_waitcnt vmcnt(10) lgkmcnt(1)
	v_mul_f64 v[153:154], v[145:146], v[32:33]
	v_mul_f64 v[32:33], v[147:148], v[32:33]
	s_waitcnt vmcnt(9) lgkmcnt(0)
	v_mul_f64 v[159:160], v[2:3], v[40:41]
	v_mul_f64 v[40:41], v[4:5], v[40:41]
	v_add_f64 v[149:150], v[149:150], v[137:138]
	v_add_f64 v[151:152], v[151:152], v[139:140]
	ds_load_b128 v[137:140], v1 offset:768
	v_fma_f64 v[147:148], v[147:148], v[30:31], v[153:154]
	v_fma_f64 v[145:146], v[145:146], v[30:31], -v[32:33]
	scratch_load_b128 v[30:33], off, off offset:416
	v_add_f64 v[149:150], v[149:150], v[157:158]
	v_add_f64 v[151:152], v[151:152], v[155:156]
	v_fma_f64 v[157:158], v[4:5], v[38:39], v[159:160]
	v_fma_f64 v[159:160], v[2:3], v[38:39], -v[40:41]
	scratch_load_b128 v[38:41], off, off offset:432
	ds_load_b128 v[2:5], v1 offset:784
	s_waitcnt vmcnt(9) lgkmcnt(1)
	v_mul_f64 v[153:154], v[137:138], v[143:144]
	v_mul_f64 v[155:156], v[139:140], v[143:144]
	v_add_f64 v[149:150], v[149:150], v[145:146]
	v_add_f64 v[147:148], v[151:152], v[147:148]
	ds_load_b128 v[143:146], v1 offset:800
	v_fma_f64 v[153:154], v[139:140], v[141:142], v[153:154]
	v_fma_f64 v[141:142], v[137:138], v[141:142], -v[155:156]
	scratch_load_b128 v[137:140], off, off offset:448
	s_waitcnt vmcnt(9) lgkmcnt(1)
	v_mul_f64 v[151:152], v[2:3], v[36:37]
	v_mul_f64 v[36:37], v[4:5], v[36:37]
	v_add_f64 v[149:150], v[149:150], v[159:160]
	v_add_f64 v[147:148], v[147:148], v[157:158]
	s_delay_alu instid0(VALU_DEP_4) | instskip(NEXT) | instid1(VALU_DEP_4)
	v_fma_f64 v[151:152], v[4:5], v[34:35], v[151:152]
	v_fma_f64 v[157:158], v[2:3], v[34:35], -v[36:37]
	scratch_load_b128 v[34:37], off, off offset:464
	ds_load_b128 v[2:5], v1 offset:816
	s_waitcnt vmcnt(9) lgkmcnt(1)
	v_mul_f64 v[155:156], v[143:144], v[8:9]
	v_mul_f64 v[8:9], v[145:146], v[8:9]
	s_waitcnt vmcnt(8) lgkmcnt(0)
	v_mul_f64 v[159:160], v[2:3], v[12:13]
	v_mul_f64 v[12:13], v[4:5], v[12:13]
	v_add_f64 v[141:142], v[149:150], v[141:142]
	v_add_f64 v[153:154], v[147:148], v[153:154]
	ds_load_b128 v[147:150], v1 offset:832
	v_fma_f64 v[145:146], v[145:146], v[6:7], v[155:156]
	v_fma_f64 v[6:7], v[143:144], v[6:7], -v[8:9]
	v_add_f64 v[8:9], v[141:142], v[157:158]
	v_add_f64 v[141:142], v[153:154], v[151:152]
	s_waitcnt vmcnt(7) lgkmcnt(0)
	v_mul_f64 v[143:144], v[147:148], v[16:17]
	v_mul_f64 v[16:17], v[149:150], v[16:17]
	v_fma_f64 v[151:152], v[4:5], v[10:11], v[159:160]
	v_fma_f64 v[10:11], v[2:3], v[10:11], -v[12:13]
	v_add_f64 v[12:13], v[8:9], v[6:7]
	v_add_f64 v[141:142], v[141:142], v[145:146]
	ds_load_b128 v[2:5], v1 offset:848
	ds_load_b128 v[6:9], v1 offset:864
	v_fma_f64 v[143:144], v[149:150], v[14:15], v[143:144]
	v_fma_f64 v[14:15], v[147:148], v[14:15], -v[16:17]
	s_waitcnt vmcnt(6) lgkmcnt(1)
	v_mul_f64 v[145:146], v[2:3], v[20:21]
	v_mul_f64 v[20:21], v[4:5], v[20:21]
	s_waitcnt vmcnt(5) lgkmcnt(0)
	v_mul_f64 v[16:17], v[6:7], v[24:25]
	v_mul_f64 v[24:25], v[8:9], v[24:25]
	v_add_f64 v[10:11], v[12:13], v[10:11]
	v_add_f64 v[12:13], v[141:142], v[151:152]
	v_fma_f64 v[141:142], v[4:5], v[18:19], v[145:146]
	v_fma_f64 v[18:19], v[2:3], v[18:19], -v[20:21]
	v_fma_f64 v[8:9], v[8:9], v[22:23], v[16:17]
	v_fma_f64 v[6:7], v[6:7], v[22:23], -v[24:25]
	v_add_f64 v[14:15], v[10:11], v[14:15]
	v_add_f64 v[20:21], v[12:13], v[143:144]
	ds_load_b128 v[2:5], v1 offset:880
	ds_load_b128 v[10:13], v1 offset:896
	s_waitcnt vmcnt(4) lgkmcnt(1)
	v_mul_f64 v[143:144], v[2:3], v[28:29]
	v_mul_f64 v[28:29], v[4:5], v[28:29]
	v_add_f64 v[14:15], v[14:15], v[18:19]
	v_add_f64 v[16:17], v[20:21], v[141:142]
	s_waitcnt vmcnt(3) lgkmcnt(0)
	v_mul_f64 v[18:19], v[10:11], v[32:33]
	v_mul_f64 v[20:21], v[12:13], v[32:33]
	v_fma_f64 v[22:23], v[4:5], v[26:27], v[143:144]
	v_fma_f64 v[24:25], v[2:3], v[26:27], -v[28:29]
	v_add_f64 v[14:15], v[14:15], v[6:7]
	v_add_f64 v[16:17], v[16:17], v[8:9]
	ds_load_b128 v[2:5], v1 offset:912
	ds_load_b128 v[6:9], v1 offset:928
	v_fma_f64 v[12:13], v[12:13], v[30:31], v[18:19]
	v_fma_f64 v[10:11], v[10:11], v[30:31], -v[20:21]
	s_waitcnt vmcnt(2) lgkmcnt(1)
	v_mul_f64 v[26:27], v[2:3], v[40:41]
	v_mul_f64 v[28:29], v[4:5], v[40:41]
	s_waitcnt vmcnt(1) lgkmcnt(0)
	v_mul_f64 v[18:19], v[6:7], v[139:140]
	v_mul_f64 v[20:21], v[8:9], v[139:140]
	v_add_f64 v[14:15], v[14:15], v[24:25]
	v_add_f64 v[16:17], v[16:17], v[22:23]
	v_fma_f64 v[22:23], v[4:5], v[38:39], v[26:27]
	v_fma_f64 v[24:25], v[2:3], v[38:39], -v[28:29]
	ds_load_b128 v[2:5], v1 offset:944
	v_fma_f64 v[8:9], v[8:9], v[137:138], v[18:19]
	v_fma_f64 v[6:7], v[6:7], v[137:138], -v[20:21]
	v_add_f64 v[10:11], v[14:15], v[10:11]
	v_add_f64 v[12:13], v[16:17], v[12:13]
	s_waitcnt vmcnt(0) lgkmcnt(0)
	v_mul_f64 v[14:15], v[2:3], v[36:37]
	v_mul_f64 v[16:17], v[4:5], v[36:37]
	s_delay_alu instid0(VALU_DEP_4) | instskip(NEXT) | instid1(VALU_DEP_4)
	v_add_f64 v[10:11], v[10:11], v[24:25]
	v_add_f64 v[12:13], v[12:13], v[22:23]
	s_delay_alu instid0(VALU_DEP_4) | instskip(NEXT) | instid1(VALU_DEP_4)
	v_fma_f64 v[4:5], v[4:5], v[34:35], v[14:15]
	v_fma_f64 v[2:3], v[2:3], v[34:35], -v[16:17]
	s_delay_alu instid0(VALU_DEP_4) | instskip(NEXT) | instid1(VALU_DEP_4)
	v_add_f64 v[6:7], v[10:11], v[6:7]
	v_add_f64 v[8:9], v[12:13], v[8:9]
	s_delay_alu instid0(VALU_DEP_2) | instskip(NEXT) | instid1(VALU_DEP_2)
	v_add_f64 v[2:3], v[6:7], v[2:3]
	v_add_f64 v[4:5], v[8:9], v[4:5]
	s_delay_alu instid0(VALU_DEP_2) | instskip(NEXT) | instid1(VALU_DEP_2)
	v_add_f64 v[2:3], v[133:134], -v[2:3]
	v_add_f64 v[4:5], v[135:136], -v[4:5]
	scratch_store_b128 off, v[2:5], off offset:128
	v_cmpx_lt_u32_e32 7, v102
	s_cbranch_execz .LBB29_179
; %bb.178:
	scratch_load_b128 v[5:8], v123, off
	v_mov_b32_e32 v2, v1
	v_mov_b32_e32 v3, v1
	;; [unrolled: 1-line block ×3, first 2 shown]
	scratch_store_b128 off, v[1:4], off offset:112
	s_waitcnt vmcnt(0)
	ds_store_b128 v132, v[5:8]
.LBB29_179:
	s_or_b32 exec_lo, exec_lo, s2
	s_waitcnt lgkmcnt(0)
	s_waitcnt_vscnt null, 0x0
	s_barrier
	buffer_gl0_inv
	s_clause 0x8
	scratch_load_b128 v[2:5], off, off offset:128
	scratch_load_b128 v[6:9], off, off offset:144
	;; [unrolled: 1-line block ×9, first 2 shown]
	ds_load_b128 v[38:41], v1 offset:608
	ds_load_b128 v[133:136], v1 offset:624
	s_clause 0x1
	scratch_load_b128 v[137:140], off, off offset:112
	scratch_load_b128 v[141:144], off, off offset:272
	s_mov_b32 s2, exec_lo
	s_waitcnt vmcnt(10) lgkmcnt(1)
	v_mul_f64 v[145:146], v[40:41], v[4:5]
	v_mul_f64 v[4:5], v[38:39], v[4:5]
	s_waitcnt vmcnt(9) lgkmcnt(0)
	v_mul_f64 v[149:150], v[133:134], v[8:9]
	v_mul_f64 v[8:9], v[135:136], v[8:9]
	s_delay_alu instid0(VALU_DEP_4) | instskip(NEXT) | instid1(VALU_DEP_4)
	v_fma_f64 v[151:152], v[38:39], v[2:3], -v[145:146]
	v_fma_f64 v[153:154], v[40:41], v[2:3], v[4:5]
	ds_load_b128 v[2:5], v1 offset:640
	ds_load_b128 v[145:148], v1 offset:656
	scratch_load_b128 v[38:41], off, off offset:288
	v_fma_f64 v[135:136], v[135:136], v[6:7], v[149:150]
	v_fma_f64 v[133:134], v[133:134], v[6:7], -v[8:9]
	scratch_load_b128 v[6:9], off, off offset:304
	s_waitcnt vmcnt(10) lgkmcnt(1)
	v_mul_f64 v[155:156], v[2:3], v[12:13]
	v_mul_f64 v[12:13], v[4:5], v[12:13]
	v_add_f64 v[149:150], v[151:152], 0
	v_add_f64 v[151:152], v[153:154], 0
	s_waitcnt vmcnt(9) lgkmcnt(0)
	v_mul_f64 v[153:154], v[145:146], v[16:17]
	v_mul_f64 v[16:17], v[147:148], v[16:17]
	v_fma_f64 v[155:156], v[4:5], v[10:11], v[155:156]
	v_fma_f64 v[157:158], v[2:3], v[10:11], -v[12:13]
	ds_load_b128 v[2:5], v1 offset:672
	scratch_load_b128 v[10:13], off, off offset:320
	v_add_f64 v[149:150], v[149:150], v[133:134]
	v_add_f64 v[151:152], v[151:152], v[135:136]
	ds_load_b128 v[133:136], v1 offset:688
	v_fma_f64 v[147:148], v[147:148], v[14:15], v[153:154]
	v_fma_f64 v[145:146], v[145:146], v[14:15], -v[16:17]
	scratch_load_b128 v[14:17], off, off offset:336
	s_waitcnt vmcnt(10) lgkmcnt(1)
	v_mul_f64 v[159:160], v[2:3], v[20:21]
	v_mul_f64 v[20:21], v[4:5], v[20:21]
	s_waitcnt vmcnt(9) lgkmcnt(0)
	v_mul_f64 v[153:154], v[133:134], v[24:25]
	v_mul_f64 v[24:25], v[135:136], v[24:25]
	v_add_f64 v[149:150], v[149:150], v[157:158]
	v_add_f64 v[151:152], v[151:152], v[155:156]
	v_fma_f64 v[155:156], v[4:5], v[18:19], v[159:160]
	v_fma_f64 v[157:158], v[2:3], v[18:19], -v[20:21]
	ds_load_b128 v[2:5], v1 offset:704
	scratch_load_b128 v[18:21], off, off offset:352
	v_fma_f64 v[135:136], v[135:136], v[22:23], v[153:154]
	v_fma_f64 v[133:134], v[133:134], v[22:23], -v[24:25]
	scratch_load_b128 v[22:25], off, off offset:368
	v_add_f64 v[149:150], v[149:150], v[145:146]
	v_add_f64 v[151:152], v[151:152], v[147:148]
	ds_load_b128 v[145:148], v1 offset:720
	s_waitcnt vmcnt(10) lgkmcnt(1)
	v_mul_f64 v[159:160], v[2:3], v[28:29]
	v_mul_f64 v[28:29], v[4:5], v[28:29]
	s_waitcnt vmcnt(9) lgkmcnt(0)
	v_mul_f64 v[153:154], v[145:146], v[32:33]
	v_mul_f64 v[32:33], v[147:148], v[32:33]
	v_add_f64 v[149:150], v[149:150], v[157:158]
	v_add_f64 v[151:152], v[151:152], v[155:156]
	v_fma_f64 v[155:156], v[4:5], v[26:27], v[159:160]
	v_fma_f64 v[157:158], v[2:3], v[26:27], -v[28:29]
	ds_load_b128 v[2:5], v1 offset:736
	scratch_load_b128 v[26:29], off, off offset:384
	v_fma_f64 v[147:148], v[147:148], v[30:31], v[153:154]
	v_fma_f64 v[145:146], v[145:146], v[30:31], -v[32:33]
	scratch_load_b128 v[30:33], off, off offset:400
	v_add_f64 v[149:150], v[149:150], v[133:134]
	v_add_f64 v[151:152], v[151:152], v[135:136]
	ds_load_b128 v[133:136], v1 offset:752
	s_waitcnt vmcnt(10) lgkmcnt(1)
	v_mul_f64 v[159:160], v[2:3], v[36:37]
	v_mul_f64 v[36:37], v[4:5], v[36:37]
	s_waitcnt vmcnt(8) lgkmcnt(0)
	v_mul_f64 v[153:154], v[133:134], v[143:144]
	v_add_f64 v[149:150], v[149:150], v[157:158]
	v_add_f64 v[151:152], v[151:152], v[155:156]
	v_mul_f64 v[155:156], v[135:136], v[143:144]
	v_fma_f64 v[157:158], v[4:5], v[34:35], v[159:160]
	v_fma_f64 v[159:160], v[2:3], v[34:35], -v[36:37]
	ds_load_b128 v[2:5], v1 offset:768
	scratch_load_b128 v[34:37], off, off offset:416
	v_fma_f64 v[153:154], v[135:136], v[141:142], v[153:154]
	v_add_f64 v[149:150], v[149:150], v[145:146]
	v_add_f64 v[147:148], v[151:152], v[147:148]
	ds_load_b128 v[143:146], v1 offset:784
	v_fma_f64 v[141:142], v[133:134], v[141:142], -v[155:156]
	scratch_load_b128 v[133:136], off, off offset:432
	s_waitcnt vmcnt(9) lgkmcnt(1)
	v_mul_f64 v[151:152], v[2:3], v[40:41]
	v_mul_f64 v[40:41], v[4:5], v[40:41]
	s_waitcnt vmcnt(8) lgkmcnt(0)
	v_mul_f64 v[155:156], v[143:144], v[8:9]
	v_mul_f64 v[8:9], v[145:146], v[8:9]
	v_add_f64 v[149:150], v[149:150], v[159:160]
	v_add_f64 v[147:148], v[147:148], v[157:158]
	v_fma_f64 v[151:152], v[4:5], v[38:39], v[151:152]
	v_fma_f64 v[157:158], v[2:3], v[38:39], -v[40:41]
	ds_load_b128 v[2:5], v1 offset:800
	scratch_load_b128 v[38:41], off, off offset:448
	v_fma_f64 v[145:146], v[145:146], v[6:7], v[155:156]
	v_fma_f64 v[143:144], v[143:144], v[6:7], -v[8:9]
	scratch_load_b128 v[6:9], off, off offset:464
	v_add_f64 v[141:142], v[149:150], v[141:142]
	v_add_f64 v[153:154], v[147:148], v[153:154]
	ds_load_b128 v[147:150], v1 offset:816
	s_waitcnt vmcnt(9) lgkmcnt(1)
	v_mul_f64 v[159:160], v[2:3], v[12:13]
	v_mul_f64 v[12:13], v[4:5], v[12:13]
	v_add_f64 v[141:142], v[141:142], v[157:158]
	v_add_f64 v[151:152], v[153:154], v[151:152]
	s_waitcnt vmcnt(8) lgkmcnt(0)
	v_mul_f64 v[153:154], v[147:148], v[16:17]
	v_mul_f64 v[16:17], v[149:150], v[16:17]
	v_fma_f64 v[155:156], v[4:5], v[10:11], v[159:160]
	v_fma_f64 v[157:158], v[2:3], v[10:11], -v[12:13]
	ds_load_b128 v[2:5], v1 offset:832
	ds_load_b128 v[10:13], v1 offset:848
	v_add_f64 v[141:142], v[141:142], v[143:144]
	v_add_f64 v[143:144], v[151:152], v[145:146]
	s_waitcnt vmcnt(7) lgkmcnt(1)
	v_mul_f64 v[145:146], v[2:3], v[20:21]
	v_mul_f64 v[20:21], v[4:5], v[20:21]
	v_fma_f64 v[149:150], v[149:150], v[14:15], v[153:154]
	v_fma_f64 v[14:15], v[147:148], v[14:15], -v[16:17]
	v_add_f64 v[16:17], v[141:142], v[157:158]
	v_add_f64 v[141:142], v[143:144], v[155:156]
	s_waitcnt vmcnt(6) lgkmcnt(0)
	v_mul_f64 v[143:144], v[10:11], v[24:25]
	v_mul_f64 v[24:25], v[12:13], v[24:25]
	v_fma_f64 v[145:146], v[4:5], v[18:19], v[145:146]
	v_fma_f64 v[18:19], v[2:3], v[18:19], -v[20:21]
	v_add_f64 v[20:21], v[16:17], v[14:15]
	v_add_f64 v[141:142], v[141:142], v[149:150]
	ds_load_b128 v[2:5], v1 offset:864
	ds_load_b128 v[14:17], v1 offset:880
	v_fma_f64 v[12:13], v[12:13], v[22:23], v[143:144]
	v_fma_f64 v[10:11], v[10:11], v[22:23], -v[24:25]
	s_waitcnt vmcnt(5) lgkmcnt(1)
	v_mul_f64 v[147:148], v[2:3], v[28:29]
	v_mul_f64 v[28:29], v[4:5], v[28:29]
	s_waitcnt vmcnt(4) lgkmcnt(0)
	v_mul_f64 v[22:23], v[14:15], v[32:33]
	v_mul_f64 v[24:25], v[16:17], v[32:33]
	v_add_f64 v[18:19], v[20:21], v[18:19]
	v_add_f64 v[20:21], v[141:142], v[145:146]
	v_fma_f64 v[32:33], v[4:5], v[26:27], v[147:148]
	v_fma_f64 v[26:27], v[2:3], v[26:27], -v[28:29]
	v_fma_f64 v[16:17], v[16:17], v[30:31], v[22:23]
	v_fma_f64 v[14:15], v[14:15], v[30:31], -v[24:25]
	v_add_f64 v[18:19], v[18:19], v[10:11]
	v_add_f64 v[20:21], v[20:21], v[12:13]
	ds_load_b128 v[2:5], v1 offset:896
	ds_load_b128 v[10:13], v1 offset:912
	s_waitcnt vmcnt(3) lgkmcnt(1)
	v_mul_f64 v[28:29], v[2:3], v[36:37]
	v_mul_f64 v[36:37], v[4:5], v[36:37]
	s_waitcnt vmcnt(2) lgkmcnt(0)
	v_mul_f64 v[22:23], v[10:11], v[135:136]
	v_mul_f64 v[24:25], v[12:13], v[135:136]
	v_add_f64 v[18:19], v[18:19], v[26:27]
	v_add_f64 v[20:21], v[20:21], v[32:33]
	v_fma_f64 v[26:27], v[4:5], v[34:35], v[28:29]
	v_fma_f64 v[28:29], v[2:3], v[34:35], -v[36:37]
	v_fma_f64 v[12:13], v[12:13], v[133:134], v[22:23]
	v_fma_f64 v[10:11], v[10:11], v[133:134], -v[24:25]
	v_add_f64 v[18:19], v[18:19], v[14:15]
	v_add_f64 v[20:21], v[20:21], v[16:17]
	ds_load_b128 v[2:5], v1 offset:928
	ds_load_b128 v[14:17], v1 offset:944
	s_waitcnt vmcnt(1) lgkmcnt(1)
	v_mul_f64 v[30:31], v[2:3], v[40:41]
	v_mul_f64 v[32:33], v[4:5], v[40:41]
	s_waitcnt vmcnt(0) lgkmcnt(0)
	v_mul_f64 v[22:23], v[14:15], v[8:9]
	v_mul_f64 v[8:9], v[16:17], v[8:9]
	v_add_f64 v[18:19], v[18:19], v[28:29]
	v_add_f64 v[20:21], v[20:21], v[26:27]
	v_fma_f64 v[4:5], v[4:5], v[38:39], v[30:31]
	v_fma_f64 v[1:2], v[2:3], v[38:39], -v[32:33]
	v_fma_f64 v[16:17], v[16:17], v[6:7], v[22:23]
	v_fma_f64 v[6:7], v[14:15], v[6:7], -v[8:9]
	v_add_f64 v[10:11], v[18:19], v[10:11]
	v_add_f64 v[12:13], v[20:21], v[12:13]
	s_delay_alu instid0(VALU_DEP_2) | instskip(NEXT) | instid1(VALU_DEP_2)
	v_add_f64 v[1:2], v[10:11], v[1:2]
	v_add_f64 v[3:4], v[12:13], v[4:5]
	s_delay_alu instid0(VALU_DEP_2) | instskip(NEXT) | instid1(VALU_DEP_2)
	;; [unrolled: 3-line block ×3, first 2 shown]
	v_add_f64 v[1:2], v[137:138], -v[1:2]
	v_add_f64 v[3:4], v[139:140], -v[3:4]
	scratch_store_b128 off, v[1:4], off offset:112
	v_cmpx_lt_u32_e32 6, v102
	s_cbranch_execz .LBB29_181
; %bb.180:
	scratch_load_b128 v[1:4], v122, off
	v_mov_b32_e32 v5, 0
	s_delay_alu instid0(VALU_DEP_1)
	v_mov_b32_e32 v6, v5
	v_mov_b32_e32 v7, v5
	;; [unrolled: 1-line block ×3, first 2 shown]
	scratch_store_b128 off, v[5:8], off offset:96
	s_waitcnt vmcnt(0)
	ds_store_b128 v132, v[1:4]
.LBB29_181:
	s_or_b32 exec_lo, exec_lo, s2
	s_waitcnt lgkmcnt(0)
	s_waitcnt_vscnt null, 0x0
	s_barrier
	buffer_gl0_inv
	s_clause 0x7
	scratch_load_b128 v[2:5], off, off offset:112
	scratch_load_b128 v[6:9], off, off offset:128
	;; [unrolled: 1-line block ×8, first 2 shown]
	v_mov_b32_e32 v1, 0
	s_mov_b32 s2, exec_lo
	ds_load_b128 v[34:37], v1 offset:592
	s_clause 0x1
	scratch_load_b128 v[38:41], off, off offset:240
	scratch_load_b128 v[133:136], off, off offset:96
	ds_load_b128 v[137:140], v1 offset:608
	scratch_load_b128 v[141:144], off, off offset:256
	s_waitcnt vmcnt(10) lgkmcnt(1)
	v_mul_f64 v[145:146], v[36:37], v[4:5]
	v_mul_f64 v[4:5], v[34:35], v[4:5]
	s_delay_alu instid0(VALU_DEP_2) | instskip(NEXT) | instid1(VALU_DEP_2)
	v_fma_f64 v[151:152], v[34:35], v[2:3], -v[145:146]
	v_fma_f64 v[153:154], v[36:37], v[2:3], v[4:5]
	scratch_load_b128 v[34:37], off, off offset:272
	ds_load_b128 v[2:5], v1 offset:624
	s_waitcnt vmcnt(10) lgkmcnt(1)
	v_mul_f64 v[149:150], v[137:138], v[8:9]
	v_mul_f64 v[8:9], v[139:140], v[8:9]
	ds_load_b128 v[145:148], v1 offset:640
	s_waitcnt vmcnt(9) lgkmcnt(1)
	v_mul_f64 v[155:156], v[2:3], v[12:13]
	v_mul_f64 v[12:13], v[4:5], v[12:13]
	v_fma_f64 v[139:140], v[139:140], v[6:7], v[149:150]
	v_fma_f64 v[137:138], v[137:138], v[6:7], -v[8:9]
	v_add_f64 v[149:150], v[151:152], 0
	v_add_f64 v[151:152], v[153:154], 0
	scratch_load_b128 v[6:9], off, off offset:288
	v_fma_f64 v[155:156], v[4:5], v[10:11], v[155:156]
	v_fma_f64 v[157:158], v[2:3], v[10:11], -v[12:13]
	scratch_load_b128 v[10:13], off, off offset:304
	ds_load_b128 v[2:5], v1 offset:656
	s_waitcnt vmcnt(10) lgkmcnt(1)
	v_mul_f64 v[153:154], v[145:146], v[16:17]
	v_mul_f64 v[16:17], v[147:148], v[16:17]
	v_add_f64 v[149:150], v[149:150], v[137:138]
	v_add_f64 v[151:152], v[151:152], v[139:140]
	s_waitcnt vmcnt(9) lgkmcnt(0)
	v_mul_f64 v[159:160], v[2:3], v[20:21]
	v_mul_f64 v[20:21], v[4:5], v[20:21]
	ds_load_b128 v[137:140], v1 offset:672
	v_fma_f64 v[147:148], v[147:148], v[14:15], v[153:154]
	v_fma_f64 v[145:146], v[145:146], v[14:15], -v[16:17]
	scratch_load_b128 v[14:17], off, off offset:320
	v_add_f64 v[149:150], v[149:150], v[157:158]
	v_add_f64 v[151:152], v[151:152], v[155:156]
	v_fma_f64 v[155:156], v[4:5], v[18:19], v[159:160]
	v_fma_f64 v[157:158], v[2:3], v[18:19], -v[20:21]
	scratch_load_b128 v[18:21], off, off offset:336
	ds_load_b128 v[2:5], v1 offset:688
	s_waitcnt vmcnt(10) lgkmcnt(1)
	v_mul_f64 v[153:154], v[137:138], v[24:25]
	v_mul_f64 v[24:25], v[139:140], v[24:25]
	s_waitcnt vmcnt(9) lgkmcnt(0)
	v_mul_f64 v[159:160], v[2:3], v[28:29]
	v_mul_f64 v[28:29], v[4:5], v[28:29]
	v_add_f64 v[149:150], v[149:150], v[145:146]
	v_add_f64 v[151:152], v[151:152], v[147:148]
	ds_load_b128 v[145:148], v1 offset:704
	v_fma_f64 v[139:140], v[139:140], v[22:23], v[153:154]
	v_fma_f64 v[137:138], v[137:138], v[22:23], -v[24:25]
	scratch_load_b128 v[22:25], off, off offset:352
	v_add_f64 v[149:150], v[149:150], v[157:158]
	v_add_f64 v[151:152], v[151:152], v[155:156]
	v_fma_f64 v[155:156], v[4:5], v[26:27], v[159:160]
	v_fma_f64 v[157:158], v[2:3], v[26:27], -v[28:29]
	scratch_load_b128 v[26:29], off, off offset:368
	ds_load_b128 v[2:5], v1 offset:720
	s_waitcnt vmcnt(10) lgkmcnt(1)
	v_mul_f64 v[153:154], v[145:146], v[32:33]
	v_mul_f64 v[32:33], v[147:148], v[32:33]
	s_waitcnt vmcnt(9) lgkmcnt(0)
	v_mul_f64 v[159:160], v[2:3], v[40:41]
	v_mul_f64 v[40:41], v[4:5], v[40:41]
	v_add_f64 v[149:150], v[149:150], v[137:138]
	v_add_f64 v[151:152], v[151:152], v[139:140]
	ds_load_b128 v[137:140], v1 offset:736
	v_fma_f64 v[147:148], v[147:148], v[30:31], v[153:154]
	v_fma_f64 v[145:146], v[145:146], v[30:31], -v[32:33]
	scratch_load_b128 v[30:33], off, off offset:384
	v_add_f64 v[149:150], v[149:150], v[157:158]
	v_add_f64 v[151:152], v[151:152], v[155:156]
	v_fma_f64 v[157:158], v[4:5], v[38:39], v[159:160]
	v_fma_f64 v[159:160], v[2:3], v[38:39], -v[40:41]
	scratch_load_b128 v[38:41], off, off offset:400
	ds_load_b128 v[2:5], v1 offset:752
	s_waitcnt vmcnt(9) lgkmcnt(1)
	v_mul_f64 v[153:154], v[137:138], v[143:144]
	v_mul_f64 v[155:156], v[139:140], v[143:144]
	v_add_f64 v[149:150], v[149:150], v[145:146]
	v_add_f64 v[147:148], v[151:152], v[147:148]
	ds_load_b128 v[143:146], v1 offset:768
	v_fma_f64 v[153:154], v[139:140], v[141:142], v[153:154]
	v_fma_f64 v[141:142], v[137:138], v[141:142], -v[155:156]
	scratch_load_b128 v[137:140], off, off offset:416
	s_waitcnt vmcnt(9) lgkmcnt(1)
	v_mul_f64 v[151:152], v[2:3], v[36:37]
	v_mul_f64 v[36:37], v[4:5], v[36:37]
	v_add_f64 v[149:150], v[149:150], v[159:160]
	v_add_f64 v[147:148], v[147:148], v[157:158]
	s_delay_alu instid0(VALU_DEP_4) | instskip(NEXT) | instid1(VALU_DEP_4)
	v_fma_f64 v[151:152], v[4:5], v[34:35], v[151:152]
	v_fma_f64 v[157:158], v[2:3], v[34:35], -v[36:37]
	scratch_load_b128 v[34:37], off, off offset:432
	ds_load_b128 v[2:5], v1 offset:784
	s_waitcnt vmcnt(9) lgkmcnt(1)
	v_mul_f64 v[155:156], v[143:144], v[8:9]
	v_mul_f64 v[8:9], v[145:146], v[8:9]
	s_waitcnt vmcnt(8) lgkmcnt(0)
	v_mul_f64 v[159:160], v[2:3], v[12:13]
	v_mul_f64 v[12:13], v[4:5], v[12:13]
	v_add_f64 v[141:142], v[149:150], v[141:142]
	v_add_f64 v[153:154], v[147:148], v[153:154]
	ds_load_b128 v[147:150], v1 offset:800
	v_fma_f64 v[145:146], v[145:146], v[6:7], v[155:156]
	v_fma_f64 v[143:144], v[143:144], v[6:7], -v[8:9]
	scratch_load_b128 v[6:9], off, off offset:448
	v_fma_f64 v[155:156], v[4:5], v[10:11], v[159:160]
	v_add_f64 v[141:142], v[141:142], v[157:158]
	v_add_f64 v[151:152], v[153:154], v[151:152]
	v_fma_f64 v[157:158], v[2:3], v[10:11], -v[12:13]
	scratch_load_b128 v[10:13], off, off offset:464
	ds_load_b128 v[2:5], v1 offset:816
	s_waitcnt vmcnt(9) lgkmcnt(1)
	v_mul_f64 v[153:154], v[147:148], v[16:17]
	v_mul_f64 v[16:17], v[149:150], v[16:17]
	v_add_f64 v[159:160], v[141:142], v[143:144]
	v_add_f64 v[145:146], v[151:152], v[145:146]
	s_waitcnt vmcnt(8) lgkmcnt(0)
	v_mul_f64 v[151:152], v[2:3], v[20:21]
	v_mul_f64 v[20:21], v[4:5], v[20:21]
	ds_load_b128 v[141:144], v1 offset:832
	v_fma_f64 v[149:150], v[149:150], v[14:15], v[153:154]
	v_fma_f64 v[14:15], v[147:148], v[14:15], -v[16:17]
	s_waitcnt vmcnt(7) lgkmcnt(0)
	v_mul_f64 v[147:148], v[141:142], v[24:25]
	v_mul_f64 v[24:25], v[143:144], v[24:25]
	v_add_f64 v[16:17], v[159:160], v[157:158]
	v_add_f64 v[145:146], v[145:146], v[155:156]
	v_fma_f64 v[151:152], v[4:5], v[18:19], v[151:152]
	v_fma_f64 v[18:19], v[2:3], v[18:19], -v[20:21]
	v_fma_f64 v[143:144], v[143:144], v[22:23], v[147:148]
	v_fma_f64 v[22:23], v[141:142], v[22:23], -v[24:25]
	v_add_f64 v[20:21], v[16:17], v[14:15]
	v_add_f64 v[145:146], v[145:146], v[149:150]
	ds_load_b128 v[2:5], v1 offset:848
	ds_load_b128 v[14:17], v1 offset:864
	s_waitcnt vmcnt(6) lgkmcnt(1)
	v_mul_f64 v[149:150], v[2:3], v[28:29]
	v_mul_f64 v[28:29], v[4:5], v[28:29]
	s_waitcnt vmcnt(5) lgkmcnt(0)
	v_mul_f64 v[24:25], v[14:15], v[32:33]
	v_mul_f64 v[32:33], v[16:17], v[32:33]
	v_add_f64 v[18:19], v[20:21], v[18:19]
	v_add_f64 v[20:21], v[145:146], v[151:152]
	v_fma_f64 v[141:142], v[4:5], v[26:27], v[149:150]
	v_fma_f64 v[26:27], v[2:3], v[26:27], -v[28:29]
	v_fma_f64 v[16:17], v[16:17], v[30:31], v[24:25]
	v_fma_f64 v[14:15], v[14:15], v[30:31], -v[32:33]
	v_add_f64 v[22:23], v[18:19], v[22:23]
	v_add_f64 v[28:29], v[20:21], v[143:144]
	ds_load_b128 v[2:5], v1 offset:880
	ds_load_b128 v[18:21], v1 offset:896
	s_waitcnt vmcnt(4) lgkmcnt(1)
	v_mul_f64 v[143:144], v[2:3], v[40:41]
	v_mul_f64 v[40:41], v[4:5], v[40:41]
	v_add_f64 v[22:23], v[22:23], v[26:27]
	v_add_f64 v[24:25], v[28:29], v[141:142]
	s_waitcnt vmcnt(3) lgkmcnt(0)
	v_mul_f64 v[26:27], v[18:19], v[139:140]
	v_mul_f64 v[28:29], v[20:21], v[139:140]
	v_fma_f64 v[30:31], v[4:5], v[38:39], v[143:144]
	v_fma_f64 v[32:33], v[2:3], v[38:39], -v[40:41]
	v_add_f64 v[22:23], v[22:23], v[14:15]
	v_add_f64 v[24:25], v[24:25], v[16:17]
	ds_load_b128 v[2:5], v1 offset:912
	ds_load_b128 v[14:17], v1 offset:928
	v_fma_f64 v[20:21], v[20:21], v[137:138], v[26:27]
	v_fma_f64 v[18:19], v[18:19], v[137:138], -v[28:29]
	s_waitcnt vmcnt(2) lgkmcnt(1)
	v_mul_f64 v[38:39], v[2:3], v[36:37]
	v_mul_f64 v[36:37], v[4:5], v[36:37]
	s_waitcnt vmcnt(1) lgkmcnt(0)
	v_mul_f64 v[26:27], v[14:15], v[8:9]
	v_mul_f64 v[8:9], v[16:17], v[8:9]
	v_add_f64 v[22:23], v[22:23], v[32:33]
	v_add_f64 v[24:25], v[24:25], v[30:31]
	v_fma_f64 v[28:29], v[4:5], v[34:35], v[38:39]
	v_fma_f64 v[30:31], v[2:3], v[34:35], -v[36:37]
	ds_load_b128 v[2:5], v1 offset:944
	v_fma_f64 v[16:17], v[16:17], v[6:7], v[26:27]
	v_fma_f64 v[6:7], v[14:15], v[6:7], -v[8:9]
	v_add_f64 v[18:19], v[22:23], v[18:19]
	v_add_f64 v[20:21], v[24:25], v[20:21]
	s_waitcnt vmcnt(0) lgkmcnt(0)
	v_mul_f64 v[22:23], v[2:3], v[12:13]
	v_mul_f64 v[12:13], v[4:5], v[12:13]
	s_delay_alu instid0(VALU_DEP_4) | instskip(NEXT) | instid1(VALU_DEP_4)
	v_add_f64 v[8:9], v[18:19], v[30:31]
	v_add_f64 v[14:15], v[20:21], v[28:29]
	s_delay_alu instid0(VALU_DEP_4) | instskip(NEXT) | instid1(VALU_DEP_4)
	v_fma_f64 v[4:5], v[4:5], v[10:11], v[22:23]
	v_fma_f64 v[2:3], v[2:3], v[10:11], -v[12:13]
	s_delay_alu instid0(VALU_DEP_4) | instskip(NEXT) | instid1(VALU_DEP_4)
	v_add_f64 v[6:7], v[8:9], v[6:7]
	v_add_f64 v[8:9], v[14:15], v[16:17]
	s_delay_alu instid0(VALU_DEP_2) | instskip(NEXT) | instid1(VALU_DEP_2)
	v_add_f64 v[2:3], v[6:7], v[2:3]
	v_add_f64 v[4:5], v[8:9], v[4:5]
	s_delay_alu instid0(VALU_DEP_2) | instskip(NEXT) | instid1(VALU_DEP_2)
	v_add_f64 v[2:3], v[133:134], -v[2:3]
	v_add_f64 v[4:5], v[135:136], -v[4:5]
	scratch_store_b128 off, v[2:5], off offset:96
	v_cmpx_lt_u32_e32 5, v102
	s_cbranch_execz .LBB29_183
; %bb.182:
	scratch_load_b128 v[5:8], v124, off
	v_mov_b32_e32 v2, v1
	v_mov_b32_e32 v3, v1
	;; [unrolled: 1-line block ×3, first 2 shown]
	scratch_store_b128 off, v[1:4], off offset:80
	s_waitcnt vmcnt(0)
	ds_store_b128 v132, v[5:8]
.LBB29_183:
	s_or_b32 exec_lo, exec_lo, s2
	s_waitcnt lgkmcnt(0)
	s_waitcnt_vscnt null, 0x0
	s_barrier
	buffer_gl0_inv
	s_clause 0x8
	scratch_load_b128 v[2:5], off, off offset:96
	scratch_load_b128 v[6:9], off, off offset:112
	;; [unrolled: 1-line block ×9, first 2 shown]
	ds_load_b128 v[38:41], v1 offset:576
	ds_load_b128 v[133:136], v1 offset:592
	s_clause 0x1
	scratch_load_b128 v[137:140], off, off offset:80
	scratch_load_b128 v[141:144], off, off offset:240
	s_mov_b32 s2, exec_lo
	s_waitcnt vmcnt(10) lgkmcnt(1)
	v_mul_f64 v[145:146], v[40:41], v[4:5]
	v_mul_f64 v[4:5], v[38:39], v[4:5]
	s_waitcnt vmcnt(9) lgkmcnt(0)
	v_mul_f64 v[149:150], v[133:134], v[8:9]
	v_mul_f64 v[8:9], v[135:136], v[8:9]
	s_delay_alu instid0(VALU_DEP_4) | instskip(NEXT) | instid1(VALU_DEP_4)
	v_fma_f64 v[151:152], v[38:39], v[2:3], -v[145:146]
	v_fma_f64 v[153:154], v[40:41], v[2:3], v[4:5]
	ds_load_b128 v[2:5], v1 offset:608
	ds_load_b128 v[145:148], v1 offset:624
	scratch_load_b128 v[38:41], off, off offset:256
	v_fma_f64 v[135:136], v[135:136], v[6:7], v[149:150]
	v_fma_f64 v[133:134], v[133:134], v[6:7], -v[8:9]
	scratch_load_b128 v[6:9], off, off offset:272
	s_waitcnt vmcnt(10) lgkmcnt(1)
	v_mul_f64 v[155:156], v[2:3], v[12:13]
	v_mul_f64 v[12:13], v[4:5], v[12:13]
	v_add_f64 v[149:150], v[151:152], 0
	v_add_f64 v[151:152], v[153:154], 0
	s_waitcnt vmcnt(9) lgkmcnt(0)
	v_mul_f64 v[153:154], v[145:146], v[16:17]
	v_mul_f64 v[16:17], v[147:148], v[16:17]
	v_fma_f64 v[155:156], v[4:5], v[10:11], v[155:156]
	v_fma_f64 v[157:158], v[2:3], v[10:11], -v[12:13]
	ds_load_b128 v[2:5], v1 offset:640
	scratch_load_b128 v[10:13], off, off offset:288
	v_add_f64 v[149:150], v[149:150], v[133:134]
	v_add_f64 v[151:152], v[151:152], v[135:136]
	ds_load_b128 v[133:136], v1 offset:656
	v_fma_f64 v[147:148], v[147:148], v[14:15], v[153:154]
	v_fma_f64 v[145:146], v[145:146], v[14:15], -v[16:17]
	scratch_load_b128 v[14:17], off, off offset:304
	s_waitcnt vmcnt(10) lgkmcnt(1)
	v_mul_f64 v[159:160], v[2:3], v[20:21]
	v_mul_f64 v[20:21], v[4:5], v[20:21]
	s_waitcnt vmcnt(9) lgkmcnt(0)
	v_mul_f64 v[153:154], v[133:134], v[24:25]
	v_mul_f64 v[24:25], v[135:136], v[24:25]
	v_add_f64 v[149:150], v[149:150], v[157:158]
	v_add_f64 v[151:152], v[151:152], v[155:156]
	v_fma_f64 v[155:156], v[4:5], v[18:19], v[159:160]
	v_fma_f64 v[157:158], v[2:3], v[18:19], -v[20:21]
	ds_load_b128 v[2:5], v1 offset:672
	scratch_load_b128 v[18:21], off, off offset:320
	v_fma_f64 v[135:136], v[135:136], v[22:23], v[153:154]
	v_fma_f64 v[133:134], v[133:134], v[22:23], -v[24:25]
	scratch_load_b128 v[22:25], off, off offset:336
	v_add_f64 v[149:150], v[149:150], v[145:146]
	v_add_f64 v[151:152], v[151:152], v[147:148]
	ds_load_b128 v[145:148], v1 offset:688
	s_waitcnt vmcnt(10) lgkmcnt(1)
	v_mul_f64 v[159:160], v[2:3], v[28:29]
	v_mul_f64 v[28:29], v[4:5], v[28:29]
	s_waitcnt vmcnt(9) lgkmcnt(0)
	v_mul_f64 v[153:154], v[145:146], v[32:33]
	v_mul_f64 v[32:33], v[147:148], v[32:33]
	v_add_f64 v[149:150], v[149:150], v[157:158]
	v_add_f64 v[151:152], v[151:152], v[155:156]
	v_fma_f64 v[155:156], v[4:5], v[26:27], v[159:160]
	v_fma_f64 v[157:158], v[2:3], v[26:27], -v[28:29]
	ds_load_b128 v[2:5], v1 offset:704
	scratch_load_b128 v[26:29], off, off offset:352
	v_fma_f64 v[147:148], v[147:148], v[30:31], v[153:154]
	v_fma_f64 v[145:146], v[145:146], v[30:31], -v[32:33]
	scratch_load_b128 v[30:33], off, off offset:368
	v_add_f64 v[149:150], v[149:150], v[133:134]
	v_add_f64 v[151:152], v[151:152], v[135:136]
	ds_load_b128 v[133:136], v1 offset:720
	s_waitcnt vmcnt(10) lgkmcnt(1)
	v_mul_f64 v[159:160], v[2:3], v[36:37]
	v_mul_f64 v[36:37], v[4:5], v[36:37]
	s_waitcnt vmcnt(8) lgkmcnt(0)
	v_mul_f64 v[153:154], v[133:134], v[143:144]
	v_add_f64 v[149:150], v[149:150], v[157:158]
	v_add_f64 v[151:152], v[151:152], v[155:156]
	v_mul_f64 v[155:156], v[135:136], v[143:144]
	v_fma_f64 v[157:158], v[4:5], v[34:35], v[159:160]
	v_fma_f64 v[159:160], v[2:3], v[34:35], -v[36:37]
	ds_load_b128 v[2:5], v1 offset:736
	scratch_load_b128 v[34:37], off, off offset:384
	v_fma_f64 v[153:154], v[135:136], v[141:142], v[153:154]
	v_add_f64 v[149:150], v[149:150], v[145:146]
	v_add_f64 v[147:148], v[151:152], v[147:148]
	ds_load_b128 v[143:146], v1 offset:752
	v_fma_f64 v[141:142], v[133:134], v[141:142], -v[155:156]
	scratch_load_b128 v[133:136], off, off offset:400
	s_waitcnt vmcnt(9) lgkmcnt(1)
	v_mul_f64 v[151:152], v[2:3], v[40:41]
	v_mul_f64 v[40:41], v[4:5], v[40:41]
	s_waitcnt vmcnt(8) lgkmcnt(0)
	v_mul_f64 v[155:156], v[143:144], v[8:9]
	v_mul_f64 v[8:9], v[145:146], v[8:9]
	v_add_f64 v[149:150], v[149:150], v[159:160]
	v_add_f64 v[147:148], v[147:148], v[157:158]
	v_fma_f64 v[151:152], v[4:5], v[38:39], v[151:152]
	v_fma_f64 v[157:158], v[2:3], v[38:39], -v[40:41]
	ds_load_b128 v[2:5], v1 offset:768
	scratch_load_b128 v[38:41], off, off offset:416
	v_fma_f64 v[145:146], v[145:146], v[6:7], v[155:156]
	v_fma_f64 v[143:144], v[143:144], v[6:7], -v[8:9]
	scratch_load_b128 v[6:9], off, off offset:432
	v_add_f64 v[141:142], v[149:150], v[141:142]
	v_add_f64 v[153:154], v[147:148], v[153:154]
	ds_load_b128 v[147:150], v1 offset:784
	s_waitcnt vmcnt(9) lgkmcnt(1)
	v_mul_f64 v[159:160], v[2:3], v[12:13]
	v_mul_f64 v[12:13], v[4:5], v[12:13]
	v_add_f64 v[141:142], v[141:142], v[157:158]
	v_add_f64 v[151:152], v[153:154], v[151:152]
	s_waitcnt vmcnt(8) lgkmcnt(0)
	v_mul_f64 v[153:154], v[147:148], v[16:17]
	v_mul_f64 v[16:17], v[149:150], v[16:17]
	v_fma_f64 v[155:156], v[4:5], v[10:11], v[159:160]
	v_fma_f64 v[157:158], v[2:3], v[10:11], -v[12:13]
	ds_load_b128 v[2:5], v1 offset:800
	scratch_load_b128 v[10:13], off, off offset:448
	v_add_f64 v[159:160], v[141:142], v[143:144]
	v_add_f64 v[145:146], v[151:152], v[145:146]
	ds_load_b128 v[141:144], v1 offset:816
	s_waitcnt vmcnt(8) lgkmcnt(1)
	v_mul_f64 v[151:152], v[2:3], v[20:21]
	v_mul_f64 v[20:21], v[4:5], v[20:21]
	v_fma_f64 v[149:150], v[149:150], v[14:15], v[153:154]
	v_fma_f64 v[147:148], v[147:148], v[14:15], -v[16:17]
	scratch_load_b128 v[14:17], off, off offset:464
	v_add_f64 v[153:154], v[159:160], v[157:158]
	v_add_f64 v[145:146], v[145:146], v[155:156]
	s_waitcnt vmcnt(8) lgkmcnt(0)
	v_mul_f64 v[155:156], v[141:142], v[24:25]
	v_mul_f64 v[24:25], v[143:144], v[24:25]
	v_fma_f64 v[151:152], v[4:5], v[18:19], v[151:152]
	v_fma_f64 v[157:158], v[2:3], v[18:19], -v[20:21]
	ds_load_b128 v[2:5], v1 offset:832
	ds_load_b128 v[18:21], v1 offset:848
	v_add_f64 v[147:148], v[153:154], v[147:148]
	v_add_f64 v[145:146], v[145:146], v[149:150]
	s_waitcnt vmcnt(7) lgkmcnt(1)
	v_mul_f64 v[149:150], v[2:3], v[28:29]
	v_mul_f64 v[28:29], v[4:5], v[28:29]
	v_fma_f64 v[143:144], v[143:144], v[22:23], v[155:156]
	v_fma_f64 v[22:23], v[141:142], v[22:23], -v[24:25]
	v_add_f64 v[24:25], v[147:148], v[157:158]
	v_add_f64 v[141:142], v[145:146], v[151:152]
	s_waitcnt vmcnt(6) lgkmcnt(0)
	v_mul_f64 v[145:146], v[18:19], v[32:33]
	v_mul_f64 v[32:33], v[20:21], v[32:33]
	v_fma_f64 v[147:148], v[4:5], v[26:27], v[149:150]
	v_fma_f64 v[26:27], v[2:3], v[26:27], -v[28:29]
	v_add_f64 v[28:29], v[24:25], v[22:23]
	v_add_f64 v[141:142], v[141:142], v[143:144]
	ds_load_b128 v[2:5], v1 offset:864
	ds_load_b128 v[22:25], v1 offset:880
	v_fma_f64 v[20:21], v[20:21], v[30:31], v[145:146]
	v_fma_f64 v[18:19], v[18:19], v[30:31], -v[32:33]
	s_waitcnt vmcnt(5) lgkmcnt(1)
	v_mul_f64 v[143:144], v[2:3], v[36:37]
	v_mul_f64 v[36:37], v[4:5], v[36:37]
	s_waitcnt vmcnt(4) lgkmcnt(0)
	v_mul_f64 v[30:31], v[22:23], v[135:136]
	v_mul_f64 v[32:33], v[24:25], v[135:136]
	v_add_f64 v[26:27], v[28:29], v[26:27]
	v_add_f64 v[28:29], v[141:142], v[147:148]
	v_fma_f64 v[135:136], v[4:5], v[34:35], v[143:144]
	v_fma_f64 v[34:35], v[2:3], v[34:35], -v[36:37]
	v_fma_f64 v[24:25], v[24:25], v[133:134], v[30:31]
	v_fma_f64 v[22:23], v[22:23], v[133:134], -v[32:33]
	v_add_f64 v[26:27], v[26:27], v[18:19]
	v_add_f64 v[28:29], v[28:29], v[20:21]
	ds_load_b128 v[2:5], v1 offset:896
	ds_load_b128 v[18:21], v1 offset:912
	s_waitcnt vmcnt(3) lgkmcnt(1)
	v_mul_f64 v[36:37], v[2:3], v[40:41]
	v_mul_f64 v[40:41], v[4:5], v[40:41]
	s_waitcnt vmcnt(2) lgkmcnt(0)
	v_mul_f64 v[30:31], v[18:19], v[8:9]
	v_mul_f64 v[8:9], v[20:21], v[8:9]
	v_add_f64 v[26:27], v[26:27], v[34:35]
	v_add_f64 v[28:29], v[28:29], v[135:136]
	v_fma_f64 v[32:33], v[4:5], v[38:39], v[36:37]
	v_fma_f64 v[34:35], v[2:3], v[38:39], -v[40:41]
	v_fma_f64 v[20:21], v[20:21], v[6:7], v[30:31]
	v_fma_f64 v[6:7], v[18:19], v[6:7], -v[8:9]
	v_add_f64 v[26:27], v[26:27], v[22:23]
	v_add_f64 v[28:29], v[28:29], v[24:25]
	ds_load_b128 v[2:5], v1 offset:928
	ds_load_b128 v[22:25], v1 offset:944
	s_waitcnt vmcnt(1) lgkmcnt(1)
	v_mul_f64 v[36:37], v[2:3], v[12:13]
	v_mul_f64 v[12:13], v[4:5], v[12:13]
	v_add_f64 v[8:9], v[26:27], v[34:35]
	v_add_f64 v[18:19], v[28:29], v[32:33]
	s_waitcnt vmcnt(0) lgkmcnt(0)
	v_mul_f64 v[26:27], v[22:23], v[16:17]
	v_mul_f64 v[16:17], v[24:25], v[16:17]
	v_fma_f64 v[4:5], v[4:5], v[10:11], v[36:37]
	v_fma_f64 v[1:2], v[2:3], v[10:11], -v[12:13]
	v_add_f64 v[6:7], v[8:9], v[6:7]
	v_add_f64 v[8:9], v[18:19], v[20:21]
	v_fma_f64 v[10:11], v[24:25], v[14:15], v[26:27]
	v_fma_f64 v[12:13], v[22:23], v[14:15], -v[16:17]
	s_delay_alu instid0(VALU_DEP_4) | instskip(NEXT) | instid1(VALU_DEP_4)
	v_add_f64 v[1:2], v[6:7], v[1:2]
	v_add_f64 v[3:4], v[8:9], v[4:5]
	s_delay_alu instid0(VALU_DEP_2) | instskip(NEXT) | instid1(VALU_DEP_2)
	v_add_f64 v[1:2], v[1:2], v[12:13]
	v_add_f64 v[3:4], v[3:4], v[10:11]
	s_delay_alu instid0(VALU_DEP_2) | instskip(NEXT) | instid1(VALU_DEP_2)
	v_add_f64 v[1:2], v[137:138], -v[1:2]
	v_add_f64 v[3:4], v[139:140], -v[3:4]
	scratch_store_b128 off, v[1:4], off offset:80
	v_cmpx_lt_u32_e32 4, v102
	s_cbranch_execz .LBB29_185
; %bb.184:
	scratch_load_b128 v[1:4], v103, off
	v_mov_b32_e32 v5, 0
	s_delay_alu instid0(VALU_DEP_1)
	v_mov_b32_e32 v6, v5
	v_mov_b32_e32 v7, v5
	;; [unrolled: 1-line block ×3, first 2 shown]
	scratch_store_b128 off, v[5:8], off offset:64
	s_waitcnt vmcnt(0)
	ds_store_b128 v132, v[1:4]
.LBB29_185:
	s_or_b32 exec_lo, exec_lo, s2
	s_waitcnt lgkmcnt(0)
	s_waitcnt_vscnt null, 0x0
	s_barrier
	buffer_gl0_inv
	s_clause 0x7
	scratch_load_b128 v[2:5], off, off offset:80
	scratch_load_b128 v[6:9], off, off offset:96
	;; [unrolled: 1-line block ×8, first 2 shown]
	v_mov_b32_e32 v1, 0
	s_mov_b32 s2, exec_lo
	ds_load_b128 v[34:37], v1 offset:560
	s_clause 0x1
	scratch_load_b128 v[38:41], off, off offset:208
	scratch_load_b128 v[133:136], off, off offset:64
	ds_load_b128 v[137:140], v1 offset:576
	scratch_load_b128 v[141:144], off, off offset:224
	s_waitcnt vmcnt(10) lgkmcnt(1)
	v_mul_f64 v[145:146], v[36:37], v[4:5]
	v_mul_f64 v[4:5], v[34:35], v[4:5]
	s_delay_alu instid0(VALU_DEP_2) | instskip(NEXT) | instid1(VALU_DEP_2)
	v_fma_f64 v[151:152], v[34:35], v[2:3], -v[145:146]
	v_fma_f64 v[153:154], v[36:37], v[2:3], v[4:5]
	scratch_load_b128 v[34:37], off, off offset:240
	ds_load_b128 v[2:5], v1 offset:592
	s_waitcnt vmcnt(10) lgkmcnt(1)
	v_mul_f64 v[149:150], v[137:138], v[8:9]
	v_mul_f64 v[8:9], v[139:140], v[8:9]
	ds_load_b128 v[145:148], v1 offset:608
	s_waitcnt vmcnt(9) lgkmcnt(1)
	v_mul_f64 v[155:156], v[2:3], v[12:13]
	v_mul_f64 v[12:13], v[4:5], v[12:13]
	v_fma_f64 v[139:140], v[139:140], v[6:7], v[149:150]
	v_fma_f64 v[137:138], v[137:138], v[6:7], -v[8:9]
	v_add_f64 v[149:150], v[151:152], 0
	v_add_f64 v[151:152], v[153:154], 0
	scratch_load_b128 v[6:9], off, off offset:256
	v_fma_f64 v[155:156], v[4:5], v[10:11], v[155:156]
	v_fma_f64 v[157:158], v[2:3], v[10:11], -v[12:13]
	scratch_load_b128 v[10:13], off, off offset:272
	ds_load_b128 v[2:5], v1 offset:624
	s_waitcnt vmcnt(10) lgkmcnt(1)
	v_mul_f64 v[153:154], v[145:146], v[16:17]
	v_mul_f64 v[16:17], v[147:148], v[16:17]
	v_add_f64 v[149:150], v[149:150], v[137:138]
	v_add_f64 v[151:152], v[151:152], v[139:140]
	s_waitcnt vmcnt(9) lgkmcnt(0)
	v_mul_f64 v[159:160], v[2:3], v[20:21]
	v_mul_f64 v[20:21], v[4:5], v[20:21]
	ds_load_b128 v[137:140], v1 offset:640
	v_fma_f64 v[147:148], v[147:148], v[14:15], v[153:154]
	v_fma_f64 v[145:146], v[145:146], v[14:15], -v[16:17]
	scratch_load_b128 v[14:17], off, off offset:288
	v_add_f64 v[149:150], v[149:150], v[157:158]
	v_add_f64 v[151:152], v[151:152], v[155:156]
	v_fma_f64 v[155:156], v[4:5], v[18:19], v[159:160]
	v_fma_f64 v[157:158], v[2:3], v[18:19], -v[20:21]
	scratch_load_b128 v[18:21], off, off offset:304
	ds_load_b128 v[2:5], v1 offset:656
	s_waitcnt vmcnt(10) lgkmcnt(1)
	v_mul_f64 v[153:154], v[137:138], v[24:25]
	v_mul_f64 v[24:25], v[139:140], v[24:25]
	s_waitcnt vmcnt(9) lgkmcnt(0)
	v_mul_f64 v[159:160], v[2:3], v[28:29]
	v_mul_f64 v[28:29], v[4:5], v[28:29]
	v_add_f64 v[149:150], v[149:150], v[145:146]
	v_add_f64 v[151:152], v[151:152], v[147:148]
	ds_load_b128 v[145:148], v1 offset:672
	v_fma_f64 v[139:140], v[139:140], v[22:23], v[153:154]
	v_fma_f64 v[137:138], v[137:138], v[22:23], -v[24:25]
	scratch_load_b128 v[22:25], off, off offset:320
	v_add_f64 v[149:150], v[149:150], v[157:158]
	v_add_f64 v[151:152], v[151:152], v[155:156]
	v_fma_f64 v[155:156], v[4:5], v[26:27], v[159:160]
	v_fma_f64 v[157:158], v[2:3], v[26:27], -v[28:29]
	scratch_load_b128 v[26:29], off, off offset:336
	ds_load_b128 v[2:5], v1 offset:688
	s_waitcnt vmcnt(10) lgkmcnt(1)
	v_mul_f64 v[153:154], v[145:146], v[32:33]
	v_mul_f64 v[32:33], v[147:148], v[32:33]
	s_waitcnt vmcnt(9) lgkmcnt(0)
	v_mul_f64 v[159:160], v[2:3], v[40:41]
	v_mul_f64 v[40:41], v[4:5], v[40:41]
	v_add_f64 v[149:150], v[149:150], v[137:138]
	v_add_f64 v[151:152], v[151:152], v[139:140]
	ds_load_b128 v[137:140], v1 offset:704
	v_fma_f64 v[147:148], v[147:148], v[30:31], v[153:154]
	v_fma_f64 v[145:146], v[145:146], v[30:31], -v[32:33]
	scratch_load_b128 v[30:33], off, off offset:352
	v_add_f64 v[149:150], v[149:150], v[157:158]
	v_add_f64 v[151:152], v[151:152], v[155:156]
	v_fma_f64 v[157:158], v[4:5], v[38:39], v[159:160]
	v_fma_f64 v[159:160], v[2:3], v[38:39], -v[40:41]
	scratch_load_b128 v[38:41], off, off offset:368
	ds_load_b128 v[2:5], v1 offset:720
	s_waitcnt vmcnt(9) lgkmcnt(1)
	v_mul_f64 v[153:154], v[137:138], v[143:144]
	v_mul_f64 v[155:156], v[139:140], v[143:144]
	v_add_f64 v[149:150], v[149:150], v[145:146]
	v_add_f64 v[147:148], v[151:152], v[147:148]
	ds_load_b128 v[143:146], v1 offset:736
	v_fma_f64 v[153:154], v[139:140], v[141:142], v[153:154]
	v_fma_f64 v[141:142], v[137:138], v[141:142], -v[155:156]
	scratch_load_b128 v[137:140], off, off offset:384
	s_waitcnt vmcnt(9) lgkmcnt(1)
	v_mul_f64 v[151:152], v[2:3], v[36:37]
	v_mul_f64 v[36:37], v[4:5], v[36:37]
	v_add_f64 v[149:150], v[149:150], v[159:160]
	v_add_f64 v[147:148], v[147:148], v[157:158]
	s_delay_alu instid0(VALU_DEP_4) | instskip(NEXT) | instid1(VALU_DEP_4)
	v_fma_f64 v[151:152], v[4:5], v[34:35], v[151:152]
	v_fma_f64 v[157:158], v[2:3], v[34:35], -v[36:37]
	scratch_load_b128 v[34:37], off, off offset:400
	ds_load_b128 v[2:5], v1 offset:752
	s_waitcnt vmcnt(9) lgkmcnt(1)
	v_mul_f64 v[155:156], v[143:144], v[8:9]
	v_mul_f64 v[8:9], v[145:146], v[8:9]
	s_waitcnt vmcnt(8) lgkmcnt(0)
	v_mul_f64 v[159:160], v[2:3], v[12:13]
	v_mul_f64 v[12:13], v[4:5], v[12:13]
	v_add_f64 v[141:142], v[149:150], v[141:142]
	v_add_f64 v[153:154], v[147:148], v[153:154]
	ds_load_b128 v[147:150], v1 offset:768
	v_fma_f64 v[145:146], v[145:146], v[6:7], v[155:156]
	v_fma_f64 v[143:144], v[143:144], v[6:7], -v[8:9]
	scratch_load_b128 v[6:9], off, off offset:416
	v_fma_f64 v[155:156], v[4:5], v[10:11], v[159:160]
	v_add_f64 v[141:142], v[141:142], v[157:158]
	v_add_f64 v[151:152], v[153:154], v[151:152]
	v_fma_f64 v[157:158], v[2:3], v[10:11], -v[12:13]
	scratch_load_b128 v[10:13], off, off offset:432
	ds_load_b128 v[2:5], v1 offset:784
	s_waitcnt vmcnt(9) lgkmcnt(1)
	v_mul_f64 v[153:154], v[147:148], v[16:17]
	v_mul_f64 v[16:17], v[149:150], v[16:17]
	v_add_f64 v[159:160], v[141:142], v[143:144]
	v_add_f64 v[145:146], v[151:152], v[145:146]
	s_waitcnt vmcnt(8) lgkmcnt(0)
	v_mul_f64 v[151:152], v[2:3], v[20:21]
	v_mul_f64 v[20:21], v[4:5], v[20:21]
	ds_load_b128 v[141:144], v1 offset:800
	v_fma_f64 v[149:150], v[149:150], v[14:15], v[153:154]
	v_fma_f64 v[147:148], v[147:148], v[14:15], -v[16:17]
	scratch_load_b128 v[14:17], off, off offset:448
	v_add_f64 v[153:154], v[159:160], v[157:158]
	v_add_f64 v[145:146], v[145:146], v[155:156]
	v_fma_f64 v[151:152], v[4:5], v[18:19], v[151:152]
	v_fma_f64 v[157:158], v[2:3], v[18:19], -v[20:21]
	scratch_load_b128 v[18:21], off, off offset:464
	ds_load_b128 v[2:5], v1 offset:816
	s_waitcnt vmcnt(9) lgkmcnt(1)
	v_mul_f64 v[155:156], v[141:142], v[24:25]
	v_mul_f64 v[24:25], v[143:144], v[24:25]
	s_waitcnt vmcnt(8) lgkmcnt(0)
	v_mul_f64 v[159:160], v[2:3], v[28:29]
	v_mul_f64 v[28:29], v[4:5], v[28:29]
	v_add_f64 v[153:154], v[153:154], v[147:148]
	v_add_f64 v[149:150], v[145:146], v[149:150]
	ds_load_b128 v[145:148], v1 offset:832
	v_fma_f64 v[143:144], v[143:144], v[22:23], v[155:156]
	v_fma_f64 v[22:23], v[141:142], v[22:23], -v[24:25]
	v_add_f64 v[24:25], v[153:154], v[157:158]
	v_add_f64 v[141:142], v[149:150], v[151:152]
	s_waitcnt vmcnt(7) lgkmcnt(0)
	v_mul_f64 v[149:150], v[145:146], v[32:33]
	v_mul_f64 v[32:33], v[147:148], v[32:33]
	v_fma_f64 v[151:152], v[4:5], v[26:27], v[159:160]
	v_fma_f64 v[26:27], v[2:3], v[26:27], -v[28:29]
	v_add_f64 v[28:29], v[24:25], v[22:23]
	v_add_f64 v[141:142], v[141:142], v[143:144]
	ds_load_b128 v[2:5], v1 offset:848
	ds_load_b128 v[22:25], v1 offset:864
	v_fma_f64 v[147:148], v[147:148], v[30:31], v[149:150]
	v_fma_f64 v[30:31], v[145:146], v[30:31], -v[32:33]
	s_waitcnt vmcnt(6) lgkmcnt(1)
	v_mul_f64 v[143:144], v[2:3], v[40:41]
	v_mul_f64 v[40:41], v[4:5], v[40:41]
	s_waitcnt vmcnt(5) lgkmcnt(0)
	v_mul_f64 v[32:33], v[22:23], v[139:140]
	v_mul_f64 v[139:140], v[24:25], v[139:140]
	v_add_f64 v[26:27], v[28:29], v[26:27]
	v_add_f64 v[28:29], v[141:142], v[151:152]
	v_fma_f64 v[141:142], v[4:5], v[38:39], v[143:144]
	v_fma_f64 v[38:39], v[2:3], v[38:39], -v[40:41]
	v_fma_f64 v[24:25], v[24:25], v[137:138], v[32:33]
	v_fma_f64 v[22:23], v[22:23], v[137:138], -v[139:140]
	v_add_f64 v[30:31], v[26:27], v[30:31]
	v_add_f64 v[40:41], v[28:29], v[147:148]
	ds_load_b128 v[2:5], v1 offset:880
	ds_load_b128 v[26:29], v1 offset:896
	s_waitcnt vmcnt(4) lgkmcnt(1)
	v_mul_f64 v[143:144], v[2:3], v[36:37]
	v_mul_f64 v[36:37], v[4:5], v[36:37]
	v_add_f64 v[30:31], v[30:31], v[38:39]
	v_add_f64 v[32:33], v[40:41], v[141:142]
	s_waitcnt vmcnt(3) lgkmcnt(0)
	v_mul_f64 v[38:39], v[26:27], v[8:9]
	v_mul_f64 v[8:9], v[28:29], v[8:9]
	v_fma_f64 v[40:41], v[4:5], v[34:35], v[143:144]
	v_fma_f64 v[34:35], v[2:3], v[34:35], -v[36:37]
	v_add_f64 v[30:31], v[30:31], v[22:23]
	v_add_f64 v[32:33], v[32:33], v[24:25]
	ds_load_b128 v[2:5], v1 offset:912
	ds_load_b128 v[22:25], v1 offset:928
	v_fma_f64 v[28:29], v[28:29], v[6:7], v[38:39]
	v_fma_f64 v[6:7], v[26:27], v[6:7], -v[8:9]
	s_waitcnt vmcnt(2) lgkmcnt(1)
	v_mul_f64 v[36:37], v[2:3], v[12:13]
	v_mul_f64 v[12:13], v[4:5], v[12:13]
	v_add_f64 v[8:9], v[30:31], v[34:35]
	v_add_f64 v[26:27], v[32:33], v[40:41]
	s_waitcnt vmcnt(1) lgkmcnt(0)
	v_mul_f64 v[30:31], v[22:23], v[16:17]
	v_mul_f64 v[16:17], v[24:25], v[16:17]
	v_fma_f64 v[32:33], v[4:5], v[10:11], v[36:37]
	v_fma_f64 v[10:11], v[2:3], v[10:11], -v[12:13]
	ds_load_b128 v[2:5], v1 offset:944
	v_add_f64 v[6:7], v[8:9], v[6:7]
	v_add_f64 v[8:9], v[26:27], v[28:29]
	v_fma_f64 v[24:25], v[24:25], v[14:15], v[30:31]
	v_fma_f64 v[14:15], v[22:23], v[14:15], -v[16:17]
	s_waitcnt vmcnt(0) lgkmcnt(0)
	v_mul_f64 v[12:13], v[2:3], v[20:21]
	v_mul_f64 v[20:21], v[4:5], v[20:21]
	v_add_f64 v[6:7], v[6:7], v[10:11]
	v_add_f64 v[8:9], v[8:9], v[32:33]
	s_delay_alu instid0(VALU_DEP_4) | instskip(NEXT) | instid1(VALU_DEP_4)
	v_fma_f64 v[4:5], v[4:5], v[18:19], v[12:13]
	v_fma_f64 v[2:3], v[2:3], v[18:19], -v[20:21]
	s_delay_alu instid0(VALU_DEP_4) | instskip(NEXT) | instid1(VALU_DEP_4)
	v_add_f64 v[6:7], v[6:7], v[14:15]
	v_add_f64 v[8:9], v[8:9], v[24:25]
	s_delay_alu instid0(VALU_DEP_2) | instskip(NEXT) | instid1(VALU_DEP_2)
	v_add_f64 v[2:3], v[6:7], v[2:3]
	v_add_f64 v[4:5], v[8:9], v[4:5]
	s_delay_alu instid0(VALU_DEP_2) | instskip(NEXT) | instid1(VALU_DEP_2)
	v_add_f64 v[2:3], v[133:134], -v[2:3]
	v_add_f64 v[4:5], v[135:136], -v[4:5]
	scratch_store_b128 off, v[2:5], off offset:64
	v_cmpx_lt_u32_e32 3, v102
	s_cbranch_execz .LBB29_187
; %bb.186:
	scratch_load_b128 v[5:8], v105, off
	v_mov_b32_e32 v2, v1
	v_mov_b32_e32 v3, v1
	;; [unrolled: 1-line block ×3, first 2 shown]
	scratch_store_b128 off, v[1:4], off offset:48
	s_waitcnt vmcnt(0)
	ds_store_b128 v132, v[5:8]
.LBB29_187:
	s_or_b32 exec_lo, exec_lo, s2
	s_waitcnt lgkmcnt(0)
	s_waitcnt_vscnt null, 0x0
	s_barrier
	buffer_gl0_inv
	s_clause 0x8
	scratch_load_b128 v[2:5], off, off offset:64
	scratch_load_b128 v[6:9], off, off offset:80
	;; [unrolled: 1-line block ×9, first 2 shown]
	ds_load_b128 v[38:41], v1 offset:544
	ds_load_b128 v[133:136], v1 offset:560
	s_clause 0x1
	scratch_load_b128 v[137:140], off, off offset:48
	scratch_load_b128 v[141:144], off, off offset:208
	s_mov_b32 s2, exec_lo
	s_waitcnt vmcnt(10) lgkmcnt(1)
	v_mul_f64 v[145:146], v[40:41], v[4:5]
	v_mul_f64 v[4:5], v[38:39], v[4:5]
	s_waitcnt vmcnt(9) lgkmcnt(0)
	v_mul_f64 v[149:150], v[133:134], v[8:9]
	v_mul_f64 v[8:9], v[135:136], v[8:9]
	s_delay_alu instid0(VALU_DEP_4) | instskip(NEXT) | instid1(VALU_DEP_4)
	v_fma_f64 v[151:152], v[38:39], v[2:3], -v[145:146]
	v_fma_f64 v[153:154], v[40:41], v[2:3], v[4:5]
	ds_load_b128 v[2:5], v1 offset:576
	ds_load_b128 v[145:148], v1 offset:592
	scratch_load_b128 v[38:41], off, off offset:224
	v_fma_f64 v[135:136], v[135:136], v[6:7], v[149:150]
	v_fma_f64 v[133:134], v[133:134], v[6:7], -v[8:9]
	scratch_load_b128 v[6:9], off, off offset:240
	s_waitcnt vmcnt(10) lgkmcnt(1)
	v_mul_f64 v[155:156], v[2:3], v[12:13]
	v_mul_f64 v[12:13], v[4:5], v[12:13]
	v_add_f64 v[149:150], v[151:152], 0
	v_add_f64 v[151:152], v[153:154], 0
	s_waitcnt vmcnt(9) lgkmcnt(0)
	v_mul_f64 v[153:154], v[145:146], v[16:17]
	v_mul_f64 v[16:17], v[147:148], v[16:17]
	v_fma_f64 v[155:156], v[4:5], v[10:11], v[155:156]
	v_fma_f64 v[157:158], v[2:3], v[10:11], -v[12:13]
	ds_load_b128 v[2:5], v1 offset:608
	scratch_load_b128 v[10:13], off, off offset:256
	v_add_f64 v[149:150], v[149:150], v[133:134]
	v_add_f64 v[151:152], v[151:152], v[135:136]
	ds_load_b128 v[133:136], v1 offset:624
	v_fma_f64 v[147:148], v[147:148], v[14:15], v[153:154]
	v_fma_f64 v[145:146], v[145:146], v[14:15], -v[16:17]
	scratch_load_b128 v[14:17], off, off offset:272
	s_waitcnt vmcnt(10) lgkmcnt(1)
	v_mul_f64 v[159:160], v[2:3], v[20:21]
	v_mul_f64 v[20:21], v[4:5], v[20:21]
	s_waitcnt vmcnt(9) lgkmcnt(0)
	v_mul_f64 v[153:154], v[133:134], v[24:25]
	v_mul_f64 v[24:25], v[135:136], v[24:25]
	v_add_f64 v[149:150], v[149:150], v[157:158]
	v_add_f64 v[151:152], v[151:152], v[155:156]
	v_fma_f64 v[155:156], v[4:5], v[18:19], v[159:160]
	v_fma_f64 v[157:158], v[2:3], v[18:19], -v[20:21]
	ds_load_b128 v[2:5], v1 offset:640
	scratch_load_b128 v[18:21], off, off offset:288
	v_fma_f64 v[135:136], v[135:136], v[22:23], v[153:154]
	v_fma_f64 v[133:134], v[133:134], v[22:23], -v[24:25]
	scratch_load_b128 v[22:25], off, off offset:304
	v_add_f64 v[149:150], v[149:150], v[145:146]
	v_add_f64 v[151:152], v[151:152], v[147:148]
	ds_load_b128 v[145:148], v1 offset:656
	s_waitcnt vmcnt(10) lgkmcnt(1)
	v_mul_f64 v[159:160], v[2:3], v[28:29]
	v_mul_f64 v[28:29], v[4:5], v[28:29]
	s_waitcnt vmcnt(9) lgkmcnt(0)
	v_mul_f64 v[153:154], v[145:146], v[32:33]
	v_mul_f64 v[32:33], v[147:148], v[32:33]
	v_add_f64 v[149:150], v[149:150], v[157:158]
	v_add_f64 v[151:152], v[151:152], v[155:156]
	v_fma_f64 v[155:156], v[4:5], v[26:27], v[159:160]
	v_fma_f64 v[157:158], v[2:3], v[26:27], -v[28:29]
	ds_load_b128 v[2:5], v1 offset:672
	scratch_load_b128 v[26:29], off, off offset:320
	v_fma_f64 v[147:148], v[147:148], v[30:31], v[153:154]
	v_fma_f64 v[145:146], v[145:146], v[30:31], -v[32:33]
	scratch_load_b128 v[30:33], off, off offset:336
	v_add_f64 v[149:150], v[149:150], v[133:134]
	v_add_f64 v[151:152], v[151:152], v[135:136]
	ds_load_b128 v[133:136], v1 offset:688
	s_waitcnt vmcnt(10) lgkmcnt(1)
	v_mul_f64 v[159:160], v[2:3], v[36:37]
	v_mul_f64 v[36:37], v[4:5], v[36:37]
	s_waitcnt vmcnt(8) lgkmcnt(0)
	v_mul_f64 v[153:154], v[133:134], v[143:144]
	v_add_f64 v[149:150], v[149:150], v[157:158]
	v_add_f64 v[151:152], v[151:152], v[155:156]
	v_mul_f64 v[155:156], v[135:136], v[143:144]
	v_fma_f64 v[157:158], v[4:5], v[34:35], v[159:160]
	v_fma_f64 v[159:160], v[2:3], v[34:35], -v[36:37]
	ds_load_b128 v[2:5], v1 offset:704
	scratch_load_b128 v[34:37], off, off offset:352
	v_fma_f64 v[153:154], v[135:136], v[141:142], v[153:154]
	v_add_f64 v[149:150], v[149:150], v[145:146]
	v_add_f64 v[147:148], v[151:152], v[147:148]
	ds_load_b128 v[143:146], v1 offset:720
	v_fma_f64 v[141:142], v[133:134], v[141:142], -v[155:156]
	scratch_load_b128 v[133:136], off, off offset:368
	s_waitcnt vmcnt(9) lgkmcnt(1)
	v_mul_f64 v[151:152], v[2:3], v[40:41]
	v_mul_f64 v[40:41], v[4:5], v[40:41]
	s_waitcnt vmcnt(8) lgkmcnt(0)
	v_mul_f64 v[155:156], v[143:144], v[8:9]
	v_mul_f64 v[8:9], v[145:146], v[8:9]
	v_add_f64 v[149:150], v[149:150], v[159:160]
	v_add_f64 v[147:148], v[147:148], v[157:158]
	v_fma_f64 v[151:152], v[4:5], v[38:39], v[151:152]
	v_fma_f64 v[157:158], v[2:3], v[38:39], -v[40:41]
	ds_load_b128 v[2:5], v1 offset:736
	scratch_load_b128 v[38:41], off, off offset:384
	v_fma_f64 v[145:146], v[145:146], v[6:7], v[155:156]
	v_fma_f64 v[143:144], v[143:144], v[6:7], -v[8:9]
	scratch_load_b128 v[6:9], off, off offset:400
	v_add_f64 v[141:142], v[149:150], v[141:142]
	v_add_f64 v[153:154], v[147:148], v[153:154]
	ds_load_b128 v[147:150], v1 offset:752
	s_waitcnt vmcnt(9) lgkmcnt(1)
	v_mul_f64 v[159:160], v[2:3], v[12:13]
	v_mul_f64 v[12:13], v[4:5], v[12:13]
	v_add_f64 v[141:142], v[141:142], v[157:158]
	v_add_f64 v[151:152], v[153:154], v[151:152]
	s_waitcnt vmcnt(8) lgkmcnt(0)
	v_mul_f64 v[153:154], v[147:148], v[16:17]
	v_mul_f64 v[16:17], v[149:150], v[16:17]
	v_fma_f64 v[155:156], v[4:5], v[10:11], v[159:160]
	v_fma_f64 v[157:158], v[2:3], v[10:11], -v[12:13]
	ds_load_b128 v[2:5], v1 offset:768
	scratch_load_b128 v[10:13], off, off offset:416
	v_add_f64 v[159:160], v[141:142], v[143:144]
	v_add_f64 v[145:146], v[151:152], v[145:146]
	ds_load_b128 v[141:144], v1 offset:784
	s_waitcnt vmcnt(8) lgkmcnt(1)
	v_mul_f64 v[151:152], v[2:3], v[20:21]
	v_mul_f64 v[20:21], v[4:5], v[20:21]
	v_fma_f64 v[149:150], v[149:150], v[14:15], v[153:154]
	v_fma_f64 v[147:148], v[147:148], v[14:15], -v[16:17]
	scratch_load_b128 v[14:17], off, off offset:432
	v_add_f64 v[153:154], v[159:160], v[157:158]
	v_add_f64 v[145:146], v[145:146], v[155:156]
	s_waitcnt vmcnt(8) lgkmcnt(0)
	v_mul_f64 v[155:156], v[141:142], v[24:25]
	v_mul_f64 v[24:25], v[143:144], v[24:25]
	v_fma_f64 v[151:152], v[4:5], v[18:19], v[151:152]
	v_fma_f64 v[157:158], v[2:3], v[18:19], -v[20:21]
	ds_load_b128 v[2:5], v1 offset:800
	scratch_load_b128 v[18:21], off, off offset:448
	v_add_f64 v[153:154], v[153:154], v[147:148]
	v_add_f64 v[149:150], v[145:146], v[149:150]
	ds_load_b128 v[145:148], v1 offset:816
	s_waitcnt vmcnt(8) lgkmcnt(1)
	v_mul_f64 v[159:160], v[2:3], v[28:29]
	v_mul_f64 v[28:29], v[4:5], v[28:29]
	v_fma_f64 v[143:144], v[143:144], v[22:23], v[155:156]
	v_fma_f64 v[141:142], v[141:142], v[22:23], -v[24:25]
	scratch_load_b128 v[22:25], off, off offset:464
	v_add_f64 v[153:154], v[153:154], v[157:158]
	v_add_f64 v[149:150], v[149:150], v[151:152]
	s_waitcnt vmcnt(8) lgkmcnt(0)
	v_mul_f64 v[151:152], v[145:146], v[32:33]
	v_mul_f64 v[32:33], v[147:148], v[32:33]
	v_fma_f64 v[155:156], v[4:5], v[26:27], v[159:160]
	v_fma_f64 v[157:158], v[2:3], v[26:27], -v[28:29]
	ds_load_b128 v[2:5], v1 offset:832
	ds_load_b128 v[26:29], v1 offset:848
	v_add_f64 v[141:142], v[153:154], v[141:142]
	v_add_f64 v[143:144], v[149:150], v[143:144]
	s_waitcnt vmcnt(7) lgkmcnt(1)
	v_mul_f64 v[149:150], v[2:3], v[36:37]
	v_mul_f64 v[36:37], v[4:5], v[36:37]
	v_fma_f64 v[147:148], v[147:148], v[30:31], v[151:152]
	v_fma_f64 v[30:31], v[145:146], v[30:31], -v[32:33]
	v_add_f64 v[32:33], v[141:142], v[157:158]
	v_add_f64 v[141:142], v[143:144], v[155:156]
	s_waitcnt vmcnt(6) lgkmcnt(0)
	v_mul_f64 v[143:144], v[26:27], v[135:136]
	v_mul_f64 v[135:136], v[28:29], v[135:136]
	v_fma_f64 v[145:146], v[4:5], v[34:35], v[149:150]
	v_fma_f64 v[34:35], v[2:3], v[34:35], -v[36:37]
	v_add_f64 v[36:37], v[32:33], v[30:31]
	v_add_f64 v[141:142], v[141:142], v[147:148]
	ds_load_b128 v[2:5], v1 offset:864
	ds_load_b128 v[30:33], v1 offset:880
	v_fma_f64 v[28:29], v[28:29], v[133:134], v[143:144]
	v_fma_f64 v[26:27], v[26:27], v[133:134], -v[135:136]
	s_waitcnt vmcnt(5) lgkmcnt(1)
	v_mul_f64 v[147:148], v[2:3], v[40:41]
	v_mul_f64 v[40:41], v[4:5], v[40:41]
	s_waitcnt vmcnt(4) lgkmcnt(0)
	v_mul_f64 v[133:134], v[30:31], v[8:9]
	v_mul_f64 v[8:9], v[32:33], v[8:9]
	v_add_f64 v[34:35], v[36:37], v[34:35]
	v_add_f64 v[36:37], v[141:142], v[145:146]
	v_fma_f64 v[135:136], v[4:5], v[38:39], v[147:148]
	v_fma_f64 v[38:39], v[2:3], v[38:39], -v[40:41]
	v_fma_f64 v[32:33], v[32:33], v[6:7], v[133:134]
	v_fma_f64 v[6:7], v[30:31], v[6:7], -v[8:9]
	v_add_f64 v[34:35], v[34:35], v[26:27]
	v_add_f64 v[36:37], v[36:37], v[28:29]
	ds_load_b128 v[2:5], v1 offset:896
	ds_load_b128 v[26:29], v1 offset:912
	s_waitcnt vmcnt(3) lgkmcnt(1)
	v_mul_f64 v[40:41], v[2:3], v[12:13]
	v_mul_f64 v[12:13], v[4:5], v[12:13]
	v_add_f64 v[8:9], v[34:35], v[38:39]
	v_add_f64 v[30:31], v[36:37], v[135:136]
	s_waitcnt vmcnt(2) lgkmcnt(0)
	v_mul_f64 v[34:35], v[26:27], v[16:17]
	v_mul_f64 v[16:17], v[28:29], v[16:17]
	v_fma_f64 v[36:37], v[4:5], v[10:11], v[40:41]
	v_fma_f64 v[10:11], v[2:3], v[10:11], -v[12:13]
	v_add_f64 v[12:13], v[8:9], v[6:7]
	v_add_f64 v[30:31], v[30:31], v[32:33]
	ds_load_b128 v[2:5], v1 offset:928
	ds_load_b128 v[6:9], v1 offset:944
	v_fma_f64 v[28:29], v[28:29], v[14:15], v[34:35]
	v_fma_f64 v[14:15], v[26:27], v[14:15], -v[16:17]
	s_waitcnt vmcnt(1) lgkmcnt(1)
	v_mul_f64 v[32:33], v[2:3], v[20:21]
	v_mul_f64 v[20:21], v[4:5], v[20:21]
	s_waitcnt vmcnt(0) lgkmcnt(0)
	v_mul_f64 v[16:17], v[6:7], v[24:25]
	v_mul_f64 v[24:25], v[8:9], v[24:25]
	v_add_f64 v[10:11], v[12:13], v[10:11]
	v_add_f64 v[12:13], v[30:31], v[36:37]
	v_fma_f64 v[4:5], v[4:5], v[18:19], v[32:33]
	v_fma_f64 v[1:2], v[2:3], v[18:19], -v[20:21]
	v_fma_f64 v[8:9], v[8:9], v[22:23], v[16:17]
	v_fma_f64 v[6:7], v[6:7], v[22:23], -v[24:25]
	v_add_f64 v[10:11], v[10:11], v[14:15]
	v_add_f64 v[12:13], v[12:13], v[28:29]
	s_delay_alu instid0(VALU_DEP_2) | instskip(NEXT) | instid1(VALU_DEP_2)
	v_add_f64 v[1:2], v[10:11], v[1:2]
	v_add_f64 v[3:4], v[12:13], v[4:5]
	s_delay_alu instid0(VALU_DEP_2) | instskip(NEXT) | instid1(VALU_DEP_2)
	;; [unrolled: 3-line block ×3, first 2 shown]
	v_add_f64 v[1:2], v[137:138], -v[1:2]
	v_add_f64 v[3:4], v[139:140], -v[3:4]
	scratch_store_b128 off, v[1:4], off offset:48
	v_cmpx_lt_u32_e32 2, v102
	s_cbranch_execz .LBB29_189
; %bb.188:
	scratch_load_b128 v[1:4], v104, off
	v_mov_b32_e32 v5, 0
	s_delay_alu instid0(VALU_DEP_1)
	v_mov_b32_e32 v6, v5
	v_mov_b32_e32 v7, v5
	;; [unrolled: 1-line block ×3, first 2 shown]
	scratch_store_b128 off, v[5:8], off offset:32
	s_waitcnt vmcnt(0)
	ds_store_b128 v132, v[1:4]
.LBB29_189:
	s_or_b32 exec_lo, exec_lo, s2
	s_waitcnt lgkmcnt(0)
	s_waitcnt_vscnt null, 0x0
	s_barrier
	buffer_gl0_inv
	s_clause 0x7
	scratch_load_b128 v[2:5], off, off offset:48
	scratch_load_b128 v[6:9], off, off offset:64
	;; [unrolled: 1-line block ×8, first 2 shown]
	v_mov_b32_e32 v1, 0
	s_mov_b32 s2, exec_lo
	ds_load_b128 v[38:41], v1 offset:528
	s_clause 0x1
	scratch_load_b128 v[34:37], off, off offset:176
	scratch_load_b128 v[133:136], off, off offset:32
	ds_load_b128 v[137:140], v1 offset:544
	scratch_load_b128 v[141:144], off, off offset:192
	s_waitcnt vmcnt(10) lgkmcnt(1)
	v_mul_f64 v[145:146], v[40:41], v[4:5]
	v_mul_f64 v[4:5], v[38:39], v[4:5]
	s_delay_alu instid0(VALU_DEP_2) | instskip(NEXT) | instid1(VALU_DEP_2)
	v_fma_f64 v[151:152], v[38:39], v[2:3], -v[145:146]
	v_fma_f64 v[153:154], v[40:41], v[2:3], v[4:5]
	scratch_load_b128 v[38:41], off, off offset:208
	ds_load_b128 v[2:5], v1 offset:560
	s_waitcnt vmcnt(10) lgkmcnt(1)
	v_mul_f64 v[149:150], v[137:138], v[8:9]
	v_mul_f64 v[8:9], v[139:140], v[8:9]
	ds_load_b128 v[145:148], v1 offset:576
	s_waitcnt vmcnt(9) lgkmcnt(1)
	v_mul_f64 v[155:156], v[2:3], v[12:13]
	v_mul_f64 v[12:13], v[4:5], v[12:13]
	v_fma_f64 v[139:140], v[139:140], v[6:7], v[149:150]
	v_fma_f64 v[137:138], v[137:138], v[6:7], -v[8:9]
	v_add_f64 v[149:150], v[151:152], 0
	v_add_f64 v[151:152], v[153:154], 0
	scratch_load_b128 v[6:9], off, off offset:224
	v_fma_f64 v[155:156], v[4:5], v[10:11], v[155:156]
	v_fma_f64 v[157:158], v[2:3], v[10:11], -v[12:13]
	scratch_load_b128 v[10:13], off, off offset:240
	ds_load_b128 v[2:5], v1 offset:592
	s_waitcnt vmcnt(10) lgkmcnt(1)
	v_mul_f64 v[153:154], v[145:146], v[16:17]
	v_mul_f64 v[16:17], v[147:148], v[16:17]
	v_add_f64 v[149:150], v[149:150], v[137:138]
	v_add_f64 v[151:152], v[151:152], v[139:140]
	s_waitcnt vmcnt(9) lgkmcnt(0)
	v_mul_f64 v[159:160], v[2:3], v[20:21]
	v_mul_f64 v[20:21], v[4:5], v[20:21]
	ds_load_b128 v[137:140], v1 offset:608
	v_fma_f64 v[147:148], v[147:148], v[14:15], v[153:154]
	v_fma_f64 v[145:146], v[145:146], v[14:15], -v[16:17]
	scratch_load_b128 v[14:17], off, off offset:256
	v_add_f64 v[149:150], v[149:150], v[157:158]
	v_add_f64 v[151:152], v[151:152], v[155:156]
	v_fma_f64 v[155:156], v[4:5], v[18:19], v[159:160]
	v_fma_f64 v[157:158], v[2:3], v[18:19], -v[20:21]
	scratch_load_b128 v[18:21], off, off offset:272
	ds_load_b128 v[2:5], v1 offset:624
	s_waitcnt vmcnt(10) lgkmcnt(1)
	v_mul_f64 v[153:154], v[137:138], v[24:25]
	v_mul_f64 v[24:25], v[139:140], v[24:25]
	s_waitcnt vmcnt(9) lgkmcnt(0)
	v_mul_f64 v[159:160], v[2:3], v[28:29]
	v_mul_f64 v[28:29], v[4:5], v[28:29]
	v_add_f64 v[149:150], v[149:150], v[145:146]
	v_add_f64 v[151:152], v[151:152], v[147:148]
	ds_load_b128 v[145:148], v1 offset:640
	v_fma_f64 v[139:140], v[139:140], v[22:23], v[153:154]
	v_fma_f64 v[137:138], v[137:138], v[22:23], -v[24:25]
	scratch_load_b128 v[22:25], off, off offset:288
	v_add_f64 v[149:150], v[149:150], v[157:158]
	v_add_f64 v[151:152], v[151:152], v[155:156]
	v_fma_f64 v[155:156], v[4:5], v[26:27], v[159:160]
	v_fma_f64 v[157:158], v[2:3], v[26:27], -v[28:29]
	scratch_load_b128 v[26:29], off, off offset:304
	ds_load_b128 v[2:5], v1 offset:656
	s_waitcnt vmcnt(10) lgkmcnt(1)
	v_mul_f64 v[153:154], v[145:146], v[32:33]
	v_mul_f64 v[32:33], v[147:148], v[32:33]
	s_waitcnt vmcnt(9) lgkmcnt(0)
	v_mul_f64 v[159:160], v[2:3], v[36:37]
	v_mul_f64 v[36:37], v[4:5], v[36:37]
	v_add_f64 v[149:150], v[149:150], v[137:138]
	v_add_f64 v[151:152], v[151:152], v[139:140]
	ds_load_b128 v[137:140], v1 offset:672
	v_fma_f64 v[147:148], v[147:148], v[30:31], v[153:154]
	v_fma_f64 v[145:146], v[145:146], v[30:31], -v[32:33]
	scratch_load_b128 v[30:33], off, off offset:320
	v_add_f64 v[149:150], v[149:150], v[157:158]
	v_add_f64 v[151:152], v[151:152], v[155:156]
	v_fma_f64 v[157:158], v[4:5], v[34:35], v[159:160]
	v_fma_f64 v[159:160], v[2:3], v[34:35], -v[36:37]
	scratch_load_b128 v[34:37], off, off offset:336
	ds_load_b128 v[2:5], v1 offset:688
	s_waitcnt vmcnt(9) lgkmcnt(1)
	v_mul_f64 v[153:154], v[137:138], v[143:144]
	v_mul_f64 v[155:156], v[139:140], v[143:144]
	v_add_f64 v[149:150], v[149:150], v[145:146]
	v_add_f64 v[147:148], v[151:152], v[147:148]
	ds_load_b128 v[143:146], v1 offset:704
	v_fma_f64 v[153:154], v[139:140], v[141:142], v[153:154]
	v_fma_f64 v[141:142], v[137:138], v[141:142], -v[155:156]
	scratch_load_b128 v[137:140], off, off offset:352
	s_waitcnt vmcnt(9) lgkmcnt(1)
	v_mul_f64 v[151:152], v[2:3], v[40:41]
	v_mul_f64 v[40:41], v[4:5], v[40:41]
	v_add_f64 v[149:150], v[149:150], v[159:160]
	v_add_f64 v[147:148], v[147:148], v[157:158]
	s_delay_alu instid0(VALU_DEP_4) | instskip(NEXT) | instid1(VALU_DEP_4)
	v_fma_f64 v[151:152], v[4:5], v[38:39], v[151:152]
	v_fma_f64 v[157:158], v[2:3], v[38:39], -v[40:41]
	scratch_load_b128 v[38:41], off, off offset:368
	ds_load_b128 v[2:5], v1 offset:720
	s_waitcnt vmcnt(9) lgkmcnt(1)
	v_mul_f64 v[155:156], v[143:144], v[8:9]
	v_mul_f64 v[8:9], v[145:146], v[8:9]
	s_waitcnt vmcnt(8) lgkmcnt(0)
	v_mul_f64 v[159:160], v[2:3], v[12:13]
	v_mul_f64 v[12:13], v[4:5], v[12:13]
	v_add_f64 v[141:142], v[149:150], v[141:142]
	v_add_f64 v[153:154], v[147:148], v[153:154]
	ds_load_b128 v[147:150], v1 offset:736
	v_fma_f64 v[145:146], v[145:146], v[6:7], v[155:156]
	v_fma_f64 v[143:144], v[143:144], v[6:7], -v[8:9]
	scratch_load_b128 v[6:9], off, off offset:384
	v_fma_f64 v[155:156], v[4:5], v[10:11], v[159:160]
	v_add_f64 v[141:142], v[141:142], v[157:158]
	v_add_f64 v[151:152], v[153:154], v[151:152]
	v_fma_f64 v[157:158], v[2:3], v[10:11], -v[12:13]
	scratch_load_b128 v[10:13], off, off offset:400
	ds_load_b128 v[2:5], v1 offset:752
	s_waitcnt vmcnt(9) lgkmcnt(1)
	v_mul_f64 v[153:154], v[147:148], v[16:17]
	v_mul_f64 v[16:17], v[149:150], v[16:17]
	v_add_f64 v[159:160], v[141:142], v[143:144]
	v_add_f64 v[145:146], v[151:152], v[145:146]
	s_waitcnt vmcnt(8) lgkmcnt(0)
	v_mul_f64 v[151:152], v[2:3], v[20:21]
	v_mul_f64 v[20:21], v[4:5], v[20:21]
	ds_load_b128 v[141:144], v1 offset:768
	v_fma_f64 v[149:150], v[149:150], v[14:15], v[153:154]
	v_fma_f64 v[147:148], v[147:148], v[14:15], -v[16:17]
	scratch_load_b128 v[14:17], off, off offset:416
	v_add_f64 v[153:154], v[159:160], v[157:158]
	v_add_f64 v[145:146], v[145:146], v[155:156]
	v_fma_f64 v[151:152], v[4:5], v[18:19], v[151:152]
	v_fma_f64 v[157:158], v[2:3], v[18:19], -v[20:21]
	scratch_load_b128 v[18:21], off, off offset:432
	ds_load_b128 v[2:5], v1 offset:784
	s_waitcnt vmcnt(9) lgkmcnt(1)
	v_mul_f64 v[155:156], v[141:142], v[24:25]
	v_mul_f64 v[24:25], v[143:144], v[24:25]
	s_waitcnt vmcnt(8) lgkmcnt(0)
	v_mul_f64 v[159:160], v[2:3], v[28:29]
	v_mul_f64 v[28:29], v[4:5], v[28:29]
	v_add_f64 v[153:154], v[153:154], v[147:148]
	v_add_f64 v[149:150], v[145:146], v[149:150]
	ds_load_b128 v[145:148], v1 offset:800
	v_fma_f64 v[143:144], v[143:144], v[22:23], v[155:156]
	v_fma_f64 v[141:142], v[141:142], v[22:23], -v[24:25]
	scratch_load_b128 v[22:25], off, off offset:448
	v_fma_f64 v[155:156], v[4:5], v[26:27], v[159:160]
	v_add_f64 v[153:154], v[153:154], v[157:158]
	v_add_f64 v[149:150], v[149:150], v[151:152]
	v_fma_f64 v[157:158], v[2:3], v[26:27], -v[28:29]
	scratch_load_b128 v[26:29], off, off offset:464
	ds_load_b128 v[2:5], v1 offset:816
	s_waitcnt vmcnt(9) lgkmcnt(1)
	v_mul_f64 v[151:152], v[145:146], v[32:33]
	v_mul_f64 v[32:33], v[147:148], v[32:33]
	s_waitcnt vmcnt(8) lgkmcnt(0)
	v_mul_f64 v[159:160], v[2:3], v[36:37]
	v_mul_f64 v[36:37], v[4:5], v[36:37]
	v_add_f64 v[153:154], v[153:154], v[141:142]
	v_add_f64 v[149:150], v[149:150], v[143:144]
	ds_load_b128 v[141:144], v1 offset:832
	v_fma_f64 v[147:148], v[147:148], v[30:31], v[151:152]
	v_fma_f64 v[30:31], v[145:146], v[30:31], -v[32:33]
	v_fma_f64 v[151:152], v[4:5], v[34:35], v[159:160]
	v_fma_f64 v[34:35], v[2:3], v[34:35], -v[36:37]
	v_add_f64 v[32:33], v[153:154], v[157:158]
	v_add_f64 v[145:146], v[149:150], v[155:156]
	s_waitcnt vmcnt(7) lgkmcnt(0)
	v_mul_f64 v[149:150], v[141:142], v[139:140]
	v_mul_f64 v[139:140], v[143:144], v[139:140]
	s_delay_alu instid0(VALU_DEP_4) | instskip(NEXT) | instid1(VALU_DEP_4)
	v_add_f64 v[36:37], v[32:33], v[30:31]
	v_add_f64 v[145:146], v[145:146], v[147:148]
	ds_load_b128 v[2:5], v1 offset:848
	ds_load_b128 v[30:33], v1 offset:864
	v_fma_f64 v[143:144], v[143:144], v[137:138], v[149:150]
	v_fma_f64 v[137:138], v[141:142], v[137:138], -v[139:140]
	s_waitcnt vmcnt(6) lgkmcnt(1)
	v_mul_f64 v[147:148], v[2:3], v[40:41]
	v_mul_f64 v[40:41], v[4:5], v[40:41]
	s_waitcnt vmcnt(5) lgkmcnt(0)
	v_mul_f64 v[139:140], v[30:31], v[8:9]
	v_mul_f64 v[8:9], v[32:33], v[8:9]
	v_add_f64 v[34:35], v[36:37], v[34:35]
	v_add_f64 v[36:37], v[145:146], v[151:152]
	v_fma_f64 v[141:142], v[4:5], v[38:39], v[147:148]
	v_fma_f64 v[38:39], v[2:3], v[38:39], -v[40:41]
	v_fma_f64 v[32:33], v[32:33], v[6:7], v[139:140]
	v_fma_f64 v[6:7], v[30:31], v[6:7], -v[8:9]
	v_add_f64 v[40:41], v[34:35], v[137:138]
	v_add_f64 v[137:138], v[36:37], v[143:144]
	ds_load_b128 v[2:5], v1 offset:880
	ds_load_b128 v[34:37], v1 offset:896
	s_waitcnt vmcnt(4) lgkmcnt(1)
	v_mul_f64 v[143:144], v[2:3], v[12:13]
	v_mul_f64 v[12:13], v[4:5], v[12:13]
	v_add_f64 v[8:9], v[40:41], v[38:39]
	v_add_f64 v[30:31], v[137:138], v[141:142]
	s_waitcnt vmcnt(3) lgkmcnt(0)
	v_mul_f64 v[38:39], v[34:35], v[16:17]
	v_mul_f64 v[16:17], v[36:37], v[16:17]
	v_fma_f64 v[40:41], v[4:5], v[10:11], v[143:144]
	v_fma_f64 v[10:11], v[2:3], v[10:11], -v[12:13]
	v_add_f64 v[12:13], v[8:9], v[6:7]
	v_add_f64 v[30:31], v[30:31], v[32:33]
	ds_load_b128 v[2:5], v1 offset:912
	ds_load_b128 v[6:9], v1 offset:928
	v_fma_f64 v[36:37], v[36:37], v[14:15], v[38:39]
	v_fma_f64 v[14:15], v[34:35], v[14:15], -v[16:17]
	s_waitcnt vmcnt(2) lgkmcnt(1)
	v_mul_f64 v[32:33], v[2:3], v[20:21]
	v_mul_f64 v[20:21], v[4:5], v[20:21]
	s_waitcnt vmcnt(1) lgkmcnt(0)
	v_mul_f64 v[16:17], v[6:7], v[24:25]
	v_mul_f64 v[24:25], v[8:9], v[24:25]
	v_add_f64 v[10:11], v[12:13], v[10:11]
	v_add_f64 v[12:13], v[30:31], v[40:41]
	v_fma_f64 v[30:31], v[4:5], v[18:19], v[32:33]
	v_fma_f64 v[18:19], v[2:3], v[18:19], -v[20:21]
	ds_load_b128 v[2:5], v1 offset:944
	v_fma_f64 v[8:9], v[8:9], v[22:23], v[16:17]
	v_fma_f64 v[6:7], v[6:7], v[22:23], -v[24:25]
	v_add_f64 v[10:11], v[10:11], v[14:15]
	v_add_f64 v[12:13], v[12:13], v[36:37]
	s_waitcnt vmcnt(0) lgkmcnt(0)
	v_mul_f64 v[14:15], v[2:3], v[28:29]
	v_mul_f64 v[20:21], v[4:5], v[28:29]
	s_delay_alu instid0(VALU_DEP_4) | instskip(NEXT) | instid1(VALU_DEP_4)
	v_add_f64 v[10:11], v[10:11], v[18:19]
	v_add_f64 v[12:13], v[12:13], v[30:31]
	s_delay_alu instid0(VALU_DEP_4) | instskip(NEXT) | instid1(VALU_DEP_4)
	v_fma_f64 v[4:5], v[4:5], v[26:27], v[14:15]
	v_fma_f64 v[2:3], v[2:3], v[26:27], -v[20:21]
	s_delay_alu instid0(VALU_DEP_4) | instskip(NEXT) | instid1(VALU_DEP_4)
	v_add_f64 v[6:7], v[10:11], v[6:7]
	v_add_f64 v[8:9], v[12:13], v[8:9]
	s_delay_alu instid0(VALU_DEP_2) | instskip(NEXT) | instid1(VALU_DEP_2)
	v_add_f64 v[2:3], v[6:7], v[2:3]
	v_add_f64 v[4:5], v[8:9], v[4:5]
	s_delay_alu instid0(VALU_DEP_2) | instskip(NEXT) | instid1(VALU_DEP_2)
	v_add_f64 v[2:3], v[133:134], -v[2:3]
	v_add_f64 v[4:5], v[135:136], -v[4:5]
	scratch_store_b128 off, v[2:5], off offset:32
	v_cmpx_lt_u32_e32 1, v102
	s_cbranch_execz .LBB29_191
; %bb.190:
	scratch_load_b128 v[5:8], v106, off
	v_mov_b32_e32 v2, v1
	v_mov_b32_e32 v3, v1
	;; [unrolled: 1-line block ×3, first 2 shown]
	scratch_store_b128 off, v[1:4], off offset:16
	s_waitcnt vmcnt(0)
	ds_store_b128 v132, v[5:8]
.LBB29_191:
	s_or_b32 exec_lo, exec_lo, s2
	s_waitcnt lgkmcnt(0)
	s_waitcnt_vscnt null, 0x0
	s_barrier
	buffer_gl0_inv
	s_clause 0x8
	scratch_load_b128 v[2:5], off, off offset:32
	scratch_load_b128 v[6:9], off, off offset:48
	;; [unrolled: 1-line block ×9, first 2 shown]
	ds_load_b128 v[133:136], v1 offset:512
	ds_load_b128 v[38:41], v1 offset:528
	s_clause 0x1
	scratch_load_b128 v[137:140], off, off offset:16
	scratch_load_b128 v[141:144], off, off offset:176
	s_mov_b32 s2, exec_lo
	s_waitcnt vmcnt(10) lgkmcnt(1)
	v_mul_f64 v[145:146], v[135:136], v[4:5]
	v_mul_f64 v[4:5], v[133:134], v[4:5]
	s_waitcnt vmcnt(9) lgkmcnt(0)
	v_mul_f64 v[149:150], v[38:39], v[8:9]
	v_mul_f64 v[8:9], v[40:41], v[8:9]
	s_delay_alu instid0(VALU_DEP_4) | instskip(NEXT) | instid1(VALU_DEP_4)
	v_fma_f64 v[151:152], v[133:134], v[2:3], -v[145:146]
	v_fma_f64 v[153:154], v[135:136], v[2:3], v[4:5]
	ds_load_b128 v[2:5], v1 offset:544
	ds_load_b128 v[145:148], v1 offset:560
	scratch_load_b128 v[133:136], off, off offset:192
	v_fma_f64 v[40:41], v[40:41], v[6:7], v[149:150]
	v_fma_f64 v[38:39], v[38:39], v[6:7], -v[8:9]
	scratch_load_b128 v[6:9], off, off offset:208
	s_waitcnt vmcnt(10) lgkmcnt(1)
	v_mul_f64 v[155:156], v[2:3], v[12:13]
	v_mul_f64 v[12:13], v[4:5], v[12:13]
	v_add_f64 v[149:150], v[151:152], 0
	v_add_f64 v[151:152], v[153:154], 0
	s_waitcnt vmcnt(9) lgkmcnt(0)
	v_mul_f64 v[153:154], v[145:146], v[16:17]
	v_mul_f64 v[16:17], v[147:148], v[16:17]
	v_fma_f64 v[155:156], v[4:5], v[10:11], v[155:156]
	v_fma_f64 v[157:158], v[2:3], v[10:11], -v[12:13]
	ds_load_b128 v[2:5], v1 offset:576
	scratch_load_b128 v[10:13], off, off offset:224
	v_add_f64 v[149:150], v[149:150], v[38:39]
	v_add_f64 v[151:152], v[151:152], v[40:41]
	ds_load_b128 v[38:41], v1 offset:592
	v_fma_f64 v[147:148], v[147:148], v[14:15], v[153:154]
	v_fma_f64 v[145:146], v[145:146], v[14:15], -v[16:17]
	scratch_load_b128 v[14:17], off, off offset:240
	s_waitcnt vmcnt(10) lgkmcnt(1)
	v_mul_f64 v[159:160], v[2:3], v[20:21]
	v_mul_f64 v[20:21], v[4:5], v[20:21]
	s_waitcnt vmcnt(9) lgkmcnt(0)
	v_mul_f64 v[153:154], v[38:39], v[24:25]
	v_mul_f64 v[24:25], v[40:41], v[24:25]
	v_add_f64 v[149:150], v[149:150], v[157:158]
	v_add_f64 v[151:152], v[151:152], v[155:156]
	v_fma_f64 v[155:156], v[4:5], v[18:19], v[159:160]
	v_fma_f64 v[157:158], v[2:3], v[18:19], -v[20:21]
	ds_load_b128 v[2:5], v1 offset:608
	scratch_load_b128 v[18:21], off, off offset:256
	v_fma_f64 v[40:41], v[40:41], v[22:23], v[153:154]
	v_fma_f64 v[38:39], v[38:39], v[22:23], -v[24:25]
	scratch_load_b128 v[22:25], off, off offset:272
	v_add_f64 v[149:150], v[149:150], v[145:146]
	v_add_f64 v[151:152], v[151:152], v[147:148]
	ds_load_b128 v[145:148], v1 offset:624
	s_waitcnt vmcnt(10) lgkmcnt(1)
	v_mul_f64 v[159:160], v[2:3], v[28:29]
	v_mul_f64 v[28:29], v[4:5], v[28:29]
	s_waitcnt vmcnt(9) lgkmcnt(0)
	v_mul_f64 v[153:154], v[145:146], v[32:33]
	v_mul_f64 v[32:33], v[147:148], v[32:33]
	v_add_f64 v[149:150], v[149:150], v[157:158]
	v_add_f64 v[151:152], v[151:152], v[155:156]
	v_fma_f64 v[155:156], v[4:5], v[26:27], v[159:160]
	v_fma_f64 v[157:158], v[2:3], v[26:27], -v[28:29]
	ds_load_b128 v[2:5], v1 offset:640
	scratch_load_b128 v[26:29], off, off offset:288
	v_fma_f64 v[147:148], v[147:148], v[30:31], v[153:154]
	v_fma_f64 v[145:146], v[145:146], v[30:31], -v[32:33]
	scratch_load_b128 v[30:33], off, off offset:304
	v_add_f64 v[149:150], v[149:150], v[38:39]
	v_add_f64 v[151:152], v[151:152], v[40:41]
	ds_load_b128 v[38:41], v1 offset:656
	s_waitcnt vmcnt(10) lgkmcnt(1)
	v_mul_f64 v[159:160], v[2:3], v[36:37]
	v_mul_f64 v[36:37], v[4:5], v[36:37]
	s_waitcnt vmcnt(8) lgkmcnt(0)
	v_mul_f64 v[153:154], v[38:39], v[143:144]
	v_add_f64 v[149:150], v[149:150], v[157:158]
	v_add_f64 v[151:152], v[151:152], v[155:156]
	v_mul_f64 v[155:156], v[40:41], v[143:144]
	v_fma_f64 v[157:158], v[4:5], v[34:35], v[159:160]
	v_fma_f64 v[159:160], v[2:3], v[34:35], -v[36:37]
	ds_load_b128 v[2:5], v1 offset:672
	scratch_load_b128 v[34:37], off, off offset:320
	v_fma_f64 v[153:154], v[40:41], v[141:142], v[153:154]
	v_add_f64 v[149:150], v[149:150], v[145:146]
	v_add_f64 v[147:148], v[151:152], v[147:148]
	ds_load_b128 v[143:146], v1 offset:688
	v_fma_f64 v[141:142], v[38:39], v[141:142], -v[155:156]
	scratch_load_b128 v[38:41], off, off offset:336
	s_waitcnt vmcnt(9) lgkmcnt(1)
	v_mul_f64 v[151:152], v[2:3], v[135:136]
	v_mul_f64 v[135:136], v[4:5], v[135:136]
	s_waitcnt vmcnt(8) lgkmcnt(0)
	v_mul_f64 v[155:156], v[143:144], v[8:9]
	v_mul_f64 v[8:9], v[145:146], v[8:9]
	v_add_f64 v[149:150], v[149:150], v[159:160]
	v_add_f64 v[147:148], v[147:148], v[157:158]
	v_fma_f64 v[151:152], v[4:5], v[133:134], v[151:152]
	v_fma_f64 v[157:158], v[2:3], v[133:134], -v[135:136]
	ds_load_b128 v[2:5], v1 offset:704
	scratch_load_b128 v[133:136], off, off offset:352
	v_fma_f64 v[145:146], v[145:146], v[6:7], v[155:156]
	v_fma_f64 v[143:144], v[143:144], v[6:7], -v[8:9]
	scratch_load_b128 v[6:9], off, off offset:368
	v_add_f64 v[141:142], v[149:150], v[141:142]
	v_add_f64 v[153:154], v[147:148], v[153:154]
	ds_load_b128 v[147:150], v1 offset:720
	s_waitcnt vmcnt(9) lgkmcnt(1)
	v_mul_f64 v[159:160], v[2:3], v[12:13]
	v_mul_f64 v[12:13], v[4:5], v[12:13]
	v_add_f64 v[141:142], v[141:142], v[157:158]
	v_add_f64 v[151:152], v[153:154], v[151:152]
	s_waitcnt vmcnt(8) lgkmcnt(0)
	v_mul_f64 v[153:154], v[147:148], v[16:17]
	v_mul_f64 v[16:17], v[149:150], v[16:17]
	v_fma_f64 v[155:156], v[4:5], v[10:11], v[159:160]
	v_fma_f64 v[157:158], v[2:3], v[10:11], -v[12:13]
	ds_load_b128 v[2:5], v1 offset:736
	scratch_load_b128 v[10:13], off, off offset:384
	v_add_f64 v[159:160], v[141:142], v[143:144]
	v_add_f64 v[145:146], v[151:152], v[145:146]
	ds_load_b128 v[141:144], v1 offset:752
	s_waitcnt vmcnt(8) lgkmcnt(1)
	v_mul_f64 v[151:152], v[2:3], v[20:21]
	v_mul_f64 v[20:21], v[4:5], v[20:21]
	v_fma_f64 v[149:150], v[149:150], v[14:15], v[153:154]
	v_fma_f64 v[147:148], v[147:148], v[14:15], -v[16:17]
	scratch_load_b128 v[14:17], off, off offset:400
	v_add_f64 v[153:154], v[159:160], v[157:158]
	v_add_f64 v[145:146], v[145:146], v[155:156]
	s_waitcnt vmcnt(8) lgkmcnt(0)
	v_mul_f64 v[155:156], v[141:142], v[24:25]
	v_mul_f64 v[24:25], v[143:144], v[24:25]
	v_fma_f64 v[151:152], v[4:5], v[18:19], v[151:152]
	v_fma_f64 v[157:158], v[2:3], v[18:19], -v[20:21]
	ds_load_b128 v[2:5], v1 offset:768
	scratch_load_b128 v[18:21], off, off offset:416
	v_add_f64 v[153:154], v[153:154], v[147:148]
	v_add_f64 v[149:150], v[145:146], v[149:150]
	ds_load_b128 v[145:148], v1 offset:784
	s_waitcnt vmcnt(8) lgkmcnt(1)
	v_mul_f64 v[159:160], v[2:3], v[28:29]
	v_mul_f64 v[28:29], v[4:5], v[28:29]
	v_fma_f64 v[143:144], v[143:144], v[22:23], v[155:156]
	v_fma_f64 v[141:142], v[141:142], v[22:23], -v[24:25]
	scratch_load_b128 v[22:25], off, off offset:432
	;; [unrolled: 18-line block ×3, first 2 shown]
	v_add_f64 v[151:152], v[153:154], v[157:158]
	v_add_f64 v[149:150], v[149:150], v[155:156]
	s_waitcnt vmcnt(8) lgkmcnt(0)
	v_mul_f64 v[153:154], v[141:142], v[40:41]
	v_mul_f64 v[40:41], v[143:144], v[40:41]
	v_fma_f64 v[155:156], v[4:5], v[34:35], v[159:160]
	v_fma_f64 v[157:158], v[2:3], v[34:35], -v[36:37]
	ds_load_b128 v[2:5], v1 offset:832
	ds_load_b128 v[34:37], v1 offset:848
	v_add_f64 v[145:146], v[151:152], v[145:146]
	v_add_f64 v[147:148], v[149:150], v[147:148]
	s_waitcnt vmcnt(7) lgkmcnt(1)
	v_mul_f64 v[149:150], v[2:3], v[135:136]
	v_mul_f64 v[135:136], v[4:5], v[135:136]
	v_fma_f64 v[143:144], v[143:144], v[38:39], v[153:154]
	v_fma_f64 v[38:39], v[141:142], v[38:39], -v[40:41]
	v_add_f64 v[40:41], v[145:146], v[157:158]
	v_add_f64 v[141:142], v[147:148], v[155:156]
	s_waitcnt vmcnt(6) lgkmcnt(0)
	v_mul_f64 v[145:146], v[34:35], v[8:9]
	v_mul_f64 v[8:9], v[36:37], v[8:9]
	v_fma_f64 v[147:148], v[4:5], v[133:134], v[149:150]
	v_fma_f64 v[133:134], v[2:3], v[133:134], -v[135:136]
	v_add_f64 v[135:136], v[40:41], v[38:39]
	v_add_f64 v[141:142], v[141:142], v[143:144]
	ds_load_b128 v[2:5], v1 offset:864
	ds_load_b128 v[38:41], v1 offset:880
	v_fma_f64 v[36:37], v[36:37], v[6:7], v[145:146]
	v_fma_f64 v[6:7], v[34:35], v[6:7], -v[8:9]
	s_waitcnt vmcnt(5) lgkmcnt(1)
	v_mul_f64 v[143:144], v[2:3], v[12:13]
	v_mul_f64 v[12:13], v[4:5], v[12:13]
	v_add_f64 v[8:9], v[135:136], v[133:134]
	v_add_f64 v[34:35], v[141:142], v[147:148]
	s_waitcnt vmcnt(4) lgkmcnt(0)
	v_mul_f64 v[133:134], v[38:39], v[16:17]
	v_mul_f64 v[16:17], v[40:41], v[16:17]
	v_fma_f64 v[135:136], v[4:5], v[10:11], v[143:144]
	v_fma_f64 v[10:11], v[2:3], v[10:11], -v[12:13]
	v_add_f64 v[12:13], v[8:9], v[6:7]
	v_add_f64 v[34:35], v[34:35], v[36:37]
	ds_load_b128 v[2:5], v1 offset:896
	ds_load_b128 v[6:9], v1 offset:912
	v_fma_f64 v[40:41], v[40:41], v[14:15], v[133:134]
	v_fma_f64 v[14:15], v[38:39], v[14:15], -v[16:17]
	s_waitcnt vmcnt(3) lgkmcnt(1)
	v_mul_f64 v[36:37], v[2:3], v[20:21]
	v_mul_f64 v[20:21], v[4:5], v[20:21]
	s_waitcnt vmcnt(2) lgkmcnt(0)
	v_mul_f64 v[16:17], v[6:7], v[24:25]
	v_mul_f64 v[24:25], v[8:9], v[24:25]
	v_add_f64 v[10:11], v[12:13], v[10:11]
	v_add_f64 v[12:13], v[34:35], v[135:136]
	v_fma_f64 v[34:35], v[4:5], v[18:19], v[36:37]
	v_fma_f64 v[18:19], v[2:3], v[18:19], -v[20:21]
	v_fma_f64 v[8:9], v[8:9], v[22:23], v[16:17]
	v_fma_f64 v[6:7], v[6:7], v[22:23], -v[24:25]
	v_add_f64 v[14:15], v[10:11], v[14:15]
	v_add_f64 v[20:21], v[12:13], v[40:41]
	ds_load_b128 v[2:5], v1 offset:928
	ds_load_b128 v[10:13], v1 offset:944
	s_waitcnt vmcnt(1) lgkmcnt(1)
	v_mul_f64 v[36:37], v[2:3], v[28:29]
	v_mul_f64 v[28:29], v[4:5], v[28:29]
	v_add_f64 v[14:15], v[14:15], v[18:19]
	v_add_f64 v[16:17], v[20:21], v[34:35]
	s_waitcnt vmcnt(0) lgkmcnt(0)
	v_mul_f64 v[18:19], v[10:11], v[32:33]
	v_mul_f64 v[20:21], v[12:13], v[32:33]
	v_fma_f64 v[4:5], v[4:5], v[26:27], v[36:37]
	v_fma_f64 v[1:2], v[2:3], v[26:27], -v[28:29]
	v_add_f64 v[6:7], v[14:15], v[6:7]
	v_add_f64 v[8:9], v[16:17], v[8:9]
	v_fma_f64 v[12:13], v[12:13], v[30:31], v[18:19]
	v_fma_f64 v[10:11], v[10:11], v[30:31], -v[20:21]
	s_delay_alu instid0(VALU_DEP_4) | instskip(NEXT) | instid1(VALU_DEP_4)
	v_add_f64 v[1:2], v[6:7], v[1:2]
	v_add_f64 v[3:4], v[8:9], v[4:5]
	s_delay_alu instid0(VALU_DEP_2) | instskip(NEXT) | instid1(VALU_DEP_2)
	v_add_f64 v[1:2], v[1:2], v[10:11]
	v_add_f64 v[3:4], v[3:4], v[12:13]
	s_delay_alu instid0(VALU_DEP_2) | instskip(NEXT) | instid1(VALU_DEP_2)
	v_add_f64 v[1:2], v[137:138], -v[1:2]
	v_add_f64 v[3:4], v[139:140], -v[3:4]
	scratch_store_b128 off, v[1:4], off offset:16
	v_cmpx_ne_u32_e32 0, v102
	s_cbranch_execz .LBB29_193
; %bb.192:
	scratch_load_b128 v[1:4], off, off
	v_mov_b32_e32 v5, 0
	s_delay_alu instid0(VALU_DEP_1)
	v_mov_b32_e32 v6, v5
	v_mov_b32_e32 v7, v5
	v_mov_b32_e32 v8, v5
	scratch_store_b128 off, v[5:8], off
	s_waitcnt vmcnt(0)
	ds_store_b128 v132, v[1:4]
.LBB29_193:
	s_or_b32 exec_lo, exec_lo, s2
	s_waitcnt lgkmcnt(0)
	s_waitcnt_vscnt null, 0x0
	s_barrier
	buffer_gl0_inv
	s_clause 0x7
	scratch_load_b128 v[1:4], off, off offset:16
	scratch_load_b128 v[5:8], off, off offset:32
	;; [unrolled: 1-line block ×8, first 2 shown]
	v_mov_b32_e32 v41, 0
	s_and_b32 vcc_lo, exec_lo, s20
	ds_load_b128 v[37:40], v41 offset:496
	s_clause 0x1
	scratch_load_b128 v[33:36], off, off offset:144
	scratch_load_b128 v[132:135], off, off
	ds_load_b128 v[136:139], v41 offset:512
	scratch_load_b128 v[140:143], off, off offset:160
	s_waitcnt vmcnt(10) lgkmcnt(1)
	v_mul_f64 v[144:145], v[39:40], v[3:4]
	v_mul_f64 v[3:4], v[37:38], v[3:4]
	s_delay_alu instid0(VALU_DEP_2) | instskip(NEXT) | instid1(VALU_DEP_2)
	v_fma_f64 v[150:151], v[37:38], v[1:2], -v[144:145]
	v_fma_f64 v[152:153], v[39:40], v[1:2], v[3:4]
	scratch_load_b128 v[37:40], off, off offset:176
	ds_load_b128 v[1:4], v41 offset:528
	s_waitcnt vmcnt(10) lgkmcnt(1)
	v_mul_f64 v[148:149], v[136:137], v[7:8]
	v_mul_f64 v[7:8], v[138:139], v[7:8]
	ds_load_b128 v[144:147], v41 offset:544
	s_waitcnt vmcnt(9) lgkmcnt(1)
	v_mul_f64 v[154:155], v[1:2], v[11:12]
	v_mul_f64 v[11:12], v[3:4], v[11:12]
	v_fma_f64 v[138:139], v[138:139], v[5:6], v[148:149]
	v_fma_f64 v[136:137], v[136:137], v[5:6], -v[7:8]
	v_add_f64 v[148:149], v[150:151], 0
	v_add_f64 v[150:151], v[152:153], 0
	scratch_load_b128 v[5:8], off, off offset:192
	v_fma_f64 v[154:155], v[3:4], v[9:10], v[154:155]
	v_fma_f64 v[156:157], v[1:2], v[9:10], -v[11:12]
	scratch_load_b128 v[9:12], off, off offset:208
	ds_load_b128 v[1:4], v41 offset:560
	s_waitcnt vmcnt(10) lgkmcnt(1)
	v_mul_f64 v[152:153], v[144:145], v[15:16]
	v_mul_f64 v[15:16], v[146:147], v[15:16]
	v_add_f64 v[148:149], v[148:149], v[136:137]
	v_add_f64 v[150:151], v[150:151], v[138:139]
	s_waitcnt vmcnt(9) lgkmcnt(0)
	v_mul_f64 v[158:159], v[1:2], v[19:20]
	v_mul_f64 v[19:20], v[3:4], v[19:20]
	ds_load_b128 v[136:139], v41 offset:576
	v_fma_f64 v[146:147], v[146:147], v[13:14], v[152:153]
	v_fma_f64 v[144:145], v[144:145], v[13:14], -v[15:16]
	scratch_load_b128 v[13:16], off, off offset:224
	v_add_f64 v[148:149], v[148:149], v[156:157]
	v_add_f64 v[150:151], v[150:151], v[154:155]
	v_fma_f64 v[154:155], v[3:4], v[17:18], v[158:159]
	v_fma_f64 v[156:157], v[1:2], v[17:18], -v[19:20]
	scratch_load_b128 v[17:20], off, off offset:240
	ds_load_b128 v[1:4], v41 offset:592
	s_waitcnt vmcnt(10) lgkmcnt(1)
	v_mul_f64 v[152:153], v[136:137], v[23:24]
	v_mul_f64 v[23:24], v[138:139], v[23:24]
	s_waitcnt vmcnt(9) lgkmcnt(0)
	v_mul_f64 v[158:159], v[1:2], v[27:28]
	v_mul_f64 v[27:28], v[3:4], v[27:28]
	v_add_f64 v[148:149], v[148:149], v[144:145]
	v_add_f64 v[150:151], v[150:151], v[146:147]
	ds_load_b128 v[144:147], v41 offset:608
	v_fma_f64 v[138:139], v[138:139], v[21:22], v[152:153]
	v_fma_f64 v[136:137], v[136:137], v[21:22], -v[23:24]
	scratch_load_b128 v[21:24], off, off offset:256
	v_add_f64 v[148:149], v[148:149], v[156:157]
	v_add_f64 v[150:151], v[150:151], v[154:155]
	v_fma_f64 v[154:155], v[3:4], v[25:26], v[158:159]
	v_fma_f64 v[156:157], v[1:2], v[25:26], -v[27:28]
	scratch_load_b128 v[25:28], off, off offset:272
	ds_load_b128 v[1:4], v41 offset:624
	s_waitcnt vmcnt(10) lgkmcnt(1)
	v_mul_f64 v[152:153], v[144:145], v[31:32]
	v_mul_f64 v[31:32], v[146:147], v[31:32]
	s_waitcnt vmcnt(9) lgkmcnt(0)
	v_mul_f64 v[158:159], v[1:2], v[35:36]
	v_mul_f64 v[35:36], v[3:4], v[35:36]
	v_add_f64 v[148:149], v[148:149], v[136:137]
	v_add_f64 v[150:151], v[150:151], v[138:139]
	ds_load_b128 v[136:139], v41 offset:640
	v_fma_f64 v[146:147], v[146:147], v[29:30], v[152:153]
	v_fma_f64 v[144:145], v[144:145], v[29:30], -v[31:32]
	scratch_load_b128 v[29:32], off, off offset:288
	v_add_f64 v[148:149], v[148:149], v[156:157]
	v_add_f64 v[150:151], v[150:151], v[154:155]
	v_fma_f64 v[156:157], v[3:4], v[33:34], v[158:159]
	v_fma_f64 v[158:159], v[1:2], v[33:34], -v[35:36]
	scratch_load_b128 v[33:36], off, off offset:304
	ds_load_b128 v[1:4], v41 offset:656
	s_waitcnt vmcnt(9) lgkmcnt(1)
	v_mul_f64 v[152:153], v[136:137], v[142:143]
	v_mul_f64 v[154:155], v[138:139], v[142:143]
	v_add_f64 v[148:149], v[148:149], v[144:145]
	v_add_f64 v[146:147], v[150:151], v[146:147]
	ds_load_b128 v[142:145], v41 offset:672
	v_fma_f64 v[152:153], v[138:139], v[140:141], v[152:153]
	v_fma_f64 v[140:141], v[136:137], v[140:141], -v[154:155]
	scratch_load_b128 v[136:139], off, off offset:320
	s_waitcnt vmcnt(9) lgkmcnt(1)
	v_mul_f64 v[150:151], v[1:2], v[39:40]
	v_mul_f64 v[39:40], v[3:4], v[39:40]
	v_add_f64 v[148:149], v[148:149], v[158:159]
	v_add_f64 v[146:147], v[146:147], v[156:157]
	s_delay_alu instid0(VALU_DEP_4) | instskip(NEXT) | instid1(VALU_DEP_4)
	v_fma_f64 v[150:151], v[3:4], v[37:38], v[150:151]
	v_fma_f64 v[156:157], v[1:2], v[37:38], -v[39:40]
	scratch_load_b128 v[37:40], off, off offset:336
	ds_load_b128 v[1:4], v41 offset:688
	s_waitcnt vmcnt(9) lgkmcnt(1)
	v_mul_f64 v[154:155], v[142:143], v[7:8]
	v_mul_f64 v[7:8], v[144:145], v[7:8]
	s_waitcnt vmcnt(8) lgkmcnt(0)
	v_mul_f64 v[158:159], v[1:2], v[11:12]
	v_mul_f64 v[11:12], v[3:4], v[11:12]
	v_add_f64 v[140:141], v[148:149], v[140:141]
	v_add_f64 v[152:153], v[146:147], v[152:153]
	ds_load_b128 v[146:149], v41 offset:704
	v_fma_f64 v[144:145], v[144:145], v[5:6], v[154:155]
	v_fma_f64 v[142:143], v[142:143], v[5:6], -v[7:8]
	scratch_load_b128 v[5:8], off, off offset:352
	v_fma_f64 v[154:155], v[3:4], v[9:10], v[158:159]
	v_add_f64 v[140:141], v[140:141], v[156:157]
	v_add_f64 v[150:151], v[152:153], v[150:151]
	v_fma_f64 v[156:157], v[1:2], v[9:10], -v[11:12]
	scratch_load_b128 v[9:12], off, off offset:368
	ds_load_b128 v[1:4], v41 offset:720
	s_waitcnt vmcnt(9) lgkmcnt(1)
	v_mul_f64 v[152:153], v[146:147], v[15:16]
	v_mul_f64 v[15:16], v[148:149], v[15:16]
	v_add_f64 v[158:159], v[140:141], v[142:143]
	v_add_f64 v[144:145], v[150:151], v[144:145]
	s_waitcnt vmcnt(8) lgkmcnt(0)
	v_mul_f64 v[150:151], v[1:2], v[19:20]
	v_mul_f64 v[19:20], v[3:4], v[19:20]
	ds_load_b128 v[140:143], v41 offset:736
	v_fma_f64 v[148:149], v[148:149], v[13:14], v[152:153]
	v_fma_f64 v[146:147], v[146:147], v[13:14], -v[15:16]
	scratch_load_b128 v[13:16], off, off offset:384
	v_add_f64 v[152:153], v[158:159], v[156:157]
	v_add_f64 v[144:145], v[144:145], v[154:155]
	v_fma_f64 v[150:151], v[3:4], v[17:18], v[150:151]
	v_fma_f64 v[156:157], v[1:2], v[17:18], -v[19:20]
	scratch_load_b128 v[17:20], off, off offset:400
	ds_load_b128 v[1:4], v41 offset:752
	s_waitcnt vmcnt(9) lgkmcnt(1)
	v_mul_f64 v[154:155], v[140:141], v[23:24]
	v_mul_f64 v[23:24], v[142:143], v[23:24]
	s_waitcnt vmcnt(8) lgkmcnt(0)
	v_mul_f64 v[158:159], v[1:2], v[27:28]
	v_mul_f64 v[27:28], v[3:4], v[27:28]
	v_add_f64 v[152:153], v[152:153], v[146:147]
	v_add_f64 v[148:149], v[144:145], v[148:149]
	ds_load_b128 v[144:147], v41 offset:768
	v_fma_f64 v[142:143], v[142:143], v[21:22], v[154:155]
	v_fma_f64 v[140:141], v[140:141], v[21:22], -v[23:24]
	scratch_load_b128 v[21:24], off, off offset:416
	v_fma_f64 v[154:155], v[3:4], v[25:26], v[158:159]
	v_add_f64 v[152:153], v[152:153], v[156:157]
	v_add_f64 v[148:149], v[148:149], v[150:151]
	v_fma_f64 v[156:157], v[1:2], v[25:26], -v[27:28]
	scratch_load_b128 v[25:28], off, off offset:432
	ds_load_b128 v[1:4], v41 offset:784
	s_waitcnt vmcnt(9) lgkmcnt(1)
	v_mul_f64 v[150:151], v[144:145], v[31:32]
	v_mul_f64 v[31:32], v[146:147], v[31:32]
	s_waitcnt vmcnt(8) lgkmcnt(0)
	v_mul_f64 v[158:159], v[1:2], v[35:36]
	v_mul_f64 v[35:36], v[3:4], v[35:36]
	v_add_f64 v[152:153], v[152:153], v[140:141]
	v_add_f64 v[148:149], v[148:149], v[142:143]
	ds_load_b128 v[140:143], v41 offset:800
	v_fma_f64 v[146:147], v[146:147], v[29:30], v[150:151]
	v_fma_f64 v[144:145], v[144:145], v[29:30], -v[31:32]
	scratch_load_b128 v[29:32], off, off offset:448
	v_add_f64 v[150:151], v[152:153], v[156:157]
	v_add_f64 v[148:149], v[148:149], v[154:155]
	v_fma_f64 v[154:155], v[3:4], v[33:34], v[158:159]
	v_fma_f64 v[156:157], v[1:2], v[33:34], -v[35:36]
	scratch_load_b128 v[33:36], off, off offset:464
	ds_load_b128 v[1:4], v41 offset:816
	s_waitcnt vmcnt(9) lgkmcnt(1)
	v_mul_f64 v[152:153], v[140:141], v[138:139]
	v_mul_f64 v[138:139], v[142:143], v[138:139]
	s_waitcnt vmcnt(8) lgkmcnt(0)
	v_mul_f64 v[158:159], v[1:2], v[39:40]
	v_mul_f64 v[39:40], v[3:4], v[39:40]
	v_add_f64 v[150:151], v[150:151], v[144:145]
	v_add_f64 v[148:149], v[148:149], v[146:147]
	ds_load_b128 v[144:147], v41 offset:832
	v_fma_f64 v[142:143], v[142:143], v[136:137], v[152:153]
	v_fma_f64 v[136:137], v[140:141], v[136:137], -v[138:139]
	v_fma_f64 v[152:153], v[1:2], v[37:38], -v[39:40]
	v_add_f64 v[138:139], v[150:151], v[156:157]
	v_add_f64 v[140:141], v[148:149], v[154:155]
	s_waitcnt vmcnt(7) lgkmcnt(0)
	v_mul_f64 v[148:149], v[144:145], v[7:8]
	v_mul_f64 v[7:8], v[146:147], v[7:8]
	v_fma_f64 v[150:151], v[3:4], v[37:38], v[158:159]
	ds_load_b128 v[1:4], v41 offset:848
	ds_load_b128 v[37:40], v41 offset:864
	v_add_f64 v[136:137], v[138:139], v[136:137]
	v_add_f64 v[138:139], v[140:141], v[142:143]
	s_waitcnt vmcnt(6) lgkmcnt(1)
	v_mul_f64 v[140:141], v[1:2], v[11:12]
	v_mul_f64 v[11:12], v[3:4], v[11:12]
	v_fma_f64 v[142:143], v[146:147], v[5:6], v[148:149]
	v_fma_f64 v[5:6], v[144:145], v[5:6], -v[7:8]
	v_add_f64 v[7:8], v[136:137], v[152:153]
	v_add_f64 v[136:137], v[138:139], v[150:151]
	s_waitcnt vmcnt(5) lgkmcnt(0)
	v_mul_f64 v[138:139], v[37:38], v[15:16]
	v_mul_f64 v[15:16], v[39:40], v[15:16]
	v_fma_f64 v[140:141], v[3:4], v[9:10], v[140:141]
	v_fma_f64 v[9:10], v[1:2], v[9:10], -v[11:12]
	v_add_f64 v[11:12], v[7:8], v[5:6]
	v_add_f64 v[136:137], v[136:137], v[142:143]
	ds_load_b128 v[1:4], v41 offset:880
	ds_load_b128 v[5:8], v41 offset:896
	v_fma_f64 v[39:40], v[39:40], v[13:14], v[138:139]
	v_fma_f64 v[13:14], v[37:38], v[13:14], -v[15:16]
	s_waitcnt vmcnt(4) lgkmcnt(1)
	v_mul_f64 v[142:143], v[1:2], v[19:20]
	v_mul_f64 v[19:20], v[3:4], v[19:20]
	s_waitcnt vmcnt(3) lgkmcnt(0)
	v_mul_f64 v[15:16], v[5:6], v[23:24]
	v_mul_f64 v[23:24], v[7:8], v[23:24]
	v_add_f64 v[9:10], v[11:12], v[9:10]
	v_add_f64 v[11:12], v[136:137], v[140:141]
	v_fma_f64 v[37:38], v[3:4], v[17:18], v[142:143]
	v_fma_f64 v[17:18], v[1:2], v[17:18], -v[19:20]
	v_fma_f64 v[7:8], v[7:8], v[21:22], v[15:16]
	v_fma_f64 v[5:6], v[5:6], v[21:22], -v[23:24]
	v_add_f64 v[13:14], v[9:10], v[13:14]
	v_add_f64 v[19:20], v[11:12], v[39:40]
	ds_load_b128 v[1:4], v41 offset:912
	ds_load_b128 v[9:12], v41 offset:928
	s_waitcnt vmcnt(2) lgkmcnt(1)
	v_mul_f64 v[39:40], v[1:2], v[27:28]
	v_mul_f64 v[27:28], v[3:4], v[27:28]
	v_add_f64 v[13:14], v[13:14], v[17:18]
	v_add_f64 v[15:16], v[19:20], v[37:38]
	s_waitcnt vmcnt(1) lgkmcnt(0)
	v_mul_f64 v[17:18], v[9:10], v[31:32]
	v_mul_f64 v[19:20], v[11:12], v[31:32]
	v_fma_f64 v[21:22], v[3:4], v[25:26], v[39:40]
	v_fma_f64 v[23:24], v[1:2], v[25:26], -v[27:28]
	ds_load_b128 v[1:4], v41 offset:944
	v_add_f64 v[5:6], v[13:14], v[5:6]
	v_add_f64 v[7:8], v[15:16], v[7:8]
	v_fma_f64 v[11:12], v[11:12], v[29:30], v[17:18]
	v_fma_f64 v[9:10], v[9:10], v[29:30], -v[19:20]
	s_waitcnt vmcnt(0) lgkmcnt(0)
	v_mul_f64 v[13:14], v[1:2], v[35:36]
	v_mul_f64 v[15:16], v[3:4], v[35:36]
	v_add_f64 v[5:6], v[5:6], v[23:24]
	v_add_f64 v[7:8], v[7:8], v[21:22]
	s_delay_alu instid0(VALU_DEP_4) | instskip(NEXT) | instid1(VALU_DEP_4)
	v_fma_f64 v[3:4], v[3:4], v[33:34], v[13:14]
	v_fma_f64 v[1:2], v[1:2], v[33:34], -v[15:16]
	s_delay_alu instid0(VALU_DEP_4) | instskip(NEXT) | instid1(VALU_DEP_4)
	v_add_f64 v[5:6], v[5:6], v[9:10]
	v_add_f64 v[7:8], v[7:8], v[11:12]
	s_delay_alu instid0(VALU_DEP_2) | instskip(NEXT) | instid1(VALU_DEP_2)
	v_add_f64 v[1:2], v[5:6], v[1:2]
	v_add_f64 v[3:4], v[7:8], v[3:4]
	s_delay_alu instid0(VALU_DEP_2) | instskip(NEXT) | instid1(VALU_DEP_2)
	v_add_f64 v[1:2], v[132:133], -v[1:2]
	v_add_f64 v[3:4], v[134:135], -v[3:4]
	scratch_store_b128 off, v[1:4], off
	s_cbranch_vccz .LBB29_253
; %bb.194:
	v_dual_mov_b32 v1, s16 :: v_dual_mov_b32 v2, s17
	s_load_b64 s[0:1], s[0:1], 0x4
	flat_load_b32 v1, v[1:2] offset:112
	v_bfe_u32 v2, v0, 10, 10
	v_bfe_u32 v0, v0, 20, 10
	s_waitcnt lgkmcnt(0)
	s_lshr_b32 s0, s0, 16
	s_delay_alu instid0(VALU_DEP_2) | instskip(SKIP_1) | instid1(SALU_CYCLE_1)
	v_mul_u32_u24_e32 v2, s1, v2
	s_mul_i32 s0, s0, s1
	v_mul_u32_u24_e32 v3, s0, v102
	s_mov_b32 s0, exec_lo
	s_delay_alu instid0(VALU_DEP_1) | instskip(NEXT) | instid1(VALU_DEP_1)
	v_add3_u32 v0, v3, v2, v0
	v_lshl_add_u32 v0, v0, 4, 0x3c8
	s_waitcnt vmcnt(0)
	v_cmpx_ne_u32_e32 29, v1
	s_cbranch_execz .LBB29_196
; %bb.195:
	v_lshl_add_u32 v9, v1, 4, 0
	s_clause 0x1
	scratch_load_b128 v[1:4], v126, off
	scratch_load_b128 v[5:8], v9, off offset:-16
	s_waitcnt vmcnt(1)
	ds_store_2addr_b64 v0, v[1:2], v[3:4] offset1:1
	s_waitcnt vmcnt(0)
	s_clause 0x1
	scratch_store_b128 v126, v[5:8], off
	scratch_store_b128 v9, v[1:4], off offset:-16
.LBB29_196:
	s_or_b32 exec_lo, exec_lo, s0
	v_dual_mov_b32 v1, s16 :: v_dual_mov_b32 v2, s17
	s_mov_b32 s0, exec_lo
	flat_load_b32 v1, v[1:2] offset:108
	s_waitcnt vmcnt(0) lgkmcnt(0)
	v_cmpx_ne_u32_e32 28, v1
	s_cbranch_execz .LBB29_198
; %bb.197:
	v_lshl_add_u32 v9, v1, 4, 0
	s_clause 0x1
	scratch_load_b128 v[1:4], v127, off
	scratch_load_b128 v[5:8], v9, off offset:-16
	s_waitcnt vmcnt(1)
	ds_store_2addr_b64 v0, v[1:2], v[3:4] offset1:1
	s_waitcnt vmcnt(0)
	s_clause 0x1
	scratch_store_b128 v127, v[5:8], off
	scratch_store_b128 v9, v[1:4], off offset:-16
.LBB29_198:
	s_or_b32 exec_lo, exec_lo, s0
	v_dual_mov_b32 v1, s16 :: v_dual_mov_b32 v2, s17
	s_mov_b32 s0, exec_lo
	flat_load_b32 v1, v[1:2] offset:104
	s_waitcnt vmcnt(0) lgkmcnt(0)
	v_cmpx_ne_u32_e32 27, v1
	s_cbranch_execz .LBB29_200
; %bb.199:
	v_lshl_add_u32 v9, v1, 4, 0
	s_clause 0x1
	scratch_load_b128 v[1:4], v128, off
	scratch_load_b128 v[5:8], v9, off offset:-16
	s_waitcnt vmcnt(1)
	ds_store_2addr_b64 v0, v[1:2], v[3:4] offset1:1
	s_waitcnt vmcnt(0)
	s_clause 0x1
	scratch_store_b128 v128, v[5:8], off
	scratch_store_b128 v9, v[1:4], off offset:-16
.LBB29_200:
	s_or_b32 exec_lo, exec_lo, s0
	v_dual_mov_b32 v1, s16 :: v_dual_mov_b32 v2, s17
	s_mov_b32 s0, exec_lo
	flat_load_b32 v1, v[1:2] offset:100
	s_waitcnt vmcnt(0) lgkmcnt(0)
	v_cmpx_ne_u32_e32 26, v1
	s_cbranch_execz .LBB29_202
; %bb.201:
	v_lshl_add_u32 v9, v1, 4, 0
	s_clause 0x1
	scratch_load_b128 v[1:4], v129, off
	scratch_load_b128 v[5:8], v9, off offset:-16
	s_waitcnt vmcnt(1)
	ds_store_2addr_b64 v0, v[1:2], v[3:4] offset1:1
	s_waitcnt vmcnt(0)
	s_clause 0x1
	scratch_store_b128 v129, v[5:8], off
	scratch_store_b128 v9, v[1:4], off offset:-16
.LBB29_202:
	s_or_b32 exec_lo, exec_lo, s0
	v_dual_mov_b32 v1, s16 :: v_dual_mov_b32 v2, s17
	s_mov_b32 s0, exec_lo
	flat_load_b32 v1, v[1:2] offset:96
	s_waitcnt vmcnt(0) lgkmcnt(0)
	v_cmpx_ne_u32_e32 25, v1
	s_cbranch_execz .LBB29_204
; %bb.203:
	v_lshl_add_u32 v9, v1, 4, 0
	s_clause 0x1
	scratch_load_b128 v[1:4], v130, off
	scratch_load_b128 v[5:8], v9, off offset:-16
	s_waitcnt vmcnt(1)
	ds_store_2addr_b64 v0, v[1:2], v[3:4] offset1:1
	s_waitcnt vmcnt(0)
	s_clause 0x1
	scratch_store_b128 v130, v[5:8], off
	scratch_store_b128 v9, v[1:4], off offset:-16
.LBB29_204:
	s_or_b32 exec_lo, exec_lo, s0
	v_dual_mov_b32 v1, s16 :: v_dual_mov_b32 v2, s17
	s_mov_b32 s0, exec_lo
	flat_load_b32 v1, v[1:2] offset:92
	s_waitcnt vmcnt(0) lgkmcnt(0)
	v_cmpx_ne_u32_e32 24, v1
	s_cbranch_execz .LBB29_206
; %bb.205:
	v_lshl_add_u32 v9, v1, 4, 0
	s_clause 0x1
	scratch_load_b128 v[1:4], v131, off
	scratch_load_b128 v[5:8], v9, off offset:-16
	s_waitcnt vmcnt(1)
	ds_store_2addr_b64 v0, v[1:2], v[3:4] offset1:1
	s_waitcnt vmcnt(0)
	s_clause 0x1
	scratch_store_b128 v131, v[5:8], off
	scratch_store_b128 v9, v[1:4], off offset:-16
.LBB29_206:
	s_or_b32 exec_lo, exec_lo, s0
	v_dual_mov_b32 v1, s16 :: v_dual_mov_b32 v2, s17
	s_mov_b32 s0, exec_lo
	flat_load_b32 v1, v[1:2] offset:88
	s_waitcnt vmcnt(0) lgkmcnt(0)
	v_cmpx_ne_u32_e32 23, v1
	s_cbranch_execz .LBB29_208
; %bb.207:
	v_lshl_add_u32 v9, v1, 4, 0
	s_clause 0x1
	scratch_load_b128 v[1:4], v107, off
	scratch_load_b128 v[5:8], v9, off offset:-16
	s_waitcnt vmcnt(1)
	ds_store_2addr_b64 v0, v[1:2], v[3:4] offset1:1
	s_waitcnt vmcnt(0)
	s_clause 0x1
	scratch_store_b128 v107, v[5:8], off
	scratch_store_b128 v9, v[1:4], off offset:-16
.LBB29_208:
	s_or_b32 exec_lo, exec_lo, s0
	v_dual_mov_b32 v1, s16 :: v_dual_mov_b32 v2, s17
	s_mov_b32 s0, exec_lo
	flat_load_b32 v1, v[1:2] offset:84
	s_waitcnt vmcnt(0) lgkmcnt(0)
	v_cmpx_ne_u32_e32 22, v1
	s_cbranch_execz .LBB29_210
; %bb.209:
	v_lshl_add_u32 v9, v1, 4, 0
	s_clause 0x1
	scratch_load_b128 v[1:4], v108, off
	scratch_load_b128 v[5:8], v9, off offset:-16
	s_waitcnt vmcnt(1)
	ds_store_2addr_b64 v0, v[1:2], v[3:4] offset1:1
	s_waitcnt vmcnt(0)
	s_clause 0x1
	scratch_store_b128 v108, v[5:8], off
	scratch_store_b128 v9, v[1:4], off offset:-16
.LBB29_210:
	s_or_b32 exec_lo, exec_lo, s0
	v_dual_mov_b32 v1, s16 :: v_dual_mov_b32 v2, s17
	s_mov_b32 s0, exec_lo
	flat_load_b32 v1, v[1:2] offset:80
	s_waitcnt vmcnt(0) lgkmcnt(0)
	v_cmpx_ne_u32_e32 21, v1
	s_cbranch_execz .LBB29_212
; %bb.211:
	v_lshl_add_u32 v9, v1, 4, 0
	s_clause 0x1
	scratch_load_b128 v[1:4], v109, off
	scratch_load_b128 v[5:8], v9, off offset:-16
	s_waitcnt vmcnt(1)
	ds_store_2addr_b64 v0, v[1:2], v[3:4] offset1:1
	s_waitcnt vmcnt(0)
	s_clause 0x1
	scratch_store_b128 v109, v[5:8], off
	scratch_store_b128 v9, v[1:4], off offset:-16
.LBB29_212:
	s_or_b32 exec_lo, exec_lo, s0
	v_dual_mov_b32 v1, s16 :: v_dual_mov_b32 v2, s17
	s_mov_b32 s0, exec_lo
	flat_load_b32 v1, v[1:2] offset:76
	s_waitcnt vmcnt(0) lgkmcnt(0)
	v_cmpx_ne_u32_e32 20, v1
	s_cbranch_execz .LBB29_214
; %bb.213:
	v_lshl_add_u32 v9, v1, 4, 0
	s_clause 0x1
	scratch_load_b128 v[1:4], v111, off
	scratch_load_b128 v[5:8], v9, off offset:-16
	s_waitcnt vmcnt(1)
	ds_store_2addr_b64 v0, v[1:2], v[3:4] offset1:1
	s_waitcnt vmcnt(0)
	s_clause 0x1
	scratch_store_b128 v111, v[5:8], off
	scratch_store_b128 v9, v[1:4], off offset:-16
.LBB29_214:
	s_or_b32 exec_lo, exec_lo, s0
	v_dual_mov_b32 v1, s16 :: v_dual_mov_b32 v2, s17
	s_mov_b32 s0, exec_lo
	flat_load_b32 v1, v[1:2] offset:72
	s_waitcnt vmcnt(0) lgkmcnt(0)
	v_cmpx_ne_u32_e32 19, v1
	s_cbranch_execz .LBB29_216
; %bb.215:
	v_lshl_add_u32 v9, v1, 4, 0
	s_clause 0x1
	scratch_load_b128 v[1:4], v110, off
	scratch_load_b128 v[5:8], v9, off offset:-16
	s_waitcnt vmcnt(1)
	ds_store_2addr_b64 v0, v[1:2], v[3:4] offset1:1
	s_waitcnt vmcnt(0)
	s_clause 0x1
	scratch_store_b128 v110, v[5:8], off
	scratch_store_b128 v9, v[1:4], off offset:-16
.LBB29_216:
	s_or_b32 exec_lo, exec_lo, s0
	v_dual_mov_b32 v1, s16 :: v_dual_mov_b32 v2, s17
	s_mov_b32 s0, exec_lo
	flat_load_b32 v1, v[1:2] offset:68
	s_waitcnt vmcnt(0) lgkmcnt(0)
	v_cmpx_ne_u32_e32 18, v1
	s_cbranch_execz .LBB29_218
; %bb.217:
	v_lshl_add_u32 v9, v1, 4, 0
	s_clause 0x1
	scratch_load_b128 v[1:4], v112, off
	scratch_load_b128 v[5:8], v9, off offset:-16
	s_waitcnt vmcnt(1)
	ds_store_2addr_b64 v0, v[1:2], v[3:4] offset1:1
	s_waitcnt vmcnt(0)
	s_clause 0x1
	scratch_store_b128 v112, v[5:8], off
	scratch_store_b128 v9, v[1:4], off offset:-16
.LBB29_218:
	s_or_b32 exec_lo, exec_lo, s0
	v_dual_mov_b32 v1, s16 :: v_dual_mov_b32 v2, s17
	s_mov_b32 s0, exec_lo
	flat_load_b32 v1, v[1:2] offset:64
	s_waitcnt vmcnt(0) lgkmcnt(0)
	v_cmpx_ne_u32_e32 17, v1
	s_cbranch_execz .LBB29_220
; %bb.219:
	v_lshl_add_u32 v9, v1, 4, 0
	s_clause 0x1
	scratch_load_b128 v[1:4], v113, off
	scratch_load_b128 v[5:8], v9, off offset:-16
	s_waitcnt vmcnt(1)
	ds_store_2addr_b64 v0, v[1:2], v[3:4] offset1:1
	s_waitcnt vmcnt(0)
	s_clause 0x1
	scratch_store_b128 v113, v[5:8], off
	scratch_store_b128 v9, v[1:4], off offset:-16
.LBB29_220:
	s_or_b32 exec_lo, exec_lo, s0
	v_dual_mov_b32 v1, s16 :: v_dual_mov_b32 v2, s17
	s_mov_b32 s0, exec_lo
	flat_load_b32 v1, v[1:2] offset:60
	s_waitcnt vmcnt(0) lgkmcnt(0)
	v_cmpx_ne_u32_e32 16, v1
	s_cbranch_execz .LBB29_222
; %bb.221:
	v_lshl_add_u32 v9, v1, 4, 0
	s_clause 0x1
	scratch_load_b128 v[1:4], v115, off
	scratch_load_b128 v[5:8], v9, off offset:-16
	s_waitcnt vmcnt(1)
	ds_store_2addr_b64 v0, v[1:2], v[3:4] offset1:1
	s_waitcnt vmcnt(0)
	s_clause 0x1
	scratch_store_b128 v115, v[5:8], off
	scratch_store_b128 v9, v[1:4], off offset:-16
.LBB29_222:
	s_or_b32 exec_lo, exec_lo, s0
	v_dual_mov_b32 v1, s16 :: v_dual_mov_b32 v2, s17
	s_mov_b32 s0, exec_lo
	flat_load_b32 v1, v[1:2] offset:56
	s_waitcnt vmcnt(0) lgkmcnt(0)
	v_cmpx_ne_u32_e32 15, v1
	s_cbranch_execz .LBB29_224
; %bb.223:
	v_lshl_add_u32 v9, v1, 4, 0
	s_clause 0x1
	scratch_load_b128 v[1:4], v114, off
	scratch_load_b128 v[5:8], v9, off offset:-16
	s_waitcnt vmcnt(1)
	ds_store_2addr_b64 v0, v[1:2], v[3:4] offset1:1
	s_waitcnt vmcnt(0)
	s_clause 0x1
	scratch_store_b128 v114, v[5:8], off
	scratch_store_b128 v9, v[1:4], off offset:-16
.LBB29_224:
	s_or_b32 exec_lo, exec_lo, s0
	v_dual_mov_b32 v1, s16 :: v_dual_mov_b32 v2, s17
	s_mov_b32 s0, exec_lo
	flat_load_b32 v1, v[1:2] offset:52
	s_waitcnt vmcnt(0) lgkmcnt(0)
	v_cmpx_ne_u32_e32 14, v1
	s_cbranch_execz .LBB29_226
; %bb.225:
	v_lshl_add_u32 v9, v1, 4, 0
	s_clause 0x1
	scratch_load_b128 v[1:4], v116, off
	scratch_load_b128 v[5:8], v9, off offset:-16
	s_waitcnt vmcnt(1)
	ds_store_2addr_b64 v0, v[1:2], v[3:4] offset1:1
	s_waitcnt vmcnt(0)
	s_clause 0x1
	scratch_store_b128 v116, v[5:8], off
	scratch_store_b128 v9, v[1:4], off offset:-16
.LBB29_226:
	s_or_b32 exec_lo, exec_lo, s0
	v_dual_mov_b32 v1, s16 :: v_dual_mov_b32 v2, s17
	s_mov_b32 s0, exec_lo
	flat_load_b32 v1, v[1:2] offset:48
	s_waitcnt vmcnt(0) lgkmcnt(0)
	v_cmpx_ne_u32_e32 13, v1
	s_cbranch_execz .LBB29_228
; %bb.227:
	v_lshl_add_u32 v9, v1, 4, 0
	s_clause 0x1
	scratch_load_b128 v[1:4], v117, off
	scratch_load_b128 v[5:8], v9, off offset:-16
	s_waitcnt vmcnt(1)
	ds_store_2addr_b64 v0, v[1:2], v[3:4] offset1:1
	s_waitcnt vmcnt(0)
	s_clause 0x1
	scratch_store_b128 v117, v[5:8], off
	scratch_store_b128 v9, v[1:4], off offset:-16
.LBB29_228:
	s_or_b32 exec_lo, exec_lo, s0
	v_dual_mov_b32 v1, s16 :: v_dual_mov_b32 v2, s17
	s_mov_b32 s0, exec_lo
	flat_load_b32 v1, v[1:2] offset:44
	s_waitcnt vmcnt(0) lgkmcnt(0)
	v_cmpx_ne_u32_e32 12, v1
	s_cbranch_execz .LBB29_230
; %bb.229:
	v_lshl_add_u32 v9, v1, 4, 0
	s_clause 0x1
	scratch_load_b128 v[1:4], v119, off
	scratch_load_b128 v[5:8], v9, off offset:-16
	s_waitcnt vmcnt(1)
	ds_store_2addr_b64 v0, v[1:2], v[3:4] offset1:1
	s_waitcnt vmcnt(0)
	s_clause 0x1
	scratch_store_b128 v119, v[5:8], off
	scratch_store_b128 v9, v[1:4], off offset:-16
.LBB29_230:
	s_or_b32 exec_lo, exec_lo, s0
	v_dual_mov_b32 v1, s16 :: v_dual_mov_b32 v2, s17
	s_mov_b32 s0, exec_lo
	flat_load_b32 v1, v[1:2] offset:40
	s_waitcnt vmcnt(0) lgkmcnt(0)
	v_cmpx_ne_u32_e32 11, v1
	s_cbranch_execz .LBB29_232
; %bb.231:
	v_lshl_add_u32 v9, v1, 4, 0
	s_clause 0x1
	scratch_load_b128 v[1:4], v118, off
	scratch_load_b128 v[5:8], v9, off offset:-16
	s_waitcnt vmcnt(1)
	ds_store_2addr_b64 v0, v[1:2], v[3:4] offset1:1
	s_waitcnt vmcnt(0)
	s_clause 0x1
	scratch_store_b128 v118, v[5:8], off
	scratch_store_b128 v9, v[1:4], off offset:-16
.LBB29_232:
	s_or_b32 exec_lo, exec_lo, s0
	v_dual_mov_b32 v1, s16 :: v_dual_mov_b32 v2, s17
	s_mov_b32 s0, exec_lo
	flat_load_b32 v1, v[1:2] offset:36
	s_waitcnt vmcnt(0) lgkmcnt(0)
	v_cmpx_ne_u32_e32 10, v1
	s_cbranch_execz .LBB29_234
; %bb.233:
	v_lshl_add_u32 v9, v1, 4, 0
	s_clause 0x1
	scratch_load_b128 v[1:4], v120, off
	scratch_load_b128 v[5:8], v9, off offset:-16
	s_waitcnt vmcnt(1)
	ds_store_2addr_b64 v0, v[1:2], v[3:4] offset1:1
	s_waitcnt vmcnt(0)
	s_clause 0x1
	scratch_store_b128 v120, v[5:8], off
	scratch_store_b128 v9, v[1:4], off offset:-16
.LBB29_234:
	s_or_b32 exec_lo, exec_lo, s0
	v_dual_mov_b32 v1, s16 :: v_dual_mov_b32 v2, s17
	s_mov_b32 s0, exec_lo
	flat_load_b32 v1, v[1:2] offset:32
	s_waitcnt vmcnt(0) lgkmcnt(0)
	v_cmpx_ne_u32_e32 9, v1
	s_cbranch_execz .LBB29_236
; %bb.235:
	v_lshl_add_u32 v9, v1, 4, 0
	s_clause 0x1
	scratch_load_b128 v[1:4], v121, off
	scratch_load_b128 v[5:8], v9, off offset:-16
	s_waitcnt vmcnt(1)
	ds_store_2addr_b64 v0, v[1:2], v[3:4] offset1:1
	s_waitcnt vmcnt(0)
	s_clause 0x1
	scratch_store_b128 v121, v[5:8], off
	scratch_store_b128 v9, v[1:4], off offset:-16
.LBB29_236:
	s_or_b32 exec_lo, exec_lo, s0
	v_dual_mov_b32 v1, s16 :: v_dual_mov_b32 v2, s17
	s_mov_b32 s0, exec_lo
	flat_load_b32 v1, v[1:2] offset:28
	s_waitcnt vmcnt(0) lgkmcnt(0)
	v_cmpx_ne_u32_e32 8, v1
	s_cbranch_execz .LBB29_238
; %bb.237:
	v_lshl_add_u32 v9, v1, 4, 0
	s_clause 0x1
	scratch_load_b128 v[1:4], v123, off
	scratch_load_b128 v[5:8], v9, off offset:-16
	s_waitcnt vmcnt(1)
	ds_store_2addr_b64 v0, v[1:2], v[3:4] offset1:1
	s_waitcnt vmcnt(0)
	s_clause 0x1
	scratch_store_b128 v123, v[5:8], off
	scratch_store_b128 v9, v[1:4], off offset:-16
.LBB29_238:
	s_or_b32 exec_lo, exec_lo, s0
	v_dual_mov_b32 v1, s16 :: v_dual_mov_b32 v2, s17
	s_mov_b32 s0, exec_lo
	flat_load_b32 v1, v[1:2] offset:24
	s_waitcnt vmcnt(0) lgkmcnt(0)
	v_cmpx_ne_u32_e32 7, v1
	s_cbranch_execz .LBB29_240
; %bb.239:
	v_lshl_add_u32 v9, v1, 4, 0
	s_clause 0x1
	scratch_load_b128 v[1:4], v122, off
	scratch_load_b128 v[5:8], v9, off offset:-16
	s_waitcnt vmcnt(1)
	ds_store_2addr_b64 v0, v[1:2], v[3:4] offset1:1
	s_waitcnt vmcnt(0)
	s_clause 0x1
	scratch_store_b128 v122, v[5:8], off
	scratch_store_b128 v9, v[1:4], off offset:-16
.LBB29_240:
	s_or_b32 exec_lo, exec_lo, s0
	v_dual_mov_b32 v1, s16 :: v_dual_mov_b32 v2, s17
	s_mov_b32 s0, exec_lo
	flat_load_b32 v1, v[1:2] offset:20
	s_waitcnt vmcnt(0) lgkmcnt(0)
	v_cmpx_ne_u32_e32 6, v1
	s_cbranch_execz .LBB29_242
; %bb.241:
	v_lshl_add_u32 v9, v1, 4, 0
	s_clause 0x1
	scratch_load_b128 v[1:4], v124, off
	scratch_load_b128 v[5:8], v9, off offset:-16
	s_waitcnt vmcnt(1)
	ds_store_2addr_b64 v0, v[1:2], v[3:4] offset1:1
	s_waitcnt vmcnt(0)
	s_clause 0x1
	scratch_store_b128 v124, v[5:8], off
	scratch_store_b128 v9, v[1:4], off offset:-16
.LBB29_242:
	s_or_b32 exec_lo, exec_lo, s0
	v_dual_mov_b32 v1, s16 :: v_dual_mov_b32 v2, s17
	s_mov_b32 s0, exec_lo
	flat_load_b32 v1, v[1:2] offset:16
	s_waitcnt vmcnt(0) lgkmcnt(0)
	v_cmpx_ne_u32_e32 5, v1
	s_cbranch_execz .LBB29_244
; %bb.243:
	v_lshl_add_u32 v9, v1, 4, 0
	s_clause 0x1
	scratch_load_b128 v[1:4], v103, off
	scratch_load_b128 v[5:8], v9, off offset:-16
	s_waitcnt vmcnt(1)
	ds_store_2addr_b64 v0, v[1:2], v[3:4] offset1:1
	s_waitcnt vmcnt(0)
	s_clause 0x1
	scratch_store_b128 v103, v[5:8], off
	scratch_store_b128 v9, v[1:4], off offset:-16
.LBB29_244:
	s_or_b32 exec_lo, exec_lo, s0
	v_dual_mov_b32 v1, s16 :: v_dual_mov_b32 v2, s17
	s_mov_b32 s0, exec_lo
	flat_load_b32 v1, v[1:2] offset:12
	s_waitcnt vmcnt(0) lgkmcnt(0)
	v_cmpx_ne_u32_e32 4, v1
	s_cbranch_execz .LBB29_246
; %bb.245:
	v_lshl_add_u32 v9, v1, 4, 0
	s_clause 0x1
	scratch_load_b128 v[1:4], v105, off
	scratch_load_b128 v[5:8], v9, off offset:-16
	s_waitcnt vmcnt(1)
	ds_store_2addr_b64 v0, v[1:2], v[3:4] offset1:1
	s_waitcnt vmcnt(0)
	s_clause 0x1
	scratch_store_b128 v105, v[5:8], off
	scratch_store_b128 v9, v[1:4], off offset:-16
.LBB29_246:
	s_or_b32 exec_lo, exec_lo, s0
	v_dual_mov_b32 v1, s16 :: v_dual_mov_b32 v2, s17
	s_mov_b32 s0, exec_lo
	flat_load_b32 v1, v[1:2] offset:8
	s_waitcnt vmcnt(0) lgkmcnt(0)
	v_cmpx_ne_u32_e32 3, v1
	s_cbranch_execz .LBB29_248
; %bb.247:
	v_lshl_add_u32 v9, v1, 4, 0
	s_clause 0x1
	scratch_load_b128 v[1:4], v104, off
	scratch_load_b128 v[5:8], v9, off offset:-16
	s_waitcnt vmcnt(1)
	ds_store_2addr_b64 v0, v[1:2], v[3:4] offset1:1
	s_waitcnt vmcnt(0)
	s_clause 0x1
	scratch_store_b128 v104, v[5:8], off
	scratch_store_b128 v9, v[1:4], off offset:-16
.LBB29_248:
	s_or_b32 exec_lo, exec_lo, s0
	v_dual_mov_b32 v1, s16 :: v_dual_mov_b32 v2, s17
	s_mov_b32 s0, exec_lo
	flat_load_b32 v1, v[1:2] offset:4
	s_waitcnt vmcnt(0) lgkmcnt(0)
	v_cmpx_ne_u32_e32 2, v1
	s_cbranch_execz .LBB29_250
; %bb.249:
	v_lshl_add_u32 v9, v1, 4, 0
	s_clause 0x1
	scratch_load_b128 v[1:4], v106, off
	scratch_load_b128 v[5:8], v9, off offset:-16
	s_waitcnt vmcnt(1)
	ds_store_2addr_b64 v0, v[1:2], v[3:4] offset1:1
	s_waitcnt vmcnt(0)
	s_clause 0x1
	scratch_store_b128 v106, v[5:8], off
	scratch_store_b128 v9, v[1:4], off offset:-16
.LBB29_250:
	s_or_b32 exec_lo, exec_lo, s0
	v_dual_mov_b32 v1, s16 :: v_dual_mov_b32 v2, s17
	s_mov_b32 s0, exec_lo
	flat_load_b32 v1, v[1:2]
	s_waitcnt vmcnt(0) lgkmcnt(0)
	v_cmpx_ne_u32_e32 1, v1
	s_cbranch_execz .LBB29_252
; %bb.251:
	v_lshl_add_u32 v9, v1, 4, 0
	scratch_load_b128 v[1:4], off, off
	scratch_load_b128 v[5:8], v9, off offset:-16
	s_waitcnt vmcnt(1)
	ds_store_2addr_b64 v0, v[1:2], v[3:4] offset1:1
	s_waitcnt vmcnt(0)
	scratch_store_b128 off, v[5:8], off
	scratch_store_b128 v9, v[1:4], off offset:-16
.LBB29_252:
	s_or_b32 exec_lo, exec_lo, s0
.LBB29_253:
	scratch_load_b128 v[0:3], off, off
	s_clause 0x16
	scratch_load_b128 v[4:7], v106, off
	scratch_load_b128 v[8:11], v104, off
	;; [unrolled: 1-line block ×23, first 2 shown]
	s_waitcnt vmcnt(23)
	global_store_b128 v[42:43], v[0:3], off
	s_clause 0x1
	scratch_load_b128 v[0:3], v130, off
	scratch_load_b128 v[40:43], v129, off
	s_waitcnt vmcnt(24)
	global_store_b128 v[44:45], v[4:7], off
	s_clause 0x1
	scratch_load_b128 v[4:7], v128, off
	scratch_load_b128 v[127:130], v127, off
	;; [unrolled: 5-line block ×3, first 2 shown]
	s_waitcnt vmcnt(26)
	global_store_b128 v[48:49], v[12:15], off
	s_waitcnt vmcnt(25)
	global_store_b128 v[50:51], v[16:19], off
	;; [unrolled: 2-line block ×27, first 2 shown]
	s_endpgm
	.section	.rodata,"a",@progbits
	.p2align	6, 0x0
	.amdhsa_kernel _ZN9rocsolver6v33100L18getri_kernel_smallILi30E19rocblas_complex_numIdEPS3_EEvT1_iilPiilS6_bb
		.amdhsa_group_segment_fixed_size 1992
		.amdhsa_private_segment_fixed_size 496
		.amdhsa_kernarg_size 60
		.amdhsa_user_sgpr_count 15
		.amdhsa_user_sgpr_dispatch_ptr 1
		.amdhsa_user_sgpr_queue_ptr 0
		.amdhsa_user_sgpr_kernarg_segment_ptr 1
		.amdhsa_user_sgpr_dispatch_id 0
		.amdhsa_user_sgpr_private_segment_size 0
		.amdhsa_wavefront_size32 1
		.amdhsa_uses_dynamic_stack 0
		.amdhsa_enable_private_segment 1
		.amdhsa_system_sgpr_workgroup_id_x 1
		.amdhsa_system_sgpr_workgroup_id_y 0
		.amdhsa_system_sgpr_workgroup_id_z 0
		.amdhsa_system_sgpr_workgroup_info 0
		.amdhsa_system_vgpr_workitem_id 2
		.amdhsa_next_free_vgpr 185
		.amdhsa_next_free_sgpr 36
		.amdhsa_reserve_vcc 1
		.amdhsa_float_round_mode_32 0
		.amdhsa_float_round_mode_16_64 0
		.amdhsa_float_denorm_mode_32 3
		.amdhsa_float_denorm_mode_16_64 3
		.amdhsa_dx10_clamp 1
		.amdhsa_ieee_mode 1
		.amdhsa_fp16_overflow 0
		.amdhsa_workgroup_processor_mode 1
		.amdhsa_memory_ordered 1
		.amdhsa_forward_progress 0
		.amdhsa_shared_vgpr_count 0
		.amdhsa_exception_fp_ieee_invalid_op 0
		.amdhsa_exception_fp_denorm_src 0
		.amdhsa_exception_fp_ieee_div_zero 0
		.amdhsa_exception_fp_ieee_overflow 0
		.amdhsa_exception_fp_ieee_underflow 0
		.amdhsa_exception_fp_ieee_inexact 0
		.amdhsa_exception_int_div_zero 0
	.end_amdhsa_kernel
	.section	.text._ZN9rocsolver6v33100L18getri_kernel_smallILi30E19rocblas_complex_numIdEPS3_EEvT1_iilPiilS6_bb,"axG",@progbits,_ZN9rocsolver6v33100L18getri_kernel_smallILi30E19rocblas_complex_numIdEPS3_EEvT1_iilPiilS6_bb,comdat
.Lfunc_end29:
	.size	_ZN9rocsolver6v33100L18getri_kernel_smallILi30E19rocblas_complex_numIdEPS3_EEvT1_iilPiilS6_bb, .Lfunc_end29-_ZN9rocsolver6v33100L18getri_kernel_smallILi30E19rocblas_complex_numIdEPS3_EEvT1_iilPiilS6_bb
                                        ; -- End function
	.section	.AMDGPU.csdata,"",@progbits
; Kernel info:
; codeLenInByte = 48404
; NumSgprs: 38
; NumVgprs: 185
; ScratchSize: 496
; MemoryBound: 0
; FloatMode: 240
; IeeeMode: 1
; LDSByteSize: 1992 bytes/workgroup (compile time only)
; SGPRBlocks: 4
; VGPRBlocks: 23
; NumSGPRsForWavesPerEU: 38
; NumVGPRsForWavesPerEU: 185
; Occupancy: 8
; WaveLimiterHint : 1
; COMPUTE_PGM_RSRC2:SCRATCH_EN: 1
; COMPUTE_PGM_RSRC2:USER_SGPR: 15
; COMPUTE_PGM_RSRC2:TRAP_HANDLER: 0
; COMPUTE_PGM_RSRC2:TGID_X_EN: 1
; COMPUTE_PGM_RSRC2:TGID_Y_EN: 0
; COMPUTE_PGM_RSRC2:TGID_Z_EN: 0
; COMPUTE_PGM_RSRC2:TIDIG_COMP_CNT: 2
	.section	.text._ZN9rocsolver6v33100L18getri_kernel_smallILi31E19rocblas_complex_numIdEPS3_EEvT1_iilPiilS6_bb,"axG",@progbits,_ZN9rocsolver6v33100L18getri_kernel_smallILi31E19rocblas_complex_numIdEPS3_EEvT1_iilPiilS6_bb,comdat
	.globl	_ZN9rocsolver6v33100L18getri_kernel_smallILi31E19rocblas_complex_numIdEPS3_EEvT1_iilPiilS6_bb ; -- Begin function _ZN9rocsolver6v33100L18getri_kernel_smallILi31E19rocblas_complex_numIdEPS3_EEvT1_iilPiilS6_bb
	.p2align	8
	.type	_ZN9rocsolver6v33100L18getri_kernel_smallILi31E19rocblas_complex_numIdEPS3_EEvT1_iilPiilS6_bb,@function
_ZN9rocsolver6v33100L18getri_kernel_smallILi31E19rocblas_complex_numIdEPS3_EEvT1_iilPiilS6_bb: ; @_ZN9rocsolver6v33100L18getri_kernel_smallILi31E19rocblas_complex_numIdEPS3_EEvT1_iilPiilS6_bb
; %bb.0:
	v_and_b32_e32 v108, 0x3ff, v0
	s_mov_b32 s4, exec_lo
	s_delay_alu instid0(VALU_DEP_1)
	v_cmpx_gt_u32_e32 31, v108
	s_cbranch_execz .LBB30_138
; %bb.1:
	s_mov_b32 s18, s15
	s_clause 0x2
	s_load_b32 s21, s[2:3], 0x38
	s_load_b128 s[12:15], s[2:3], 0x10
	s_load_b128 s[4:7], s[2:3], 0x28
                                        ; implicit-def: $sgpr16_sgpr17
	s_waitcnt lgkmcnt(0)
	s_bitcmp1_b32 s21, 8
	s_cselect_b32 s20, -1, 0
	s_bfe_u32 s8, s21, 0x10008
	s_ashr_i32 s19, s18, 31
	s_cmp_eq_u32 s8, 0
	s_cbranch_scc1 .LBB30_3
; %bb.2:
	s_load_b32 s8, s[2:3], 0x20
	s_mul_i32 s5, s18, s5
	s_mul_hi_u32 s9, s18, s4
	s_mul_i32 s10, s19, s4
	s_add_i32 s5, s9, s5
	s_mul_i32 s4, s18, s4
	s_add_i32 s5, s5, s10
	s_delay_alu instid0(SALU_CYCLE_1)
	s_lshl_b64 s[4:5], s[4:5], 2
	s_waitcnt lgkmcnt(0)
	s_ashr_i32 s9, s8, 31
	s_add_u32 s10, s14, s4
	s_addc_u32 s11, s15, s5
	s_lshl_b64 s[4:5], s[8:9], 2
	s_delay_alu instid0(SALU_CYCLE_1)
	s_add_u32 s16, s10, s4
	s_addc_u32 s17, s11, s5
.LBB30_3:
	s_load_b128 s[8:11], s[2:3], 0x0
	s_mul_i32 s2, s18, s13
	s_mul_hi_u32 s3, s18, s12
	s_mul_i32 s4, s19, s12
	s_add_i32 s3, s3, s2
	s_mul_i32 s2, s18, s12
	s_add_i32 s3, s3, s4
	v_lshlrev_b32_e32 v25, 4, v108
	s_lshl_b64 s[2:3], s[2:3], 4
	s_movk_i32 s12, 0xc0
	s_movk_i32 s13, 0xd0
	;; [unrolled: 1-line block ×11, first 2 shown]
	s_waitcnt lgkmcnt(0)
	v_add3_u32 v5, s11, s11, v108
	s_ashr_i32 s5, s10, 31
	s_mov_b32 s4, s10
	s_add_u32 s8, s8, s2
	s_addc_u32 s9, s9, s3
	v_add_nc_u32_e32 v7, s11, v5
	s_lshl_b64 s[2:3], s[4:5], 4
	v_ashrrev_i32_e32 v6, 31, v5
	s_add_u32 s2, s8, s2
	s_addc_u32 s3, s9, s3
	v_add_nc_u32_e32 v13, s11, v7
	v_add_co_u32 v46, s8, s2, v25
	v_ashrrev_i32_e32 v8, 31, v7
	s_mov_b32 s4, s11
	s_ashr_i32 s5, s11, 31
	v_add_co_ci_u32_e64 v47, null, s3, 0, s8
	v_lshlrev_b64 v[5:6], 4, v[5:6]
	s_lshl_b64 s[4:5], s[4:5], 4
	v_add_nc_u32_e32 v26, s11, v13
	v_add_co_u32 v50, vcc_lo, v46, s4
	v_ashrrev_i32_e32 v14, 31, v13
	v_lshlrev_b64 v[15:16], 4, v[7:8]
	v_add_co_ci_u32_e32 v51, vcc_lo, s5, v47, vcc_lo
	v_add_co_u32 v48, vcc_lo, s2, v5
	v_ashrrev_i32_e32 v27, 31, v26
	v_add_co_ci_u32_e32 v49, vcc_lo, s3, v6, vcc_lo
	v_lshlrev_b64 v[13:14], 4, v[13:14]
	v_add_co_u32 v52, vcc_lo, s2, v15
	v_add_co_ci_u32_e32 v53, vcc_lo, s3, v16, vcc_lo
	v_lshlrev_b64 v[15:16], 4, v[26:27]
	s_delay_alu instid0(VALU_DEP_4)
	v_add_co_u32 v54, vcc_lo, s2, v13
	v_add_co_ci_u32_e32 v55, vcc_lo, s3, v14, vcc_lo
	global_load_b128 v[1:4], v25, s[2:3]
	v_add_co_u32 v56, vcc_lo, s2, v15
	s_clause 0x1
	global_load_b128 v[9:12], v[50:51], off
	global_load_b128 v[5:8], v[48:49], off
	v_add_co_ci_u32_e32 v57, vcc_lo, s3, v16, vcc_lo
	s_clause 0x2
	global_load_b128 v[17:20], v[52:53], off
	global_load_b128 v[13:16], v[54:55], off
	;; [unrolled: 1-line block ×3, first 2 shown]
	v_add_nc_u32_e32 v26, s11, v26
	s_movk_i32 s4, 0x60
	s_movk_i32 s5, 0x70
	s_movk_i32 s8, 0x80
	s_movk_i32 s9, 0x90
	v_add_nc_u32_e32 v28, s11, v26
	v_ashrrev_i32_e32 v27, 31, v26
	s_movk_i32 s10, 0xa0
	s_movk_i32 s29, 0x170
	;; [unrolled: 1-line block ×3, first 2 shown]
	v_add_nc_u32_e32 v30, s11, v28
	v_ashrrev_i32_e32 v29, 31, v28
	v_lshlrev_b64 v[26:27], 4, v[26:27]
	s_movk_i32 s31, 0x190
	s_movk_i32 s33, 0x1a0
	v_add_nc_u32_e32 v32, s11, v30
	v_ashrrev_i32_e32 v31, 31, v30
	v_lshlrev_b64 v[28:29], 4, v[28:29]
	v_add_co_u32 v58, vcc_lo, s2, v26
	s_delay_alu instid0(VALU_DEP_4) | instskip(SKIP_3) | instid1(VALU_DEP_4)
	v_add_nc_u32_e32 v34, s11, v32
	v_ashrrev_i32_e32 v33, 31, v32
	v_lshlrev_b64 v[30:31], 4, v[30:31]
	v_add_co_ci_u32_e32 v59, vcc_lo, s3, v27, vcc_lo
	v_add_nc_u32_e32 v38, s11, v34
	v_ashrrev_i32_e32 v35, 31, v34
	v_add_co_u32 v60, vcc_lo, s2, v28
	v_lshlrev_b64 v[32:33], 4, v[32:33]
	s_delay_alu instid0(VALU_DEP_4) | instskip(SKIP_3) | instid1(VALU_DEP_4)
	v_add_nc_u32_e32 v42, s11, v38
	v_ashrrev_i32_e32 v39, 31, v38
	v_add_co_ci_u32_e32 v61, vcc_lo, s3, v29, vcc_lo
	v_add_co_u32 v62, vcc_lo, s2, v30
	v_add_nc_u32_e32 v70, s11, v42
	v_lshlrev_b64 v[40:41], 4, v[34:35]
	v_ashrrev_i32_e32 v43, 31, v42
	v_add_co_ci_u32_e32 v63, vcc_lo, s3, v31, vcc_lo
	s_delay_alu instid0(VALU_DEP_4)
	v_add_nc_u32_e32 v74, s11, v70
	v_add_co_u32 v64, vcc_lo, s2, v32
	v_lshlrev_b64 v[38:39], 4, v[38:39]
	v_ashrrev_i32_e32 v71, 31, v70
	v_add_co_ci_u32_e32 v65, vcc_lo, s3, v33, vcc_lo
	v_add_co_u32 v66, vcc_lo, s2, v40
	v_lshlrev_b64 v[72:73], 4, v[42:43]
	v_add_nc_u32_e32 v78, s11, v74
	v_add_co_ci_u32_e32 v67, vcc_lo, s3, v41, vcc_lo
	v_add_co_u32 v68, vcc_lo, s2, v38
	v_lshlrev_b64 v[76:77], 4, v[70:71]
	v_add_co_ci_u32_e32 v69, vcc_lo, s3, v39, vcc_lo
	v_add_co_u32 v70, vcc_lo, s2, v72
	v_ashrrev_i32_e32 v79, 31, v78
	v_add_nc_u32_e32 v80, s11, v78
	v_add_co_ci_u32_e32 v71, vcc_lo, s3, v73, vcc_lo
	v_ashrrev_i32_e32 v75, 31, v74
	v_add_co_u32 v72, vcc_lo, s2, v76
	v_add_co_ci_u32_e32 v73, vcc_lo, s3, v77, vcc_lo
	v_lshlrev_b64 v[76:77], 4, v[78:79]
	v_add_nc_u32_e32 v78, s11, v80
	v_lshlrev_b64 v[74:75], 4, v[74:75]
	v_ashrrev_i32_e32 v81, 31, v80
	s_clause 0x2
	global_load_b128 v[26:29], v[58:59], off
	global_load_b128 v[30:33], v[60:61], off
	global_load_b128 v[34:37], v[62:63], off
	v_add_nc_u32_e32 v82, s11, v78
	v_ashrrev_i32_e32 v79, 31, v78
	v_add_co_u32 v74, vcc_lo, s2, v74
	v_lshlrev_b64 v[80:81], 4, v[80:81]
	s_delay_alu instid0(VALU_DEP_4)
	v_add_nc_u32_e32 v86, s11, v82
	v_add_co_ci_u32_e32 v75, vcc_lo, s3, v75, vcc_lo
	v_add_co_u32 v76, vcc_lo, s2, v76
	v_lshlrev_b64 v[84:85], 4, v[78:79]
	v_add_co_ci_u32_e32 v77, vcc_lo, s3, v77, vcc_lo
	v_add_co_u32 v78, vcc_lo, s2, v80
	v_ashrrev_i32_e32 v87, 31, v86
	v_add_nc_u32_e32 v88, s11, v86
	v_add_co_ci_u32_e32 v79, vcc_lo, s3, v81, vcc_lo
	v_ashrrev_i32_e32 v83, 31, v82
	v_add_co_u32 v80, vcc_lo, s2, v84
	v_add_co_ci_u32_e32 v81, vcc_lo, s3, v85, vcc_lo
	v_lshlrev_b64 v[84:85], 4, v[86:87]
	v_add_nc_u32_e32 v86, s11, v88
	v_lshlrev_b64 v[82:83], 4, v[82:83]
	v_ashrrev_i32_e32 v89, 31, v88
	s_clause 0x3
	global_load_b128 v[38:41], v[64:65], off
	global_load_b128 v[42:45], v[66:67], off
	global_load_b128 v[131:134], v[68:69], off
	global_load_b128 v[135:138], v[70:71], off
	v_add_nc_u32_e32 v90, s11, v86
	v_ashrrev_i32_e32 v87, 31, v86
	v_add_co_u32 v82, vcc_lo, s2, v82
	v_lshlrev_b64 v[88:89], 4, v[88:89]
	s_delay_alu instid0(VALU_DEP_4)
	v_add_nc_u32_e32 v94, s11, v90
	v_add_co_ci_u32_e32 v83, vcc_lo, s3, v83, vcc_lo
	v_add_co_u32 v84, vcc_lo, s2, v84
	v_lshlrev_b64 v[92:93], 4, v[86:87]
	v_add_co_ci_u32_e32 v85, vcc_lo, s3, v85, vcc_lo
	v_add_co_u32 v86, vcc_lo, s2, v88
	v_ashrrev_i32_e32 v95, 31, v94
	v_add_nc_u32_e32 v96, s11, v94
	v_add_co_ci_u32_e32 v87, vcc_lo, s3, v89, vcc_lo
	v_ashrrev_i32_e32 v91, 31, v90
	v_add_co_u32 v88, vcc_lo, s2, v92
	v_add_co_ci_u32_e32 v89, vcc_lo, s3, v93, vcc_lo
	v_lshlrev_b64 v[92:93], 4, v[94:95]
	v_add_nc_u32_e32 v94, s11, v96
	v_lshlrev_b64 v[90:91], 4, v[90:91]
	v_ashrrev_i32_e32 v97, 31, v96
	s_clause 0x3
	global_load_b128 v[139:142], v[72:73], off
	;; [unrolled: 26-line block ×3, first 2 shown]
	global_load_b128 v[159:162], v[82:83], off
	global_load_b128 v[163:166], v[84:85], off
	;; [unrolled: 1-line block ×3, first 2 shown]
	v_add_nc_u32_e32 v106, s11, v102
	v_ashrrev_i32_e32 v103, 31, v102
	v_add_co_u32 v98, vcc_lo, s2, v98
	v_lshlrev_b64 v[104:105], 4, v[104:105]
	s_delay_alu instid0(VALU_DEP_4)
	v_ashrrev_i32_e32 v107, 31, v106
	v_add_co_ci_u32_e32 v99, vcc_lo, s3, v99, vcc_lo
	v_add_co_u32 v100, vcc_lo, s2, v100
	v_lshlrev_b64 v[109:110], 4, v[102:103]
	v_add_co_ci_u32_e32 v101, vcc_lo, s3, v101, vcc_lo
	v_add_co_u32 v102, vcc_lo, s2, v104
	v_lshlrev_b64 v[106:107], 4, v[106:107]
	v_add_co_ci_u32_e32 v103, vcc_lo, s3, v105, vcc_lo
	v_add_co_u32 v104, vcc_lo, s2, v109
	v_add_co_ci_u32_e32 v105, vcc_lo, s3, v110, vcc_lo
	s_clause 0x1
	global_load_b128 v[171:174], v[88:89], off
	global_load_b128 v[175:178], v[90:91], off
	v_add_co_u32 v106, vcc_lo, s2, v106
	s_clause 0x1
	global_load_b128 v[179:182], v[92:93], off
	global_load_b128 v[183:186], v[94:95], off
	v_add_co_ci_u32_e32 v107, vcc_lo, s3, v107, vcc_lo
	s_movk_i32 s2, 0x50
	s_movk_i32 s11, 0xb0
	;; [unrolled: 1-line block ×6, first 2 shown]
	v_add_nc_u32_e64 v112, 0, 16
	v_add_nc_u32_e64 v111, 0, 32
	;; [unrolled: 1-line block ×22, first 2 shown]
	s_mov_b32 s3, -1
	s_bitcmp0_b32 s21, 0
	s_waitcnt vmcnt(24)
	scratch_store_b128 off, v[1:4], off
	s_waitcnt vmcnt(23)
	scratch_store_b128 off, v[9:12], off offset:16
	s_clause 0x1
	global_load_b128 v[1:4], v[96:97], off
	global_load_b128 v[9:12], v[98:99], off
	s_waitcnt vmcnt(24)
	scratch_store_b128 off, v[5:8], off offset:32
	s_waitcnt vmcnt(23)
	scratch_store_b128 off, v[17:20], off offset:48
	s_clause 0x1
	global_load_b128 v[5:8], v[100:101], off
	global_load_b128 v[17:20], v[102:103], off
	s_waitcnt vmcnt(24)
	scratch_store_b128 off, v[13:16], off offset:64
	s_waitcnt vmcnt(23)
	scratch_store_b128 off, v[21:24], off offset:80
	s_clause 0x1
	global_load_b128 v[13:16], v[104:105], off
	global_load_b128 v[21:24], v[106:107], off
	s_waitcnt vmcnt(24)
	scratch_store_b128 off, v[26:29], off offset:96
	s_waitcnt vmcnt(23)
	scratch_store_b128 off, v[30:33], off offset:112
	s_waitcnt vmcnt(22)
	scratch_store_b128 off, v[34:37], off offset:128
	;; [unrolled: 2-line block ×21, first 2 shown]
	v_add_nc_u32_e64 v138, s25, 0
	v_add_nc_u32_e64 v137, s26, 0
	;; [unrolled: 1-line block ×8, first 2 shown]
	s_waitcnt vmcnt(2)
	scratch_store_b128 off, v[17:20], off offset:448
	s_waitcnt vmcnt(1)
	scratch_store_b128 off, v[13:16], off offset:464
	;; [unrolled: 2-line block ×3, first 2 shown]
	s_cbranch_scc1 .LBB30_136
; %bb.4:
	v_cmp_eq_u32_e64 s2, 0, v108
	s_delay_alu instid0(VALU_DEP_1)
	s_and_saveexec_b32 s3, s2
	s_cbranch_execz .LBB30_6
; %bb.5:
	v_mov_b32_e32 v1, 0
	ds_store_b32 v1, v1 offset:992
.LBB30_6:
	s_or_b32 exec_lo, exec_lo, s3
	s_waitcnt lgkmcnt(0)
	s_waitcnt_vscnt null, 0x0
	s_barrier
	buffer_gl0_inv
	scratch_load_b128 v[1:4], v25, off
	s_waitcnt vmcnt(0)
	v_cmp_eq_f64_e32 vcc_lo, 0, v[1:2]
	v_cmp_eq_f64_e64 s3, 0, v[3:4]
	s_delay_alu instid0(VALU_DEP_1) | instskip(NEXT) | instid1(SALU_CYCLE_1)
	s_and_b32 s3, vcc_lo, s3
	s_and_saveexec_b32 s4, s3
	s_cbranch_execz .LBB30_10
; %bb.7:
	v_mov_b32_e32 v1, 0
	s_mov_b32 s5, 0
	ds_load_b32 v2, v1 offset:992
	s_waitcnt lgkmcnt(0)
	v_readfirstlane_b32 s3, v2
	v_add_nc_u32_e32 v2, 1, v108
	s_delay_alu instid0(VALU_DEP_2) | instskip(NEXT) | instid1(VALU_DEP_1)
	s_cmp_eq_u32 s3, 0
	v_cmp_gt_i32_e32 vcc_lo, s3, v2
	s_cselect_b32 s8, -1, 0
	s_delay_alu instid0(SALU_CYCLE_1) | instskip(NEXT) | instid1(SALU_CYCLE_1)
	s_or_b32 s8, s8, vcc_lo
	s_and_b32 exec_lo, exec_lo, s8
	s_cbranch_execz .LBB30_10
; %bb.8:
	v_mov_b32_e32 v3, s3
.LBB30_9:                               ; =>This Inner Loop Header: Depth=1
	ds_cmpstore_rtn_b32 v3, v1, v2, v3 offset:992
	s_waitcnt lgkmcnt(0)
	v_cmp_ne_u32_e32 vcc_lo, 0, v3
	v_cmp_le_i32_e64 s3, v3, v2
	s_delay_alu instid0(VALU_DEP_1) | instskip(NEXT) | instid1(SALU_CYCLE_1)
	s_and_b32 s3, vcc_lo, s3
	s_and_b32 s3, exec_lo, s3
	s_delay_alu instid0(SALU_CYCLE_1) | instskip(NEXT) | instid1(SALU_CYCLE_1)
	s_or_b32 s5, s3, s5
	s_and_not1_b32 exec_lo, exec_lo, s5
	s_cbranch_execnz .LBB30_9
.LBB30_10:
	s_or_b32 exec_lo, exec_lo, s4
	v_mov_b32_e32 v1, 0
	s_barrier
	buffer_gl0_inv
	ds_load_b32 v2, v1 offset:992
	s_and_saveexec_b32 s3, s2
	s_cbranch_execz .LBB30_12
; %bb.11:
	s_lshl_b64 s[4:5], s[18:19], 2
	s_delay_alu instid0(SALU_CYCLE_1)
	s_add_u32 s4, s6, s4
	s_addc_u32 s5, s7, s5
	s_waitcnt lgkmcnt(0)
	global_store_b32 v1, v2, s[4:5]
.LBB30_12:
	s_or_b32 exec_lo, exec_lo, s3
	s_waitcnt lgkmcnt(0)
	v_cmp_ne_u32_e32 vcc_lo, 0, v2
	s_mov_b32 s3, 0
	s_cbranch_vccnz .LBB30_136
; %bb.13:
	v_add_nc_u32_e32 v13, 0, v25
                                        ; implicit-def: $vgpr9_vgpr10
	scratch_load_b128 v[1:4], v13, off
	s_waitcnt vmcnt(0)
	v_cmp_gt_f64_e32 vcc_lo, 0, v[1:2]
	v_xor_b32_e32 v6, 0x80000000, v2
	v_xor_b32_e32 v7, 0x80000000, v4
	s_delay_alu instid0(VALU_DEP_2) | instskip(SKIP_1) | instid1(VALU_DEP_3)
	v_cndmask_b32_e32 v6, v2, v6, vcc_lo
	v_cmp_gt_f64_e32 vcc_lo, 0, v[3:4]
	v_dual_mov_b32 v5, v1 :: v_dual_cndmask_b32 v8, v4, v7
	v_mov_b32_e32 v7, v3
	s_delay_alu instid0(VALU_DEP_1) | instskip(SKIP_1) | instid1(SALU_CYCLE_1)
	v_cmp_ngt_f64_e32 vcc_lo, v[5:6], v[7:8]
                                        ; implicit-def: $vgpr5_vgpr6
	s_and_saveexec_b32 s3, vcc_lo
	s_xor_b32 s3, exec_lo, s3
	s_cbranch_execz .LBB30_15
; %bb.14:
	v_div_scale_f64 v[5:6], null, v[3:4], v[3:4], v[1:2]
	v_div_scale_f64 v[11:12], vcc_lo, v[1:2], v[3:4], v[1:2]
	s_delay_alu instid0(VALU_DEP_2) | instskip(SKIP_2) | instid1(VALU_DEP_1)
	v_rcp_f64_e32 v[7:8], v[5:6]
	s_waitcnt_depctr 0xfff
	v_fma_f64 v[9:10], -v[5:6], v[7:8], 1.0
	v_fma_f64 v[7:8], v[7:8], v[9:10], v[7:8]
	s_delay_alu instid0(VALU_DEP_1) | instskip(NEXT) | instid1(VALU_DEP_1)
	v_fma_f64 v[9:10], -v[5:6], v[7:8], 1.0
	v_fma_f64 v[7:8], v[7:8], v[9:10], v[7:8]
	s_delay_alu instid0(VALU_DEP_1) | instskip(NEXT) | instid1(VALU_DEP_1)
	v_mul_f64 v[9:10], v[11:12], v[7:8]
	v_fma_f64 v[5:6], -v[5:6], v[9:10], v[11:12]
	s_delay_alu instid0(VALU_DEP_1) | instskip(NEXT) | instid1(VALU_DEP_1)
	v_div_fmas_f64 v[5:6], v[5:6], v[7:8], v[9:10]
	v_div_fixup_f64 v[5:6], v[5:6], v[3:4], v[1:2]
	s_delay_alu instid0(VALU_DEP_1) | instskip(NEXT) | instid1(VALU_DEP_1)
	v_fma_f64 v[1:2], v[1:2], v[5:6], v[3:4]
	v_div_scale_f64 v[3:4], null, v[1:2], v[1:2], 1.0
	v_div_scale_f64 v[11:12], vcc_lo, 1.0, v[1:2], 1.0
	s_delay_alu instid0(VALU_DEP_2) | instskip(SKIP_2) | instid1(VALU_DEP_1)
	v_rcp_f64_e32 v[7:8], v[3:4]
	s_waitcnt_depctr 0xfff
	v_fma_f64 v[9:10], -v[3:4], v[7:8], 1.0
	v_fma_f64 v[7:8], v[7:8], v[9:10], v[7:8]
	s_delay_alu instid0(VALU_DEP_1) | instskip(NEXT) | instid1(VALU_DEP_1)
	v_fma_f64 v[9:10], -v[3:4], v[7:8], 1.0
	v_fma_f64 v[7:8], v[7:8], v[9:10], v[7:8]
	s_delay_alu instid0(VALU_DEP_1) | instskip(NEXT) | instid1(VALU_DEP_1)
	v_mul_f64 v[9:10], v[11:12], v[7:8]
	v_fma_f64 v[3:4], -v[3:4], v[9:10], v[11:12]
	s_delay_alu instid0(VALU_DEP_1) | instskip(NEXT) | instid1(VALU_DEP_1)
	v_div_fmas_f64 v[3:4], v[3:4], v[7:8], v[9:10]
	v_div_fixup_f64 v[7:8], v[3:4], v[1:2], 1.0
                                        ; implicit-def: $vgpr1_vgpr2
	s_delay_alu instid0(VALU_DEP_1) | instskip(SKIP_1) | instid1(VALU_DEP_2)
	v_mul_f64 v[5:6], v[5:6], v[7:8]
	v_xor_b32_e32 v8, 0x80000000, v8
	v_xor_b32_e32 v10, 0x80000000, v6
	s_delay_alu instid0(VALU_DEP_3)
	v_mov_b32_e32 v9, v5
.LBB30_15:
	s_and_not1_saveexec_b32 s3, s3
	s_cbranch_execz .LBB30_17
; %bb.16:
	v_div_scale_f64 v[5:6], null, v[1:2], v[1:2], v[3:4]
	v_div_scale_f64 v[11:12], vcc_lo, v[3:4], v[1:2], v[3:4]
	s_delay_alu instid0(VALU_DEP_2) | instskip(SKIP_2) | instid1(VALU_DEP_1)
	v_rcp_f64_e32 v[7:8], v[5:6]
	s_waitcnt_depctr 0xfff
	v_fma_f64 v[9:10], -v[5:6], v[7:8], 1.0
	v_fma_f64 v[7:8], v[7:8], v[9:10], v[7:8]
	s_delay_alu instid0(VALU_DEP_1) | instskip(NEXT) | instid1(VALU_DEP_1)
	v_fma_f64 v[9:10], -v[5:6], v[7:8], 1.0
	v_fma_f64 v[7:8], v[7:8], v[9:10], v[7:8]
	s_delay_alu instid0(VALU_DEP_1) | instskip(NEXT) | instid1(VALU_DEP_1)
	v_mul_f64 v[9:10], v[11:12], v[7:8]
	v_fma_f64 v[5:6], -v[5:6], v[9:10], v[11:12]
	s_delay_alu instid0(VALU_DEP_1) | instskip(NEXT) | instid1(VALU_DEP_1)
	v_div_fmas_f64 v[5:6], v[5:6], v[7:8], v[9:10]
	v_div_fixup_f64 v[7:8], v[5:6], v[1:2], v[3:4]
	s_delay_alu instid0(VALU_DEP_1) | instskip(NEXT) | instid1(VALU_DEP_1)
	v_fma_f64 v[1:2], v[3:4], v[7:8], v[1:2]
	v_div_scale_f64 v[3:4], null, v[1:2], v[1:2], 1.0
	s_delay_alu instid0(VALU_DEP_1) | instskip(SKIP_2) | instid1(VALU_DEP_1)
	v_rcp_f64_e32 v[5:6], v[3:4]
	s_waitcnt_depctr 0xfff
	v_fma_f64 v[9:10], -v[3:4], v[5:6], 1.0
	v_fma_f64 v[5:6], v[5:6], v[9:10], v[5:6]
	s_delay_alu instid0(VALU_DEP_1) | instskip(NEXT) | instid1(VALU_DEP_1)
	v_fma_f64 v[9:10], -v[3:4], v[5:6], 1.0
	v_fma_f64 v[5:6], v[5:6], v[9:10], v[5:6]
	v_div_scale_f64 v[9:10], vcc_lo, 1.0, v[1:2], 1.0
	s_delay_alu instid0(VALU_DEP_1) | instskip(NEXT) | instid1(VALU_DEP_1)
	v_mul_f64 v[11:12], v[9:10], v[5:6]
	v_fma_f64 v[3:4], -v[3:4], v[11:12], v[9:10]
	s_delay_alu instid0(VALU_DEP_1) | instskip(NEXT) | instid1(VALU_DEP_1)
	v_div_fmas_f64 v[3:4], v[3:4], v[5:6], v[11:12]
	v_div_fixup_f64 v[5:6], v[3:4], v[1:2], 1.0
	s_delay_alu instid0(VALU_DEP_1)
	v_mul_f64 v[7:8], v[7:8], -v[5:6]
	v_xor_b32_e32 v10, 0x80000000, v6
	v_mov_b32_e32 v9, v5
.LBB30_17:
	s_or_b32 exec_lo, exec_lo, s3
	scratch_store_b128 v13, v[5:8], off
	scratch_load_b128 v[1:4], v112, off
	v_xor_b32_e32 v12, 0x80000000, v8
	v_mov_b32_e32 v11, v7
	v_add_nc_u32_e32 v5, 0x1f0, v25
	ds_store_b128 v25, v[9:12]
	s_waitcnt vmcnt(0)
	ds_store_b128 v25, v[1:4] offset:496
	s_waitcnt lgkmcnt(0)
	s_waitcnt_vscnt null, 0x0
	s_barrier
	buffer_gl0_inv
	s_and_saveexec_b32 s3, s2
	s_cbranch_execz .LBB30_19
; %bb.18:
	scratch_load_b128 v[1:4], v13, off
	ds_load_b128 v[6:9], v5
	v_mov_b32_e32 v10, 0
	ds_load_b128 v[14:17], v10 offset:16
	s_waitcnt vmcnt(0) lgkmcnt(1)
	v_mul_f64 v[10:11], v[6:7], v[3:4]
	v_mul_f64 v[3:4], v[8:9], v[3:4]
	s_delay_alu instid0(VALU_DEP_2) | instskip(NEXT) | instid1(VALU_DEP_2)
	v_fma_f64 v[8:9], v[8:9], v[1:2], v[10:11]
	v_fma_f64 v[1:2], v[6:7], v[1:2], -v[3:4]
	s_delay_alu instid0(VALU_DEP_2) | instskip(NEXT) | instid1(VALU_DEP_2)
	v_add_f64 v[3:4], v[8:9], 0
	v_add_f64 v[1:2], v[1:2], 0
	s_waitcnt lgkmcnt(0)
	s_delay_alu instid0(VALU_DEP_2) | instskip(NEXT) | instid1(VALU_DEP_2)
	v_mul_f64 v[6:7], v[3:4], v[16:17]
	v_mul_f64 v[8:9], v[1:2], v[16:17]
	s_delay_alu instid0(VALU_DEP_2) | instskip(NEXT) | instid1(VALU_DEP_2)
	v_fma_f64 v[1:2], v[1:2], v[14:15], -v[6:7]
	v_fma_f64 v[3:4], v[3:4], v[14:15], v[8:9]
	scratch_store_b128 off, v[1:4], off offset:16
.LBB30_19:
	s_or_b32 exec_lo, exec_lo, s3
	s_waitcnt_vscnt null, 0x0
	s_barrier
	buffer_gl0_inv
	scratch_load_b128 v[1:4], v111, off
	s_mov_b32 s3, exec_lo
	s_waitcnt vmcnt(0)
	ds_store_b128 v5, v[1:4]
	s_waitcnt lgkmcnt(0)
	s_barrier
	buffer_gl0_inv
	v_cmpx_gt_u32_e32 2, v108
	s_cbranch_execz .LBB30_23
; %bb.20:
	scratch_load_b128 v[1:4], v13, off
	ds_load_b128 v[6:9], v5
	s_waitcnt vmcnt(0) lgkmcnt(0)
	v_mul_f64 v[10:11], v[8:9], v[3:4]
	v_mul_f64 v[3:4], v[6:7], v[3:4]
	s_delay_alu instid0(VALU_DEP_2) | instskip(NEXT) | instid1(VALU_DEP_2)
	v_fma_f64 v[6:7], v[6:7], v[1:2], -v[10:11]
	v_fma_f64 v[3:4], v[8:9], v[1:2], v[3:4]
	s_delay_alu instid0(VALU_DEP_2) | instskip(NEXT) | instid1(VALU_DEP_2)
	v_add_f64 v[1:2], v[6:7], 0
	v_add_f64 v[3:4], v[3:4], 0
	s_and_saveexec_b32 s4, s2
	s_cbranch_execz .LBB30_22
; %bb.21:
	scratch_load_b128 v[6:9], off, off offset:16
	v_mov_b32_e32 v10, 0
	ds_load_b128 v[14:17], v10 offset:512
	s_waitcnt vmcnt(0) lgkmcnt(0)
	v_mul_f64 v[10:11], v[14:15], v[8:9]
	v_mul_f64 v[8:9], v[16:17], v[8:9]
	s_delay_alu instid0(VALU_DEP_2) | instskip(NEXT) | instid1(VALU_DEP_2)
	v_fma_f64 v[10:11], v[16:17], v[6:7], v[10:11]
	v_fma_f64 v[6:7], v[14:15], v[6:7], -v[8:9]
	s_delay_alu instid0(VALU_DEP_2) | instskip(NEXT) | instid1(VALU_DEP_2)
	v_add_f64 v[3:4], v[3:4], v[10:11]
	v_add_f64 v[1:2], v[1:2], v[6:7]
.LBB30_22:
	s_or_b32 exec_lo, exec_lo, s4
	v_mov_b32_e32 v6, 0
	ds_load_b128 v[6:9], v6 offset:32
	s_waitcnt lgkmcnt(0)
	v_mul_f64 v[10:11], v[3:4], v[8:9]
	v_mul_f64 v[8:9], v[1:2], v[8:9]
	s_delay_alu instid0(VALU_DEP_2) | instskip(NEXT) | instid1(VALU_DEP_2)
	v_fma_f64 v[1:2], v[1:2], v[6:7], -v[10:11]
	v_fma_f64 v[3:4], v[3:4], v[6:7], v[8:9]
	scratch_store_b128 off, v[1:4], off offset:32
.LBB30_23:
	s_or_b32 exec_lo, exec_lo, s3
	s_waitcnt_vscnt null, 0x0
	s_barrier
	buffer_gl0_inv
	scratch_load_b128 v[1:4], v110, off
	v_add_nc_u32_e32 v6, -1, v108
	s_mov_b32 s2, exec_lo
	s_waitcnt vmcnt(0)
	ds_store_b128 v5, v[1:4]
	s_waitcnt lgkmcnt(0)
	s_barrier
	buffer_gl0_inv
	v_cmpx_gt_u32_e32 3, v108
	s_cbranch_execz .LBB30_27
; %bb.24:
	v_dual_mov_b32 v1, 0 :: v_dual_add_nc_u32 v8, 0x1f0, v25
	v_dual_mov_b32 v2, 0 :: v_dual_add_nc_u32 v7, -1, v108
	v_or_b32_e32 v9, 8, v13
	s_mov_b32 s3, 0
	s_delay_alu instid0(VALU_DEP_2)
	v_dual_mov_b32 v4, v2 :: v_dual_mov_b32 v3, v1
	.p2align	6
.LBB30_25:                              ; =>This Inner Loop Header: Depth=1
	scratch_load_b128 v[14:17], v9, off offset:-8
	ds_load_b128 v[18:21], v8
	v_add_nc_u32_e32 v7, 1, v7
	v_add_nc_u32_e32 v8, 16, v8
	;; [unrolled: 1-line block ×3, first 2 shown]
	s_delay_alu instid0(VALU_DEP_3) | instskip(SKIP_4) | instid1(VALU_DEP_2)
	v_cmp_lt_u32_e32 vcc_lo, 1, v7
	s_or_b32 s3, vcc_lo, s3
	s_waitcnt vmcnt(0) lgkmcnt(0)
	v_mul_f64 v[10:11], v[20:21], v[16:17]
	v_mul_f64 v[16:17], v[18:19], v[16:17]
	v_fma_f64 v[10:11], v[18:19], v[14:15], -v[10:11]
	s_delay_alu instid0(VALU_DEP_2) | instskip(NEXT) | instid1(VALU_DEP_2)
	v_fma_f64 v[14:15], v[20:21], v[14:15], v[16:17]
	v_add_f64 v[3:4], v[3:4], v[10:11]
	s_delay_alu instid0(VALU_DEP_2)
	v_add_f64 v[1:2], v[1:2], v[14:15]
	s_and_not1_b32 exec_lo, exec_lo, s3
	s_cbranch_execnz .LBB30_25
; %bb.26:
	s_or_b32 exec_lo, exec_lo, s3
	v_mov_b32_e32 v7, 0
	ds_load_b128 v[7:10], v7 offset:48
	s_waitcnt lgkmcnt(0)
	v_mul_f64 v[11:12], v[1:2], v[9:10]
	v_mul_f64 v[14:15], v[3:4], v[9:10]
	s_delay_alu instid0(VALU_DEP_2) | instskip(NEXT) | instid1(VALU_DEP_2)
	v_fma_f64 v[9:10], v[3:4], v[7:8], -v[11:12]
	v_fma_f64 v[11:12], v[1:2], v[7:8], v[14:15]
	scratch_store_b128 off, v[9:12], off offset:48
.LBB30_27:
	s_or_b32 exec_lo, exec_lo, s2
	s_waitcnt_vscnt null, 0x0
	s_barrier
	buffer_gl0_inv
	scratch_load_b128 v[1:4], v109, off
	s_mov_b32 s2, exec_lo
	s_waitcnt vmcnt(0)
	ds_store_b128 v5, v[1:4]
	s_waitcnt lgkmcnt(0)
	s_barrier
	buffer_gl0_inv
	v_cmpx_gt_u32_e32 4, v108
	s_cbranch_execz .LBB30_31
; %bb.28:
	v_dual_mov_b32 v1, 0 :: v_dual_add_nc_u32 v8, 0x1f0, v25
	v_dual_mov_b32 v2, 0 :: v_dual_add_nc_u32 v7, -1, v108
	v_or_b32_e32 v9, 8, v13
	s_mov_b32 s3, 0
	s_delay_alu instid0(VALU_DEP_2)
	v_dual_mov_b32 v4, v2 :: v_dual_mov_b32 v3, v1
	.p2align	6
.LBB30_29:                              ; =>This Inner Loop Header: Depth=1
	scratch_load_b128 v[14:17], v9, off offset:-8
	ds_load_b128 v[18:21], v8
	v_add_nc_u32_e32 v7, 1, v7
	v_add_nc_u32_e32 v8, 16, v8
	;; [unrolled: 1-line block ×3, first 2 shown]
	s_delay_alu instid0(VALU_DEP_3) | instskip(SKIP_4) | instid1(VALU_DEP_2)
	v_cmp_lt_u32_e32 vcc_lo, 2, v7
	s_or_b32 s3, vcc_lo, s3
	s_waitcnt vmcnt(0) lgkmcnt(0)
	v_mul_f64 v[10:11], v[20:21], v[16:17]
	v_mul_f64 v[16:17], v[18:19], v[16:17]
	v_fma_f64 v[10:11], v[18:19], v[14:15], -v[10:11]
	s_delay_alu instid0(VALU_DEP_2) | instskip(NEXT) | instid1(VALU_DEP_2)
	v_fma_f64 v[14:15], v[20:21], v[14:15], v[16:17]
	v_add_f64 v[3:4], v[3:4], v[10:11]
	s_delay_alu instid0(VALU_DEP_2)
	v_add_f64 v[1:2], v[1:2], v[14:15]
	s_and_not1_b32 exec_lo, exec_lo, s3
	s_cbranch_execnz .LBB30_29
; %bb.30:
	s_or_b32 exec_lo, exec_lo, s3
	v_mov_b32_e32 v7, 0
	ds_load_b128 v[7:10], v7 offset:64
	s_waitcnt lgkmcnt(0)
	v_mul_f64 v[11:12], v[1:2], v[9:10]
	v_mul_f64 v[14:15], v[3:4], v[9:10]
	s_delay_alu instid0(VALU_DEP_2) | instskip(NEXT) | instid1(VALU_DEP_2)
	v_fma_f64 v[9:10], v[3:4], v[7:8], -v[11:12]
	v_fma_f64 v[11:12], v[1:2], v[7:8], v[14:15]
	scratch_store_b128 off, v[9:12], off offset:64
.LBB30_31:
	s_or_b32 exec_lo, exec_lo, s2
	s_waitcnt_vscnt null, 0x0
	s_barrier
	buffer_gl0_inv
	scratch_load_b128 v[1:4], v130, off
	s_mov_b32 s2, exec_lo
	s_waitcnt vmcnt(0)
	ds_store_b128 v5, v[1:4]
	s_waitcnt lgkmcnt(0)
	s_barrier
	buffer_gl0_inv
	v_cmpx_gt_u32_e32 5, v108
	s_cbranch_execz .LBB30_35
; %bb.32:
	v_dual_mov_b32 v1, 0 :: v_dual_add_nc_u32 v8, 0x1f0, v25
	v_dual_mov_b32 v2, 0 :: v_dual_add_nc_u32 v7, -1, v108
	v_or_b32_e32 v9, 8, v13
	s_mov_b32 s3, 0
	s_delay_alu instid0(VALU_DEP_2)
	v_dual_mov_b32 v4, v2 :: v_dual_mov_b32 v3, v1
	.p2align	6
.LBB30_33:                              ; =>This Inner Loop Header: Depth=1
	scratch_load_b128 v[14:17], v9, off offset:-8
	ds_load_b128 v[18:21], v8
	v_add_nc_u32_e32 v7, 1, v7
	v_add_nc_u32_e32 v8, 16, v8
	;; [unrolled: 1-line block ×3, first 2 shown]
	s_delay_alu instid0(VALU_DEP_3) | instskip(SKIP_4) | instid1(VALU_DEP_2)
	v_cmp_lt_u32_e32 vcc_lo, 3, v7
	s_or_b32 s3, vcc_lo, s3
	s_waitcnt vmcnt(0) lgkmcnt(0)
	v_mul_f64 v[10:11], v[20:21], v[16:17]
	v_mul_f64 v[16:17], v[18:19], v[16:17]
	v_fma_f64 v[10:11], v[18:19], v[14:15], -v[10:11]
	s_delay_alu instid0(VALU_DEP_2) | instskip(NEXT) | instid1(VALU_DEP_2)
	v_fma_f64 v[14:15], v[20:21], v[14:15], v[16:17]
	v_add_f64 v[3:4], v[3:4], v[10:11]
	s_delay_alu instid0(VALU_DEP_2)
	v_add_f64 v[1:2], v[1:2], v[14:15]
	s_and_not1_b32 exec_lo, exec_lo, s3
	s_cbranch_execnz .LBB30_33
; %bb.34:
	s_or_b32 exec_lo, exec_lo, s3
	v_mov_b32_e32 v7, 0
	ds_load_b128 v[7:10], v7 offset:80
	s_waitcnt lgkmcnt(0)
	v_mul_f64 v[11:12], v[1:2], v[9:10]
	v_mul_f64 v[14:15], v[3:4], v[9:10]
	s_delay_alu instid0(VALU_DEP_2) | instskip(NEXT) | instid1(VALU_DEP_2)
	v_fma_f64 v[9:10], v[3:4], v[7:8], -v[11:12]
	v_fma_f64 v[11:12], v[1:2], v[7:8], v[14:15]
	scratch_store_b128 off, v[9:12], off offset:80
.LBB30_35:
	s_or_b32 exec_lo, exec_lo, s2
	s_waitcnt_vscnt null, 0x0
	s_barrier
	buffer_gl0_inv
	scratch_load_b128 v[1:4], v128, off
	s_mov_b32 s2, exec_lo
	s_waitcnt vmcnt(0)
	ds_store_b128 v5, v[1:4]
	s_waitcnt lgkmcnt(0)
	s_barrier
	buffer_gl0_inv
	v_cmpx_gt_u32_e32 6, v108
	s_cbranch_execz .LBB30_39
; %bb.36:
	v_dual_mov_b32 v1, 0 :: v_dual_add_nc_u32 v8, 0x1f0, v25
	v_dual_mov_b32 v2, 0 :: v_dual_add_nc_u32 v7, -1, v108
	v_or_b32_e32 v9, 8, v13
	s_mov_b32 s3, 0
	s_delay_alu instid0(VALU_DEP_2)
	v_dual_mov_b32 v4, v2 :: v_dual_mov_b32 v3, v1
	.p2align	6
.LBB30_37:                              ; =>This Inner Loop Header: Depth=1
	scratch_load_b128 v[14:17], v9, off offset:-8
	ds_load_b128 v[18:21], v8
	v_add_nc_u32_e32 v7, 1, v7
	v_add_nc_u32_e32 v8, 16, v8
	;; [unrolled: 1-line block ×3, first 2 shown]
	s_delay_alu instid0(VALU_DEP_3) | instskip(SKIP_4) | instid1(VALU_DEP_2)
	v_cmp_lt_u32_e32 vcc_lo, 4, v7
	s_or_b32 s3, vcc_lo, s3
	s_waitcnt vmcnt(0) lgkmcnt(0)
	v_mul_f64 v[10:11], v[20:21], v[16:17]
	v_mul_f64 v[16:17], v[18:19], v[16:17]
	v_fma_f64 v[10:11], v[18:19], v[14:15], -v[10:11]
	s_delay_alu instid0(VALU_DEP_2) | instskip(NEXT) | instid1(VALU_DEP_2)
	v_fma_f64 v[14:15], v[20:21], v[14:15], v[16:17]
	v_add_f64 v[3:4], v[3:4], v[10:11]
	s_delay_alu instid0(VALU_DEP_2)
	v_add_f64 v[1:2], v[1:2], v[14:15]
	s_and_not1_b32 exec_lo, exec_lo, s3
	s_cbranch_execnz .LBB30_37
; %bb.38:
	s_or_b32 exec_lo, exec_lo, s3
	v_mov_b32_e32 v7, 0
	ds_load_b128 v[7:10], v7 offset:96
	s_waitcnt lgkmcnt(0)
	v_mul_f64 v[11:12], v[1:2], v[9:10]
	v_mul_f64 v[14:15], v[3:4], v[9:10]
	s_delay_alu instid0(VALU_DEP_2) | instskip(NEXT) | instid1(VALU_DEP_2)
	v_fma_f64 v[9:10], v[3:4], v[7:8], -v[11:12]
	v_fma_f64 v[11:12], v[1:2], v[7:8], v[14:15]
	scratch_store_b128 off, v[9:12], off offset:96
.LBB30_39:
	s_or_b32 exec_lo, exec_lo, s2
	s_waitcnt_vscnt null, 0x0
	s_barrier
	buffer_gl0_inv
	scratch_load_b128 v[1:4], v126, off
	s_mov_b32 s2, exec_lo
	s_waitcnt vmcnt(0)
	ds_store_b128 v5, v[1:4]
	s_waitcnt lgkmcnt(0)
	s_barrier
	buffer_gl0_inv
	v_cmpx_gt_u32_e32 7, v108
	s_cbranch_execz .LBB30_43
; %bb.40:
	v_dual_mov_b32 v1, 0 :: v_dual_add_nc_u32 v8, 0x1f0, v25
	v_dual_mov_b32 v2, 0 :: v_dual_add_nc_u32 v7, -1, v108
	v_or_b32_e32 v9, 8, v13
	s_mov_b32 s3, 0
	s_delay_alu instid0(VALU_DEP_2)
	v_dual_mov_b32 v4, v2 :: v_dual_mov_b32 v3, v1
	.p2align	6
.LBB30_41:                              ; =>This Inner Loop Header: Depth=1
	scratch_load_b128 v[14:17], v9, off offset:-8
	ds_load_b128 v[18:21], v8
	v_add_nc_u32_e32 v7, 1, v7
	v_add_nc_u32_e32 v8, 16, v8
	;; [unrolled: 1-line block ×3, first 2 shown]
	s_delay_alu instid0(VALU_DEP_3) | instskip(SKIP_4) | instid1(VALU_DEP_2)
	v_cmp_lt_u32_e32 vcc_lo, 5, v7
	s_or_b32 s3, vcc_lo, s3
	s_waitcnt vmcnt(0) lgkmcnt(0)
	v_mul_f64 v[10:11], v[20:21], v[16:17]
	v_mul_f64 v[16:17], v[18:19], v[16:17]
	v_fma_f64 v[10:11], v[18:19], v[14:15], -v[10:11]
	s_delay_alu instid0(VALU_DEP_2) | instskip(NEXT) | instid1(VALU_DEP_2)
	v_fma_f64 v[14:15], v[20:21], v[14:15], v[16:17]
	v_add_f64 v[3:4], v[3:4], v[10:11]
	s_delay_alu instid0(VALU_DEP_2)
	v_add_f64 v[1:2], v[1:2], v[14:15]
	s_and_not1_b32 exec_lo, exec_lo, s3
	s_cbranch_execnz .LBB30_41
; %bb.42:
	s_or_b32 exec_lo, exec_lo, s3
	v_mov_b32_e32 v7, 0
	ds_load_b128 v[7:10], v7 offset:112
	s_waitcnt lgkmcnt(0)
	v_mul_f64 v[11:12], v[1:2], v[9:10]
	v_mul_f64 v[14:15], v[3:4], v[9:10]
	s_delay_alu instid0(VALU_DEP_2) | instskip(NEXT) | instid1(VALU_DEP_2)
	v_fma_f64 v[9:10], v[3:4], v[7:8], -v[11:12]
	v_fma_f64 v[11:12], v[1:2], v[7:8], v[14:15]
	scratch_store_b128 off, v[9:12], off offset:112
.LBB30_43:
	s_or_b32 exec_lo, exec_lo, s2
	s_waitcnt_vscnt null, 0x0
	s_barrier
	buffer_gl0_inv
	scratch_load_b128 v[1:4], v123, off
	s_mov_b32 s2, exec_lo
	s_waitcnt vmcnt(0)
	ds_store_b128 v5, v[1:4]
	s_waitcnt lgkmcnt(0)
	s_barrier
	buffer_gl0_inv
	v_cmpx_gt_u32_e32 8, v108
	s_cbranch_execz .LBB30_47
; %bb.44:
	v_dual_mov_b32 v1, 0 :: v_dual_add_nc_u32 v8, 0x1f0, v25
	v_dual_mov_b32 v2, 0 :: v_dual_add_nc_u32 v7, -1, v108
	v_or_b32_e32 v9, 8, v13
	s_mov_b32 s3, 0
	s_delay_alu instid0(VALU_DEP_2)
	v_dual_mov_b32 v4, v2 :: v_dual_mov_b32 v3, v1
	.p2align	6
.LBB30_45:                              ; =>This Inner Loop Header: Depth=1
	scratch_load_b128 v[14:17], v9, off offset:-8
	ds_load_b128 v[18:21], v8
	v_add_nc_u32_e32 v7, 1, v7
	v_add_nc_u32_e32 v8, 16, v8
	;; [unrolled: 1-line block ×3, first 2 shown]
	s_delay_alu instid0(VALU_DEP_3) | instskip(SKIP_4) | instid1(VALU_DEP_2)
	v_cmp_lt_u32_e32 vcc_lo, 6, v7
	s_or_b32 s3, vcc_lo, s3
	s_waitcnt vmcnt(0) lgkmcnt(0)
	v_mul_f64 v[10:11], v[20:21], v[16:17]
	v_mul_f64 v[16:17], v[18:19], v[16:17]
	v_fma_f64 v[10:11], v[18:19], v[14:15], -v[10:11]
	s_delay_alu instid0(VALU_DEP_2) | instskip(NEXT) | instid1(VALU_DEP_2)
	v_fma_f64 v[14:15], v[20:21], v[14:15], v[16:17]
	v_add_f64 v[3:4], v[3:4], v[10:11]
	s_delay_alu instid0(VALU_DEP_2)
	v_add_f64 v[1:2], v[1:2], v[14:15]
	s_and_not1_b32 exec_lo, exec_lo, s3
	s_cbranch_execnz .LBB30_45
; %bb.46:
	s_or_b32 exec_lo, exec_lo, s3
	v_mov_b32_e32 v7, 0
	ds_load_b128 v[7:10], v7 offset:128
	s_waitcnt lgkmcnt(0)
	v_mul_f64 v[11:12], v[1:2], v[9:10]
	v_mul_f64 v[14:15], v[3:4], v[9:10]
	s_delay_alu instid0(VALU_DEP_2) | instskip(NEXT) | instid1(VALU_DEP_2)
	v_fma_f64 v[9:10], v[3:4], v[7:8], -v[11:12]
	v_fma_f64 v[11:12], v[1:2], v[7:8], v[14:15]
	scratch_store_b128 off, v[9:12], off offset:128
.LBB30_47:
	s_or_b32 exec_lo, exec_lo, s2
	s_waitcnt_vscnt null, 0x0
	s_barrier
	buffer_gl0_inv
	scratch_load_b128 v[1:4], v125, off
	s_mov_b32 s2, exec_lo
	s_waitcnt vmcnt(0)
	ds_store_b128 v5, v[1:4]
	s_waitcnt lgkmcnt(0)
	s_barrier
	buffer_gl0_inv
	v_cmpx_gt_u32_e32 9, v108
	s_cbranch_execz .LBB30_51
; %bb.48:
	v_dual_mov_b32 v1, 0 :: v_dual_add_nc_u32 v8, 0x1f0, v25
	v_dual_mov_b32 v2, 0 :: v_dual_add_nc_u32 v7, -1, v108
	v_or_b32_e32 v9, 8, v13
	s_mov_b32 s3, 0
	s_delay_alu instid0(VALU_DEP_2)
	v_dual_mov_b32 v4, v2 :: v_dual_mov_b32 v3, v1
	.p2align	6
.LBB30_49:                              ; =>This Inner Loop Header: Depth=1
	scratch_load_b128 v[14:17], v9, off offset:-8
	ds_load_b128 v[18:21], v8
	v_add_nc_u32_e32 v7, 1, v7
	v_add_nc_u32_e32 v8, 16, v8
	;; [unrolled: 1-line block ×3, first 2 shown]
	s_delay_alu instid0(VALU_DEP_3) | instskip(SKIP_4) | instid1(VALU_DEP_2)
	v_cmp_lt_u32_e32 vcc_lo, 7, v7
	s_or_b32 s3, vcc_lo, s3
	s_waitcnt vmcnt(0) lgkmcnt(0)
	v_mul_f64 v[10:11], v[20:21], v[16:17]
	v_mul_f64 v[16:17], v[18:19], v[16:17]
	v_fma_f64 v[10:11], v[18:19], v[14:15], -v[10:11]
	s_delay_alu instid0(VALU_DEP_2) | instskip(NEXT) | instid1(VALU_DEP_2)
	v_fma_f64 v[14:15], v[20:21], v[14:15], v[16:17]
	v_add_f64 v[3:4], v[3:4], v[10:11]
	s_delay_alu instid0(VALU_DEP_2)
	v_add_f64 v[1:2], v[1:2], v[14:15]
	s_and_not1_b32 exec_lo, exec_lo, s3
	s_cbranch_execnz .LBB30_49
; %bb.50:
	s_or_b32 exec_lo, exec_lo, s3
	v_mov_b32_e32 v7, 0
	ds_load_b128 v[7:10], v7 offset:144
	s_waitcnt lgkmcnt(0)
	v_mul_f64 v[11:12], v[1:2], v[9:10]
	v_mul_f64 v[14:15], v[3:4], v[9:10]
	s_delay_alu instid0(VALU_DEP_2) | instskip(NEXT) | instid1(VALU_DEP_2)
	v_fma_f64 v[9:10], v[3:4], v[7:8], -v[11:12]
	v_fma_f64 v[11:12], v[1:2], v[7:8], v[14:15]
	scratch_store_b128 off, v[9:12], off offset:144
.LBB30_51:
	s_or_b32 exec_lo, exec_lo, s2
	s_waitcnt_vscnt null, 0x0
	s_barrier
	buffer_gl0_inv
	scratch_load_b128 v[1:4], v122, off
	s_mov_b32 s2, exec_lo
	s_waitcnt vmcnt(0)
	ds_store_b128 v5, v[1:4]
	s_waitcnt lgkmcnt(0)
	s_barrier
	buffer_gl0_inv
	v_cmpx_gt_u32_e32 10, v108
	s_cbranch_execz .LBB30_55
; %bb.52:
	v_dual_mov_b32 v1, 0 :: v_dual_add_nc_u32 v8, 0x1f0, v25
	v_dual_mov_b32 v2, 0 :: v_dual_add_nc_u32 v7, -1, v108
	v_or_b32_e32 v9, 8, v13
	s_mov_b32 s3, 0
	s_delay_alu instid0(VALU_DEP_2)
	v_dual_mov_b32 v4, v2 :: v_dual_mov_b32 v3, v1
	.p2align	6
.LBB30_53:                              ; =>This Inner Loop Header: Depth=1
	scratch_load_b128 v[14:17], v9, off offset:-8
	ds_load_b128 v[18:21], v8
	v_add_nc_u32_e32 v7, 1, v7
	v_add_nc_u32_e32 v8, 16, v8
	;; [unrolled: 1-line block ×3, first 2 shown]
	s_delay_alu instid0(VALU_DEP_3) | instskip(SKIP_4) | instid1(VALU_DEP_2)
	v_cmp_lt_u32_e32 vcc_lo, 8, v7
	s_or_b32 s3, vcc_lo, s3
	s_waitcnt vmcnt(0) lgkmcnt(0)
	v_mul_f64 v[10:11], v[20:21], v[16:17]
	v_mul_f64 v[16:17], v[18:19], v[16:17]
	v_fma_f64 v[10:11], v[18:19], v[14:15], -v[10:11]
	s_delay_alu instid0(VALU_DEP_2) | instskip(NEXT) | instid1(VALU_DEP_2)
	v_fma_f64 v[14:15], v[20:21], v[14:15], v[16:17]
	v_add_f64 v[3:4], v[3:4], v[10:11]
	s_delay_alu instid0(VALU_DEP_2)
	v_add_f64 v[1:2], v[1:2], v[14:15]
	s_and_not1_b32 exec_lo, exec_lo, s3
	s_cbranch_execnz .LBB30_53
; %bb.54:
	s_or_b32 exec_lo, exec_lo, s3
	v_mov_b32_e32 v7, 0
	ds_load_b128 v[7:10], v7 offset:160
	s_waitcnt lgkmcnt(0)
	v_mul_f64 v[11:12], v[1:2], v[9:10]
	v_mul_f64 v[14:15], v[3:4], v[9:10]
	s_delay_alu instid0(VALU_DEP_2) | instskip(NEXT) | instid1(VALU_DEP_2)
	v_fma_f64 v[9:10], v[3:4], v[7:8], -v[11:12]
	v_fma_f64 v[11:12], v[1:2], v[7:8], v[14:15]
	scratch_store_b128 off, v[9:12], off offset:160
.LBB30_55:
	s_or_b32 exec_lo, exec_lo, s2
	s_waitcnt_vscnt null, 0x0
	s_barrier
	buffer_gl0_inv
	scratch_load_b128 v[1:4], v120, off
	s_mov_b32 s2, exec_lo
	s_waitcnt vmcnt(0)
	ds_store_b128 v5, v[1:4]
	s_waitcnt lgkmcnt(0)
	s_barrier
	buffer_gl0_inv
	v_cmpx_gt_u32_e32 11, v108
	s_cbranch_execz .LBB30_59
; %bb.56:
	v_dual_mov_b32 v1, 0 :: v_dual_add_nc_u32 v8, 0x1f0, v25
	v_dual_mov_b32 v2, 0 :: v_dual_add_nc_u32 v7, -1, v108
	v_or_b32_e32 v9, 8, v13
	s_mov_b32 s3, 0
	s_delay_alu instid0(VALU_DEP_2)
	v_dual_mov_b32 v4, v2 :: v_dual_mov_b32 v3, v1
	.p2align	6
.LBB30_57:                              ; =>This Inner Loop Header: Depth=1
	scratch_load_b128 v[14:17], v9, off offset:-8
	ds_load_b128 v[18:21], v8
	v_add_nc_u32_e32 v7, 1, v7
	v_add_nc_u32_e32 v8, 16, v8
	;; [unrolled: 1-line block ×3, first 2 shown]
	s_delay_alu instid0(VALU_DEP_3) | instskip(SKIP_4) | instid1(VALU_DEP_2)
	v_cmp_lt_u32_e32 vcc_lo, 9, v7
	s_or_b32 s3, vcc_lo, s3
	s_waitcnt vmcnt(0) lgkmcnt(0)
	v_mul_f64 v[10:11], v[20:21], v[16:17]
	v_mul_f64 v[16:17], v[18:19], v[16:17]
	v_fma_f64 v[10:11], v[18:19], v[14:15], -v[10:11]
	s_delay_alu instid0(VALU_DEP_2) | instskip(NEXT) | instid1(VALU_DEP_2)
	v_fma_f64 v[14:15], v[20:21], v[14:15], v[16:17]
	v_add_f64 v[3:4], v[3:4], v[10:11]
	s_delay_alu instid0(VALU_DEP_2)
	v_add_f64 v[1:2], v[1:2], v[14:15]
	s_and_not1_b32 exec_lo, exec_lo, s3
	s_cbranch_execnz .LBB30_57
; %bb.58:
	s_or_b32 exec_lo, exec_lo, s3
	v_mov_b32_e32 v7, 0
	ds_load_b128 v[7:10], v7 offset:176
	s_waitcnt lgkmcnt(0)
	v_mul_f64 v[11:12], v[1:2], v[9:10]
	v_mul_f64 v[14:15], v[3:4], v[9:10]
	s_delay_alu instid0(VALU_DEP_2) | instskip(NEXT) | instid1(VALU_DEP_2)
	v_fma_f64 v[9:10], v[3:4], v[7:8], -v[11:12]
	v_fma_f64 v[11:12], v[1:2], v[7:8], v[14:15]
	scratch_store_b128 off, v[9:12], off offset:176
.LBB30_59:
	s_or_b32 exec_lo, exec_lo, s2
	s_waitcnt_vscnt null, 0x0
	s_barrier
	buffer_gl0_inv
	scratch_load_b128 v[1:4], v118, off
	s_mov_b32 s2, exec_lo
	s_waitcnt vmcnt(0)
	ds_store_b128 v5, v[1:4]
	s_waitcnt lgkmcnt(0)
	s_barrier
	buffer_gl0_inv
	v_cmpx_gt_u32_e32 12, v108
	s_cbranch_execz .LBB30_63
; %bb.60:
	v_dual_mov_b32 v1, 0 :: v_dual_add_nc_u32 v8, 0x1f0, v25
	v_dual_mov_b32 v2, 0 :: v_dual_add_nc_u32 v7, -1, v108
	v_or_b32_e32 v9, 8, v13
	s_mov_b32 s3, 0
	s_delay_alu instid0(VALU_DEP_2)
	v_dual_mov_b32 v4, v2 :: v_dual_mov_b32 v3, v1
	.p2align	6
.LBB30_61:                              ; =>This Inner Loop Header: Depth=1
	scratch_load_b128 v[14:17], v9, off offset:-8
	ds_load_b128 v[18:21], v8
	v_add_nc_u32_e32 v7, 1, v7
	v_add_nc_u32_e32 v8, 16, v8
	;; [unrolled: 1-line block ×3, first 2 shown]
	s_delay_alu instid0(VALU_DEP_3) | instskip(SKIP_4) | instid1(VALU_DEP_2)
	v_cmp_lt_u32_e32 vcc_lo, 10, v7
	s_or_b32 s3, vcc_lo, s3
	s_waitcnt vmcnt(0) lgkmcnt(0)
	v_mul_f64 v[10:11], v[20:21], v[16:17]
	v_mul_f64 v[16:17], v[18:19], v[16:17]
	v_fma_f64 v[10:11], v[18:19], v[14:15], -v[10:11]
	s_delay_alu instid0(VALU_DEP_2) | instskip(NEXT) | instid1(VALU_DEP_2)
	v_fma_f64 v[14:15], v[20:21], v[14:15], v[16:17]
	v_add_f64 v[3:4], v[3:4], v[10:11]
	s_delay_alu instid0(VALU_DEP_2)
	v_add_f64 v[1:2], v[1:2], v[14:15]
	s_and_not1_b32 exec_lo, exec_lo, s3
	s_cbranch_execnz .LBB30_61
; %bb.62:
	s_or_b32 exec_lo, exec_lo, s3
	v_mov_b32_e32 v7, 0
	ds_load_b128 v[7:10], v7 offset:192
	s_waitcnt lgkmcnt(0)
	v_mul_f64 v[11:12], v[1:2], v[9:10]
	v_mul_f64 v[14:15], v[3:4], v[9:10]
	s_delay_alu instid0(VALU_DEP_2) | instskip(NEXT) | instid1(VALU_DEP_2)
	v_fma_f64 v[9:10], v[3:4], v[7:8], -v[11:12]
	v_fma_f64 v[11:12], v[1:2], v[7:8], v[14:15]
	scratch_store_b128 off, v[9:12], off offset:192
.LBB30_63:
	s_or_b32 exec_lo, exec_lo, s2
	s_waitcnt_vscnt null, 0x0
	s_barrier
	buffer_gl0_inv
	scratch_load_b128 v[1:4], v119, off
	s_mov_b32 s2, exec_lo
	s_waitcnt vmcnt(0)
	ds_store_b128 v5, v[1:4]
	s_waitcnt lgkmcnt(0)
	s_barrier
	buffer_gl0_inv
	v_cmpx_gt_u32_e32 13, v108
	s_cbranch_execz .LBB30_67
; %bb.64:
	v_dual_mov_b32 v1, 0 :: v_dual_add_nc_u32 v8, 0x1f0, v25
	v_dual_mov_b32 v2, 0 :: v_dual_add_nc_u32 v7, -1, v108
	v_or_b32_e32 v9, 8, v13
	s_mov_b32 s3, 0
	s_delay_alu instid0(VALU_DEP_2)
	v_dual_mov_b32 v4, v2 :: v_dual_mov_b32 v3, v1
	.p2align	6
.LBB30_65:                              ; =>This Inner Loop Header: Depth=1
	scratch_load_b128 v[14:17], v9, off offset:-8
	ds_load_b128 v[18:21], v8
	v_add_nc_u32_e32 v7, 1, v7
	v_add_nc_u32_e32 v8, 16, v8
	v_add_nc_u32_e32 v9, 16, v9
	s_delay_alu instid0(VALU_DEP_3) | instskip(SKIP_4) | instid1(VALU_DEP_2)
	v_cmp_lt_u32_e32 vcc_lo, 11, v7
	s_or_b32 s3, vcc_lo, s3
	s_waitcnt vmcnt(0) lgkmcnt(0)
	v_mul_f64 v[10:11], v[20:21], v[16:17]
	v_mul_f64 v[16:17], v[18:19], v[16:17]
	v_fma_f64 v[10:11], v[18:19], v[14:15], -v[10:11]
	s_delay_alu instid0(VALU_DEP_2) | instskip(NEXT) | instid1(VALU_DEP_2)
	v_fma_f64 v[14:15], v[20:21], v[14:15], v[16:17]
	v_add_f64 v[3:4], v[3:4], v[10:11]
	s_delay_alu instid0(VALU_DEP_2)
	v_add_f64 v[1:2], v[1:2], v[14:15]
	s_and_not1_b32 exec_lo, exec_lo, s3
	s_cbranch_execnz .LBB30_65
; %bb.66:
	s_or_b32 exec_lo, exec_lo, s3
	v_mov_b32_e32 v7, 0
	ds_load_b128 v[7:10], v7 offset:208
	s_waitcnt lgkmcnt(0)
	v_mul_f64 v[11:12], v[1:2], v[9:10]
	v_mul_f64 v[14:15], v[3:4], v[9:10]
	s_delay_alu instid0(VALU_DEP_2) | instskip(NEXT) | instid1(VALU_DEP_2)
	v_fma_f64 v[9:10], v[3:4], v[7:8], -v[11:12]
	v_fma_f64 v[11:12], v[1:2], v[7:8], v[14:15]
	scratch_store_b128 off, v[9:12], off offset:208
.LBB30_67:
	s_or_b32 exec_lo, exec_lo, s2
	s_waitcnt_vscnt null, 0x0
	s_barrier
	buffer_gl0_inv
	scratch_load_b128 v[1:4], v117, off
	s_mov_b32 s2, exec_lo
	s_waitcnt vmcnt(0)
	ds_store_b128 v5, v[1:4]
	s_waitcnt lgkmcnt(0)
	s_barrier
	buffer_gl0_inv
	v_cmpx_gt_u32_e32 14, v108
	s_cbranch_execz .LBB30_71
; %bb.68:
	v_dual_mov_b32 v1, 0 :: v_dual_add_nc_u32 v8, 0x1f0, v25
	v_dual_mov_b32 v2, 0 :: v_dual_add_nc_u32 v7, -1, v108
	v_or_b32_e32 v9, 8, v13
	s_mov_b32 s3, 0
	s_delay_alu instid0(VALU_DEP_2)
	v_dual_mov_b32 v4, v2 :: v_dual_mov_b32 v3, v1
	.p2align	6
.LBB30_69:                              ; =>This Inner Loop Header: Depth=1
	scratch_load_b128 v[14:17], v9, off offset:-8
	ds_load_b128 v[18:21], v8
	v_add_nc_u32_e32 v7, 1, v7
	v_add_nc_u32_e32 v8, 16, v8
	;; [unrolled: 1-line block ×3, first 2 shown]
	s_delay_alu instid0(VALU_DEP_3) | instskip(SKIP_4) | instid1(VALU_DEP_2)
	v_cmp_lt_u32_e32 vcc_lo, 12, v7
	s_or_b32 s3, vcc_lo, s3
	s_waitcnt vmcnt(0) lgkmcnt(0)
	v_mul_f64 v[10:11], v[20:21], v[16:17]
	v_mul_f64 v[16:17], v[18:19], v[16:17]
	v_fma_f64 v[10:11], v[18:19], v[14:15], -v[10:11]
	s_delay_alu instid0(VALU_DEP_2) | instskip(NEXT) | instid1(VALU_DEP_2)
	v_fma_f64 v[14:15], v[20:21], v[14:15], v[16:17]
	v_add_f64 v[3:4], v[3:4], v[10:11]
	s_delay_alu instid0(VALU_DEP_2)
	v_add_f64 v[1:2], v[1:2], v[14:15]
	s_and_not1_b32 exec_lo, exec_lo, s3
	s_cbranch_execnz .LBB30_69
; %bb.70:
	s_or_b32 exec_lo, exec_lo, s3
	v_mov_b32_e32 v7, 0
	ds_load_b128 v[7:10], v7 offset:224
	s_waitcnt lgkmcnt(0)
	v_mul_f64 v[11:12], v[1:2], v[9:10]
	v_mul_f64 v[14:15], v[3:4], v[9:10]
	s_delay_alu instid0(VALU_DEP_2) | instskip(NEXT) | instid1(VALU_DEP_2)
	v_fma_f64 v[9:10], v[3:4], v[7:8], -v[11:12]
	v_fma_f64 v[11:12], v[1:2], v[7:8], v[14:15]
	scratch_store_b128 off, v[9:12], off offset:224
.LBB30_71:
	s_or_b32 exec_lo, exec_lo, s2
	s_waitcnt_vscnt null, 0x0
	s_barrier
	buffer_gl0_inv
	scratch_load_b128 v[1:4], v116, off
	s_mov_b32 s2, exec_lo
	s_waitcnt vmcnt(0)
	ds_store_b128 v5, v[1:4]
	s_waitcnt lgkmcnt(0)
	s_barrier
	buffer_gl0_inv
	v_cmpx_gt_u32_e32 15, v108
	s_cbranch_execz .LBB30_75
; %bb.72:
	v_dual_mov_b32 v1, 0 :: v_dual_add_nc_u32 v8, 0x1f0, v25
	v_dual_mov_b32 v2, 0 :: v_dual_add_nc_u32 v7, -1, v108
	v_or_b32_e32 v9, 8, v13
	s_mov_b32 s3, 0
	s_delay_alu instid0(VALU_DEP_2)
	v_dual_mov_b32 v4, v2 :: v_dual_mov_b32 v3, v1
	.p2align	6
.LBB30_73:                              ; =>This Inner Loop Header: Depth=1
	scratch_load_b128 v[14:17], v9, off offset:-8
	ds_load_b128 v[18:21], v8
	v_add_nc_u32_e32 v7, 1, v7
	v_add_nc_u32_e32 v8, 16, v8
	;; [unrolled: 1-line block ×3, first 2 shown]
	s_delay_alu instid0(VALU_DEP_3) | instskip(SKIP_4) | instid1(VALU_DEP_2)
	v_cmp_lt_u32_e32 vcc_lo, 13, v7
	s_or_b32 s3, vcc_lo, s3
	s_waitcnt vmcnt(0) lgkmcnt(0)
	v_mul_f64 v[10:11], v[20:21], v[16:17]
	v_mul_f64 v[16:17], v[18:19], v[16:17]
	v_fma_f64 v[10:11], v[18:19], v[14:15], -v[10:11]
	s_delay_alu instid0(VALU_DEP_2) | instskip(NEXT) | instid1(VALU_DEP_2)
	v_fma_f64 v[14:15], v[20:21], v[14:15], v[16:17]
	v_add_f64 v[3:4], v[3:4], v[10:11]
	s_delay_alu instid0(VALU_DEP_2)
	v_add_f64 v[1:2], v[1:2], v[14:15]
	s_and_not1_b32 exec_lo, exec_lo, s3
	s_cbranch_execnz .LBB30_73
; %bb.74:
	s_or_b32 exec_lo, exec_lo, s3
	v_mov_b32_e32 v7, 0
	ds_load_b128 v[7:10], v7 offset:240
	s_waitcnt lgkmcnt(0)
	v_mul_f64 v[11:12], v[1:2], v[9:10]
	v_mul_f64 v[14:15], v[3:4], v[9:10]
	s_delay_alu instid0(VALU_DEP_2) | instskip(NEXT) | instid1(VALU_DEP_2)
	v_fma_f64 v[9:10], v[3:4], v[7:8], -v[11:12]
	v_fma_f64 v[11:12], v[1:2], v[7:8], v[14:15]
	scratch_store_b128 off, v[9:12], off offset:240
.LBB30_75:
	s_or_b32 exec_lo, exec_lo, s2
	s_waitcnt_vscnt null, 0x0
	s_barrier
	buffer_gl0_inv
	scratch_load_b128 v[1:4], v114, off
	s_mov_b32 s2, exec_lo
	s_waitcnt vmcnt(0)
	ds_store_b128 v5, v[1:4]
	s_waitcnt lgkmcnt(0)
	s_barrier
	buffer_gl0_inv
	v_cmpx_gt_u32_e32 16, v108
	s_cbranch_execz .LBB30_79
; %bb.76:
	v_dual_mov_b32 v1, 0 :: v_dual_add_nc_u32 v8, 0x1f0, v25
	v_dual_mov_b32 v2, 0 :: v_dual_add_nc_u32 v7, -1, v108
	v_or_b32_e32 v9, 8, v13
	s_mov_b32 s3, 0
	s_delay_alu instid0(VALU_DEP_2)
	v_dual_mov_b32 v4, v2 :: v_dual_mov_b32 v3, v1
	.p2align	6
.LBB30_77:                              ; =>This Inner Loop Header: Depth=1
	scratch_load_b128 v[14:17], v9, off offset:-8
	ds_load_b128 v[18:21], v8
	v_add_nc_u32_e32 v7, 1, v7
	v_add_nc_u32_e32 v8, 16, v8
	v_add_nc_u32_e32 v9, 16, v9
	s_delay_alu instid0(VALU_DEP_3) | instskip(SKIP_4) | instid1(VALU_DEP_2)
	v_cmp_lt_u32_e32 vcc_lo, 14, v7
	s_or_b32 s3, vcc_lo, s3
	s_waitcnt vmcnt(0) lgkmcnt(0)
	v_mul_f64 v[10:11], v[20:21], v[16:17]
	v_mul_f64 v[16:17], v[18:19], v[16:17]
	v_fma_f64 v[10:11], v[18:19], v[14:15], -v[10:11]
	s_delay_alu instid0(VALU_DEP_2) | instskip(NEXT) | instid1(VALU_DEP_2)
	v_fma_f64 v[14:15], v[20:21], v[14:15], v[16:17]
	v_add_f64 v[3:4], v[3:4], v[10:11]
	s_delay_alu instid0(VALU_DEP_2)
	v_add_f64 v[1:2], v[1:2], v[14:15]
	s_and_not1_b32 exec_lo, exec_lo, s3
	s_cbranch_execnz .LBB30_77
; %bb.78:
	s_or_b32 exec_lo, exec_lo, s3
	v_mov_b32_e32 v7, 0
	ds_load_b128 v[7:10], v7 offset:256
	s_waitcnt lgkmcnt(0)
	v_mul_f64 v[11:12], v[1:2], v[9:10]
	v_mul_f64 v[14:15], v[3:4], v[9:10]
	s_delay_alu instid0(VALU_DEP_2) | instskip(NEXT) | instid1(VALU_DEP_2)
	v_fma_f64 v[9:10], v[3:4], v[7:8], -v[11:12]
	v_fma_f64 v[11:12], v[1:2], v[7:8], v[14:15]
	scratch_store_b128 off, v[9:12], off offset:256
.LBB30_79:
	s_or_b32 exec_lo, exec_lo, s2
	s_waitcnt_vscnt null, 0x0
	s_barrier
	buffer_gl0_inv
	scratch_load_b128 v[1:4], v115, off
	s_mov_b32 s2, exec_lo
	s_waitcnt vmcnt(0)
	ds_store_b128 v5, v[1:4]
	s_waitcnt lgkmcnt(0)
	s_barrier
	buffer_gl0_inv
	v_cmpx_gt_u32_e32 17, v108
	s_cbranch_execz .LBB30_83
; %bb.80:
	v_dual_mov_b32 v1, 0 :: v_dual_add_nc_u32 v8, 0x1f0, v25
	v_dual_mov_b32 v2, 0 :: v_dual_add_nc_u32 v7, -1, v108
	v_or_b32_e32 v9, 8, v13
	s_mov_b32 s3, 0
	s_delay_alu instid0(VALU_DEP_2)
	v_dual_mov_b32 v4, v2 :: v_dual_mov_b32 v3, v1
	.p2align	6
.LBB30_81:                              ; =>This Inner Loop Header: Depth=1
	scratch_load_b128 v[14:17], v9, off offset:-8
	ds_load_b128 v[18:21], v8
	v_add_nc_u32_e32 v7, 1, v7
	v_add_nc_u32_e32 v8, 16, v8
	;; [unrolled: 1-line block ×3, first 2 shown]
	s_delay_alu instid0(VALU_DEP_3) | instskip(SKIP_4) | instid1(VALU_DEP_2)
	v_cmp_lt_u32_e32 vcc_lo, 15, v7
	s_or_b32 s3, vcc_lo, s3
	s_waitcnt vmcnt(0) lgkmcnt(0)
	v_mul_f64 v[10:11], v[20:21], v[16:17]
	v_mul_f64 v[16:17], v[18:19], v[16:17]
	v_fma_f64 v[10:11], v[18:19], v[14:15], -v[10:11]
	s_delay_alu instid0(VALU_DEP_2) | instskip(NEXT) | instid1(VALU_DEP_2)
	v_fma_f64 v[14:15], v[20:21], v[14:15], v[16:17]
	v_add_f64 v[3:4], v[3:4], v[10:11]
	s_delay_alu instid0(VALU_DEP_2)
	v_add_f64 v[1:2], v[1:2], v[14:15]
	s_and_not1_b32 exec_lo, exec_lo, s3
	s_cbranch_execnz .LBB30_81
; %bb.82:
	s_or_b32 exec_lo, exec_lo, s3
	v_mov_b32_e32 v7, 0
	ds_load_b128 v[7:10], v7 offset:272
	s_waitcnt lgkmcnt(0)
	v_mul_f64 v[11:12], v[1:2], v[9:10]
	v_mul_f64 v[14:15], v[3:4], v[9:10]
	s_delay_alu instid0(VALU_DEP_2) | instskip(NEXT) | instid1(VALU_DEP_2)
	v_fma_f64 v[9:10], v[3:4], v[7:8], -v[11:12]
	v_fma_f64 v[11:12], v[1:2], v[7:8], v[14:15]
	scratch_store_b128 off, v[9:12], off offset:272
.LBB30_83:
	s_or_b32 exec_lo, exec_lo, s2
	s_waitcnt_vscnt null, 0x0
	s_barrier
	buffer_gl0_inv
	scratch_load_b128 v[1:4], v113, off
	s_mov_b32 s2, exec_lo
	s_waitcnt vmcnt(0)
	ds_store_b128 v5, v[1:4]
	s_waitcnt lgkmcnt(0)
	s_barrier
	buffer_gl0_inv
	v_cmpx_gt_u32_e32 18, v108
	s_cbranch_execz .LBB30_87
; %bb.84:
	v_dual_mov_b32 v1, 0 :: v_dual_add_nc_u32 v8, 0x1f0, v25
	v_dual_mov_b32 v2, 0 :: v_dual_add_nc_u32 v7, -1, v108
	v_or_b32_e32 v9, 8, v13
	s_mov_b32 s3, 0
	s_delay_alu instid0(VALU_DEP_2)
	v_dual_mov_b32 v4, v2 :: v_dual_mov_b32 v3, v1
	.p2align	6
.LBB30_85:                              ; =>This Inner Loop Header: Depth=1
	scratch_load_b128 v[14:17], v9, off offset:-8
	ds_load_b128 v[18:21], v8
	v_add_nc_u32_e32 v7, 1, v7
	v_add_nc_u32_e32 v8, 16, v8
	;; [unrolled: 1-line block ×3, first 2 shown]
	s_delay_alu instid0(VALU_DEP_3) | instskip(SKIP_4) | instid1(VALU_DEP_2)
	v_cmp_lt_u32_e32 vcc_lo, 16, v7
	s_or_b32 s3, vcc_lo, s3
	s_waitcnt vmcnt(0) lgkmcnt(0)
	v_mul_f64 v[10:11], v[20:21], v[16:17]
	v_mul_f64 v[16:17], v[18:19], v[16:17]
	v_fma_f64 v[10:11], v[18:19], v[14:15], -v[10:11]
	s_delay_alu instid0(VALU_DEP_2) | instskip(NEXT) | instid1(VALU_DEP_2)
	v_fma_f64 v[14:15], v[20:21], v[14:15], v[16:17]
	v_add_f64 v[3:4], v[3:4], v[10:11]
	s_delay_alu instid0(VALU_DEP_2)
	v_add_f64 v[1:2], v[1:2], v[14:15]
	s_and_not1_b32 exec_lo, exec_lo, s3
	s_cbranch_execnz .LBB30_85
; %bb.86:
	s_or_b32 exec_lo, exec_lo, s3
	v_mov_b32_e32 v7, 0
	ds_load_b128 v[7:10], v7 offset:288
	s_waitcnt lgkmcnt(0)
	v_mul_f64 v[11:12], v[1:2], v[9:10]
	v_mul_f64 v[14:15], v[3:4], v[9:10]
	s_delay_alu instid0(VALU_DEP_2) | instskip(NEXT) | instid1(VALU_DEP_2)
	v_fma_f64 v[9:10], v[3:4], v[7:8], -v[11:12]
	v_fma_f64 v[11:12], v[1:2], v[7:8], v[14:15]
	scratch_store_b128 off, v[9:12], off offset:288
.LBB30_87:
	s_or_b32 exec_lo, exec_lo, s2
	s_waitcnt_vscnt null, 0x0
	s_barrier
	buffer_gl0_inv
	scratch_load_b128 v[1:4], v138, off
	s_mov_b32 s2, exec_lo
	s_waitcnt vmcnt(0)
	ds_store_b128 v5, v[1:4]
	s_waitcnt lgkmcnt(0)
	s_barrier
	buffer_gl0_inv
	v_cmpx_gt_u32_e32 19, v108
	s_cbranch_execz .LBB30_91
; %bb.88:
	v_dual_mov_b32 v1, 0 :: v_dual_add_nc_u32 v8, 0x1f0, v25
	v_dual_mov_b32 v2, 0 :: v_dual_add_nc_u32 v7, -1, v108
	v_or_b32_e32 v9, 8, v13
	s_mov_b32 s3, 0
	s_delay_alu instid0(VALU_DEP_2)
	v_dual_mov_b32 v4, v2 :: v_dual_mov_b32 v3, v1
	.p2align	6
.LBB30_89:                              ; =>This Inner Loop Header: Depth=1
	scratch_load_b128 v[14:17], v9, off offset:-8
	ds_load_b128 v[18:21], v8
	v_add_nc_u32_e32 v7, 1, v7
	v_add_nc_u32_e32 v8, 16, v8
	;; [unrolled: 1-line block ×3, first 2 shown]
	s_delay_alu instid0(VALU_DEP_3) | instskip(SKIP_4) | instid1(VALU_DEP_2)
	v_cmp_lt_u32_e32 vcc_lo, 17, v7
	s_or_b32 s3, vcc_lo, s3
	s_waitcnt vmcnt(0) lgkmcnt(0)
	v_mul_f64 v[10:11], v[20:21], v[16:17]
	v_mul_f64 v[16:17], v[18:19], v[16:17]
	v_fma_f64 v[10:11], v[18:19], v[14:15], -v[10:11]
	s_delay_alu instid0(VALU_DEP_2) | instskip(NEXT) | instid1(VALU_DEP_2)
	v_fma_f64 v[14:15], v[20:21], v[14:15], v[16:17]
	v_add_f64 v[3:4], v[3:4], v[10:11]
	s_delay_alu instid0(VALU_DEP_2)
	v_add_f64 v[1:2], v[1:2], v[14:15]
	s_and_not1_b32 exec_lo, exec_lo, s3
	s_cbranch_execnz .LBB30_89
; %bb.90:
	s_or_b32 exec_lo, exec_lo, s3
	v_mov_b32_e32 v7, 0
	ds_load_b128 v[7:10], v7 offset:304
	s_waitcnt lgkmcnt(0)
	v_mul_f64 v[11:12], v[1:2], v[9:10]
	v_mul_f64 v[14:15], v[3:4], v[9:10]
	s_delay_alu instid0(VALU_DEP_2) | instskip(NEXT) | instid1(VALU_DEP_2)
	v_fma_f64 v[9:10], v[3:4], v[7:8], -v[11:12]
	v_fma_f64 v[11:12], v[1:2], v[7:8], v[14:15]
	scratch_store_b128 off, v[9:12], off offset:304
.LBB30_91:
	s_or_b32 exec_lo, exec_lo, s2
	s_waitcnt_vscnt null, 0x0
	s_barrier
	buffer_gl0_inv
	scratch_load_b128 v[1:4], v137, off
	s_mov_b32 s2, exec_lo
	s_waitcnt vmcnt(0)
	ds_store_b128 v5, v[1:4]
	s_waitcnt lgkmcnt(0)
	s_barrier
	buffer_gl0_inv
	v_cmpx_gt_u32_e32 20, v108
	s_cbranch_execz .LBB30_95
; %bb.92:
	v_dual_mov_b32 v1, 0 :: v_dual_add_nc_u32 v8, 0x1f0, v25
	v_dual_mov_b32 v2, 0 :: v_dual_add_nc_u32 v7, -1, v108
	v_or_b32_e32 v9, 8, v13
	s_mov_b32 s3, 0
	s_delay_alu instid0(VALU_DEP_2)
	v_dual_mov_b32 v4, v2 :: v_dual_mov_b32 v3, v1
	.p2align	6
.LBB30_93:                              ; =>This Inner Loop Header: Depth=1
	scratch_load_b128 v[14:17], v9, off offset:-8
	ds_load_b128 v[18:21], v8
	v_add_nc_u32_e32 v7, 1, v7
	v_add_nc_u32_e32 v8, 16, v8
	;; [unrolled: 1-line block ×3, first 2 shown]
	s_delay_alu instid0(VALU_DEP_3) | instskip(SKIP_4) | instid1(VALU_DEP_2)
	v_cmp_lt_u32_e32 vcc_lo, 18, v7
	s_or_b32 s3, vcc_lo, s3
	s_waitcnt vmcnt(0) lgkmcnt(0)
	v_mul_f64 v[10:11], v[20:21], v[16:17]
	v_mul_f64 v[16:17], v[18:19], v[16:17]
	v_fma_f64 v[10:11], v[18:19], v[14:15], -v[10:11]
	s_delay_alu instid0(VALU_DEP_2) | instskip(NEXT) | instid1(VALU_DEP_2)
	v_fma_f64 v[14:15], v[20:21], v[14:15], v[16:17]
	v_add_f64 v[3:4], v[3:4], v[10:11]
	s_delay_alu instid0(VALU_DEP_2)
	v_add_f64 v[1:2], v[1:2], v[14:15]
	s_and_not1_b32 exec_lo, exec_lo, s3
	s_cbranch_execnz .LBB30_93
; %bb.94:
	s_or_b32 exec_lo, exec_lo, s3
	v_mov_b32_e32 v7, 0
	ds_load_b128 v[7:10], v7 offset:320
	s_waitcnt lgkmcnt(0)
	v_mul_f64 v[11:12], v[1:2], v[9:10]
	v_mul_f64 v[14:15], v[3:4], v[9:10]
	s_delay_alu instid0(VALU_DEP_2) | instskip(NEXT) | instid1(VALU_DEP_2)
	v_fma_f64 v[9:10], v[3:4], v[7:8], -v[11:12]
	v_fma_f64 v[11:12], v[1:2], v[7:8], v[14:15]
	scratch_store_b128 off, v[9:12], off offset:320
.LBB30_95:
	s_or_b32 exec_lo, exec_lo, s2
	s_waitcnt_vscnt null, 0x0
	s_barrier
	buffer_gl0_inv
	scratch_load_b128 v[1:4], v136, off
	s_mov_b32 s2, exec_lo
	s_waitcnt vmcnt(0)
	ds_store_b128 v5, v[1:4]
	s_waitcnt lgkmcnt(0)
	s_barrier
	buffer_gl0_inv
	v_cmpx_gt_u32_e32 21, v108
	s_cbranch_execz .LBB30_99
; %bb.96:
	v_dual_mov_b32 v1, 0 :: v_dual_add_nc_u32 v8, 0x1f0, v25
	v_dual_mov_b32 v2, 0 :: v_dual_add_nc_u32 v7, -1, v108
	v_or_b32_e32 v9, 8, v13
	s_mov_b32 s3, 0
	s_delay_alu instid0(VALU_DEP_2)
	v_dual_mov_b32 v4, v2 :: v_dual_mov_b32 v3, v1
	.p2align	6
.LBB30_97:                              ; =>This Inner Loop Header: Depth=1
	scratch_load_b128 v[14:17], v9, off offset:-8
	ds_load_b128 v[18:21], v8
	v_add_nc_u32_e32 v7, 1, v7
	v_add_nc_u32_e32 v8, 16, v8
	;; [unrolled: 1-line block ×3, first 2 shown]
	s_delay_alu instid0(VALU_DEP_3) | instskip(SKIP_4) | instid1(VALU_DEP_2)
	v_cmp_lt_u32_e32 vcc_lo, 19, v7
	s_or_b32 s3, vcc_lo, s3
	s_waitcnt vmcnt(0) lgkmcnt(0)
	v_mul_f64 v[10:11], v[20:21], v[16:17]
	v_mul_f64 v[16:17], v[18:19], v[16:17]
	v_fma_f64 v[10:11], v[18:19], v[14:15], -v[10:11]
	s_delay_alu instid0(VALU_DEP_2) | instskip(NEXT) | instid1(VALU_DEP_2)
	v_fma_f64 v[14:15], v[20:21], v[14:15], v[16:17]
	v_add_f64 v[3:4], v[3:4], v[10:11]
	s_delay_alu instid0(VALU_DEP_2)
	v_add_f64 v[1:2], v[1:2], v[14:15]
	s_and_not1_b32 exec_lo, exec_lo, s3
	s_cbranch_execnz .LBB30_97
; %bb.98:
	s_or_b32 exec_lo, exec_lo, s3
	v_mov_b32_e32 v7, 0
	ds_load_b128 v[7:10], v7 offset:336
	s_waitcnt lgkmcnt(0)
	v_mul_f64 v[11:12], v[1:2], v[9:10]
	v_mul_f64 v[14:15], v[3:4], v[9:10]
	s_delay_alu instid0(VALU_DEP_2) | instskip(NEXT) | instid1(VALU_DEP_2)
	v_fma_f64 v[9:10], v[3:4], v[7:8], -v[11:12]
	v_fma_f64 v[11:12], v[1:2], v[7:8], v[14:15]
	scratch_store_b128 off, v[9:12], off offset:336
.LBB30_99:
	s_or_b32 exec_lo, exec_lo, s2
	s_waitcnt_vscnt null, 0x0
	s_barrier
	buffer_gl0_inv
	scratch_load_b128 v[1:4], v135, off
	s_mov_b32 s2, exec_lo
	s_waitcnt vmcnt(0)
	ds_store_b128 v5, v[1:4]
	s_waitcnt lgkmcnt(0)
	s_barrier
	buffer_gl0_inv
	v_cmpx_gt_u32_e32 22, v108
	s_cbranch_execz .LBB30_103
; %bb.100:
	v_dual_mov_b32 v1, 0 :: v_dual_add_nc_u32 v8, 0x1f0, v25
	v_dual_mov_b32 v2, 0 :: v_dual_add_nc_u32 v7, -1, v108
	v_or_b32_e32 v9, 8, v13
	s_mov_b32 s3, 0
	s_delay_alu instid0(VALU_DEP_2)
	v_dual_mov_b32 v4, v2 :: v_dual_mov_b32 v3, v1
	.p2align	6
.LBB30_101:                             ; =>This Inner Loop Header: Depth=1
	scratch_load_b128 v[14:17], v9, off offset:-8
	ds_load_b128 v[18:21], v8
	v_add_nc_u32_e32 v7, 1, v7
	v_add_nc_u32_e32 v8, 16, v8
	;; [unrolled: 1-line block ×3, first 2 shown]
	s_delay_alu instid0(VALU_DEP_3) | instskip(SKIP_4) | instid1(VALU_DEP_2)
	v_cmp_lt_u32_e32 vcc_lo, 20, v7
	s_or_b32 s3, vcc_lo, s3
	s_waitcnt vmcnt(0) lgkmcnt(0)
	v_mul_f64 v[10:11], v[20:21], v[16:17]
	v_mul_f64 v[16:17], v[18:19], v[16:17]
	v_fma_f64 v[10:11], v[18:19], v[14:15], -v[10:11]
	s_delay_alu instid0(VALU_DEP_2) | instskip(NEXT) | instid1(VALU_DEP_2)
	v_fma_f64 v[14:15], v[20:21], v[14:15], v[16:17]
	v_add_f64 v[3:4], v[3:4], v[10:11]
	s_delay_alu instid0(VALU_DEP_2)
	v_add_f64 v[1:2], v[1:2], v[14:15]
	s_and_not1_b32 exec_lo, exec_lo, s3
	s_cbranch_execnz .LBB30_101
; %bb.102:
	s_or_b32 exec_lo, exec_lo, s3
	v_mov_b32_e32 v7, 0
	ds_load_b128 v[7:10], v7 offset:352
	s_waitcnt lgkmcnt(0)
	v_mul_f64 v[11:12], v[1:2], v[9:10]
	v_mul_f64 v[14:15], v[3:4], v[9:10]
	s_delay_alu instid0(VALU_DEP_2) | instskip(NEXT) | instid1(VALU_DEP_2)
	v_fma_f64 v[9:10], v[3:4], v[7:8], -v[11:12]
	v_fma_f64 v[11:12], v[1:2], v[7:8], v[14:15]
	scratch_store_b128 off, v[9:12], off offset:352
.LBB30_103:
	s_or_b32 exec_lo, exec_lo, s2
	s_waitcnt_vscnt null, 0x0
	s_barrier
	buffer_gl0_inv
	scratch_load_b128 v[1:4], v134, off
	s_mov_b32 s2, exec_lo
	s_waitcnt vmcnt(0)
	ds_store_b128 v5, v[1:4]
	s_waitcnt lgkmcnt(0)
	s_barrier
	buffer_gl0_inv
	v_cmpx_gt_u32_e32 23, v108
	s_cbranch_execz .LBB30_107
; %bb.104:
	v_dual_mov_b32 v1, 0 :: v_dual_add_nc_u32 v8, 0x1f0, v25
	v_dual_mov_b32 v2, 0 :: v_dual_add_nc_u32 v7, -1, v108
	v_or_b32_e32 v9, 8, v13
	s_mov_b32 s3, 0
	s_delay_alu instid0(VALU_DEP_2)
	v_dual_mov_b32 v4, v2 :: v_dual_mov_b32 v3, v1
	.p2align	6
.LBB30_105:                             ; =>This Inner Loop Header: Depth=1
	scratch_load_b128 v[14:17], v9, off offset:-8
	ds_load_b128 v[18:21], v8
	v_add_nc_u32_e32 v7, 1, v7
	v_add_nc_u32_e32 v8, 16, v8
	;; [unrolled: 1-line block ×3, first 2 shown]
	s_delay_alu instid0(VALU_DEP_3) | instskip(SKIP_4) | instid1(VALU_DEP_2)
	v_cmp_lt_u32_e32 vcc_lo, 21, v7
	s_or_b32 s3, vcc_lo, s3
	s_waitcnt vmcnt(0) lgkmcnt(0)
	v_mul_f64 v[10:11], v[20:21], v[16:17]
	v_mul_f64 v[16:17], v[18:19], v[16:17]
	v_fma_f64 v[10:11], v[18:19], v[14:15], -v[10:11]
	s_delay_alu instid0(VALU_DEP_2) | instskip(NEXT) | instid1(VALU_DEP_2)
	v_fma_f64 v[14:15], v[20:21], v[14:15], v[16:17]
	v_add_f64 v[3:4], v[3:4], v[10:11]
	s_delay_alu instid0(VALU_DEP_2)
	v_add_f64 v[1:2], v[1:2], v[14:15]
	s_and_not1_b32 exec_lo, exec_lo, s3
	s_cbranch_execnz .LBB30_105
; %bb.106:
	s_or_b32 exec_lo, exec_lo, s3
	v_mov_b32_e32 v7, 0
	ds_load_b128 v[7:10], v7 offset:368
	s_waitcnt lgkmcnt(0)
	v_mul_f64 v[11:12], v[1:2], v[9:10]
	v_mul_f64 v[14:15], v[3:4], v[9:10]
	s_delay_alu instid0(VALU_DEP_2) | instskip(NEXT) | instid1(VALU_DEP_2)
	v_fma_f64 v[9:10], v[3:4], v[7:8], -v[11:12]
	v_fma_f64 v[11:12], v[1:2], v[7:8], v[14:15]
	scratch_store_b128 off, v[9:12], off offset:368
.LBB30_107:
	s_or_b32 exec_lo, exec_lo, s2
	s_waitcnt_vscnt null, 0x0
	s_barrier
	buffer_gl0_inv
	scratch_load_b128 v[1:4], v133, off
	s_mov_b32 s2, exec_lo
	s_waitcnt vmcnt(0)
	ds_store_b128 v5, v[1:4]
	s_waitcnt lgkmcnt(0)
	s_barrier
	buffer_gl0_inv
	v_cmpx_gt_u32_e32 24, v108
	s_cbranch_execz .LBB30_111
; %bb.108:
	v_dual_mov_b32 v1, 0 :: v_dual_add_nc_u32 v8, 0x1f0, v25
	v_dual_mov_b32 v2, 0 :: v_dual_add_nc_u32 v7, -1, v108
	v_or_b32_e32 v9, 8, v13
	s_mov_b32 s3, 0
	s_delay_alu instid0(VALU_DEP_2)
	v_dual_mov_b32 v4, v2 :: v_dual_mov_b32 v3, v1
	.p2align	6
.LBB30_109:                             ; =>This Inner Loop Header: Depth=1
	scratch_load_b128 v[14:17], v9, off offset:-8
	ds_load_b128 v[18:21], v8
	v_add_nc_u32_e32 v7, 1, v7
	v_add_nc_u32_e32 v8, 16, v8
	;; [unrolled: 1-line block ×3, first 2 shown]
	s_delay_alu instid0(VALU_DEP_3) | instskip(SKIP_4) | instid1(VALU_DEP_2)
	v_cmp_lt_u32_e32 vcc_lo, 22, v7
	s_or_b32 s3, vcc_lo, s3
	s_waitcnt vmcnt(0) lgkmcnt(0)
	v_mul_f64 v[10:11], v[20:21], v[16:17]
	v_mul_f64 v[16:17], v[18:19], v[16:17]
	v_fma_f64 v[10:11], v[18:19], v[14:15], -v[10:11]
	s_delay_alu instid0(VALU_DEP_2) | instskip(NEXT) | instid1(VALU_DEP_2)
	v_fma_f64 v[14:15], v[20:21], v[14:15], v[16:17]
	v_add_f64 v[3:4], v[3:4], v[10:11]
	s_delay_alu instid0(VALU_DEP_2)
	v_add_f64 v[1:2], v[1:2], v[14:15]
	s_and_not1_b32 exec_lo, exec_lo, s3
	s_cbranch_execnz .LBB30_109
; %bb.110:
	s_or_b32 exec_lo, exec_lo, s3
	v_mov_b32_e32 v7, 0
	ds_load_b128 v[7:10], v7 offset:384
	s_waitcnt lgkmcnt(0)
	v_mul_f64 v[11:12], v[1:2], v[9:10]
	v_mul_f64 v[14:15], v[3:4], v[9:10]
	s_delay_alu instid0(VALU_DEP_2) | instskip(NEXT) | instid1(VALU_DEP_2)
	v_fma_f64 v[9:10], v[3:4], v[7:8], -v[11:12]
	v_fma_f64 v[11:12], v[1:2], v[7:8], v[14:15]
	scratch_store_b128 off, v[9:12], off offset:384
.LBB30_111:
	s_or_b32 exec_lo, exec_lo, s2
	s_waitcnt_vscnt null, 0x0
	s_barrier
	buffer_gl0_inv
	scratch_load_b128 v[1:4], v132, off
	s_mov_b32 s2, exec_lo
	s_waitcnt vmcnt(0)
	ds_store_b128 v5, v[1:4]
	s_waitcnt lgkmcnt(0)
	s_barrier
	buffer_gl0_inv
	v_cmpx_gt_u32_e32 25, v108
	s_cbranch_execz .LBB30_115
; %bb.112:
	v_dual_mov_b32 v1, 0 :: v_dual_add_nc_u32 v8, 0x1f0, v25
	v_dual_mov_b32 v2, 0 :: v_dual_add_nc_u32 v7, -1, v108
	v_or_b32_e32 v9, 8, v13
	s_mov_b32 s3, 0
	s_delay_alu instid0(VALU_DEP_2)
	v_dual_mov_b32 v4, v2 :: v_dual_mov_b32 v3, v1
	.p2align	6
.LBB30_113:                             ; =>This Inner Loop Header: Depth=1
	scratch_load_b128 v[14:17], v9, off offset:-8
	ds_load_b128 v[18:21], v8
	v_add_nc_u32_e32 v7, 1, v7
	v_add_nc_u32_e32 v8, 16, v8
	;; [unrolled: 1-line block ×3, first 2 shown]
	s_delay_alu instid0(VALU_DEP_3) | instskip(SKIP_4) | instid1(VALU_DEP_2)
	v_cmp_lt_u32_e32 vcc_lo, 23, v7
	s_or_b32 s3, vcc_lo, s3
	s_waitcnt vmcnt(0) lgkmcnt(0)
	v_mul_f64 v[10:11], v[20:21], v[16:17]
	v_mul_f64 v[16:17], v[18:19], v[16:17]
	v_fma_f64 v[10:11], v[18:19], v[14:15], -v[10:11]
	s_delay_alu instid0(VALU_DEP_2) | instskip(NEXT) | instid1(VALU_DEP_2)
	v_fma_f64 v[14:15], v[20:21], v[14:15], v[16:17]
	v_add_f64 v[3:4], v[3:4], v[10:11]
	s_delay_alu instid0(VALU_DEP_2)
	v_add_f64 v[1:2], v[1:2], v[14:15]
	s_and_not1_b32 exec_lo, exec_lo, s3
	s_cbranch_execnz .LBB30_113
; %bb.114:
	s_or_b32 exec_lo, exec_lo, s3
	v_mov_b32_e32 v7, 0
	ds_load_b128 v[7:10], v7 offset:400
	s_waitcnt lgkmcnt(0)
	v_mul_f64 v[11:12], v[1:2], v[9:10]
	v_mul_f64 v[14:15], v[3:4], v[9:10]
	s_delay_alu instid0(VALU_DEP_2) | instskip(NEXT) | instid1(VALU_DEP_2)
	v_fma_f64 v[9:10], v[3:4], v[7:8], -v[11:12]
	v_fma_f64 v[11:12], v[1:2], v[7:8], v[14:15]
	scratch_store_b128 off, v[9:12], off offset:400
.LBB30_115:
	s_or_b32 exec_lo, exec_lo, s2
	s_waitcnt_vscnt null, 0x0
	s_barrier
	buffer_gl0_inv
	scratch_load_b128 v[1:4], v131, off
	s_mov_b32 s2, exec_lo
	s_waitcnt vmcnt(0)
	ds_store_b128 v5, v[1:4]
	s_waitcnt lgkmcnt(0)
	s_barrier
	buffer_gl0_inv
	v_cmpx_gt_u32_e32 26, v108
	s_cbranch_execz .LBB30_119
; %bb.116:
	v_dual_mov_b32 v1, 0 :: v_dual_add_nc_u32 v8, 0x1f0, v25
	v_dual_mov_b32 v2, 0 :: v_dual_add_nc_u32 v7, -1, v108
	v_or_b32_e32 v9, 8, v13
	s_mov_b32 s3, 0
	s_delay_alu instid0(VALU_DEP_2)
	v_dual_mov_b32 v4, v2 :: v_dual_mov_b32 v3, v1
	.p2align	6
.LBB30_117:                             ; =>This Inner Loop Header: Depth=1
	scratch_load_b128 v[14:17], v9, off offset:-8
	ds_load_b128 v[18:21], v8
	v_add_nc_u32_e32 v7, 1, v7
	v_add_nc_u32_e32 v8, 16, v8
	;; [unrolled: 1-line block ×3, first 2 shown]
	s_delay_alu instid0(VALU_DEP_3) | instskip(SKIP_4) | instid1(VALU_DEP_2)
	v_cmp_lt_u32_e32 vcc_lo, 24, v7
	s_or_b32 s3, vcc_lo, s3
	s_waitcnt vmcnt(0) lgkmcnt(0)
	v_mul_f64 v[10:11], v[20:21], v[16:17]
	v_mul_f64 v[16:17], v[18:19], v[16:17]
	v_fma_f64 v[10:11], v[18:19], v[14:15], -v[10:11]
	s_delay_alu instid0(VALU_DEP_2) | instskip(NEXT) | instid1(VALU_DEP_2)
	v_fma_f64 v[14:15], v[20:21], v[14:15], v[16:17]
	v_add_f64 v[3:4], v[3:4], v[10:11]
	s_delay_alu instid0(VALU_DEP_2)
	v_add_f64 v[1:2], v[1:2], v[14:15]
	s_and_not1_b32 exec_lo, exec_lo, s3
	s_cbranch_execnz .LBB30_117
; %bb.118:
	s_or_b32 exec_lo, exec_lo, s3
	v_mov_b32_e32 v7, 0
	ds_load_b128 v[7:10], v7 offset:416
	s_waitcnt lgkmcnt(0)
	v_mul_f64 v[11:12], v[1:2], v[9:10]
	v_mul_f64 v[14:15], v[3:4], v[9:10]
	s_delay_alu instid0(VALU_DEP_2) | instskip(NEXT) | instid1(VALU_DEP_2)
	v_fma_f64 v[9:10], v[3:4], v[7:8], -v[11:12]
	v_fma_f64 v[11:12], v[1:2], v[7:8], v[14:15]
	scratch_store_b128 off, v[9:12], off offset:416
.LBB30_119:
	s_or_b32 exec_lo, exec_lo, s2
	s_waitcnt_vscnt null, 0x0
	s_barrier
	buffer_gl0_inv
	scratch_load_b128 v[1:4], v129, off
	s_mov_b32 s2, exec_lo
	s_waitcnt vmcnt(0)
	ds_store_b128 v5, v[1:4]
	s_waitcnt lgkmcnt(0)
	s_barrier
	buffer_gl0_inv
	v_cmpx_gt_u32_e32 27, v108
	s_cbranch_execz .LBB30_123
; %bb.120:
	v_dual_mov_b32 v1, 0 :: v_dual_add_nc_u32 v8, 0x1f0, v25
	v_dual_mov_b32 v2, 0 :: v_dual_add_nc_u32 v7, -1, v108
	v_or_b32_e32 v9, 8, v13
	s_mov_b32 s3, 0
	s_delay_alu instid0(VALU_DEP_2)
	v_dual_mov_b32 v4, v2 :: v_dual_mov_b32 v3, v1
	.p2align	6
.LBB30_121:                             ; =>This Inner Loop Header: Depth=1
	scratch_load_b128 v[14:17], v9, off offset:-8
	ds_load_b128 v[18:21], v8
	v_add_nc_u32_e32 v7, 1, v7
	v_add_nc_u32_e32 v8, 16, v8
	;; [unrolled: 1-line block ×3, first 2 shown]
	s_delay_alu instid0(VALU_DEP_3) | instskip(SKIP_4) | instid1(VALU_DEP_2)
	v_cmp_lt_u32_e32 vcc_lo, 25, v7
	s_or_b32 s3, vcc_lo, s3
	s_waitcnt vmcnt(0) lgkmcnt(0)
	v_mul_f64 v[10:11], v[20:21], v[16:17]
	v_mul_f64 v[16:17], v[18:19], v[16:17]
	v_fma_f64 v[10:11], v[18:19], v[14:15], -v[10:11]
	s_delay_alu instid0(VALU_DEP_2) | instskip(NEXT) | instid1(VALU_DEP_2)
	v_fma_f64 v[14:15], v[20:21], v[14:15], v[16:17]
	v_add_f64 v[3:4], v[3:4], v[10:11]
	s_delay_alu instid0(VALU_DEP_2)
	v_add_f64 v[1:2], v[1:2], v[14:15]
	s_and_not1_b32 exec_lo, exec_lo, s3
	s_cbranch_execnz .LBB30_121
; %bb.122:
	s_or_b32 exec_lo, exec_lo, s3
	v_mov_b32_e32 v7, 0
	ds_load_b128 v[7:10], v7 offset:432
	s_waitcnt lgkmcnt(0)
	v_mul_f64 v[11:12], v[1:2], v[9:10]
	v_mul_f64 v[14:15], v[3:4], v[9:10]
	s_delay_alu instid0(VALU_DEP_2) | instskip(NEXT) | instid1(VALU_DEP_2)
	v_fma_f64 v[9:10], v[3:4], v[7:8], -v[11:12]
	v_fma_f64 v[11:12], v[1:2], v[7:8], v[14:15]
	scratch_store_b128 off, v[9:12], off offset:432
.LBB30_123:
	s_or_b32 exec_lo, exec_lo, s2
	s_waitcnt_vscnt null, 0x0
	s_barrier
	buffer_gl0_inv
	scratch_load_b128 v[1:4], v127, off
	s_mov_b32 s2, exec_lo
	s_waitcnt vmcnt(0)
	ds_store_b128 v5, v[1:4]
	s_waitcnt lgkmcnt(0)
	s_barrier
	buffer_gl0_inv
	v_cmpx_gt_u32_e32 28, v108
	s_cbranch_execz .LBB30_127
; %bb.124:
	v_dual_mov_b32 v1, 0 :: v_dual_add_nc_u32 v8, 0x1f0, v25
	v_dual_mov_b32 v2, 0 :: v_dual_add_nc_u32 v7, -1, v108
	v_or_b32_e32 v9, 8, v13
	s_mov_b32 s3, 0
	s_delay_alu instid0(VALU_DEP_2)
	v_dual_mov_b32 v4, v2 :: v_dual_mov_b32 v3, v1
	.p2align	6
.LBB30_125:                             ; =>This Inner Loop Header: Depth=1
	scratch_load_b128 v[14:17], v9, off offset:-8
	ds_load_b128 v[18:21], v8
	v_add_nc_u32_e32 v7, 1, v7
	v_add_nc_u32_e32 v8, 16, v8
	;; [unrolled: 1-line block ×3, first 2 shown]
	s_delay_alu instid0(VALU_DEP_3) | instskip(SKIP_4) | instid1(VALU_DEP_2)
	v_cmp_lt_u32_e32 vcc_lo, 26, v7
	s_or_b32 s3, vcc_lo, s3
	s_waitcnt vmcnt(0) lgkmcnt(0)
	v_mul_f64 v[10:11], v[20:21], v[16:17]
	v_mul_f64 v[16:17], v[18:19], v[16:17]
	v_fma_f64 v[10:11], v[18:19], v[14:15], -v[10:11]
	s_delay_alu instid0(VALU_DEP_2) | instskip(NEXT) | instid1(VALU_DEP_2)
	v_fma_f64 v[14:15], v[20:21], v[14:15], v[16:17]
	v_add_f64 v[3:4], v[3:4], v[10:11]
	s_delay_alu instid0(VALU_DEP_2)
	v_add_f64 v[1:2], v[1:2], v[14:15]
	s_and_not1_b32 exec_lo, exec_lo, s3
	s_cbranch_execnz .LBB30_125
; %bb.126:
	s_or_b32 exec_lo, exec_lo, s3
	v_mov_b32_e32 v7, 0
	ds_load_b128 v[7:10], v7 offset:448
	s_waitcnt lgkmcnt(0)
	v_mul_f64 v[11:12], v[1:2], v[9:10]
	v_mul_f64 v[14:15], v[3:4], v[9:10]
	s_delay_alu instid0(VALU_DEP_2) | instskip(NEXT) | instid1(VALU_DEP_2)
	v_fma_f64 v[9:10], v[3:4], v[7:8], -v[11:12]
	v_fma_f64 v[11:12], v[1:2], v[7:8], v[14:15]
	scratch_store_b128 off, v[9:12], off offset:448
.LBB30_127:
	s_or_b32 exec_lo, exec_lo, s2
	s_waitcnt_vscnt null, 0x0
	s_barrier
	buffer_gl0_inv
	scratch_load_b128 v[1:4], v124, off
	s_mov_b32 s2, exec_lo
	s_waitcnt vmcnt(0)
	ds_store_b128 v5, v[1:4]
	s_waitcnt lgkmcnt(0)
	s_barrier
	buffer_gl0_inv
	v_cmpx_gt_u32_e32 29, v108
	s_cbranch_execz .LBB30_131
; %bb.128:
	v_dual_mov_b32 v1, 0 :: v_dual_add_nc_u32 v8, 0x1f0, v25
	v_dual_mov_b32 v2, 0 :: v_dual_add_nc_u32 v7, -1, v108
	v_or_b32_e32 v9, 8, v13
	s_mov_b32 s3, 0
	s_delay_alu instid0(VALU_DEP_2)
	v_dual_mov_b32 v4, v2 :: v_dual_mov_b32 v3, v1
	.p2align	6
.LBB30_129:                             ; =>This Inner Loop Header: Depth=1
	scratch_load_b128 v[14:17], v9, off offset:-8
	ds_load_b128 v[18:21], v8
	v_add_nc_u32_e32 v7, 1, v7
	v_add_nc_u32_e32 v8, 16, v8
	;; [unrolled: 1-line block ×3, first 2 shown]
	s_delay_alu instid0(VALU_DEP_3) | instskip(SKIP_4) | instid1(VALU_DEP_2)
	v_cmp_lt_u32_e32 vcc_lo, 27, v7
	s_or_b32 s3, vcc_lo, s3
	s_waitcnt vmcnt(0) lgkmcnt(0)
	v_mul_f64 v[10:11], v[20:21], v[16:17]
	v_mul_f64 v[16:17], v[18:19], v[16:17]
	v_fma_f64 v[10:11], v[18:19], v[14:15], -v[10:11]
	s_delay_alu instid0(VALU_DEP_2) | instskip(NEXT) | instid1(VALU_DEP_2)
	v_fma_f64 v[14:15], v[20:21], v[14:15], v[16:17]
	v_add_f64 v[3:4], v[3:4], v[10:11]
	s_delay_alu instid0(VALU_DEP_2)
	v_add_f64 v[1:2], v[1:2], v[14:15]
	s_and_not1_b32 exec_lo, exec_lo, s3
	s_cbranch_execnz .LBB30_129
; %bb.130:
	s_or_b32 exec_lo, exec_lo, s3
	v_mov_b32_e32 v7, 0
	ds_load_b128 v[7:10], v7 offset:464
	s_waitcnt lgkmcnt(0)
	v_mul_f64 v[11:12], v[1:2], v[9:10]
	v_mul_f64 v[14:15], v[3:4], v[9:10]
	s_delay_alu instid0(VALU_DEP_2) | instskip(NEXT) | instid1(VALU_DEP_2)
	v_fma_f64 v[9:10], v[3:4], v[7:8], -v[11:12]
	v_fma_f64 v[11:12], v[1:2], v[7:8], v[14:15]
	scratch_store_b128 off, v[9:12], off offset:464
.LBB30_131:
	s_or_b32 exec_lo, exec_lo, s2
	s_waitcnt_vscnt null, 0x0
	s_barrier
	buffer_gl0_inv
	scratch_load_b128 v[1:4], v121, off
	s_mov_b32 s2, exec_lo
	s_waitcnt vmcnt(0)
	ds_store_b128 v5, v[1:4]
	s_waitcnt lgkmcnt(0)
	s_barrier
	buffer_gl0_inv
	v_cmpx_ne_u32_e32 30, v108
	s_cbranch_execz .LBB30_135
; %bb.132:
	v_mov_b32_e32 v1, 0
	v_mov_b32_e32 v2, 0
	v_or_b32_e32 v7, 8, v13
	s_mov_b32 s3, 0
	s_delay_alu instid0(VALU_DEP_2)
	v_dual_mov_b32 v4, v2 :: v_dual_mov_b32 v3, v1
	.p2align	6
.LBB30_133:                             ; =>This Inner Loop Header: Depth=1
	scratch_load_b128 v[8:11], v7, off offset:-8
	ds_load_b128 v[12:15], v5
	v_add_nc_u32_e32 v6, 1, v6
	v_add_nc_u32_e32 v5, 16, v5
	;; [unrolled: 1-line block ×3, first 2 shown]
	s_delay_alu instid0(VALU_DEP_3) | instskip(SKIP_4) | instid1(VALU_DEP_2)
	v_cmp_lt_u32_e32 vcc_lo, 28, v6
	s_or_b32 s3, vcc_lo, s3
	s_waitcnt vmcnt(0) lgkmcnt(0)
	v_mul_f64 v[16:17], v[14:15], v[10:11]
	v_mul_f64 v[10:11], v[12:13], v[10:11]
	v_fma_f64 v[12:13], v[12:13], v[8:9], -v[16:17]
	s_delay_alu instid0(VALU_DEP_2) | instskip(NEXT) | instid1(VALU_DEP_2)
	v_fma_f64 v[8:9], v[14:15], v[8:9], v[10:11]
	v_add_f64 v[3:4], v[3:4], v[12:13]
	s_delay_alu instid0(VALU_DEP_2)
	v_add_f64 v[1:2], v[1:2], v[8:9]
	s_and_not1_b32 exec_lo, exec_lo, s3
	s_cbranch_execnz .LBB30_133
; %bb.134:
	s_or_b32 exec_lo, exec_lo, s3
	v_mov_b32_e32 v5, 0
	ds_load_b128 v[5:8], v5 offset:480
	s_waitcnt lgkmcnt(0)
	v_mul_f64 v[9:10], v[1:2], v[7:8]
	v_mul_f64 v[7:8], v[3:4], v[7:8]
	s_delay_alu instid0(VALU_DEP_2) | instskip(NEXT) | instid1(VALU_DEP_2)
	v_fma_f64 v[3:4], v[3:4], v[5:6], -v[9:10]
	v_fma_f64 v[5:6], v[1:2], v[5:6], v[7:8]
	scratch_store_b128 off, v[3:6], off offset:480
.LBB30_135:
	s_or_b32 exec_lo, exec_lo, s2
	s_mov_b32 s3, -1
	s_waitcnt_vscnt null, 0x0
	s_barrier
	buffer_gl0_inv
.LBB30_136:
	s_and_b32 vcc_lo, exec_lo, s3
	s_cbranch_vccz .LBB30_138
; %bb.137:
	s_lshl_b64 s[2:3], s[18:19], 2
	v_mov_b32_e32 v1, 0
	s_add_u32 s2, s6, s2
	s_addc_u32 s3, s7, s3
	global_load_b32 v1, v1, s[2:3]
	s_waitcnt vmcnt(0)
	v_cmp_ne_u32_e32 vcc_lo, 0, v1
	s_cbranch_vccz .LBB30_139
.LBB30_138:
	s_endpgm
.LBB30_139:
	v_lshl_add_u32 v42, v108, 4, 0x1f0
	s_mov_b32 s2, exec_lo
	v_cmpx_eq_u32_e32 30, v108
	s_cbranch_execz .LBB30_141
; %bb.140:
	scratch_load_b128 v[1:4], v124, off
	v_mov_b32_e32 v5, 0
	s_delay_alu instid0(VALU_DEP_1)
	v_mov_b32_e32 v6, v5
	v_mov_b32_e32 v7, v5
	;; [unrolled: 1-line block ×3, first 2 shown]
	scratch_store_b128 off, v[5:8], off offset:464
	s_waitcnt vmcnt(0)
	ds_store_b128 v42, v[1:4]
.LBB30_141:
	s_or_b32 exec_lo, exec_lo, s2
	s_waitcnt lgkmcnt(0)
	s_waitcnt_vscnt null, 0x0
	s_barrier
	buffer_gl0_inv
	s_clause 0x1
	scratch_load_b128 v[2:5], off, off offset:480
	scratch_load_b128 v[6:9], off, off offset:464
	v_mov_b32_e32 v1, 0
	s_mov_b32 s2, exec_lo
	ds_load_b128 v[10:13], v1 offset:976
	s_waitcnt vmcnt(1) lgkmcnt(0)
	v_mul_f64 v[14:15], v[12:13], v[4:5]
	v_mul_f64 v[4:5], v[10:11], v[4:5]
	s_delay_alu instid0(VALU_DEP_2) | instskip(NEXT) | instid1(VALU_DEP_2)
	v_fma_f64 v[10:11], v[10:11], v[2:3], -v[14:15]
	v_fma_f64 v[2:3], v[12:13], v[2:3], v[4:5]
	s_delay_alu instid0(VALU_DEP_2) | instskip(NEXT) | instid1(VALU_DEP_2)
	v_add_f64 v[4:5], v[10:11], 0
	v_add_f64 v[10:11], v[2:3], 0
	s_waitcnt vmcnt(0)
	s_delay_alu instid0(VALU_DEP_2) | instskip(NEXT) | instid1(VALU_DEP_2)
	v_add_f64 v[2:3], v[6:7], -v[4:5]
	v_add_f64 v[4:5], v[8:9], -v[10:11]
	scratch_store_b128 off, v[2:5], off offset:464
	v_cmpx_lt_u32_e32 28, v108
	s_cbranch_execz .LBB30_143
; %bb.142:
	scratch_load_b128 v[5:8], v127, off
	v_mov_b32_e32 v2, v1
	v_mov_b32_e32 v3, v1
	;; [unrolled: 1-line block ×3, first 2 shown]
	scratch_store_b128 off, v[1:4], off offset:448
	s_waitcnt vmcnt(0)
	ds_store_b128 v42, v[5:8]
.LBB30_143:
	s_or_b32 exec_lo, exec_lo, s2
	s_waitcnt lgkmcnt(0)
	s_waitcnt_vscnt null, 0x0
	s_barrier
	buffer_gl0_inv
	s_clause 0x2
	scratch_load_b128 v[2:5], off, off offset:464
	scratch_load_b128 v[6:9], off, off offset:480
	;; [unrolled: 1-line block ×3, first 2 shown]
	ds_load_b128 v[14:17], v1 offset:960
	ds_load_b128 v[18:21], v1 offset:976
	s_mov_b32 s2, exec_lo
	s_waitcnt vmcnt(2) lgkmcnt(1)
	v_mul_f64 v[22:23], v[16:17], v[4:5]
	v_mul_f64 v[4:5], v[14:15], v[4:5]
	s_waitcnt vmcnt(1) lgkmcnt(0)
	v_mul_f64 v[24:25], v[18:19], v[8:9]
	v_mul_f64 v[8:9], v[20:21], v[8:9]
	s_delay_alu instid0(VALU_DEP_4) | instskip(NEXT) | instid1(VALU_DEP_4)
	v_fma_f64 v[14:15], v[14:15], v[2:3], -v[22:23]
	v_fma_f64 v[1:2], v[16:17], v[2:3], v[4:5]
	s_delay_alu instid0(VALU_DEP_4) | instskip(NEXT) | instid1(VALU_DEP_4)
	v_fma_f64 v[3:4], v[20:21], v[6:7], v[24:25]
	v_fma_f64 v[5:6], v[18:19], v[6:7], -v[8:9]
	s_delay_alu instid0(VALU_DEP_4) | instskip(NEXT) | instid1(VALU_DEP_4)
	v_add_f64 v[7:8], v[14:15], 0
	v_add_f64 v[1:2], v[1:2], 0
	s_delay_alu instid0(VALU_DEP_2) | instskip(NEXT) | instid1(VALU_DEP_2)
	v_add_f64 v[5:6], v[7:8], v[5:6]
	v_add_f64 v[3:4], v[1:2], v[3:4]
	s_waitcnt vmcnt(0)
	s_delay_alu instid0(VALU_DEP_2) | instskip(NEXT) | instid1(VALU_DEP_2)
	v_add_f64 v[1:2], v[10:11], -v[5:6]
	v_add_f64 v[3:4], v[12:13], -v[3:4]
	scratch_store_b128 off, v[1:4], off offset:448
	v_cmpx_lt_u32_e32 27, v108
	s_cbranch_execz .LBB30_145
; %bb.144:
	scratch_load_b128 v[1:4], v129, off
	v_mov_b32_e32 v5, 0
	s_delay_alu instid0(VALU_DEP_1)
	v_mov_b32_e32 v6, v5
	v_mov_b32_e32 v7, v5
	;; [unrolled: 1-line block ×3, first 2 shown]
	scratch_store_b128 off, v[5:8], off offset:432
	s_waitcnt vmcnt(0)
	ds_store_b128 v42, v[1:4]
.LBB30_145:
	s_or_b32 exec_lo, exec_lo, s2
	s_waitcnt lgkmcnt(0)
	s_waitcnt_vscnt null, 0x0
	s_barrier
	buffer_gl0_inv
	s_clause 0x3
	scratch_load_b128 v[2:5], off, off offset:448
	scratch_load_b128 v[6:9], off, off offset:464
	;; [unrolled: 1-line block ×4, first 2 shown]
	v_mov_b32_e32 v1, 0
	ds_load_b128 v[18:21], v1 offset:944
	ds_load_b128 v[22:25], v1 offset:960
	s_mov_b32 s2, exec_lo
	s_waitcnt vmcnt(3) lgkmcnt(1)
	v_mul_f64 v[26:27], v[20:21], v[4:5]
	v_mul_f64 v[4:5], v[18:19], v[4:5]
	s_waitcnt vmcnt(2) lgkmcnt(0)
	v_mul_f64 v[28:29], v[22:23], v[8:9]
	v_mul_f64 v[8:9], v[24:25], v[8:9]
	s_delay_alu instid0(VALU_DEP_4) | instskip(NEXT) | instid1(VALU_DEP_4)
	v_fma_f64 v[18:19], v[18:19], v[2:3], -v[26:27]
	v_fma_f64 v[20:21], v[20:21], v[2:3], v[4:5]
	ds_load_b128 v[2:5], v1 offset:976
	v_fma_f64 v[24:25], v[24:25], v[6:7], v[28:29]
	v_fma_f64 v[6:7], v[22:23], v[6:7], -v[8:9]
	s_waitcnt vmcnt(1) lgkmcnt(0)
	v_mul_f64 v[26:27], v[2:3], v[12:13]
	v_mul_f64 v[12:13], v[4:5], v[12:13]
	v_add_f64 v[8:9], v[18:19], 0
	v_add_f64 v[18:19], v[20:21], 0
	s_delay_alu instid0(VALU_DEP_4) | instskip(NEXT) | instid1(VALU_DEP_4)
	v_fma_f64 v[4:5], v[4:5], v[10:11], v[26:27]
	v_fma_f64 v[2:3], v[2:3], v[10:11], -v[12:13]
	s_delay_alu instid0(VALU_DEP_4) | instskip(NEXT) | instid1(VALU_DEP_4)
	v_add_f64 v[6:7], v[8:9], v[6:7]
	v_add_f64 v[8:9], v[18:19], v[24:25]
	s_delay_alu instid0(VALU_DEP_2) | instskip(NEXT) | instid1(VALU_DEP_2)
	v_add_f64 v[2:3], v[6:7], v[2:3]
	v_add_f64 v[4:5], v[8:9], v[4:5]
	s_waitcnt vmcnt(0)
	s_delay_alu instid0(VALU_DEP_2) | instskip(NEXT) | instid1(VALU_DEP_2)
	v_add_f64 v[2:3], v[14:15], -v[2:3]
	v_add_f64 v[4:5], v[16:17], -v[4:5]
	scratch_store_b128 off, v[2:5], off offset:432
	v_cmpx_lt_u32_e32 26, v108
	s_cbranch_execz .LBB30_147
; %bb.146:
	scratch_load_b128 v[5:8], v131, off
	v_mov_b32_e32 v2, v1
	v_mov_b32_e32 v3, v1
	;; [unrolled: 1-line block ×3, first 2 shown]
	scratch_store_b128 off, v[1:4], off offset:416
	s_waitcnt vmcnt(0)
	ds_store_b128 v42, v[5:8]
.LBB30_147:
	s_or_b32 exec_lo, exec_lo, s2
	s_waitcnt lgkmcnt(0)
	s_waitcnt_vscnt null, 0x0
	s_barrier
	buffer_gl0_inv
	s_clause 0x4
	scratch_load_b128 v[2:5], off, off offset:432
	scratch_load_b128 v[6:9], off, off offset:448
	;; [unrolled: 1-line block ×5, first 2 shown]
	ds_load_b128 v[22:25], v1 offset:928
	ds_load_b128 v[26:29], v1 offset:944
	s_mov_b32 s2, exec_lo
	s_waitcnt vmcnt(4) lgkmcnt(1)
	v_mul_f64 v[30:31], v[24:25], v[4:5]
	v_mul_f64 v[4:5], v[22:23], v[4:5]
	s_waitcnt vmcnt(3) lgkmcnt(0)
	v_mul_f64 v[32:33], v[26:27], v[8:9]
	v_mul_f64 v[8:9], v[28:29], v[8:9]
	s_delay_alu instid0(VALU_DEP_4) | instskip(NEXT) | instid1(VALU_DEP_4)
	v_fma_f64 v[30:31], v[22:23], v[2:3], -v[30:31]
	v_fma_f64 v[34:35], v[24:25], v[2:3], v[4:5]
	ds_load_b128 v[2:5], v1 offset:960
	ds_load_b128 v[22:25], v1 offset:976
	v_fma_f64 v[28:29], v[28:29], v[6:7], v[32:33]
	v_fma_f64 v[6:7], v[26:27], v[6:7], -v[8:9]
	s_waitcnt vmcnt(2) lgkmcnt(1)
	v_mul_f64 v[36:37], v[2:3], v[12:13]
	v_mul_f64 v[12:13], v[4:5], v[12:13]
	v_add_f64 v[8:9], v[30:31], 0
	v_add_f64 v[26:27], v[34:35], 0
	s_waitcnt vmcnt(1) lgkmcnt(0)
	v_mul_f64 v[30:31], v[22:23], v[16:17]
	v_mul_f64 v[16:17], v[24:25], v[16:17]
	v_fma_f64 v[4:5], v[4:5], v[10:11], v[36:37]
	v_fma_f64 v[1:2], v[2:3], v[10:11], -v[12:13]
	v_add_f64 v[6:7], v[8:9], v[6:7]
	v_add_f64 v[8:9], v[26:27], v[28:29]
	v_fma_f64 v[10:11], v[24:25], v[14:15], v[30:31]
	v_fma_f64 v[12:13], v[22:23], v[14:15], -v[16:17]
	s_delay_alu instid0(VALU_DEP_4) | instskip(NEXT) | instid1(VALU_DEP_4)
	v_add_f64 v[1:2], v[6:7], v[1:2]
	v_add_f64 v[3:4], v[8:9], v[4:5]
	s_delay_alu instid0(VALU_DEP_2) | instskip(NEXT) | instid1(VALU_DEP_2)
	v_add_f64 v[1:2], v[1:2], v[12:13]
	v_add_f64 v[3:4], v[3:4], v[10:11]
	s_waitcnt vmcnt(0)
	s_delay_alu instid0(VALU_DEP_2) | instskip(NEXT) | instid1(VALU_DEP_2)
	v_add_f64 v[1:2], v[18:19], -v[1:2]
	v_add_f64 v[3:4], v[20:21], -v[3:4]
	scratch_store_b128 off, v[1:4], off offset:416
	v_cmpx_lt_u32_e32 25, v108
	s_cbranch_execz .LBB30_149
; %bb.148:
	scratch_load_b128 v[1:4], v132, off
	v_mov_b32_e32 v5, 0
	s_delay_alu instid0(VALU_DEP_1)
	v_mov_b32_e32 v6, v5
	v_mov_b32_e32 v7, v5
	;; [unrolled: 1-line block ×3, first 2 shown]
	scratch_store_b128 off, v[5:8], off offset:400
	s_waitcnt vmcnt(0)
	ds_store_b128 v42, v[1:4]
.LBB30_149:
	s_or_b32 exec_lo, exec_lo, s2
	s_waitcnt lgkmcnt(0)
	s_waitcnt_vscnt null, 0x0
	s_barrier
	buffer_gl0_inv
	s_clause 0x5
	scratch_load_b128 v[2:5], off, off offset:416
	scratch_load_b128 v[6:9], off, off offset:432
	;; [unrolled: 1-line block ×6, first 2 shown]
	v_mov_b32_e32 v1, 0
	ds_load_b128 v[26:29], v1 offset:912
	ds_load_b128 v[30:33], v1 offset:928
	s_mov_b32 s2, exec_lo
	s_waitcnt vmcnt(5) lgkmcnt(1)
	v_mul_f64 v[34:35], v[28:29], v[4:5]
	v_mul_f64 v[4:5], v[26:27], v[4:5]
	s_waitcnt vmcnt(4) lgkmcnt(0)
	v_mul_f64 v[36:37], v[30:31], v[8:9]
	v_mul_f64 v[8:9], v[32:33], v[8:9]
	s_delay_alu instid0(VALU_DEP_4) | instskip(NEXT) | instid1(VALU_DEP_4)
	v_fma_f64 v[34:35], v[26:27], v[2:3], -v[34:35]
	v_fma_f64 v[38:39], v[28:29], v[2:3], v[4:5]
	ds_load_b128 v[2:5], v1 offset:944
	ds_load_b128 v[26:29], v1 offset:960
	v_fma_f64 v[32:33], v[32:33], v[6:7], v[36:37]
	v_fma_f64 v[6:7], v[30:31], v[6:7], -v[8:9]
	s_waitcnt vmcnt(3) lgkmcnt(1)
	v_mul_f64 v[40:41], v[2:3], v[12:13]
	v_mul_f64 v[12:13], v[4:5], v[12:13]
	v_add_f64 v[8:9], v[34:35], 0
	v_add_f64 v[30:31], v[38:39], 0
	s_waitcnt vmcnt(2) lgkmcnt(0)
	v_mul_f64 v[34:35], v[26:27], v[16:17]
	v_mul_f64 v[16:17], v[28:29], v[16:17]
	v_fma_f64 v[36:37], v[4:5], v[10:11], v[40:41]
	v_fma_f64 v[10:11], v[2:3], v[10:11], -v[12:13]
	ds_load_b128 v[2:5], v1 offset:976
	v_add_f64 v[6:7], v[8:9], v[6:7]
	v_add_f64 v[8:9], v[30:31], v[32:33]
	v_fma_f64 v[28:29], v[28:29], v[14:15], v[34:35]
	v_fma_f64 v[14:15], v[26:27], v[14:15], -v[16:17]
	s_waitcnt vmcnt(1) lgkmcnt(0)
	v_mul_f64 v[12:13], v[2:3], v[20:21]
	v_mul_f64 v[20:21], v[4:5], v[20:21]
	v_add_f64 v[6:7], v[6:7], v[10:11]
	v_add_f64 v[8:9], v[8:9], v[36:37]
	s_delay_alu instid0(VALU_DEP_4) | instskip(NEXT) | instid1(VALU_DEP_4)
	v_fma_f64 v[4:5], v[4:5], v[18:19], v[12:13]
	v_fma_f64 v[2:3], v[2:3], v[18:19], -v[20:21]
	s_delay_alu instid0(VALU_DEP_4) | instskip(NEXT) | instid1(VALU_DEP_4)
	v_add_f64 v[6:7], v[6:7], v[14:15]
	v_add_f64 v[8:9], v[8:9], v[28:29]
	s_delay_alu instid0(VALU_DEP_2) | instskip(NEXT) | instid1(VALU_DEP_2)
	v_add_f64 v[2:3], v[6:7], v[2:3]
	v_add_f64 v[4:5], v[8:9], v[4:5]
	s_waitcnt vmcnt(0)
	s_delay_alu instid0(VALU_DEP_2) | instskip(NEXT) | instid1(VALU_DEP_2)
	v_add_f64 v[2:3], v[22:23], -v[2:3]
	v_add_f64 v[4:5], v[24:25], -v[4:5]
	scratch_store_b128 off, v[2:5], off offset:400
	v_cmpx_lt_u32_e32 24, v108
	s_cbranch_execz .LBB30_151
; %bb.150:
	scratch_load_b128 v[5:8], v133, off
	v_mov_b32_e32 v2, v1
	v_mov_b32_e32 v3, v1
	;; [unrolled: 1-line block ×3, first 2 shown]
	scratch_store_b128 off, v[1:4], off offset:384
	s_waitcnt vmcnt(0)
	ds_store_b128 v42, v[5:8]
.LBB30_151:
	s_or_b32 exec_lo, exec_lo, s2
	s_waitcnt lgkmcnt(0)
	s_waitcnt_vscnt null, 0x0
	s_barrier
	buffer_gl0_inv
	s_clause 0x5
	scratch_load_b128 v[2:5], off, off offset:400
	scratch_load_b128 v[6:9], off, off offset:416
	scratch_load_b128 v[10:13], off, off offset:432
	scratch_load_b128 v[14:17], off, off offset:448
	scratch_load_b128 v[18:21], off, off offset:464
	scratch_load_b128 v[22:25], off, off offset:480
	ds_load_b128 v[26:29], v1 offset:896
	ds_load_b128 v[34:37], v1 offset:912
	scratch_load_b128 v[30:33], off, off offset:384
	s_mov_b32 s2, exec_lo
	s_waitcnt vmcnt(6) lgkmcnt(1)
	v_mul_f64 v[38:39], v[28:29], v[4:5]
	v_mul_f64 v[4:5], v[26:27], v[4:5]
	s_waitcnt vmcnt(5) lgkmcnt(0)
	v_mul_f64 v[40:41], v[34:35], v[8:9]
	v_mul_f64 v[8:9], v[36:37], v[8:9]
	s_delay_alu instid0(VALU_DEP_4) | instskip(NEXT) | instid1(VALU_DEP_4)
	v_fma_f64 v[38:39], v[26:27], v[2:3], -v[38:39]
	v_fma_f64 v[43:44], v[28:29], v[2:3], v[4:5]
	ds_load_b128 v[2:5], v1 offset:928
	ds_load_b128 v[26:29], v1 offset:944
	v_fma_f64 v[36:37], v[36:37], v[6:7], v[40:41]
	v_fma_f64 v[6:7], v[34:35], v[6:7], -v[8:9]
	s_waitcnt vmcnt(4) lgkmcnt(1)
	v_mul_f64 v[139:140], v[2:3], v[12:13]
	v_mul_f64 v[12:13], v[4:5], v[12:13]
	v_add_f64 v[8:9], v[38:39], 0
	v_add_f64 v[34:35], v[43:44], 0
	s_waitcnt vmcnt(3) lgkmcnt(0)
	v_mul_f64 v[38:39], v[26:27], v[16:17]
	v_mul_f64 v[16:17], v[28:29], v[16:17]
	v_fma_f64 v[40:41], v[4:5], v[10:11], v[139:140]
	v_fma_f64 v[10:11], v[2:3], v[10:11], -v[12:13]
	v_add_f64 v[12:13], v[8:9], v[6:7]
	v_add_f64 v[34:35], v[34:35], v[36:37]
	ds_load_b128 v[2:5], v1 offset:960
	ds_load_b128 v[6:9], v1 offset:976
	v_fma_f64 v[28:29], v[28:29], v[14:15], v[38:39]
	v_fma_f64 v[14:15], v[26:27], v[14:15], -v[16:17]
	s_waitcnt vmcnt(2) lgkmcnt(1)
	v_mul_f64 v[36:37], v[2:3], v[20:21]
	v_mul_f64 v[20:21], v[4:5], v[20:21]
	s_waitcnt vmcnt(1) lgkmcnt(0)
	v_mul_f64 v[16:17], v[6:7], v[24:25]
	v_mul_f64 v[24:25], v[8:9], v[24:25]
	v_add_f64 v[10:11], v[12:13], v[10:11]
	v_add_f64 v[12:13], v[34:35], v[40:41]
	v_fma_f64 v[4:5], v[4:5], v[18:19], v[36:37]
	v_fma_f64 v[1:2], v[2:3], v[18:19], -v[20:21]
	v_fma_f64 v[8:9], v[8:9], v[22:23], v[16:17]
	v_fma_f64 v[6:7], v[6:7], v[22:23], -v[24:25]
	v_add_f64 v[10:11], v[10:11], v[14:15]
	v_add_f64 v[12:13], v[12:13], v[28:29]
	s_delay_alu instid0(VALU_DEP_2) | instskip(NEXT) | instid1(VALU_DEP_2)
	v_add_f64 v[1:2], v[10:11], v[1:2]
	v_add_f64 v[3:4], v[12:13], v[4:5]
	s_delay_alu instid0(VALU_DEP_2) | instskip(NEXT) | instid1(VALU_DEP_2)
	v_add_f64 v[1:2], v[1:2], v[6:7]
	v_add_f64 v[3:4], v[3:4], v[8:9]
	s_waitcnt vmcnt(0)
	s_delay_alu instid0(VALU_DEP_2) | instskip(NEXT) | instid1(VALU_DEP_2)
	v_add_f64 v[1:2], v[30:31], -v[1:2]
	v_add_f64 v[3:4], v[32:33], -v[3:4]
	scratch_store_b128 off, v[1:4], off offset:384
	v_cmpx_lt_u32_e32 23, v108
	s_cbranch_execz .LBB30_153
; %bb.152:
	scratch_load_b128 v[1:4], v134, off
	v_mov_b32_e32 v5, 0
	s_delay_alu instid0(VALU_DEP_1)
	v_mov_b32_e32 v6, v5
	v_mov_b32_e32 v7, v5
	;; [unrolled: 1-line block ×3, first 2 shown]
	scratch_store_b128 off, v[5:8], off offset:368
	s_waitcnt vmcnt(0)
	ds_store_b128 v42, v[1:4]
.LBB30_153:
	s_or_b32 exec_lo, exec_lo, s2
	s_waitcnt lgkmcnt(0)
	s_waitcnt_vscnt null, 0x0
	s_barrier
	buffer_gl0_inv
	s_clause 0x6
	scratch_load_b128 v[2:5], off, off offset:384
	scratch_load_b128 v[6:9], off, off offset:400
	;; [unrolled: 1-line block ×7, first 2 shown]
	v_mov_b32_e32 v1, 0
	scratch_load_b128 v[38:41], off, off offset:368
	s_mov_b32 s2, exec_lo
	ds_load_b128 v[30:33], v1 offset:880
	ds_load_b128 v[34:37], v1 offset:896
	s_waitcnt vmcnt(7) lgkmcnt(1)
	v_mul_f64 v[43:44], v[32:33], v[4:5]
	v_mul_f64 v[4:5], v[30:31], v[4:5]
	s_waitcnt vmcnt(6) lgkmcnt(0)
	v_mul_f64 v[139:140], v[34:35], v[8:9]
	v_mul_f64 v[8:9], v[36:37], v[8:9]
	s_delay_alu instid0(VALU_DEP_4) | instskip(NEXT) | instid1(VALU_DEP_4)
	v_fma_f64 v[30:31], v[30:31], v[2:3], -v[43:44]
	v_fma_f64 v[32:33], v[32:33], v[2:3], v[4:5]
	ds_load_b128 v[2:5], v1 offset:912
	v_fma_f64 v[36:37], v[36:37], v[6:7], v[139:140]
	v_fma_f64 v[34:35], v[34:35], v[6:7], -v[8:9]
	ds_load_b128 v[6:9], v1 offset:928
	s_waitcnt vmcnt(5) lgkmcnt(1)
	v_mul_f64 v[43:44], v[2:3], v[12:13]
	v_mul_f64 v[12:13], v[4:5], v[12:13]
	s_waitcnt vmcnt(4) lgkmcnt(0)
	v_mul_f64 v[139:140], v[6:7], v[16:17]
	v_mul_f64 v[16:17], v[8:9], v[16:17]
	v_add_f64 v[30:31], v[30:31], 0
	v_add_f64 v[32:33], v[32:33], 0
	v_fma_f64 v[43:44], v[4:5], v[10:11], v[43:44]
	v_fma_f64 v[10:11], v[2:3], v[10:11], -v[12:13]
	ds_load_b128 v[2:5], v1 offset:944
	v_add_f64 v[12:13], v[30:31], v[34:35]
	v_add_f64 v[30:31], v[32:33], v[36:37]
	v_fma_f64 v[34:35], v[8:9], v[14:15], v[139:140]
	v_fma_f64 v[14:15], v[6:7], v[14:15], -v[16:17]
	ds_load_b128 v[6:9], v1 offset:960
	s_waitcnt vmcnt(3) lgkmcnt(1)
	v_mul_f64 v[32:33], v[2:3], v[20:21]
	v_mul_f64 v[20:21], v[4:5], v[20:21]
	s_waitcnt vmcnt(2) lgkmcnt(0)
	v_mul_f64 v[16:17], v[6:7], v[24:25]
	v_mul_f64 v[24:25], v[8:9], v[24:25]
	v_add_f64 v[10:11], v[12:13], v[10:11]
	v_add_f64 v[12:13], v[30:31], v[43:44]
	v_fma_f64 v[30:31], v[4:5], v[18:19], v[32:33]
	v_fma_f64 v[18:19], v[2:3], v[18:19], -v[20:21]
	ds_load_b128 v[2:5], v1 offset:976
	v_fma_f64 v[8:9], v[8:9], v[22:23], v[16:17]
	v_fma_f64 v[6:7], v[6:7], v[22:23], -v[24:25]
	s_waitcnt vmcnt(1) lgkmcnt(0)
	v_mul_f64 v[20:21], v[4:5], v[28:29]
	v_add_f64 v[10:11], v[10:11], v[14:15]
	v_add_f64 v[12:13], v[12:13], v[34:35]
	v_mul_f64 v[14:15], v[2:3], v[28:29]
	s_delay_alu instid0(VALU_DEP_4) | instskip(NEXT) | instid1(VALU_DEP_4)
	v_fma_f64 v[2:3], v[2:3], v[26:27], -v[20:21]
	v_add_f64 v[10:11], v[10:11], v[18:19]
	s_delay_alu instid0(VALU_DEP_4) | instskip(NEXT) | instid1(VALU_DEP_4)
	v_add_f64 v[12:13], v[12:13], v[30:31]
	v_fma_f64 v[4:5], v[4:5], v[26:27], v[14:15]
	s_delay_alu instid0(VALU_DEP_3) | instskip(NEXT) | instid1(VALU_DEP_3)
	v_add_f64 v[6:7], v[10:11], v[6:7]
	v_add_f64 v[8:9], v[12:13], v[8:9]
	s_delay_alu instid0(VALU_DEP_2) | instskip(NEXT) | instid1(VALU_DEP_2)
	v_add_f64 v[2:3], v[6:7], v[2:3]
	v_add_f64 v[4:5], v[8:9], v[4:5]
	s_waitcnt vmcnt(0)
	s_delay_alu instid0(VALU_DEP_2) | instskip(NEXT) | instid1(VALU_DEP_2)
	v_add_f64 v[2:3], v[38:39], -v[2:3]
	v_add_f64 v[4:5], v[40:41], -v[4:5]
	scratch_store_b128 off, v[2:5], off offset:368
	v_cmpx_lt_u32_e32 22, v108
	s_cbranch_execz .LBB30_155
; %bb.154:
	scratch_load_b128 v[5:8], v135, off
	v_mov_b32_e32 v2, v1
	v_mov_b32_e32 v3, v1
	;; [unrolled: 1-line block ×3, first 2 shown]
	scratch_store_b128 off, v[1:4], off offset:352
	s_waitcnt vmcnt(0)
	ds_store_b128 v42, v[5:8]
.LBB30_155:
	s_or_b32 exec_lo, exec_lo, s2
	s_waitcnt lgkmcnt(0)
	s_waitcnt_vscnt null, 0x0
	s_barrier
	buffer_gl0_inv
	s_clause 0x7
	scratch_load_b128 v[2:5], off, off offset:368
	scratch_load_b128 v[6:9], off, off offset:384
	scratch_load_b128 v[10:13], off, off offset:400
	scratch_load_b128 v[14:17], off, off offset:416
	scratch_load_b128 v[18:21], off, off offset:432
	scratch_load_b128 v[22:25], off, off offset:448
	scratch_load_b128 v[26:29], off, off offset:464
	scratch_load_b128 v[30:33], off, off offset:480
	ds_load_b128 v[34:37], v1 offset:864
	ds_load_b128 v[38:41], v1 offset:880
	s_mov_b32 s2, exec_lo
	s_waitcnt vmcnt(7) lgkmcnt(1)
	v_mul_f64 v[43:44], v[36:37], v[4:5]
	v_mul_f64 v[4:5], v[34:35], v[4:5]
	s_waitcnt vmcnt(6) lgkmcnt(0)
	v_mul_f64 v[139:140], v[38:39], v[8:9]
	v_mul_f64 v[8:9], v[40:41], v[8:9]
	s_delay_alu instid0(VALU_DEP_4) | instskip(NEXT) | instid1(VALU_DEP_4)
	v_fma_f64 v[43:44], v[34:35], v[2:3], -v[43:44]
	v_fma_f64 v[141:142], v[36:37], v[2:3], v[4:5]
	ds_load_b128 v[2:5], v1 offset:896
	scratch_load_b128 v[34:37], off, off offset:352
	v_fma_f64 v[40:41], v[40:41], v[6:7], v[139:140]
	v_fma_f64 v[38:39], v[38:39], v[6:7], -v[8:9]
	ds_load_b128 v[6:9], v1 offset:912
	s_waitcnt vmcnt(6) lgkmcnt(1)
	v_mul_f64 v[143:144], v[2:3], v[12:13]
	v_mul_f64 v[12:13], v[4:5], v[12:13]
	v_add_f64 v[43:44], v[43:44], 0
	v_add_f64 v[139:140], v[141:142], 0
	s_waitcnt vmcnt(5) lgkmcnt(0)
	v_mul_f64 v[141:142], v[6:7], v[16:17]
	v_mul_f64 v[16:17], v[8:9], v[16:17]
	v_fma_f64 v[143:144], v[4:5], v[10:11], v[143:144]
	v_fma_f64 v[10:11], v[2:3], v[10:11], -v[12:13]
	ds_load_b128 v[2:5], v1 offset:928
	v_add_f64 v[12:13], v[43:44], v[38:39]
	v_add_f64 v[38:39], v[139:140], v[40:41]
	v_fma_f64 v[43:44], v[8:9], v[14:15], v[141:142]
	v_fma_f64 v[14:15], v[6:7], v[14:15], -v[16:17]
	ds_load_b128 v[6:9], v1 offset:944
	s_waitcnt vmcnt(4) lgkmcnt(1)
	v_mul_f64 v[40:41], v[2:3], v[20:21]
	v_mul_f64 v[20:21], v[4:5], v[20:21]
	s_waitcnt vmcnt(3) lgkmcnt(0)
	v_mul_f64 v[16:17], v[6:7], v[24:25]
	v_mul_f64 v[24:25], v[8:9], v[24:25]
	v_add_f64 v[10:11], v[12:13], v[10:11]
	v_add_f64 v[12:13], v[38:39], v[143:144]
	v_fma_f64 v[38:39], v[4:5], v[18:19], v[40:41]
	v_fma_f64 v[18:19], v[2:3], v[18:19], -v[20:21]
	ds_load_b128 v[2:5], v1 offset:960
	v_fma_f64 v[16:17], v[8:9], v[22:23], v[16:17]
	v_fma_f64 v[22:23], v[6:7], v[22:23], -v[24:25]
	ds_load_b128 v[6:9], v1 offset:976
	s_waitcnt vmcnt(2) lgkmcnt(1)
	v_mul_f64 v[20:21], v[4:5], v[28:29]
	v_add_f64 v[10:11], v[10:11], v[14:15]
	v_add_f64 v[12:13], v[12:13], v[43:44]
	v_mul_f64 v[14:15], v[2:3], v[28:29]
	s_waitcnt vmcnt(1) lgkmcnt(0)
	v_mul_f64 v[24:25], v[8:9], v[32:33]
	v_fma_f64 v[1:2], v[2:3], v[26:27], -v[20:21]
	v_add_f64 v[10:11], v[10:11], v[18:19]
	v_add_f64 v[12:13], v[12:13], v[38:39]
	v_mul_f64 v[18:19], v[6:7], v[32:33]
	v_fma_f64 v[4:5], v[4:5], v[26:27], v[14:15]
	v_fma_f64 v[6:7], v[6:7], v[30:31], -v[24:25]
	v_add_f64 v[10:11], v[10:11], v[22:23]
	v_add_f64 v[12:13], v[12:13], v[16:17]
	v_fma_f64 v[8:9], v[8:9], v[30:31], v[18:19]
	s_delay_alu instid0(VALU_DEP_3) | instskip(NEXT) | instid1(VALU_DEP_3)
	v_add_f64 v[1:2], v[10:11], v[1:2]
	v_add_f64 v[3:4], v[12:13], v[4:5]
	s_delay_alu instid0(VALU_DEP_2) | instskip(NEXT) | instid1(VALU_DEP_2)
	v_add_f64 v[1:2], v[1:2], v[6:7]
	v_add_f64 v[3:4], v[3:4], v[8:9]
	s_waitcnt vmcnt(0)
	s_delay_alu instid0(VALU_DEP_2) | instskip(NEXT) | instid1(VALU_DEP_2)
	v_add_f64 v[1:2], v[34:35], -v[1:2]
	v_add_f64 v[3:4], v[36:37], -v[3:4]
	scratch_store_b128 off, v[1:4], off offset:352
	v_cmpx_lt_u32_e32 21, v108
	s_cbranch_execz .LBB30_157
; %bb.156:
	scratch_load_b128 v[1:4], v136, off
	v_mov_b32_e32 v5, 0
	s_delay_alu instid0(VALU_DEP_1)
	v_mov_b32_e32 v6, v5
	v_mov_b32_e32 v7, v5
	;; [unrolled: 1-line block ×3, first 2 shown]
	scratch_store_b128 off, v[5:8], off offset:336
	s_waitcnt vmcnt(0)
	ds_store_b128 v42, v[1:4]
.LBB30_157:
	s_or_b32 exec_lo, exec_lo, s2
	s_waitcnt lgkmcnt(0)
	s_waitcnt_vscnt null, 0x0
	s_barrier
	buffer_gl0_inv
	s_clause 0x7
	scratch_load_b128 v[2:5], off, off offset:352
	scratch_load_b128 v[6:9], off, off offset:368
	;; [unrolled: 1-line block ×8, first 2 shown]
	v_mov_b32_e32 v1, 0
	s_mov_b32 s2, exec_lo
	ds_load_b128 v[34:37], v1 offset:848
	s_clause 0x1
	scratch_load_b128 v[38:41], off, off offset:480
	scratch_load_b128 v[139:142], off, off offset:336
	ds_load_b128 v[143:146], v1 offset:864
	s_waitcnt vmcnt(9) lgkmcnt(1)
	v_mul_f64 v[43:44], v[36:37], v[4:5]
	v_mul_f64 v[4:5], v[34:35], v[4:5]
	s_waitcnt vmcnt(8) lgkmcnt(0)
	v_mul_f64 v[147:148], v[143:144], v[8:9]
	v_mul_f64 v[8:9], v[145:146], v[8:9]
	s_delay_alu instid0(VALU_DEP_4) | instskip(NEXT) | instid1(VALU_DEP_4)
	v_fma_f64 v[43:44], v[34:35], v[2:3], -v[43:44]
	v_fma_f64 v[149:150], v[36:37], v[2:3], v[4:5]
	ds_load_b128 v[2:5], v1 offset:880
	ds_load_b128 v[34:37], v1 offset:896
	v_fma_f64 v[145:146], v[145:146], v[6:7], v[147:148]
	v_fma_f64 v[6:7], v[143:144], v[6:7], -v[8:9]
	s_waitcnt vmcnt(7) lgkmcnt(1)
	v_mul_f64 v[151:152], v[2:3], v[12:13]
	v_mul_f64 v[12:13], v[4:5], v[12:13]
	s_waitcnt vmcnt(6) lgkmcnt(0)
	v_mul_f64 v[143:144], v[34:35], v[16:17]
	v_mul_f64 v[16:17], v[36:37], v[16:17]
	v_add_f64 v[8:9], v[43:44], 0
	v_add_f64 v[43:44], v[149:150], 0
	v_fma_f64 v[147:148], v[4:5], v[10:11], v[151:152]
	v_fma_f64 v[10:11], v[2:3], v[10:11], -v[12:13]
	v_fma_f64 v[36:37], v[36:37], v[14:15], v[143:144]
	v_fma_f64 v[14:15], v[34:35], v[14:15], -v[16:17]
	v_add_f64 v[12:13], v[8:9], v[6:7]
	v_add_f64 v[43:44], v[43:44], v[145:146]
	ds_load_b128 v[2:5], v1 offset:912
	ds_load_b128 v[6:9], v1 offset:928
	s_waitcnt vmcnt(5) lgkmcnt(1)
	v_mul_f64 v[145:146], v[2:3], v[20:21]
	v_mul_f64 v[20:21], v[4:5], v[20:21]
	s_waitcnt vmcnt(4) lgkmcnt(0)
	v_mul_f64 v[16:17], v[6:7], v[24:25]
	v_mul_f64 v[24:25], v[8:9], v[24:25]
	v_add_f64 v[10:11], v[12:13], v[10:11]
	v_add_f64 v[12:13], v[43:44], v[147:148]
	v_fma_f64 v[34:35], v[4:5], v[18:19], v[145:146]
	v_fma_f64 v[18:19], v[2:3], v[18:19], -v[20:21]
	v_fma_f64 v[8:9], v[8:9], v[22:23], v[16:17]
	v_fma_f64 v[6:7], v[6:7], v[22:23], -v[24:25]
	v_add_f64 v[14:15], v[10:11], v[14:15]
	v_add_f64 v[20:21], v[12:13], v[36:37]
	ds_load_b128 v[2:5], v1 offset:944
	ds_load_b128 v[10:13], v1 offset:960
	s_waitcnt vmcnt(3) lgkmcnt(1)
	v_mul_f64 v[36:37], v[2:3], v[28:29]
	v_mul_f64 v[28:29], v[4:5], v[28:29]
	v_add_f64 v[14:15], v[14:15], v[18:19]
	v_add_f64 v[16:17], v[20:21], v[34:35]
	s_waitcnt vmcnt(2) lgkmcnt(0)
	v_mul_f64 v[18:19], v[10:11], v[32:33]
	v_mul_f64 v[20:21], v[12:13], v[32:33]
	v_fma_f64 v[22:23], v[4:5], v[26:27], v[36:37]
	v_fma_f64 v[24:25], v[2:3], v[26:27], -v[28:29]
	ds_load_b128 v[2:5], v1 offset:976
	v_add_f64 v[6:7], v[14:15], v[6:7]
	v_add_f64 v[8:9], v[16:17], v[8:9]
	v_fma_f64 v[12:13], v[12:13], v[30:31], v[18:19]
	v_fma_f64 v[10:11], v[10:11], v[30:31], -v[20:21]
	s_waitcnt vmcnt(1) lgkmcnt(0)
	v_mul_f64 v[14:15], v[2:3], v[40:41]
	v_mul_f64 v[16:17], v[4:5], v[40:41]
	v_add_f64 v[6:7], v[6:7], v[24:25]
	v_add_f64 v[8:9], v[8:9], v[22:23]
	s_delay_alu instid0(VALU_DEP_4) | instskip(NEXT) | instid1(VALU_DEP_4)
	v_fma_f64 v[4:5], v[4:5], v[38:39], v[14:15]
	v_fma_f64 v[2:3], v[2:3], v[38:39], -v[16:17]
	s_delay_alu instid0(VALU_DEP_4) | instskip(NEXT) | instid1(VALU_DEP_4)
	v_add_f64 v[6:7], v[6:7], v[10:11]
	v_add_f64 v[8:9], v[8:9], v[12:13]
	s_delay_alu instid0(VALU_DEP_2) | instskip(NEXT) | instid1(VALU_DEP_2)
	v_add_f64 v[2:3], v[6:7], v[2:3]
	v_add_f64 v[4:5], v[8:9], v[4:5]
	s_waitcnt vmcnt(0)
	s_delay_alu instid0(VALU_DEP_2) | instskip(NEXT) | instid1(VALU_DEP_2)
	v_add_f64 v[2:3], v[139:140], -v[2:3]
	v_add_f64 v[4:5], v[141:142], -v[4:5]
	scratch_store_b128 off, v[2:5], off offset:336
	v_cmpx_lt_u32_e32 20, v108
	s_cbranch_execz .LBB30_159
; %bb.158:
	scratch_load_b128 v[5:8], v137, off
	v_mov_b32_e32 v2, v1
	v_mov_b32_e32 v3, v1
	;; [unrolled: 1-line block ×3, first 2 shown]
	scratch_store_b128 off, v[1:4], off offset:320
	s_waitcnt vmcnt(0)
	ds_store_b128 v42, v[5:8]
.LBB30_159:
	s_or_b32 exec_lo, exec_lo, s2
	s_waitcnt lgkmcnt(0)
	s_waitcnt_vscnt null, 0x0
	s_barrier
	buffer_gl0_inv
	s_clause 0x8
	scratch_load_b128 v[2:5], off, off offset:336
	scratch_load_b128 v[6:9], off, off offset:352
	;; [unrolled: 1-line block ×9, first 2 shown]
	ds_load_b128 v[38:41], v1 offset:832
	ds_load_b128 v[139:142], v1 offset:848
	s_clause 0x1
	scratch_load_b128 v[143:146], off, off offset:320
	scratch_load_b128 v[147:150], off, off offset:480
	s_mov_b32 s2, exec_lo
	s_waitcnt vmcnt(10) lgkmcnt(1)
	v_mul_f64 v[43:44], v[40:41], v[4:5]
	v_mul_f64 v[4:5], v[38:39], v[4:5]
	s_waitcnt vmcnt(9) lgkmcnt(0)
	v_mul_f64 v[151:152], v[139:140], v[8:9]
	v_mul_f64 v[8:9], v[141:142], v[8:9]
	s_delay_alu instid0(VALU_DEP_4) | instskip(NEXT) | instid1(VALU_DEP_4)
	v_fma_f64 v[43:44], v[38:39], v[2:3], -v[43:44]
	v_fma_f64 v[153:154], v[40:41], v[2:3], v[4:5]
	ds_load_b128 v[2:5], v1 offset:864
	ds_load_b128 v[38:41], v1 offset:880
	v_fma_f64 v[141:142], v[141:142], v[6:7], v[151:152]
	v_fma_f64 v[6:7], v[139:140], v[6:7], -v[8:9]
	s_waitcnt vmcnt(8) lgkmcnt(1)
	v_mul_f64 v[155:156], v[2:3], v[12:13]
	v_mul_f64 v[12:13], v[4:5], v[12:13]
	s_waitcnt vmcnt(7) lgkmcnt(0)
	v_mul_f64 v[139:140], v[38:39], v[16:17]
	v_mul_f64 v[16:17], v[40:41], v[16:17]
	v_add_f64 v[8:9], v[43:44], 0
	v_add_f64 v[43:44], v[153:154], 0
	v_fma_f64 v[151:152], v[4:5], v[10:11], v[155:156]
	v_fma_f64 v[10:11], v[2:3], v[10:11], -v[12:13]
	v_fma_f64 v[40:41], v[40:41], v[14:15], v[139:140]
	v_fma_f64 v[14:15], v[38:39], v[14:15], -v[16:17]
	v_add_f64 v[12:13], v[8:9], v[6:7]
	v_add_f64 v[43:44], v[43:44], v[141:142]
	ds_load_b128 v[2:5], v1 offset:896
	ds_load_b128 v[6:9], v1 offset:912
	s_waitcnt vmcnt(6) lgkmcnt(1)
	v_mul_f64 v[141:142], v[2:3], v[20:21]
	v_mul_f64 v[20:21], v[4:5], v[20:21]
	s_waitcnt vmcnt(5) lgkmcnt(0)
	v_mul_f64 v[16:17], v[6:7], v[24:25]
	v_mul_f64 v[24:25], v[8:9], v[24:25]
	v_add_f64 v[10:11], v[12:13], v[10:11]
	v_add_f64 v[12:13], v[43:44], v[151:152]
	v_fma_f64 v[38:39], v[4:5], v[18:19], v[141:142]
	v_fma_f64 v[18:19], v[2:3], v[18:19], -v[20:21]
	v_fma_f64 v[8:9], v[8:9], v[22:23], v[16:17]
	v_fma_f64 v[6:7], v[6:7], v[22:23], -v[24:25]
	v_add_f64 v[14:15], v[10:11], v[14:15]
	v_add_f64 v[20:21], v[12:13], v[40:41]
	ds_load_b128 v[2:5], v1 offset:928
	ds_load_b128 v[10:13], v1 offset:944
	s_waitcnt vmcnt(4) lgkmcnt(1)
	v_mul_f64 v[40:41], v[2:3], v[28:29]
	v_mul_f64 v[28:29], v[4:5], v[28:29]
	v_add_f64 v[14:15], v[14:15], v[18:19]
	v_add_f64 v[16:17], v[20:21], v[38:39]
	s_waitcnt vmcnt(3) lgkmcnt(0)
	v_mul_f64 v[18:19], v[10:11], v[32:33]
	v_mul_f64 v[20:21], v[12:13], v[32:33]
	v_fma_f64 v[22:23], v[4:5], v[26:27], v[40:41]
	v_fma_f64 v[24:25], v[2:3], v[26:27], -v[28:29]
	v_add_f64 v[14:15], v[14:15], v[6:7]
	v_add_f64 v[16:17], v[16:17], v[8:9]
	ds_load_b128 v[2:5], v1 offset:960
	ds_load_b128 v[6:9], v1 offset:976
	v_fma_f64 v[12:13], v[12:13], v[30:31], v[18:19]
	v_fma_f64 v[10:11], v[10:11], v[30:31], -v[20:21]
	s_waitcnt vmcnt(2) lgkmcnt(1)
	v_mul_f64 v[26:27], v[2:3], v[36:37]
	v_mul_f64 v[28:29], v[4:5], v[36:37]
	s_waitcnt vmcnt(0) lgkmcnt(0)
	v_mul_f64 v[18:19], v[6:7], v[149:150]
	v_mul_f64 v[20:21], v[8:9], v[149:150]
	v_add_f64 v[14:15], v[14:15], v[24:25]
	v_add_f64 v[16:17], v[16:17], v[22:23]
	v_fma_f64 v[4:5], v[4:5], v[34:35], v[26:27]
	v_fma_f64 v[1:2], v[2:3], v[34:35], -v[28:29]
	v_fma_f64 v[8:9], v[8:9], v[147:148], v[18:19]
	v_fma_f64 v[6:7], v[6:7], v[147:148], -v[20:21]
	v_add_f64 v[10:11], v[14:15], v[10:11]
	v_add_f64 v[12:13], v[16:17], v[12:13]
	s_delay_alu instid0(VALU_DEP_2) | instskip(NEXT) | instid1(VALU_DEP_2)
	v_add_f64 v[1:2], v[10:11], v[1:2]
	v_add_f64 v[3:4], v[12:13], v[4:5]
	s_delay_alu instid0(VALU_DEP_2) | instskip(NEXT) | instid1(VALU_DEP_2)
	;; [unrolled: 3-line block ×3, first 2 shown]
	v_add_f64 v[1:2], v[143:144], -v[1:2]
	v_add_f64 v[3:4], v[145:146], -v[3:4]
	scratch_store_b128 off, v[1:4], off offset:320
	v_cmpx_lt_u32_e32 19, v108
	s_cbranch_execz .LBB30_161
; %bb.160:
	scratch_load_b128 v[1:4], v138, off
	v_mov_b32_e32 v5, 0
	s_delay_alu instid0(VALU_DEP_1)
	v_mov_b32_e32 v6, v5
	v_mov_b32_e32 v7, v5
	;; [unrolled: 1-line block ×3, first 2 shown]
	scratch_store_b128 off, v[5:8], off offset:304
	s_waitcnt vmcnt(0)
	ds_store_b128 v42, v[1:4]
.LBB30_161:
	s_or_b32 exec_lo, exec_lo, s2
	s_waitcnt lgkmcnt(0)
	s_waitcnt_vscnt null, 0x0
	s_barrier
	buffer_gl0_inv
	s_clause 0x7
	scratch_load_b128 v[2:5], off, off offset:320
	scratch_load_b128 v[6:9], off, off offset:336
	;; [unrolled: 1-line block ×8, first 2 shown]
	v_mov_b32_e32 v1, 0
	s_mov_b32 s2, exec_lo
	ds_load_b128 v[34:37], v1 offset:816
	s_clause 0x1
	scratch_load_b128 v[38:41], off, off offset:448
	scratch_load_b128 v[139:142], off, off offset:304
	ds_load_b128 v[143:146], v1 offset:832
	scratch_load_b128 v[147:150], off, off offset:464
	ds_load_b128 v[151:154], v1 offset:864
	s_waitcnt vmcnt(10) lgkmcnt(2)
	v_mul_f64 v[43:44], v[36:37], v[4:5]
	v_mul_f64 v[4:5], v[34:35], v[4:5]
	s_delay_alu instid0(VALU_DEP_2) | instskip(NEXT) | instid1(VALU_DEP_2)
	v_fma_f64 v[43:44], v[34:35], v[2:3], -v[43:44]
	v_fma_f64 v[157:158], v[36:37], v[2:3], v[4:5]
	scratch_load_b128 v[34:37], off, off offset:480
	ds_load_b128 v[2:5], v1 offset:848
	s_waitcnt vmcnt(10) lgkmcnt(2)
	v_mul_f64 v[155:156], v[143:144], v[8:9]
	v_mul_f64 v[8:9], v[145:146], v[8:9]
	s_waitcnt vmcnt(9) lgkmcnt(0)
	v_mul_f64 v[159:160], v[2:3], v[12:13]
	v_mul_f64 v[12:13], v[4:5], v[12:13]
	s_delay_alu instid0(VALU_DEP_4) | instskip(NEXT) | instid1(VALU_DEP_4)
	v_fma_f64 v[145:146], v[145:146], v[6:7], v[155:156]
	v_fma_f64 v[6:7], v[143:144], v[6:7], -v[8:9]
	v_add_f64 v[8:9], v[43:44], 0
	v_add_f64 v[43:44], v[157:158], 0
	s_waitcnt vmcnt(8)
	v_mul_f64 v[143:144], v[151:152], v[16:17]
	v_mul_f64 v[16:17], v[153:154], v[16:17]
	v_fma_f64 v[155:156], v[4:5], v[10:11], v[159:160]
	v_fma_f64 v[10:11], v[2:3], v[10:11], -v[12:13]
	v_add_f64 v[12:13], v[8:9], v[6:7]
	v_add_f64 v[43:44], v[43:44], v[145:146]
	ds_load_b128 v[2:5], v1 offset:880
	ds_load_b128 v[6:9], v1 offset:896
	v_fma_f64 v[143:144], v[153:154], v[14:15], v[143:144]
	v_fma_f64 v[14:15], v[151:152], v[14:15], -v[16:17]
	s_waitcnt vmcnt(7) lgkmcnt(1)
	v_mul_f64 v[145:146], v[2:3], v[20:21]
	v_mul_f64 v[20:21], v[4:5], v[20:21]
	s_waitcnt vmcnt(6) lgkmcnt(0)
	v_mul_f64 v[16:17], v[6:7], v[24:25]
	v_mul_f64 v[24:25], v[8:9], v[24:25]
	v_add_f64 v[10:11], v[12:13], v[10:11]
	v_add_f64 v[12:13], v[43:44], v[155:156]
	v_fma_f64 v[43:44], v[4:5], v[18:19], v[145:146]
	v_fma_f64 v[18:19], v[2:3], v[18:19], -v[20:21]
	v_fma_f64 v[8:9], v[8:9], v[22:23], v[16:17]
	v_fma_f64 v[6:7], v[6:7], v[22:23], -v[24:25]
	v_add_f64 v[14:15], v[10:11], v[14:15]
	v_add_f64 v[20:21], v[12:13], v[143:144]
	ds_load_b128 v[2:5], v1 offset:912
	ds_load_b128 v[10:13], v1 offset:928
	s_waitcnt vmcnt(5) lgkmcnt(1)
	v_mul_f64 v[143:144], v[2:3], v[28:29]
	v_mul_f64 v[28:29], v[4:5], v[28:29]
	v_add_f64 v[14:15], v[14:15], v[18:19]
	v_add_f64 v[16:17], v[20:21], v[43:44]
	s_waitcnt vmcnt(4) lgkmcnt(0)
	v_mul_f64 v[18:19], v[10:11], v[32:33]
	v_mul_f64 v[20:21], v[12:13], v[32:33]
	v_fma_f64 v[22:23], v[4:5], v[26:27], v[143:144]
	v_fma_f64 v[24:25], v[2:3], v[26:27], -v[28:29]
	v_add_f64 v[14:15], v[14:15], v[6:7]
	v_add_f64 v[16:17], v[16:17], v[8:9]
	ds_load_b128 v[2:5], v1 offset:944
	ds_load_b128 v[6:9], v1 offset:960
	v_fma_f64 v[12:13], v[12:13], v[30:31], v[18:19]
	v_fma_f64 v[10:11], v[10:11], v[30:31], -v[20:21]
	s_waitcnt vmcnt(3) lgkmcnt(1)
	v_mul_f64 v[26:27], v[2:3], v[40:41]
	v_mul_f64 v[28:29], v[4:5], v[40:41]
	s_waitcnt vmcnt(1) lgkmcnt(0)
	v_mul_f64 v[18:19], v[6:7], v[149:150]
	v_mul_f64 v[20:21], v[8:9], v[149:150]
	v_add_f64 v[14:15], v[14:15], v[24:25]
	v_add_f64 v[16:17], v[16:17], v[22:23]
	v_fma_f64 v[22:23], v[4:5], v[38:39], v[26:27]
	v_fma_f64 v[24:25], v[2:3], v[38:39], -v[28:29]
	ds_load_b128 v[2:5], v1 offset:976
	v_fma_f64 v[8:9], v[8:9], v[147:148], v[18:19]
	v_fma_f64 v[6:7], v[6:7], v[147:148], -v[20:21]
	v_add_f64 v[10:11], v[14:15], v[10:11]
	v_add_f64 v[12:13], v[16:17], v[12:13]
	s_waitcnt vmcnt(0) lgkmcnt(0)
	v_mul_f64 v[14:15], v[2:3], v[36:37]
	v_mul_f64 v[16:17], v[4:5], v[36:37]
	s_delay_alu instid0(VALU_DEP_4) | instskip(NEXT) | instid1(VALU_DEP_4)
	v_add_f64 v[10:11], v[10:11], v[24:25]
	v_add_f64 v[12:13], v[12:13], v[22:23]
	s_delay_alu instid0(VALU_DEP_4) | instskip(NEXT) | instid1(VALU_DEP_4)
	v_fma_f64 v[4:5], v[4:5], v[34:35], v[14:15]
	v_fma_f64 v[2:3], v[2:3], v[34:35], -v[16:17]
	s_delay_alu instid0(VALU_DEP_4) | instskip(NEXT) | instid1(VALU_DEP_4)
	v_add_f64 v[6:7], v[10:11], v[6:7]
	v_add_f64 v[8:9], v[12:13], v[8:9]
	s_delay_alu instid0(VALU_DEP_2) | instskip(NEXT) | instid1(VALU_DEP_2)
	v_add_f64 v[2:3], v[6:7], v[2:3]
	v_add_f64 v[4:5], v[8:9], v[4:5]
	s_delay_alu instid0(VALU_DEP_2) | instskip(NEXT) | instid1(VALU_DEP_2)
	v_add_f64 v[2:3], v[139:140], -v[2:3]
	v_add_f64 v[4:5], v[141:142], -v[4:5]
	scratch_store_b128 off, v[2:5], off offset:304
	v_cmpx_lt_u32_e32 18, v108
	s_cbranch_execz .LBB30_163
; %bb.162:
	scratch_load_b128 v[5:8], v113, off
	v_mov_b32_e32 v2, v1
	v_mov_b32_e32 v3, v1
	;; [unrolled: 1-line block ×3, first 2 shown]
	scratch_store_b128 off, v[1:4], off offset:288
	s_waitcnt vmcnt(0)
	ds_store_b128 v42, v[5:8]
.LBB30_163:
	s_or_b32 exec_lo, exec_lo, s2
	s_waitcnt lgkmcnt(0)
	s_waitcnt_vscnt null, 0x0
	s_barrier
	buffer_gl0_inv
	s_clause 0x8
	scratch_load_b128 v[2:5], off, off offset:304
	scratch_load_b128 v[6:9], off, off offset:320
	;; [unrolled: 1-line block ×9, first 2 shown]
	ds_load_b128 v[38:41], v1 offset:800
	ds_load_b128 v[139:142], v1 offset:816
	s_clause 0x1
	scratch_load_b128 v[143:146], off, off offset:288
	scratch_load_b128 v[147:150], off, off offset:448
	s_mov_b32 s2, exec_lo
	ds_load_b128 v[151:154], v1 offset:848
	s_waitcnt vmcnt(10) lgkmcnt(2)
	v_mul_f64 v[43:44], v[40:41], v[4:5]
	v_mul_f64 v[4:5], v[38:39], v[4:5]
	s_waitcnt vmcnt(9) lgkmcnt(1)
	v_mul_f64 v[155:156], v[139:140], v[8:9]
	v_mul_f64 v[8:9], v[141:142], v[8:9]
	s_delay_alu instid0(VALU_DEP_4) | instskip(NEXT) | instid1(VALU_DEP_4)
	v_fma_f64 v[43:44], v[38:39], v[2:3], -v[43:44]
	v_fma_f64 v[157:158], v[40:41], v[2:3], v[4:5]
	ds_load_b128 v[2:5], v1 offset:832
	scratch_load_b128 v[38:41], off, off offset:464
	v_fma_f64 v[141:142], v[141:142], v[6:7], v[155:156]
	v_fma_f64 v[139:140], v[139:140], v[6:7], -v[8:9]
	scratch_load_b128 v[6:9], off, off offset:480
	s_waitcnt vmcnt(10) lgkmcnt(0)
	v_mul_f64 v[159:160], v[2:3], v[12:13]
	v_mul_f64 v[12:13], v[4:5], v[12:13]
	v_add_f64 v[43:44], v[43:44], 0
	v_add_f64 v[155:156], v[157:158], 0
	s_waitcnt vmcnt(9)
	v_mul_f64 v[157:158], v[151:152], v[16:17]
	v_mul_f64 v[16:17], v[153:154], v[16:17]
	v_fma_f64 v[159:160], v[4:5], v[10:11], v[159:160]
	v_fma_f64 v[161:162], v[2:3], v[10:11], -v[12:13]
	ds_load_b128 v[2:5], v1 offset:864
	ds_load_b128 v[10:13], v1 offset:880
	v_add_f64 v[43:44], v[43:44], v[139:140]
	v_add_f64 v[139:140], v[155:156], v[141:142]
	v_fma_f64 v[153:154], v[153:154], v[14:15], v[157:158]
	v_fma_f64 v[14:15], v[151:152], v[14:15], -v[16:17]
	s_waitcnt vmcnt(8) lgkmcnt(1)
	v_mul_f64 v[141:142], v[2:3], v[20:21]
	v_mul_f64 v[20:21], v[4:5], v[20:21]
	v_add_f64 v[16:17], v[43:44], v[161:162]
	v_add_f64 v[43:44], v[139:140], v[159:160]
	s_waitcnt vmcnt(7) lgkmcnt(0)
	v_mul_f64 v[139:140], v[10:11], v[24:25]
	v_mul_f64 v[24:25], v[12:13], v[24:25]
	v_fma_f64 v[141:142], v[4:5], v[18:19], v[141:142]
	v_fma_f64 v[18:19], v[2:3], v[18:19], -v[20:21]
	v_add_f64 v[20:21], v[16:17], v[14:15]
	v_add_f64 v[43:44], v[43:44], v[153:154]
	ds_load_b128 v[2:5], v1 offset:896
	ds_load_b128 v[14:17], v1 offset:912
	v_fma_f64 v[12:13], v[12:13], v[22:23], v[139:140]
	v_fma_f64 v[10:11], v[10:11], v[22:23], -v[24:25]
	s_waitcnt vmcnt(6) lgkmcnt(1)
	v_mul_f64 v[151:152], v[2:3], v[28:29]
	v_mul_f64 v[28:29], v[4:5], v[28:29]
	s_waitcnt vmcnt(5) lgkmcnt(0)
	v_mul_f64 v[22:23], v[14:15], v[32:33]
	v_mul_f64 v[24:25], v[16:17], v[32:33]
	v_add_f64 v[18:19], v[20:21], v[18:19]
	v_add_f64 v[20:21], v[43:44], v[141:142]
	v_fma_f64 v[32:33], v[4:5], v[26:27], v[151:152]
	v_fma_f64 v[26:27], v[2:3], v[26:27], -v[28:29]
	v_fma_f64 v[16:17], v[16:17], v[30:31], v[22:23]
	v_fma_f64 v[14:15], v[14:15], v[30:31], -v[24:25]
	v_add_f64 v[18:19], v[18:19], v[10:11]
	v_add_f64 v[20:21], v[20:21], v[12:13]
	ds_load_b128 v[2:5], v1 offset:928
	ds_load_b128 v[10:13], v1 offset:944
	s_waitcnt vmcnt(4) lgkmcnt(1)
	v_mul_f64 v[28:29], v[2:3], v[36:37]
	v_mul_f64 v[36:37], v[4:5], v[36:37]
	s_waitcnt vmcnt(2) lgkmcnt(0)
	v_mul_f64 v[22:23], v[10:11], v[149:150]
	v_mul_f64 v[24:25], v[12:13], v[149:150]
	v_add_f64 v[18:19], v[18:19], v[26:27]
	v_add_f64 v[20:21], v[20:21], v[32:33]
	v_fma_f64 v[26:27], v[4:5], v[34:35], v[28:29]
	v_fma_f64 v[28:29], v[2:3], v[34:35], -v[36:37]
	v_fma_f64 v[12:13], v[12:13], v[147:148], v[22:23]
	v_fma_f64 v[10:11], v[10:11], v[147:148], -v[24:25]
	v_add_f64 v[18:19], v[18:19], v[14:15]
	v_add_f64 v[20:21], v[20:21], v[16:17]
	ds_load_b128 v[2:5], v1 offset:960
	ds_load_b128 v[14:17], v1 offset:976
	s_waitcnt vmcnt(1) lgkmcnt(1)
	v_mul_f64 v[30:31], v[2:3], v[40:41]
	v_mul_f64 v[32:33], v[4:5], v[40:41]
	s_waitcnt vmcnt(0) lgkmcnt(0)
	v_mul_f64 v[22:23], v[14:15], v[8:9]
	v_mul_f64 v[8:9], v[16:17], v[8:9]
	v_add_f64 v[18:19], v[18:19], v[28:29]
	v_add_f64 v[20:21], v[20:21], v[26:27]
	v_fma_f64 v[4:5], v[4:5], v[38:39], v[30:31]
	v_fma_f64 v[1:2], v[2:3], v[38:39], -v[32:33]
	v_fma_f64 v[16:17], v[16:17], v[6:7], v[22:23]
	v_fma_f64 v[6:7], v[14:15], v[6:7], -v[8:9]
	v_add_f64 v[10:11], v[18:19], v[10:11]
	v_add_f64 v[12:13], v[20:21], v[12:13]
	s_delay_alu instid0(VALU_DEP_2) | instskip(NEXT) | instid1(VALU_DEP_2)
	v_add_f64 v[1:2], v[10:11], v[1:2]
	v_add_f64 v[3:4], v[12:13], v[4:5]
	s_delay_alu instid0(VALU_DEP_2) | instskip(NEXT) | instid1(VALU_DEP_2)
	;; [unrolled: 3-line block ×3, first 2 shown]
	v_add_f64 v[1:2], v[143:144], -v[1:2]
	v_add_f64 v[3:4], v[145:146], -v[3:4]
	scratch_store_b128 off, v[1:4], off offset:288
	v_cmpx_lt_u32_e32 17, v108
	s_cbranch_execz .LBB30_165
; %bb.164:
	scratch_load_b128 v[1:4], v115, off
	v_mov_b32_e32 v5, 0
	s_delay_alu instid0(VALU_DEP_1)
	v_mov_b32_e32 v6, v5
	v_mov_b32_e32 v7, v5
	;; [unrolled: 1-line block ×3, first 2 shown]
	scratch_store_b128 off, v[5:8], off offset:272
	s_waitcnt vmcnt(0)
	ds_store_b128 v42, v[1:4]
.LBB30_165:
	s_or_b32 exec_lo, exec_lo, s2
	s_waitcnt lgkmcnt(0)
	s_waitcnt_vscnt null, 0x0
	s_barrier
	buffer_gl0_inv
	s_clause 0x7
	scratch_load_b128 v[2:5], off, off offset:288
	scratch_load_b128 v[6:9], off, off offset:304
	scratch_load_b128 v[10:13], off, off offset:320
	scratch_load_b128 v[14:17], off, off offset:336
	scratch_load_b128 v[18:21], off, off offset:352
	scratch_load_b128 v[22:25], off, off offset:368
	scratch_load_b128 v[26:29], off, off offset:384
	scratch_load_b128 v[30:33], off, off offset:400
	v_mov_b32_e32 v1, 0
	s_mov_b32 s2, exec_lo
	ds_load_b128 v[34:37], v1 offset:784
	s_clause 0x1
	scratch_load_b128 v[38:41], off, off offset:416
	scratch_load_b128 v[139:142], off, off offset:272
	ds_load_b128 v[143:146], v1 offset:800
	scratch_load_b128 v[147:150], off, off offset:432
	ds_load_b128 v[151:154], v1 offset:832
	s_waitcnt vmcnt(10) lgkmcnt(2)
	v_mul_f64 v[43:44], v[36:37], v[4:5]
	v_mul_f64 v[4:5], v[34:35], v[4:5]
	s_delay_alu instid0(VALU_DEP_2) | instskip(NEXT) | instid1(VALU_DEP_2)
	v_fma_f64 v[43:44], v[34:35], v[2:3], -v[43:44]
	v_fma_f64 v[157:158], v[36:37], v[2:3], v[4:5]
	ds_load_b128 v[2:5], v1 offset:816
	s_waitcnt vmcnt(9) lgkmcnt(2)
	v_mul_f64 v[155:156], v[143:144], v[8:9]
	v_mul_f64 v[8:9], v[145:146], v[8:9]
	scratch_load_b128 v[34:37], off, off offset:448
	s_waitcnt vmcnt(9) lgkmcnt(0)
	v_mul_f64 v[159:160], v[2:3], v[12:13]
	v_mul_f64 v[12:13], v[4:5], v[12:13]
	v_add_f64 v[43:44], v[43:44], 0
	v_fma_f64 v[145:146], v[145:146], v[6:7], v[155:156]
	v_fma_f64 v[143:144], v[143:144], v[6:7], -v[8:9]
	v_add_f64 v[155:156], v[157:158], 0
	scratch_load_b128 v[6:9], off, off offset:464
	v_fma_f64 v[159:160], v[4:5], v[10:11], v[159:160]
	v_fma_f64 v[161:162], v[2:3], v[10:11], -v[12:13]
	scratch_load_b128 v[10:13], off, off offset:480
	ds_load_b128 v[2:5], v1 offset:848
	s_waitcnt vmcnt(10)
	v_mul_f64 v[157:158], v[151:152], v[16:17]
	v_mul_f64 v[16:17], v[153:154], v[16:17]
	v_add_f64 v[43:44], v[43:44], v[143:144]
	v_add_f64 v[155:156], v[155:156], v[145:146]
	ds_load_b128 v[143:146], v1 offset:864
	s_waitcnt vmcnt(9) lgkmcnt(1)
	v_mul_f64 v[163:164], v[2:3], v[20:21]
	v_mul_f64 v[20:21], v[4:5], v[20:21]
	v_fma_f64 v[153:154], v[153:154], v[14:15], v[157:158]
	v_fma_f64 v[14:15], v[151:152], v[14:15], -v[16:17]
	s_waitcnt vmcnt(8) lgkmcnt(0)
	v_mul_f64 v[151:152], v[143:144], v[24:25]
	v_mul_f64 v[24:25], v[145:146], v[24:25]
	v_add_f64 v[16:17], v[43:44], v[161:162]
	v_add_f64 v[43:44], v[155:156], v[159:160]
	v_fma_f64 v[155:156], v[4:5], v[18:19], v[163:164]
	v_fma_f64 v[18:19], v[2:3], v[18:19], -v[20:21]
	v_fma_f64 v[145:146], v[145:146], v[22:23], v[151:152]
	v_fma_f64 v[22:23], v[143:144], v[22:23], -v[24:25]
	v_add_f64 v[20:21], v[16:17], v[14:15]
	v_add_f64 v[43:44], v[43:44], v[153:154]
	ds_load_b128 v[2:5], v1 offset:880
	ds_load_b128 v[14:17], v1 offset:896
	s_waitcnt vmcnt(7) lgkmcnt(1)
	v_mul_f64 v[153:154], v[2:3], v[28:29]
	v_mul_f64 v[28:29], v[4:5], v[28:29]
	s_waitcnt vmcnt(6) lgkmcnt(0)
	v_mul_f64 v[24:25], v[14:15], v[32:33]
	v_mul_f64 v[32:33], v[16:17], v[32:33]
	v_add_f64 v[18:19], v[20:21], v[18:19]
	v_add_f64 v[20:21], v[43:44], v[155:156]
	v_fma_f64 v[43:44], v[4:5], v[26:27], v[153:154]
	v_fma_f64 v[26:27], v[2:3], v[26:27], -v[28:29]
	v_fma_f64 v[16:17], v[16:17], v[30:31], v[24:25]
	v_fma_f64 v[14:15], v[14:15], v[30:31], -v[32:33]
	v_add_f64 v[22:23], v[18:19], v[22:23]
	v_add_f64 v[28:29], v[20:21], v[145:146]
	ds_load_b128 v[2:5], v1 offset:912
	ds_load_b128 v[18:21], v1 offset:928
	s_waitcnt vmcnt(5) lgkmcnt(1)
	v_mul_f64 v[143:144], v[2:3], v[40:41]
	v_mul_f64 v[40:41], v[4:5], v[40:41]
	v_add_f64 v[22:23], v[22:23], v[26:27]
	v_add_f64 v[24:25], v[28:29], v[43:44]
	s_waitcnt vmcnt(3) lgkmcnt(0)
	v_mul_f64 v[26:27], v[18:19], v[149:150]
	v_mul_f64 v[28:29], v[20:21], v[149:150]
	v_fma_f64 v[30:31], v[4:5], v[38:39], v[143:144]
	v_fma_f64 v[32:33], v[2:3], v[38:39], -v[40:41]
	v_add_f64 v[22:23], v[22:23], v[14:15]
	v_add_f64 v[24:25], v[24:25], v[16:17]
	ds_load_b128 v[2:5], v1 offset:944
	ds_load_b128 v[14:17], v1 offset:960
	v_fma_f64 v[20:21], v[20:21], v[147:148], v[26:27]
	v_fma_f64 v[18:19], v[18:19], v[147:148], -v[28:29]
	s_waitcnt vmcnt(2) lgkmcnt(1)
	v_mul_f64 v[38:39], v[2:3], v[36:37]
	v_mul_f64 v[36:37], v[4:5], v[36:37]
	v_add_f64 v[22:23], v[22:23], v[32:33]
	v_add_f64 v[24:25], v[24:25], v[30:31]
	s_waitcnt vmcnt(1) lgkmcnt(0)
	v_mul_f64 v[26:27], v[14:15], v[8:9]
	v_mul_f64 v[8:9], v[16:17], v[8:9]
	v_fma_f64 v[28:29], v[4:5], v[34:35], v[38:39]
	v_fma_f64 v[30:31], v[2:3], v[34:35], -v[36:37]
	ds_load_b128 v[2:5], v1 offset:976
	v_add_f64 v[18:19], v[22:23], v[18:19]
	v_add_f64 v[20:21], v[24:25], v[20:21]
	s_waitcnt vmcnt(0) lgkmcnt(0)
	v_mul_f64 v[22:23], v[2:3], v[12:13]
	v_mul_f64 v[12:13], v[4:5], v[12:13]
	v_fma_f64 v[16:17], v[16:17], v[6:7], v[26:27]
	v_fma_f64 v[6:7], v[14:15], v[6:7], -v[8:9]
	v_add_f64 v[8:9], v[18:19], v[30:31]
	v_add_f64 v[14:15], v[20:21], v[28:29]
	v_fma_f64 v[4:5], v[4:5], v[10:11], v[22:23]
	v_fma_f64 v[2:3], v[2:3], v[10:11], -v[12:13]
	s_delay_alu instid0(VALU_DEP_4) | instskip(NEXT) | instid1(VALU_DEP_4)
	v_add_f64 v[6:7], v[8:9], v[6:7]
	v_add_f64 v[8:9], v[14:15], v[16:17]
	s_delay_alu instid0(VALU_DEP_2) | instskip(NEXT) | instid1(VALU_DEP_2)
	v_add_f64 v[2:3], v[6:7], v[2:3]
	v_add_f64 v[4:5], v[8:9], v[4:5]
	s_delay_alu instid0(VALU_DEP_2) | instskip(NEXT) | instid1(VALU_DEP_2)
	v_add_f64 v[2:3], v[139:140], -v[2:3]
	v_add_f64 v[4:5], v[141:142], -v[4:5]
	scratch_store_b128 off, v[2:5], off offset:272
	v_cmpx_lt_u32_e32 16, v108
	s_cbranch_execz .LBB30_167
; %bb.166:
	scratch_load_b128 v[5:8], v114, off
	v_mov_b32_e32 v2, v1
	v_mov_b32_e32 v3, v1
	;; [unrolled: 1-line block ×3, first 2 shown]
	scratch_store_b128 off, v[1:4], off offset:256
	s_waitcnt vmcnt(0)
	ds_store_b128 v42, v[5:8]
.LBB30_167:
	s_or_b32 exec_lo, exec_lo, s2
	s_waitcnt lgkmcnt(0)
	s_waitcnt_vscnt null, 0x0
	s_barrier
	buffer_gl0_inv
	s_clause 0x8
	scratch_load_b128 v[2:5], off, off offset:272
	scratch_load_b128 v[6:9], off, off offset:288
	scratch_load_b128 v[10:13], off, off offset:304
	scratch_load_b128 v[14:17], off, off offset:320
	scratch_load_b128 v[18:21], off, off offset:336
	scratch_load_b128 v[22:25], off, off offset:352
	scratch_load_b128 v[26:29], off, off offset:368
	scratch_load_b128 v[30:33], off, off offset:384
	scratch_load_b128 v[34:37], off, off offset:400
	ds_load_b128 v[38:41], v1 offset:768
	ds_load_b128 v[139:142], v1 offset:784
	s_clause 0x1
	scratch_load_b128 v[143:146], off, off offset:256
	scratch_load_b128 v[147:150], off, off offset:416
	s_mov_b32 s2, exec_lo
	ds_load_b128 v[151:154], v1 offset:816
	s_waitcnt vmcnt(10) lgkmcnt(2)
	v_mul_f64 v[43:44], v[40:41], v[4:5]
	v_mul_f64 v[4:5], v[38:39], v[4:5]
	s_waitcnt vmcnt(9) lgkmcnt(1)
	v_mul_f64 v[155:156], v[139:140], v[8:9]
	v_mul_f64 v[8:9], v[141:142], v[8:9]
	s_delay_alu instid0(VALU_DEP_4) | instskip(NEXT) | instid1(VALU_DEP_4)
	v_fma_f64 v[43:44], v[38:39], v[2:3], -v[43:44]
	v_fma_f64 v[157:158], v[40:41], v[2:3], v[4:5]
	ds_load_b128 v[2:5], v1 offset:800
	scratch_load_b128 v[38:41], off, off offset:432
	v_fma_f64 v[141:142], v[141:142], v[6:7], v[155:156]
	v_fma_f64 v[139:140], v[139:140], v[6:7], -v[8:9]
	scratch_load_b128 v[6:9], off, off offset:448
	s_waitcnt vmcnt(10) lgkmcnt(0)
	v_mul_f64 v[159:160], v[2:3], v[12:13]
	v_mul_f64 v[12:13], v[4:5], v[12:13]
	v_add_f64 v[43:44], v[43:44], 0
	v_add_f64 v[155:156], v[157:158], 0
	s_waitcnt vmcnt(9)
	v_mul_f64 v[157:158], v[151:152], v[16:17]
	v_mul_f64 v[16:17], v[153:154], v[16:17]
	v_fma_f64 v[159:160], v[4:5], v[10:11], v[159:160]
	v_fma_f64 v[161:162], v[2:3], v[10:11], -v[12:13]
	ds_load_b128 v[2:5], v1 offset:832
	scratch_load_b128 v[10:13], off, off offset:464
	v_add_f64 v[43:44], v[43:44], v[139:140]
	v_add_f64 v[155:156], v[155:156], v[141:142]
	ds_load_b128 v[139:142], v1 offset:848
	v_fma_f64 v[153:154], v[153:154], v[14:15], v[157:158]
	v_fma_f64 v[151:152], v[151:152], v[14:15], -v[16:17]
	scratch_load_b128 v[14:17], off, off offset:480
	s_waitcnt vmcnt(10) lgkmcnt(1)
	v_mul_f64 v[163:164], v[2:3], v[20:21]
	v_mul_f64 v[20:21], v[4:5], v[20:21]
	s_waitcnt vmcnt(9) lgkmcnt(0)
	v_mul_f64 v[157:158], v[139:140], v[24:25]
	v_mul_f64 v[24:25], v[141:142], v[24:25]
	v_add_f64 v[43:44], v[43:44], v[161:162]
	v_add_f64 v[155:156], v[155:156], v[159:160]
	v_fma_f64 v[159:160], v[4:5], v[18:19], v[163:164]
	v_fma_f64 v[161:162], v[2:3], v[18:19], -v[20:21]
	ds_load_b128 v[2:5], v1 offset:864
	ds_load_b128 v[18:21], v1 offset:880
	v_fma_f64 v[141:142], v[141:142], v[22:23], v[157:158]
	v_fma_f64 v[22:23], v[139:140], v[22:23], -v[24:25]
	s_waitcnt vmcnt(7) lgkmcnt(0)
	v_mul_f64 v[139:140], v[18:19], v[32:33]
	v_mul_f64 v[32:33], v[20:21], v[32:33]
	v_add_f64 v[43:44], v[43:44], v[151:152]
	v_add_f64 v[151:152], v[155:156], v[153:154]
	v_mul_f64 v[153:154], v[2:3], v[28:29]
	v_mul_f64 v[28:29], v[4:5], v[28:29]
	v_fma_f64 v[20:21], v[20:21], v[30:31], v[139:140]
	v_fma_f64 v[18:19], v[18:19], v[30:31], -v[32:33]
	v_add_f64 v[24:25], v[43:44], v[161:162]
	v_add_f64 v[43:44], v[151:152], v[159:160]
	v_fma_f64 v[151:152], v[4:5], v[26:27], v[153:154]
	v_fma_f64 v[26:27], v[2:3], v[26:27], -v[28:29]
	s_delay_alu instid0(VALU_DEP_4) | instskip(NEXT) | instid1(VALU_DEP_4)
	v_add_f64 v[28:29], v[24:25], v[22:23]
	v_add_f64 v[43:44], v[43:44], v[141:142]
	ds_load_b128 v[2:5], v1 offset:896
	ds_load_b128 v[22:25], v1 offset:912
	s_waitcnt vmcnt(6) lgkmcnt(1)
	v_mul_f64 v[141:142], v[2:3], v[36:37]
	v_mul_f64 v[36:37], v[4:5], v[36:37]
	s_waitcnt vmcnt(4) lgkmcnt(0)
	v_mul_f64 v[30:31], v[22:23], v[149:150]
	v_mul_f64 v[32:33], v[24:25], v[149:150]
	v_add_f64 v[26:27], v[28:29], v[26:27]
	v_add_f64 v[28:29], v[43:44], v[151:152]
	v_fma_f64 v[43:44], v[4:5], v[34:35], v[141:142]
	v_fma_f64 v[34:35], v[2:3], v[34:35], -v[36:37]
	v_fma_f64 v[24:25], v[24:25], v[147:148], v[30:31]
	v_fma_f64 v[22:23], v[22:23], v[147:148], -v[32:33]
	v_add_f64 v[26:27], v[26:27], v[18:19]
	v_add_f64 v[28:29], v[28:29], v[20:21]
	ds_load_b128 v[2:5], v1 offset:928
	ds_load_b128 v[18:21], v1 offset:944
	s_waitcnt vmcnt(3) lgkmcnt(1)
	v_mul_f64 v[36:37], v[2:3], v[40:41]
	v_mul_f64 v[40:41], v[4:5], v[40:41]
	s_waitcnt vmcnt(2) lgkmcnt(0)
	v_mul_f64 v[30:31], v[18:19], v[8:9]
	v_mul_f64 v[8:9], v[20:21], v[8:9]
	v_add_f64 v[26:27], v[26:27], v[34:35]
	v_add_f64 v[28:29], v[28:29], v[43:44]
	v_fma_f64 v[32:33], v[4:5], v[38:39], v[36:37]
	v_fma_f64 v[34:35], v[2:3], v[38:39], -v[40:41]
	v_fma_f64 v[20:21], v[20:21], v[6:7], v[30:31]
	v_fma_f64 v[6:7], v[18:19], v[6:7], -v[8:9]
	v_add_f64 v[26:27], v[26:27], v[22:23]
	v_add_f64 v[28:29], v[28:29], v[24:25]
	ds_load_b128 v[2:5], v1 offset:960
	ds_load_b128 v[22:25], v1 offset:976
	s_waitcnt vmcnt(1) lgkmcnt(1)
	v_mul_f64 v[36:37], v[2:3], v[12:13]
	v_mul_f64 v[12:13], v[4:5], v[12:13]
	v_add_f64 v[8:9], v[26:27], v[34:35]
	v_add_f64 v[18:19], v[28:29], v[32:33]
	s_waitcnt vmcnt(0) lgkmcnt(0)
	v_mul_f64 v[26:27], v[22:23], v[16:17]
	v_mul_f64 v[16:17], v[24:25], v[16:17]
	v_fma_f64 v[4:5], v[4:5], v[10:11], v[36:37]
	v_fma_f64 v[1:2], v[2:3], v[10:11], -v[12:13]
	v_add_f64 v[6:7], v[8:9], v[6:7]
	v_add_f64 v[8:9], v[18:19], v[20:21]
	v_fma_f64 v[10:11], v[24:25], v[14:15], v[26:27]
	v_fma_f64 v[12:13], v[22:23], v[14:15], -v[16:17]
	s_delay_alu instid0(VALU_DEP_4) | instskip(NEXT) | instid1(VALU_DEP_4)
	v_add_f64 v[1:2], v[6:7], v[1:2]
	v_add_f64 v[3:4], v[8:9], v[4:5]
	s_delay_alu instid0(VALU_DEP_2) | instskip(NEXT) | instid1(VALU_DEP_2)
	v_add_f64 v[1:2], v[1:2], v[12:13]
	v_add_f64 v[3:4], v[3:4], v[10:11]
	s_delay_alu instid0(VALU_DEP_2) | instskip(NEXT) | instid1(VALU_DEP_2)
	v_add_f64 v[1:2], v[143:144], -v[1:2]
	v_add_f64 v[3:4], v[145:146], -v[3:4]
	scratch_store_b128 off, v[1:4], off offset:256
	v_cmpx_lt_u32_e32 15, v108
	s_cbranch_execz .LBB30_169
; %bb.168:
	scratch_load_b128 v[1:4], v116, off
	v_mov_b32_e32 v5, 0
	s_delay_alu instid0(VALU_DEP_1)
	v_mov_b32_e32 v6, v5
	v_mov_b32_e32 v7, v5
	;; [unrolled: 1-line block ×3, first 2 shown]
	scratch_store_b128 off, v[5:8], off offset:240
	s_waitcnt vmcnt(0)
	ds_store_b128 v42, v[1:4]
.LBB30_169:
	s_or_b32 exec_lo, exec_lo, s2
	s_waitcnt lgkmcnt(0)
	s_waitcnt_vscnt null, 0x0
	s_barrier
	buffer_gl0_inv
	s_clause 0x7
	scratch_load_b128 v[2:5], off, off offset:256
	scratch_load_b128 v[6:9], off, off offset:272
	;; [unrolled: 1-line block ×8, first 2 shown]
	v_mov_b32_e32 v1, 0
	s_mov_b32 s2, exec_lo
	ds_load_b128 v[34:37], v1 offset:752
	s_clause 0x1
	scratch_load_b128 v[38:41], off, off offset:384
	scratch_load_b128 v[139:142], off, off offset:240
	ds_load_b128 v[143:146], v1 offset:768
	scratch_load_b128 v[147:150], off, off offset:400
	ds_load_b128 v[151:154], v1 offset:800
	s_waitcnt vmcnt(10) lgkmcnt(2)
	v_mul_f64 v[43:44], v[36:37], v[4:5]
	v_mul_f64 v[4:5], v[34:35], v[4:5]
	s_delay_alu instid0(VALU_DEP_2) | instskip(NEXT) | instid1(VALU_DEP_2)
	v_fma_f64 v[43:44], v[34:35], v[2:3], -v[43:44]
	v_fma_f64 v[157:158], v[36:37], v[2:3], v[4:5]
	ds_load_b128 v[2:5], v1 offset:784
	s_waitcnt vmcnt(9) lgkmcnt(2)
	v_mul_f64 v[155:156], v[143:144], v[8:9]
	v_mul_f64 v[8:9], v[145:146], v[8:9]
	scratch_load_b128 v[34:37], off, off offset:416
	s_waitcnt vmcnt(9) lgkmcnt(0)
	v_mul_f64 v[159:160], v[2:3], v[12:13]
	v_mul_f64 v[12:13], v[4:5], v[12:13]
	v_add_f64 v[43:44], v[43:44], 0
	v_fma_f64 v[145:146], v[145:146], v[6:7], v[155:156]
	v_fma_f64 v[143:144], v[143:144], v[6:7], -v[8:9]
	v_add_f64 v[155:156], v[157:158], 0
	scratch_load_b128 v[6:9], off, off offset:432
	v_fma_f64 v[159:160], v[4:5], v[10:11], v[159:160]
	v_fma_f64 v[161:162], v[2:3], v[10:11], -v[12:13]
	scratch_load_b128 v[10:13], off, off offset:448
	ds_load_b128 v[2:5], v1 offset:816
	s_waitcnt vmcnt(10)
	v_mul_f64 v[157:158], v[151:152], v[16:17]
	v_mul_f64 v[16:17], v[153:154], v[16:17]
	v_add_f64 v[43:44], v[43:44], v[143:144]
	v_add_f64 v[155:156], v[155:156], v[145:146]
	ds_load_b128 v[143:146], v1 offset:832
	s_waitcnt vmcnt(9) lgkmcnt(1)
	v_mul_f64 v[163:164], v[2:3], v[20:21]
	v_mul_f64 v[20:21], v[4:5], v[20:21]
	v_fma_f64 v[153:154], v[153:154], v[14:15], v[157:158]
	v_fma_f64 v[151:152], v[151:152], v[14:15], -v[16:17]
	scratch_load_b128 v[14:17], off, off offset:464
	v_add_f64 v[43:44], v[43:44], v[161:162]
	v_add_f64 v[155:156], v[155:156], v[159:160]
	v_fma_f64 v[159:160], v[4:5], v[18:19], v[163:164]
	v_fma_f64 v[161:162], v[2:3], v[18:19], -v[20:21]
	scratch_load_b128 v[18:21], off, off offset:480
	ds_load_b128 v[2:5], v1 offset:848
	s_waitcnt vmcnt(10) lgkmcnt(1)
	v_mul_f64 v[157:158], v[143:144], v[24:25]
	v_mul_f64 v[24:25], v[145:146], v[24:25]
	s_waitcnt vmcnt(9) lgkmcnt(0)
	v_mul_f64 v[163:164], v[2:3], v[28:29]
	v_mul_f64 v[28:29], v[4:5], v[28:29]
	v_add_f64 v[43:44], v[43:44], v[151:152]
	v_add_f64 v[155:156], v[155:156], v[153:154]
	ds_load_b128 v[151:154], v1 offset:864
	v_fma_f64 v[145:146], v[145:146], v[22:23], v[157:158]
	v_fma_f64 v[22:23], v[143:144], v[22:23], -v[24:25]
	s_waitcnt vmcnt(8) lgkmcnt(0)
	v_mul_f64 v[143:144], v[151:152], v[32:33]
	v_mul_f64 v[32:33], v[153:154], v[32:33]
	v_add_f64 v[24:25], v[43:44], v[161:162]
	v_add_f64 v[43:44], v[155:156], v[159:160]
	v_fma_f64 v[155:156], v[4:5], v[26:27], v[163:164]
	v_fma_f64 v[26:27], v[2:3], v[26:27], -v[28:29]
	v_fma_f64 v[143:144], v[153:154], v[30:31], v[143:144]
	v_fma_f64 v[30:31], v[151:152], v[30:31], -v[32:33]
	v_add_f64 v[28:29], v[24:25], v[22:23]
	v_add_f64 v[43:44], v[43:44], v[145:146]
	ds_load_b128 v[2:5], v1 offset:880
	ds_load_b128 v[22:25], v1 offset:896
	s_waitcnt vmcnt(7) lgkmcnt(1)
	v_mul_f64 v[145:146], v[2:3], v[40:41]
	v_mul_f64 v[40:41], v[4:5], v[40:41]
	s_waitcnt vmcnt(5) lgkmcnt(0)
	v_mul_f64 v[32:33], v[22:23], v[149:150]
	v_add_f64 v[26:27], v[28:29], v[26:27]
	v_add_f64 v[28:29], v[43:44], v[155:156]
	v_mul_f64 v[43:44], v[24:25], v[149:150]
	v_fma_f64 v[145:146], v[4:5], v[38:39], v[145:146]
	v_fma_f64 v[38:39], v[2:3], v[38:39], -v[40:41]
	v_fma_f64 v[24:25], v[24:25], v[147:148], v[32:33]
	v_add_f64 v[30:31], v[26:27], v[30:31]
	v_add_f64 v[40:41], v[28:29], v[143:144]
	ds_load_b128 v[2:5], v1 offset:912
	ds_load_b128 v[26:29], v1 offset:928
	v_fma_f64 v[22:23], v[22:23], v[147:148], -v[43:44]
	s_waitcnt vmcnt(4) lgkmcnt(1)
	v_mul_f64 v[143:144], v[2:3], v[36:37]
	v_mul_f64 v[36:37], v[4:5], v[36:37]
	v_add_f64 v[30:31], v[30:31], v[38:39]
	v_add_f64 v[32:33], v[40:41], v[145:146]
	s_waitcnt vmcnt(3) lgkmcnt(0)
	v_mul_f64 v[38:39], v[26:27], v[8:9]
	v_mul_f64 v[8:9], v[28:29], v[8:9]
	v_fma_f64 v[40:41], v[4:5], v[34:35], v[143:144]
	v_fma_f64 v[34:35], v[2:3], v[34:35], -v[36:37]
	v_add_f64 v[30:31], v[30:31], v[22:23]
	v_add_f64 v[32:33], v[32:33], v[24:25]
	ds_load_b128 v[2:5], v1 offset:944
	ds_load_b128 v[22:25], v1 offset:960
	v_fma_f64 v[28:29], v[28:29], v[6:7], v[38:39]
	v_fma_f64 v[6:7], v[26:27], v[6:7], -v[8:9]
	s_waitcnt vmcnt(2) lgkmcnt(1)
	v_mul_f64 v[36:37], v[2:3], v[12:13]
	v_mul_f64 v[12:13], v[4:5], v[12:13]
	v_add_f64 v[8:9], v[30:31], v[34:35]
	v_add_f64 v[26:27], v[32:33], v[40:41]
	s_waitcnt vmcnt(1) lgkmcnt(0)
	v_mul_f64 v[30:31], v[22:23], v[16:17]
	v_mul_f64 v[16:17], v[24:25], v[16:17]
	v_fma_f64 v[32:33], v[4:5], v[10:11], v[36:37]
	v_fma_f64 v[10:11], v[2:3], v[10:11], -v[12:13]
	ds_load_b128 v[2:5], v1 offset:976
	v_add_f64 v[6:7], v[8:9], v[6:7]
	v_add_f64 v[8:9], v[26:27], v[28:29]
	v_fma_f64 v[24:25], v[24:25], v[14:15], v[30:31]
	v_fma_f64 v[14:15], v[22:23], v[14:15], -v[16:17]
	s_waitcnt vmcnt(0) lgkmcnt(0)
	v_mul_f64 v[12:13], v[2:3], v[20:21]
	v_mul_f64 v[20:21], v[4:5], v[20:21]
	v_add_f64 v[6:7], v[6:7], v[10:11]
	v_add_f64 v[8:9], v[8:9], v[32:33]
	s_delay_alu instid0(VALU_DEP_4) | instskip(NEXT) | instid1(VALU_DEP_4)
	v_fma_f64 v[4:5], v[4:5], v[18:19], v[12:13]
	v_fma_f64 v[2:3], v[2:3], v[18:19], -v[20:21]
	s_delay_alu instid0(VALU_DEP_4) | instskip(NEXT) | instid1(VALU_DEP_4)
	v_add_f64 v[6:7], v[6:7], v[14:15]
	v_add_f64 v[8:9], v[8:9], v[24:25]
	s_delay_alu instid0(VALU_DEP_2) | instskip(NEXT) | instid1(VALU_DEP_2)
	v_add_f64 v[2:3], v[6:7], v[2:3]
	v_add_f64 v[4:5], v[8:9], v[4:5]
	s_delay_alu instid0(VALU_DEP_2) | instskip(NEXT) | instid1(VALU_DEP_2)
	v_add_f64 v[2:3], v[139:140], -v[2:3]
	v_add_f64 v[4:5], v[141:142], -v[4:5]
	scratch_store_b128 off, v[2:5], off offset:240
	v_cmpx_lt_u32_e32 14, v108
	s_cbranch_execz .LBB30_171
; %bb.170:
	scratch_load_b128 v[5:8], v117, off
	v_mov_b32_e32 v2, v1
	v_mov_b32_e32 v3, v1
	v_mov_b32_e32 v4, v1
	scratch_store_b128 off, v[1:4], off offset:224
	s_waitcnt vmcnt(0)
	ds_store_b128 v42, v[5:8]
.LBB30_171:
	s_or_b32 exec_lo, exec_lo, s2
	s_waitcnt lgkmcnt(0)
	s_waitcnt_vscnt null, 0x0
	s_barrier
	buffer_gl0_inv
	s_clause 0x8
	scratch_load_b128 v[2:5], off, off offset:240
	scratch_load_b128 v[6:9], off, off offset:256
	;; [unrolled: 1-line block ×9, first 2 shown]
	ds_load_b128 v[38:41], v1 offset:736
	ds_load_b128 v[139:142], v1 offset:752
	s_clause 0x1
	scratch_load_b128 v[143:146], off, off offset:224
	scratch_load_b128 v[147:150], off, off offset:384
	s_mov_b32 s2, exec_lo
	ds_load_b128 v[151:154], v1 offset:784
	s_waitcnt vmcnt(10) lgkmcnt(2)
	v_mul_f64 v[43:44], v[40:41], v[4:5]
	v_mul_f64 v[4:5], v[38:39], v[4:5]
	s_waitcnt vmcnt(9) lgkmcnt(1)
	v_mul_f64 v[155:156], v[139:140], v[8:9]
	v_mul_f64 v[8:9], v[141:142], v[8:9]
	s_delay_alu instid0(VALU_DEP_4) | instskip(NEXT) | instid1(VALU_DEP_4)
	v_fma_f64 v[43:44], v[38:39], v[2:3], -v[43:44]
	v_fma_f64 v[157:158], v[40:41], v[2:3], v[4:5]
	ds_load_b128 v[2:5], v1 offset:768
	scratch_load_b128 v[38:41], off, off offset:400
	v_fma_f64 v[141:142], v[141:142], v[6:7], v[155:156]
	v_fma_f64 v[139:140], v[139:140], v[6:7], -v[8:9]
	scratch_load_b128 v[6:9], off, off offset:416
	s_waitcnt vmcnt(10) lgkmcnt(0)
	v_mul_f64 v[159:160], v[2:3], v[12:13]
	v_mul_f64 v[12:13], v[4:5], v[12:13]
	v_add_f64 v[43:44], v[43:44], 0
	v_add_f64 v[155:156], v[157:158], 0
	s_waitcnt vmcnt(9)
	v_mul_f64 v[157:158], v[151:152], v[16:17]
	v_mul_f64 v[16:17], v[153:154], v[16:17]
	v_fma_f64 v[159:160], v[4:5], v[10:11], v[159:160]
	v_fma_f64 v[161:162], v[2:3], v[10:11], -v[12:13]
	ds_load_b128 v[2:5], v1 offset:800
	scratch_load_b128 v[10:13], off, off offset:432
	v_add_f64 v[43:44], v[43:44], v[139:140]
	v_add_f64 v[155:156], v[155:156], v[141:142]
	ds_load_b128 v[139:142], v1 offset:816
	v_fma_f64 v[153:154], v[153:154], v[14:15], v[157:158]
	v_fma_f64 v[151:152], v[151:152], v[14:15], -v[16:17]
	scratch_load_b128 v[14:17], off, off offset:448
	s_waitcnt vmcnt(10) lgkmcnt(1)
	v_mul_f64 v[163:164], v[2:3], v[20:21]
	v_mul_f64 v[20:21], v[4:5], v[20:21]
	s_waitcnt vmcnt(9) lgkmcnt(0)
	v_mul_f64 v[157:158], v[139:140], v[24:25]
	v_mul_f64 v[24:25], v[141:142], v[24:25]
	v_add_f64 v[43:44], v[43:44], v[161:162]
	v_add_f64 v[155:156], v[155:156], v[159:160]
	v_fma_f64 v[159:160], v[4:5], v[18:19], v[163:164]
	v_fma_f64 v[161:162], v[2:3], v[18:19], -v[20:21]
	ds_load_b128 v[2:5], v1 offset:832
	scratch_load_b128 v[18:21], off, off offset:464
	v_fma_f64 v[141:142], v[141:142], v[22:23], v[157:158]
	v_fma_f64 v[139:140], v[139:140], v[22:23], -v[24:25]
	scratch_load_b128 v[22:25], off, off offset:480
	v_add_f64 v[43:44], v[43:44], v[151:152]
	v_add_f64 v[155:156], v[155:156], v[153:154]
	ds_load_b128 v[151:154], v1 offset:848
	s_waitcnt vmcnt(10) lgkmcnt(1)
	v_mul_f64 v[163:164], v[2:3], v[28:29]
	v_mul_f64 v[28:29], v[4:5], v[28:29]
	s_waitcnt vmcnt(9) lgkmcnt(0)
	v_mul_f64 v[157:158], v[151:152], v[32:33]
	v_mul_f64 v[32:33], v[153:154], v[32:33]
	v_add_f64 v[43:44], v[43:44], v[161:162]
	v_add_f64 v[155:156], v[155:156], v[159:160]
	v_fma_f64 v[159:160], v[4:5], v[26:27], v[163:164]
	v_fma_f64 v[161:162], v[2:3], v[26:27], -v[28:29]
	ds_load_b128 v[2:5], v1 offset:864
	ds_load_b128 v[26:29], v1 offset:880
	v_fma_f64 v[153:154], v[153:154], v[30:31], v[157:158]
	v_fma_f64 v[30:31], v[151:152], v[30:31], -v[32:33]
	v_add_f64 v[43:44], v[43:44], v[139:140]
	v_add_f64 v[139:140], v[155:156], v[141:142]
	s_waitcnt vmcnt(8) lgkmcnt(1)
	v_mul_f64 v[141:142], v[2:3], v[36:37]
	v_mul_f64 v[36:37], v[4:5], v[36:37]
	s_delay_alu instid0(VALU_DEP_4) | instskip(NEXT) | instid1(VALU_DEP_4)
	v_add_f64 v[32:33], v[43:44], v[161:162]
	v_add_f64 v[43:44], v[139:140], v[159:160]
	s_waitcnt vmcnt(6) lgkmcnt(0)
	v_mul_f64 v[139:140], v[26:27], v[149:150]
	v_mul_f64 v[149:150], v[28:29], v[149:150]
	v_fma_f64 v[141:142], v[4:5], v[34:35], v[141:142]
	v_fma_f64 v[34:35], v[2:3], v[34:35], -v[36:37]
	v_add_f64 v[36:37], v[32:33], v[30:31]
	v_add_f64 v[43:44], v[43:44], v[153:154]
	ds_load_b128 v[2:5], v1 offset:896
	ds_load_b128 v[30:33], v1 offset:912
	v_fma_f64 v[28:29], v[28:29], v[147:148], v[139:140]
	v_fma_f64 v[26:27], v[26:27], v[147:148], -v[149:150]
	s_waitcnt vmcnt(5) lgkmcnt(1)
	v_mul_f64 v[151:152], v[2:3], v[40:41]
	v_mul_f64 v[40:41], v[4:5], v[40:41]
	v_add_f64 v[34:35], v[36:37], v[34:35]
	v_add_f64 v[36:37], v[43:44], v[141:142]
	s_waitcnt vmcnt(4) lgkmcnt(0)
	v_mul_f64 v[43:44], v[30:31], v[8:9]
	v_mul_f64 v[8:9], v[32:33], v[8:9]
	v_fma_f64 v[139:140], v[4:5], v[38:39], v[151:152]
	v_fma_f64 v[38:39], v[2:3], v[38:39], -v[40:41]
	v_add_f64 v[34:35], v[34:35], v[26:27]
	v_add_f64 v[36:37], v[36:37], v[28:29]
	ds_load_b128 v[2:5], v1 offset:928
	ds_load_b128 v[26:29], v1 offset:944
	v_fma_f64 v[32:33], v[32:33], v[6:7], v[43:44]
	v_fma_f64 v[6:7], v[30:31], v[6:7], -v[8:9]
	s_waitcnt vmcnt(3) lgkmcnt(1)
	v_mul_f64 v[40:41], v[2:3], v[12:13]
	v_mul_f64 v[12:13], v[4:5], v[12:13]
	;; [unrolled: 16-line block ×3, first 2 shown]
	s_waitcnt vmcnt(0) lgkmcnt(0)
	v_mul_f64 v[16:17], v[6:7], v[24:25]
	v_mul_f64 v[24:25], v[8:9], v[24:25]
	v_add_f64 v[10:11], v[12:13], v[10:11]
	v_add_f64 v[12:13], v[30:31], v[36:37]
	v_fma_f64 v[4:5], v[4:5], v[18:19], v[32:33]
	v_fma_f64 v[1:2], v[2:3], v[18:19], -v[20:21]
	v_fma_f64 v[8:9], v[8:9], v[22:23], v[16:17]
	v_fma_f64 v[6:7], v[6:7], v[22:23], -v[24:25]
	v_add_f64 v[10:11], v[10:11], v[14:15]
	v_add_f64 v[12:13], v[12:13], v[28:29]
	s_delay_alu instid0(VALU_DEP_2) | instskip(NEXT) | instid1(VALU_DEP_2)
	v_add_f64 v[1:2], v[10:11], v[1:2]
	v_add_f64 v[3:4], v[12:13], v[4:5]
	s_delay_alu instid0(VALU_DEP_2) | instskip(NEXT) | instid1(VALU_DEP_2)
	;; [unrolled: 3-line block ×3, first 2 shown]
	v_add_f64 v[1:2], v[143:144], -v[1:2]
	v_add_f64 v[3:4], v[145:146], -v[3:4]
	scratch_store_b128 off, v[1:4], off offset:224
	v_cmpx_lt_u32_e32 13, v108
	s_cbranch_execz .LBB30_173
; %bb.172:
	scratch_load_b128 v[1:4], v119, off
	v_mov_b32_e32 v5, 0
	s_delay_alu instid0(VALU_DEP_1)
	v_mov_b32_e32 v6, v5
	v_mov_b32_e32 v7, v5
	;; [unrolled: 1-line block ×3, first 2 shown]
	scratch_store_b128 off, v[5:8], off offset:208
	s_waitcnt vmcnt(0)
	ds_store_b128 v42, v[1:4]
.LBB30_173:
	s_or_b32 exec_lo, exec_lo, s2
	s_waitcnt lgkmcnt(0)
	s_waitcnt_vscnt null, 0x0
	s_barrier
	buffer_gl0_inv
	s_clause 0x7
	scratch_load_b128 v[2:5], off, off offset:224
	scratch_load_b128 v[6:9], off, off offset:240
	;; [unrolled: 1-line block ×8, first 2 shown]
	v_mov_b32_e32 v1, 0
	s_mov_b32 s2, exec_lo
	ds_load_b128 v[34:37], v1 offset:720
	s_clause 0x1
	scratch_load_b128 v[38:41], off, off offset:352
	scratch_load_b128 v[139:142], off, off offset:208
	ds_load_b128 v[143:146], v1 offset:736
	scratch_load_b128 v[147:150], off, off offset:368
	ds_load_b128 v[151:154], v1 offset:768
	s_waitcnt vmcnt(10) lgkmcnt(2)
	v_mul_f64 v[43:44], v[36:37], v[4:5]
	v_mul_f64 v[4:5], v[34:35], v[4:5]
	s_delay_alu instid0(VALU_DEP_2) | instskip(NEXT) | instid1(VALU_DEP_2)
	v_fma_f64 v[43:44], v[34:35], v[2:3], -v[43:44]
	v_fma_f64 v[157:158], v[36:37], v[2:3], v[4:5]
	ds_load_b128 v[2:5], v1 offset:752
	s_waitcnt vmcnt(9) lgkmcnt(2)
	v_mul_f64 v[155:156], v[143:144], v[8:9]
	v_mul_f64 v[8:9], v[145:146], v[8:9]
	scratch_load_b128 v[34:37], off, off offset:384
	s_waitcnt vmcnt(9) lgkmcnt(0)
	v_mul_f64 v[159:160], v[2:3], v[12:13]
	v_mul_f64 v[12:13], v[4:5], v[12:13]
	v_add_f64 v[43:44], v[43:44], 0
	v_fma_f64 v[145:146], v[145:146], v[6:7], v[155:156]
	v_fma_f64 v[143:144], v[143:144], v[6:7], -v[8:9]
	v_add_f64 v[155:156], v[157:158], 0
	scratch_load_b128 v[6:9], off, off offset:400
	v_fma_f64 v[159:160], v[4:5], v[10:11], v[159:160]
	v_fma_f64 v[161:162], v[2:3], v[10:11], -v[12:13]
	scratch_load_b128 v[10:13], off, off offset:416
	ds_load_b128 v[2:5], v1 offset:784
	s_waitcnt vmcnt(10)
	v_mul_f64 v[157:158], v[151:152], v[16:17]
	v_mul_f64 v[16:17], v[153:154], v[16:17]
	v_add_f64 v[43:44], v[43:44], v[143:144]
	v_add_f64 v[155:156], v[155:156], v[145:146]
	ds_load_b128 v[143:146], v1 offset:800
	s_waitcnt vmcnt(9) lgkmcnt(1)
	v_mul_f64 v[163:164], v[2:3], v[20:21]
	v_mul_f64 v[20:21], v[4:5], v[20:21]
	v_fma_f64 v[153:154], v[153:154], v[14:15], v[157:158]
	v_fma_f64 v[151:152], v[151:152], v[14:15], -v[16:17]
	scratch_load_b128 v[14:17], off, off offset:432
	v_add_f64 v[43:44], v[43:44], v[161:162]
	v_add_f64 v[155:156], v[155:156], v[159:160]
	v_fma_f64 v[159:160], v[4:5], v[18:19], v[163:164]
	v_fma_f64 v[161:162], v[2:3], v[18:19], -v[20:21]
	scratch_load_b128 v[18:21], off, off offset:448
	ds_load_b128 v[2:5], v1 offset:816
	s_waitcnt vmcnt(10) lgkmcnt(1)
	v_mul_f64 v[157:158], v[143:144], v[24:25]
	v_mul_f64 v[24:25], v[145:146], v[24:25]
	s_waitcnt vmcnt(9) lgkmcnt(0)
	v_mul_f64 v[163:164], v[2:3], v[28:29]
	v_mul_f64 v[28:29], v[4:5], v[28:29]
	v_add_f64 v[43:44], v[43:44], v[151:152]
	v_add_f64 v[155:156], v[155:156], v[153:154]
	ds_load_b128 v[151:154], v1 offset:832
	v_fma_f64 v[145:146], v[145:146], v[22:23], v[157:158]
	v_fma_f64 v[143:144], v[143:144], v[22:23], -v[24:25]
	scratch_load_b128 v[22:25], off, off offset:464
	v_add_f64 v[43:44], v[43:44], v[161:162]
	v_add_f64 v[155:156], v[155:156], v[159:160]
	v_fma_f64 v[159:160], v[4:5], v[26:27], v[163:164]
	v_fma_f64 v[161:162], v[2:3], v[26:27], -v[28:29]
	scratch_load_b128 v[26:29], off, off offset:480
	ds_load_b128 v[2:5], v1 offset:848
	s_waitcnt vmcnt(10) lgkmcnt(1)
	v_mul_f64 v[157:158], v[151:152], v[32:33]
	v_mul_f64 v[32:33], v[153:154], v[32:33]
	s_waitcnt vmcnt(9) lgkmcnt(0)
	v_mul_f64 v[163:164], v[2:3], v[40:41]
	v_mul_f64 v[40:41], v[4:5], v[40:41]
	v_add_f64 v[43:44], v[43:44], v[143:144]
	v_add_f64 v[155:156], v[155:156], v[145:146]
	ds_load_b128 v[143:146], v1 offset:864
	v_fma_f64 v[153:154], v[153:154], v[30:31], v[157:158]
	v_fma_f64 v[30:31], v[151:152], v[30:31], -v[32:33]
	s_waitcnt vmcnt(7) lgkmcnt(0)
	v_mul_f64 v[151:152], v[143:144], v[149:150]
	v_mul_f64 v[149:150], v[145:146], v[149:150]
	v_add_f64 v[32:33], v[43:44], v[161:162]
	v_add_f64 v[43:44], v[155:156], v[159:160]
	v_fma_f64 v[155:156], v[4:5], v[38:39], v[163:164]
	v_fma_f64 v[38:39], v[2:3], v[38:39], -v[40:41]
	v_fma_f64 v[145:146], v[145:146], v[147:148], v[151:152]
	v_fma_f64 v[143:144], v[143:144], v[147:148], -v[149:150]
	v_add_f64 v[40:41], v[32:33], v[30:31]
	v_add_f64 v[43:44], v[43:44], v[153:154]
	ds_load_b128 v[2:5], v1 offset:880
	ds_load_b128 v[30:33], v1 offset:896
	s_waitcnt vmcnt(6) lgkmcnt(1)
	v_mul_f64 v[153:154], v[2:3], v[36:37]
	v_mul_f64 v[36:37], v[4:5], v[36:37]
	v_add_f64 v[38:39], v[40:41], v[38:39]
	v_add_f64 v[40:41], v[43:44], v[155:156]
	s_waitcnt vmcnt(5) lgkmcnt(0)
	v_mul_f64 v[43:44], v[30:31], v[8:9]
	v_mul_f64 v[8:9], v[32:33], v[8:9]
	v_fma_f64 v[147:148], v[4:5], v[34:35], v[153:154]
	v_fma_f64 v[149:150], v[2:3], v[34:35], -v[36:37]
	ds_load_b128 v[2:5], v1 offset:912
	ds_load_b128 v[34:37], v1 offset:928
	v_add_f64 v[38:39], v[38:39], v[143:144]
	v_add_f64 v[40:41], v[40:41], v[145:146]
	s_waitcnt vmcnt(4) lgkmcnt(1)
	v_mul_f64 v[143:144], v[2:3], v[12:13]
	v_mul_f64 v[12:13], v[4:5], v[12:13]
	v_fma_f64 v[32:33], v[32:33], v[6:7], v[43:44]
	v_fma_f64 v[6:7], v[30:31], v[6:7], -v[8:9]
	v_add_f64 v[8:9], v[38:39], v[149:150]
	v_add_f64 v[30:31], v[40:41], v[147:148]
	s_waitcnt vmcnt(3) lgkmcnt(0)
	v_mul_f64 v[38:39], v[34:35], v[16:17]
	v_mul_f64 v[16:17], v[36:37], v[16:17]
	v_fma_f64 v[40:41], v[4:5], v[10:11], v[143:144]
	v_fma_f64 v[10:11], v[2:3], v[10:11], -v[12:13]
	v_add_f64 v[12:13], v[8:9], v[6:7]
	v_add_f64 v[30:31], v[30:31], v[32:33]
	ds_load_b128 v[2:5], v1 offset:944
	ds_load_b128 v[6:9], v1 offset:960
	v_fma_f64 v[36:37], v[36:37], v[14:15], v[38:39]
	v_fma_f64 v[14:15], v[34:35], v[14:15], -v[16:17]
	s_waitcnt vmcnt(2) lgkmcnt(1)
	v_mul_f64 v[32:33], v[2:3], v[20:21]
	v_mul_f64 v[20:21], v[4:5], v[20:21]
	s_waitcnt vmcnt(1) lgkmcnt(0)
	v_mul_f64 v[16:17], v[6:7], v[24:25]
	v_mul_f64 v[24:25], v[8:9], v[24:25]
	v_add_f64 v[10:11], v[12:13], v[10:11]
	v_add_f64 v[12:13], v[30:31], v[40:41]
	v_fma_f64 v[30:31], v[4:5], v[18:19], v[32:33]
	v_fma_f64 v[18:19], v[2:3], v[18:19], -v[20:21]
	ds_load_b128 v[2:5], v1 offset:976
	v_fma_f64 v[8:9], v[8:9], v[22:23], v[16:17]
	v_fma_f64 v[6:7], v[6:7], v[22:23], -v[24:25]
	v_add_f64 v[10:11], v[10:11], v[14:15]
	v_add_f64 v[12:13], v[12:13], v[36:37]
	s_waitcnt vmcnt(0) lgkmcnt(0)
	v_mul_f64 v[14:15], v[2:3], v[28:29]
	v_mul_f64 v[20:21], v[4:5], v[28:29]
	s_delay_alu instid0(VALU_DEP_4) | instskip(NEXT) | instid1(VALU_DEP_4)
	v_add_f64 v[10:11], v[10:11], v[18:19]
	v_add_f64 v[12:13], v[12:13], v[30:31]
	s_delay_alu instid0(VALU_DEP_4) | instskip(NEXT) | instid1(VALU_DEP_4)
	v_fma_f64 v[4:5], v[4:5], v[26:27], v[14:15]
	v_fma_f64 v[2:3], v[2:3], v[26:27], -v[20:21]
	s_delay_alu instid0(VALU_DEP_4) | instskip(NEXT) | instid1(VALU_DEP_4)
	v_add_f64 v[6:7], v[10:11], v[6:7]
	v_add_f64 v[8:9], v[12:13], v[8:9]
	s_delay_alu instid0(VALU_DEP_2) | instskip(NEXT) | instid1(VALU_DEP_2)
	v_add_f64 v[2:3], v[6:7], v[2:3]
	v_add_f64 v[4:5], v[8:9], v[4:5]
	s_delay_alu instid0(VALU_DEP_2) | instskip(NEXT) | instid1(VALU_DEP_2)
	v_add_f64 v[2:3], v[139:140], -v[2:3]
	v_add_f64 v[4:5], v[141:142], -v[4:5]
	scratch_store_b128 off, v[2:5], off offset:208
	v_cmpx_lt_u32_e32 12, v108
	s_cbranch_execz .LBB30_175
; %bb.174:
	scratch_load_b128 v[5:8], v118, off
	v_mov_b32_e32 v2, v1
	v_mov_b32_e32 v3, v1
	;; [unrolled: 1-line block ×3, first 2 shown]
	scratch_store_b128 off, v[1:4], off offset:192
	s_waitcnt vmcnt(0)
	ds_store_b128 v42, v[5:8]
.LBB30_175:
	s_or_b32 exec_lo, exec_lo, s2
	s_waitcnt lgkmcnt(0)
	s_waitcnt_vscnt null, 0x0
	s_barrier
	buffer_gl0_inv
	s_clause 0x8
	scratch_load_b128 v[2:5], off, off offset:208
	scratch_load_b128 v[6:9], off, off offset:224
	;; [unrolled: 1-line block ×9, first 2 shown]
	ds_load_b128 v[38:41], v1 offset:704
	ds_load_b128 v[139:142], v1 offset:720
	s_clause 0x1
	scratch_load_b128 v[143:146], off, off offset:192
	scratch_load_b128 v[147:150], off, off offset:352
	s_mov_b32 s2, exec_lo
	ds_load_b128 v[151:154], v1 offset:752
	s_waitcnt vmcnt(10) lgkmcnt(2)
	v_mul_f64 v[43:44], v[40:41], v[4:5]
	v_mul_f64 v[4:5], v[38:39], v[4:5]
	s_waitcnt vmcnt(9) lgkmcnt(1)
	v_mul_f64 v[155:156], v[139:140], v[8:9]
	v_mul_f64 v[8:9], v[141:142], v[8:9]
	s_delay_alu instid0(VALU_DEP_4) | instskip(NEXT) | instid1(VALU_DEP_4)
	v_fma_f64 v[43:44], v[38:39], v[2:3], -v[43:44]
	v_fma_f64 v[157:158], v[40:41], v[2:3], v[4:5]
	ds_load_b128 v[2:5], v1 offset:736
	scratch_load_b128 v[38:41], off, off offset:368
	v_fma_f64 v[141:142], v[141:142], v[6:7], v[155:156]
	v_fma_f64 v[139:140], v[139:140], v[6:7], -v[8:9]
	scratch_load_b128 v[6:9], off, off offset:384
	s_waitcnt vmcnt(10) lgkmcnt(0)
	v_mul_f64 v[159:160], v[2:3], v[12:13]
	v_mul_f64 v[12:13], v[4:5], v[12:13]
	v_add_f64 v[43:44], v[43:44], 0
	v_add_f64 v[155:156], v[157:158], 0
	s_waitcnt vmcnt(9)
	v_mul_f64 v[157:158], v[151:152], v[16:17]
	v_mul_f64 v[16:17], v[153:154], v[16:17]
	v_fma_f64 v[159:160], v[4:5], v[10:11], v[159:160]
	v_fma_f64 v[161:162], v[2:3], v[10:11], -v[12:13]
	ds_load_b128 v[2:5], v1 offset:768
	scratch_load_b128 v[10:13], off, off offset:400
	v_add_f64 v[43:44], v[43:44], v[139:140]
	v_add_f64 v[155:156], v[155:156], v[141:142]
	ds_load_b128 v[139:142], v1 offset:784
	v_fma_f64 v[153:154], v[153:154], v[14:15], v[157:158]
	v_fma_f64 v[151:152], v[151:152], v[14:15], -v[16:17]
	scratch_load_b128 v[14:17], off, off offset:416
	s_waitcnt vmcnt(10) lgkmcnt(1)
	v_mul_f64 v[163:164], v[2:3], v[20:21]
	v_mul_f64 v[20:21], v[4:5], v[20:21]
	s_waitcnt vmcnt(9) lgkmcnt(0)
	v_mul_f64 v[157:158], v[139:140], v[24:25]
	v_mul_f64 v[24:25], v[141:142], v[24:25]
	v_add_f64 v[43:44], v[43:44], v[161:162]
	v_add_f64 v[155:156], v[155:156], v[159:160]
	v_fma_f64 v[159:160], v[4:5], v[18:19], v[163:164]
	v_fma_f64 v[161:162], v[2:3], v[18:19], -v[20:21]
	ds_load_b128 v[2:5], v1 offset:800
	scratch_load_b128 v[18:21], off, off offset:432
	v_fma_f64 v[141:142], v[141:142], v[22:23], v[157:158]
	v_fma_f64 v[139:140], v[139:140], v[22:23], -v[24:25]
	scratch_load_b128 v[22:25], off, off offset:448
	v_add_f64 v[43:44], v[43:44], v[151:152]
	v_add_f64 v[155:156], v[155:156], v[153:154]
	ds_load_b128 v[151:154], v1 offset:816
	s_waitcnt vmcnt(10) lgkmcnt(1)
	v_mul_f64 v[163:164], v[2:3], v[28:29]
	v_mul_f64 v[28:29], v[4:5], v[28:29]
	s_waitcnt vmcnt(9) lgkmcnt(0)
	v_mul_f64 v[157:158], v[151:152], v[32:33]
	v_mul_f64 v[32:33], v[153:154], v[32:33]
	v_add_f64 v[43:44], v[43:44], v[161:162]
	v_add_f64 v[155:156], v[155:156], v[159:160]
	v_fma_f64 v[159:160], v[4:5], v[26:27], v[163:164]
	v_fma_f64 v[161:162], v[2:3], v[26:27], -v[28:29]
	ds_load_b128 v[2:5], v1 offset:832
	scratch_load_b128 v[26:29], off, off offset:464
	v_fma_f64 v[153:154], v[153:154], v[30:31], v[157:158]
	v_fma_f64 v[151:152], v[151:152], v[30:31], -v[32:33]
	scratch_load_b128 v[30:33], off, off offset:480
	v_add_f64 v[43:44], v[43:44], v[139:140]
	v_add_f64 v[155:156], v[155:156], v[141:142]
	ds_load_b128 v[139:142], v1 offset:848
	s_waitcnt vmcnt(10) lgkmcnt(1)
	v_mul_f64 v[163:164], v[2:3], v[36:37]
	v_mul_f64 v[36:37], v[4:5], v[36:37]
	s_waitcnt vmcnt(8) lgkmcnt(0)
	v_mul_f64 v[157:158], v[139:140], v[149:150]
	v_mul_f64 v[149:150], v[141:142], v[149:150]
	v_add_f64 v[43:44], v[43:44], v[161:162]
	v_add_f64 v[155:156], v[155:156], v[159:160]
	v_fma_f64 v[159:160], v[4:5], v[34:35], v[163:164]
	v_fma_f64 v[161:162], v[2:3], v[34:35], -v[36:37]
	ds_load_b128 v[2:5], v1 offset:864
	ds_load_b128 v[34:37], v1 offset:880
	v_fma_f64 v[141:142], v[141:142], v[147:148], v[157:158]
	v_fma_f64 v[139:140], v[139:140], v[147:148], -v[149:150]
	v_add_f64 v[43:44], v[43:44], v[151:152]
	v_add_f64 v[151:152], v[155:156], v[153:154]
	s_waitcnt vmcnt(7) lgkmcnt(1)
	v_mul_f64 v[153:154], v[2:3], v[40:41]
	v_mul_f64 v[40:41], v[4:5], v[40:41]
	s_waitcnt vmcnt(6) lgkmcnt(0)
	v_mul_f64 v[149:150], v[34:35], v[8:9]
	v_mul_f64 v[8:9], v[36:37], v[8:9]
	v_add_f64 v[43:44], v[43:44], v[161:162]
	v_add_f64 v[147:148], v[151:152], v[159:160]
	v_fma_f64 v[151:152], v[4:5], v[38:39], v[153:154]
	v_fma_f64 v[153:154], v[2:3], v[38:39], -v[40:41]
	ds_load_b128 v[2:5], v1 offset:896
	ds_load_b128 v[38:41], v1 offset:912
	v_fma_f64 v[36:37], v[36:37], v[6:7], v[149:150]
	v_fma_f64 v[6:7], v[34:35], v[6:7], -v[8:9]
	v_add_f64 v[43:44], v[43:44], v[139:140]
	v_add_f64 v[139:140], v[147:148], v[141:142]
	s_waitcnt vmcnt(5) lgkmcnt(1)
	v_mul_f64 v[141:142], v[2:3], v[12:13]
	v_mul_f64 v[12:13], v[4:5], v[12:13]
	s_delay_alu instid0(VALU_DEP_4) | instskip(NEXT) | instid1(VALU_DEP_4)
	v_add_f64 v[8:9], v[43:44], v[153:154]
	v_add_f64 v[34:35], v[139:140], v[151:152]
	s_waitcnt vmcnt(4) lgkmcnt(0)
	v_mul_f64 v[43:44], v[38:39], v[16:17]
	v_mul_f64 v[16:17], v[40:41], v[16:17]
	v_fma_f64 v[139:140], v[4:5], v[10:11], v[141:142]
	v_fma_f64 v[10:11], v[2:3], v[10:11], -v[12:13]
	v_add_f64 v[12:13], v[8:9], v[6:7]
	v_add_f64 v[34:35], v[34:35], v[36:37]
	ds_load_b128 v[2:5], v1 offset:928
	ds_load_b128 v[6:9], v1 offset:944
	v_fma_f64 v[40:41], v[40:41], v[14:15], v[43:44]
	v_fma_f64 v[14:15], v[38:39], v[14:15], -v[16:17]
	s_waitcnt vmcnt(3) lgkmcnt(1)
	v_mul_f64 v[36:37], v[2:3], v[20:21]
	v_mul_f64 v[20:21], v[4:5], v[20:21]
	s_waitcnt vmcnt(2) lgkmcnt(0)
	v_mul_f64 v[16:17], v[6:7], v[24:25]
	v_mul_f64 v[24:25], v[8:9], v[24:25]
	v_add_f64 v[10:11], v[12:13], v[10:11]
	v_add_f64 v[12:13], v[34:35], v[139:140]
	v_fma_f64 v[34:35], v[4:5], v[18:19], v[36:37]
	v_fma_f64 v[18:19], v[2:3], v[18:19], -v[20:21]
	v_fma_f64 v[8:9], v[8:9], v[22:23], v[16:17]
	v_fma_f64 v[6:7], v[6:7], v[22:23], -v[24:25]
	v_add_f64 v[14:15], v[10:11], v[14:15]
	v_add_f64 v[20:21], v[12:13], v[40:41]
	ds_load_b128 v[2:5], v1 offset:960
	ds_load_b128 v[10:13], v1 offset:976
	s_waitcnt vmcnt(1) lgkmcnt(1)
	v_mul_f64 v[36:37], v[2:3], v[28:29]
	v_mul_f64 v[28:29], v[4:5], v[28:29]
	v_add_f64 v[14:15], v[14:15], v[18:19]
	v_add_f64 v[16:17], v[20:21], v[34:35]
	s_waitcnt vmcnt(0) lgkmcnt(0)
	v_mul_f64 v[18:19], v[10:11], v[32:33]
	v_mul_f64 v[20:21], v[12:13], v[32:33]
	v_fma_f64 v[4:5], v[4:5], v[26:27], v[36:37]
	v_fma_f64 v[1:2], v[2:3], v[26:27], -v[28:29]
	v_add_f64 v[6:7], v[14:15], v[6:7]
	v_add_f64 v[8:9], v[16:17], v[8:9]
	v_fma_f64 v[12:13], v[12:13], v[30:31], v[18:19]
	v_fma_f64 v[10:11], v[10:11], v[30:31], -v[20:21]
	s_delay_alu instid0(VALU_DEP_4) | instskip(NEXT) | instid1(VALU_DEP_4)
	v_add_f64 v[1:2], v[6:7], v[1:2]
	v_add_f64 v[3:4], v[8:9], v[4:5]
	s_delay_alu instid0(VALU_DEP_2) | instskip(NEXT) | instid1(VALU_DEP_2)
	v_add_f64 v[1:2], v[1:2], v[10:11]
	v_add_f64 v[3:4], v[3:4], v[12:13]
	s_delay_alu instid0(VALU_DEP_2) | instskip(NEXT) | instid1(VALU_DEP_2)
	v_add_f64 v[1:2], v[143:144], -v[1:2]
	v_add_f64 v[3:4], v[145:146], -v[3:4]
	scratch_store_b128 off, v[1:4], off offset:192
	v_cmpx_lt_u32_e32 11, v108
	s_cbranch_execz .LBB30_177
; %bb.176:
	scratch_load_b128 v[1:4], v120, off
	v_mov_b32_e32 v5, 0
	s_delay_alu instid0(VALU_DEP_1)
	v_mov_b32_e32 v6, v5
	v_mov_b32_e32 v7, v5
	;; [unrolled: 1-line block ×3, first 2 shown]
	scratch_store_b128 off, v[5:8], off offset:176
	s_waitcnt vmcnt(0)
	ds_store_b128 v42, v[1:4]
.LBB30_177:
	s_or_b32 exec_lo, exec_lo, s2
	s_waitcnt lgkmcnt(0)
	s_waitcnt_vscnt null, 0x0
	s_barrier
	buffer_gl0_inv
	s_clause 0x7
	scratch_load_b128 v[2:5], off, off offset:192
	scratch_load_b128 v[6:9], off, off offset:208
	;; [unrolled: 1-line block ×8, first 2 shown]
	v_mov_b32_e32 v1, 0
	s_mov_b32 s2, exec_lo
	ds_load_b128 v[34:37], v1 offset:688
	s_clause 0x1
	scratch_load_b128 v[38:41], off, off offset:320
	scratch_load_b128 v[139:142], off, off offset:176
	ds_load_b128 v[143:146], v1 offset:704
	scratch_load_b128 v[147:150], off, off offset:336
	ds_load_b128 v[151:154], v1 offset:736
	s_waitcnt vmcnt(10) lgkmcnt(2)
	v_mul_f64 v[43:44], v[36:37], v[4:5]
	v_mul_f64 v[4:5], v[34:35], v[4:5]
	s_delay_alu instid0(VALU_DEP_2) | instskip(NEXT) | instid1(VALU_DEP_2)
	v_fma_f64 v[43:44], v[34:35], v[2:3], -v[43:44]
	v_fma_f64 v[157:158], v[36:37], v[2:3], v[4:5]
	ds_load_b128 v[2:5], v1 offset:720
	s_waitcnt vmcnt(9) lgkmcnt(2)
	v_mul_f64 v[155:156], v[143:144], v[8:9]
	v_mul_f64 v[8:9], v[145:146], v[8:9]
	scratch_load_b128 v[34:37], off, off offset:352
	s_waitcnt vmcnt(9) lgkmcnt(0)
	v_mul_f64 v[159:160], v[2:3], v[12:13]
	v_mul_f64 v[12:13], v[4:5], v[12:13]
	v_add_f64 v[43:44], v[43:44], 0
	v_fma_f64 v[145:146], v[145:146], v[6:7], v[155:156]
	v_fma_f64 v[143:144], v[143:144], v[6:7], -v[8:9]
	v_add_f64 v[155:156], v[157:158], 0
	scratch_load_b128 v[6:9], off, off offset:368
	v_fma_f64 v[159:160], v[4:5], v[10:11], v[159:160]
	v_fma_f64 v[161:162], v[2:3], v[10:11], -v[12:13]
	scratch_load_b128 v[10:13], off, off offset:384
	ds_load_b128 v[2:5], v1 offset:752
	s_waitcnt vmcnt(10)
	v_mul_f64 v[157:158], v[151:152], v[16:17]
	v_mul_f64 v[16:17], v[153:154], v[16:17]
	v_add_f64 v[43:44], v[43:44], v[143:144]
	v_add_f64 v[155:156], v[155:156], v[145:146]
	ds_load_b128 v[143:146], v1 offset:768
	s_waitcnt vmcnt(9) lgkmcnt(1)
	v_mul_f64 v[163:164], v[2:3], v[20:21]
	v_mul_f64 v[20:21], v[4:5], v[20:21]
	v_fma_f64 v[153:154], v[153:154], v[14:15], v[157:158]
	v_fma_f64 v[151:152], v[151:152], v[14:15], -v[16:17]
	scratch_load_b128 v[14:17], off, off offset:400
	v_add_f64 v[43:44], v[43:44], v[161:162]
	v_add_f64 v[155:156], v[155:156], v[159:160]
	v_fma_f64 v[159:160], v[4:5], v[18:19], v[163:164]
	v_fma_f64 v[161:162], v[2:3], v[18:19], -v[20:21]
	scratch_load_b128 v[18:21], off, off offset:416
	ds_load_b128 v[2:5], v1 offset:784
	s_waitcnt vmcnt(10) lgkmcnt(1)
	v_mul_f64 v[157:158], v[143:144], v[24:25]
	v_mul_f64 v[24:25], v[145:146], v[24:25]
	s_waitcnt vmcnt(9) lgkmcnt(0)
	v_mul_f64 v[163:164], v[2:3], v[28:29]
	v_mul_f64 v[28:29], v[4:5], v[28:29]
	v_add_f64 v[43:44], v[43:44], v[151:152]
	v_add_f64 v[155:156], v[155:156], v[153:154]
	ds_load_b128 v[151:154], v1 offset:800
	v_fma_f64 v[145:146], v[145:146], v[22:23], v[157:158]
	v_fma_f64 v[143:144], v[143:144], v[22:23], -v[24:25]
	scratch_load_b128 v[22:25], off, off offset:432
	v_add_f64 v[43:44], v[43:44], v[161:162]
	v_add_f64 v[155:156], v[155:156], v[159:160]
	v_fma_f64 v[159:160], v[4:5], v[26:27], v[163:164]
	v_fma_f64 v[161:162], v[2:3], v[26:27], -v[28:29]
	scratch_load_b128 v[26:29], off, off offset:448
	ds_load_b128 v[2:5], v1 offset:816
	s_waitcnt vmcnt(10) lgkmcnt(1)
	v_mul_f64 v[157:158], v[151:152], v[32:33]
	v_mul_f64 v[32:33], v[153:154], v[32:33]
	s_waitcnt vmcnt(9) lgkmcnt(0)
	v_mul_f64 v[163:164], v[2:3], v[40:41]
	v_mul_f64 v[40:41], v[4:5], v[40:41]
	v_add_f64 v[43:44], v[43:44], v[143:144]
	v_add_f64 v[155:156], v[155:156], v[145:146]
	ds_load_b128 v[143:146], v1 offset:832
	v_fma_f64 v[153:154], v[153:154], v[30:31], v[157:158]
	v_fma_f64 v[151:152], v[151:152], v[30:31], -v[32:33]
	scratch_load_b128 v[30:33], off, off offset:464
	v_add_f64 v[43:44], v[43:44], v[161:162]
	v_add_f64 v[155:156], v[155:156], v[159:160]
	v_fma_f64 v[161:162], v[4:5], v[38:39], v[163:164]
	v_fma_f64 v[163:164], v[2:3], v[38:39], -v[40:41]
	scratch_load_b128 v[38:41], off, off offset:480
	ds_load_b128 v[2:5], v1 offset:848
	s_waitcnt vmcnt(9) lgkmcnt(1)
	v_mul_f64 v[157:158], v[143:144], v[149:150]
	v_mul_f64 v[159:160], v[145:146], v[149:150]
	v_add_f64 v[43:44], v[43:44], v[151:152]
	v_add_f64 v[153:154], v[155:156], v[153:154]
	ds_load_b128 v[149:152], v1 offset:864
	v_fma_f64 v[145:146], v[145:146], v[147:148], v[157:158]
	v_fma_f64 v[143:144], v[143:144], v[147:148], -v[159:160]
	s_waitcnt vmcnt(8) lgkmcnt(1)
	v_mul_f64 v[155:156], v[2:3], v[36:37]
	v_mul_f64 v[36:37], v[4:5], v[36:37]
	v_add_f64 v[43:44], v[43:44], v[163:164]
	v_add_f64 v[147:148], v[153:154], v[161:162]
	s_delay_alu instid0(VALU_DEP_4)
	v_fma_f64 v[155:156], v[4:5], v[34:35], v[155:156]
	s_waitcnt vmcnt(7) lgkmcnt(0)
	v_mul_f64 v[153:154], v[149:150], v[8:9]
	v_mul_f64 v[8:9], v[151:152], v[8:9]
	v_fma_f64 v[157:158], v[2:3], v[34:35], -v[36:37]
	ds_load_b128 v[2:5], v1 offset:880
	ds_load_b128 v[34:37], v1 offset:896
	v_add_f64 v[43:44], v[43:44], v[143:144]
	v_add_f64 v[143:144], v[147:148], v[145:146]
	s_waitcnt vmcnt(6) lgkmcnt(1)
	v_mul_f64 v[145:146], v[2:3], v[12:13]
	v_mul_f64 v[12:13], v[4:5], v[12:13]
	v_fma_f64 v[147:148], v[151:152], v[6:7], v[153:154]
	v_fma_f64 v[6:7], v[149:150], v[6:7], -v[8:9]
	v_add_f64 v[8:9], v[43:44], v[157:158]
	v_add_f64 v[43:44], v[143:144], v[155:156]
	s_waitcnt vmcnt(5) lgkmcnt(0)
	v_mul_f64 v[143:144], v[34:35], v[16:17]
	v_mul_f64 v[16:17], v[36:37], v[16:17]
	v_fma_f64 v[145:146], v[4:5], v[10:11], v[145:146]
	v_fma_f64 v[10:11], v[2:3], v[10:11], -v[12:13]
	v_add_f64 v[12:13], v[8:9], v[6:7]
	v_add_f64 v[43:44], v[43:44], v[147:148]
	ds_load_b128 v[2:5], v1 offset:912
	ds_load_b128 v[6:9], v1 offset:928
	v_fma_f64 v[36:37], v[36:37], v[14:15], v[143:144]
	v_fma_f64 v[14:15], v[34:35], v[14:15], -v[16:17]
	s_waitcnt vmcnt(4) lgkmcnt(1)
	v_mul_f64 v[147:148], v[2:3], v[20:21]
	v_mul_f64 v[20:21], v[4:5], v[20:21]
	s_waitcnt vmcnt(3) lgkmcnt(0)
	v_mul_f64 v[16:17], v[6:7], v[24:25]
	v_mul_f64 v[24:25], v[8:9], v[24:25]
	v_add_f64 v[10:11], v[12:13], v[10:11]
	v_add_f64 v[12:13], v[43:44], v[145:146]
	v_fma_f64 v[34:35], v[4:5], v[18:19], v[147:148]
	v_fma_f64 v[18:19], v[2:3], v[18:19], -v[20:21]
	v_fma_f64 v[8:9], v[8:9], v[22:23], v[16:17]
	v_fma_f64 v[6:7], v[6:7], v[22:23], -v[24:25]
	v_add_f64 v[14:15], v[10:11], v[14:15]
	v_add_f64 v[20:21], v[12:13], v[36:37]
	ds_load_b128 v[2:5], v1 offset:944
	ds_load_b128 v[10:13], v1 offset:960
	s_waitcnt vmcnt(2) lgkmcnt(1)
	v_mul_f64 v[36:37], v[2:3], v[28:29]
	v_mul_f64 v[28:29], v[4:5], v[28:29]
	v_add_f64 v[14:15], v[14:15], v[18:19]
	v_add_f64 v[16:17], v[20:21], v[34:35]
	s_waitcnt vmcnt(1) lgkmcnt(0)
	v_mul_f64 v[18:19], v[10:11], v[32:33]
	v_mul_f64 v[20:21], v[12:13], v[32:33]
	v_fma_f64 v[22:23], v[4:5], v[26:27], v[36:37]
	v_fma_f64 v[24:25], v[2:3], v[26:27], -v[28:29]
	ds_load_b128 v[2:5], v1 offset:976
	v_add_f64 v[6:7], v[14:15], v[6:7]
	v_add_f64 v[8:9], v[16:17], v[8:9]
	v_fma_f64 v[12:13], v[12:13], v[30:31], v[18:19]
	v_fma_f64 v[10:11], v[10:11], v[30:31], -v[20:21]
	s_waitcnt vmcnt(0) lgkmcnt(0)
	v_mul_f64 v[14:15], v[2:3], v[40:41]
	v_mul_f64 v[16:17], v[4:5], v[40:41]
	v_add_f64 v[6:7], v[6:7], v[24:25]
	v_add_f64 v[8:9], v[8:9], v[22:23]
	s_delay_alu instid0(VALU_DEP_4) | instskip(NEXT) | instid1(VALU_DEP_4)
	v_fma_f64 v[4:5], v[4:5], v[38:39], v[14:15]
	v_fma_f64 v[2:3], v[2:3], v[38:39], -v[16:17]
	s_delay_alu instid0(VALU_DEP_4) | instskip(NEXT) | instid1(VALU_DEP_4)
	v_add_f64 v[6:7], v[6:7], v[10:11]
	v_add_f64 v[8:9], v[8:9], v[12:13]
	s_delay_alu instid0(VALU_DEP_2) | instskip(NEXT) | instid1(VALU_DEP_2)
	v_add_f64 v[2:3], v[6:7], v[2:3]
	v_add_f64 v[4:5], v[8:9], v[4:5]
	s_delay_alu instid0(VALU_DEP_2) | instskip(NEXT) | instid1(VALU_DEP_2)
	v_add_f64 v[2:3], v[139:140], -v[2:3]
	v_add_f64 v[4:5], v[141:142], -v[4:5]
	scratch_store_b128 off, v[2:5], off offset:176
	v_cmpx_lt_u32_e32 10, v108
	s_cbranch_execz .LBB30_179
; %bb.178:
	scratch_load_b128 v[5:8], v122, off
	v_mov_b32_e32 v2, v1
	v_mov_b32_e32 v3, v1
	;; [unrolled: 1-line block ×3, first 2 shown]
	scratch_store_b128 off, v[1:4], off offset:160
	s_waitcnt vmcnt(0)
	ds_store_b128 v42, v[5:8]
.LBB30_179:
	s_or_b32 exec_lo, exec_lo, s2
	s_waitcnt lgkmcnt(0)
	s_waitcnt_vscnt null, 0x0
	s_barrier
	buffer_gl0_inv
	s_clause 0x8
	scratch_load_b128 v[2:5], off, off offset:176
	scratch_load_b128 v[6:9], off, off offset:192
	scratch_load_b128 v[10:13], off, off offset:208
	scratch_load_b128 v[14:17], off, off offset:224
	scratch_load_b128 v[18:21], off, off offset:240
	scratch_load_b128 v[22:25], off, off offset:256
	scratch_load_b128 v[26:29], off, off offset:272
	scratch_load_b128 v[30:33], off, off offset:288
	scratch_load_b128 v[34:37], off, off offset:304
	ds_load_b128 v[38:41], v1 offset:672
	ds_load_b128 v[139:142], v1 offset:688
	s_clause 0x1
	scratch_load_b128 v[143:146], off, off offset:160
	scratch_load_b128 v[147:150], off, off offset:320
	s_mov_b32 s2, exec_lo
	ds_load_b128 v[151:154], v1 offset:720
	s_waitcnt vmcnt(10) lgkmcnt(2)
	v_mul_f64 v[43:44], v[40:41], v[4:5]
	v_mul_f64 v[4:5], v[38:39], v[4:5]
	s_waitcnt vmcnt(9) lgkmcnt(1)
	v_mul_f64 v[155:156], v[139:140], v[8:9]
	v_mul_f64 v[8:9], v[141:142], v[8:9]
	s_delay_alu instid0(VALU_DEP_4) | instskip(NEXT) | instid1(VALU_DEP_4)
	v_fma_f64 v[43:44], v[38:39], v[2:3], -v[43:44]
	v_fma_f64 v[157:158], v[40:41], v[2:3], v[4:5]
	ds_load_b128 v[2:5], v1 offset:704
	scratch_load_b128 v[38:41], off, off offset:336
	v_fma_f64 v[141:142], v[141:142], v[6:7], v[155:156]
	v_fma_f64 v[139:140], v[139:140], v[6:7], -v[8:9]
	scratch_load_b128 v[6:9], off, off offset:352
	s_waitcnt vmcnt(10) lgkmcnt(0)
	v_mul_f64 v[159:160], v[2:3], v[12:13]
	v_mul_f64 v[12:13], v[4:5], v[12:13]
	v_add_f64 v[43:44], v[43:44], 0
	v_add_f64 v[155:156], v[157:158], 0
	s_waitcnt vmcnt(9)
	v_mul_f64 v[157:158], v[151:152], v[16:17]
	v_mul_f64 v[16:17], v[153:154], v[16:17]
	v_fma_f64 v[159:160], v[4:5], v[10:11], v[159:160]
	v_fma_f64 v[161:162], v[2:3], v[10:11], -v[12:13]
	ds_load_b128 v[2:5], v1 offset:736
	scratch_load_b128 v[10:13], off, off offset:368
	v_add_f64 v[43:44], v[43:44], v[139:140]
	v_add_f64 v[155:156], v[155:156], v[141:142]
	ds_load_b128 v[139:142], v1 offset:752
	v_fma_f64 v[153:154], v[153:154], v[14:15], v[157:158]
	v_fma_f64 v[151:152], v[151:152], v[14:15], -v[16:17]
	scratch_load_b128 v[14:17], off, off offset:384
	s_waitcnt vmcnt(10) lgkmcnt(1)
	v_mul_f64 v[163:164], v[2:3], v[20:21]
	v_mul_f64 v[20:21], v[4:5], v[20:21]
	s_waitcnt vmcnt(9) lgkmcnt(0)
	v_mul_f64 v[157:158], v[139:140], v[24:25]
	v_mul_f64 v[24:25], v[141:142], v[24:25]
	v_add_f64 v[43:44], v[43:44], v[161:162]
	v_add_f64 v[155:156], v[155:156], v[159:160]
	v_fma_f64 v[159:160], v[4:5], v[18:19], v[163:164]
	v_fma_f64 v[161:162], v[2:3], v[18:19], -v[20:21]
	ds_load_b128 v[2:5], v1 offset:768
	scratch_load_b128 v[18:21], off, off offset:400
	v_fma_f64 v[141:142], v[141:142], v[22:23], v[157:158]
	v_fma_f64 v[139:140], v[139:140], v[22:23], -v[24:25]
	scratch_load_b128 v[22:25], off, off offset:416
	v_add_f64 v[43:44], v[43:44], v[151:152]
	v_add_f64 v[155:156], v[155:156], v[153:154]
	ds_load_b128 v[151:154], v1 offset:784
	s_waitcnt vmcnt(10) lgkmcnt(1)
	v_mul_f64 v[163:164], v[2:3], v[28:29]
	v_mul_f64 v[28:29], v[4:5], v[28:29]
	s_waitcnt vmcnt(9) lgkmcnt(0)
	v_mul_f64 v[157:158], v[151:152], v[32:33]
	v_mul_f64 v[32:33], v[153:154], v[32:33]
	v_add_f64 v[43:44], v[43:44], v[161:162]
	v_add_f64 v[155:156], v[155:156], v[159:160]
	v_fma_f64 v[159:160], v[4:5], v[26:27], v[163:164]
	v_fma_f64 v[161:162], v[2:3], v[26:27], -v[28:29]
	ds_load_b128 v[2:5], v1 offset:800
	scratch_load_b128 v[26:29], off, off offset:432
	v_fma_f64 v[153:154], v[153:154], v[30:31], v[157:158]
	v_fma_f64 v[151:152], v[151:152], v[30:31], -v[32:33]
	scratch_load_b128 v[30:33], off, off offset:448
	v_add_f64 v[43:44], v[43:44], v[139:140]
	v_add_f64 v[155:156], v[155:156], v[141:142]
	ds_load_b128 v[139:142], v1 offset:816
	s_waitcnt vmcnt(10) lgkmcnt(1)
	v_mul_f64 v[163:164], v[2:3], v[36:37]
	v_mul_f64 v[36:37], v[4:5], v[36:37]
	s_waitcnt vmcnt(8) lgkmcnt(0)
	v_mul_f64 v[157:158], v[139:140], v[149:150]
	v_add_f64 v[43:44], v[43:44], v[161:162]
	v_add_f64 v[155:156], v[155:156], v[159:160]
	v_mul_f64 v[159:160], v[141:142], v[149:150]
	v_fma_f64 v[161:162], v[4:5], v[34:35], v[163:164]
	v_fma_f64 v[163:164], v[2:3], v[34:35], -v[36:37]
	ds_load_b128 v[2:5], v1 offset:832
	scratch_load_b128 v[34:37], off, off offset:464
	v_fma_f64 v[157:158], v[141:142], v[147:148], v[157:158]
	v_add_f64 v[43:44], v[43:44], v[151:152]
	v_add_f64 v[153:154], v[155:156], v[153:154]
	ds_load_b128 v[149:152], v1 offset:848
	v_fma_f64 v[147:148], v[139:140], v[147:148], -v[159:160]
	scratch_load_b128 v[139:142], off, off offset:480
	s_waitcnt vmcnt(9) lgkmcnt(1)
	v_mul_f64 v[155:156], v[2:3], v[40:41]
	v_mul_f64 v[40:41], v[4:5], v[40:41]
	s_waitcnt vmcnt(8) lgkmcnt(0)
	v_mul_f64 v[159:160], v[149:150], v[8:9]
	v_mul_f64 v[8:9], v[151:152], v[8:9]
	v_add_f64 v[43:44], v[43:44], v[163:164]
	v_add_f64 v[153:154], v[153:154], v[161:162]
	v_fma_f64 v[155:156], v[4:5], v[38:39], v[155:156]
	v_fma_f64 v[161:162], v[2:3], v[38:39], -v[40:41]
	ds_load_b128 v[2:5], v1 offset:864
	ds_load_b128 v[38:41], v1 offset:880
	v_fma_f64 v[151:152], v[151:152], v[6:7], v[159:160]
	v_fma_f64 v[6:7], v[149:150], v[6:7], -v[8:9]
	v_add_f64 v[43:44], v[43:44], v[147:148]
	v_add_f64 v[147:148], v[153:154], v[157:158]
	s_waitcnt vmcnt(7) lgkmcnt(1)
	v_mul_f64 v[153:154], v[2:3], v[12:13]
	v_mul_f64 v[12:13], v[4:5], v[12:13]
	s_delay_alu instid0(VALU_DEP_4) | instskip(NEXT) | instid1(VALU_DEP_4)
	v_add_f64 v[8:9], v[43:44], v[161:162]
	v_add_f64 v[43:44], v[147:148], v[155:156]
	s_waitcnt vmcnt(6) lgkmcnt(0)
	v_mul_f64 v[147:148], v[38:39], v[16:17]
	v_mul_f64 v[16:17], v[40:41], v[16:17]
	v_fma_f64 v[149:150], v[4:5], v[10:11], v[153:154]
	v_fma_f64 v[10:11], v[2:3], v[10:11], -v[12:13]
	v_add_f64 v[12:13], v[8:9], v[6:7]
	v_add_f64 v[43:44], v[43:44], v[151:152]
	ds_load_b128 v[2:5], v1 offset:896
	ds_load_b128 v[6:9], v1 offset:912
	v_fma_f64 v[40:41], v[40:41], v[14:15], v[147:148]
	v_fma_f64 v[14:15], v[38:39], v[14:15], -v[16:17]
	s_waitcnt vmcnt(5) lgkmcnt(1)
	v_mul_f64 v[151:152], v[2:3], v[20:21]
	v_mul_f64 v[20:21], v[4:5], v[20:21]
	s_waitcnt vmcnt(4) lgkmcnt(0)
	v_mul_f64 v[16:17], v[6:7], v[24:25]
	v_mul_f64 v[24:25], v[8:9], v[24:25]
	v_add_f64 v[10:11], v[12:13], v[10:11]
	v_add_f64 v[12:13], v[43:44], v[149:150]
	v_fma_f64 v[38:39], v[4:5], v[18:19], v[151:152]
	v_fma_f64 v[18:19], v[2:3], v[18:19], -v[20:21]
	v_fma_f64 v[8:9], v[8:9], v[22:23], v[16:17]
	v_fma_f64 v[6:7], v[6:7], v[22:23], -v[24:25]
	v_add_f64 v[14:15], v[10:11], v[14:15]
	v_add_f64 v[20:21], v[12:13], v[40:41]
	ds_load_b128 v[2:5], v1 offset:928
	ds_load_b128 v[10:13], v1 offset:944
	s_waitcnt vmcnt(3) lgkmcnt(1)
	v_mul_f64 v[40:41], v[2:3], v[28:29]
	v_mul_f64 v[28:29], v[4:5], v[28:29]
	v_add_f64 v[14:15], v[14:15], v[18:19]
	v_add_f64 v[16:17], v[20:21], v[38:39]
	s_waitcnt vmcnt(2) lgkmcnt(0)
	v_mul_f64 v[18:19], v[10:11], v[32:33]
	v_mul_f64 v[20:21], v[12:13], v[32:33]
	v_fma_f64 v[22:23], v[4:5], v[26:27], v[40:41]
	v_fma_f64 v[24:25], v[2:3], v[26:27], -v[28:29]
	v_add_f64 v[14:15], v[14:15], v[6:7]
	v_add_f64 v[16:17], v[16:17], v[8:9]
	ds_load_b128 v[2:5], v1 offset:960
	ds_load_b128 v[6:9], v1 offset:976
	v_fma_f64 v[12:13], v[12:13], v[30:31], v[18:19]
	v_fma_f64 v[10:11], v[10:11], v[30:31], -v[20:21]
	s_waitcnt vmcnt(1) lgkmcnt(1)
	v_mul_f64 v[26:27], v[2:3], v[36:37]
	v_mul_f64 v[28:29], v[4:5], v[36:37]
	s_waitcnt vmcnt(0) lgkmcnt(0)
	v_mul_f64 v[18:19], v[6:7], v[141:142]
	v_mul_f64 v[20:21], v[8:9], v[141:142]
	v_add_f64 v[14:15], v[14:15], v[24:25]
	v_add_f64 v[16:17], v[16:17], v[22:23]
	v_fma_f64 v[4:5], v[4:5], v[34:35], v[26:27]
	v_fma_f64 v[1:2], v[2:3], v[34:35], -v[28:29]
	v_fma_f64 v[8:9], v[8:9], v[139:140], v[18:19]
	v_fma_f64 v[6:7], v[6:7], v[139:140], -v[20:21]
	v_add_f64 v[10:11], v[14:15], v[10:11]
	v_add_f64 v[12:13], v[16:17], v[12:13]
	s_delay_alu instid0(VALU_DEP_2) | instskip(NEXT) | instid1(VALU_DEP_2)
	v_add_f64 v[1:2], v[10:11], v[1:2]
	v_add_f64 v[3:4], v[12:13], v[4:5]
	s_delay_alu instid0(VALU_DEP_2) | instskip(NEXT) | instid1(VALU_DEP_2)
	;; [unrolled: 3-line block ×3, first 2 shown]
	v_add_f64 v[1:2], v[143:144], -v[1:2]
	v_add_f64 v[3:4], v[145:146], -v[3:4]
	scratch_store_b128 off, v[1:4], off offset:160
	v_cmpx_lt_u32_e32 9, v108
	s_cbranch_execz .LBB30_181
; %bb.180:
	scratch_load_b128 v[1:4], v125, off
	v_mov_b32_e32 v5, 0
	s_delay_alu instid0(VALU_DEP_1)
	v_mov_b32_e32 v6, v5
	v_mov_b32_e32 v7, v5
	;; [unrolled: 1-line block ×3, first 2 shown]
	scratch_store_b128 off, v[5:8], off offset:144
	s_waitcnt vmcnt(0)
	ds_store_b128 v42, v[1:4]
.LBB30_181:
	s_or_b32 exec_lo, exec_lo, s2
	s_waitcnt lgkmcnt(0)
	s_waitcnt_vscnt null, 0x0
	s_barrier
	buffer_gl0_inv
	s_clause 0x7
	scratch_load_b128 v[2:5], off, off offset:160
	scratch_load_b128 v[6:9], off, off offset:176
	;; [unrolled: 1-line block ×8, first 2 shown]
	v_mov_b32_e32 v1, 0
	s_mov_b32 s2, exec_lo
	ds_load_b128 v[34:37], v1 offset:656
	s_clause 0x1
	scratch_load_b128 v[38:41], off, off offset:288
	scratch_load_b128 v[139:142], off, off offset:144
	ds_load_b128 v[143:146], v1 offset:672
	scratch_load_b128 v[147:150], off, off offset:304
	ds_load_b128 v[151:154], v1 offset:704
	s_waitcnt vmcnt(10) lgkmcnt(2)
	v_mul_f64 v[43:44], v[36:37], v[4:5]
	v_mul_f64 v[4:5], v[34:35], v[4:5]
	s_delay_alu instid0(VALU_DEP_2) | instskip(NEXT) | instid1(VALU_DEP_2)
	v_fma_f64 v[43:44], v[34:35], v[2:3], -v[43:44]
	v_fma_f64 v[157:158], v[36:37], v[2:3], v[4:5]
	ds_load_b128 v[2:5], v1 offset:688
	s_waitcnt vmcnt(9) lgkmcnt(2)
	v_mul_f64 v[155:156], v[143:144], v[8:9]
	v_mul_f64 v[8:9], v[145:146], v[8:9]
	scratch_load_b128 v[34:37], off, off offset:320
	s_waitcnt vmcnt(9) lgkmcnt(0)
	v_mul_f64 v[159:160], v[2:3], v[12:13]
	v_mul_f64 v[12:13], v[4:5], v[12:13]
	v_add_f64 v[43:44], v[43:44], 0
	v_fma_f64 v[145:146], v[145:146], v[6:7], v[155:156]
	v_fma_f64 v[143:144], v[143:144], v[6:7], -v[8:9]
	v_add_f64 v[155:156], v[157:158], 0
	scratch_load_b128 v[6:9], off, off offset:336
	v_fma_f64 v[159:160], v[4:5], v[10:11], v[159:160]
	v_fma_f64 v[161:162], v[2:3], v[10:11], -v[12:13]
	scratch_load_b128 v[10:13], off, off offset:352
	ds_load_b128 v[2:5], v1 offset:720
	s_waitcnt vmcnt(10)
	v_mul_f64 v[157:158], v[151:152], v[16:17]
	v_mul_f64 v[16:17], v[153:154], v[16:17]
	v_add_f64 v[43:44], v[43:44], v[143:144]
	v_add_f64 v[155:156], v[155:156], v[145:146]
	ds_load_b128 v[143:146], v1 offset:736
	s_waitcnt vmcnt(9) lgkmcnt(1)
	v_mul_f64 v[163:164], v[2:3], v[20:21]
	v_mul_f64 v[20:21], v[4:5], v[20:21]
	v_fma_f64 v[153:154], v[153:154], v[14:15], v[157:158]
	v_fma_f64 v[151:152], v[151:152], v[14:15], -v[16:17]
	scratch_load_b128 v[14:17], off, off offset:368
	v_add_f64 v[43:44], v[43:44], v[161:162]
	v_add_f64 v[155:156], v[155:156], v[159:160]
	v_fma_f64 v[159:160], v[4:5], v[18:19], v[163:164]
	v_fma_f64 v[161:162], v[2:3], v[18:19], -v[20:21]
	scratch_load_b128 v[18:21], off, off offset:384
	ds_load_b128 v[2:5], v1 offset:752
	s_waitcnt vmcnt(10) lgkmcnt(1)
	v_mul_f64 v[157:158], v[143:144], v[24:25]
	v_mul_f64 v[24:25], v[145:146], v[24:25]
	s_waitcnt vmcnt(9) lgkmcnt(0)
	v_mul_f64 v[163:164], v[2:3], v[28:29]
	v_mul_f64 v[28:29], v[4:5], v[28:29]
	v_add_f64 v[43:44], v[43:44], v[151:152]
	v_add_f64 v[155:156], v[155:156], v[153:154]
	ds_load_b128 v[151:154], v1 offset:768
	v_fma_f64 v[145:146], v[145:146], v[22:23], v[157:158]
	v_fma_f64 v[143:144], v[143:144], v[22:23], -v[24:25]
	scratch_load_b128 v[22:25], off, off offset:400
	v_add_f64 v[43:44], v[43:44], v[161:162]
	v_add_f64 v[155:156], v[155:156], v[159:160]
	v_fma_f64 v[159:160], v[4:5], v[26:27], v[163:164]
	v_fma_f64 v[161:162], v[2:3], v[26:27], -v[28:29]
	scratch_load_b128 v[26:29], off, off offset:416
	ds_load_b128 v[2:5], v1 offset:784
	s_waitcnt vmcnt(10) lgkmcnt(1)
	v_mul_f64 v[157:158], v[151:152], v[32:33]
	v_mul_f64 v[32:33], v[153:154], v[32:33]
	s_waitcnt vmcnt(9) lgkmcnt(0)
	v_mul_f64 v[163:164], v[2:3], v[40:41]
	v_mul_f64 v[40:41], v[4:5], v[40:41]
	v_add_f64 v[43:44], v[43:44], v[143:144]
	v_add_f64 v[155:156], v[155:156], v[145:146]
	ds_load_b128 v[143:146], v1 offset:800
	v_fma_f64 v[153:154], v[153:154], v[30:31], v[157:158]
	v_fma_f64 v[151:152], v[151:152], v[30:31], -v[32:33]
	scratch_load_b128 v[30:33], off, off offset:432
	v_add_f64 v[43:44], v[43:44], v[161:162]
	v_add_f64 v[155:156], v[155:156], v[159:160]
	v_fma_f64 v[161:162], v[4:5], v[38:39], v[163:164]
	v_fma_f64 v[163:164], v[2:3], v[38:39], -v[40:41]
	scratch_load_b128 v[38:41], off, off offset:448
	ds_load_b128 v[2:5], v1 offset:816
	s_waitcnt vmcnt(9) lgkmcnt(1)
	v_mul_f64 v[157:158], v[143:144], v[149:150]
	v_mul_f64 v[159:160], v[145:146], v[149:150]
	v_add_f64 v[43:44], v[43:44], v[151:152]
	v_add_f64 v[153:154], v[155:156], v[153:154]
	ds_load_b128 v[149:152], v1 offset:832
	v_fma_f64 v[157:158], v[145:146], v[147:148], v[157:158]
	v_fma_f64 v[147:148], v[143:144], v[147:148], -v[159:160]
	scratch_load_b128 v[143:146], off, off offset:464
	s_waitcnt vmcnt(9) lgkmcnt(1)
	v_mul_f64 v[155:156], v[2:3], v[36:37]
	v_mul_f64 v[36:37], v[4:5], v[36:37]
	v_add_f64 v[43:44], v[43:44], v[163:164]
	v_add_f64 v[153:154], v[153:154], v[161:162]
	s_delay_alu instid0(VALU_DEP_4) | instskip(NEXT) | instid1(VALU_DEP_4)
	v_fma_f64 v[161:162], v[4:5], v[34:35], v[155:156]
	v_fma_f64 v[163:164], v[2:3], v[34:35], -v[36:37]
	scratch_load_b128 v[34:37], off, off offset:480
	ds_load_b128 v[2:5], v1 offset:848
	s_waitcnt vmcnt(9) lgkmcnt(1)
	v_mul_f64 v[159:160], v[149:150], v[8:9]
	v_mul_f64 v[8:9], v[151:152], v[8:9]
	v_add_f64 v[43:44], v[43:44], v[147:148]
	v_add_f64 v[147:148], v[153:154], v[157:158]
	s_waitcnt vmcnt(8) lgkmcnt(0)
	v_mul_f64 v[157:158], v[2:3], v[12:13]
	v_mul_f64 v[12:13], v[4:5], v[12:13]
	ds_load_b128 v[153:156], v1 offset:864
	v_fma_f64 v[151:152], v[151:152], v[6:7], v[159:160]
	v_fma_f64 v[6:7], v[149:150], v[6:7], -v[8:9]
	v_add_f64 v[8:9], v[43:44], v[163:164]
	v_add_f64 v[43:44], v[147:148], v[161:162]
	s_waitcnt vmcnt(7) lgkmcnt(0)
	v_mul_f64 v[147:148], v[153:154], v[16:17]
	v_mul_f64 v[16:17], v[155:156], v[16:17]
	v_fma_f64 v[149:150], v[4:5], v[10:11], v[157:158]
	v_fma_f64 v[10:11], v[2:3], v[10:11], -v[12:13]
	v_add_f64 v[12:13], v[8:9], v[6:7]
	v_add_f64 v[43:44], v[43:44], v[151:152]
	ds_load_b128 v[2:5], v1 offset:880
	ds_load_b128 v[6:9], v1 offset:896
	v_fma_f64 v[147:148], v[155:156], v[14:15], v[147:148]
	v_fma_f64 v[14:15], v[153:154], v[14:15], -v[16:17]
	s_waitcnt vmcnt(6) lgkmcnt(1)
	v_mul_f64 v[151:152], v[2:3], v[20:21]
	v_mul_f64 v[20:21], v[4:5], v[20:21]
	s_waitcnt vmcnt(5) lgkmcnt(0)
	v_mul_f64 v[16:17], v[6:7], v[24:25]
	v_mul_f64 v[24:25], v[8:9], v[24:25]
	v_add_f64 v[10:11], v[12:13], v[10:11]
	v_add_f64 v[12:13], v[43:44], v[149:150]
	v_fma_f64 v[43:44], v[4:5], v[18:19], v[151:152]
	v_fma_f64 v[18:19], v[2:3], v[18:19], -v[20:21]
	v_fma_f64 v[8:9], v[8:9], v[22:23], v[16:17]
	v_fma_f64 v[6:7], v[6:7], v[22:23], -v[24:25]
	v_add_f64 v[14:15], v[10:11], v[14:15]
	v_add_f64 v[20:21], v[12:13], v[147:148]
	ds_load_b128 v[2:5], v1 offset:912
	ds_load_b128 v[10:13], v1 offset:928
	s_waitcnt vmcnt(4) lgkmcnt(1)
	v_mul_f64 v[147:148], v[2:3], v[28:29]
	v_mul_f64 v[28:29], v[4:5], v[28:29]
	v_add_f64 v[14:15], v[14:15], v[18:19]
	v_add_f64 v[16:17], v[20:21], v[43:44]
	s_waitcnt vmcnt(3) lgkmcnt(0)
	v_mul_f64 v[18:19], v[10:11], v[32:33]
	v_mul_f64 v[20:21], v[12:13], v[32:33]
	v_fma_f64 v[22:23], v[4:5], v[26:27], v[147:148]
	v_fma_f64 v[24:25], v[2:3], v[26:27], -v[28:29]
	v_add_f64 v[14:15], v[14:15], v[6:7]
	v_add_f64 v[16:17], v[16:17], v[8:9]
	ds_load_b128 v[2:5], v1 offset:944
	ds_load_b128 v[6:9], v1 offset:960
	v_fma_f64 v[12:13], v[12:13], v[30:31], v[18:19]
	v_fma_f64 v[10:11], v[10:11], v[30:31], -v[20:21]
	s_waitcnt vmcnt(2) lgkmcnt(1)
	v_mul_f64 v[26:27], v[2:3], v[40:41]
	v_mul_f64 v[28:29], v[4:5], v[40:41]
	s_waitcnt vmcnt(1) lgkmcnt(0)
	v_mul_f64 v[18:19], v[6:7], v[145:146]
	v_mul_f64 v[20:21], v[8:9], v[145:146]
	v_add_f64 v[14:15], v[14:15], v[24:25]
	v_add_f64 v[16:17], v[16:17], v[22:23]
	v_fma_f64 v[22:23], v[4:5], v[38:39], v[26:27]
	v_fma_f64 v[24:25], v[2:3], v[38:39], -v[28:29]
	ds_load_b128 v[2:5], v1 offset:976
	v_fma_f64 v[8:9], v[8:9], v[143:144], v[18:19]
	v_fma_f64 v[6:7], v[6:7], v[143:144], -v[20:21]
	v_add_f64 v[10:11], v[14:15], v[10:11]
	v_add_f64 v[12:13], v[16:17], v[12:13]
	s_waitcnt vmcnt(0) lgkmcnt(0)
	v_mul_f64 v[14:15], v[2:3], v[36:37]
	v_mul_f64 v[16:17], v[4:5], v[36:37]
	s_delay_alu instid0(VALU_DEP_4) | instskip(NEXT) | instid1(VALU_DEP_4)
	v_add_f64 v[10:11], v[10:11], v[24:25]
	v_add_f64 v[12:13], v[12:13], v[22:23]
	s_delay_alu instid0(VALU_DEP_4) | instskip(NEXT) | instid1(VALU_DEP_4)
	v_fma_f64 v[4:5], v[4:5], v[34:35], v[14:15]
	v_fma_f64 v[2:3], v[2:3], v[34:35], -v[16:17]
	s_delay_alu instid0(VALU_DEP_4) | instskip(NEXT) | instid1(VALU_DEP_4)
	v_add_f64 v[6:7], v[10:11], v[6:7]
	v_add_f64 v[8:9], v[12:13], v[8:9]
	s_delay_alu instid0(VALU_DEP_2) | instskip(NEXT) | instid1(VALU_DEP_2)
	v_add_f64 v[2:3], v[6:7], v[2:3]
	v_add_f64 v[4:5], v[8:9], v[4:5]
	s_delay_alu instid0(VALU_DEP_2) | instskip(NEXT) | instid1(VALU_DEP_2)
	v_add_f64 v[2:3], v[139:140], -v[2:3]
	v_add_f64 v[4:5], v[141:142], -v[4:5]
	scratch_store_b128 off, v[2:5], off offset:144
	v_cmpx_lt_u32_e32 8, v108
	s_cbranch_execz .LBB30_183
; %bb.182:
	scratch_load_b128 v[5:8], v123, off
	v_mov_b32_e32 v2, v1
	v_mov_b32_e32 v3, v1
	;; [unrolled: 1-line block ×3, first 2 shown]
	scratch_store_b128 off, v[1:4], off offset:128
	s_waitcnt vmcnt(0)
	ds_store_b128 v42, v[5:8]
.LBB30_183:
	s_or_b32 exec_lo, exec_lo, s2
	s_waitcnt lgkmcnt(0)
	s_waitcnt_vscnt null, 0x0
	s_barrier
	buffer_gl0_inv
	s_clause 0x8
	scratch_load_b128 v[2:5], off, off offset:144
	scratch_load_b128 v[6:9], off, off offset:160
	;; [unrolled: 1-line block ×9, first 2 shown]
	ds_load_b128 v[38:41], v1 offset:640
	ds_load_b128 v[139:142], v1 offset:656
	s_clause 0x1
	scratch_load_b128 v[143:146], off, off offset:128
	scratch_load_b128 v[147:150], off, off offset:288
	s_mov_b32 s2, exec_lo
	ds_load_b128 v[151:154], v1 offset:688
	s_waitcnt vmcnt(10) lgkmcnt(2)
	v_mul_f64 v[43:44], v[40:41], v[4:5]
	v_mul_f64 v[4:5], v[38:39], v[4:5]
	s_waitcnt vmcnt(9) lgkmcnt(1)
	v_mul_f64 v[155:156], v[139:140], v[8:9]
	v_mul_f64 v[8:9], v[141:142], v[8:9]
	s_delay_alu instid0(VALU_DEP_4) | instskip(NEXT) | instid1(VALU_DEP_4)
	v_fma_f64 v[43:44], v[38:39], v[2:3], -v[43:44]
	v_fma_f64 v[157:158], v[40:41], v[2:3], v[4:5]
	ds_load_b128 v[2:5], v1 offset:672
	scratch_load_b128 v[38:41], off, off offset:304
	v_fma_f64 v[141:142], v[141:142], v[6:7], v[155:156]
	v_fma_f64 v[139:140], v[139:140], v[6:7], -v[8:9]
	scratch_load_b128 v[6:9], off, off offset:320
	s_waitcnt vmcnt(10) lgkmcnt(0)
	v_mul_f64 v[159:160], v[2:3], v[12:13]
	v_mul_f64 v[12:13], v[4:5], v[12:13]
	v_add_f64 v[43:44], v[43:44], 0
	v_add_f64 v[155:156], v[157:158], 0
	s_waitcnt vmcnt(9)
	v_mul_f64 v[157:158], v[151:152], v[16:17]
	v_mul_f64 v[16:17], v[153:154], v[16:17]
	v_fma_f64 v[159:160], v[4:5], v[10:11], v[159:160]
	v_fma_f64 v[161:162], v[2:3], v[10:11], -v[12:13]
	ds_load_b128 v[2:5], v1 offset:704
	scratch_load_b128 v[10:13], off, off offset:336
	v_add_f64 v[43:44], v[43:44], v[139:140]
	v_add_f64 v[155:156], v[155:156], v[141:142]
	ds_load_b128 v[139:142], v1 offset:720
	v_fma_f64 v[153:154], v[153:154], v[14:15], v[157:158]
	v_fma_f64 v[151:152], v[151:152], v[14:15], -v[16:17]
	scratch_load_b128 v[14:17], off, off offset:352
	s_waitcnt vmcnt(10) lgkmcnt(1)
	v_mul_f64 v[163:164], v[2:3], v[20:21]
	v_mul_f64 v[20:21], v[4:5], v[20:21]
	s_waitcnt vmcnt(9) lgkmcnt(0)
	v_mul_f64 v[157:158], v[139:140], v[24:25]
	v_mul_f64 v[24:25], v[141:142], v[24:25]
	v_add_f64 v[43:44], v[43:44], v[161:162]
	v_add_f64 v[155:156], v[155:156], v[159:160]
	v_fma_f64 v[159:160], v[4:5], v[18:19], v[163:164]
	v_fma_f64 v[161:162], v[2:3], v[18:19], -v[20:21]
	ds_load_b128 v[2:5], v1 offset:736
	scratch_load_b128 v[18:21], off, off offset:368
	v_fma_f64 v[141:142], v[141:142], v[22:23], v[157:158]
	v_fma_f64 v[139:140], v[139:140], v[22:23], -v[24:25]
	scratch_load_b128 v[22:25], off, off offset:384
	v_add_f64 v[43:44], v[43:44], v[151:152]
	v_add_f64 v[155:156], v[155:156], v[153:154]
	ds_load_b128 v[151:154], v1 offset:752
	s_waitcnt vmcnt(10) lgkmcnt(1)
	v_mul_f64 v[163:164], v[2:3], v[28:29]
	v_mul_f64 v[28:29], v[4:5], v[28:29]
	s_waitcnt vmcnt(9) lgkmcnt(0)
	v_mul_f64 v[157:158], v[151:152], v[32:33]
	v_mul_f64 v[32:33], v[153:154], v[32:33]
	v_add_f64 v[43:44], v[43:44], v[161:162]
	v_add_f64 v[155:156], v[155:156], v[159:160]
	v_fma_f64 v[159:160], v[4:5], v[26:27], v[163:164]
	v_fma_f64 v[161:162], v[2:3], v[26:27], -v[28:29]
	ds_load_b128 v[2:5], v1 offset:768
	scratch_load_b128 v[26:29], off, off offset:400
	v_fma_f64 v[153:154], v[153:154], v[30:31], v[157:158]
	v_fma_f64 v[151:152], v[151:152], v[30:31], -v[32:33]
	scratch_load_b128 v[30:33], off, off offset:416
	v_add_f64 v[43:44], v[43:44], v[139:140]
	v_add_f64 v[155:156], v[155:156], v[141:142]
	ds_load_b128 v[139:142], v1 offset:784
	s_waitcnt vmcnt(10) lgkmcnt(1)
	v_mul_f64 v[163:164], v[2:3], v[36:37]
	v_mul_f64 v[36:37], v[4:5], v[36:37]
	s_waitcnt vmcnt(8) lgkmcnt(0)
	v_mul_f64 v[157:158], v[139:140], v[149:150]
	v_add_f64 v[43:44], v[43:44], v[161:162]
	v_add_f64 v[155:156], v[155:156], v[159:160]
	v_mul_f64 v[159:160], v[141:142], v[149:150]
	v_fma_f64 v[161:162], v[4:5], v[34:35], v[163:164]
	v_fma_f64 v[163:164], v[2:3], v[34:35], -v[36:37]
	ds_load_b128 v[2:5], v1 offset:800
	scratch_load_b128 v[34:37], off, off offset:432
	v_fma_f64 v[157:158], v[141:142], v[147:148], v[157:158]
	v_add_f64 v[43:44], v[43:44], v[151:152]
	v_add_f64 v[153:154], v[155:156], v[153:154]
	ds_load_b128 v[149:152], v1 offset:816
	v_fma_f64 v[147:148], v[139:140], v[147:148], -v[159:160]
	scratch_load_b128 v[139:142], off, off offset:448
	s_waitcnt vmcnt(9) lgkmcnt(1)
	v_mul_f64 v[155:156], v[2:3], v[40:41]
	v_mul_f64 v[40:41], v[4:5], v[40:41]
	s_waitcnt vmcnt(8) lgkmcnt(0)
	v_mul_f64 v[159:160], v[149:150], v[8:9]
	v_mul_f64 v[8:9], v[151:152], v[8:9]
	v_add_f64 v[43:44], v[43:44], v[163:164]
	v_add_f64 v[153:154], v[153:154], v[161:162]
	v_fma_f64 v[161:162], v[4:5], v[38:39], v[155:156]
	v_fma_f64 v[163:164], v[2:3], v[38:39], -v[40:41]
	ds_load_b128 v[2:5], v1 offset:832
	scratch_load_b128 v[38:41], off, off offset:464
	v_fma_f64 v[151:152], v[151:152], v[6:7], v[159:160]
	v_fma_f64 v[149:150], v[149:150], v[6:7], -v[8:9]
	scratch_load_b128 v[6:9], off, off offset:480
	v_add_f64 v[43:44], v[43:44], v[147:148]
	v_add_f64 v[147:148], v[153:154], v[157:158]
	ds_load_b128 v[153:156], v1 offset:848
	s_waitcnt vmcnt(9) lgkmcnt(1)
	v_mul_f64 v[157:158], v[2:3], v[12:13]
	v_mul_f64 v[12:13], v[4:5], v[12:13]
	s_waitcnt vmcnt(8) lgkmcnt(0)
	v_mul_f64 v[159:160], v[153:154], v[16:17]
	v_mul_f64 v[16:17], v[155:156], v[16:17]
	v_add_f64 v[43:44], v[43:44], v[163:164]
	v_add_f64 v[147:148], v[147:148], v[161:162]
	v_fma_f64 v[157:158], v[4:5], v[10:11], v[157:158]
	v_fma_f64 v[161:162], v[2:3], v[10:11], -v[12:13]
	ds_load_b128 v[2:5], v1 offset:864
	ds_load_b128 v[10:13], v1 offset:880
	v_add_f64 v[43:44], v[43:44], v[149:150]
	v_add_f64 v[147:148], v[147:148], v[151:152]
	s_waitcnt vmcnt(7) lgkmcnt(1)
	v_mul_f64 v[149:150], v[2:3], v[20:21]
	v_mul_f64 v[20:21], v[4:5], v[20:21]
	v_fma_f64 v[151:152], v[155:156], v[14:15], v[159:160]
	v_fma_f64 v[14:15], v[153:154], v[14:15], -v[16:17]
	v_add_f64 v[16:17], v[43:44], v[161:162]
	v_add_f64 v[43:44], v[147:148], v[157:158]
	s_waitcnt vmcnt(6) lgkmcnt(0)
	v_mul_f64 v[147:148], v[10:11], v[24:25]
	v_mul_f64 v[24:25], v[12:13], v[24:25]
	v_fma_f64 v[149:150], v[4:5], v[18:19], v[149:150]
	v_fma_f64 v[18:19], v[2:3], v[18:19], -v[20:21]
	v_add_f64 v[20:21], v[16:17], v[14:15]
	v_add_f64 v[43:44], v[43:44], v[151:152]
	ds_load_b128 v[2:5], v1 offset:896
	ds_load_b128 v[14:17], v1 offset:912
	v_fma_f64 v[12:13], v[12:13], v[22:23], v[147:148]
	v_fma_f64 v[10:11], v[10:11], v[22:23], -v[24:25]
	s_waitcnt vmcnt(5) lgkmcnt(1)
	v_mul_f64 v[151:152], v[2:3], v[28:29]
	v_mul_f64 v[28:29], v[4:5], v[28:29]
	s_waitcnt vmcnt(4) lgkmcnt(0)
	v_mul_f64 v[22:23], v[14:15], v[32:33]
	v_mul_f64 v[24:25], v[16:17], v[32:33]
	v_add_f64 v[18:19], v[20:21], v[18:19]
	v_add_f64 v[20:21], v[43:44], v[149:150]
	v_fma_f64 v[32:33], v[4:5], v[26:27], v[151:152]
	v_fma_f64 v[26:27], v[2:3], v[26:27], -v[28:29]
	v_fma_f64 v[16:17], v[16:17], v[30:31], v[22:23]
	v_fma_f64 v[14:15], v[14:15], v[30:31], -v[24:25]
	v_add_f64 v[18:19], v[18:19], v[10:11]
	v_add_f64 v[20:21], v[20:21], v[12:13]
	ds_load_b128 v[2:5], v1 offset:928
	ds_load_b128 v[10:13], v1 offset:944
	s_waitcnt vmcnt(3) lgkmcnt(1)
	v_mul_f64 v[28:29], v[2:3], v[36:37]
	v_mul_f64 v[36:37], v[4:5], v[36:37]
	s_waitcnt vmcnt(2) lgkmcnt(0)
	v_mul_f64 v[22:23], v[10:11], v[141:142]
	v_mul_f64 v[24:25], v[12:13], v[141:142]
	v_add_f64 v[18:19], v[18:19], v[26:27]
	v_add_f64 v[20:21], v[20:21], v[32:33]
	v_fma_f64 v[26:27], v[4:5], v[34:35], v[28:29]
	v_fma_f64 v[28:29], v[2:3], v[34:35], -v[36:37]
	v_fma_f64 v[12:13], v[12:13], v[139:140], v[22:23]
	v_fma_f64 v[10:11], v[10:11], v[139:140], -v[24:25]
	v_add_f64 v[18:19], v[18:19], v[14:15]
	v_add_f64 v[20:21], v[20:21], v[16:17]
	ds_load_b128 v[2:5], v1 offset:960
	ds_load_b128 v[14:17], v1 offset:976
	s_waitcnt vmcnt(1) lgkmcnt(1)
	v_mul_f64 v[30:31], v[2:3], v[40:41]
	v_mul_f64 v[32:33], v[4:5], v[40:41]
	s_waitcnt vmcnt(0) lgkmcnt(0)
	v_mul_f64 v[22:23], v[14:15], v[8:9]
	v_mul_f64 v[8:9], v[16:17], v[8:9]
	v_add_f64 v[18:19], v[18:19], v[28:29]
	v_add_f64 v[20:21], v[20:21], v[26:27]
	v_fma_f64 v[4:5], v[4:5], v[38:39], v[30:31]
	v_fma_f64 v[1:2], v[2:3], v[38:39], -v[32:33]
	v_fma_f64 v[16:17], v[16:17], v[6:7], v[22:23]
	v_fma_f64 v[6:7], v[14:15], v[6:7], -v[8:9]
	v_add_f64 v[10:11], v[18:19], v[10:11]
	v_add_f64 v[12:13], v[20:21], v[12:13]
	s_delay_alu instid0(VALU_DEP_2) | instskip(NEXT) | instid1(VALU_DEP_2)
	v_add_f64 v[1:2], v[10:11], v[1:2]
	v_add_f64 v[3:4], v[12:13], v[4:5]
	s_delay_alu instid0(VALU_DEP_2) | instskip(NEXT) | instid1(VALU_DEP_2)
	;; [unrolled: 3-line block ×3, first 2 shown]
	v_add_f64 v[1:2], v[143:144], -v[1:2]
	v_add_f64 v[3:4], v[145:146], -v[3:4]
	scratch_store_b128 off, v[1:4], off offset:128
	v_cmpx_lt_u32_e32 7, v108
	s_cbranch_execz .LBB30_185
; %bb.184:
	scratch_load_b128 v[1:4], v126, off
	v_mov_b32_e32 v5, 0
	s_delay_alu instid0(VALU_DEP_1)
	v_mov_b32_e32 v6, v5
	v_mov_b32_e32 v7, v5
	;; [unrolled: 1-line block ×3, first 2 shown]
	scratch_store_b128 off, v[5:8], off offset:112
	s_waitcnt vmcnt(0)
	ds_store_b128 v42, v[1:4]
.LBB30_185:
	s_or_b32 exec_lo, exec_lo, s2
	s_waitcnt lgkmcnt(0)
	s_waitcnt_vscnt null, 0x0
	s_barrier
	buffer_gl0_inv
	s_clause 0x7
	scratch_load_b128 v[2:5], off, off offset:128
	scratch_load_b128 v[6:9], off, off offset:144
	;; [unrolled: 1-line block ×8, first 2 shown]
	v_mov_b32_e32 v1, 0
	s_mov_b32 s2, exec_lo
	ds_load_b128 v[34:37], v1 offset:624
	s_clause 0x1
	scratch_load_b128 v[38:41], off, off offset:256
	scratch_load_b128 v[139:142], off, off offset:112
	ds_load_b128 v[143:146], v1 offset:640
	scratch_load_b128 v[147:150], off, off offset:272
	ds_load_b128 v[151:154], v1 offset:672
	s_waitcnt vmcnt(10) lgkmcnt(2)
	v_mul_f64 v[43:44], v[36:37], v[4:5]
	v_mul_f64 v[4:5], v[34:35], v[4:5]
	s_delay_alu instid0(VALU_DEP_2) | instskip(NEXT) | instid1(VALU_DEP_2)
	v_fma_f64 v[43:44], v[34:35], v[2:3], -v[43:44]
	v_fma_f64 v[157:158], v[36:37], v[2:3], v[4:5]
	ds_load_b128 v[2:5], v1 offset:656
	s_waitcnt vmcnt(9) lgkmcnt(2)
	v_mul_f64 v[155:156], v[143:144], v[8:9]
	v_mul_f64 v[8:9], v[145:146], v[8:9]
	scratch_load_b128 v[34:37], off, off offset:288
	s_waitcnt vmcnt(9) lgkmcnt(0)
	v_mul_f64 v[159:160], v[2:3], v[12:13]
	v_mul_f64 v[12:13], v[4:5], v[12:13]
	v_add_f64 v[43:44], v[43:44], 0
	v_fma_f64 v[145:146], v[145:146], v[6:7], v[155:156]
	v_fma_f64 v[143:144], v[143:144], v[6:7], -v[8:9]
	v_add_f64 v[155:156], v[157:158], 0
	scratch_load_b128 v[6:9], off, off offset:304
	v_fma_f64 v[159:160], v[4:5], v[10:11], v[159:160]
	v_fma_f64 v[161:162], v[2:3], v[10:11], -v[12:13]
	scratch_load_b128 v[10:13], off, off offset:320
	ds_load_b128 v[2:5], v1 offset:688
	s_waitcnt vmcnt(10)
	v_mul_f64 v[157:158], v[151:152], v[16:17]
	v_mul_f64 v[16:17], v[153:154], v[16:17]
	v_add_f64 v[43:44], v[43:44], v[143:144]
	v_add_f64 v[155:156], v[155:156], v[145:146]
	ds_load_b128 v[143:146], v1 offset:704
	s_waitcnt vmcnt(9) lgkmcnt(1)
	v_mul_f64 v[163:164], v[2:3], v[20:21]
	v_mul_f64 v[20:21], v[4:5], v[20:21]
	v_fma_f64 v[153:154], v[153:154], v[14:15], v[157:158]
	v_fma_f64 v[151:152], v[151:152], v[14:15], -v[16:17]
	scratch_load_b128 v[14:17], off, off offset:336
	v_add_f64 v[43:44], v[43:44], v[161:162]
	v_add_f64 v[155:156], v[155:156], v[159:160]
	v_fma_f64 v[159:160], v[4:5], v[18:19], v[163:164]
	v_fma_f64 v[161:162], v[2:3], v[18:19], -v[20:21]
	scratch_load_b128 v[18:21], off, off offset:352
	ds_load_b128 v[2:5], v1 offset:720
	s_waitcnt vmcnt(10) lgkmcnt(1)
	v_mul_f64 v[157:158], v[143:144], v[24:25]
	v_mul_f64 v[24:25], v[145:146], v[24:25]
	s_waitcnt vmcnt(9) lgkmcnt(0)
	v_mul_f64 v[163:164], v[2:3], v[28:29]
	v_mul_f64 v[28:29], v[4:5], v[28:29]
	v_add_f64 v[43:44], v[43:44], v[151:152]
	v_add_f64 v[155:156], v[155:156], v[153:154]
	ds_load_b128 v[151:154], v1 offset:736
	v_fma_f64 v[145:146], v[145:146], v[22:23], v[157:158]
	v_fma_f64 v[143:144], v[143:144], v[22:23], -v[24:25]
	scratch_load_b128 v[22:25], off, off offset:368
	v_add_f64 v[43:44], v[43:44], v[161:162]
	v_add_f64 v[155:156], v[155:156], v[159:160]
	v_fma_f64 v[159:160], v[4:5], v[26:27], v[163:164]
	v_fma_f64 v[161:162], v[2:3], v[26:27], -v[28:29]
	scratch_load_b128 v[26:29], off, off offset:384
	ds_load_b128 v[2:5], v1 offset:752
	s_waitcnt vmcnt(10) lgkmcnt(1)
	v_mul_f64 v[157:158], v[151:152], v[32:33]
	v_mul_f64 v[32:33], v[153:154], v[32:33]
	s_waitcnt vmcnt(9) lgkmcnt(0)
	v_mul_f64 v[163:164], v[2:3], v[40:41]
	v_mul_f64 v[40:41], v[4:5], v[40:41]
	v_add_f64 v[43:44], v[43:44], v[143:144]
	v_add_f64 v[155:156], v[155:156], v[145:146]
	ds_load_b128 v[143:146], v1 offset:768
	v_fma_f64 v[153:154], v[153:154], v[30:31], v[157:158]
	v_fma_f64 v[151:152], v[151:152], v[30:31], -v[32:33]
	scratch_load_b128 v[30:33], off, off offset:400
	v_add_f64 v[43:44], v[43:44], v[161:162]
	v_add_f64 v[155:156], v[155:156], v[159:160]
	v_fma_f64 v[161:162], v[4:5], v[38:39], v[163:164]
	v_fma_f64 v[163:164], v[2:3], v[38:39], -v[40:41]
	scratch_load_b128 v[38:41], off, off offset:416
	ds_load_b128 v[2:5], v1 offset:784
	s_waitcnt vmcnt(9) lgkmcnt(1)
	v_mul_f64 v[157:158], v[143:144], v[149:150]
	v_mul_f64 v[159:160], v[145:146], v[149:150]
	v_add_f64 v[43:44], v[43:44], v[151:152]
	v_add_f64 v[153:154], v[155:156], v[153:154]
	ds_load_b128 v[149:152], v1 offset:800
	v_fma_f64 v[157:158], v[145:146], v[147:148], v[157:158]
	v_fma_f64 v[147:148], v[143:144], v[147:148], -v[159:160]
	scratch_load_b128 v[143:146], off, off offset:432
	s_waitcnt vmcnt(9) lgkmcnt(1)
	v_mul_f64 v[155:156], v[2:3], v[36:37]
	v_mul_f64 v[36:37], v[4:5], v[36:37]
	v_add_f64 v[43:44], v[43:44], v[163:164]
	v_add_f64 v[153:154], v[153:154], v[161:162]
	s_delay_alu instid0(VALU_DEP_4) | instskip(NEXT) | instid1(VALU_DEP_4)
	v_fma_f64 v[161:162], v[4:5], v[34:35], v[155:156]
	v_fma_f64 v[163:164], v[2:3], v[34:35], -v[36:37]
	scratch_load_b128 v[34:37], off, off offset:448
	ds_load_b128 v[2:5], v1 offset:816
	s_waitcnt vmcnt(9) lgkmcnt(1)
	v_mul_f64 v[159:160], v[149:150], v[8:9]
	v_mul_f64 v[8:9], v[151:152], v[8:9]
	v_add_f64 v[43:44], v[43:44], v[147:148]
	v_add_f64 v[147:148], v[153:154], v[157:158]
	s_waitcnt vmcnt(8) lgkmcnt(0)
	v_mul_f64 v[157:158], v[2:3], v[12:13]
	v_mul_f64 v[12:13], v[4:5], v[12:13]
	ds_load_b128 v[153:156], v1 offset:832
	v_fma_f64 v[151:152], v[151:152], v[6:7], v[159:160]
	v_fma_f64 v[149:150], v[149:150], v[6:7], -v[8:9]
	scratch_load_b128 v[6:9], off, off offset:464
	v_add_f64 v[43:44], v[43:44], v[163:164]
	v_add_f64 v[147:148], v[147:148], v[161:162]
	v_fma_f64 v[157:158], v[4:5], v[10:11], v[157:158]
	v_fma_f64 v[161:162], v[2:3], v[10:11], -v[12:13]
	scratch_load_b128 v[10:13], off, off offset:480
	ds_load_b128 v[2:5], v1 offset:848
	s_waitcnt vmcnt(9) lgkmcnt(1)
	v_mul_f64 v[159:160], v[153:154], v[16:17]
	v_mul_f64 v[16:17], v[155:156], v[16:17]
	s_waitcnt vmcnt(8) lgkmcnt(0)
	v_mul_f64 v[163:164], v[2:3], v[20:21]
	v_mul_f64 v[20:21], v[4:5], v[20:21]
	v_add_f64 v[43:44], v[43:44], v[149:150]
	v_add_f64 v[151:152], v[147:148], v[151:152]
	ds_load_b128 v[147:150], v1 offset:864
	v_fma_f64 v[155:156], v[155:156], v[14:15], v[159:160]
	v_fma_f64 v[14:15], v[153:154], v[14:15], -v[16:17]
	v_fma_f64 v[153:154], v[4:5], v[18:19], v[163:164]
	v_fma_f64 v[18:19], v[2:3], v[18:19], -v[20:21]
	v_add_f64 v[16:17], v[43:44], v[161:162]
	v_add_f64 v[43:44], v[151:152], v[157:158]
	s_waitcnt vmcnt(7) lgkmcnt(0)
	v_mul_f64 v[151:152], v[147:148], v[24:25]
	v_mul_f64 v[24:25], v[149:150], v[24:25]
	s_delay_alu instid0(VALU_DEP_4) | instskip(NEXT) | instid1(VALU_DEP_4)
	v_add_f64 v[20:21], v[16:17], v[14:15]
	v_add_f64 v[43:44], v[43:44], v[155:156]
	ds_load_b128 v[2:5], v1 offset:880
	ds_load_b128 v[14:17], v1 offset:896
	v_fma_f64 v[149:150], v[149:150], v[22:23], v[151:152]
	v_fma_f64 v[22:23], v[147:148], v[22:23], -v[24:25]
	s_waitcnt vmcnt(6) lgkmcnt(1)
	v_mul_f64 v[155:156], v[2:3], v[28:29]
	v_mul_f64 v[28:29], v[4:5], v[28:29]
	s_waitcnt vmcnt(5) lgkmcnt(0)
	v_mul_f64 v[24:25], v[14:15], v[32:33]
	v_mul_f64 v[32:33], v[16:17], v[32:33]
	v_add_f64 v[18:19], v[20:21], v[18:19]
	v_add_f64 v[20:21], v[43:44], v[153:154]
	v_fma_f64 v[43:44], v[4:5], v[26:27], v[155:156]
	v_fma_f64 v[26:27], v[2:3], v[26:27], -v[28:29]
	v_fma_f64 v[16:17], v[16:17], v[30:31], v[24:25]
	v_fma_f64 v[14:15], v[14:15], v[30:31], -v[32:33]
	v_add_f64 v[22:23], v[18:19], v[22:23]
	v_add_f64 v[28:29], v[20:21], v[149:150]
	ds_load_b128 v[2:5], v1 offset:912
	ds_load_b128 v[18:21], v1 offset:928
	s_waitcnt vmcnt(4) lgkmcnt(1)
	v_mul_f64 v[147:148], v[2:3], v[40:41]
	v_mul_f64 v[40:41], v[4:5], v[40:41]
	v_add_f64 v[22:23], v[22:23], v[26:27]
	v_add_f64 v[24:25], v[28:29], v[43:44]
	s_waitcnt vmcnt(3) lgkmcnt(0)
	v_mul_f64 v[26:27], v[18:19], v[145:146]
	v_mul_f64 v[28:29], v[20:21], v[145:146]
	v_fma_f64 v[30:31], v[4:5], v[38:39], v[147:148]
	v_fma_f64 v[32:33], v[2:3], v[38:39], -v[40:41]
	v_add_f64 v[22:23], v[22:23], v[14:15]
	v_add_f64 v[24:25], v[24:25], v[16:17]
	ds_load_b128 v[2:5], v1 offset:944
	ds_load_b128 v[14:17], v1 offset:960
	v_fma_f64 v[20:21], v[20:21], v[143:144], v[26:27]
	v_fma_f64 v[18:19], v[18:19], v[143:144], -v[28:29]
	s_waitcnt vmcnt(2) lgkmcnt(1)
	v_mul_f64 v[38:39], v[2:3], v[36:37]
	v_mul_f64 v[36:37], v[4:5], v[36:37]
	v_add_f64 v[22:23], v[22:23], v[32:33]
	v_add_f64 v[24:25], v[24:25], v[30:31]
	s_waitcnt vmcnt(1) lgkmcnt(0)
	v_mul_f64 v[26:27], v[14:15], v[8:9]
	v_mul_f64 v[8:9], v[16:17], v[8:9]
	v_fma_f64 v[28:29], v[4:5], v[34:35], v[38:39]
	v_fma_f64 v[30:31], v[2:3], v[34:35], -v[36:37]
	ds_load_b128 v[2:5], v1 offset:976
	v_add_f64 v[18:19], v[22:23], v[18:19]
	v_add_f64 v[20:21], v[24:25], v[20:21]
	v_fma_f64 v[16:17], v[16:17], v[6:7], v[26:27]
	v_fma_f64 v[6:7], v[14:15], v[6:7], -v[8:9]
	s_waitcnt vmcnt(0) lgkmcnt(0)
	v_mul_f64 v[22:23], v[2:3], v[12:13]
	v_mul_f64 v[12:13], v[4:5], v[12:13]
	v_add_f64 v[8:9], v[18:19], v[30:31]
	v_add_f64 v[14:15], v[20:21], v[28:29]
	s_delay_alu instid0(VALU_DEP_4) | instskip(NEXT) | instid1(VALU_DEP_4)
	v_fma_f64 v[4:5], v[4:5], v[10:11], v[22:23]
	v_fma_f64 v[2:3], v[2:3], v[10:11], -v[12:13]
	s_delay_alu instid0(VALU_DEP_4) | instskip(NEXT) | instid1(VALU_DEP_4)
	v_add_f64 v[6:7], v[8:9], v[6:7]
	v_add_f64 v[8:9], v[14:15], v[16:17]
	s_delay_alu instid0(VALU_DEP_2) | instskip(NEXT) | instid1(VALU_DEP_2)
	v_add_f64 v[2:3], v[6:7], v[2:3]
	v_add_f64 v[4:5], v[8:9], v[4:5]
	s_delay_alu instid0(VALU_DEP_2) | instskip(NEXT) | instid1(VALU_DEP_2)
	v_add_f64 v[2:3], v[139:140], -v[2:3]
	v_add_f64 v[4:5], v[141:142], -v[4:5]
	scratch_store_b128 off, v[2:5], off offset:112
	v_cmpx_lt_u32_e32 6, v108
	s_cbranch_execz .LBB30_187
; %bb.186:
	scratch_load_b128 v[5:8], v128, off
	v_mov_b32_e32 v2, v1
	v_mov_b32_e32 v3, v1
	;; [unrolled: 1-line block ×3, first 2 shown]
	scratch_store_b128 off, v[1:4], off offset:96
	s_waitcnt vmcnt(0)
	ds_store_b128 v42, v[5:8]
.LBB30_187:
	s_or_b32 exec_lo, exec_lo, s2
	s_waitcnt lgkmcnt(0)
	s_waitcnt_vscnt null, 0x0
	s_barrier
	buffer_gl0_inv
	s_clause 0x8
	scratch_load_b128 v[2:5], off, off offset:112
	scratch_load_b128 v[6:9], off, off offset:128
	;; [unrolled: 1-line block ×9, first 2 shown]
	ds_load_b128 v[38:41], v1 offset:608
	ds_load_b128 v[139:142], v1 offset:624
	s_clause 0x1
	scratch_load_b128 v[143:146], off, off offset:96
	scratch_load_b128 v[147:150], off, off offset:256
	s_mov_b32 s2, exec_lo
	ds_load_b128 v[151:154], v1 offset:656
	s_waitcnt vmcnt(10) lgkmcnt(2)
	v_mul_f64 v[43:44], v[40:41], v[4:5]
	v_mul_f64 v[4:5], v[38:39], v[4:5]
	s_waitcnt vmcnt(9) lgkmcnt(1)
	v_mul_f64 v[155:156], v[139:140], v[8:9]
	v_mul_f64 v[8:9], v[141:142], v[8:9]
	s_delay_alu instid0(VALU_DEP_4) | instskip(NEXT) | instid1(VALU_DEP_4)
	v_fma_f64 v[43:44], v[38:39], v[2:3], -v[43:44]
	v_fma_f64 v[157:158], v[40:41], v[2:3], v[4:5]
	ds_load_b128 v[2:5], v1 offset:640
	scratch_load_b128 v[38:41], off, off offset:272
	v_fma_f64 v[141:142], v[141:142], v[6:7], v[155:156]
	v_fma_f64 v[139:140], v[139:140], v[6:7], -v[8:9]
	scratch_load_b128 v[6:9], off, off offset:288
	s_waitcnt vmcnt(10) lgkmcnt(0)
	v_mul_f64 v[159:160], v[2:3], v[12:13]
	v_mul_f64 v[12:13], v[4:5], v[12:13]
	v_add_f64 v[43:44], v[43:44], 0
	v_add_f64 v[155:156], v[157:158], 0
	s_waitcnt vmcnt(9)
	v_mul_f64 v[157:158], v[151:152], v[16:17]
	v_mul_f64 v[16:17], v[153:154], v[16:17]
	v_fma_f64 v[159:160], v[4:5], v[10:11], v[159:160]
	v_fma_f64 v[161:162], v[2:3], v[10:11], -v[12:13]
	ds_load_b128 v[2:5], v1 offset:672
	scratch_load_b128 v[10:13], off, off offset:304
	v_add_f64 v[43:44], v[43:44], v[139:140]
	v_add_f64 v[155:156], v[155:156], v[141:142]
	ds_load_b128 v[139:142], v1 offset:688
	v_fma_f64 v[153:154], v[153:154], v[14:15], v[157:158]
	v_fma_f64 v[151:152], v[151:152], v[14:15], -v[16:17]
	scratch_load_b128 v[14:17], off, off offset:320
	s_waitcnt vmcnt(10) lgkmcnt(1)
	v_mul_f64 v[163:164], v[2:3], v[20:21]
	v_mul_f64 v[20:21], v[4:5], v[20:21]
	s_waitcnt vmcnt(9) lgkmcnt(0)
	v_mul_f64 v[157:158], v[139:140], v[24:25]
	v_mul_f64 v[24:25], v[141:142], v[24:25]
	v_add_f64 v[43:44], v[43:44], v[161:162]
	v_add_f64 v[155:156], v[155:156], v[159:160]
	v_fma_f64 v[159:160], v[4:5], v[18:19], v[163:164]
	v_fma_f64 v[161:162], v[2:3], v[18:19], -v[20:21]
	ds_load_b128 v[2:5], v1 offset:704
	scratch_load_b128 v[18:21], off, off offset:336
	v_fma_f64 v[141:142], v[141:142], v[22:23], v[157:158]
	v_fma_f64 v[139:140], v[139:140], v[22:23], -v[24:25]
	scratch_load_b128 v[22:25], off, off offset:352
	v_add_f64 v[43:44], v[43:44], v[151:152]
	v_add_f64 v[155:156], v[155:156], v[153:154]
	ds_load_b128 v[151:154], v1 offset:720
	s_waitcnt vmcnt(10) lgkmcnt(1)
	v_mul_f64 v[163:164], v[2:3], v[28:29]
	v_mul_f64 v[28:29], v[4:5], v[28:29]
	s_waitcnt vmcnt(9) lgkmcnt(0)
	v_mul_f64 v[157:158], v[151:152], v[32:33]
	v_mul_f64 v[32:33], v[153:154], v[32:33]
	v_add_f64 v[43:44], v[43:44], v[161:162]
	v_add_f64 v[155:156], v[155:156], v[159:160]
	v_fma_f64 v[159:160], v[4:5], v[26:27], v[163:164]
	v_fma_f64 v[161:162], v[2:3], v[26:27], -v[28:29]
	ds_load_b128 v[2:5], v1 offset:736
	scratch_load_b128 v[26:29], off, off offset:368
	v_fma_f64 v[153:154], v[153:154], v[30:31], v[157:158]
	v_fma_f64 v[151:152], v[151:152], v[30:31], -v[32:33]
	scratch_load_b128 v[30:33], off, off offset:384
	v_add_f64 v[43:44], v[43:44], v[139:140]
	v_add_f64 v[155:156], v[155:156], v[141:142]
	ds_load_b128 v[139:142], v1 offset:752
	s_waitcnt vmcnt(10) lgkmcnt(1)
	v_mul_f64 v[163:164], v[2:3], v[36:37]
	v_mul_f64 v[36:37], v[4:5], v[36:37]
	s_waitcnt vmcnt(8) lgkmcnt(0)
	v_mul_f64 v[157:158], v[139:140], v[149:150]
	v_add_f64 v[43:44], v[43:44], v[161:162]
	v_add_f64 v[155:156], v[155:156], v[159:160]
	v_mul_f64 v[159:160], v[141:142], v[149:150]
	v_fma_f64 v[161:162], v[4:5], v[34:35], v[163:164]
	v_fma_f64 v[163:164], v[2:3], v[34:35], -v[36:37]
	ds_load_b128 v[2:5], v1 offset:768
	scratch_load_b128 v[34:37], off, off offset:400
	v_fma_f64 v[157:158], v[141:142], v[147:148], v[157:158]
	v_add_f64 v[43:44], v[43:44], v[151:152]
	v_add_f64 v[153:154], v[155:156], v[153:154]
	ds_load_b128 v[149:152], v1 offset:784
	v_fma_f64 v[147:148], v[139:140], v[147:148], -v[159:160]
	scratch_load_b128 v[139:142], off, off offset:416
	s_waitcnt vmcnt(9) lgkmcnt(1)
	v_mul_f64 v[155:156], v[2:3], v[40:41]
	v_mul_f64 v[40:41], v[4:5], v[40:41]
	s_waitcnt vmcnt(8) lgkmcnt(0)
	v_mul_f64 v[159:160], v[149:150], v[8:9]
	v_mul_f64 v[8:9], v[151:152], v[8:9]
	v_add_f64 v[43:44], v[43:44], v[163:164]
	v_add_f64 v[153:154], v[153:154], v[161:162]
	v_fma_f64 v[161:162], v[4:5], v[38:39], v[155:156]
	v_fma_f64 v[163:164], v[2:3], v[38:39], -v[40:41]
	ds_load_b128 v[2:5], v1 offset:800
	scratch_load_b128 v[38:41], off, off offset:432
	v_fma_f64 v[151:152], v[151:152], v[6:7], v[159:160]
	v_fma_f64 v[149:150], v[149:150], v[6:7], -v[8:9]
	scratch_load_b128 v[6:9], off, off offset:448
	v_add_f64 v[43:44], v[43:44], v[147:148]
	v_add_f64 v[147:148], v[153:154], v[157:158]
	ds_load_b128 v[153:156], v1 offset:816
	s_waitcnt vmcnt(9) lgkmcnt(1)
	v_mul_f64 v[157:158], v[2:3], v[12:13]
	v_mul_f64 v[12:13], v[4:5], v[12:13]
	s_waitcnt vmcnt(8) lgkmcnt(0)
	v_mul_f64 v[159:160], v[153:154], v[16:17]
	v_mul_f64 v[16:17], v[155:156], v[16:17]
	v_add_f64 v[43:44], v[43:44], v[163:164]
	v_add_f64 v[147:148], v[147:148], v[161:162]
	v_fma_f64 v[157:158], v[4:5], v[10:11], v[157:158]
	v_fma_f64 v[161:162], v[2:3], v[10:11], -v[12:13]
	ds_load_b128 v[2:5], v1 offset:832
	scratch_load_b128 v[10:13], off, off offset:464
	v_fma_f64 v[155:156], v[155:156], v[14:15], v[159:160]
	v_fma_f64 v[153:154], v[153:154], v[14:15], -v[16:17]
	scratch_load_b128 v[14:17], off, off offset:480
	v_add_f64 v[43:44], v[43:44], v[149:150]
	v_add_f64 v[151:152], v[147:148], v[151:152]
	ds_load_b128 v[147:150], v1 offset:848
	s_waitcnt vmcnt(9) lgkmcnt(1)
	v_mul_f64 v[163:164], v[2:3], v[20:21]
	v_mul_f64 v[20:21], v[4:5], v[20:21]
	v_add_f64 v[43:44], v[43:44], v[161:162]
	v_add_f64 v[151:152], v[151:152], v[157:158]
	s_waitcnt vmcnt(8) lgkmcnt(0)
	v_mul_f64 v[157:158], v[147:148], v[24:25]
	v_mul_f64 v[24:25], v[149:150], v[24:25]
	v_fma_f64 v[159:160], v[4:5], v[18:19], v[163:164]
	v_fma_f64 v[161:162], v[2:3], v[18:19], -v[20:21]
	ds_load_b128 v[2:5], v1 offset:864
	ds_load_b128 v[18:21], v1 offset:880
	v_add_f64 v[43:44], v[43:44], v[153:154]
	v_add_f64 v[151:152], v[151:152], v[155:156]
	s_waitcnt vmcnt(7) lgkmcnt(1)
	v_mul_f64 v[153:154], v[2:3], v[28:29]
	v_mul_f64 v[28:29], v[4:5], v[28:29]
	v_fma_f64 v[149:150], v[149:150], v[22:23], v[157:158]
	v_fma_f64 v[22:23], v[147:148], v[22:23], -v[24:25]
	s_waitcnt vmcnt(6) lgkmcnt(0)
	v_mul_f64 v[147:148], v[18:19], v[32:33]
	v_mul_f64 v[32:33], v[20:21], v[32:33]
	v_add_f64 v[24:25], v[43:44], v[161:162]
	v_add_f64 v[43:44], v[151:152], v[159:160]
	v_fma_f64 v[151:152], v[4:5], v[26:27], v[153:154]
	v_fma_f64 v[26:27], v[2:3], v[26:27], -v[28:29]
	v_fma_f64 v[20:21], v[20:21], v[30:31], v[147:148]
	v_fma_f64 v[18:19], v[18:19], v[30:31], -v[32:33]
	v_add_f64 v[28:29], v[24:25], v[22:23]
	v_add_f64 v[43:44], v[43:44], v[149:150]
	ds_load_b128 v[2:5], v1 offset:896
	ds_load_b128 v[22:25], v1 offset:912
	s_waitcnt vmcnt(5) lgkmcnt(1)
	v_mul_f64 v[149:150], v[2:3], v[36:37]
	v_mul_f64 v[36:37], v[4:5], v[36:37]
	s_waitcnt vmcnt(4) lgkmcnt(0)
	v_mul_f64 v[30:31], v[22:23], v[141:142]
	v_mul_f64 v[32:33], v[24:25], v[141:142]
	v_add_f64 v[26:27], v[28:29], v[26:27]
	v_add_f64 v[28:29], v[43:44], v[151:152]
	v_fma_f64 v[43:44], v[4:5], v[34:35], v[149:150]
	v_fma_f64 v[34:35], v[2:3], v[34:35], -v[36:37]
	v_fma_f64 v[24:25], v[24:25], v[139:140], v[30:31]
	v_fma_f64 v[22:23], v[22:23], v[139:140], -v[32:33]
	v_add_f64 v[26:27], v[26:27], v[18:19]
	v_add_f64 v[28:29], v[28:29], v[20:21]
	ds_load_b128 v[2:5], v1 offset:928
	ds_load_b128 v[18:21], v1 offset:944
	s_waitcnt vmcnt(3) lgkmcnt(1)
	v_mul_f64 v[36:37], v[2:3], v[40:41]
	v_mul_f64 v[40:41], v[4:5], v[40:41]
	;; [unrolled: 16-line block ×3, first 2 shown]
	v_add_f64 v[8:9], v[26:27], v[34:35]
	v_add_f64 v[18:19], v[28:29], v[32:33]
	s_waitcnt vmcnt(0) lgkmcnt(0)
	v_mul_f64 v[26:27], v[22:23], v[16:17]
	v_mul_f64 v[16:17], v[24:25], v[16:17]
	v_fma_f64 v[4:5], v[4:5], v[10:11], v[36:37]
	v_fma_f64 v[1:2], v[2:3], v[10:11], -v[12:13]
	v_add_f64 v[6:7], v[8:9], v[6:7]
	v_add_f64 v[8:9], v[18:19], v[20:21]
	v_fma_f64 v[10:11], v[24:25], v[14:15], v[26:27]
	v_fma_f64 v[12:13], v[22:23], v[14:15], -v[16:17]
	s_delay_alu instid0(VALU_DEP_4) | instskip(NEXT) | instid1(VALU_DEP_4)
	v_add_f64 v[1:2], v[6:7], v[1:2]
	v_add_f64 v[3:4], v[8:9], v[4:5]
	s_delay_alu instid0(VALU_DEP_2) | instskip(NEXT) | instid1(VALU_DEP_2)
	v_add_f64 v[1:2], v[1:2], v[12:13]
	v_add_f64 v[3:4], v[3:4], v[10:11]
	s_delay_alu instid0(VALU_DEP_2) | instskip(NEXT) | instid1(VALU_DEP_2)
	v_add_f64 v[1:2], v[143:144], -v[1:2]
	v_add_f64 v[3:4], v[145:146], -v[3:4]
	scratch_store_b128 off, v[1:4], off offset:96
	v_cmpx_lt_u32_e32 5, v108
	s_cbranch_execz .LBB30_189
; %bb.188:
	scratch_load_b128 v[1:4], v130, off
	v_mov_b32_e32 v5, 0
	s_delay_alu instid0(VALU_DEP_1)
	v_mov_b32_e32 v6, v5
	v_mov_b32_e32 v7, v5
	;; [unrolled: 1-line block ×3, first 2 shown]
	scratch_store_b128 off, v[5:8], off offset:80
	s_waitcnt vmcnt(0)
	ds_store_b128 v42, v[1:4]
.LBB30_189:
	s_or_b32 exec_lo, exec_lo, s2
	s_waitcnt lgkmcnt(0)
	s_waitcnt_vscnt null, 0x0
	s_barrier
	buffer_gl0_inv
	s_clause 0x7
	scratch_load_b128 v[2:5], off, off offset:96
	scratch_load_b128 v[6:9], off, off offset:112
	;; [unrolled: 1-line block ×8, first 2 shown]
	v_mov_b32_e32 v1, 0
	s_mov_b32 s2, exec_lo
	ds_load_b128 v[34:37], v1 offset:592
	s_clause 0x1
	scratch_load_b128 v[38:41], off, off offset:224
	scratch_load_b128 v[139:142], off, off offset:80
	ds_load_b128 v[143:146], v1 offset:608
	scratch_load_b128 v[147:150], off, off offset:240
	ds_load_b128 v[151:154], v1 offset:640
	s_waitcnt vmcnt(10) lgkmcnt(2)
	v_mul_f64 v[43:44], v[36:37], v[4:5]
	v_mul_f64 v[4:5], v[34:35], v[4:5]
	s_delay_alu instid0(VALU_DEP_2) | instskip(NEXT) | instid1(VALU_DEP_2)
	v_fma_f64 v[43:44], v[34:35], v[2:3], -v[43:44]
	v_fma_f64 v[157:158], v[36:37], v[2:3], v[4:5]
	ds_load_b128 v[2:5], v1 offset:624
	s_waitcnt vmcnt(9) lgkmcnt(2)
	v_mul_f64 v[155:156], v[143:144], v[8:9]
	v_mul_f64 v[8:9], v[145:146], v[8:9]
	scratch_load_b128 v[34:37], off, off offset:256
	s_waitcnt vmcnt(9) lgkmcnt(0)
	v_mul_f64 v[159:160], v[2:3], v[12:13]
	v_mul_f64 v[12:13], v[4:5], v[12:13]
	v_add_f64 v[43:44], v[43:44], 0
	v_fma_f64 v[145:146], v[145:146], v[6:7], v[155:156]
	v_fma_f64 v[143:144], v[143:144], v[6:7], -v[8:9]
	v_add_f64 v[155:156], v[157:158], 0
	scratch_load_b128 v[6:9], off, off offset:272
	v_fma_f64 v[159:160], v[4:5], v[10:11], v[159:160]
	v_fma_f64 v[161:162], v[2:3], v[10:11], -v[12:13]
	scratch_load_b128 v[10:13], off, off offset:288
	ds_load_b128 v[2:5], v1 offset:656
	s_waitcnt vmcnt(10)
	v_mul_f64 v[157:158], v[151:152], v[16:17]
	v_mul_f64 v[16:17], v[153:154], v[16:17]
	v_add_f64 v[43:44], v[43:44], v[143:144]
	v_add_f64 v[155:156], v[155:156], v[145:146]
	ds_load_b128 v[143:146], v1 offset:672
	s_waitcnt vmcnt(9) lgkmcnt(1)
	v_mul_f64 v[163:164], v[2:3], v[20:21]
	v_mul_f64 v[20:21], v[4:5], v[20:21]
	v_fma_f64 v[153:154], v[153:154], v[14:15], v[157:158]
	v_fma_f64 v[151:152], v[151:152], v[14:15], -v[16:17]
	scratch_load_b128 v[14:17], off, off offset:304
	v_add_f64 v[43:44], v[43:44], v[161:162]
	v_add_f64 v[155:156], v[155:156], v[159:160]
	v_fma_f64 v[159:160], v[4:5], v[18:19], v[163:164]
	v_fma_f64 v[161:162], v[2:3], v[18:19], -v[20:21]
	scratch_load_b128 v[18:21], off, off offset:320
	ds_load_b128 v[2:5], v1 offset:688
	s_waitcnt vmcnt(10) lgkmcnt(1)
	v_mul_f64 v[157:158], v[143:144], v[24:25]
	v_mul_f64 v[24:25], v[145:146], v[24:25]
	s_waitcnt vmcnt(9) lgkmcnt(0)
	v_mul_f64 v[163:164], v[2:3], v[28:29]
	v_mul_f64 v[28:29], v[4:5], v[28:29]
	v_add_f64 v[43:44], v[43:44], v[151:152]
	v_add_f64 v[155:156], v[155:156], v[153:154]
	ds_load_b128 v[151:154], v1 offset:704
	v_fma_f64 v[145:146], v[145:146], v[22:23], v[157:158]
	v_fma_f64 v[143:144], v[143:144], v[22:23], -v[24:25]
	scratch_load_b128 v[22:25], off, off offset:336
	v_add_f64 v[43:44], v[43:44], v[161:162]
	v_add_f64 v[155:156], v[155:156], v[159:160]
	v_fma_f64 v[159:160], v[4:5], v[26:27], v[163:164]
	v_fma_f64 v[161:162], v[2:3], v[26:27], -v[28:29]
	scratch_load_b128 v[26:29], off, off offset:352
	ds_load_b128 v[2:5], v1 offset:720
	s_waitcnt vmcnt(10) lgkmcnt(1)
	v_mul_f64 v[157:158], v[151:152], v[32:33]
	v_mul_f64 v[32:33], v[153:154], v[32:33]
	s_waitcnt vmcnt(9) lgkmcnt(0)
	v_mul_f64 v[163:164], v[2:3], v[40:41]
	v_mul_f64 v[40:41], v[4:5], v[40:41]
	v_add_f64 v[43:44], v[43:44], v[143:144]
	v_add_f64 v[155:156], v[155:156], v[145:146]
	ds_load_b128 v[143:146], v1 offset:736
	v_fma_f64 v[153:154], v[153:154], v[30:31], v[157:158]
	v_fma_f64 v[151:152], v[151:152], v[30:31], -v[32:33]
	scratch_load_b128 v[30:33], off, off offset:368
	v_add_f64 v[43:44], v[43:44], v[161:162]
	v_add_f64 v[155:156], v[155:156], v[159:160]
	v_fma_f64 v[161:162], v[4:5], v[38:39], v[163:164]
	v_fma_f64 v[163:164], v[2:3], v[38:39], -v[40:41]
	scratch_load_b128 v[38:41], off, off offset:384
	ds_load_b128 v[2:5], v1 offset:752
	s_waitcnt vmcnt(9) lgkmcnt(1)
	v_mul_f64 v[157:158], v[143:144], v[149:150]
	v_mul_f64 v[159:160], v[145:146], v[149:150]
	v_add_f64 v[43:44], v[43:44], v[151:152]
	v_add_f64 v[153:154], v[155:156], v[153:154]
	ds_load_b128 v[149:152], v1 offset:768
	v_fma_f64 v[157:158], v[145:146], v[147:148], v[157:158]
	v_fma_f64 v[147:148], v[143:144], v[147:148], -v[159:160]
	scratch_load_b128 v[143:146], off, off offset:400
	s_waitcnt vmcnt(9) lgkmcnt(1)
	v_mul_f64 v[155:156], v[2:3], v[36:37]
	v_mul_f64 v[36:37], v[4:5], v[36:37]
	v_add_f64 v[43:44], v[43:44], v[163:164]
	v_add_f64 v[153:154], v[153:154], v[161:162]
	s_delay_alu instid0(VALU_DEP_4) | instskip(NEXT) | instid1(VALU_DEP_4)
	v_fma_f64 v[161:162], v[4:5], v[34:35], v[155:156]
	v_fma_f64 v[163:164], v[2:3], v[34:35], -v[36:37]
	scratch_load_b128 v[34:37], off, off offset:416
	ds_load_b128 v[2:5], v1 offset:784
	s_waitcnt vmcnt(9) lgkmcnt(1)
	v_mul_f64 v[159:160], v[149:150], v[8:9]
	v_mul_f64 v[8:9], v[151:152], v[8:9]
	v_add_f64 v[43:44], v[43:44], v[147:148]
	v_add_f64 v[147:148], v[153:154], v[157:158]
	s_waitcnt vmcnt(8) lgkmcnt(0)
	v_mul_f64 v[157:158], v[2:3], v[12:13]
	v_mul_f64 v[12:13], v[4:5], v[12:13]
	ds_load_b128 v[153:156], v1 offset:800
	v_fma_f64 v[151:152], v[151:152], v[6:7], v[159:160]
	v_fma_f64 v[149:150], v[149:150], v[6:7], -v[8:9]
	scratch_load_b128 v[6:9], off, off offset:432
	v_add_f64 v[43:44], v[43:44], v[163:164]
	v_add_f64 v[147:148], v[147:148], v[161:162]
	v_fma_f64 v[157:158], v[4:5], v[10:11], v[157:158]
	v_fma_f64 v[161:162], v[2:3], v[10:11], -v[12:13]
	scratch_load_b128 v[10:13], off, off offset:448
	ds_load_b128 v[2:5], v1 offset:816
	s_waitcnt vmcnt(9) lgkmcnt(1)
	v_mul_f64 v[159:160], v[153:154], v[16:17]
	v_mul_f64 v[16:17], v[155:156], v[16:17]
	s_waitcnt vmcnt(8) lgkmcnt(0)
	v_mul_f64 v[163:164], v[2:3], v[20:21]
	v_mul_f64 v[20:21], v[4:5], v[20:21]
	v_add_f64 v[43:44], v[43:44], v[149:150]
	v_add_f64 v[151:152], v[147:148], v[151:152]
	ds_load_b128 v[147:150], v1 offset:832
	v_fma_f64 v[155:156], v[155:156], v[14:15], v[159:160]
	v_fma_f64 v[153:154], v[153:154], v[14:15], -v[16:17]
	scratch_load_b128 v[14:17], off, off offset:464
	v_fma_f64 v[159:160], v[4:5], v[18:19], v[163:164]
	v_add_f64 v[43:44], v[43:44], v[161:162]
	v_add_f64 v[151:152], v[151:152], v[157:158]
	v_fma_f64 v[161:162], v[2:3], v[18:19], -v[20:21]
	scratch_load_b128 v[18:21], off, off offset:480
	ds_load_b128 v[2:5], v1 offset:848
	s_waitcnt vmcnt(9) lgkmcnt(1)
	v_mul_f64 v[157:158], v[147:148], v[24:25]
	v_mul_f64 v[24:25], v[149:150], v[24:25]
	s_waitcnt vmcnt(8) lgkmcnt(0)
	v_mul_f64 v[163:164], v[2:3], v[28:29]
	v_mul_f64 v[28:29], v[4:5], v[28:29]
	v_add_f64 v[43:44], v[43:44], v[153:154]
	v_add_f64 v[155:156], v[151:152], v[155:156]
	ds_load_b128 v[151:154], v1 offset:864
	v_fma_f64 v[149:150], v[149:150], v[22:23], v[157:158]
	v_fma_f64 v[22:23], v[147:148], v[22:23], -v[24:25]
	s_waitcnt vmcnt(7) lgkmcnt(0)
	v_mul_f64 v[147:148], v[151:152], v[32:33]
	v_mul_f64 v[32:33], v[153:154], v[32:33]
	v_add_f64 v[24:25], v[43:44], v[161:162]
	v_add_f64 v[43:44], v[155:156], v[159:160]
	v_fma_f64 v[155:156], v[4:5], v[26:27], v[163:164]
	v_fma_f64 v[26:27], v[2:3], v[26:27], -v[28:29]
	v_fma_f64 v[147:148], v[153:154], v[30:31], v[147:148]
	v_fma_f64 v[30:31], v[151:152], v[30:31], -v[32:33]
	v_add_f64 v[28:29], v[24:25], v[22:23]
	v_add_f64 v[43:44], v[43:44], v[149:150]
	ds_load_b128 v[2:5], v1 offset:880
	ds_load_b128 v[22:25], v1 offset:896
	s_waitcnt vmcnt(6) lgkmcnt(1)
	v_mul_f64 v[149:150], v[2:3], v[40:41]
	v_mul_f64 v[40:41], v[4:5], v[40:41]
	s_waitcnt vmcnt(5) lgkmcnt(0)
	v_mul_f64 v[32:33], v[22:23], v[145:146]
	v_add_f64 v[26:27], v[28:29], v[26:27]
	v_add_f64 v[28:29], v[43:44], v[155:156]
	v_mul_f64 v[43:44], v[24:25], v[145:146]
	v_fma_f64 v[145:146], v[4:5], v[38:39], v[149:150]
	v_fma_f64 v[38:39], v[2:3], v[38:39], -v[40:41]
	v_fma_f64 v[24:25], v[24:25], v[143:144], v[32:33]
	v_add_f64 v[30:31], v[26:27], v[30:31]
	v_add_f64 v[40:41], v[28:29], v[147:148]
	ds_load_b128 v[2:5], v1 offset:912
	ds_load_b128 v[26:29], v1 offset:928
	v_fma_f64 v[22:23], v[22:23], v[143:144], -v[43:44]
	s_waitcnt vmcnt(4) lgkmcnt(1)
	v_mul_f64 v[147:148], v[2:3], v[36:37]
	v_mul_f64 v[36:37], v[4:5], v[36:37]
	v_add_f64 v[30:31], v[30:31], v[38:39]
	v_add_f64 v[32:33], v[40:41], v[145:146]
	s_waitcnt vmcnt(3) lgkmcnt(0)
	v_mul_f64 v[38:39], v[26:27], v[8:9]
	v_mul_f64 v[8:9], v[28:29], v[8:9]
	v_fma_f64 v[40:41], v[4:5], v[34:35], v[147:148]
	v_fma_f64 v[34:35], v[2:3], v[34:35], -v[36:37]
	v_add_f64 v[30:31], v[30:31], v[22:23]
	v_add_f64 v[32:33], v[32:33], v[24:25]
	ds_load_b128 v[2:5], v1 offset:944
	ds_load_b128 v[22:25], v1 offset:960
	v_fma_f64 v[28:29], v[28:29], v[6:7], v[38:39]
	v_fma_f64 v[6:7], v[26:27], v[6:7], -v[8:9]
	s_waitcnt vmcnt(2) lgkmcnt(1)
	v_mul_f64 v[36:37], v[2:3], v[12:13]
	v_mul_f64 v[12:13], v[4:5], v[12:13]
	v_add_f64 v[8:9], v[30:31], v[34:35]
	v_add_f64 v[26:27], v[32:33], v[40:41]
	s_waitcnt vmcnt(1) lgkmcnt(0)
	v_mul_f64 v[30:31], v[22:23], v[16:17]
	v_mul_f64 v[16:17], v[24:25], v[16:17]
	v_fma_f64 v[32:33], v[4:5], v[10:11], v[36:37]
	v_fma_f64 v[10:11], v[2:3], v[10:11], -v[12:13]
	ds_load_b128 v[2:5], v1 offset:976
	v_add_f64 v[6:7], v[8:9], v[6:7]
	v_add_f64 v[8:9], v[26:27], v[28:29]
	v_fma_f64 v[24:25], v[24:25], v[14:15], v[30:31]
	v_fma_f64 v[14:15], v[22:23], v[14:15], -v[16:17]
	s_waitcnt vmcnt(0) lgkmcnt(0)
	v_mul_f64 v[12:13], v[2:3], v[20:21]
	v_mul_f64 v[20:21], v[4:5], v[20:21]
	v_add_f64 v[6:7], v[6:7], v[10:11]
	v_add_f64 v[8:9], v[8:9], v[32:33]
	s_delay_alu instid0(VALU_DEP_4) | instskip(NEXT) | instid1(VALU_DEP_4)
	v_fma_f64 v[4:5], v[4:5], v[18:19], v[12:13]
	v_fma_f64 v[2:3], v[2:3], v[18:19], -v[20:21]
	s_delay_alu instid0(VALU_DEP_4) | instskip(NEXT) | instid1(VALU_DEP_4)
	v_add_f64 v[6:7], v[6:7], v[14:15]
	v_add_f64 v[8:9], v[8:9], v[24:25]
	s_delay_alu instid0(VALU_DEP_2) | instskip(NEXT) | instid1(VALU_DEP_2)
	v_add_f64 v[2:3], v[6:7], v[2:3]
	v_add_f64 v[4:5], v[8:9], v[4:5]
	s_delay_alu instid0(VALU_DEP_2) | instskip(NEXT) | instid1(VALU_DEP_2)
	v_add_f64 v[2:3], v[139:140], -v[2:3]
	v_add_f64 v[4:5], v[141:142], -v[4:5]
	scratch_store_b128 off, v[2:5], off offset:80
	v_cmpx_lt_u32_e32 4, v108
	s_cbranch_execz .LBB30_191
; %bb.190:
	scratch_load_b128 v[5:8], v109, off
	v_mov_b32_e32 v2, v1
	v_mov_b32_e32 v3, v1
	;; [unrolled: 1-line block ×3, first 2 shown]
	scratch_store_b128 off, v[1:4], off offset:64
	s_waitcnt vmcnt(0)
	ds_store_b128 v42, v[5:8]
.LBB30_191:
	s_or_b32 exec_lo, exec_lo, s2
	s_waitcnt lgkmcnt(0)
	s_waitcnt_vscnt null, 0x0
	s_barrier
	buffer_gl0_inv
	s_clause 0x8
	scratch_load_b128 v[2:5], off, off offset:80
	scratch_load_b128 v[6:9], off, off offset:96
	scratch_load_b128 v[10:13], off, off offset:112
	scratch_load_b128 v[14:17], off, off offset:128
	scratch_load_b128 v[18:21], off, off offset:144
	scratch_load_b128 v[22:25], off, off offset:160
	scratch_load_b128 v[26:29], off, off offset:176
	scratch_load_b128 v[30:33], off, off offset:192
	scratch_load_b128 v[34:37], off, off offset:208
	ds_load_b128 v[38:41], v1 offset:576
	ds_load_b128 v[139:142], v1 offset:592
	s_clause 0x1
	scratch_load_b128 v[143:146], off, off offset:64
	scratch_load_b128 v[147:150], off, off offset:224
	s_mov_b32 s2, exec_lo
	ds_load_b128 v[151:154], v1 offset:624
	s_waitcnt vmcnt(10) lgkmcnt(2)
	v_mul_f64 v[43:44], v[40:41], v[4:5]
	v_mul_f64 v[4:5], v[38:39], v[4:5]
	s_waitcnt vmcnt(9) lgkmcnt(1)
	v_mul_f64 v[155:156], v[139:140], v[8:9]
	v_mul_f64 v[8:9], v[141:142], v[8:9]
	s_delay_alu instid0(VALU_DEP_4) | instskip(NEXT) | instid1(VALU_DEP_4)
	v_fma_f64 v[43:44], v[38:39], v[2:3], -v[43:44]
	v_fma_f64 v[157:158], v[40:41], v[2:3], v[4:5]
	ds_load_b128 v[2:5], v1 offset:608
	scratch_load_b128 v[38:41], off, off offset:240
	v_fma_f64 v[141:142], v[141:142], v[6:7], v[155:156]
	v_fma_f64 v[139:140], v[139:140], v[6:7], -v[8:9]
	scratch_load_b128 v[6:9], off, off offset:256
	s_waitcnt vmcnt(10) lgkmcnt(0)
	v_mul_f64 v[159:160], v[2:3], v[12:13]
	v_mul_f64 v[12:13], v[4:5], v[12:13]
	v_add_f64 v[43:44], v[43:44], 0
	v_add_f64 v[155:156], v[157:158], 0
	s_waitcnt vmcnt(9)
	v_mul_f64 v[157:158], v[151:152], v[16:17]
	v_mul_f64 v[16:17], v[153:154], v[16:17]
	v_fma_f64 v[159:160], v[4:5], v[10:11], v[159:160]
	v_fma_f64 v[161:162], v[2:3], v[10:11], -v[12:13]
	ds_load_b128 v[2:5], v1 offset:640
	scratch_load_b128 v[10:13], off, off offset:272
	v_add_f64 v[43:44], v[43:44], v[139:140]
	v_add_f64 v[155:156], v[155:156], v[141:142]
	ds_load_b128 v[139:142], v1 offset:656
	v_fma_f64 v[153:154], v[153:154], v[14:15], v[157:158]
	v_fma_f64 v[151:152], v[151:152], v[14:15], -v[16:17]
	scratch_load_b128 v[14:17], off, off offset:288
	s_waitcnt vmcnt(10) lgkmcnt(1)
	v_mul_f64 v[163:164], v[2:3], v[20:21]
	v_mul_f64 v[20:21], v[4:5], v[20:21]
	s_waitcnt vmcnt(9) lgkmcnt(0)
	v_mul_f64 v[157:158], v[139:140], v[24:25]
	v_mul_f64 v[24:25], v[141:142], v[24:25]
	v_add_f64 v[43:44], v[43:44], v[161:162]
	v_add_f64 v[155:156], v[155:156], v[159:160]
	v_fma_f64 v[159:160], v[4:5], v[18:19], v[163:164]
	v_fma_f64 v[161:162], v[2:3], v[18:19], -v[20:21]
	ds_load_b128 v[2:5], v1 offset:672
	scratch_load_b128 v[18:21], off, off offset:304
	v_fma_f64 v[141:142], v[141:142], v[22:23], v[157:158]
	v_fma_f64 v[139:140], v[139:140], v[22:23], -v[24:25]
	scratch_load_b128 v[22:25], off, off offset:320
	v_add_f64 v[43:44], v[43:44], v[151:152]
	v_add_f64 v[155:156], v[155:156], v[153:154]
	ds_load_b128 v[151:154], v1 offset:688
	s_waitcnt vmcnt(10) lgkmcnt(1)
	v_mul_f64 v[163:164], v[2:3], v[28:29]
	v_mul_f64 v[28:29], v[4:5], v[28:29]
	s_waitcnt vmcnt(9) lgkmcnt(0)
	v_mul_f64 v[157:158], v[151:152], v[32:33]
	v_mul_f64 v[32:33], v[153:154], v[32:33]
	v_add_f64 v[43:44], v[43:44], v[161:162]
	v_add_f64 v[155:156], v[155:156], v[159:160]
	v_fma_f64 v[159:160], v[4:5], v[26:27], v[163:164]
	v_fma_f64 v[161:162], v[2:3], v[26:27], -v[28:29]
	ds_load_b128 v[2:5], v1 offset:704
	scratch_load_b128 v[26:29], off, off offset:336
	v_fma_f64 v[153:154], v[153:154], v[30:31], v[157:158]
	v_fma_f64 v[151:152], v[151:152], v[30:31], -v[32:33]
	scratch_load_b128 v[30:33], off, off offset:352
	v_add_f64 v[43:44], v[43:44], v[139:140]
	v_add_f64 v[155:156], v[155:156], v[141:142]
	ds_load_b128 v[139:142], v1 offset:720
	s_waitcnt vmcnt(10) lgkmcnt(1)
	v_mul_f64 v[163:164], v[2:3], v[36:37]
	v_mul_f64 v[36:37], v[4:5], v[36:37]
	s_waitcnt vmcnt(8) lgkmcnt(0)
	v_mul_f64 v[157:158], v[139:140], v[149:150]
	v_add_f64 v[43:44], v[43:44], v[161:162]
	v_add_f64 v[155:156], v[155:156], v[159:160]
	v_mul_f64 v[159:160], v[141:142], v[149:150]
	v_fma_f64 v[161:162], v[4:5], v[34:35], v[163:164]
	v_fma_f64 v[163:164], v[2:3], v[34:35], -v[36:37]
	ds_load_b128 v[2:5], v1 offset:736
	scratch_load_b128 v[34:37], off, off offset:368
	v_fma_f64 v[157:158], v[141:142], v[147:148], v[157:158]
	v_add_f64 v[43:44], v[43:44], v[151:152]
	v_add_f64 v[153:154], v[155:156], v[153:154]
	ds_load_b128 v[149:152], v1 offset:752
	v_fma_f64 v[147:148], v[139:140], v[147:148], -v[159:160]
	scratch_load_b128 v[139:142], off, off offset:384
	s_waitcnt vmcnt(9) lgkmcnt(1)
	v_mul_f64 v[155:156], v[2:3], v[40:41]
	v_mul_f64 v[40:41], v[4:5], v[40:41]
	s_waitcnt vmcnt(8) lgkmcnt(0)
	v_mul_f64 v[159:160], v[149:150], v[8:9]
	v_mul_f64 v[8:9], v[151:152], v[8:9]
	v_add_f64 v[43:44], v[43:44], v[163:164]
	v_add_f64 v[153:154], v[153:154], v[161:162]
	v_fma_f64 v[161:162], v[4:5], v[38:39], v[155:156]
	v_fma_f64 v[163:164], v[2:3], v[38:39], -v[40:41]
	ds_load_b128 v[2:5], v1 offset:768
	scratch_load_b128 v[38:41], off, off offset:400
	v_fma_f64 v[151:152], v[151:152], v[6:7], v[159:160]
	v_fma_f64 v[149:150], v[149:150], v[6:7], -v[8:9]
	scratch_load_b128 v[6:9], off, off offset:416
	v_add_f64 v[43:44], v[43:44], v[147:148]
	v_add_f64 v[147:148], v[153:154], v[157:158]
	ds_load_b128 v[153:156], v1 offset:784
	s_waitcnt vmcnt(9) lgkmcnt(1)
	v_mul_f64 v[157:158], v[2:3], v[12:13]
	v_mul_f64 v[12:13], v[4:5], v[12:13]
	s_waitcnt vmcnt(8) lgkmcnt(0)
	v_mul_f64 v[159:160], v[153:154], v[16:17]
	v_mul_f64 v[16:17], v[155:156], v[16:17]
	v_add_f64 v[43:44], v[43:44], v[163:164]
	v_add_f64 v[147:148], v[147:148], v[161:162]
	v_fma_f64 v[157:158], v[4:5], v[10:11], v[157:158]
	v_fma_f64 v[161:162], v[2:3], v[10:11], -v[12:13]
	ds_load_b128 v[2:5], v1 offset:800
	scratch_load_b128 v[10:13], off, off offset:432
	v_fma_f64 v[155:156], v[155:156], v[14:15], v[159:160]
	v_fma_f64 v[153:154], v[153:154], v[14:15], -v[16:17]
	scratch_load_b128 v[14:17], off, off offset:448
	v_add_f64 v[43:44], v[43:44], v[149:150]
	v_add_f64 v[151:152], v[147:148], v[151:152]
	ds_load_b128 v[147:150], v1 offset:816
	s_waitcnt vmcnt(9) lgkmcnt(1)
	v_mul_f64 v[163:164], v[2:3], v[20:21]
	v_mul_f64 v[20:21], v[4:5], v[20:21]
	v_add_f64 v[43:44], v[43:44], v[161:162]
	v_add_f64 v[151:152], v[151:152], v[157:158]
	s_waitcnt vmcnt(8) lgkmcnt(0)
	v_mul_f64 v[157:158], v[147:148], v[24:25]
	v_mul_f64 v[24:25], v[149:150], v[24:25]
	v_fma_f64 v[159:160], v[4:5], v[18:19], v[163:164]
	v_fma_f64 v[161:162], v[2:3], v[18:19], -v[20:21]
	ds_load_b128 v[2:5], v1 offset:832
	scratch_load_b128 v[18:21], off, off offset:464
	v_add_f64 v[43:44], v[43:44], v[153:154]
	v_add_f64 v[155:156], v[151:152], v[155:156]
	ds_load_b128 v[151:154], v1 offset:848
	s_waitcnt vmcnt(8) lgkmcnt(1)
	v_mul_f64 v[163:164], v[2:3], v[28:29]
	v_mul_f64 v[28:29], v[4:5], v[28:29]
	v_fma_f64 v[149:150], v[149:150], v[22:23], v[157:158]
	v_fma_f64 v[147:148], v[147:148], v[22:23], -v[24:25]
	scratch_load_b128 v[22:25], off, off offset:480
	s_waitcnt vmcnt(8) lgkmcnt(0)
	v_mul_f64 v[157:158], v[151:152], v[32:33]
	v_mul_f64 v[32:33], v[153:154], v[32:33]
	v_add_f64 v[43:44], v[43:44], v[161:162]
	v_add_f64 v[155:156], v[155:156], v[159:160]
	v_fma_f64 v[159:160], v[4:5], v[26:27], v[163:164]
	v_fma_f64 v[161:162], v[2:3], v[26:27], -v[28:29]
	ds_load_b128 v[2:5], v1 offset:864
	ds_load_b128 v[26:29], v1 offset:880
	v_fma_f64 v[153:154], v[153:154], v[30:31], v[157:158]
	v_fma_f64 v[30:31], v[151:152], v[30:31], -v[32:33]
	v_add_f64 v[43:44], v[43:44], v[147:148]
	v_add_f64 v[147:148], v[155:156], v[149:150]
	s_waitcnt vmcnt(7) lgkmcnt(1)
	v_mul_f64 v[149:150], v[2:3], v[36:37]
	v_mul_f64 v[36:37], v[4:5], v[36:37]
	s_delay_alu instid0(VALU_DEP_4) | instskip(NEXT) | instid1(VALU_DEP_4)
	v_add_f64 v[32:33], v[43:44], v[161:162]
	v_add_f64 v[43:44], v[147:148], v[159:160]
	s_waitcnt vmcnt(6) lgkmcnt(0)
	v_mul_f64 v[147:148], v[26:27], v[141:142]
	v_mul_f64 v[141:142], v[28:29], v[141:142]
	v_fma_f64 v[149:150], v[4:5], v[34:35], v[149:150]
	v_fma_f64 v[34:35], v[2:3], v[34:35], -v[36:37]
	v_add_f64 v[36:37], v[32:33], v[30:31]
	v_add_f64 v[43:44], v[43:44], v[153:154]
	ds_load_b128 v[2:5], v1 offset:896
	ds_load_b128 v[30:33], v1 offset:912
	v_fma_f64 v[28:29], v[28:29], v[139:140], v[147:148]
	v_fma_f64 v[26:27], v[26:27], v[139:140], -v[141:142]
	s_waitcnt vmcnt(5) lgkmcnt(1)
	v_mul_f64 v[151:152], v[2:3], v[40:41]
	v_mul_f64 v[40:41], v[4:5], v[40:41]
	v_add_f64 v[34:35], v[36:37], v[34:35]
	v_add_f64 v[36:37], v[43:44], v[149:150]
	s_waitcnt vmcnt(4) lgkmcnt(0)
	v_mul_f64 v[43:44], v[30:31], v[8:9]
	v_mul_f64 v[8:9], v[32:33], v[8:9]
	v_fma_f64 v[139:140], v[4:5], v[38:39], v[151:152]
	v_fma_f64 v[38:39], v[2:3], v[38:39], -v[40:41]
	v_add_f64 v[34:35], v[34:35], v[26:27]
	v_add_f64 v[36:37], v[36:37], v[28:29]
	ds_load_b128 v[2:5], v1 offset:928
	ds_load_b128 v[26:29], v1 offset:944
	v_fma_f64 v[32:33], v[32:33], v[6:7], v[43:44]
	v_fma_f64 v[6:7], v[30:31], v[6:7], -v[8:9]
	s_waitcnt vmcnt(3) lgkmcnt(1)
	v_mul_f64 v[40:41], v[2:3], v[12:13]
	v_mul_f64 v[12:13], v[4:5], v[12:13]
	;; [unrolled: 16-line block ×3, first 2 shown]
	s_waitcnt vmcnt(0) lgkmcnt(0)
	v_mul_f64 v[16:17], v[6:7], v[24:25]
	v_mul_f64 v[24:25], v[8:9], v[24:25]
	v_add_f64 v[10:11], v[12:13], v[10:11]
	v_add_f64 v[12:13], v[30:31], v[36:37]
	v_fma_f64 v[4:5], v[4:5], v[18:19], v[32:33]
	v_fma_f64 v[1:2], v[2:3], v[18:19], -v[20:21]
	v_fma_f64 v[8:9], v[8:9], v[22:23], v[16:17]
	v_fma_f64 v[6:7], v[6:7], v[22:23], -v[24:25]
	v_add_f64 v[10:11], v[10:11], v[14:15]
	v_add_f64 v[12:13], v[12:13], v[28:29]
	s_delay_alu instid0(VALU_DEP_2) | instskip(NEXT) | instid1(VALU_DEP_2)
	v_add_f64 v[1:2], v[10:11], v[1:2]
	v_add_f64 v[3:4], v[12:13], v[4:5]
	s_delay_alu instid0(VALU_DEP_2) | instskip(NEXT) | instid1(VALU_DEP_2)
	;; [unrolled: 3-line block ×3, first 2 shown]
	v_add_f64 v[1:2], v[143:144], -v[1:2]
	v_add_f64 v[3:4], v[145:146], -v[3:4]
	scratch_store_b128 off, v[1:4], off offset:64
	v_cmpx_lt_u32_e32 3, v108
	s_cbranch_execz .LBB30_193
; %bb.192:
	scratch_load_b128 v[1:4], v110, off
	v_mov_b32_e32 v5, 0
	s_delay_alu instid0(VALU_DEP_1)
	v_mov_b32_e32 v6, v5
	v_mov_b32_e32 v7, v5
	;; [unrolled: 1-line block ×3, first 2 shown]
	scratch_store_b128 off, v[5:8], off offset:48
	s_waitcnt vmcnt(0)
	ds_store_b128 v42, v[1:4]
.LBB30_193:
	s_or_b32 exec_lo, exec_lo, s2
	s_waitcnt lgkmcnt(0)
	s_waitcnt_vscnt null, 0x0
	s_barrier
	buffer_gl0_inv
	s_clause 0x7
	scratch_load_b128 v[2:5], off, off offset:64
	scratch_load_b128 v[6:9], off, off offset:80
	;; [unrolled: 1-line block ×8, first 2 shown]
	v_mov_b32_e32 v1, 0
	s_mov_b32 s2, exec_lo
	ds_load_b128 v[38:41], v1 offset:560
	s_clause 0x1
	scratch_load_b128 v[34:37], off, off offset:192
	scratch_load_b128 v[139:142], off, off offset:48
	ds_load_b128 v[143:146], v1 offset:576
	scratch_load_b128 v[147:150], off, off offset:208
	ds_load_b128 v[151:154], v1 offset:608
	s_waitcnt vmcnt(10) lgkmcnt(2)
	v_mul_f64 v[43:44], v[40:41], v[4:5]
	v_mul_f64 v[4:5], v[38:39], v[4:5]
	s_delay_alu instid0(VALU_DEP_2) | instskip(NEXT) | instid1(VALU_DEP_2)
	v_fma_f64 v[43:44], v[38:39], v[2:3], -v[43:44]
	v_fma_f64 v[157:158], v[40:41], v[2:3], v[4:5]
	ds_load_b128 v[2:5], v1 offset:592
	s_waitcnt vmcnt(9) lgkmcnt(2)
	v_mul_f64 v[155:156], v[143:144], v[8:9]
	v_mul_f64 v[8:9], v[145:146], v[8:9]
	scratch_load_b128 v[38:41], off, off offset:224
	s_waitcnt vmcnt(9) lgkmcnt(0)
	v_mul_f64 v[159:160], v[2:3], v[12:13]
	v_mul_f64 v[12:13], v[4:5], v[12:13]
	v_add_f64 v[43:44], v[43:44], 0
	v_fma_f64 v[145:146], v[145:146], v[6:7], v[155:156]
	v_fma_f64 v[143:144], v[143:144], v[6:7], -v[8:9]
	v_add_f64 v[155:156], v[157:158], 0
	scratch_load_b128 v[6:9], off, off offset:240
	v_fma_f64 v[159:160], v[4:5], v[10:11], v[159:160]
	v_fma_f64 v[161:162], v[2:3], v[10:11], -v[12:13]
	scratch_load_b128 v[10:13], off, off offset:256
	ds_load_b128 v[2:5], v1 offset:624
	s_waitcnt vmcnt(10)
	v_mul_f64 v[157:158], v[151:152], v[16:17]
	v_mul_f64 v[16:17], v[153:154], v[16:17]
	v_add_f64 v[43:44], v[43:44], v[143:144]
	v_add_f64 v[155:156], v[155:156], v[145:146]
	ds_load_b128 v[143:146], v1 offset:640
	s_waitcnt vmcnt(9) lgkmcnt(1)
	v_mul_f64 v[163:164], v[2:3], v[20:21]
	v_mul_f64 v[20:21], v[4:5], v[20:21]
	v_fma_f64 v[153:154], v[153:154], v[14:15], v[157:158]
	v_fma_f64 v[151:152], v[151:152], v[14:15], -v[16:17]
	scratch_load_b128 v[14:17], off, off offset:272
	v_add_f64 v[43:44], v[43:44], v[161:162]
	v_add_f64 v[155:156], v[155:156], v[159:160]
	v_fma_f64 v[159:160], v[4:5], v[18:19], v[163:164]
	v_fma_f64 v[161:162], v[2:3], v[18:19], -v[20:21]
	scratch_load_b128 v[18:21], off, off offset:288
	ds_load_b128 v[2:5], v1 offset:656
	s_waitcnt vmcnt(10) lgkmcnt(1)
	v_mul_f64 v[157:158], v[143:144], v[24:25]
	v_mul_f64 v[24:25], v[145:146], v[24:25]
	s_waitcnt vmcnt(9) lgkmcnt(0)
	v_mul_f64 v[163:164], v[2:3], v[28:29]
	v_mul_f64 v[28:29], v[4:5], v[28:29]
	v_add_f64 v[43:44], v[43:44], v[151:152]
	v_add_f64 v[155:156], v[155:156], v[153:154]
	ds_load_b128 v[151:154], v1 offset:672
	v_fma_f64 v[145:146], v[145:146], v[22:23], v[157:158]
	v_fma_f64 v[143:144], v[143:144], v[22:23], -v[24:25]
	scratch_load_b128 v[22:25], off, off offset:304
	v_add_f64 v[43:44], v[43:44], v[161:162]
	v_add_f64 v[155:156], v[155:156], v[159:160]
	v_fma_f64 v[159:160], v[4:5], v[26:27], v[163:164]
	v_fma_f64 v[161:162], v[2:3], v[26:27], -v[28:29]
	scratch_load_b128 v[26:29], off, off offset:320
	ds_load_b128 v[2:5], v1 offset:688
	s_waitcnt vmcnt(10) lgkmcnt(1)
	v_mul_f64 v[157:158], v[151:152], v[32:33]
	v_mul_f64 v[32:33], v[153:154], v[32:33]
	s_waitcnt vmcnt(9) lgkmcnt(0)
	v_mul_f64 v[163:164], v[2:3], v[36:37]
	v_mul_f64 v[36:37], v[4:5], v[36:37]
	v_add_f64 v[43:44], v[43:44], v[143:144]
	v_add_f64 v[155:156], v[155:156], v[145:146]
	ds_load_b128 v[143:146], v1 offset:704
	v_fma_f64 v[153:154], v[153:154], v[30:31], v[157:158]
	v_fma_f64 v[151:152], v[151:152], v[30:31], -v[32:33]
	scratch_load_b128 v[30:33], off, off offset:336
	v_add_f64 v[43:44], v[43:44], v[161:162]
	v_add_f64 v[155:156], v[155:156], v[159:160]
	v_fma_f64 v[161:162], v[4:5], v[34:35], v[163:164]
	v_fma_f64 v[163:164], v[2:3], v[34:35], -v[36:37]
	scratch_load_b128 v[34:37], off, off offset:352
	ds_load_b128 v[2:5], v1 offset:720
	s_waitcnt vmcnt(9) lgkmcnt(1)
	v_mul_f64 v[157:158], v[143:144], v[149:150]
	v_mul_f64 v[159:160], v[145:146], v[149:150]
	v_add_f64 v[43:44], v[43:44], v[151:152]
	v_add_f64 v[153:154], v[155:156], v[153:154]
	ds_load_b128 v[149:152], v1 offset:736
	v_fma_f64 v[157:158], v[145:146], v[147:148], v[157:158]
	v_fma_f64 v[147:148], v[143:144], v[147:148], -v[159:160]
	scratch_load_b128 v[143:146], off, off offset:368
	s_waitcnt vmcnt(9) lgkmcnt(1)
	v_mul_f64 v[155:156], v[2:3], v[40:41]
	v_mul_f64 v[40:41], v[4:5], v[40:41]
	v_add_f64 v[43:44], v[43:44], v[163:164]
	v_add_f64 v[153:154], v[153:154], v[161:162]
	s_delay_alu instid0(VALU_DEP_4) | instskip(NEXT) | instid1(VALU_DEP_4)
	v_fma_f64 v[161:162], v[4:5], v[38:39], v[155:156]
	v_fma_f64 v[163:164], v[2:3], v[38:39], -v[40:41]
	scratch_load_b128 v[38:41], off, off offset:384
	ds_load_b128 v[2:5], v1 offset:752
	s_waitcnt vmcnt(9) lgkmcnt(1)
	v_mul_f64 v[159:160], v[149:150], v[8:9]
	v_mul_f64 v[8:9], v[151:152], v[8:9]
	v_add_f64 v[43:44], v[43:44], v[147:148]
	v_add_f64 v[147:148], v[153:154], v[157:158]
	s_waitcnt vmcnt(8) lgkmcnt(0)
	v_mul_f64 v[157:158], v[2:3], v[12:13]
	v_mul_f64 v[12:13], v[4:5], v[12:13]
	ds_load_b128 v[153:156], v1 offset:768
	v_fma_f64 v[151:152], v[151:152], v[6:7], v[159:160]
	v_fma_f64 v[149:150], v[149:150], v[6:7], -v[8:9]
	scratch_load_b128 v[6:9], off, off offset:400
	v_add_f64 v[43:44], v[43:44], v[163:164]
	v_add_f64 v[147:148], v[147:148], v[161:162]
	v_fma_f64 v[157:158], v[4:5], v[10:11], v[157:158]
	v_fma_f64 v[161:162], v[2:3], v[10:11], -v[12:13]
	scratch_load_b128 v[10:13], off, off offset:416
	ds_load_b128 v[2:5], v1 offset:784
	s_waitcnt vmcnt(9) lgkmcnt(1)
	v_mul_f64 v[159:160], v[153:154], v[16:17]
	v_mul_f64 v[16:17], v[155:156], v[16:17]
	s_waitcnt vmcnt(8) lgkmcnt(0)
	v_mul_f64 v[163:164], v[2:3], v[20:21]
	v_mul_f64 v[20:21], v[4:5], v[20:21]
	v_add_f64 v[43:44], v[43:44], v[149:150]
	v_add_f64 v[151:152], v[147:148], v[151:152]
	ds_load_b128 v[147:150], v1 offset:800
	v_fma_f64 v[155:156], v[155:156], v[14:15], v[159:160]
	v_fma_f64 v[153:154], v[153:154], v[14:15], -v[16:17]
	scratch_load_b128 v[14:17], off, off offset:432
	v_fma_f64 v[159:160], v[4:5], v[18:19], v[163:164]
	v_add_f64 v[43:44], v[43:44], v[161:162]
	v_add_f64 v[151:152], v[151:152], v[157:158]
	v_fma_f64 v[161:162], v[2:3], v[18:19], -v[20:21]
	scratch_load_b128 v[18:21], off, off offset:448
	ds_load_b128 v[2:5], v1 offset:816
	s_waitcnt vmcnt(9) lgkmcnt(1)
	v_mul_f64 v[157:158], v[147:148], v[24:25]
	v_mul_f64 v[24:25], v[149:150], v[24:25]
	s_waitcnt vmcnt(8) lgkmcnt(0)
	v_mul_f64 v[163:164], v[2:3], v[28:29]
	v_mul_f64 v[28:29], v[4:5], v[28:29]
	v_add_f64 v[43:44], v[43:44], v[153:154]
	v_add_f64 v[155:156], v[151:152], v[155:156]
	ds_load_b128 v[151:154], v1 offset:832
	v_fma_f64 v[149:150], v[149:150], v[22:23], v[157:158]
	v_fma_f64 v[147:148], v[147:148], v[22:23], -v[24:25]
	scratch_load_b128 v[22:25], off, off offset:464
	v_add_f64 v[43:44], v[43:44], v[161:162]
	v_add_f64 v[155:156], v[155:156], v[159:160]
	v_fma_f64 v[159:160], v[4:5], v[26:27], v[163:164]
	v_fma_f64 v[161:162], v[2:3], v[26:27], -v[28:29]
	scratch_load_b128 v[26:29], off, off offset:480
	ds_load_b128 v[2:5], v1 offset:848
	s_waitcnt vmcnt(9) lgkmcnt(1)
	v_mul_f64 v[157:158], v[151:152], v[32:33]
	v_mul_f64 v[32:33], v[153:154], v[32:33]
	s_waitcnt vmcnt(8) lgkmcnt(0)
	v_mul_f64 v[163:164], v[2:3], v[36:37]
	v_mul_f64 v[36:37], v[4:5], v[36:37]
	v_add_f64 v[43:44], v[43:44], v[147:148]
	v_add_f64 v[155:156], v[155:156], v[149:150]
	ds_load_b128 v[147:150], v1 offset:864
	v_fma_f64 v[153:154], v[153:154], v[30:31], v[157:158]
	v_fma_f64 v[30:31], v[151:152], v[30:31], -v[32:33]
	s_waitcnt vmcnt(7) lgkmcnt(0)
	v_mul_f64 v[151:152], v[147:148], v[145:146]
	v_mul_f64 v[145:146], v[149:150], v[145:146]
	v_add_f64 v[32:33], v[43:44], v[161:162]
	v_add_f64 v[43:44], v[155:156], v[159:160]
	v_fma_f64 v[155:156], v[4:5], v[34:35], v[163:164]
	v_fma_f64 v[34:35], v[2:3], v[34:35], -v[36:37]
	v_fma_f64 v[149:150], v[149:150], v[143:144], v[151:152]
	v_fma_f64 v[143:144], v[147:148], v[143:144], -v[145:146]
	v_add_f64 v[36:37], v[32:33], v[30:31]
	v_add_f64 v[43:44], v[43:44], v[153:154]
	ds_load_b128 v[2:5], v1 offset:880
	ds_load_b128 v[30:33], v1 offset:896
	s_waitcnt vmcnt(6) lgkmcnt(1)
	v_mul_f64 v[153:154], v[2:3], v[40:41]
	v_mul_f64 v[40:41], v[4:5], v[40:41]
	v_add_f64 v[34:35], v[36:37], v[34:35]
	v_add_f64 v[36:37], v[43:44], v[155:156]
	s_waitcnt vmcnt(5) lgkmcnt(0)
	v_mul_f64 v[43:44], v[30:31], v[8:9]
	v_mul_f64 v[8:9], v[32:33], v[8:9]
	v_fma_f64 v[145:146], v[4:5], v[38:39], v[153:154]
	v_fma_f64 v[38:39], v[2:3], v[38:39], -v[40:41]
	v_add_f64 v[40:41], v[34:35], v[143:144]
	v_add_f64 v[143:144], v[36:37], v[149:150]
	ds_load_b128 v[2:5], v1 offset:912
	ds_load_b128 v[34:37], v1 offset:928
	v_fma_f64 v[32:33], v[32:33], v[6:7], v[43:44]
	v_fma_f64 v[6:7], v[30:31], v[6:7], -v[8:9]
	s_waitcnt vmcnt(4) lgkmcnt(1)
	v_mul_f64 v[147:148], v[2:3], v[12:13]
	v_mul_f64 v[12:13], v[4:5], v[12:13]
	v_add_f64 v[8:9], v[40:41], v[38:39]
	v_add_f64 v[30:31], v[143:144], v[145:146]
	s_waitcnt vmcnt(3) lgkmcnt(0)
	v_mul_f64 v[38:39], v[34:35], v[16:17]
	v_mul_f64 v[16:17], v[36:37], v[16:17]
	v_fma_f64 v[40:41], v[4:5], v[10:11], v[147:148]
	v_fma_f64 v[10:11], v[2:3], v[10:11], -v[12:13]
	v_add_f64 v[12:13], v[8:9], v[6:7]
	v_add_f64 v[30:31], v[30:31], v[32:33]
	ds_load_b128 v[2:5], v1 offset:944
	ds_load_b128 v[6:9], v1 offset:960
	v_fma_f64 v[36:37], v[36:37], v[14:15], v[38:39]
	v_fma_f64 v[14:15], v[34:35], v[14:15], -v[16:17]
	s_waitcnt vmcnt(2) lgkmcnt(1)
	v_mul_f64 v[32:33], v[2:3], v[20:21]
	v_mul_f64 v[20:21], v[4:5], v[20:21]
	s_waitcnt vmcnt(1) lgkmcnt(0)
	v_mul_f64 v[16:17], v[6:7], v[24:25]
	v_mul_f64 v[24:25], v[8:9], v[24:25]
	v_add_f64 v[10:11], v[12:13], v[10:11]
	v_add_f64 v[12:13], v[30:31], v[40:41]
	v_fma_f64 v[30:31], v[4:5], v[18:19], v[32:33]
	v_fma_f64 v[18:19], v[2:3], v[18:19], -v[20:21]
	ds_load_b128 v[2:5], v1 offset:976
	v_fma_f64 v[8:9], v[8:9], v[22:23], v[16:17]
	v_fma_f64 v[6:7], v[6:7], v[22:23], -v[24:25]
	v_add_f64 v[10:11], v[10:11], v[14:15]
	v_add_f64 v[12:13], v[12:13], v[36:37]
	s_waitcnt vmcnt(0) lgkmcnt(0)
	v_mul_f64 v[14:15], v[2:3], v[28:29]
	v_mul_f64 v[20:21], v[4:5], v[28:29]
	s_delay_alu instid0(VALU_DEP_4) | instskip(NEXT) | instid1(VALU_DEP_4)
	v_add_f64 v[10:11], v[10:11], v[18:19]
	v_add_f64 v[12:13], v[12:13], v[30:31]
	s_delay_alu instid0(VALU_DEP_4) | instskip(NEXT) | instid1(VALU_DEP_4)
	v_fma_f64 v[4:5], v[4:5], v[26:27], v[14:15]
	v_fma_f64 v[2:3], v[2:3], v[26:27], -v[20:21]
	s_delay_alu instid0(VALU_DEP_4) | instskip(NEXT) | instid1(VALU_DEP_4)
	v_add_f64 v[6:7], v[10:11], v[6:7]
	v_add_f64 v[8:9], v[12:13], v[8:9]
	s_delay_alu instid0(VALU_DEP_2) | instskip(NEXT) | instid1(VALU_DEP_2)
	v_add_f64 v[2:3], v[6:7], v[2:3]
	v_add_f64 v[4:5], v[8:9], v[4:5]
	s_delay_alu instid0(VALU_DEP_2) | instskip(NEXT) | instid1(VALU_DEP_2)
	v_add_f64 v[2:3], v[139:140], -v[2:3]
	v_add_f64 v[4:5], v[141:142], -v[4:5]
	scratch_store_b128 off, v[2:5], off offset:48
	v_cmpx_lt_u32_e32 2, v108
	s_cbranch_execz .LBB30_195
; %bb.194:
	scratch_load_b128 v[5:8], v111, off
	v_mov_b32_e32 v2, v1
	v_mov_b32_e32 v3, v1
	;; [unrolled: 1-line block ×3, first 2 shown]
	scratch_store_b128 off, v[1:4], off offset:32
	s_waitcnt vmcnt(0)
	ds_store_b128 v42, v[5:8]
.LBB30_195:
	s_or_b32 exec_lo, exec_lo, s2
	s_waitcnt lgkmcnt(0)
	s_waitcnt_vscnt null, 0x0
	s_barrier
	buffer_gl0_inv
	s_clause 0x8
	scratch_load_b128 v[2:5], off, off offset:48
	scratch_load_b128 v[6:9], off, off offset:64
	;; [unrolled: 1-line block ×9, first 2 shown]
	ds_load_b128 v[139:142], v1 offset:544
	ds_load_b128 v[38:41], v1 offset:560
	s_clause 0x1
	scratch_load_b128 v[143:146], off, off offset:32
	scratch_load_b128 v[147:150], off, off offset:192
	s_mov_b32 s2, exec_lo
	ds_load_b128 v[151:154], v1 offset:592
	s_waitcnt vmcnt(10) lgkmcnt(2)
	v_mul_f64 v[43:44], v[141:142], v[4:5]
	v_mul_f64 v[4:5], v[139:140], v[4:5]
	s_waitcnt vmcnt(9) lgkmcnt(1)
	v_mul_f64 v[155:156], v[38:39], v[8:9]
	v_mul_f64 v[8:9], v[40:41], v[8:9]
	s_delay_alu instid0(VALU_DEP_4) | instskip(NEXT) | instid1(VALU_DEP_4)
	v_fma_f64 v[43:44], v[139:140], v[2:3], -v[43:44]
	v_fma_f64 v[157:158], v[141:142], v[2:3], v[4:5]
	ds_load_b128 v[2:5], v1 offset:576
	scratch_load_b128 v[139:142], off, off offset:208
	v_fma_f64 v[40:41], v[40:41], v[6:7], v[155:156]
	v_fma_f64 v[38:39], v[38:39], v[6:7], -v[8:9]
	scratch_load_b128 v[6:9], off, off offset:224
	s_waitcnt vmcnt(10) lgkmcnt(0)
	v_mul_f64 v[159:160], v[2:3], v[12:13]
	v_mul_f64 v[12:13], v[4:5], v[12:13]
	v_add_f64 v[43:44], v[43:44], 0
	v_add_f64 v[155:156], v[157:158], 0
	s_waitcnt vmcnt(9)
	v_mul_f64 v[157:158], v[151:152], v[16:17]
	v_mul_f64 v[16:17], v[153:154], v[16:17]
	v_fma_f64 v[159:160], v[4:5], v[10:11], v[159:160]
	v_fma_f64 v[161:162], v[2:3], v[10:11], -v[12:13]
	ds_load_b128 v[2:5], v1 offset:608
	scratch_load_b128 v[10:13], off, off offset:240
	v_add_f64 v[43:44], v[43:44], v[38:39]
	v_add_f64 v[155:156], v[155:156], v[40:41]
	ds_load_b128 v[38:41], v1 offset:624
	v_fma_f64 v[153:154], v[153:154], v[14:15], v[157:158]
	v_fma_f64 v[151:152], v[151:152], v[14:15], -v[16:17]
	scratch_load_b128 v[14:17], off, off offset:256
	s_waitcnt vmcnt(10) lgkmcnt(1)
	v_mul_f64 v[163:164], v[2:3], v[20:21]
	v_mul_f64 v[20:21], v[4:5], v[20:21]
	s_waitcnt vmcnt(9) lgkmcnt(0)
	v_mul_f64 v[157:158], v[38:39], v[24:25]
	v_mul_f64 v[24:25], v[40:41], v[24:25]
	v_add_f64 v[43:44], v[43:44], v[161:162]
	v_add_f64 v[155:156], v[155:156], v[159:160]
	v_fma_f64 v[159:160], v[4:5], v[18:19], v[163:164]
	v_fma_f64 v[161:162], v[2:3], v[18:19], -v[20:21]
	ds_load_b128 v[2:5], v1 offset:640
	scratch_load_b128 v[18:21], off, off offset:272
	v_fma_f64 v[40:41], v[40:41], v[22:23], v[157:158]
	v_fma_f64 v[38:39], v[38:39], v[22:23], -v[24:25]
	scratch_load_b128 v[22:25], off, off offset:288
	v_add_f64 v[43:44], v[43:44], v[151:152]
	v_add_f64 v[155:156], v[155:156], v[153:154]
	ds_load_b128 v[151:154], v1 offset:656
	s_waitcnt vmcnt(10) lgkmcnt(1)
	v_mul_f64 v[163:164], v[2:3], v[28:29]
	v_mul_f64 v[28:29], v[4:5], v[28:29]
	s_waitcnt vmcnt(9) lgkmcnt(0)
	v_mul_f64 v[157:158], v[151:152], v[32:33]
	v_mul_f64 v[32:33], v[153:154], v[32:33]
	v_add_f64 v[43:44], v[43:44], v[161:162]
	v_add_f64 v[155:156], v[155:156], v[159:160]
	v_fma_f64 v[159:160], v[4:5], v[26:27], v[163:164]
	v_fma_f64 v[161:162], v[2:3], v[26:27], -v[28:29]
	ds_load_b128 v[2:5], v1 offset:672
	scratch_load_b128 v[26:29], off, off offset:304
	v_fma_f64 v[153:154], v[153:154], v[30:31], v[157:158]
	v_fma_f64 v[151:152], v[151:152], v[30:31], -v[32:33]
	scratch_load_b128 v[30:33], off, off offset:320
	v_add_f64 v[43:44], v[43:44], v[38:39]
	v_add_f64 v[155:156], v[155:156], v[40:41]
	ds_load_b128 v[38:41], v1 offset:688
	s_waitcnt vmcnt(10) lgkmcnt(1)
	v_mul_f64 v[163:164], v[2:3], v[36:37]
	v_mul_f64 v[36:37], v[4:5], v[36:37]
	s_waitcnt vmcnt(8) lgkmcnt(0)
	v_mul_f64 v[157:158], v[38:39], v[149:150]
	v_add_f64 v[43:44], v[43:44], v[161:162]
	v_add_f64 v[155:156], v[155:156], v[159:160]
	v_mul_f64 v[159:160], v[40:41], v[149:150]
	v_fma_f64 v[161:162], v[4:5], v[34:35], v[163:164]
	v_fma_f64 v[163:164], v[2:3], v[34:35], -v[36:37]
	ds_load_b128 v[2:5], v1 offset:704
	scratch_load_b128 v[34:37], off, off offset:336
	v_fma_f64 v[157:158], v[40:41], v[147:148], v[157:158]
	v_add_f64 v[43:44], v[43:44], v[151:152]
	v_add_f64 v[153:154], v[155:156], v[153:154]
	ds_load_b128 v[149:152], v1 offset:720
	v_fma_f64 v[147:148], v[38:39], v[147:148], -v[159:160]
	scratch_load_b128 v[38:41], off, off offset:352
	s_waitcnt vmcnt(9) lgkmcnt(1)
	v_mul_f64 v[155:156], v[2:3], v[141:142]
	v_mul_f64 v[141:142], v[4:5], v[141:142]
	s_waitcnt vmcnt(8) lgkmcnt(0)
	v_mul_f64 v[159:160], v[149:150], v[8:9]
	v_mul_f64 v[8:9], v[151:152], v[8:9]
	v_add_f64 v[43:44], v[43:44], v[163:164]
	v_add_f64 v[153:154], v[153:154], v[161:162]
	v_fma_f64 v[161:162], v[4:5], v[139:140], v[155:156]
	v_fma_f64 v[163:164], v[2:3], v[139:140], -v[141:142]
	ds_load_b128 v[2:5], v1 offset:736
	scratch_load_b128 v[139:142], off, off offset:368
	v_fma_f64 v[151:152], v[151:152], v[6:7], v[159:160]
	v_fma_f64 v[149:150], v[149:150], v[6:7], -v[8:9]
	scratch_load_b128 v[6:9], off, off offset:384
	v_add_f64 v[43:44], v[43:44], v[147:148]
	v_add_f64 v[147:148], v[153:154], v[157:158]
	ds_load_b128 v[153:156], v1 offset:752
	s_waitcnt vmcnt(9) lgkmcnt(1)
	v_mul_f64 v[157:158], v[2:3], v[12:13]
	v_mul_f64 v[12:13], v[4:5], v[12:13]
	s_waitcnt vmcnt(8) lgkmcnt(0)
	v_mul_f64 v[159:160], v[153:154], v[16:17]
	v_mul_f64 v[16:17], v[155:156], v[16:17]
	v_add_f64 v[43:44], v[43:44], v[163:164]
	v_add_f64 v[147:148], v[147:148], v[161:162]
	v_fma_f64 v[157:158], v[4:5], v[10:11], v[157:158]
	v_fma_f64 v[161:162], v[2:3], v[10:11], -v[12:13]
	ds_load_b128 v[2:5], v1 offset:768
	scratch_load_b128 v[10:13], off, off offset:400
	v_fma_f64 v[155:156], v[155:156], v[14:15], v[159:160]
	v_fma_f64 v[153:154], v[153:154], v[14:15], -v[16:17]
	scratch_load_b128 v[14:17], off, off offset:416
	v_add_f64 v[43:44], v[43:44], v[149:150]
	v_add_f64 v[151:152], v[147:148], v[151:152]
	ds_load_b128 v[147:150], v1 offset:784
	s_waitcnt vmcnt(9) lgkmcnt(1)
	v_mul_f64 v[163:164], v[2:3], v[20:21]
	v_mul_f64 v[20:21], v[4:5], v[20:21]
	v_add_f64 v[43:44], v[43:44], v[161:162]
	v_add_f64 v[151:152], v[151:152], v[157:158]
	s_waitcnt vmcnt(8) lgkmcnt(0)
	v_mul_f64 v[157:158], v[147:148], v[24:25]
	v_mul_f64 v[24:25], v[149:150], v[24:25]
	v_fma_f64 v[159:160], v[4:5], v[18:19], v[163:164]
	v_fma_f64 v[161:162], v[2:3], v[18:19], -v[20:21]
	ds_load_b128 v[2:5], v1 offset:800
	scratch_load_b128 v[18:21], off, off offset:432
	v_add_f64 v[43:44], v[43:44], v[153:154]
	v_add_f64 v[155:156], v[151:152], v[155:156]
	ds_load_b128 v[151:154], v1 offset:816
	s_waitcnt vmcnt(8) lgkmcnt(1)
	v_mul_f64 v[163:164], v[2:3], v[28:29]
	v_mul_f64 v[28:29], v[4:5], v[28:29]
	v_fma_f64 v[149:150], v[149:150], v[22:23], v[157:158]
	v_fma_f64 v[147:148], v[147:148], v[22:23], -v[24:25]
	scratch_load_b128 v[22:25], off, off offset:448
	s_waitcnt vmcnt(8) lgkmcnt(0)
	v_mul_f64 v[157:158], v[151:152], v[32:33]
	v_mul_f64 v[32:33], v[153:154], v[32:33]
	v_add_f64 v[43:44], v[43:44], v[161:162]
	v_add_f64 v[155:156], v[155:156], v[159:160]
	v_fma_f64 v[159:160], v[4:5], v[26:27], v[163:164]
	v_fma_f64 v[161:162], v[2:3], v[26:27], -v[28:29]
	ds_load_b128 v[2:5], v1 offset:832
	scratch_load_b128 v[26:29], off, off offset:464
	v_fma_f64 v[153:154], v[153:154], v[30:31], v[157:158]
	v_fma_f64 v[151:152], v[151:152], v[30:31], -v[32:33]
	scratch_load_b128 v[30:33], off, off offset:480
	v_add_f64 v[43:44], v[43:44], v[147:148]
	v_add_f64 v[155:156], v[155:156], v[149:150]
	ds_load_b128 v[147:150], v1 offset:848
	s_waitcnt vmcnt(9) lgkmcnt(1)
	v_mul_f64 v[163:164], v[2:3], v[36:37]
	v_mul_f64 v[36:37], v[4:5], v[36:37]
	s_waitcnt vmcnt(8) lgkmcnt(0)
	v_mul_f64 v[157:158], v[147:148], v[40:41]
	v_mul_f64 v[40:41], v[149:150], v[40:41]
	v_add_f64 v[43:44], v[43:44], v[161:162]
	v_add_f64 v[155:156], v[155:156], v[159:160]
	v_fma_f64 v[159:160], v[4:5], v[34:35], v[163:164]
	v_fma_f64 v[161:162], v[2:3], v[34:35], -v[36:37]
	ds_load_b128 v[2:5], v1 offset:864
	ds_load_b128 v[34:37], v1 offset:880
	v_fma_f64 v[149:150], v[149:150], v[38:39], v[157:158]
	v_fma_f64 v[38:39], v[147:148], v[38:39], -v[40:41]
	v_add_f64 v[43:44], v[43:44], v[151:152]
	v_add_f64 v[151:152], v[155:156], v[153:154]
	s_waitcnt vmcnt(7) lgkmcnt(1)
	v_mul_f64 v[153:154], v[2:3], v[141:142]
	v_mul_f64 v[141:142], v[4:5], v[141:142]
	s_waitcnt vmcnt(6) lgkmcnt(0)
	v_mul_f64 v[147:148], v[34:35], v[8:9]
	v_mul_f64 v[8:9], v[36:37], v[8:9]
	v_add_f64 v[40:41], v[43:44], v[161:162]
	v_add_f64 v[43:44], v[151:152], v[159:160]
	v_fma_f64 v[151:152], v[4:5], v[139:140], v[153:154]
	v_fma_f64 v[139:140], v[2:3], v[139:140], -v[141:142]
	v_fma_f64 v[36:37], v[36:37], v[6:7], v[147:148]
	v_fma_f64 v[6:7], v[34:35], v[6:7], -v[8:9]
	v_add_f64 v[141:142], v[40:41], v[38:39]
	v_add_f64 v[43:44], v[43:44], v[149:150]
	ds_load_b128 v[2:5], v1 offset:896
	ds_load_b128 v[38:41], v1 offset:912
	s_waitcnt vmcnt(5) lgkmcnt(1)
	v_mul_f64 v[149:150], v[2:3], v[12:13]
	v_mul_f64 v[12:13], v[4:5], v[12:13]
	v_add_f64 v[8:9], v[141:142], v[139:140]
	v_add_f64 v[34:35], v[43:44], v[151:152]
	s_waitcnt vmcnt(4) lgkmcnt(0)
	v_mul_f64 v[43:44], v[38:39], v[16:17]
	v_mul_f64 v[16:17], v[40:41], v[16:17]
	v_fma_f64 v[139:140], v[4:5], v[10:11], v[149:150]
	v_fma_f64 v[10:11], v[2:3], v[10:11], -v[12:13]
	v_add_f64 v[12:13], v[8:9], v[6:7]
	v_add_f64 v[34:35], v[34:35], v[36:37]
	ds_load_b128 v[2:5], v1 offset:928
	ds_load_b128 v[6:9], v1 offset:944
	v_fma_f64 v[40:41], v[40:41], v[14:15], v[43:44]
	v_fma_f64 v[14:15], v[38:39], v[14:15], -v[16:17]
	s_waitcnt vmcnt(3) lgkmcnt(1)
	v_mul_f64 v[36:37], v[2:3], v[20:21]
	v_mul_f64 v[20:21], v[4:5], v[20:21]
	s_waitcnt vmcnt(2) lgkmcnt(0)
	v_mul_f64 v[16:17], v[6:7], v[24:25]
	v_mul_f64 v[24:25], v[8:9], v[24:25]
	v_add_f64 v[10:11], v[12:13], v[10:11]
	v_add_f64 v[12:13], v[34:35], v[139:140]
	v_fma_f64 v[34:35], v[4:5], v[18:19], v[36:37]
	v_fma_f64 v[18:19], v[2:3], v[18:19], -v[20:21]
	v_fma_f64 v[8:9], v[8:9], v[22:23], v[16:17]
	v_fma_f64 v[6:7], v[6:7], v[22:23], -v[24:25]
	v_add_f64 v[14:15], v[10:11], v[14:15]
	v_add_f64 v[20:21], v[12:13], v[40:41]
	ds_load_b128 v[2:5], v1 offset:960
	ds_load_b128 v[10:13], v1 offset:976
	s_waitcnt vmcnt(1) lgkmcnt(1)
	v_mul_f64 v[36:37], v[2:3], v[28:29]
	v_mul_f64 v[28:29], v[4:5], v[28:29]
	v_add_f64 v[14:15], v[14:15], v[18:19]
	v_add_f64 v[16:17], v[20:21], v[34:35]
	s_waitcnt vmcnt(0) lgkmcnt(0)
	v_mul_f64 v[18:19], v[10:11], v[32:33]
	v_mul_f64 v[20:21], v[12:13], v[32:33]
	v_fma_f64 v[4:5], v[4:5], v[26:27], v[36:37]
	v_fma_f64 v[1:2], v[2:3], v[26:27], -v[28:29]
	v_add_f64 v[6:7], v[14:15], v[6:7]
	v_add_f64 v[8:9], v[16:17], v[8:9]
	v_fma_f64 v[12:13], v[12:13], v[30:31], v[18:19]
	v_fma_f64 v[10:11], v[10:11], v[30:31], -v[20:21]
	s_delay_alu instid0(VALU_DEP_4) | instskip(NEXT) | instid1(VALU_DEP_4)
	v_add_f64 v[1:2], v[6:7], v[1:2]
	v_add_f64 v[3:4], v[8:9], v[4:5]
	s_delay_alu instid0(VALU_DEP_2) | instskip(NEXT) | instid1(VALU_DEP_2)
	v_add_f64 v[1:2], v[1:2], v[10:11]
	v_add_f64 v[3:4], v[3:4], v[12:13]
	s_delay_alu instid0(VALU_DEP_2) | instskip(NEXT) | instid1(VALU_DEP_2)
	v_add_f64 v[1:2], v[143:144], -v[1:2]
	v_add_f64 v[3:4], v[145:146], -v[3:4]
	scratch_store_b128 off, v[1:4], off offset:32
	v_cmpx_lt_u32_e32 1, v108
	s_cbranch_execz .LBB30_197
; %bb.196:
	scratch_load_b128 v[1:4], v112, off
	v_mov_b32_e32 v5, 0
	s_delay_alu instid0(VALU_DEP_1)
	v_mov_b32_e32 v6, v5
	v_mov_b32_e32 v7, v5
	v_mov_b32_e32 v8, v5
	scratch_store_b128 off, v[5:8], off offset:16
	s_waitcnt vmcnt(0)
	ds_store_b128 v42, v[1:4]
.LBB30_197:
	s_or_b32 exec_lo, exec_lo, s2
	s_waitcnt lgkmcnt(0)
	s_waitcnt_vscnt null, 0x0
	s_barrier
	buffer_gl0_inv
	s_clause 0x7
	scratch_load_b128 v[2:5], off, off offset:32
	scratch_load_b128 v[6:9], off, off offset:48
	;; [unrolled: 1-line block ×8, first 2 shown]
	v_mov_b32_e32 v1, 0
	s_mov_b32 s2, exec_lo
	ds_load_b128 v[38:41], v1 offset:528
	s_clause 0x1
	scratch_load_b128 v[34:37], off, off offset:160
	scratch_load_b128 v[139:142], off, off offset:16
	ds_load_b128 v[143:146], v1 offset:544
	scratch_load_b128 v[147:150], off, off offset:176
	ds_load_b128 v[151:154], v1 offset:576
	s_waitcnt vmcnt(10) lgkmcnt(2)
	v_mul_f64 v[43:44], v[40:41], v[4:5]
	v_mul_f64 v[4:5], v[38:39], v[4:5]
	s_delay_alu instid0(VALU_DEP_2) | instskip(NEXT) | instid1(VALU_DEP_2)
	v_fma_f64 v[43:44], v[38:39], v[2:3], -v[43:44]
	v_fma_f64 v[157:158], v[40:41], v[2:3], v[4:5]
	ds_load_b128 v[2:5], v1 offset:560
	s_waitcnt vmcnt(9) lgkmcnt(2)
	v_mul_f64 v[155:156], v[143:144], v[8:9]
	v_mul_f64 v[8:9], v[145:146], v[8:9]
	scratch_load_b128 v[38:41], off, off offset:192
	s_waitcnt vmcnt(9) lgkmcnt(0)
	v_mul_f64 v[159:160], v[2:3], v[12:13]
	v_mul_f64 v[12:13], v[4:5], v[12:13]
	v_add_f64 v[43:44], v[43:44], 0
	v_fma_f64 v[145:146], v[145:146], v[6:7], v[155:156]
	v_fma_f64 v[143:144], v[143:144], v[6:7], -v[8:9]
	v_add_f64 v[155:156], v[157:158], 0
	scratch_load_b128 v[6:9], off, off offset:208
	v_fma_f64 v[159:160], v[4:5], v[10:11], v[159:160]
	v_fma_f64 v[161:162], v[2:3], v[10:11], -v[12:13]
	scratch_load_b128 v[10:13], off, off offset:224
	ds_load_b128 v[2:5], v1 offset:592
	s_waitcnt vmcnt(10)
	v_mul_f64 v[157:158], v[151:152], v[16:17]
	v_mul_f64 v[16:17], v[153:154], v[16:17]
	v_add_f64 v[43:44], v[43:44], v[143:144]
	v_add_f64 v[155:156], v[155:156], v[145:146]
	ds_load_b128 v[143:146], v1 offset:608
	s_waitcnt vmcnt(9) lgkmcnt(1)
	v_mul_f64 v[163:164], v[2:3], v[20:21]
	v_mul_f64 v[20:21], v[4:5], v[20:21]
	v_fma_f64 v[153:154], v[153:154], v[14:15], v[157:158]
	v_fma_f64 v[151:152], v[151:152], v[14:15], -v[16:17]
	scratch_load_b128 v[14:17], off, off offset:240
	v_add_f64 v[43:44], v[43:44], v[161:162]
	v_add_f64 v[155:156], v[155:156], v[159:160]
	v_fma_f64 v[159:160], v[4:5], v[18:19], v[163:164]
	v_fma_f64 v[161:162], v[2:3], v[18:19], -v[20:21]
	scratch_load_b128 v[18:21], off, off offset:256
	ds_load_b128 v[2:5], v1 offset:624
	s_waitcnt vmcnt(10) lgkmcnt(1)
	v_mul_f64 v[157:158], v[143:144], v[24:25]
	v_mul_f64 v[24:25], v[145:146], v[24:25]
	s_waitcnt vmcnt(9) lgkmcnt(0)
	v_mul_f64 v[163:164], v[2:3], v[28:29]
	v_mul_f64 v[28:29], v[4:5], v[28:29]
	v_add_f64 v[43:44], v[43:44], v[151:152]
	v_add_f64 v[155:156], v[155:156], v[153:154]
	ds_load_b128 v[151:154], v1 offset:640
	v_fma_f64 v[145:146], v[145:146], v[22:23], v[157:158]
	v_fma_f64 v[143:144], v[143:144], v[22:23], -v[24:25]
	scratch_load_b128 v[22:25], off, off offset:272
	v_add_f64 v[43:44], v[43:44], v[161:162]
	v_add_f64 v[155:156], v[155:156], v[159:160]
	v_fma_f64 v[159:160], v[4:5], v[26:27], v[163:164]
	v_fma_f64 v[161:162], v[2:3], v[26:27], -v[28:29]
	scratch_load_b128 v[26:29], off, off offset:288
	ds_load_b128 v[2:5], v1 offset:656
	s_waitcnt vmcnt(10) lgkmcnt(1)
	v_mul_f64 v[157:158], v[151:152], v[32:33]
	v_mul_f64 v[32:33], v[153:154], v[32:33]
	s_waitcnt vmcnt(9) lgkmcnt(0)
	v_mul_f64 v[163:164], v[2:3], v[36:37]
	v_mul_f64 v[36:37], v[4:5], v[36:37]
	v_add_f64 v[43:44], v[43:44], v[143:144]
	v_add_f64 v[155:156], v[155:156], v[145:146]
	ds_load_b128 v[143:146], v1 offset:672
	v_fma_f64 v[153:154], v[153:154], v[30:31], v[157:158]
	v_fma_f64 v[151:152], v[151:152], v[30:31], -v[32:33]
	scratch_load_b128 v[30:33], off, off offset:304
	v_add_f64 v[43:44], v[43:44], v[161:162]
	v_add_f64 v[155:156], v[155:156], v[159:160]
	v_fma_f64 v[161:162], v[4:5], v[34:35], v[163:164]
	v_fma_f64 v[163:164], v[2:3], v[34:35], -v[36:37]
	scratch_load_b128 v[34:37], off, off offset:320
	ds_load_b128 v[2:5], v1 offset:688
	s_waitcnt vmcnt(9) lgkmcnt(1)
	v_mul_f64 v[157:158], v[143:144], v[149:150]
	v_mul_f64 v[159:160], v[145:146], v[149:150]
	v_add_f64 v[43:44], v[43:44], v[151:152]
	v_add_f64 v[153:154], v[155:156], v[153:154]
	ds_load_b128 v[149:152], v1 offset:704
	v_fma_f64 v[157:158], v[145:146], v[147:148], v[157:158]
	v_fma_f64 v[147:148], v[143:144], v[147:148], -v[159:160]
	scratch_load_b128 v[143:146], off, off offset:336
	s_waitcnt vmcnt(9) lgkmcnt(1)
	v_mul_f64 v[155:156], v[2:3], v[40:41]
	v_mul_f64 v[40:41], v[4:5], v[40:41]
	v_add_f64 v[43:44], v[43:44], v[163:164]
	v_add_f64 v[153:154], v[153:154], v[161:162]
	s_delay_alu instid0(VALU_DEP_4) | instskip(NEXT) | instid1(VALU_DEP_4)
	v_fma_f64 v[161:162], v[4:5], v[38:39], v[155:156]
	v_fma_f64 v[163:164], v[2:3], v[38:39], -v[40:41]
	scratch_load_b128 v[38:41], off, off offset:352
	ds_load_b128 v[2:5], v1 offset:720
	s_waitcnt vmcnt(9) lgkmcnt(1)
	v_mul_f64 v[159:160], v[149:150], v[8:9]
	v_mul_f64 v[8:9], v[151:152], v[8:9]
	v_add_f64 v[43:44], v[43:44], v[147:148]
	v_add_f64 v[147:148], v[153:154], v[157:158]
	s_waitcnt vmcnt(8) lgkmcnt(0)
	v_mul_f64 v[157:158], v[2:3], v[12:13]
	v_mul_f64 v[12:13], v[4:5], v[12:13]
	ds_load_b128 v[153:156], v1 offset:736
	v_fma_f64 v[151:152], v[151:152], v[6:7], v[159:160]
	v_fma_f64 v[149:150], v[149:150], v[6:7], -v[8:9]
	scratch_load_b128 v[6:9], off, off offset:368
	v_add_f64 v[43:44], v[43:44], v[163:164]
	v_add_f64 v[147:148], v[147:148], v[161:162]
	v_fma_f64 v[157:158], v[4:5], v[10:11], v[157:158]
	v_fma_f64 v[161:162], v[2:3], v[10:11], -v[12:13]
	scratch_load_b128 v[10:13], off, off offset:384
	ds_load_b128 v[2:5], v1 offset:752
	s_waitcnt vmcnt(9) lgkmcnt(1)
	v_mul_f64 v[159:160], v[153:154], v[16:17]
	v_mul_f64 v[16:17], v[155:156], v[16:17]
	s_waitcnt vmcnt(8) lgkmcnt(0)
	v_mul_f64 v[163:164], v[2:3], v[20:21]
	v_mul_f64 v[20:21], v[4:5], v[20:21]
	v_add_f64 v[43:44], v[43:44], v[149:150]
	v_add_f64 v[151:152], v[147:148], v[151:152]
	ds_load_b128 v[147:150], v1 offset:768
	v_fma_f64 v[155:156], v[155:156], v[14:15], v[159:160]
	v_fma_f64 v[153:154], v[153:154], v[14:15], -v[16:17]
	scratch_load_b128 v[14:17], off, off offset:400
	v_fma_f64 v[159:160], v[4:5], v[18:19], v[163:164]
	v_add_f64 v[43:44], v[43:44], v[161:162]
	v_add_f64 v[151:152], v[151:152], v[157:158]
	v_fma_f64 v[161:162], v[2:3], v[18:19], -v[20:21]
	scratch_load_b128 v[18:21], off, off offset:416
	ds_load_b128 v[2:5], v1 offset:784
	s_waitcnt vmcnt(9) lgkmcnt(1)
	v_mul_f64 v[157:158], v[147:148], v[24:25]
	v_mul_f64 v[24:25], v[149:150], v[24:25]
	s_waitcnt vmcnt(8) lgkmcnt(0)
	v_mul_f64 v[163:164], v[2:3], v[28:29]
	v_mul_f64 v[28:29], v[4:5], v[28:29]
	v_add_f64 v[43:44], v[43:44], v[153:154]
	v_add_f64 v[155:156], v[151:152], v[155:156]
	ds_load_b128 v[151:154], v1 offset:800
	v_fma_f64 v[149:150], v[149:150], v[22:23], v[157:158]
	v_fma_f64 v[147:148], v[147:148], v[22:23], -v[24:25]
	scratch_load_b128 v[22:25], off, off offset:432
	v_add_f64 v[43:44], v[43:44], v[161:162]
	v_add_f64 v[155:156], v[155:156], v[159:160]
	v_fma_f64 v[159:160], v[4:5], v[26:27], v[163:164]
	v_fma_f64 v[161:162], v[2:3], v[26:27], -v[28:29]
	scratch_load_b128 v[26:29], off, off offset:448
	ds_load_b128 v[2:5], v1 offset:816
	s_waitcnt vmcnt(9) lgkmcnt(1)
	v_mul_f64 v[157:158], v[151:152], v[32:33]
	v_mul_f64 v[32:33], v[153:154], v[32:33]
	s_waitcnt vmcnt(8) lgkmcnt(0)
	v_mul_f64 v[163:164], v[2:3], v[36:37]
	v_mul_f64 v[36:37], v[4:5], v[36:37]
	v_add_f64 v[43:44], v[43:44], v[147:148]
	v_add_f64 v[155:156], v[155:156], v[149:150]
	ds_load_b128 v[147:150], v1 offset:832
	v_fma_f64 v[153:154], v[153:154], v[30:31], v[157:158]
	v_fma_f64 v[151:152], v[151:152], v[30:31], -v[32:33]
	scratch_load_b128 v[30:33], off, off offset:464
	v_add_f64 v[43:44], v[43:44], v[161:162]
	v_add_f64 v[155:156], v[155:156], v[159:160]
	v_fma_f64 v[159:160], v[4:5], v[34:35], v[163:164]
	v_fma_f64 v[161:162], v[2:3], v[34:35], -v[36:37]
	scratch_load_b128 v[34:37], off, off offset:480
	ds_load_b128 v[2:5], v1 offset:848
	s_waitcnt vmcnt(9) lgkmcnt(1)
	v_mul_f64 v[157:158], v[147:148], v[145:146]
	v_mul_f64 v[145:146], v[149:150], v[145:146]
	s_waitcnt vmcnt(8) lgkmcnt(0)
	v_mul_f64 v[163:164], v[2:3], v[40:41]
	v_mul_f64 v[40:41], v[4:5], v[40:41]
	v_add_f64 v[43:44], v[43:44], v[151:152]
	v_add_f64 v[155:156], v[155:156], v[153:154]
	ds_load_b128 v[151:154], v1 offset:864
	v_fma_f64 v[149:150], v[149:150], v[143:144], v[157:158]
	v_fma_f64 v[143:144], v[147:148], v[143:144], -v[145:146]
	v_fma_f64 v[157:158], v[2:3], v[38:39], -v[40:41]
	v_add_f64 v[43:44], v[43:44], v[161:162]
	v_add_f64 v[145:146], v[155:156], v[159:160]
	s_waitcnt vmcnt(7) lgkmcnt(0)
	v_mul_f64 v[147:148], v[151:152], v[8:9]
	v_mul_f64 v[8:9], v[153:154], v[8:9]
	v_fma_f64 v[155:156], v[4:5], v[38:39], v[163:164]
	ds_load_b128 v[2:5], v1 offset:880
	ds_load_b128 v[38:41], v1 offset:896
	v_add_f64 v[43:44], v[43:44], v[143:144]
	v_add_f64 v[143:144], v[145:146], v[149:150]
	s_waitcnt vmcnt(6) lgkmcnt(1)
	v_mul_f64 v[145:146], v[2:3], v[12:13]
	v_mul_f64 v[12:13], v[4:5], v[12:13]
	v_fma_f64 v[147:148], v[153:154], v[6:7], v[147:148]
	v_fma_f64 v[6:7], v[151:152], v[6:7], -v[8:9]
	v_add_f64 v[8:9], v[43:44], v[157:158]
	v_add_f64 v[43:44], v[143:144], v[155:156]
	s_waitcnt vmcnt(5) lgkmcnt(0)
	v_mul_f64 v[143:144], v[38:39], v[16:17]
	v_mul_f64 v[16:17], v[40:41], v[16:17]
	v_fma_f64 v[145:146], v[4:5], v[10:11], v[145:146]
	v_fma_f64 v[10:11], v[2:3], v[10:11], -v[12:13]
	v_add_f64 v[12:13], v[8:9], v[6:7]
	v_add_f64 v[43:44], v[43:44], v[147:148]
	ds_load_b128 v[2:5], v1 offset:912
	ds_load_b128 v[6:9], v1 offset:928
	v_fma_f64 v[40:41], v[40:41], v[14:15], v[143:144]
	v_fma_f64 v[14:15], v[38:39], v[14:15], -v[16:17]
	s_waitcnt vmcnt(4) lgkmcnt(1)
	v_mul_f64 v[147:148], v[2:3], v[20:21]
	v_mul_f64 v[20:21], v[4:5], v[20:21]
	s_waitcnt vmcnt(3) lgkmcnt(0)
	v_mul_f64 v[16:17], v[6:7], v[24:25]
	v_mul_f64 v[24:25], v[8:9], v[24:25]
	v_add_f64 v[10:11], v[12:13], v[10:11]
	v_add_f64 v[12:13], v[43:44], v[145:146]
	v_fma_f64 v[38:39], v[4:5], v[18:19], v[147:148]
	v_fma_f64 v[18:19], v[2:3], v[18:19], -v[20:21]
	v_fma_f64 v[8:9], v[8:9], v[22:23], v[16:17]
	v_fma_f64 v[6:7], v[6:7], v[22:23], -v[24:25]
	v_add_f64 v[14:15], v[10:11], v[14:15]
	v_add_f64 v[20:21], v[12:13], v[40:41]
	ds_load_b128 v[2:5], v1 offset:944
	ds_load_b128 v[10:13], v1 offset:960
	s_waitcnt vmcnt(2) lgkmcnt(1)
	v_mul_f64 v[40:41], v[2:3], v[28:29]
	v_mul_f64 v[28:29], v[4:5], v[28:29]
	v_add_f64 v[14:15], v[14:15], v[18:19]
	v_add_f64 v[16:17], v[20:21], v[38:39]
	s_waitcnt vmcnt(1) lgkmcnt(0)
	v_mul_f64 v[18:19], v[10:11], v[32:33]
	v_mul_f64 v[20:21], v[12:13], v[32:33]
	v_fma_f64 v[22:23], v[4:5], v[26:27], v[40:41]
	v_fma_f64 v[24:25], v[2:3], v[26:27], -v[28:29]
	ds_load_b128 v[2:5], v1 offset:976
	v_add_f64 v[6:7], v[14:15], v[6:7]
	v_add_f64 v[8:9], v[16:17], v[8:9]
	v_fma_f64 v[12:13], v[12:13], v[30:31], v[18:19]
	v_fma_f64 v[10:11], v[10:11], v[30:31], -v[20:21]
	s_waitcnt vmcnt(0) lgkmcnt(0)
	v_mul_f64 v[14:15], v[2:3], v[36:37]
	v_mul_f64 v[16:17], v[4:5], v[36:37]
	v_add_f64 v[6:7], v[6:7], v[24:25]
	v_add_f64 v[8:9], v[8:9], v[22:23]
	s_delay_alu instid0(VALU_DEP_4) | instskip(NEXT) | instid1(VALU_DEP_4)
	v_fma_f64 v[4:5], v[4:5], v[34:35], v[14:15]
	v_fma_f64 v[2:3], v[2:3], v[34:35], -v[16:17]
	s_delay_alu instid0(VALU_DEP_4) | instskip(NEXT) | instid1(VALU_DEP_4)
	v_add_f64 v[6:7], v[6:7], v[10:11]
	v_add_f64 v[8:9], v[8:9], v[12:13]
	s_delay_alu instid0(VALU_DEP_2) | instskip(NEXT) | instid1(VALU_DEP_2)
	v_add_f64 v[2:3], v[6:7], v[2:3]
	v_add_f64 v[4:5], v[8:9], v[4:5]
	s_delay_alu instid0(VALU_DEP_2) | instskip(NEXT) | instid1(VALU_DEP_2)
	v_add_f64 v[2:3], v[139:140], -v[2:3]
	v_add_f64 v[4:5], v[141:142], -v[4:5]
	scratch_store_b128 off, v[2:5], off offset:16
	v_cmpx_ne_u32_e32 0, v108
	s_cbranch_execz .LBB30_199
; %bb.198:
	scratch_load_b128 v[5:8], off, off
	v_mov_b32_e32 v2, v1
	v_mov_b32_e32 v3, v1
	;; [unrolled: 1-line block ×3, first 2 shown]
	scratch_store_b128 off, v[1:4], off
	s_waitcnt vmcnt(0)
	ds_store_b128 v42, v[5:8]
.LBB30_199:
	s_or_b32 exec_lo, exec_lo, s2
	s_waitcnt lgkmcnt(0)
	s_waitcnt_vscnt null, 0x0
	s_barrier
	buffer_gl0_inv
	s_clause 0x8
	scratch_load_b128 v[2:5], off, off offset:16
	scratch_load_b128 v[6:9], off, off offset:32
	scratch_load_b128 v[10:13], off, off offset:48
	scratch_load_b128 v[14:17], off, off offset:64
	scratch_load_b128 v[18:21], off, off offset:80
	scratch_load_b128 v[22:25], off, off offset:96
	scratch_load_b128 v[26:29], off, off offset:112
	scratch_load_b128 v[30:33], off, off offset:128
	scratch_load_b128 v[34:37], off, off offset:144
	ds_load_b128 v[42:45], v1 offset:512
	ds_load_b128 v[38:41], v1 offset:528
	s_clause 0x1
	scratch_load_b128 v[139:142], off, off
	scratch_load_b128 v[143:146], off, off offset:160
	s_and_b32 vcc_lo, exec_lo, s20
	s_waitcnt vmcnt(10) lgkmcnt(1)
	v_mul_f64 v[147:148], v[44:45], v[4:5]
	v_mul_f64 v[4:5], v[42:43], v[4:5]
	s_waitcnt vmcnt(9) lgkmcnt(0)
	v_mul_f64 v[151:152], v[38:39], v[8:9]
	v_mul_f64 v[8:9], v[40:41], v[8:9]
	s_delay_alu instid0(VALU_DEP_4) | instskip(NEXT) | instid1(VALU_DEP_4)
	v_fma_f64 v[153:154], v[42:43], v[2:3], -v[147:148]
	v_fma_f64 v[155:156], v[44:45], v[2:3], v[4:5]
	ds_load_b128 v[2:5], v1 offset:544
	ds_load_b128 v[147:150], v1 offset:560
	scratch_load_b128 v[42:45], off, off offset:176
	v_fma_f64 v[40:41], v[40:41], v[6:7], v[151:152]
	v_fma_f64 v[38:39], v[38:39], v[6:7], -v[8:9]
	scratch_load_b128 v[6:9], off, off offset:192
	s_waitcnt vmcnt(10) lgkmcnt(1)
	v_mul_f64 v[157:158], v[2:3], v[12:13]
	v_mul_f64 v[12:13], v[4:5], v[12:13]
	v_add_f64 v[151:152], v[153:154], 0
	v_add_f64 v[153:154], v[155:156], 0
	s_waitcnt vmcnt(9) lgkmcnt(0)
	v_mul_f64 v[155:156], v[147:148], v[16:17]
	v_mul_f64 v[16:17], v[149:150], v[16:17]
	v_fma_f64 v[157:158], v[4:5], v[10:11], v[157:158]
	v_fma_f64 v[159:160], v[2:3], v[10:11], -v[12:13]
	ds_load_b128 v[2:5], v1 offset:576
	scratch_load_b128 v[10:13], off, off offset:208
	v_add_f64 v[151:152], v[151:152], v[38:39]
	v_add_f64 v[153:154], v[153:154], v[40:41]
	ds_load_b128 v[38:41], v1 offset:592
	v_fma_f64 v[149:150], v[149:150], v[14:15], v[155:156]
	v_fma_f64 v[147:148], v[147:148], v[14:15], -v[16:17]
	scratch_load_b128 v[14:17], off, off offset:224
	s_waitcnt vmcnt(10) lgkmcnt(1)
	v_mul_f64 v[161:162], v[2:3], v[20:21]
	v_mul_f64 v[20:21], v[4:5], v[20:21]
	s_waitcnt vmcnt(9) lgkmcnt(0)
	v_mul_f64 v[155:156], v[38:39], v[24:25]
	v_mul_f64 v[24:25], v[40:41], v[24:25]
	v_add_f64 v[151:152], v[151:152], v[159:160]
	v_add_f64 v[153:154], v[153:154], v[157:158]
	v_fma_f64 v[157:158], v[4:5], v[18:19], v[161:162]
	v_fma_f64 v[159:160], v[2:3], v[18:19], -v[20:21]
	ds_load_b128 v[2:5], v1 offset:608
	scratch_load_b128 v[18:21], off, off offset:240
	v_fma_f64 v[40:41], v[40:41], v[22:23], v[155:156]
	v_fma_f64 v[38:39], v[38:39], v[22:23], -v[24:25]
	scratch_load_b128 v[22:25], off, off offset:256
	v_add_f64 v[151:152], v[151:152], v[147:148]
	v_add_f64 v[153:154], v[153:154], v[149:150]
	ds_load_b128 v[147:150], v1 offset:624
	s_waitcnt vmcnt(10) lgkmcnt(1)
	v_mul_f64 v[161:162], v[2:3], v[28:29]
	v_mul_f64 v[28:29], v[4:5], v[28:29]
	s_waitcnt vmcnt(9) lgkmcnt(0)
	v_mul_f64 v[155:156], v[147:148], v[32:33]
	v_mul_f64 v[32:33], v[149:150], v[32:33]
	v_add_f64 v[151:152], v[151:152], v[159:160]
	v_add_f64 v[153:154], v[153:154], v[157:158]
	v_fma_f64 v[157:158], v[4:5], v[26:27], v[161:162]
	v_fma_f64 v[159:160], v[2:3], v[26:27], -v[28:29]
	ds_load_b128 v[2:5], v1 offset:640
	scratch_load_b128 v[26:29], off, off offset:272
	v_fma_f64 v[149:150], v[149:150], v[30:31], v[155:156]
	v_fma_f64 v[147:148], v[147:148], v[30:31], -v[32:33]
	scratch_load_b128 v[30:33], off, off offset:288
	v_add_f64 v[151:152], v[151:152], v[38:39]
	v_add_f64 v[153:154], v[153:154], v[40:41]
	ds_load_b128 v[38:41], v1 offset:656
	s_waitcnt vmcnt(10) lgkmcnt(1)
	v_mul_f64 v[161:162], v[2:3], v[36:37]
	v_mul_f64 v[36:37], v[4:5], v[36:37]
	s_waitcnt vmcnt(8) lgkmcnt(0)
	v_mul_f64 v[155:156], v[38:39], v[145:146]
	v_add_f64 v[151:152], v[151:152], v[159:160]
	v_add_f64 v[153:154], v[153:154], v[157:158]
	v_mul_f64 v[157:158], v[40:41], v[145:146]
	v_fma_f64 v[159:160], v[4:5], v[34:35], v[161:162]
	v_fma_f64 v[161:162], v[2:3], v[34:35], -v[36:37]
	ds_load_b128 v[2:5], v1 offset:672
	scratch_load_b128 v[34:37], off, off offset:304
	v_fma_f64 v[155:156], v[40:41], v[143:144], v[155:156]
	v_add_f64 v[151:152], v[151:152], v[147:148]
	v_add_f64 v[149:150], v[153:154], v[149:150]
	ds_load_b128 v[145:148], v1 offset:688
	v_fma_f64 v[143:144], v[38:39], v[143:144], -v[157:158]
	scratch_load_b128 v[38:41], off, off offset:320
	s_waitcnt vmcnt(9) lgkmcnt(1)
	v_mul_f64 v[153:154], v[2:3], v[44:45]
	v_mul_f64 v[44:45], v[4:5], v[44:45]
	s_waitcnt vmcnt(8) lgkmcnt(0)
	v_mul_f64 v[157:158], v[145:146], v[8:9]
	v_mul_f64 v[8:9], v[147:148], v[8:9]
	v_add_f64 v[151:152], v[151:152], v[161:162]
	v_add_f64 v[149:150], v[149:150], v[159:160]
	v_fma_f64 v[153:154], v[4:5], v[42:43], v[153:154]
	v_fma_f64 v[159:160], v[2:3], v[42:43], -v[44:45]
	ds_load_b128 v[2:5], v1 offset:704
	scratch_load_b128 v[42:45], off, off offset:336
	v_fma_f64 v[147:148], v[147:148], v[6:7], v[157:158]
	v_fma_f64 v[145:146], v[145:146], v[6:7], -v[8:9]
	scratch_load_b128 v[6:9], off, off offset:352
	v_add_f64 v[143:144], v[151:152], v[143:144]
	v_add_f64 v[155:156], v[149:150], v[155:156]
	ds_load_b128 v[149:152], v1 offset:720
	s_waitcnt vmcnt(9) lgkmcnt(1)
	v_mul_f64 v[161:162], v[2:3], v[12:13]
	v_mul_f64 v[12:13], v[4:5], v[12:13]
	v_add_f64 v[143:144], v[143:144], v[159:160]
	v_add_f64 v[153:154], v[155:156], v[153:154]
	s_waitcnt vmcnt(8) lgkmcnt(0)
	v_mul_f64 v[155:156], v[149:150], v[16:17]
	v_mul_f64 v[16:17], v[151:152], v[16:17]
	v_fma_f64 v[157:158], v[4:5], v[10:11], v[161:162]
	v_fma_f64 v[159:160], v[2:3], v[10:11], -v[12:13]
	ds_load_b128 v[2:5], v1 offset:736
	scratch_load_b128 v[10:13], off, off offset:368
	v_add_f64 v[161:162], v[143:144], v[145:146]
	v_add_f64 v[147:148], v[153:154], v[147:148]
	ds_load_b128 v[143:146], v1 offset:752
	s_waitcnt vmcnt(8) lgkmcnt(1)
	v_mul_f64 v[153:154], v[2:3], v[20:21]
	v_mul_f64 v[20:21], v[4:5], v[20:21]
	v_fma_f64 v[151:152], v[151:152], v[14:15], v[155:156]
	v_fma_f64 v[149:150], v[149:150], v[14:15], -v[16:17]
	scratch_load_b128 v[14:17], off, off offset:384
	v_add_f64 v[155:156], v[161:162], v[159:160]
	v_add_f64 v[147:148], v[147:148], v[157:158]
	s_waitcnt vmcnt(8) lgkmcnt(0)
	v_mul_f64 v[157:158], v[143:144], v[24:25]
	v_mul_f64 v[24:25], v[145:146], v[24:25]
	v_fma_f64 v[153:154], v[4:5], v[18:19], v[153:154]
	v_fma_f64 v[159:160], v[2:3], v[18:19], -v[20:21]
	ds_load_b128 v[2:5], v1 offset:768
	scratch_load_b128 v[18:21], off, off offset:400
	v_add_f64 v[155:156], v[155:156], v[149:150]
	v_add_f64 v[151:152], v[147:148], v[151:152]
	ds_load_b128 v[147:150], v1 offset:784
	s_waitcnt vmcnt(8) lgkmcnt(1)
	v_mul_f64 v[161:162], v[2:3], v[28:29]
	v_mul_f64 v[28:29], v[4:5], v[28:29]
	v_fma_f64 v[145:146], v[145:146], v[22:23], v[157:158]
	v_fma_f64 v[143:144], v[143:144], v[22:23], -v[24:25]
	scratch_load_b128 v[22:25], off, off offset:416
	;; [unrolled: 18-line block ×4, first 2 shown]
	s_waitcnt vmcnt(8) lgkmcnt(0)
	v_mul_f64 v[155:156], v[147:148], v[8:9]
	v_mul_f64 v[8:9], v[149:150], v[8:9]
	v_add_f64 v[153:154], v[153:154], v[159:160]
	v_add_f64 v[151:152], v[151:152], v[157:158]
	v_fma_f64 v[157:158], v[4:5], v[42:43], v[161:162]
	v_fma_f64 v[159:160], v[2:3], v[42:43], -v[44:45]
	ds_load_b128 v[2:5], v1 offset:864
	ds_load_b128 v[42:45], v1 offset:880
	v_fma_f64 v[149:150], v[149:150], v[6:7], v[155:156]
	v_fma_f64 v[6:7], v[147:148], v[6:7], -v[8:9]
	v_add_f64 v[143:144], v[153:154], v[143:144]
	v_add_f64 v[145:146], v[151:152], v[145:146]
	s_waitcnt vmcnt(7) lgkmcnt(1)
	v_mul_f64 v[151:152], v[2:3], v[12:13]
	v_mul_f64 v[12:13], v[4:5], v[12:13]
	s_delay_alu instid0(VALU_DEP_4) | instskip(NEXT) | instid1(VALU_DEP_4)
	v_add_f64 v[8:9], v[143:144], v[159:160]
	v_add_f64 v[143:144], v[145:146], v[157:158]
	s_waitcnt vmcnt(6) lgkmcnt(0)
	v_mul_f64 v[145:146], v[42:43], v[16:17]
	v_mul_f64 v[16:17], v[44:45], v[16:17]
	v_fma_f64 v[147:148], v[4:5], v[10:11], v[151:152]
	v_fma_f64 v[10:11], v[2:3], v[10:11], -v[12:13]
	v_add_f64 v[12:13], v[8:9], v[6:7]
	v_add_f64 v[143:144], v[143:144], v[149:150]
	ds_load_b128 v[2:5], v1 offset:896
	ds_load_b128 v[6:9], v1 offset:912
	v_fma_f64 v[44:45], v[44:45], v[14:15], v[145:146]
	v_fma_f64 v[14:15], v[42:43], v[14:15], -v[16:17]
	s_waitcnt vmcnt(5) lgkmcnt(1)
	v_mul_f64 v[149:150], v[2:3], v[20:21]
	v_mul_f64 v[20:21], v[4:5], v[20:21]
	s_waitcnt vmcnt(4) lgkmcnt(0)
	v_mul_f64 v[16:17], v[6:7], v[24:25]
	v_mul_f64 v[24:25], v[8:9], v[24:25]
	v_add_f64 v[10:11], v[12:13], v[10:11]
	v_add_f64 v[12:13], v[143:144], v[147:148]
	v_fma_f64 v[42:43], v[4:5], v[18:19], v[149:150]
	v_fma_f64 v[18:19], v[2:3], v[18:19], -v[20:21]
	v_fma_f64 v[8:9], v[8:9], v[22:23], v[16:17]
	v_fma_f64 v[6:7], v[6:7], v[22:23], -v[24:25]
	v_add_f64 v[14:15], v[10:11], v[14:15]
	v_add_f64 v[20:21], v[12:13], v[44:45]
	ds_load_b128 v[2:5], v1 offset:928
	ds_load_b128 v[10:13], v1 offset:944
	s_waitcnt vmcnt(3) lgkmcnt(1)
	v_mul_f64 v[44:45], v[2:3], v[28:29]
	v_mul_f64 v[28:29], v[4:5], v[28:29]
	v_add_f64 v[14:15], v[14:15], v[18:19]
	v_add_f64 v[16:17], v[20:21], v[42:43]
	s_waitcnt vmcnt(2) lgkmcnt(0)
	v_mul_f64 v[18:19], v[10:11], v[32:33]
	v_mul_f64 v[20:21], v[12:13], v[32:33]
	v_fma_f64 v[22:23], v[4:5], v[26:27], v[44:45]
	v_fma_f64 v[24:25], v[2:3], v[26:27], -v[28:29]
	v_add_f64 v[14:15], v[14:15], v[6:7]
	v_add_f64 v[16:17], v[16:17], v[8:9]
	ds_load_b128 v[2:5], v1 offset:960
	ds_load_b128 v[6:9], v1 offset:976
	v_fma_f64 v[12:13], v[12:13], v[30:31], v[18:19]
	v_fma_f64 v[10:11], v[10:11], v[30:31], -v[20:21]
	s_waitcnt vmcnt(1) lgkmcnt(1)
	v_mul_f64 v[26:27], v[2:3], v[36:37]
	v_mul_f64 v[28:29], v[4:5], v[36:37]
	s_waitcnt vmcnt(0) lgkmcnt(0)
	v_mul_f64 v[18:19], v[6:7], v[40:41]
	v_mul_f64 v[20:21], v[8:9], v[40:41]
	v_add_f64 v[14:15], v[14:15], v[24:25]
	v_add_f64 v[16:17], v[16:17], v[22:23]
	v_fma_f64 v[4:5], v[4:5], v[34:35], v[26:27]
	v_fma_f64 v[1:2], v[2:3], v[34:35], -v[28:29]
	v_fma_f64 v[8:9], v[8:9], v[38:39], v[18:19]
	v_fma_f64 v[6:7], v[6:7], v[38:39], -v[20:21]
	v_add_f64 v[10:11], v[14:15], v[10:11]
	v_add_f64 v[12:13], v[16:17], v[12:13]
	s_delay_alu instid0(VALU_DEP_2) | instskip(NEXT) | instid1(VALU_DEP_2)
	v_add_f64 v[1:2], v[10:11], v[1:2]
	v_add_f64 v[3:4], v[12:13], v[4:5]
	s_delay_alu instid0(VALU_DEP_2) | instskip(NEXT) | instid1(VALU_DEP_2)
	v_add_f64 v[1:2], v[1:2], v[6:7]
	v_add_f64 v[3:4], v[3:4], v[8:9]
	s_delay_alu instid0(VALU_DEP_2) | instskip(NEXT) | instid1(VALU_DEP_2)
	v_add_f64 v[1:2], v[139:140], -v[1:2]
	v_add_f64 v[3:4], v[141:142], -v[3:4]
	scratch_store_b128 off, v[1:4], off
	s_cbranch_vccz .LBB30_261
; %bb.200:
	v_dual_mov_b32 v1, s16 :: v_dual_mov_b32 v2, s17
	s_load_b64 s[0:1], s[0:1], 0x4
	flat_load_b32 v1, v[1:2] offset:116
	v_bfe_u32 v2, v0, 10, 10
	v_bfe_u32 v0, v0, 20, 10
	s_waitcnt lgkmcnt(0)
	s_lshr_b32 s0, s0, 16
	s_delay_alu instid0(VALU_DEP_2) | instskip(SKIP_1) | instid1(SALU_CYCLE_1)
	v_mul_u32_u24_e32 v2, s1, v2
	s_mul_i32 s0, s0, s1
	v_mul_u32_u24_e32 v3, s0, v108
	s_mov_b32 s0, exec_lo
	s_delay_alu instid0(VALU_DEP_1) | instskip(NEXT) | instid1(VALU_DEP_1)
	v_add3_u32 v0, v3, v2, v0
	v_lshl_add_u32 v0, v0, 4, 0x3e8
	s_waitcnt vmcnt(0)
	v_cmpx_ne_u32_e32 30, v1
	s_cbranch_execz .LBB30_202
; %bb.201:
	v_lshl_add_u32 v9, v1, 4, 0
	s_clause 0x1
	scratch_load_b128 v[1:4], v124, off
	scratch_load_b128 v[5:8], v9, off offset:-16
	s_waitcnt vmcnt(1)
	ds_store_2addr_b64 v0, v[1:2], v[3:4] offset1:1
	s_waitcnt vmcnt(0)
	s_clause 0x1
	scratch_store_b128 v124, v[5:8], off
	scratch_store_b128 v9, v[1:4], off offset:-16
.LBB30_202:
	s_or_b32 exec_lo, exec_lo, s0
	v_dual_mov_b32 v1, s16 :: v_dual_mov_b32 v2, s17
	s_mov_b32 s0, exec_lo
	flat_load_b32 v1, v[1:2] offset:112
	s_waitcnt vmcnt(0) lgkmcnt(0)
	v_cmpx_ne_u32_e32 29, v1
	s_cbranch_execz .LBB30_204
; %bb.203:
	v_lshl_add_u32 v9, v1, 4, 0
	s_clause 0x1
	scratch_load_b128 v[1:4], v127, off
	scratch_load_b128 v[5:8], v9, off offset:-16
	s_waitcnt vmcnt(1)
	ds_store_2addr_b64 v0, v[1:2], v[3:4] offset1:1
	s_waitcnt vmcnt(0)
	s_clause 0x1
	scratch_store_b128 v127, v[5:8], off
	scratch_store_b128 v9, v[1:4], off offset:-16
.LBB30_204:
	s_or_b32 exec_lo, exec_lo, s0
	v_dual_mov_b32 v1, s16 :: v_dual_mov_b32 v2, s17
	s_mov_b32 s0, exec_lo
	flat_load_b32 v1, v[1:2] offset:108
	s_waitcnt vmcnt(0) lgkmcnt(0)
	;; [unrolled: 19-line block ×28, first 2 shown]
	v_cmpx_ne_u32_e32 2, v1
	s_cbranch_execz .LBB30_258
; %bb.257:
	v_lshl_add_u32 v9, v1, 4, 0
	s_clause 0x1
	scratch_load_b128 v[1:4], v112, off
	scratch_load_b128 v[5:8], v9, off offset:-16
	s_waitcnt vmcnt(1)
	ds_store_2addr_b64 v0, v[1:2], v[3:4] offset1:1
	s_waitcnt vmcnt(0)
	s_clause 0x1
	scratch_store_b128 v112, v[5:8], off
	scratch_store_b128 v9, v[1:4], off offset:-16
.LBB30_258:
	s_or_b32 exec_lo, exec_lo, s0
	v_dual_mov_b32 v1, s16 :: v_dual_mov_b32 v2, s17
	s_mov_b32 s0, exec_lo
	flat_load_b32 v1, v[1:2]
	s_waitcnt vmcnt(0) lgkmcnt(0)
	v_cmpx_ne_u32_e32 1, v1
	s_cbranch_execz .LBB30_260
; %bb.259:
	v_lshl_add_u32 v9, v1, 4, 0
	scratch_load_b128 v[1:4], off, off
	scratch_load_b128 v[5:8], v9, off offset:-16
	s_waitcnt vmcnt(1)
	ds_store_2addr_b64 v0, v[1:2], v[3:4] offset1:1
	s_waitcnt vmcnt(0)
	scratch_store_b128 off, v[5:8], off
	scratch_store_b128 v9, v[1:4], off offset:-16
.LBB30_260:
	s_or_b32 exec_lo, exec_lo, s0
.LBB30_261:
	scratch_load_b128 v[0:3], off, off
	s_clause 0x15
	scratch_load_b128 v[4:7], v112, off
	scratch_load_b128 v[8:11], v111, off
	;; [unrolled: 1-line block ×22, first 2 shown]
	s_waitcnt vmcnt(22)
	global_store_b128 v[46:47], v[0:3], off
	s_clause 0x1
	scratch_load_b128 v[0:3], v134, off
	scratch_load_b128 v[44:47], v133, off
	s_waitcnt vmcnt(23)
	global_store_b128 v[50:51], v[4:7], off
	s_clause 0x1
	scratch_load_b128 v[4:7], v132, off
	scratch_load_b128 v[130:133], v131, off
	;; [unrolled: 5-line block ×4, first 2 shown]
	s_waitcnt vmcnt(26)
	global_store_b128 v[54:55], v[16:19], off
	s_waitcnt vmcnt(25)
	global_store_b128 v[56:57], v[20:23], off
	;; [unrolled: 2-line block ×27, first 2 shown]
	s_endpgm
	.section	.rodata,"a",@progbits
	.p2align	6, 0x0
	.amdhsa_kernel _ZN9rocsolver6v33100L18getri_kernel_smallILi31E19rocblas_complex_numIdEPS3_EEvT1_iilPiilS6_bb
		.amdhsa_group_segment_fixed_size 2024
		.amdhsa_private_segment_fixed_size 512
		.amdhsa_kernarg_size 60
		.amdhsa_user_sgpr_count 15
		.amdhsa_user_sgpr_dispatch_ptr 1
		.amdhsa_user_sgpr_queue_ptr 0
		.amdhsa_user_sgpr_kernarg_segment_ptr 1
		.amdhsa_user_sgpr_dispatch_id 0
		.amdhsa_user_sgpr_private_segment_size 0
		.amdhsa_wavefront_size32 1
		.amdhsa_uses_dynamic_stack 0
		.amdhsa_enable_private_segment 1
		.amdhsa_system_sgpr_workgroup_id_x 1
		.amdhsa_system_sgpr_workgroup_id_y 0
		.amdhsa_system_sgpr_workgroup_id_z 0
		.amdhsa_system_sgpr_workgroup_info 0
		.amdhsa_system_vgpr_workitem_id 2
		.amdhsa_next_free_vgpr 187
		.amdhsa_next_free_sgpr 38
		.amdhsa_reserve_vcc 1
		.amdhsa_float_round_mode_32 0
		.amdhsa_float_round_mode_16_64 0
		.amdhsa_float_denorm_mode_32 3
		.amdhsa_float_denorm_mode_16_64 3
		.amdhsa_dx10_clamp 1
		.amdhsa_ieee_mode 1
		.amdhsa_fp16_overflow 0
		.amdhsa_workgroup_processor_mode 1
		.amdhsa_memory_ordered 1
		.amdhsa_forward_progress 0
		.amdhsa_shared_vgpr_count 0
		.amdhsa_exception_fp_ieee_invalid_op 0
		.amdhsa_exception_fp_denorm_src 0
		.amdhsa_exception_fp_ieee_div_zero 0
		.amdhsa_exception_fp_ieee_overflow 0
		.amdhsa_exception_fp_ieee_underflow 0
		.amdhsa_exception_fp_ieee_inexact 0
		.amdhsa_exception_int_div_zero 0
	.end_amdhsa_kernel
	.section	.text._ZN9rocsolver6v33100L18getri_kernel_smallILi31E19rocblas_complex_numIdEPS3_EEvT1_iilPiilS6_bb,"axG",@progbits,_ZN9rocsolver6v33100L18getri_kernel_smallILi31E19rocblas_complex_numIdEPS3_EEvT1_iilPiilS6_bb,comdat
.Lfunc_end30:
	.size	_ZN9rocsolver6v33100L18getri_kernel_smallILi31E19rocblas_complex_numIdEPS3_EEvT1_iilPiilS6_bb, .Lfunc_end30-_ZN9rocsolver6v33100L18getri_kernel_smallILi31E19rocblas_complex_numIdEPS3_EEvT1_iilPiilS6_bb
                                        ; -- End function
	.section	.AMDGPU.csdata,"",@progbits
; Kernel info:
; codeLenInByte = 51068
; NumSgprs: 40
; NumVgprs: 187
; ScratchSize: 512
; MemoryBound: 0
; FloatMode: 240
; IeeeMode: 1
; LDSByteSize: 2024 bytes/workgroup (compile time only)
; SGPRBlocks: 4
; VGPRBlocks: 23
; NumSGPRsForWavesPerEU: 40
; NumVGPRsForWavesPerEU: 187
; Occupancy: 8
; WaveLimiterHint : 1
; COMPUTE_PGM_RSRC2:SCRATCH_EN: 1
; COMPUTE_PGM_RSRC2:USER_SGPR: 15
; COMPUTE_PGM_RSRC2:TRAP_HANDLER: 0
; COMPUTE_PGM_RSRC2:TGID_X_EN: 1
; COMPUTE_PGM_RSRC2:TGID_Y_EN: 0
; COMPUTE_PGM_RSRC2:TGID_Z_EN: 0
; COMPUTE_PGM_RSRC2:TIDIG_COMP_CNT: 2
	.section	.text._ZN9rocsolver6v33100L18getri_kernel_smallILi32E19rocblas_complex_numIdEPS3_EEvT1_iilPiilS6_bb,"axG",@progbits,_ZN9rocsolver6v33100L18getri_kernel_smallILi32E19rocblas_complex_numIdEPS3_EEvT1_iilPiilS6_bb,comdat
	.globl	_ZN9rocsolver6v33100L18getri_kernel_smallILi32E19rocblas_complex_numIdEPS3_EEvT1_iilPiilS6_bb ; -- Begin function _ZN9rocsolver6v33100L18getri_kernel_smallILi32E19rocblas_complex_numIdEPS3_EEvT1_iilPiilS6_bb
	.p2align	8
	.type	_ZN9rocsolver6v33100L18getri_kernel_smallILi32E19rocblas_complex_numIdEPS3_EEvT1_iilPiilS6_bb,@function
_ZN9rocsolver6v33100L18getri_kernel_smallILi32E19rocblas_complex_numIdEPS3_EEvT1_iilPiilS6_bb: ; @_ZN9rocsolver6v33100L18getri_kernel_smallILi32E19rocblas_complex_numIdEPS3_EEvT1_iilPiilS6_bb
; %bb.0:
	v_and_b32_e32 v106, 0x3ff, v0
	s_mov_b32 s4, exec_lo
	s_delay_alu instid0(VALU_DEP_1)
	v_cmpx_gt_u32_e32 32, v106
	s_cbranch_execz .LBB31_142
; %bb.1:
	s_mov_b32 s18, s15
	s_clause 0x2
	s_load_b32 s21, s[2:3], 0x38
	s_load_b128 s[12:15], s[2:3], 0x10
	s_load_b128 s[4:7], s[2:3], 0x28
                                        ; implicit-def: $sgpr16_sgpr17
	s_waitcnt lgkmcnt(0)
	s_bitcmp1_b32 s21, 8
	s_cselect_b32 s20, -1, 0
	s_bfe_u32 s8, s21, 0x10008
	s_ashr_i32 s19, s18, 31
	s_cmp_eq_u32 s8, 0
	s_cbranch_scc1 .LBB31_3
; %bb.2:
	s_load_b32 s8, s[2:3], 0x20
	s_mul_i32 s5, s18, s5
	s_mul_hi_u32 s9, s18, s4
	s_mul_i32 s10, s19, s4
	s_add_i32 s5, s9, s5
	s_mul_i32 s4, s18, s4
	s_add_i32 s5, s5, s10
	s_delay_alu instid0(SALU_CYCLE_1)
	s_lshl_b64 s[4:5], s[4:5], 2
	s_waitcnt lgkmcnt(0)
	s_ashr_i32 s9, s8, 31
	s_add_u32 s10, s14, s4
	s_addc_u32 s11, s15, s5
	s_lshl_b64 s[4:5], s[8:9], 2
	s_delay_alu instid0(SALU_CYCLE_1)
	s_add_u32 s16, s10, s4
	s_addc_u32 s17, s11, s5
.LBB31_3:
	s_load_b128 s[8:11], s[2:3], 0x0
	s_mul_i32 s2, s18, s13
	s_mul_hi_u32 s3, s18, s12
	s_mul_i32 s4, s19, s12
	s_add_i32 s3, s3, s2
	s_mul_i32 s2, s18, s12
	s_add_i32 s3, s3, s4
	v_lshlrev_b32_e32 v13, 4, v106
	s_lshl_b64 s[2:3], s[2:3], 4
	s_movk_i32 s14, 0xe0
	s_movk_i32 s15, 0xf0
	;; [unrolled: 1-line block ×11, first 2 shown]
	s_waitcnt lgkmcnt(0)
	v_add3_u32 v5, s11, s11, v106
	s_ashr_i32 s13, s10, 31
	s_mov_b32 s12, s10
	s_add_u32 s4, s8, s2
	s_addc_u32 s5, s9, s3
	v_add_nc_u32_e32 v9, s11, v5
	s_lshl_b64 s[2:3], s[12:13], 4
	v_ashrrev_i32_e32 v6, 31, v5
	s_add_u32 s2, s4, s2
	s_addc_u32 s3, s5, s3
	v_add_nc_u32_e32 v11, s11, v9
	v_add_co_u32 v44, s4, s2, v13
	s_mov_b32 s8, s11
	s_ashr_i32 s9, s11, 31
	v_add_co_ci_u32_e64 v45, null, s3, 0, s4
	v_lshlrev_b64 v[14:15], 4, v[5:6]
	s_lshl_b64 s[4:5], s[8:9], 4
	v_add_nc_u32_e32 v18, s11, v11
	v_add_co_u32 v42, vcc_lo, v44, s4
	v_ashrrev_i32_e32 v10, 31, v9
	v_add_co_ci_u32_e32 v43, vcc_lo, s5, v45, vcc_lo
	v_ashrrev_i32_e32 v12, 31, v11
	v_add_co_u32 v46, vcc_lo, s2, v14
	v_add_nc_u32_e32 v22, s11, v18
	v_add_co_ci_u32_e32 v47, vcc_lo, s3, v15, vcc_lo
	v_lshlrev_b64 v[14:15], 4, v[9:10]
	v_ashrrev_i32_e32 v19, 31, v18
	v_lshlrev_b64 v[16:17], 4, v[11:12]
	v_add_nc_u32_e32 v34, s11, v22
	v_ashrrev_i32_e32 v23, 31, v22
	s_clause 0x1
	global_load_b128 v[1:4], v13, s[2:3]
	global_load_b128 v[5:8], v[42:43], off
	v_add_co_u32 v48, vcc_lo, s2, v14
	v_lshlrev_b64 v[24:25], 4, v[18:19]
	v_add_co_ci_u32_e32 v49, vcc_lo, s3, v15, vcc_lo
	v_add_co_u32 v50, vcc_lo, s2, v16
	v_ashrrev_i32_e32 v35, 31, v34
	v_add_co_ci_u32_e32 v51, vcc_lo, s3, v17, vcc_lo
	v_lshlrev_b64 v[22:23], 4, v[22:23]
	v_add_co_u32 v52, vcc_lo, s2, v24
	v_add_co_ci_u32_e32 v53, vcc_lo, s3, v25, vcc_lo
	v_lshlrev_b64 v[24:25], 4, v[34:35]
	s_delay_alu instid0(VALU_DEP_4)
	v_add_co_u32 v54, vcc_lo, s2, v22
	s_clause 0x1
	global_load_b128 v[9:12], v[46:47], off
	global_load_b128 v[14:17], v[48:49], off
	v_add_co_ci_u32_e32 v55, vcc_lo, s3, v23, vcc_lo
	v_add_co_u32 v56, vcc_lo, s2, v24
	v_add_co_ci_u32_e32 v57, vcc_lo, s3, v25, vcc_lo
	s_clause 0x3
	global_load_b128 v[18:21], v[50:51], off
	global_load_b128 v[22:25], v[52:53], off
	;; [unrolled: 1-line block ×4, first 2 shown]
	v_add_nc_u32_e32 v34, s11, v34
	s_movk_i32 s4, 0x60
	s_movk_i32 s5, 0x70
	;; [unrolled: 1-line block ×4, first 2 shown]
	v_add_nc_u32_e32 v36, s11, v34
	v_ashrrev_i32_e32 v35, 31, v34
	s_movk_i32 s10, 0xa0
	s_movk_i32 s12, 0xc0
	;; [unrolled: 1-line block ×3, first 2 shown]
	v_add_nc_u32_e32 v38, s11, v36
	v_ashrrev_i32_e32 v37, 31, v36
	v_lshlrev_b64 v[34:35], 4, v[34:35]
	s_movk_i32 s31, 0x190
	s_movk_i32 s33, 0x1a0
	v_add_nc_u32_e32 v40, s11, v38
	v_ashrrev_i32_e32 v39, 31, v38
	v_lshlrev_b64 v[36:37], 4, v[36:37]
	v_add_co_u32 v58, vcc_lo, s2, v34
	s_delay_alu instid0(VALU_DEP_4) | instskip(SKIP_3) | instid1(VALU_DEP_4)
	v_add_nc_u32_e32 v64, s11, v40
	v_ashrrev_i32_e32 v41, 31, v40
	v_lshlrev_b64 v[38:39], 4, v[38:39]
	v_add_co_ci_u32_e32 v59, vcc_lo, s3, v35, vcc_lo
	v_add_nc_u32_e32 v66, s11, v64
	v_add_co_u32 v60, vcc_lo, s2, v36
	v_lshlrev_b64 v[68:69], 4, v[40:41]
	v_ashrrev_i32_e32 v65, 31, v64
	s_delay_alu instid0(VALU_DEP_4) | instskip(SKIP_2) | instid1(VALU_DEP_3)
	v_add_nc_u32_e32 v70, s11, v66
	v_add_co_ci_u32_e32 v61, vcc_lo, s3, v37, vcc_lo
	v_add_co_u32 v62, vcc_lo, s2, v38
	v_add_nc_u32_e32 v74, s11, v70
	v_ashrrev_i32_e32 v67, 31, v66
	v_add_co_ci_u32_e32 v63, vcc_lo, s3, v39, vcc_lo
	v_lshlrev_b64 v[72:73], 4, v[64:65]
	s_delay_alu instid0(VALU_DEP_4) | instskip(SKIP_3) | instid1(VALU_DEP_4)
	v_add_nc_u32_e32 v76, s11, v74
	v_add_co_u32 v64, vcc_lo, s2, v68
	v_ashrrev_i32_e32 v71, 31, v70
	v_add_co_ci_u32_e32 v65, vcc_lo, s3, v69, vcc_lo
	v_add_nc_u32_e32 v78, s11, v76
	v_lshlrev_b64 v[68:69], 4, v[66:67]
	v_ashrrev_i32_e32 v75, 31, v74
	v_add_co_u32 v66, vcc_lo, s2, v72
	s_delay_alu instid0(VALU_DEP_4) | instskip(SKIP_3) | instid1(VALU_DEP_4)
	v_add_nc_u32_e32 v80, s11, v78
	v_lshlrev_b64 v[70:71], 4, v[70:71]
	v_ashrrev_i32_e32 v77, 31, v76
	v_add_co_ci_u32_e32 v67, vcc_lo, s3, v73, vcc_lo
	v_add_nc_u32_e32 v82, s11, v80
	v_add_co_u32 v68, vcc_lo, s2, v68
	v_lshlrev_b64 v[72:73], 4, v[74:75]
	v_ashrrev_i32_e32 v79, 31, v78
	s_delay_alu instid0(VALU_DEP_4) | instskip(SKIP_2) | instid1(VALU_DEP_3)
	v_add_nc_u32_e32 v84, s11, v82
	v_add_co_ci_u32_e32 v69, vcc_lo, s3, v69, vcc_lo
	v_add_co_u32 v70, vcc_lo, s2, v70
	v_add_nc_u32_e32 v86, s11, v84
	v_lshlrev_b64 v[74:75], 4, v[76:77]
	v_ashrrev_i32_e32 v81, 31, v80
	v_add_co_ci_u32_e32 v71, vcc_lo, s3, v71, vcc_lo
	s_delay_alu instid0(VALU_DEP_4) | instskip(SKIP_3) | instid1(VALU_DEP_4)
	v_add_nc_u32_e32 v88, s11, v86
	v_add_co_u32 v72, vcc_lo, s2, v72
	v_lshlrev_b64 v[76:77], 4, v[78:79]
	v_ashrrev_i32_e32 v83, 31, v82
	v_add_nc_u32_e32 v90, s11, v88
	v_add_co_ci_u32_e32 v73, vcc_lo, s3, v73, vcc_lo
	v_add_co_u32 v74, vcc_lo, s2, v74
	s_delay_alu instid0(VALU_DEP_3) | instskip(SKIP_3) | instid1(VALU_DEP_4)
	v_add_nc_u32_e32 v92, s11, v90
	v_lshlrev_b64 v[78:79], 4, v[80:81]
	v_ashrrev_i32_e32 v85, 31, v84
	v_add_co_ci_u32_e32 v75, vcc_lo, s3, v75, vcc_lo
	v_add_nc_u32_e32 v94, s11, v92
	v_add_co_u32 v76, vcc_lo, s2, v76
	v_lshlrev_b64 v[80:81], 4, v[82:83]
	v_ashrrev_i32_e32 v87, 31, v86
	s_delay_alu instid0(VALU_DEP_4) | instskip(SKIP_3) | instid1(VALU_DEP_4)
	v_add_nc_u32_e32 v96, s11, v94
	v_ashrrev_i32_e32 v89, 31, v88
	v_ashrrev_i32_e32 v91, 31, v90
	v_add_co_ci_u32_e32 v77, vcc_lo, s3, v77, vcc_lo
	v_add_nc_u32_e32 v98, s11, v96
	v_add_co_u32 v78, vcc_lo, s2, v78
	v_lshlrev_b64 v[82:83], 4, v[84:85]
	v_add_co_ci_u32_e32 v79, vcc_lo, s3, v79, vcc_lo
	s_delay_alu instid0(VALU_DEP_4)
	v_add_nc_u32_e32 v100, s11, v98
	v_lshlrev_b64 v[84:85], 4, v[86:87]
	v_lshlrev_b64 v[86:87], 4, v[88:89]
	;; [unrolled: 1-line block ×3, first 2 shown]
	v_add_co_u32 v80, vcc_lo, s2, v80
	v_add_nc_u32_e32 v102, s11, v100
	v_add_co_ci_u32_e32 v81, vcc_lo, s3, v81, vcc_lo
	v_add_co_u32 v82, vcc_lo, s2, v82
	s_delay_alu instid0(VALU_DEP_3) | instskip(SKIP_2) | instid1(VALU_DEP_3)
	v_add_nc_u32_e32 v104, s11, v102
	v_add_co_ci_u32_e32 v83, vcc_lo, s3, v83, vcc_lo
	v_add_co_u32 v84, vcc_lo, s2, v84
	v_add_nc_u32_e32 v90, s11, v104
	v_ashrrev_i32_e32 v93, 31, v92
	v_add_co_ci_u32_e32 v85, vcc_lo, s3, v85, vcc_lo
	v_add_co_u32 v86, vcc_lo, s2, v86
	s_delay_alu instid0(VALU_DEP_4) | instskip(SKIP_3) | instid1(VALU_DEP_4)
	v_ashrrev_i32_e32 v91, 31, v90
	v_ashrrev_i32_e32 v95, 31, v94
	v_add_co_ci_u32_e32 v87, vcc_lo, s3, v87, vcc_lo
	v_lshlrev_b64 v[92:93], 4, v[92:93]
	v_lshlrev_b64 v[90:91], 4, v[90:91]
	v_add_co_u32 v88, vcc_lo, s2, v88
	v_ashrrev_i32_e32 v97, 31, v96
	v_add_co_ci_u32_e32 v89, vcc_lo, s3, v89, vcc_lo
	v_lshlrev_b64 v[94:95], 4, v[94:95]
	v_add_co_u32 v90, vcc_lo, s2, v90
	v_ashrrev_i32_e32 v99, 31, v98
	v_add_co_ci_u32_e32 v91, vcc_lo, s3, v91, vcc_lo
	v_add_co_u32 v92, vcc_lo, s2, v92
	v_lshlrev_b64 v[96:97], 4, v[96:97]
	v_ashrrev_i32_e32 v101, 31, v100
	v_add_co_ci_u32_e32 v93, vcc_lo, s3, v93, vcc_lo
	v_add_co_u32 v94, vcc_lo, s2, v94
	v_lshlrev_b64 v[98:99], 4, v[98:99]
	;; [unrolled: 4-line block ×4, first 2 shown]
	v_add_co_ci_u32_e32 v99, vcc_lo, s3, v99, vcc_lo
	v_add_co_u32 v100, vcc_lo, s2, v100
	v_lshlrev_b64 v[104:105], 4, v[104:105]
	v_add_co_ci_u32_e32 v101, vcc_lo, s3, v101, vcc_lo
	v_add_co_u32 v102, vcc_lo, s2, v102
	v_add_co_ci_u32_e32 v103, vcc_lo, s3, v103, vcc_lo
	s_clause 0xf
	global_load_b128 v[34:37], v[58:59], off
	global_load_b128 v[38:41], v[60:61], off
	;; [unrolled: 1-line block ×16, first 2 shown]
	v_add_co_u32 v104, vcc_lo, s2, v104
	v_add_co_ci_u32_e32 v105, vcc_lo, s3, v105, vcc_lo
	s_movk_i32 s2, 0x50
	s_movk_i32 s11, 0xb0
	;; [unrolled: 1-line block ×7, first 2 shown]
	v_add_nc_u32_e64 v110, 0, 16
	v_add_nc_u32_e64 v108, 0, 32
	;; [unrolled: 1-line block ×15, first 2 shown]
	s_mov_b32 s3, -1
	s_bitcmp0_b32 s21, 0
	s_waitcnt vmcnt(23)
	scratch_store_b128 off, v[1:4], off
	s_waitcnt vmcnt(22)
	scratch_store_b128 off, v[5:8], off offset:16
	s_clause 0x1
	global_load_b128 v[1:4], v[88:89], off
	global_load_b128 v[5:8], v[92:93], off
	s_waitcnt vmcnt(23)
	scratch_store_b128 off, v[9:12], off offset:32
	s_waitcnt vmcnt(22)
	scratch_store_b128 off, v[14:17], off offset:48
	s_clause 0x1
	global_load_b128 v[9:12], v[94:95], off
	global_load_b128 v[14:17], v[96:97], off
	s_waitcnt vmcnt(22)
	s_clause 0x1
	scratch_store_b128 off, v[22:25], off offset:80
	scratch_store_b128 off, v[18:21], off offset:64
	s_clause 0x1
	global_load_b128 v[18:21], v[98:99], off
	global_load_b128 v[22:25], v[100:101], off
	s_waitcnt vmcnt(23)
	scratch_store_b128 off, v[26:29], off offset:96
	s_waitcnt vmcnt(22)
	scratch_store_b128 off, v[30:33], off offset:112
	s_clause 0x1
	global_load_b128 v[26:29], v[102:103], off
	global_load_b128 v[30:33], v[104:105], off
	s_waitcnt vmcnt(23)
	scratch_store_b128 off, v[34:37], off offset:128
	s_waitcnt vmcnt(22)
	scratch_store_b128 off, v[38:41], off offset:144
	s_waitcnt vmcnt(21)
	scratch_store_b128 off, v[111:114], off offset:160
	s_waitcnt vmcnt(20)
	scratch_store_b128 off, v[115:118], off offset:176
	v_add_nc_u32_e64 v118, s30, 0
	v_add_nc_u32_e64 v117, s31, 0
	;; [unrolled: 1-line block ×8, first 2 shown]
	s_waitcnt vmcnt(19)
	scratch_store_b128 off, v[119:122], off offset:192
	s_waitcnt vmcnt(18)
	scratch_store_b128 off, v[134:137], off offset:208
	s_waitcnt vmcnt(17)
	scratch_store_b128 off, v[138:141], off offset:224
	s_waitcnt vmcnt(16)
	scratch_store_b128 off, v[142:145], off offset:240
	s_waitcnt vmcnt(15)
	scratch_store_b128 off, v[146:149], off offset:256
	s_waitcnt vmcnt(14)
	scratch_store_b128 off, v[150:153], off offset:272
	s_waitcnt vmcnt(13)
	scratch_store_b128 off, v[154:157], off offset:288
	s_waitcnt vmcnt(12)
	scratch_store_b128 off, v[158:161], off offset:304
	s_waitcnt vmcnt(11)
	scratch_store_b128 off, v[162:165], off offset:320
	s_waitcnt vmcnt(10)
	scratch_store_b128 off, v[166:169], off offset:336
	s_waitcnt vmcnt(9)
	scratch_store_b128 off, v[170:173], off offset:352
	s_waitcnt vmcnt(7)
	scratch_store_b128 off, v[1:4], off offset:368
	s_waitcnt vmcnt(6)
	scratch_store_b128 off, v[5:8], off offset:384
	s_waitcnt vmcnt(5)
	scratch_store_b128 off, v[9:12], off offset:400
	s_waitcnt vmcnt(4)
	scratch_store_b128 off, v[14:17], off offset:416
	s_waitcnt vmcnt(3)
	scratch_store_b128 off, v[18:21], off offset:432
	v_add_nc_u32_e64 v137, s22, 0
	v_add_nc_u32_e64 v136, s23, 0
	;; [unrolled: 1-line block ×8, first 2 shown]
	s_waitcnt vmcnt(2)
	scratch_store_b128 off, v[22:25], off offset:448
	s_waitcnt vmcnt(1)
	scratch_store_b128 off, v[26:29], off offset:464
	s_waitcnt vmcnt(0)
	s_clause 0x1
	scratch_store_b128 off, v[30:33], off offset:480
	scratch_store_b128 off, v[174:177], off offset:496
	s_cbranch_scc1 .LBB31_140
; %bb.4:
	v_cmp_eq_u32_e64 s2, 0, v106
	s_delay_alu instid0(VALU_DEP_1)
	s_and_saveexec_b32 s3, s2
	s_cbranch_execz .LBB31_6
; %bb.5:
	v_mov_b32_e32 v1, 0
	ds_store_b32 v1, v1 offset:1024
.LBB31_6:
	s_or_b32 exec_lo, exec_lo, s3
	s_waitcnt lgkmcnt(0)
	s_waitcnt_vscnt null, 0x0
	s_barrier
	buffer_gl0_inv
	scratch_load_b128 v[1:4], v13, off
	s_waitcnt vmcnt(0)
	v_cmp_eq_f64_e32 vcc_lo, 0, v[1:2]
	v_cmp_eq_f64_e64 s3, 0, v[3:4]
	s_delay_alu instid0(VALU_DEP_1) | instskip(NEXT) | instid1(SALU_CYCLE_1)
	s_and_b32 s3, vcc_lo, s3
	s_and_saveexec_b32 s4, s3
	s_cbranch_execz .LBB31_10
; %bb.7:
	v_mov_b32_e32 v1, 0
	s_mov_b32 s5, 0
	ds_load_b32 v2, v1 offset:1024
	s_waitcnt lgkmcnt(0)
	v_readfirstlane_b32 s3, v2
	v_add_nc_u32_e32 v2, 1, v106
	s_delay_alu instid0(VALU_DEP_2) | instskip(NEXT) | instid1(VALU_DEP_1)
	s_cmp_eq_u32 s3, 0
	v_cmp_gt_i32_e32 vcc_lo, s3, v2
	s_cselect_b32 s8, -1, 0
	s_delay_alu instid0(SALU_CYCLE_1) | instskip(NEXT) | instid1(SALU_CYCLE_1)
	s_or_b32 s8, s8, vcc_lo
	s_and_b32 exec_lo, exec_lo, s8
	s_cbranch_execz .LBB31_10
; %bb.8:
	v_mov_b32_e32 v3, s3
.LBB31_9:                               ; =>This Inner Loop Header: Depth=1
	ds_cmpstore_rtn_b32 v3, v1, v2, v3 offset:1024
	s_waitcnt lgkmcnt(0)
	v_cmp_ne_u32_e32 vcc_lo, 0, v3
	v_cmp_le_i32_e64 s3, v3, v2
	s_delay_alu instid0(VALU_DEP_1) | instskip(NEXT) | instid1(SALU_CYCLE_1)
	s_and_b32 s3, vcc_lo, s3
	s_and_b32 s3, exec_lo, s3
	s_delay_alu instid0(SALU_CYCLE_1) | instskip(NEXT) | instid1(SALU_CYCLE_1)
	s_or_b32 s5, s3, s5
	s_and_not1_b32 exec_lo, exec_lo, s5
	s_cbranch_execnz .LBB31_9
.LBB31_10:
	s_or_b32 exec_lo, exec_lo, s4
	v_mov_b32_e32 v1, 0
	s_barrier
	buffer_gl0_inv
	ds_load_b32 v2, v1 offset:1024
	s_and_saveexec_b32 s3, s2
	s_cbranch_execz .LBB31_12
; %bb.11:
	s_lshl_b64 s[4:5], s[18:19], 2
	s_delay_alu instid0(SALU_CYCLE_1)
	s_add_u32 s4, s6, s4
	s_addc_u32 s5, s7, s5
	s_waitcnt lgkmcnt(0)
	global_store_b32 v1, v2, s[4:5]
.LBB31_12:
	s_or_b32 exec_lo, exec_lo, s3
	s_waitcnt lgkmcnt(0)
	v_cmp_ne_u32_e32 vcc_lo, 0, v2
	s_mov_b32 s3, 0
	s_cbranch_vccnz .LBB31_140
; %bb.13:
	v_add_nc_u32_e32 v14, 0, v13
                                        ; implicit-def: $vgpr9_vgpr10
	scratch_load_b128 v[1:4], v14, off
	s_waitcnt vmcnt(0)
	v_mov_b32_e32 v5, v1
	v_cmp_gt_f64_e32 vcc_lo, 0, v[1:2]
	v_xor_b32_e32 v6, 0x80000000, v2
	v_xor_b32_e32 v7, 0x80000000, v4
	s_delay_alu instid0(VALU_DEP_2) | instskip(SKIP_1) | instid1(VALU_DEP_3)
	v_cndmask_b32_e32 v6, v2, v6, vcc_lo
	v_cmp_gt_f64_e32 vcc_lo, 0, v[3:4]
	v_dual_cndmask_b32 v8, v4, v7 :: v_dual_mov_b32 v7, v3
	s_delay_alu instid0(VALU_DEP_1) | instskip(SKIP_1) | instid1(SALU_CYCLE_1)
	v_cmp_ngt_f64_e32 vcc_lo, v[5:6], v[7:8]
                                        ; implicit-def: $vgpr5_vgpr6
	s_and_saveexec_b32 s3, vcc_lo
	s_xor_b32 s3, exec_lo, s3
	s_cbranch_execz .LBB31_15
; %bb.14:
	v_div_scale_f64 v[5:6], null, v[3:4], v[3:4], v[1:2]
	v_div_scale_f64 v[11:12], vcc_lo, v[1:2], v[3:4], v[1:2]
	s_delay_alu instid0(VALU_DEP_2) | instskip(SKIP_2) | instid1(VALU_DEP_1)
	v_rcp_f64_e32 v[7:8], v[5:6]
	s_waitcnt_depctr 0xfff
	v_fma_f64 v[9:10], -v[5:6], v[7:8], 1.0
	v_fma_f64 v[7:8], v[7:8], v[9:10], v[7:8]
	s_delay_alu instid0(VALU_DEP_1) | instskip(NEXT) | instid1(VALU_DEP_1)
	v_fma_f64 v[9:10], -v[5:6], v[7:8], 1.0
	v_fma_f64 v[7:8], v[7:8], v[9:10], v[7:8]
	s_delay_alu instid0(VALU_DEP_1) | instskip(NEXT) | instid1(VALU_DEP_1)
	v_mul_f64 v[9:10], v[11:12], v[7:8]
	v_fma_f64 v[5:6], -v[5:6], v[9:10], v[11:12]
	s_delay_alu instid0(VALU_DEP_1) | instskip(NEXT) | instid1(VALU_DEP_1)
	v_div_fmas_f64 v[5:6], v[5:6], v[7:8], v[9:10]
	v_div_fixup_f64 v[5:6], v[5:6], v[3:4], v[1:2]
	s_delay_alu instid0(VALU_DEP_1) | instskip(NEXT) | instid1(VALU_DEP_1)
	v_fma_f64 v[1:2], v[1:2], v[5:6], v[3:4]
	v_div_scale_f64 v[3:4], null, v[1:2], v[1:2], 1.0
	v_div_scale_f64 v[11:12], vcc_lo, 1.0, v[1:2], 1.0
	s_delay_alu instid0(VALU_DEP_2) | instskip(SKIP_2) | instid1(VALU_DEP_1)
	v_rcp_f64_e32 v[7:8], v[3:4]
	s_waitcnt_depctr 0xfff
	v_fma_f64 v[9:10], -v[3:4], v[7:8], 1.0
	v_fma_f64 v[7:8], v[7:8], v[9:10], v[7:8]
	s_delay_alu instid0(VALU_DEP_1) | instskip(NEXT) | instid1(VALU_DEP_1)
	v_fma_f64 v[9:10], -v[3:4], v[7:8], 1.0
	v_fma_f64 v[7:8], v[7:8], v[9:10], v[7:8]
	s_delay_alu instid0(VALU_DEP_1) | instskip(NEXT) | instid1(VALU_DEP_1)
	v_mul_f64 v[9:10], v[11:12], v[7:8]
	v_fma_f64 v[3:4], -v[3:4], v[9:10], v[11:12]
	s_delay_alu instid0(VALU_DEP_1) | instskip(NEXT) | instid1(VALU_DEP_1)
	v_div_fmas_f64 v[3:4], v[3:4], v[7:8], v[9:10]
	v_div_fixup_f64 v[7:8], v[3:4], v[1:2], 1.0
                                        ; implicit-def: $vgpr1_vgpr2
	s_delay_alu instid0(VALU_DEP_1) | instskip(SKIP_1) | instid1(VALU_DEP_2)
	v_mul_f64 v[5:6], v[5:6], v[7:8]
	v_xor_b32_e32 v8, 0x80000000, v8
	v_xor_b32_e32 v10, 0x80000000, v6
	s_delay_alu instid0(VALU_DEP_3)
	v_mov_b32_e32 v9, v5
.LBB31_15:
	s_and_not1_saveexec_b32 s3, s3
	s_cbranch_execz .LBB31_17
; %bb.16:
	v_div_scale_f64 v[5:6], null, v[1:2], v[1:2], v[3:4]
	v_div_scale_f64 v[11:12], vcc_lo, v[3:4], v[1:2], v[3:4]
	s_delay_alu instid0(VALU_DEP_2) | instskip(SKIP_2) | instid1(VALU_DEP_1)
	v_rcp_f64_e32 v[7:8], v[5:6]
	s_waitcnt_depctr 0xfff
	v_fma_f64 v[9:10], -v[5:6], v[7:8], 1.0
	v_fma_f64 v[7:8], v[7:8], v[9:10], v[7:8]
	s_delay_alu instid0(VALU_DEP_1) | instskip(NEXT) | instid1(VALU_DEP_1)
	v_fma_f64 v[9:10], -v[5:6], v[7:8], 1.0
	v_fma_f64 v[7:8], v[7:8], v[9:10], v[7:8]
	s_delay_alu instid0(VALU_DEP_1) | instskip(NEXT) | instid1(VALU_DEP_1)
	v_mul_f64 v[9:10], v[11:12], v[7:8]
	v_fma_f64 v[5:6], -v[5:6], v[9:10], v[11:12]
	s_delay_alu instid0(VALU_DEP_1) | instskip(NEXT) | instid1(VALU_DEP_1)
	v_div_fmas_f64 v[5:6], v[5:6], v[7:8], v[9:10]
	v_div_fixup_f64 v[7:8], v[5:6], v[1:2], v[3:4]
	s_delay_alu instid0(VALU_DEP_1) | instskip(NEXT) | instid1(VALU_DEP_1)
	v_fma_f64 v[1:2], v[3:4], v[7:8], v[1:2]
	v_div_scale_f64 v[3:4], null, v[1:2], v[1:2], 1.0
	s_delay_alu instid0(VALU_DEP_1) | instskip(SKIP_2) | instid1(VALU_DEP_1)
	v_rcp_f64_e32 v[5:6], v[3:4]
	s_waitcnt_depctr 0xfff
	v_fma_f64 v[9:10], -v[3:4], v[5:6], 1.0
	v_fma_f64 v[5:6], v[5:6], v[9:10], v[5:6]
	s_delay_alu instid0(VALU_DEP_1) | instskip(NEXT) | instid1(VALU_DEP_1)
	v_fma_f64 v[9:10], -v[3:4], v[5:6], 1.0
	v_fma_f64 v[5:6], v[5:6], v[9:10], v[5:6]
	v_div_scale_f64 v[9:10], vcc_lo, 1.0, v[1:2], 1.0
	s_delay_alu instid0(VALU_DEP_1) | instskip(NEXT) | instid1(VALU_DEP_1)
	v_mul_f64 v[11:12], v[9:10], v[5:6]
	v_fma_f64 v[3:4], -v[3:4], v[11:12], v[9:10]
	s_delay_alu instid0(VALU_DEP_1) | instskip(NEXT) | instid1(VALU_DEP_1)
	v_div_fmas_f64 v[3:4], v[3:4], v[5:6], v[11:12]
	v_div_fixup_f64 v[5:6], v[3:4], v[1:2], 1.0
	s_delay_alu instid0(VALU_DEP_1)
	v_mul_f64 v[7:8], v[7:8], -v[5:6]
	v_xor_b32_e32 v10, 0x80000000, v6
	v_mov_b32_e32 v9, v5
.LBB31_17:
	s_or_b32 exec_lo, exec_lo, s3
	scratch_store_b128 v14, v[5:8], off
	scratch_load_b128 v[1:4], v110, off
	v_xor_b32_e32 v12, 0x80000000, v8
	v_mov_b32_e32 v11, v7
	v_add_nc_u32_e32 v5, 0x200, v13
	ds_store_b128 v13, v[9:12]
	s_waitcnt vmcnt(0)
	ds_store_b128 v13, v[1:4] offset:512
	s_waitcnt lgkmcnt(0)
	s_waitcnt_vscnt null, 0x0
	s_barrier
	buffer_gl0_inv
	s_and_saveexec_b32 s3, s2
	s_cbranch_execz .LBB31_19
; %bb.18:
	scratch_load_b128 v[1:4], v14, off
	ds_load_b128 v[6:9], v5
	v_mov_b32_e32 v10, 0
	ds_load_b128 v[15:18], v10 offset:16
	s_waitcnt vmcnt(0) lgkmcnt(1)
	v_mul_f64 v[10:11], v[6:7], v[3:4]
	v_mul_f64 v[3:4], v[8:9], v[3:4]
	s_delay_alu instid0(VALU_DEP_2) | instskip(NEXT) | instid1(VALU_DEP_2)
	v_fma_f64 v[8:9], v[8:9], v[1:2], v[10:11]
	v_fma_f64 v[1:2], v[6:7], v[1:2], -v[3:4]
	s_delay_alu instid0(VALU_DEP_2) | instskip(NEXT) | instid1(VALU_DEP_2)
	v_add_f64 v[3:4], v[8:9], 0
	v_add_f64 v[1:2], v[1:2], 0
	s_waitcnt lgkmcnt(0)
	s_delay_alu instid0(VALU_DEP_2) | instskip(NEXT) | instid1(VALU_DEP_2)
	v_mul_f64 v[6:7], v[3:4], v[17:18]
	v_mul_f64 v[8:9], v[1:2], v[17:18]
	s_delay_alu instid0(VALU_DEP_2) | instskip(NEXT) | instid1(VALU_DEP_2)
	v_fma_f64 v[1:2], v[1:2], v[15:16], -v[6:7]
	v_fma_f64 v[3:4], v[3:4], v[15:16], v[8:9]
	scratch_store_b128 off, v[1:4], off offset:16
.LBB31_19:
	s_or_b32 exec_lo, exec_lo, s3
	s_waitcnt_vscnt null, 0x0
	s_barrier
	buffer_gl0_inv
	scratch_load_b128 v[1:4], v108, off
	s_mov_b32 s3, exec_lo
	s_waitcnt vmcnt(0)
	ds_store_b128 v5, v[1:4]
	s_waitcnt lgkmcnt(0)
	s_barrier
	buffer_gl0_inv
	v_cmpx_gt_u32_e32 2, v106
	s_cbranch_execz .LBB31_23
; %bb.20:
	scratch_load_b128 v[1:4], v14, off
	ds_load_b128 v[6:9], v5
	s_waitcnt vmcnt(0) lgkmcnt(0)
	v_mul_f64 v[10:11], v[8:9], v[3:4]
	v_mul_f64 v[3:4], v[6:7], v[3:4]
	s_delay_alu instid0(VALU_DEP_2) | instskip(NEXT) | instid1(VALU_DEP_2)
	v_fma_f64 v[6:7], v[6:7], v[1:2], -v[10:11]
	v_fma_f64 v[3:4], v[8:9], v[1:2], v[3:4]
	s_delay_alu instid0(VALU_DEP_2) | instskip(NEXT) | instid1(VALU_DEP_2)
	v_add_f64 v[1:2], v[6:7], 0
	v_add_f64 v[3:4], v[3:4], 0
	s_and_saveexec_b32 s4, s2
	s_cbranch_execz .LBB31_22
; %bb.21:
	scratch_load_b128 v[6:9], off, off offset:16
	v_mov_b32_e32 v10, 0
	ds_load_b128 v[15:18], v10 offset:528
	s_waitcnt vmcnt(0) lgkmcnt(0)
	v_mul_f64 v[10:11], v[15:16], v[8:9]
	v_mul_f64 v[8:9], v[17:18], v[8:9]
	s_delay_alu instid0(VALU_DEP_2) | instskip(NEXT) | instid1(VALU_DEP_2)
	v_fma_f64 v[10:11], v[17:18], v[6:7], v[10:11]
	v_fma_f64 v[6:7], v[15:16], v[6:7], -v[8:9]
	s_delay_alu instid0(VALU_DEP_2) | instskip(NEXT) | instid1(VALU_DEP_2)
	v_add_f64 v[3:4], v[3:4], v[10:11]
	v_add_f64 v[1:2], v[1:2], v[6:7]
.LBB31_22:
	s_or_b32 exec_lo, exec_lo, s4
	v_mov_b32_e32 v6, 0
	ds_load_b128 v[6:9], v6 offset:32
	s_waitcnt lgkmcnt(0)
	v_mul_f64 v[10:11], v[3:4], v[8:9]
	v_mul_f64 v[8:9], v[1:2], v[8:9]
	s_delay_alu instid0(VALU_DEP_2) | instskip(NEXT) | instid1(VALU_DEP_2)
	v_fma_f64 v[1:2], v[1:2], v[6:7], -v[10:11]
	v_fma_f64 v[3:4], v[3:4], v[6:7], v[8:9]
	scratch_store_b128 off, v[1:4], off offset:32
.LBB31_23:
	s_or_b32 exec_lo, exec_lo, s3
	s_waitcnt_vscnt null, 0x0
	s_barrier
	buffer_gl0_inv
	scratch_load_b128 v[1:4], v109, off
	v_add_nc_u32_e32 v6, -1, v106
	s_mov_b32 s2, exec_lo
	s_waitcnt vmcnt(0)
	ds_store_b128 v5, v[1:4]
	s_waitcnt lgkmcnt(0)
	s_barrier
	buffer_gl0_inv
	v_cmpx_gt_u32_e32 3, v106
	s_cbranch_execz .LBB31_27
; %bb.24:
	v_dual_mov_b32 v1, 0 :: v_dual_add_nc_u32 v8, 0x200, v13
	v_dual_mov_b32 v2, 0 :: v_dual_add_nc_u32 v7, -1, v106
	v_or_b32_e32 v9, 8, v14
	s_mov_b32 s3, 0
	s_delay_alu instid0(VALU_DEP_2)
	v_dual_mov_b32 v4, v2 :: v_dual_mov_b32 v3, v1
	.p2align	6
.LBB31_25:                              ; =>This Inner Loop Header: Depth=1
	scratch_load_b128 v[15:18], v9, off offset:-8
	ds_load_b128 v[19:22], v8
	v_add_nc_u32_e32 v7, 1, v7
	v_add_nc_u32_e32 v8, 16, v8
	;; [unrolled: 1-line block ×3, first 2 shown]
	s_delay_alu instid0(VALU_DEP_3) | instskip(SKIP_4) | instid1(VALU_DEP_2)
	v_cmp_lt_u32_e32 vcc_lo, 1, v7
	s_or_b32 s3, vcc_lo, s3
	s_waitcnt vmcnt(0) lgkmcnt(0)
	v_mul_f64 v[10:11], v[21:22], v[17:18]
	v_mul_f64 v[17:18], v[19:20], v[17:18]
	v_fma_f64 v[10:11], v[19:20], v[15:16], -v[10:11]
	s_delay_alu instid0(VALU_DEP_2) | instskip(NEXT) | instid1(VALU_DEP_2)
	v_fma_f64 v[15:16], v[21:22], v[15:16], v[17:18]
	v_add_f64 v[3:4], v[3:4], v[10:11]
	s_delay_alu instid0(VALU_DEP_2)
	v_add_f64 v[1:2], v[1:2], v[15:16]
	s_and_not1_b32 exec_lo, exec_lo, s3
	s_cbranch_execnz .LBB31_25
; %bb.26:
	s_or_b32 exec_lo, exec_lo, s3
	v_mov_b32_e32 v7, 0
	ds_load_b128 v[7:10], v7 offset:48
	s_waitcnt lgkmcnt(0)
	v_mul_f64 v[11:12], v[1:2], v[9:10]
	v_mul_f64 v[15:16], v[3:4], v[9:10]
	s_delay_alu instid0(VALU_DEP_2) | instskip(NEXT) | instid1(VALU_DEP_2)
	v_fma_f64 v[9:10], v[3:4], v[7:8], -v[11:12]
	v_fma_f64 v[11:12], v[1:2], v[7:8], v[15:16]
	scratch_store_b128 off, v[9:12], off offset:48
.LBB31_27:
	s_or_b32 exec_lo, exec_lo, s2
	s_waitcnt_vscnt null, 0x0
	s_barrier
	buffer_gl0_inv
	scratch_load_b128 v[1:4], v107, off
	s_mov_b32 s2, exec_lo
	s_waitcnt vmcnt(0)
	ds_store_b128 v5, v[1:4]
	s_waitcnt lgkmcnt(0)
	s_barrier
	buffer_gl0_inv
	v_cmpx_gt_u32_e32 4, v106
	s_cbranch_execz .LBB31_31
; %bb.28:
	v_dual_mov_b32 v1, 0 :: v_dual_add_nc_u32 v8, 0x200, v13
	v_dual_mov_b32 v2, 0 :: v_dual_add_nc_u32 v7, -1, v106
	v_or_b32_e32 v9, 8, v14
	s_mov_b32 s3, 0
	s_delay_alu instid0(VALU_DEP_2)
	v_dual_mov_b32 v4, v2 :: v_dual_mov_b32 v3, v1
	.p2align	6
.LBB31_29:                              ; =>This Inner Loop Header: Depth=1
	scratch_load_b128 v[15:18], v9, off offset:-8
	ds_load_b128 v[19:22], v8
	v_add_nc_u32_e32 v7, 1, v7
	v_add_nc_u32_e32 v8, 16, v8
	;; [unrolled: 1-line block ×3, first 2 shown]
	s_delay_alu instid0(VALU_DEP_3) | instskip(SKIP_4) | instid1(VALU_DEP_2)
	v_cmp_lt_u32_e32 vcc_lo, 2, v7
	s_or_b32 s3, vcc_lo, s3
	s_waitcnt vmcnt(0) lgkmcnt(0)
	v_mul_f64 v[10:11], v[21:22], v[17:18]
	v_mul_f64 v[17:18], v[19:20], v[17:18]
	v_fma_f64 v[10:11], v[19:20], v[15:16], -v[10:11]
	s_delay_alu instid0(VALU_DEP_2) | instskip(NEXT) | instid1(VALU_DEP_2)
	v_fma_f64 v[15:16], v[21:22], v[15:16], v[17:18]
	v_add_f64 v[3:4], v[3:4], v[10:11]
	s_delay_alu instid0(VALU_DEP_2)
	v_add_f64 v[1:2], v[1:2], v[15:16]
	s_and_not1_b32 exec_lo, exec_lo, s3
	s_cbranch_execnz .LBB31_29
; %bb.30:
	s_or_b32 exec_lo, exec_lo, s3
	v_mov_b32_e32 v7, 0
	ds_load_b128 v[7:10], v7 offset:64
	s_waitcnt lgkmcnt(0)
	v_mul_f64 v[11:12], v[1:2], v[9:10]
	v_mul_f64 v[15:16], v[3:4], v[9:10]
	s_delay_alu instid0(VALU_DEP_2) | instskip(NEXT) | instid1(VALU_DEP_2)
	v_fma_f64 v[9:10], v[3:4], v[7:8], -v[11:12]
	v_fma_f64 v[11:12], v[1:2], v[7:8], v[15:16]
	scratch_store_b128 off, v[9:12], off offset:64
.LBB31_31:
	s_or_b32 exec_lo, exec_lo, s2
	s_waitcnt_vscnt null, 0x0
	s_barrier
	buffer_gl0_inv
	scratch_load_b128 v[1:4], v133, off
	s_mov_b32 s2, exec_lo
	s_waitcnt vmcnt(0)
	ds_store_b128 v5, v[1:4]
	s_waitcnt lgkmcnt(0)
	s_barrier
	buffer_gl0_inv
	v_cmpx_gt_u32_e32 5, v106
	s_cbranch_execz .LBB31_35
; %bb.32:
	v_dual_mov_b32 v1, 0 :: v_dual_add_nc_u32 v8, 0x200, v13
	v_dual_mov_b32 v2, 0 :: v_dual_add_nc_u32 v7, -1, v106
	v_or_b32_e32 v9, 8, v14
	s_mov_b32 s3, 0
	s_delay_alu instid0(VALU_DEP_2)
	v_dual_mov_b32 v4, v2 :: v_dual_mov_b32 v3, v1
	.p2align	6
.LBB31_33:                              ; =>This Inner Loop Header: Depth=1
	scratch_load_b128 v[15:18], v9, off offset:-8
	ds_load_b128 v[19:22], v8
	v_add_nc_u32_e32 v7, 1, v7
	v_add_nc_u32_e32 v8, 16, v8
	;; [unrolled: 1-line block ×3, first 2 shown]
	s_delay_alu instid0(VALU_DEP_3) | instskip(SKIP_4) | instid1(VALU_DEP_2)
	v_cmp_lt_u32_e32 vcc_lo, 3, v7
	s_or_b32 s3, vcc_lo, s3
	s_waitcnt vmcnt(0) lgkmcnt(0)
	v_mul_f64 v[10:11], v[21:22], v[17:18]
	v_mul_f64 v[17:18], v[19:20], v[17:18]
	v_fma_f64 v[10:11], v[19:20], v[15:16], -v[10:11]
	s_delay_alu instid0(VALU_DEP_2) | instskip(NEXT) | instid1(VALU_DEP_2)
	v_fma_f64 v[15:16], v[21:22], v[15:16], v[17:18]
	v_add_f64 v[3:4], v[3:4], v[10:11]
	s_delay_alu instid0(VALU_DEP_2)
	v_add_f64 v[1:2], v[1:2], v[15:16]
	s_and_not1_b32 exec_lo, exec_lo, s3
	s_cbranch_execnz .LBB31_33
; %bb.34:
	s_or_b32 exec_lo, exec_lo, s3
	v_mov_b32_e32 v7, 0
	ds_load_b128 v[7:10], v7 offset:80
	s_waitcnt lgkmcnt(0)
	v_mul_f64 v[11:12], v[1:2], v[9:10]
	v_mul_f64 v[15:16], v[3:4], v[9:10]
	s_delay_alu instid0(VALU_DEP_2) | instskip(NEXT) | instid1(VALU_DEP_2)
	v_fma_f64 v[9:10], v[3:4], v[7:8], -v[11:12]
	v_fma_f64 v[11:12], v[1:2], v[7:8], v[15:16]
	scratch_store_b128 off, v[9:12], off offset:80
.LBB31_35:
	s_or_b32 exec_lo, exec_lo, s2
	s_waitcnt_vscnt null, 0x0
	s_barrier
	buffer_gl0_inv
	scratch_load_b128 v[1:4], v131, off
	s_mov_b32 s2, exec_lo
	s_waitcnt vmcnt(0)
	ds_store_b128 v5, v[1:4]
	s_waitcnt lgkmcnt(0)
	s_barrier
	buffer_gl0_inv
	v_cmpx_gt_u32_e32 6, v106
	s_cbranch_execz .LBB31_39
; %bb.36:
	v_dual_mov_b32 v1, 0 :: v_dual_add_nc_u32 v8, 0x200, v13
	v_dual_mov_b32 v2, 0 :: v_dual_add_nc_u32 v7, -1, v106
	v_or_b32_e32 v9, 8, v14
	s_mov_b32 s3, 0
	s_delay_alu instid0(VALU_DEP_2)
	v_dual_mov_b32 v4, v2 :: v_dual_mov_b32 v3, v1
	.p2align	6
.LBB31_37:                              ; =>This Inner Loop Header: Depth=1
	scratch_load_b128 v[15:18], v9, off offset:-8
	ds_load_b128 v[19:22], v8
	v_add_nc_u32_e32 v7, 1, v7
	v_add_nc_u32_e32 v8, 16, v8
	;; [unrolled: 1-line block ×3, first 2 shown]
	s_delay_alu instid0(VALU_DEP_3) | instskip(SKIP_4) | instid1(VALU_DEP_2)
	v_cmp_lt_u32_e32 vcc_lo, 4, v7
	s_or_b32 s3, vcc_lo, s3
	s_waitcnt vmcnt(0) lgkmcnt(0)
	v_mul_f64 v[10:11], v[21:22], v[17:18]
	v_mul_f64 v[17:18], v[19:20], v[17:18]
	v_fma_f64 v[10:11], v[19:20], v[15:16], -v[10:11]
	s_delay_alu instid0(VALU_DEP_2) | instskip(NEXT) | instid1(VALU_DEP_2)
	v_fma_f64 v[15:16], v[21:22], v[15:16], v[17:18]
	v_add_f64 v[3:4], v[3:4], v[10:11]
	s_delay_alu instid0(VALU_DEP_2)
	v_add_f64 v[1:2], v[1:2], v[15:16]
	s_and_not1_b32 exec_lo, exec_lo, s3
	s_cbranch_execnz .LBB31_37
; %bb.38:
	s_or_b32 exec_lo, exec_lo, s3
	v_mov_b32_e32 v7, 0
	ds_load_b128 v[7:10], v7 offset:96
	s_waitcnt lgkmcnt(0)
	v_mul_f64 v[11:12], v[1:2], v[9:10]
	v_mul_f64 v[15:16], v[3:4], v[9:10]
	s_delay_alu instid0(VALU_DEP_2) | instskip(NEXT) | instid1(VALU_DEP_2)
	v_fma_f64 v[9:10], v[3:4], v[7:8], -v[11:12]
	v_fma_f64 v[11:12], v[1:2], v[7:8], v[15:16]
	scratch_store_b128 off, v[9:12], off offset:96
.LBB31_39:
	s_or_b32 exec_lo, exec_lo, s2
	s_waitcnt_vscnt null, 0x0
	s_barrier
	buffer_gl0_inv
	scratch_load_b128 v[1:4], v132, off
	s_mov_b32 s2, exec_lo
	s_waitcnt vmcnt(0)
	ds_store_b128 v5, v[1:4]
	s_waitcnt lgkmcnt(0)
	s_barrier
	buffer_gl0_inv
	v_cmpx_gt_u32_e32 7, v106
	s_cbranch_execz .LBB31_43
; %bb.40:
	v_dual_mov_b32 v1, 0 :: v_dual_add_nc_u32 v8, 0x200, v13
	v_dual_mov_b32 v2, 0 :: v_dual_add_nc_u32 v7, -1, v106
	v_or_b32_e32 v9, 8, v14
	s_mov_b32 s3, 0
	s_delay_alu instid0(VALU_DEP_2)
	v_dual_mov_b32 v4, v2 :: v_dual_mov_b32 v3, v1
	.p2align	6
.LBB31_41:                              ; =>This Inner Loop Header: Depth=1
	scratch_load_b128 v[15:18], v9, off offset:-8
	ds_load_b128 v[19:22], v8
	v_add_nc_u32_e32 v7, 1, v7
	v_add_nc_u32_e32 v8, 16, v8
	;; [unrolled: 1-line block ×3, first 2 shown]
	s_delay_alu instid0(VALU_DEP_3) | instskip(SKIP_4) | instid1(VALU_DEP_2)
	v_cmp_lt_u32_e32 vcc_lo, 5, v7
	s_or_b32 s3, vcc_lo, s3
	s_waitcnt vmcnt(0) lgkmcnt(0)
	v_mul_f64 v[10:11], v[21:22], v[17:18]
	v_mul_f64 v[17:18], v[19:20], v[17:18]
	v_fma_f64 v[10:11], v[19:20], v[15:16], -v[10:11]
	s_delay_alu instid0(VALU_DEP_2) | instskip(NEXT) | instid1(VALU_DEP_2)
	v_fma_f64 v[15:16], v[21:22], v[15:16], v[17:18]
	v_add_f64 v[3:4], v[3:4], v[10:11]
	s_delay_alu instid0(VALU_DEP_2)
	v_add_f64 v[1:2], v[1:2], v[15:16]
	s_and_not1_b32 exec_lo, exec_lo, s3
	s_cbranch_execnz .LBB31_41
; %bb.42:
	s_or_b32 exec_lo, exec_lo, s3
	v_mov_b32_e32 v7, 0
	ds_load_b128 v[7:10], v7 offset:112
	s_waitcnt lgkmcnt(0)
	v_mul_f64 v[11:12], v[1:2], v[9:10]
	v_mul_f64 v[15:16], v[3:4], v[9:10]
	s_delay_alu instid0(VALU_DEP_2) | instskip(NEXT) | instid1(VALU_DEP_2)
	v_fma_f64 v[9:10], v[3:4], v[7:8], -v[11:12]
	v_fma_f64 v[11:12], v[1:2], v[7:8], v[15:16]
	scratch_store_b128 off, v[9:12], off offset:112
.LBB31_43:
	s_or_b32 exec_lo, exec_lo, s2
	s_waitcnt_vscnt null, 0x0
	s_barrier
	buffer_gl0_inv
	scratch_load_b128 v[1:4], v130, off
	s_mov_b32 s2, exec_lo
	s_waitcnt vmcnt(0)
	ds_store_b128 v5, v[1:4]
	s_waitcnt lgkmcnt(0)
	s_barrier
	buffer_gl0_inv
	v_cmpx_gt_u32_e32 8, v106
	s_cbranch_execz .LBB31_47
; %bb.44:
	v_dual_mov_b32 v1, 0 :: v_dual_add_nc_u32 v8, 0x200, v13
	v_dual_mov_b32 v2, 0 :: v_dual_add_nc_u32 v7, -1, v106
	v_or_b32_e32 v9, 8, v14
	s_mov_b32 s3, 0
	s_delay_alu instid0(VALU_DEP_2)
	v_dual_mov_b32 v4, v2 :: v_dual_mov_b32 v3, v1
	.p2align	6
.LBB31_45:                              ; =>This Inner Loop Header: Depth=1
	scratch_load_b128 v[15:18], v9, off offset:-8
	ds_load_b128 v[19:22], v8
	v_add_nc_u32_e32 v7, 1, v7
	v_add_nc_u32_e32 v8, 16, v8
	;; [unrolled: 1-line block ×3, first 2 shown]
	s_delay_alu instid0(VALU_DEP_3) | instskip(SKIP_4) | instid1(VALU_DEP_2)
	v_cmp_lt_u32_e32 vcc_lo, 6, v7
	s_or_b32 s3, vcc_lo, s3
	s_waitcnt vmcnt(0) lgkmcnt(0)
	v_mul_f64 v[10:11], v[21:22], v[17:18]
	v_mul_f64 v[17:18], v[19:20], v[17:18]
	v_fma_f64 v[10:11], v[19:20], v[15:16], -v[10:11]
	s_delay_alu instid0(VALU_DEP_2) | instskip(NEXT) | instid1(VALU_DEP_2)
	v_fma_f64 v[15:16], v[21:22], v[15:16], v[17:18]
	v_add_f64 v[3:4], v[3:4], v[10:11]
	s_delay_alu instid0(VALU_DEP_2)
	v_add_f64 v[1:2], v[1:2], v[15:16]
	s_and_not1_b32 exec_lo, exec_lo, s3
	s_cbranch_execnz .LBB31_45
; %bb.46:
	s_or_b32 exec_lo, exec_lo, s3
	v_mov_b32_e32 v7, 0
	ds_load_b128 v[7:10], v7 offset:128
	s_waitcnt lgkmcnt(0)
	v_mul_f64 v[11:12], v[1:2], v[9:10]
	v_mul_f64 v[15:16], v[3:4], v[9:10]
	s_delay_alu instid0(VALU_DEP_2) | instskip(NEXT) | instid1(VALU_DEP_2)
	v_fma_f64 v[9:10], v[3:4], v[7:8], -v[11:12]
	v_fma_f64 v[11:12], v[1:2], v[7:8], v[15:16]
	scratch_store_b128 off, v[9:12], off offset:128
.LBB31_47:
	s_or_b32 exec_lo, exec_lo, s2
	s_waitcnt_vscnt null, 0x0
	s_barrier
	buffer_gl0_inv
	scratch_load_b128 v[1:4], v129, off
	s_mov_b32 s2, exec_lo
	s_waitcnt vmcnt(0)
	ds_store_b128 v5, v[1:4]
	s_waitcnt lgkmcnt(0)
	s_barrier
	buffer_gl0_inv
	v_cmpx_gt_u32_e32 9, v106
	s_cbranch_execz .LBB31_51
; %bb.48:
	v_dual_mov_b32 v1, 0 :: v_dual_add_nc_u32 v8, 0x200, v13
	v_dual_mov_b32 v2, 0 :: v_dual_add_nc_u32 v7, -1, v106
	v_or_b32_e32 v9, 8, v14
	s_mov_b32 s3, 0
	s_delay_alu instid0(VALU_DEP_2)
	v_dual_mov_b32 v4, v2 :: v_dual_mov_b32 v3, v1
	.p2align	6
.LBB31_49:                              ; =>This Inner Loop Header: Depth=1
	scratch_load_b128 v[15:18], v9, off offset:-8
	ds_load_b128 v[19:22], v8
	v_add_nc_u32_e32 v7, 1, v7
	v_add_nc_u32_e32 v8, 16, v8
	;; [unrolled: 1-line block ×3, first 2 shown]
	s_delay_alu instid0(VALU_DEP_3) | instskip(SKIP_4) | instid1(VALU_DEP_2)
	v_cmp_lt_u32_e32 vcc_lo, 7, v7
	s_or_b32 s3, vcc_lo, s3
	s_waitcnt vmcnt(0) lgkmcnt(0)
	v_mul_f64 v[10:11], v[21:22], v[17:18]
	v_mul_f64 v[17:18], v[19:20], v[17:18]
	v_fma_f64 v[10:11], v[19:20], v[15:16], -v[10:11]
	s_delay_alu instid0(VALU_DEP_2) | instskip(NEXT) | instid1(VALU_DEP_2)
	v_fma_f64 v[15:16], v[21:22], v[15:16], v[17:18]
	v_add_f64 v[3:4], v[3:4], v[10:11]
	s_delay_alu instid0(VALU_DEP_2)
	v_add_f64 v[1:2], v[1:2], v[15:16]
	s_and_not1_b32 exec_lo, exec_lo, s3
	s_cbranch_execnz .LBB31_49
; %bb.50:
	s_or_b32 exec_lo, exec_lo, s3
	v_mov_b32_e32 v7, 0
	ds_load_b128 v[7:10], v7 offset:144
	s_waitcnt lgkmcnt(0)
	v_mul_f64 v[11:12], v[1:2], v[9:10]
	v_mul_f64 v[15:16], v[3:4], v[9:10]
	s_delay_alu instid0(VALU_DEP_2) | instskip(NEXT) | instid1(VALU_DEP_2)
	v_fma_f64 v[9:10], v[3:4], v[7:8], -v[11:12]
	v_fma_f64 v[11:12], v[1:2], v[7:8], v[15:16]
	scratch_store_b128 off, v[9:12], off offset:144
.LBB31_51:
	s_or_b32 exec_lo, exec_lo, s2
	s_waitcnt_vscnt null, 0x0
	s_barrier
	buffer_gl0_inv
	scratch_load_b128 v[1:4], v127, off
	s_mov_b32 s2, exec_lo
	s_waitcnt vmcnt(0)
	ds_store_b128 v5, v[1:4]
	s_waitcnt lgkmcnt(0)
	s_barrier
	buffer_gl0_inv
	v_cmpx_gt_u32_e32 10, v106
	s_cbranch_execz .LBB31_55
; %bb.52:
	v_dual_mov_b32 v1, 0 :: v_dual_add_nc_u32 v8, 0x200, v13
	v_dual_mov_b32 v2, 0 :: v_dual_add_nc_u32 v7, -1, v106
	v_or_b32_e32 v9, 8, v14
	s_mov_b32 s3, 0
	s_delay_alu instid0(VALU_DEP_2)
	v_dual_mov_b32 v4, v2 :: v_dual_mov_b32 v3, v1
	.p2align	6
.LBB31_53:                              ; =>This Inner Loop Header: Depth=1
	scratch_load_b128 v[15:18], v9, off offset:-8
	ds_load_b128 v[19:22], v8
	v_add_nc_u32_e32 v7, 1, v7
	v_add_nc_u32_e32 v8, 16, v8
	;; [unrolled: 1-line block ×3, first 2 shown]
	s_delay_alu instid0(VALU_DEP_3) | instskip(SKIP_4) | instid1(VALU_DEP_2)
	v_cmp_lt_u32_e32 vcc_lo, 8, v7
	s_or_b32 s3, vcc_lo, s3
	s_waitcnt vmcnt(0) lgkmcnt(0)
	v_mul_f64 v[10:11], v[21:22], v[17:18]
	v_mul_f64 v[17:18], v[19:20], v[17:18]
	v_fma_f64 v[10:11], v[19:20], v[15:16], -v[10:11]
	s_delay_alu instid0(VALU_DEP_2) | instskip(NEXT) | instid1(VALU_DEP_2)
	v_fma_f64 v[15:16], v[21:22], v[15:16], v[17:18]
	v_add_f64 v[3:4], v[3:4], v[10:11]
	s_delay_alu instid0(VALU_DEP_2)
	v_add_f64 v[1:2], v[1:2], v[15:16]
	s_and_not1_b32 exec_lo, exec_lo, s3
	s_cbranch_execnz .LBB31_53
; %bb.54:
	s_or_b32 exec_lo, exec_lo, s3
	v_mov_b32_e32 v7, 0
	ds_load_b128 v[7:10], v7 offset:160
	s_waitcnt lgkmcnt(0)
	v_mul_f64 v[11:12], v[1:2], v[9:10]
	v_mul_f64 v[15:16], v[3:4], v[9:10]
	s_delay_alu instid0(VALU_DEP_2) | instskip(NEXT) | instid1(VALU_DEP_2)
	v_fma_f64 v[9:10], v[3:4], v[7:8], -v[11:12]
	v_fma_f64 v[11:12], v[1:2], v[7:8], v[15:16]
	scratch_store_b128 off, v[9:12], off offset:160
.LBB31_55:
	s_or_b32 exec_lo, exec_lo, s2
	s_waitcnt_vscnt null, 0x0
	s_barrier
	buffer_gl0_inv
	scratch_load_b128 v[1:4], v128, off
	s_mov_b32 s2, exec_lo
	s_waitcnt vmcnt(0)
	ds_store_b128 v5, v[1:4]
	s_waitcnt lgkmcnt(0)
	s_barrier
	buffer_gl0_inv
	v_cmpx_gt_u32_e32 11, v106
	s_cbranch_execz .LBB31_59
; %bb.56:
	v_dual_mov_b32 v1, 0 :: v_dual_add_nc_u32 v8, 0x200, v13
	v_dual_mov_b32 v2, 0 :: v_dual_add_nc_u32 v7, -1, v106
	v_or_b32_e32 v9, 8, v14
	s_mov_b32 s3, 0
	s_delay_alu instid0(VALU_DEP_2)
	v_dual_mov_b32 v4, v2 :: v_dual_mov_b32 v3, v1
	.p2align	6
.LBB31_57:                              ; =>This Inner Loop Header: Depth=1
	scratch_load_b128 v[15:18], v9, off offset:-8
	ds_load_b128 v[19:22], v8
	v_add_nc_u32_e32 v7, 1, v7
	v_add_nc_u32_e32 v8, 16, v8
	;; [unrolled: 1-line block ×3, first 2 shown]
	s_delay_alu instid0(VALU_DEP_3) | instskip(SKIP_4) | instid1(VALU_DEP_2)
	v_cmp_lt_u32_e32 vcc_lo, 9, v7
	s_or_b32 s3, vcc_lo, s3
	s_waitcnt vmcnt(0) lgkmcnt(0)
	v_mul_f64 v[10:11], v[21:22], v[17:18]
	v_mul_f64 v[17:18], v[19:20], v[17:18]
	v_fma_f64 v[10:11], v[19:20], v[15:16], -v[10:11]
	s_delay_alu instid0(VALU_DEP_2) | instskip(NEXT) | instid1(VALU_DEP_2)
	v_fma_f64 v[15:16], v[21:22], v[15:16], v[17:18]
	v_add_f64 v[3:4], v[3:4], v[10:11]
	s_delay_alu instid0(VALU_DEP_2)
	v_add_f64 v[1:2], v[1:2], v[15:16]
	s_and_not1_b32 exec_lo, exec_lo, s3
	s_cbranch_execnz .LBB31_57
; %bb.58:
	s_or_b32 exec_lo, exec_lo, s3
	v_mov_b32_e32 v7, 0
	ds_load_b128 v[7:10], v7 offset:176
	s_waitcnt lgkmcnt(0)
	v_mul_f64 v[11:12], v[1:2], v[9:10]
	v_mul_f64 v[15:16], v[3:4], v[9:10]
	s_delay_alu instid0(VALU_DEP_2) | instskip(NEXT) | instid1(VALU_DEP_2)
	v_fma_f64 v[9:10], v[3:4], v[7:8], -v[11:12]
	v_fma_f64 v[11:12], v[1:2], v[7:8], v[15:16]
	scratch_store_b128 off, v[9:12], off offset:176
.LBB31_59:
	s_or_b32 exec_lo, exec_lo, s2
	s_waitcnt_vscnt null, 0x0
	s_barrier
	buffer_gl0_inv
	scratch_load_b128 v[1:4], v126, off
	s_mov_b32 s2, exec_lo
	s_waitcnt vmcnt(0)
	ds_store_b128 v5, v[1:4]
	s_waitcnt lgkmcnt(0)
	s_barrier
	buffer_gl0_inv
	v_cmpx_gt_u32_e32 12, v106
	s_cbranch_execz .LBB31_63
; %bb.60:
	v_dual_mov_b32 v1, 0 :: v_dual_add_nc_u32 v8, 0x200, v13
	v_dual_mov_b32 v2, 0 :: v_dual_add_nc_u32 v7, -1, v106
	v_or_b32_e32 v9, 8, v14
	s_mov_b32 s3, 0
	s_delay_alu instid0(VALU_DEP_2)
	v_dual_mov_b32 v4, v2 :: v_dual_mov_b32 v3, v1
	.p2align	6
.LBB31_61:                              ; =>This Inner Loop Header: Depth=1
	scratch_load_b128 v[15:18], v9, off offset:-8
	ds_load_b128 v[19:22], v8
	v_add_nc_u32_e32 v7, 1, v7
	v_add_nc_u32_e32 v8, 16, v8
	;; [unrolled: 1-line block ×3, first 2 shown]
	s_delay_alu instid0(VALU_DEP_3) | instskip(SKIP_4) | instid1(VALU_DEP_2)
	v_cmp_lt_u32_e32 vcc_lo, 10, v7
	s_or_b32 s3, vcc_lo, s3
	s_waitcnt vmcnt(0) lgkmcnt(0)
	v_mul_f64 v[10:11], v[21:22], v[17:18]
	v_mul_f64 v[17:18], v[19:20], v[17:18]
	v_fma_f64 v[10:11], v[19:20], v[15:16], -v[10:11]
	s_delay_alu instid0(VALU_DEP_2) | instskip(NEXT) | instid1(VALU_DEP_2)
	v_fma_f64 v[15:16], v[21:22], v[15:16], v[17:18]
	v_add_f64 v[3:4], v[3:4], v[10:11]
	s_delay_alu instid0(VALU_DEP_2)
	v_add_f64 v[1:2], v[1:2], v[15:16]
	s_and_not1_b32 exec_lo, exec_lo, s3
	s_cbranch_execnz .LBB31_61
; %bb.62:
	s_or_b32 exec_lo, exec_lo, s3
	v_mov_b32_e32 v7, 0
	ds_load_b128 v[7:10], v7 offset:192
	s_waitcnt lgkmcnt(0)
	v_mul_f64 v[11:12], v[1:2], v[9:10]
	v_mul_f64 v[15:16], v[3:4], v[9:10]
	s_delay_alu instid0(VALU_DEP_2) | instskip(NEXT) | instid1(VALU_DEP_2)
	v_fma_f64 v[9:10], v[3:4], v[7:8], -v[11:12]
	v_fma_f64 v[11:12], v[1:2], v[7:8], v[15:16]
	scratch_store_b128 off, v[9:12], off offset:192
.LBB31_63:
	s_or_b32 exec_lo, exec_lo, s2
	s_waitcnt_vscnt null, 0x0
	s_barrier
	buffer_gl0_inv
	scratch_load_b128 v[1:4], v125, off
	s_mov_b32 s2, exec_lo
	s_waitcnt vmcnt(0)
	ds_store_b128 v5, v[1:4]
	s_waitcnt lgkmcnt(0)
	s_barrier
	buffer_gl0_inv
	v_cmpx_gt_u32_e32 13, v106
	s_cbranch_execz .LBB31_67
; %bb.64:
	v_dual_mov_b32 v1, 0 :: v_dual_add_nc_u32 v8, 0x200, v13
	v_dual_mov_b32 v2, 0 :: v_dual_add_nc_u32 v7, -1, v106
	v_or_b32_e32 v9, 8, v14
	s_mov_b32 s3, 0
	s_delay_alu instid0(VALU_DEP_2)
	v_dual_mov_b32 v4, v2 :: v_dual_mov_b32 v3, v1
	.p2align	6
.LBB31_65:                              ; =>This Inner Loop Header: Depth=1
	scratch_load_b128 v[15:18], v9, off offset:-8
	ds_load_b128 v[19:22], v8
	v_add_nc_u32_e32 v7, 1, v7
	v_add_nc_u32_e32 v8, 16, v8
	;; [unrolled: 1-line block ×3, first 2 shown]
	s_delay_alu instid0(VALU_DEP_3) | instskip(SKIP_4) | instid1(VALU_DEP_2)
	v_cmp_lt_u32_e32 vcc_lo, 11, v7
	s_or_b32 s3, vcc_lo, s3
	s_waitcnt vmcnt(0) lgkmcnt(0)
	v_mul_f64 v[10:11], v[21:22], v[17:18]
	v_mul_f64 v[17:18], v[19:20], v[17:18]
	v_fma_f64 v[10:11], v[19:20], v[15:16], -v[10:11]
	s_delay_alu instid0(VALU_DEP_2) | instskip(NEXT) | instid1(VALU_DEP_2)
	v_fma_f64 v[15:16], v[21:22], v[15:16], v[17:18]
	v_add_f64 v[3:4], v[3:4], v[10:11]
	s_delay_alu instid0(VALU_DEP_2)
	v_add_f64 v[1:2], v[1:2], v[15:16]
	s_and_not1_b32 exec_lo, exec_lo, s3
	s_cbranch_execnz .LBB31_65
; %bb.66:
	s_or_b32 exec_lo, exec_lo, s3
	v_mov_b32_e32 v7, 0
	ds_load_b128 v[7:10], v7 offset:208
	s_waitcnt lgkmcnt(0)
	v_mul_f64 v[11:12], v[1:2], v[9:10]
	v_mul_f64 v[15:16], v[3:4], v[9:10]
	s_delay_alu instid0(VALU_DEP_2) | instskip(NEXT) | instid1(VALU_DEP_2)
	v_fma_f64 v[9:10], v[3:4], v[7:8], -v[11:12]
	v_fma_f64 v[11:12], v[1:2], v[7:8], v[15:16]
	scratch_store_b128 off, v[9:12], off offset:208
.LBB31_67:
	s_or_b32 exec_lo, exec_lo, s2
	s_waitcnt_vscnt null, 0x0
	s_barrier
	buffer_gl0_inv
	scratch_load_b128 v[1:4], v123, off
	s_mov_b32 s2, exec_lo
	s_waitcnt vmcnt(0)
	ds_store_b128 v5, v[1:4]
	s_waitcnt lgkmcnt(0)
	s_barrier
	buffer_gl0_inv
	v_cmpx_gt_u32_e32 14, v106
	s_cbranch_execz .LBB31_71
; %bb.68:
	v_dual_mov_b32 v1, 0 :: v_dual_add_nc_u32 v8, 0x200, v13
	v_dual_mov_b32 v2, 0 :: v_dual_add_nc_u32 v7, -1, v106
	v_or_b32_e32 v9, 8, v14
	s_mov_b32 s3, 0
	s_delay_alu instid0(VALU_DEP_2)
	v_dual_mov_b32 v4, v2 :: v_dual_mov_b32 v3, v1
	.p2align	6
.LBB31_69:                              ; =>This Inner Loop Header: Depth=1
	scratch_load_b128 v[15:18], v9, off offset:-8
	ds_load_b128 v[19:22], v8
	v_add_nc_u32_e32 v7, 1, v7
	v_add_nc_u32_e32 v8, 16, v8
	;; [unrolled: 1-line block ×3, first 2 shown]
	s_delay_alu instid0(VALU_DEP_3) | instskip(SKIP_4) | instid1(VALU_DEP_2)
	v_cmp_lt_u32_e32 vcc_lo, 12, v7
	s_or_b32 s3, vcc_lo, s3
	s_waitcnt vmcnt(0) lgkmcnt(0)
	v_mul_f64 v[10:11], v[21:22], v[17:18]
	v_mul_f64 v[17:18], v[19:20], v[17:18]
	v_fma_f64 v[10:11], v[19:20], v[15:16], -v[10:11]
	s_delay_alu instid0(VALU_DEP_2) | instskip(NEXT) | instid1(VALU_DEP_2)
	v_fma_f64 v[15:16], v[21:22], v[15:16], v[17:18]
	v_add_f64 v[3:4], v[3:4], v[10:11]
	s_delay_alu instid0(VALU_DEP_2)
	v_add_f64 v[1:2], v[1:2], v[15:16]
	s_and_not1_b32 exec_lo, exec_lo, s3
	s_cbranch_execnz .LBB31_69
; %bb.70:
	s_or_b32 exec_lo, exec_lo, s3
	v_mov_b32_e32 v7, 0
	ds_load_b128 v[7:10], v7 offset:224
	s_waitcnt lgkmcnt(0)
	v_mul_f64 v[11:12], v[1:2], v[9:10]
	v_mul_f64 v[15:16], v[3:4], v[9:10]
	s_delay_alu instid0(VALU_DEP_2) | instskip(NEXT) | instid1(VALU_DEP_2)
	v_fma_f64 v[9:10], v[3:4], v[7:8], -v[11:12]
	v_fma_f64 v[11:12], v[1:2], v[7:8], v[15:16]
	scratch_store_b128 off, v[9:12], off offset:224
.LBB31_71:
	s_or_b32 exec_lo, exec_lo, s2
	s_waitcnt_vscnt null, 0x0
	s_barrier
	buffer_gl0_inv
	scratch_load_b128 v[1:4], v124, off
	s_mov_b32 s2, exec_lo
	s_waitcnt vmcnt(0)
	ds_store_b128 v5, v[1:4]
	s_waitcnt lgkmcnt(0)
	s_barrier
	buffer_gl0_inv
	v_cmpx_gt_u32_e32 15, v106
	s_cbranch_execz .LBB31_75
; %bb.72:
	v_dual_mov_b32 v1, 0 :: v_dual_add_nc_u32 v8, 0x200, v13
	v_dual_mov_b32 v2, 0 :: v_dual_add_nc_u32 v7, -1, v106
	v_or_b32_e32 v9, 8, v14
	s_mov_b32 s3, 0
	s_delay_alu instid0(VALU_DEP_2)
	v_dual_mov_b32 v4, v2 :: v_dual_mov_b32 v3, v1
	.p2align	6
.LBB31_73:                              ; =>This Inner Loop Header: Depth=1
	scratch_load_b128 v[15:18], v9, off offset:-8
	ds_load_b128 v[19:22], v8
	v_add_nc_u32_e32 v7, 1, v7
	v_add_nc_u32_e32 v8, 16, v8
	;; [unrolled: 1-line block ×3, first 2 shown]
	s_delay_alu instid0(VALU_DEP_3) | instskip(SKIP_4) | instid1(VALU_DEP_2)
	v_cmp_lt_u32_e32 vcc_lo, 13, v7
	s_or_b32 s3, vcc_lo, s3
	s_waitcnt vmcnt(0) lgkmcnt(0)
	v_mul_f64 v[10:11], v[21:22], v[17:18]
	v_mul_f64 v[17:18], v[19:20], v[17:18]
	v_fma_f64 v[10:11], v[19:20], v[15:16], -v[10:11]
	s_delay_alu instid0(VALU_DEP_2) | instskip(NEXT) | instid1(VALU_DEP_2)
	v_fma_f64 v[15:16], v[21:22], v[15:16], v[17:18]
	v_add_f64 v[3:4], v[3:4], v[10:11]
	s_delay_alu instid0(VALU_DEP_2)
	v_add_f64 v[1:2], v[1:2], v[15:16]
	s_and_not1_b32 exec_lo, exec_lo, s3
	s_cbranch_execnz .LBB31_73
; %bb.74:
	s_or_b32 exec_lo, exec_lo, s3
	v_mov_b32_e32 v7, 0
	ds_load_b128 v[7:10], v7 offset:240
	s_waitcnt lgkmcnt(0)
	v_mul_f64 v[11:12], v[1:2], v[9:10]
	v_mul_f64 v[15:16], v[3:4], v[9:10]
	s_delay_alu instid0(VALU_DEP_2) | instskip(NEXT) | instid1(VALU_DEP_2)
	v_fma_f64 v[9:10], v[3:4], v[7:8], -v[11:12]
	v_fma_f64 v[11:12], v[1:2], v[7:8], v[15:16]
	scratch_store_b128 off, v[9:12], off offset:240
.LBB31_75:
	s_or_b32 exec_lo, exec_lo, s2
	s_waitcnt_vscnt null, 0x0
	s_barrier
	buffer_gl0_inv
	scratch_load_b128 v[1:4], v137, off
	s_mov_b32 s2, exec_lo
	s_waitcnt vmcnt(0)
	ds_store_b128 v5, v[1:4]
	s_waitcnt lgkmcnt(0)
	s_barrier
	buffer_gl0_inv
	v_cmpx_gt_u32_e32 16, v106
	s_cbranch_execz .LBB31_79
; %bb.76:
	v_dual_mov_b32 v1, 0 :: v_dual_add_nc_u32 v8, 0x200, v13
	v_dual_mov_b32 v2, 0 :: v_dual_add_nc_u32 v7, -1, v106
	v_or_b32_e32 v9, 8, v14
	s_mov_b32 s3, 0
	s_delay_alu instid0(VALU_DEP_2)
	v_dual_mov_b32 v4, v2 :: v_dual_mov_b32 v3, v1
	.p2align	6
.LBB31_77:                              ; =>This Inner Loop Header: Depth=1
	scratch_load_b128 v[15:18], v9, off offset:-8
	ds_load_b128 v[19:22], v8
	v_add_nc_u32_e32 v7, 1, v7
	v_add_nc_u32_e32 v8, 16, v8
	;; [unrolled: 1-line block ×3, first 2 shown]
	s_delay_alu instid0(VALU_DEP_3) | instskip(SKIP_4) | instid1(VALU_DEP_2)
	v_cmp_lt_u32_e32 vcc_lo, 14, v7
	s_or_b32 s3, vcc_lo, s3
	s_waitcnt vmcnt(0) lgkmcnt(0)
	v_mul_f64 v[10:11], v[21:22], v[17:18]
	v_mul_f64 v[17:18], v[19:20], v[17:18]
	v_fma_f64 v[10:11], v[19:20], v[15:16], -v[10:11]
	s_delay_alu instid0(VALU_DEP_2) | instskip(NEXT) | instid1(VALU_DEP_2)
	v_fma_f64 v[15:16], v[21:22], v[15:16], v[17:18]
	v_add_f64 v[3:4], v[3:4], v[10:11]
	s_delay_alu instid0(VALU_DEP_2)
	v_add_f64 v[1:2], v[1:2], v[15:16]
	s_and_not1_b32 exec_lo, exec_lo, s3
	s_cbranch_execnz .LBB31_77
; %bb.78:
	s_or_b32 exec_lo, exec_lo, s3
	v_mov_b32_e32 v7, 0
	ds_load_b128 v[7:10], v7 offset:256
	s_waitcnt lgkmcnt(0)
	v_mul_f64 v[11:12], v[1:2], v[9:10]
	v_mul_f64 v[15:16], v[3:4], v[9:10]
	s_delay_alu instid0(VALU_DEP_2) | instskip(NEXT) | instid1(VALU_DEP_2)
	v_fma_f64 v[9:10], v[3:4], v[7:8], -v[11:12]
	v_fma_f64 v[11:12], v[1:2], v[7:8], v[15:16]
	scratch_store_b128 off, v[9:12], off offset:256
.LBB31_79:
	s_or_b32 exec_lo, exec_lo, s2
	s_waitcnt_vscnt null, 0x0
	s_barrier
	buffer_gl0_inv
	scratch_load_b128 v[1:4], v136, off
	s_mov_b32 s2, exec_lo
	s_waitcnt vmcnt(0)
	ds_store_b128 v5, v[1:4]
	s_waitcnt lgkmcnt(0)
	s_barrier
	buffer_gl0_inv
	v_cmpx_gt_u32_e32 17, v106
	s_cbranch_execz .LBB31_83
; %bb.80:
	v_dual_mov_b32 v1, 0 :: v_dual_add_nc_u32 v8, 0x200, v13
	v_dual_mov_b32 v2, 0 :: v_dual_add_nc_u32 v7, -1, v106
	v_or_b32_e32 v9, 8, v14
	s_mov_b32 s3, 0
	s_delay_alu instid0(VALU_DEP_2)
	v_dual_mov_b32 v4, v2 :: v_dual_mov_b32 v3, v1
	.p2align	6
.LBB31_81:                              ; =>This Inner Loop Header: Depth=1
	scratch_load_b128 v[15:18], v9, off offset:-8
	ds_load_b128 v[19:22], v8
	v_add_nc_u32_e32 v7, 1, v7
	v_add_nc_u32_e32 v8, 16, v8
	;; [unrolled: 1-line block ×3, first 2 shown]
	s_delay_alu instid0(VALU_DEP_3) | instskip(SKIP_4) | instid1(VALU_DEP_2)
	v_cmp_lt_u32_e32 vcc_lo, 15, v7
	s_or_b32 s3, vcc_lo, s3
	s_waitcnt vmcnt(0) lgkmcnt(0)
	v_mul_f64 v[10:11], v[21:22], v[17:18]
	v_mul_f64 v[17:18], v[19:20], v[17:18]
	v_fma_f64 v[10:11], v[19:20], v[15:16], -v[10:11]
	s_delay_alu instid0(VALU_DEP_2) | instskip(NEXT) | instid1(VALU_DEP_2)
	v_fma_f64 v[15:16], v[21:22], v[15:16], v[17:18]
	v_add_f64 v[3:4], v[3:4], v[10:11]
	s_delay_alu instid0(VALU_DEP_2)
	v_add_f64 v[1:2], v[1:2], v[15:16]
	s_and_not1_b32 exec_lo, exec_lo, s3
	s_cbranch_execnz .LBB31_81
; %bb.82:
	s_or_b32 exec_lo, exec_lo, s3
	v_mov_b32_e32 v7, 0
	ds_load_b128 v[7:10], v7 offset:272
	s_waitcnt lgkmcnt(0)
	v_mul_f64 v[11:12], v[1:2], v[9:10]
	v_mul_f64 v[15:16], v[3:4], v[9:10]
	s_delay_alu instid0(VALU_DEP_2) | instskip(NEXT) | instid1(VALU_DEP_2)
	v_fma_f64 v[9:10], v[3:4], v[7:8], -v[11:12]
	v_fma_f64 v[11:12], v[1:2], v[7:8], v[15:16]
	scratch_store_b128 off, v[9:12], off offset:272
.LBB31_83:
	s_or_b32 exec_lo, exec_lo, s2
	s_waitcnt_vscnt null, 0x0
	s_barrier
	buffer_gl0_inv
	scratch_load_b128 v[1:4], v135, off
	s_mov_b32 s2, exec_lo
	s_waitcnt vmcnt(0)
	ds_store_b128 v5, v[1:4]
	s_waitcnt lgkmcnt(0)
	s_barrier
	buffer_gl0_inv
	v_cmpx_gt_u32_e32 18, v106
	s_cbranch_execz .LBB31_87
; %bb.84:
	v_dual_mov_b32 v1, 0 :: v_dual_add_nc_u32 v8, 0x200, v13
	v_dual_mov_b32 v2, 0 :: v_dual_add_nc_u32 v7, -1, v106
	v_or_b32_e32 v9, 8, v14
	s_mov_b32 s3, 0
	s_delay_alu instid0(VALU_DEP_2)
	v_dual_mov_b32 v4, v2 :: v_dual_mov_b32 v3, v1
	.p2align	6
.LBB31_85:                              ; =>This Inner Loop Header: Depth=1
	scratch_load_b128 v[15:18], v9, off offset:-8
	ds_load_b128 v[19:22], v8
	v_add_nc_u32_e32 v7, 1, v7
	v_add_nc_u32_e32 v8, 16, v8
	;; [unrolled: 1-line block ×3, first 2 shown]
	s_delay_alu instid0(VALU_DEP_3) | instskip(SKIP_4) | instid1(VALU_DEP_2)
	v_cmp_lt_u32_e32 vcc_lo, 16, v7
	s_or_b32 s3, vcc_lo, s3
	s_waitcnt vmcnt(0) lgkmcnt(0)
	v_mul_f64 v[10:11], v[21:22], v[17:18]
	v_mul_f64 v[17:18], v[19:20], v[17:18]
	v_fma_f64 v[10:11], v[19:20], v[15:16], -v[10:11]
	s_delay_alu instid0(VALU_DEP_2) | instskip(NEXT) | instid1(VALU_DEP_2)
	v_fma_f64 v[15:16], v[21:22], v[15:16], v[17:18]
	v_add_f64 v[3:4], v[3:4], v[10:11]
	s_delay_alu instid0(VALU_DEP_2)
	v_add_f64 v[1:2], v[1:2], v[15:16]
	s_and_not1_b32 exec_lo, exec_lo, s3
	s_cbranch_execnz .LBB31_85
; %bb.86:
	s_or_b32 exec_lo, exec_lo, s3
	v_mov_b32_e32 v7, 0
	ds_load_b128 v[7:10], v7 offset:288
	s_waitcnt lgkmcnt(0)
	v_mul_f64 v[11:12], v[1:2], v[9:10]
	v_mul_f64 v[15:16], v[3:4], v[9:10]
	s_delay_alu instid0(VALU_DEP_2) | instskip(NEXT) | instid1(VALU_DEP_2)
	v_fma_f64 v[9:10], v[3:4], v[7:8], -v[11:12]
	v_fma_f64 v[11:12], v[1:2], v[7:8], v[15:16]
	scratch_store_b128 off, v[9:12], off offset:288
.LBB31_87:
	s_or_b32 exec_lo, exec_lo, s2
	s_waitcnt_vscnt null, 0x0
	s_barrier
	buffer_gl0_inv
	scratch_load_b128 v[1:4], v134, off
	s_mov_b32 s2, exec_lo
	s_waitcnt vmcnt(0)
	ds_store_b128 v5, v[1:4]
	s_waitcnt lgkmcnt(0)
	s_barrier
	buffer_gl0_inv
	v_cmpx_gt_u32_e32 19, v106
	s_cbranch_execz .LBB31_91
; %bb.88:
	v_dual_mov_b32 v1, 0 :: v_dual_add_nc_u32 v8, 0x200, v13
	v_dual_mov_b32 v2, 0 :: v_dual_add_nc_u32 v7, -1, v106
	v_or_b32_e32 v9, 8, v14
	s_mov_b32 s3, 0
	s_delay_alu instid0(VALU_DEP_2)
	v_dual_mov_b32 v4, v2 :: v_dual_mov_b32 v3, v1
	.p2align	6
.LBB31_89:                              ; =>This Inner Loop Header: Depth=1
	scratch_load_b128 v[15:18], v9, off offset:-8
	ds_load_b128 v[19:22], v8
	v_add_nc_u32_e32 v7, 1, v7
	v_add_nc_u32_e32 v8, 16, v8
	;; [unrolled: 1-line block ×3, first 2 shown]
	s_delay_alu instid0(VALU_DEP_3) | instskip(SKIP_4) | instid1(VALU_DEP_2)
	v_cmp_lt_u32_e32 vcc_lo, 17, v7
	s_or_b32 s3, vcc_lo, s3
	s_waitcnt vmcnt(0) lgkmcnt(0)
	v_mul_f64 v[10:11], v[21:22], v[17:18]
	v_mul_f64 v[17:18], v[19:20], v[17:18]
	v_fma_f64 v[10:11], v[19:20], v[15:16], -v[10:11]
	s_delay_alu instid0(VALU_DEP_2) | instskip(NEXT) | instid1(VALU_DEP_2)
	v_fma_f64 v[15:16], v[21:22], v[15:16], v[17:18]
	v_add_f64 v[3:4], v[3:4], v[10:11]
	s_delay_alu instid0(VALU_DEP_2)
	v_add_f64 v[1:2], v[1:2], v[15:16]
	s_and_not1_b32 exec_lo, exec_lo, s3
	s_cbranch_execnz .LBB31_89
; %bb.90:
	s_or_b32 exec_lo, exec_lo, s3
	v_mov_b32_e32 v7, 0
	ds_load_b128 v[7:10], v7 offset:304
	s_waitcnt lgkmcnt(0)
	v_mul_f64 v[11:12], v[1:2], v[9:10]
	v_mul_f64 v[15:16], v[3:4], v[9:10]
	s_delay_alu instid0(VALU_DEP_2) | instskip(NEXT) | instid1(VALU_DEP_2)
	v_fma_f64 v[9:10], v[3:4], v[7:8], -v[11:12]
	v_fma_f64 v[11:12], v[1:2], v[7:8], v[15:16]
	scratch_store_b128 off, v[9:12], off offset:304
.LBB31_91:
	s_or_b32 exec_lo, exec_lo, s2
	s_waitcnt_vscnt null, 0x0
	s_barrier
	buffer_gl0_inv
	scratch_load_b128 v[1:4], v122, off
	s_mov_b32 s2, exec_lo
	s_waitcnt vmcnt(0)
	ds_store_b128 v5, v[1:4]
	s_waitcnt lgkmcnt(0)
	s_barrier
	buffer_gl0_inv
	v_cmpx_gt_u32_e32 20, v106
	s_cbranch_execz .LBB31_95
; %bb.92:
	v_dual_mov_b32 v1, 0 :: v_dual_add_nc_u32 v8, 0x200, v13
	v_dual_mov_b32 v2, 0 :: v_dual_add_nc_u32 v7, -1, v106
	v_or_b32_e32 v9, 8, v14
	s_mov_b32 s3, 0
	s_delay_alu instid0(VALU_DEP_2)
	v_dual_mov_b32 v4, v2 :: v_dual_mov_b32 v3, v1
	.p2align	6
.LBB31_93:                              ; =>This Inner Loop Header: Depth=1
	scratch_load_b128 v[15:18], v9, off offset:-8
	ds_load_b128 v[19:22], v8
	v_add_nc_u32_e32 v7, 1, v7
	v_add_nc_u32_e32 v8, 16, v8
	;; [unrolled: 1-line block ×3, first 2 shown]
	s_delay_alu instid0(VALU_DEP_3) | instskip(SKIP_4) | instid1(VALU_DEP_2)
	v_cmp_lt_u32_e32 vcc_lo, 18, v7
	s_or_b32 s3, vcc_lo, s3
	s_waitcnt vmcnt(0) lgkmcnt(0)
	v_mul_f64 v[10:11], v[21:22], v[17:18]
	v_mul_f64 v[17:18], v[19:20], v[17:18]
	v_fma_f64 v[10:11], v[19:20], v[15:16], -v[10:11]
	s_delay_alu instid0(VALU_DEP_2) | instskip(NEXT) | instid1(VALU_DEP_2)
	v_fma_f64 v[15:16], v[21:22], v[15:16], v[17:18]
	v_add_f64 v[3:4], v[3:4], v[10:11]
	s_delay_alu instid0(VALU_DEP_2)
	v_add_f64 v[1:2], v[1:2], v[15:16]
	s_and_not1_b32 exec_lo, exec_lo, s3
	s_cbranch_execnz .LBB31_93
; %bb.94:
	s_or_b32 exec_lo, exec_lo, s3
	v_mov_b32_e32 v7, 0
	ds_load_b128 v[7:10], v7 offset:320
	s_waitcnt lgkmcnt(0)
	v_mul_f64 v[11:12], v[1:2], v[9:10]
	v_mul_f64 v[15:16], v[3:4], v[9:10]
	s_delay_alu instid0(VALU_DEP_2) | instskip(NEXT) | instid1(VALU_DEP_2)
	v_fma_f64 v[9:10], v[3:4], v[7:8], -v[11:12]
	v_fma_f64 v[11:12], v[1:2], v[7:8], v[15:16]
	scratch_store_b128 off, v[9:12], off offset:320
.LBB31_95:
	s_or_b32 exec_lo, exec_lo, s2
	s_waitcnt_vscnt null, 0x0
	s_barrier
	buffer_gl0_inv
	scratch_load_b128 v[1:4], v121, off
	s_mov_b32 s2, exec_lo
	s_waitcnt vmcnt(0)
	ds_store_b128 v5, v[1:4]
	s_waitcnt lgkmcnt(0)
	s_barrier
	buffer_gl0_inv
	v_cmpx_gt_u32_e32 21, v106
	s_cbranch_execz .LBB31_99
; %bb.96:
	v_dual_mov_b32 v1, 0 :: v_dual_add_nc_u32 v8, 0x200, v13
	v_dual_mov_b32 v2, 0 :: v_dual_add_nc_u32 v7, -1, v106
	v_or_b32_e32 v9, 8, v14
	s_mov_b32 s3, 0
	s_delay_alu instid0(VALU_DEP_2)
	v_dual_mov_b32 v4, v2 :: v_dual_mov_b32 v3, v1
	.p2align	6
.LBB31_97:                              ; =>This Inner Loop Header: Depth=1
	scratch_load_b128 v[15:18], v9, off offset:-8
	ds_load_b128 v[19:22], v8
	v_add_nc_u32_e32 v7, 1, v7
	v_add_nc_u32_e32 v8, 16, v8
	v_add_nc_u32_e32 v9, 16, v9
	s_delay_alu instid0(VALU_DEP_3) | instskip(SKIP_4) | instid1(VALU_DEP_2)
	v_cmp_lt_u32_e32 vcc_lo, 19, v7
	s_or_b32 s3, vcc_lo, s3
	s_waitcnt vmcnt(0) lgkmcnt(0)
	v_mul_f64 v[10:11], v[21:22], v[17:18]
	v_mul_f64 v[17:18], v[19:20], v[17:18]
	v_fma_f64 v[10:11], v[19:20], v[15:16], -v[10:11]
	s_delay_alu instid0(VALU_DEP_2) | instskip(NEXT) | instid1(VALU_DEP_2)
	v_fma_f64 v[15:16], v[21:22], v[15:16], v[17:18]
	v_add_f64 v[3:4], v[3:4], v[10:11]
	s_delay_alu instid0(VALU_DEP_2)
	v_add_f64 v[1:2], v[1:2], v[15:16]
	s_and_not1_b32 exec_lo, exec_lo, s3
	s_cbranch_execnz .LBB31_97
; %bb.98:
	s_or_b32 exec_lo, exec_lo, s3
	v_mov_b32_e32 v7, 0
	ds_load_b128 v[7:10], v7 offset:336
	s_waitcnt lgkmcnt(0)
	v_mul_f64 v[11:12], v[1:2], v[9:10]
	v_mul_f64 v[15:16], v[3:4], v[9:10]
	s_delay_alu instid0(VALU_DEP_2) | instskip(NEXT) | instid1(VALU_DEP_2)
	v_fma_f64 v[9:10], v[3:4], v[7:8], -v[11:12]
	v_fma_f64 v[11:12], v[1:2], v[7:8], v[15:16]
	scratch_store_b128 off, v[9:12], off offset:336
.LBB31_99:
	s_or_b32 exec_lo, exec_lo, s2
	s_waitcnt_vscnt null, 0x0
	s_barrier
	buffer_gl0_inv
	scratch_load_b128 v[1:4], v119, off
	s_mov_b32 s2, exec_lo
	s_waitcnt vmcnt(0)
	ds_store_b128 v5, v[1:4]
	s_waitcnt lgkmcnt(0)
	s_barrier
	buffer_gl0_inv
	v_cmpx_gt_u32_e32 22, v106
	s_cbranch_execz .LBB31_103
; %bb.100:
	v_dual_mov_b32 v1, 0 :: v_dual_add_nc_u32 v8, 0x200, v13
	v_dual_mov_b32 v2, 0 :: v_dual_add_nc_u32 v7, -1, v106
	v_or_b32_e32 v9, 8, v14
	s_mov_b32 s3, 0
	s_delay_alu instid0(VALU_DEP_2)
	v_dual_mov_b32 v4, v2 :: v_dual_mov_b32 v3, v1
	.p2align	6
.LBB31_101:                             ; =>This Inner Loop Header: Depth=1
	scratch_load_b128 v[15:18], v9, off offset:-8
	ds_load_b128 v[19:22], v8
	v_add_nc_u32_e32 v7, 1, v7
	v_add_nc_u32_e32 v8, 16, v8
	;; [unrolled: 1-line block ×3, first 2 shown]
	s_delay_alu instid0(VALU_DEP_3) | instskip(SKIP_4) | instid1(VALU_DEP_2)
	v_cmp_lt_u32_e32 vcc_lo, 20, v7
	s_or_b32 s3, vcc_lo, s3
	s_waitcnt vmcnt(0) lgkmcnt(0)
	v_mul_f64 v[10:11], v[21:22], v[17:18]
	v_mul_f64 v[17:18], v[19:20], v[17:18]
	v_fma_f64 v[10:11], v[19:20], v[15:16], -v[10:11]
	s_delay_alu instid0(VALU_DEP_2) | instskip(NEXT) | instid1(VALU_DEP_2)
	v_fma_f64 v[15:16], v[21:22], v[15:16], v[17:18]
	v_add_f64 v[3:4], v[3:4], v[10:11]
	s_delay_alu instid0(VALU_DEP_2)
	v_add_f64 v[1:2], v[1:2], v[15:16]
	s_and_not1_b32 exec_lo, exec_lo, s3
	s_cbranch_execnz .LBB31_101
; %bb.102:
	s_or_b32 exec_lo, exec_lo, s3
	v_mov_b32_e32 v7, 0
	ds_load_b128 v[7:10], v7 offset:352
	s_waitcnt lgkmcnt(0)
	v_mul_f64 v[11:12], v[1:2], v[9:10]
	v_mul_f64 v[15:16], v[3:4], v[9:10]
	s_delay_alu instid0(VALU_DEP_2) | instskip(NEXT) | instid1(VALU_DEP_2)
	v_fma_f64 v[9:10], v[3:4], v[7:8], -v[11:12]
	v_fma_f64 v[11:12], v[1:2], v[7:8], v[15:16]
	scratch_store_b128 off, v[9:12], off offset:352
.LBB31_103:
	s_or_b32 exec_lo, exec_lo, s2
	s_waitcnt_vscnt null, 0x0
	s_barrier
	buffer_gl0_inv
	scratch_load_b128 v[1:4], v120, off
	s_mov_b32 s2, exec_lo
	s_waitcnt vmcnt(0)
	ds_store_b128 v5, v[1:4]
	s_waitcnt lgkmcnt(0)
	s_barrier
	buffer_gl0_inv
	v_cmpx_gt_u32_e32 23, v106
	s_cbranch_execz .LBB31_107
; %bb.104:
	v_dual_mov_b32 v1, 0 :: v_dual_add_nc_u32 v8, 0x200, v13
	v_dual_mov_b32 v2, 0 :: v_dual_add_nc_u32 v7, -1, v106
	v_or_b32_e32 v9, 8, v14
	s_mov_b32 s3, 0
	s_delay_alu instid0(VALU_DEP_2)
	v_dual_mov_b32 v4, v2 :: v_dual_mov_b32 v3, v1
	.p2align	6
.LBB31_105:                             ; =>This Inner Loop Header: Depth=1
	scratch_load_b128 v[15:18], v9, off offset:-8
	ds_load_b128 v[19:22], v8
	v_add_nc_u32_e32 v7, 1, v7
	v_add_nc_u32_e32 v8, 16, v8
	;; [unrolled: 1-line block ×3, first 2 shown]
	s_delay_alu instid0(VALU_DEP_3) | instskip(SKIP_4) | instid1(VALU_DEP_2)
	v_cmp_lt_u32_e32 vcc_lo, 21, v7
	s_or_b32 s3, vcc_lo, s3
	s_waitcnt vmcnt(0) lgkmcnt(0)
	v_mul_f64 v[10:11], v[21:22], v[17:18]
	v_mul_f64 v[17:18], v[19:20], v[17:18]
	v_fma_f64 v[10:11], v[19:20], v[15:16], -v[10:11]
	s_delay_alu instid0(VALU_DEP_2) | instskip(NEXT) | instid1(VALU_DEP_2)
	v_fma_f64 v[15:16], v[21:22], v[15:16], v[17:18]
	v_add_f64 v[3:4], v[3:4], v[10:11]
	s_delay_alu instid0(VALU_DEP_2)
	v_add_f64 v[1:2], v[1:2], v[15:16]
	s_and_not1_b32 exec_lo, exec_lo, s3
	s_cbranch_execnz .LBB31_105
; %bb.106:
	s_or_b32 exec_lo, exec_lo, s3
	v_mov_b32_e32 v7, 0
	ds_load_b128 v[7:10], v7 offset:368
	s_waitcnt lgkmcnt(0)
	v_mul_f64 v[11:12], v[1:2], v[9:10]
	v_mul_f64 v[15:16], v[3:4], v[9:10]
	s_delay_alu instid0(VALU_DEP_2) | instskip(NEXT) | instid1(VALU_DEP_2)
	v_fma_f64 v[9:10], v[3:4], v[7:8], -v[11:12]
	v_fma_f64 v[11:12], v[1:2], v[7:8], v[15:16]
	scratch_store_b128 off, v[9:12], off offset:368
.LBB31_107:
	s_or_b32 exec_lo, exec_lo, s2
	s_waitcnt_vscnt null, 0x0
	s_barrier
	buffer_gl0_inv
	scratch_load_b128 v[1:4], v118, off
	s_mov_b32 s2, exec_lo
	s_waitcnt vmcnt(0)
	ds_store_b128 v5, v[1:4]
	s_waitcnt lgkmcnt(0)
	s_barrier
	buffer_gl0_inv
	v_cmpx_gt_u32_e32 24, v106
	s_cbranch_execz .LBB31_111
; %bb.108:
	v_dual_mov_b32 v1, 0 :: v_dual_add_nc_u32 v8, 0x200, v13
	v_dual_mov_b32 v2, 0 :: v_dual_add_nc_u32 v7, -1, v106
	v_or_b32_e32 v9, 8, v14
	s_mov_b32 s3, 0
	s_delay_alu instid0(VALU_DEP_2)
	v_dual_mov_b32 v4, v2 :: v_dual_mov_b32 v3, v1
	.p2align	6
.LBB31_109:                             ; =>This Inner Loop Header: Depth=1
	scratch_load_b128 v[15:18], v9, off offset:-8
	ds_load_b128 v[19:22], v8
	v_add_nc_u32_e32 v7, 1, v7
	v_add_nc_u32_e32 v8, 16, v8
	;; [unrolled: 1-line block ×3, first 2 shown]
	s_delay_alu instid0(VALU_DEP_3) | instskip(SKIP_4) | instid1(VALU_DEP_2)
	v_cmp_lt_u32_e32 vcc_lo, 22, v7
	s_or_b32 s3, vcc_lo, s3
	s_waitcnt vmcnt(0) lgkmcnt(0)
	v_mul_f64 v[10:11], v[21:22], v[17:18]
	v_mul_f64 v[17:18], v[19:20], v[17:18]
	v_fma_f64 v[10:11], v[19:20], v[15:16], -v[10:11]
	s_delay_alu instid0(VALU_DEP_2) | instskip(NEXT) | instid1(VALU_DEP_2)
	v_fma_f64 v[15:16], v[21:22], v[15:16], v[17:18]
	v_add_f64 v[3:4], v[3:4], v[10:11]
	s_delay_alu instid0(VALU_DEP_2)
	v_add_f64 v[1:2], v[1:2], v[15:16]
	s_and_not1_b32 exec_lo, exec_lo, s3
	s_cbranch_execnz .LBB31_109
; %bb.110:
	s_or_b32 exec_lo, exec_lo, s3
	v_mov_b32_e32 v7, 0
	ds_load_b128 v[7:10], v7 offset:384
	s_waitcnt lgkmcnt(0)
	v_mul_f64 v[11:12], v[1:2], v[9:10]
	v_mul_f64 v[15:16], v[3:4], v[9:10]
	s_delay_alu instid0(VALU_DEP_2) | instskip(NEXT) | instid1(VALU_DEP_2)
	v_fma_f64 v[9:10], v[3:4], v[7:8], -v[11:12]
	v_fma_f64 v[11:12], v[1:2], v[7:8], v[15:16]
	scratch_store_b128 off, v[9:12], off offset:384
.LBB31_111:
	s_or_b32 exec_lo, exec_lo, s2
	s_waitcnt_vscnt null, 0x0
	s_barrier
	buffer_gl0_inv
	scratch_load_b128 v[1:4], v117, off
	s_mov_b32 s2, exec_lo
	s_waitcnt vmcnt(0)
	ds_store_b128 v5, v[1:4]
	s_waitcnt lgkmcnt(0)
	s_barrier
	buffer_gl0_inv
	v_cmpx_gt_u32_e32 25, v106
	s_cbranch_execz .LBB31_115
; %bb.112:
	v_dual_mov_b32 v1, 0 :: v_dual_add_nc_u32 v8, 0x200, v13
	v_dual_mov_b32 v2, 0 :: v_dual_add_nc_u32 v7, -1, v106
	v_or_b32_e32 v9, 8, v14
	s_mov_b32 s3, 0
	s_delay_alu instid0(VALU_DEP_2)
	v_dual_mov_b32 v4, v2 :: v_dual_mov_b32 v3, v1
	.p2align	6
.LBB31_113:                             ; =>This Inner Loop Header: Depth=1
	scratch_load_b128 v[15:18], v9, off offset:-8
	ds_load_b128 v[19:22], v8
	v_add_nc_u32_e32 v7, 1, v7
	v_add_nc_u32_e32 v8, 16, v8
	;; [unrolled: 1-line block ×3, first 2 shown]
	s_delay_alu instid0(VALU_DEP_3) | instskip(SKIP_4) | instid1(VALU_DEP_2)
	v_cmp_lt_u32_e32 vcc_lo, 23, v7
	s_or_b32 s3, vcc_lo, s3
	s_waitcnt vmcnt(0) lgkmcnt(0)
	v_mul_f64 v[10:11], v[21:22], v[17:18]
	v_mul_f64 v[17:18], v[19:20], v[17:18]
	v_fma_f64 v[10:11], v[19:20], v[15:16], -v[10:11]
	s_delay_alu instid0(VALU_DEP_2) | instskip(NEXT) | instid1(VALU_DEP_2)
	v_fma_f64 v[15:16], v[21:22], v[15:16], v[17:18]
	v_add_f64 v[3:4], v[3:4], v[10:11]
	s_delay_alu instid0(VALU_DEP_2)
	v_add_f64 v[1:2], v[1:2], v[15:16]
	s_and_not1_b32 exec_lo, exec_lo, s3
	s_cbranch_execnz .LBB31_113
; %bb.114:
	s_or_b32 exec_lo, exec_lo, s3
	v_mov_b32_e32 v7, 0
	ds_load_b128 v[7:10], v7 offset:400
	s_waitcnt lgkmcnt(0)
	v_mul_f64 v[11:12], v[1:2], v[9:10]
	v_mul_f64 v[15:16], v[3:4], v[9:10]
	s_delay_alu instid0(VALU_DEP_2) | instskip(NEXT) | instid1(VALU_DEP_2)
	v_fma_f64 v[9:10], v[3:4], v[7:8], -v[11:12]
	v_fma_f64 v[11:12], v[1:2], v[7:8], v[15:16]
	scratch_store_b128 off, v[9:12], off offset:400
.LBB31_115:
	s_or_b32 exec_lo, exec_lo, s2
	s_waitcnt_vscnt null, 0x0
	s_barrier
	buffer_gl0_inv
	scratch_load_b128 v[1:4], v115, off
	s_mov_b32 s2, exec_lo
	s_waitcnt vmcnt(0)
	ds_store_b128 v5, v[1:4]
	s_waitcnt lgkmcnt(0)
	s_barrier
	buffer_gl0_inv
	v_cmpx_gt_u32_e32 26, v106
	s_cbranch_execz .LBB31_119
; %bb.116:
	v_dual_mov_b32 v1, 0 :: v_dual_add_nc_u32 v8, 0x200, v13
	v_dual_mov_b32 v2, 0 :: v_dual_add_nc_u32 v7, -1, v106
	v_or_b32_e32 v9, 8, v14
	s_mov_b32 s3, 0
	s_delay_alu instid0(VALU_DEP_2)
	v_dual_mov_b32 v4, v2 :: v_dual_mov_b32 v3, v1
	.p2align	6
.LBB31_117:                             ; =>This Inner Loop Header: Depth=1
	scratch_load_b128 v[15:18], v9, off offset:-8
	ds_load_b128 v[19:22], v8
	v_add_nc_u32_e32 v7, 1, v7
	v_add_nc_u32_e32 v8, 16, v8
	;; [unrolled: 1-line block ×3, first 2 shown]
	s_delay_alu instid0(VALU_DEP_3) | instskip(SKIP_4) | instid1(VALU_DEP_2)
	v_cmp_lt_u32_e32 vcc_lo, 24, v7
	s_or_b32 s3, vcc_lo, s3
	s_waitcnt vmcnt(0) lgkmcnt(0)
	v_mul_f64 v[10:11], v[21:22], v[17:18]
	v_mul_f64 v[17:18], v[19:20], v[17:18]
	v_fma_f64 v[10:11], v[19:20], v[15:16], -v[10:11]
	s_delay_alu instid0(VALU_DEP_2) | instskip(NEXT) | instid1(VALU_DEP_2)
	v_fma_f64 v[15:16], v[21:22], v[15:16], v[17:18]
	v_add_f64 v[3:4], v[3:4], v[10:11]
	s_delay_alu instid0(VALU_DEP_2)
	v_add_f64 v[1:2], v[1:2], v[15:16]
	s_and_not1_b32 exec_lo, exec_lo, s3
	s_cbranch_execnz .LBB31_117
; %bb.118:
	s_or_b32 exec_lo, exec_lo, s3
	v_mov_b32_e32 v7, 0
	ds_load_b128 v[7:10], v7 offset:416
	s_waitcnt lgkmcnt(0)
	v_mul_f64 v[11:12], v[1:2], v[9:10]
	v_mul_f64 v[15:16], v[3:4], v[9:10]
	s_delay_alu instid0(VALU_DEP_2) | instskip(NEXT) | instid1(VALU_DEP_2)
	v_fma_f64 v[9:10], v[3:4], v[7:8], -v[11:12]
	v_fma_f64 v[11:12], v[1:2], v[7:8], v[15:16]
	scratch_store_b128 off, v[9:12], off offset:416
.LBB31_119:
	s_or_b32 exec_lo, exec_lo, s2
	s_waitcnt_vscnt null, 0x0
	s_barrier
	buffer_gl0_inv
	scratch_load_b128 v[1:4], v116, off
	s_mov_b32 s2, exec_lo
	s_waitcnt vmcnt(0)
	ds_store_b128 v5, v[1:4]
	s_waitcnt lgkmcnt(0)
	s_barrier
	buffer_gl0_inv
	v_cmpx_gt_u32_e32 27, v106
	s_cbranch_execz .LBB31_123
; %bb.120:
	v_dual_mov_b32 v1, 0 :: v_dual_add_nc_u32 v8, 0x200, v13
	v_dual_mov_b32 v2, 0 :: v_dual_add_nc_u32 v7, -1, v106
	v_or_b32_e32 v9, 8, v14
	s_mov_b32 s3, 0
	s_delay_alu instid0(VALU_DEP_2)
	v_dual_mov_b32 v4, v2 :: v_dual_mov_b32 v3, v1
	.p2align	6
.LBB31_121:                             ; =>This Inner Loop Header: Depth=1
	scratch_load_b128 v[15:18], v9, off offset:-8
	ds_load_b128 v[19:22], v8
	v_add_nc_u32_e32 v7, 1, v7
	v_add_nc_u32_e32 v8, 16, v8
	;; [unrolled: 1-line block ×3, first 2 shown]
	s_delay_alu instid0(VALU_DEP_3) | instskip(SKIP_4) | instid1(VALU_DEP_2)
	v_cmp_lt_u32_e32 vcc_lo, 25, v7
	s_or_b32 s3, vcc_lo, s3
	s_waitcnt vmcnt(0) lgkmcnt(0)
	v_mul_f64 v[10:11], v[21:22], v[17:18]
	v_mul_f64 v[17:18], v[19:20], v[17:18]
	v_fma_f64 v[10:11], v[19:20], v[15:16], -v[10:11]
	s_delay_alu instid0(VALU_DEP_2) | instskip(NEXT) | instid1(VALU_DEP_2)
	v_fma_f64 v[15:16], v[21:22], v[15:16], v[17:18]
	v_add_f64 v[3:4], v[3:4], v[10:11]
	s_delay_alu instid0(VALU_DEP_2)
	v_add_f64 v[1:2], v[1:2], v[15:16]
	s_and_not1_b32 exec_lo, exec_lo, s3
	s_cbranch_execnz .LBB31_121
; %bb.122:
	s_or_b32 exec_lo, exec_lo, s3
	v_mov_b32_e32 v7, 0
	ds_load_b128 v[7:10], v7 offset:432
	s_waitcnt lgkmcnt(0)
	v_mul_f64 v[11:12], v[1:2], v[9:10]
	v_mul_f64 v[15:16], v[3:4], v[9:10]
	s_delay_alu instid0(VALU_DEP_2) | instskip(NEXT) | instid1(VALU_DEP_2)
	v_fma_f64 v[9:10], v[3:4], v[7:8], -v[11:12]
	v_fma_f64 v[11:12], v[1:2], v[7:8], v[15:16]
	scratch_store_b128 off, v[9:12], off offset:432
.LBB31_123:
	s_or_b32 exec_lo, exec_lo, s2
	s_waitcnt_vscnt null, 0x0
	s_barrier
	buffer_gl0_inv
	scratch_load_b128 v[1:4], v114, off
	s_mov_b32 s2, exec_lo
	s_waitcnt vmcnt(0)
	ds_store_b128 v5, v[1:4]
	s_waitcnt lgkmcnt(0)
	s_barrier
	buffer_gl0_inv
	v_cmpx_gt_u32_e32 28, v106
	s_cbranch_execz .LBB31_127
; %bb.124:
	v_dual_mov_b32 v1, 0 :: v_dual_add_nc_u32 v8, 0x200, v13
	v_dual_mov_b32 v2, 0 :: v_dual_add_nc_u32 v7, -1, v106
	v_or_b32_e32 v9, 8, v14
	s_mov_b32 s3, 0
	s_delay_alu instid0(VALU_DEP_2)
	v_dual_mov_b32 v4, v2 :: v_dual_mov_b32 v3, v1
	.p2align	6
.LBB31_125:                             ; =>This Inner Loop Header: Depth=1
	scratch_load_b128 v[15:18], v9, off offset:-8
	ds_load_b128 v[19:22], v8
	v_add_nc_u32_e32 v7, 1, v7
	v_add_nc_u32_e32 v8, 16, v8
	;; [unrolled: 1-line block ×3, first 2 shown]
	s_delay_alu instid0(VALU_DEP_3) | instskip(SKIP_4) | instid1(VALU_DEP_2)
	v_cmp_lt_u32_e32 vcc_lo, 26, v7
	s_or_b32 s3, vcc_lo, s3
	s_waitcnt vmcnt(0) lgkmcnt(0)
	v_mul_f64 v[10:11], v[21:22], v[17:18]
	v_mul_f64 v[17:18], v[19:20], v[17:18]
	v_fma_f64 v[10:11], v[19:20], v[15:16], -v[10:11]
	s_delay_alu instid0(VALU_DEP_2) | instskip(NEXT) | instid1(VALU_DEP_2)
	v_fma_f64 v[15:16], v[21:22], v[15:16], v[17:18]
	v_add_f64 v[3:4], v[3:4], v[10:11]
	s_delay_alu instid0(VALU_DEP_2)
	v_add_f64 v[1:2], v[1:2], v[15:16]
	s_and_not1_b32 exec_lo, exec_lo, s3
	s_cbranch_execnz .LBB31_125
; %bb.126:
	s_or_b32 exec_lo, exec_lo, s3
	v_mov_b32_e32 v7, 0
	ds_load_b128 v[7:10], v7 offset:448
	s_waitcnt lgkmcnt(0)
	v_mul_f64 v[11:12], v[1:2], v[9:10]
	v_mul_f64 v[15:16], v[3:4], v[9:10]
	s_delay_alu instid0(VALU_DEP_2) | instskip(NEXT) | instid1(VALU_DEP_2)
	v_fma_f64 v[9:10], v[3:4], v[7:8], -v[11:12]
	v_fma_f64 v[11:12], v[1:2], v[7:8], v[15:16]
	scratch_store_b128 off, v[9:12], off offset:448
.LBB31_127:
	s_or_b32 exec_lo, exec_lo, s2
	s_waitcnt_vscnt null, 0x0
	s_barrier
	buffer_gl0_inv
	scratch_load_b128 v[1:4], v113, off
	s_mov_b32 s2, exec_lo
	s_waitcnt vmcnt(0)
	ds_store_b128 v5, v[1:4]
	s_waitcnt lgkmcnt(0)
	s_barrier
	buffer_gl0_inv
	v_cmpx_gt_u32_e32 29, v106
	s_cbranch_execz .LBB31_131
; %bb.128:
	v_dual_mov_b32 v1, 0 :: v_dual_add_nc_u32 v8, 0x200, v13
	v_dual_mov_b32 v2, 0 :: v_dual_add_nc_u32 v7, -1, v106
	v_or_b32_e32 v9, 8, v14
	s_mov_b32 s3, 0
	s_delay_alu instid0(VALU_DEP_2)
	v_dual_mov_b32 v4, v2 :: v_dual_mov_b32 v3, v1
	.p2align	6
.LBB31_129:                             ; =>This Inner Loop Header: Depth=1
	scratch_load_b128 v[15:18], v9, off offset:-8
	ds_load_b128 v[19:22], v8
	v_add_nc_u32_e32 v7, 1, v7
	v_add_nc_u32_e32 v8, 16, v8
	v_add_nc_u32_e32 v9, 16, v9
	s_delay_alu instid0(VALU_DEP_3) | instskip(SKIP_4) | instid1(VALU_DEP_2)
	v_cmp_lt_u32_e32 vcc_lo, 27, v7
	s_or_b32 s3, vcc_lo, s3
	s_waitcnt vmcnt(0) lgkmcnt(0)
	v_mul_f64 v[10:11], v[21:22], v[17:18]
	v_mul_f64 v[17:18], v[19:20], v[17:18]
	v_fma_f64 v[10:11], v[19:20], v[15:16], -v[10:11]
	s_delay_alu instid0(VALU_DEP_2) | instskip(NEXT) | instid1(VALU_DEP_2)
	v_fma_f64 v[15:16], v[21:22], v[15:16], v[17:18]
	v_add_f64 v[3:4], v[3:4], v[10:11]
	s_delay_alu instid0(VALU_DEP_2)
	v_add_f64 v[1:2], v[1:2], v[15:16]
	s_and_not1_b32 exec_lo, exec_lo, s3
	s_cbranch_execnz .LBB31_129
; %bb.130:
	s_or_b32 exec_lo, exec_lo, s3
	v_mov_b32_e32 v7, 0
	ds_load_b128 v[7:10], v7 offset:464
	s_waitcnt lgkmcnt(0)
	v_mul_f64 v[11:12], v[1:2], v[9:10]
	v_mul_f64 v[15:16], v[3:4], v[9:10]
	s_delay_alu instid0(VALU_DEP_2) | instskip(NEXT) | instid1(VALU_DEP_2)
	v_fma_f64 v[9:10], v[3:4], v[7:8], -v[11:12]
	v_fma_f64 v[11:12], v[1:2], v[7:8], v[15:16]
	scratch_store_b128 off, v[9:12], off offset:464
.LBB31_131:
	s_or_b32 exec_lo, exec_lo, s2
	s_waitcnt_vscnt null, 0x0
	s_barrier
	buffer_gl0_inv
	scratch_load_b128 v[1:4], v112, off
	s_mov_b32 s2, exec_lo
	s_waitcnt vmcnt(0)
	ds_store_b128 v5, v[1:4]
	s_waitcnt lgkmcnt(0)
	s_barrier
	buffer_gl0_inv
	v_cmpx_gt_u32_e32 30, v106
	s_cbranch_execz .LBB31_135
; %bb.132:
	v_dual_mov_b32 v1, 0 :: v_dual_add_nc_u32 v8, 0x200, v13
	v_dual_mov_b32 v2, 0 :: v_dual_add_nc_u32 v7, -1, v106
	v_or_b32_e32 v9, 8, v14
	s_mov_b32 s3, 0
	s_delay_alu instid0(VALU_DEP_2)
	v_dual_mov_b32 v4, v2 :: v_dual_mov_b32 v3, v1
	.p2align	6
.LBB31_133:                             ; =>This Inner Loop Header: Depth=1
	scratch_load_b128 v[10:13], v9, off offset:-8
	ds_load_b128 v[15:18], v8
	v_add_nc_u32_e32 v7, 1, v7
	v_add_nc_u32_e32 v8, 16, v8
	;; [unrolled: 1-line block ×3, first 2 shown]
	s_delay_alu instid0(VALU_DEP_3) | instskip(SKIP_4) | instid1(VALU_DEP_2)
	v_cmp_lt_u32_e32 vcc_lo, 28, v7
	s_or_b32 s3, vcc_lo, s3
	s_waitcnt vmcnt(0) lgkmcnt(0)
	v_mul_f64 v[19:20], v[17:18], v[12:13]
	v_mul_f64 v[12:13], v[15:16], v[12:13]
	v_fma_f64 v[15:16], v[15:16], v[10:11], -v[19:20]
	s_delay_alu instid0(VALU_DEP_2) | instskip(NEXT) | instid1(VALU_DEP_2)
	v_fma_f64 v[10:11], v[17:18], v[10:11], v[12:13]
	v_add_f64 v[3:4], v[3:4], v[15:16]
	s_delay_alu instid0(VALU_DEP_2)
	v_add_f64 v[1:2], v[1:2], v[10:11]
	s_and_not1_b32 exec_lo, exec_lo, s3
	s_cbranch_execnz .LBB31_133
; %bb.134:
	s_or_b32 exec_lo, exec_lo, s3
	v_mov_b32_e32 v7, 0
	ds_load_b128 v[7:10], v7 offset:480
	s_waitcnt lgkmcnt(0)
	v_mul_f64 v[11:12], v[1:2], v[9:10]
	v_mul_f64 v[15:16], v[3:4], v[9:10]
	s_delay_alu instid0(VALU_DEP_2) | instskip(NEXT) | instid1(VALU_DEP_2)
	v_fma_f64 v[9:10], v[3:4], v[7:8], -v[11:12]
	v_fma_f64 v[11:12], v[1:2], v[7:8], v[15:16]
	scratch_store_b128 off, v[9:12], off offset:480
.LBB31_135:
	s_or_b32 exec_lo, exec_lo, s2
	s_waitcnt_vscnt null, 0x0
	s_barrier
	buffer_gl0_inv
	scratch_load_b128 v[1:4], v111, off
	s_mov_b32 s2, exec_lo
	s_waitcnt vmcnt(0)
	ds_store_b128 v5, v[1:4]
	s_waitcnt lgkmcnt(0)
	s_barrier
	buffer_gl0_inv
	v_cmpx_ne_u32_e32 31, v106
	s_cbranch_execz .LBB31_139
; %bb.136:
	v_mov_b32_e32 v1, 0
	v_mov_b32_e32 v2, 0
	v_or_b32_e32 v7, 8, v14
	s_mov_b32 s3, 0
	s_delay_alu instid0(VALU_DEP_2)
	v_dual_mov_b32 v4, v2 :: v_dual_mov_b32 v3, v1
	.p2align	6
.LBB31_137:                             ; =>This Inner Loop Header: Depth=1
	scratch_load_b128 v[8:11], v7, off offset:-8
	ds_load_b128 v[12:15], v5
	v_add_nc_u32_e32 v6, 1, v6
	v_add_nc_u32_e32 v5, 16, v5
	;; [unrolled: 1-line block ×3, first 2 shown]
	s_delay_alu instid0(VALU_DEP_3) | instskip(SKIP_4) | instid1(VALU_DEP_2)
	v_cmp_lt_u32_e32 vcc_lo, 29, v6
	s_or_b32 s3, vcc_lo, s3
	s_waitcnt vmcnt(0) lgkmcnt(0)
	v_mul_f64 v[16:17], v[14:15], v[10:11]
	v_mul_f64 v[10:11], v[12:13], v[10:11]
	v_fma_f64 v[12:13], v[12:13], v[8:9], -v[16:17]
	s_delay_alu instid0(VALU_DEP_2) | instskip(NEXT) | instid1(VALU_DEP_2)
	v_fma_f64 v[8:9], v[14:15], v[8:9], v[10:11]
	v_add_f64 v[3:4], v[3:4], v[12:13]
	s_delay_alu instid0(VALU_DEP_2)
	v_add_f64 v[1:2], v[1:2], v[8:9]
	s_and_not1_b32 exec_lo, exec_lo, s3
	s_cbranch_execnz .LBB31_137
; %bb.138:
	s_or_b32 exec_lo, exec_lo, s3
	v_mov_b32_e32 v5, 0
	ds_load_b128 v[5:8], v5 offset:496
	s_waitcnt lgkmcnt(0)
	v_mul_f64 v[9:10], v[1:2], v[7:8]
	v_mul_f64 v[7:8], v[3:4], v[7:8]
	s_delay_alu instid0(VALU_DEP_2) | instskip(NEXT) | instid1(VALU_DEP_2)
	v_fma_f64 v[3:4], v[3:4], v[5:6], -v[9:10]
	v_fma_f64 v[5:6], v[1:2], v[5:6], v[7:8]
	scratch_store_b128 off, v[3:6], off offset:496
.LBB31_139:
	s_or_b32 exec_lo, exec_lo, s2
	s_mov_b32 s3, -1
	s_waitcnt_vscnt null, 0x0
	s_barrier
	buffer_gl0_inv
.LBB31_140:
	s_and_b32 vcc_lo, exec_lo, s3
	s_cbranch_vccz .LBB31_142
; %bb.141:
	s_lshl_b64 s[2:3], s[18:19], 2
	v_mov_b32_e32 v1, 0
	s_add_u32 s2, s6, s2
	s_addc_u32 s3, s7, s3
	global_load_b32 v1, v1, s[2:3]
	s_waitcnt vmcnt(0)
	v_cmp_ne_u32_e32 vcc_lo, 0, v1
	s_cbranch_vccz .LBB31_143
.LBB31_142:
	s_endpgm
.LBB31_143:
	v_lshl_add_u32 v138, v106, 4, 0x200
	s_mov_b32 s2, exec_lo
	v_cmpx_eq_u32_e32 31, v106
	s_cbranch_execz .LBB31_145
; %bb.144:
	scratch_load_b128 v[1:4], v112, off
	v_mov_b32_e32 v5, 0
	s_delay_alu instid0(VALU_DEP_1)
	v_mov_b32_e32 v6, v5
	v_mov_b32_e32 v7, v5
	;; [unrolled: 1-line block ×3, first 2 shown]
	scratch_store_b128 off, v[5:8], off offset:480
	s_waitcnt vmcnt(0)
	ds_store_b128 v138, v[1:4]
.LBB31_145:
	s_or_b32 exec_lo, exec_lo, s2
	s_waitcnt lgkmcnt(0)
	s_waitcnt_vscnt null, 0x0
	s_barrier
	buffer_gl0_inv
	s_clause 0x1
	scratch_load_b128 v[2:5], off, off offset:496
	scratch_load_b128 v[6:9], off, off offset:480
	v_mov_b32_e32 v1, 0
	s_mov_b32 s2, exec_lo
	ds_load_b128 v[10:13], v1 offset:1008
	s_waitcnt vmcnt(1) lgkmcnt(0)
	v_mul_f64 v[14:15], v[12:13], v[4:5]
	v_mul_f64 v[4:5], v[10:11], v[4:5]
	s_delay_alu instid0(VALU_DEP_2) | instskip(NEXT) | instid1(VALU_DEP_2)
	v_fma_f64 v[10:11], v[10:11], v[2:3], -v[14:15]
	v_fma_f64 v[2:3], v[12:13], v[2:3], v[4:5]
	s_delay_alu instid0(VALU_DEP_2) | instskip(NEXT) | instid1(VALU_DEP_2)
	v_add_f64 v[4:5], v[10:11], 0
	v_add_f64 v[10:11], v[2:3], 0
	s_waitcnt vmcnt(0)
	s_delay_alu instid0(VALU_DEP_2) | instskip(NEXT) | instid1(VALU_DEP_2)
	v_add_f64 v[2:3], v[6:7], -v[4:5]
	v_add_f64 v[4:5], v[8:9], -v[10:11]
	scratch_store_b128 off, v[2:5], off offset:480
	v_cmpx_lt_u32_e32 29, v106
	s_cbranch_execz .LBB31_147
; %bb.146:
	scratch_load_b128 v[5:8], v113, off
	v_mov_b32_e32 v2, v1
	v_mov_b32_e32 v3, v1
	;; [unrolled: 1-line block ×3, first 2 shown]
	scratch_store_b128 off, v[1:4], off offset:464
	s_waitcnt vmcnt(0)
	ds_store_b128 v138, v[5:8]
.LBB31_147:
	s_or_b32 exec_lo, exec_lo, s2
	s_waitcnt lgkmcnt(0)
	s_waitcnt_vscnt null, 0x0
	s_barrier
	buffer_gl0_inv
	s_clause 0x2
	scratch_load_b128 v[2:5], off, off offset:480
	scratch_load_b128 v[6:9], off, off offset:496
	;; [unrolled: 1-line block ×3, first 2 shown]
	ds_load_b128 v[14:17], v1 offset:992
	ds_load_b128 v[18:21], v1 offset:1008
	s_mov_b32 s2, exec_lo
	s_waitcnt vmcnt(2) lgkmcnt(1)
	v_mul_f64 v[22:23], v[16:17], v[4:5]
	v_mul_f64 v[4:5], v[14:15], v[4:5]
	s_waitcnt vmcnt(1) lgkmcnt(0)
	v_mul_f64 v[24:25], v[18:19], v[8:9]
	v_mul_f64 v[8:9], v[20:21], v[8:9]
	s_delay_alu instid0(VALU_DEP_4) | instskip(NEXT) | instid1(VALU_DEP_4)
	v_fma_f64 v[14:15], v[14:15], v[2:3], -v[22:23]
	v_fma_f64 v[1:2], v[16:17], v[2:3], v[4:5]
	s_delay_alu instid0(VALU_DEP_4) | instskip(NEXT) | instid1(VALU_DEP_4)
	v_fma_f64 v[3:4], v[20:21], v[6:7], v[24:25]
	v_fma_f64 v[5:6], v[18:19], v[6:7], -v[8:9]
	s_delay_alu instid0(VALU_DEP_4) | instskip(NEXT) | instid1(VALU_DEP_4)
	v_add_f64 v[7:8], v[14:15], 0
	v_add_f64 v[1:2], v[1:2], 0
	s_delay_alu instid0(VALU_DEP_2) | instskip(NEXT) | instid1(VALU_DEP_2)
	v_add_f64 v[5:6], v[7:8], v[5:6]
	v_add_f64 v[3:4], v[1:2], v[3:4]
	s_waitcnt vmcnt(0)
	s_delay_alu instid0(VALU_DEP_2) | instskip(NEXT) | instid1(VALU_DEP_2)
	v_add_f64 v[1:2], v[10:11], -v[5:6]
	v_add_f64 v[3:4], v[12:13], -v[3:4]
	scratch_store_b128 off, v[1:4], off offset:464
	v_cmpx_lt_u32_e32 28, v106
	s_cbranch_execz .LBB31_149
; %bb.148:
	scratch_load_b128 v[1:4], v114, off
	v_mov_b32_e32 v5, 0
	s_delay_alu instid0(VALU_DEP_1)
	v_mov_b32_e32 v6, v5
	v_mov_b32_e32 v7, v5
	;; [unrolled: 1-line block ×3, first 2 shown]
	scratch_store_b128 off, v[5:8], off offset:448
	s_waitcnt vmcnt(0)
	ds_store_b128 v138, v[1:4]
.LBB31_149:
	s_or_b32 exec_lo, exec_lo, s2
	s_waitcnt lgkmcnt(0)
	s_waitcnt_vscnt null, 0x0
	s_barrier
	buffer_gl0_inv
	s_clause 0x3
	scratch_load_b128 v[2:5], off, off offset:464
	scratch_load_b128 v[6:9], off, off offset:480
	;; [unrolled: 1-line block ×4, first 2 shown]
	v_mov_b32_e32 v1, 0
	ds_load_b128 v[18:21], v1 offset:976
	ds_load_b128 v[22:25], v1 offset:992
	s_mov_b32 s2, exec_lo
	s_waitcnt vmcnt(3) lgkmcnt(1)
	v_mul_f64 v[26:27], v[20:21], v[4:5]
	v_mul_f64 v[4:5], v[18:19], v[4:5]
	s_waitcnt vmcnt(2) lgkmcnt(0)
	v_mul_f64 v[28:29], v[22:23], v[8:9]
	v_mul_f64 v[8:9], v[24:25], v[8:9]
	s_delay_alu instid0(VALU_DEP_4) | instskip(NEXT) | instid1(VALU_DEP_4)
	v_fma_f64 v[18:19], v[18:19], v[2:3], -v[26:27]
	v_fma_f64 v[20:21], v[20:21], v[2:3], v[4:5]
	ds_load_b128 v[2:5], v1 offset:1008
	v_fma_f64 v[24:25], v[24:25], v[6:7], v[28:29]
	v_fma_f64 v[6:7], v[22:23], v[6:7], -v[8:9]
	s_waitcnt vmcnt(1) lgkmcnt(0)
	v_mul_f64 v[26:27], v[2:3], v[12:13]
	v_mul_f64 v[12:13], v[4:5], v[12:13]
	v_add_f64 v[8:9], v[18:19], 0
	v_add_f64 v[18:19], v[20:21], 0
	s_delay_alu instid0(VALU_DEP_4) | instskip(NEXT) | instid1(VALU_DEP_4)
	v_fma_f64 v[4:5], v[4:5], v[10:11], v[26:27]
	v_fma_f64 v[2:3], v[2:3], v[10:11], -v[12:13]
	s_delay_alu instid0(VALU_DEP_4) | instskip(NEXT) | instid1(VALU_DEP_4)
	v_add_f64 v[6:7], v[8:9], v[6:7]
	v_add_f64 v[8:9], v[18:19], v[24:25]
	s_delay_alu instid0(VALU_DEP_2) | instskip(NEXT) | instid1(VALU_DEP_2)
	v_add_f64 v[2:3], v[6:7], v[2:3]
	v_add_f64 v[4:5], v[8:9], v[4:5]
	s_waitcnt vmcnt(0)
	s_delay_alu instid0(VALU_DEP_2) | instskip(NEXT) | instid1(VALU_DEP_2)
	v_add_f64 v[2:3], v[14:15], -v[2:3]
	v_add_f64 v[4:5], v[16:17], -v[4:5]
	scratch_store_b128 off, v[2:5], off offset:448
	v_cmpx_lt_u32_e32 27, v106
	s_cbranch_execz .LBB31_151
; %bb.150:
	scratch_load_b128 v[5:8], v116, off
	v_mov_b32_e32 v2, v1
	v_mov_b32_e32 v3, v1
	v_mov_b32_e32 v4, v1
	scratch_store_b128 off, v[1:4], off offset:432
	s_waitcnt vmcnt(0)
	ds_store_b128 v138, v[5:8]
.LBB31_151:
	s_or_b32 exec_lo, exec_lo, s2
	s_waitcnt lgkmcnt(0)
	s_waitcnt_vscnt null, 0x0
	s_barrier
	buffer_gl0_inv
	s_clause 0x4
	scratch_load_b128 v[2:5], off, off offset:448
	scratch_load_b128 v[6:9], off, off offset:464
	;; [unrolled: 1-line block ×5, first 2 shown]
	ds_load_b128 v[22:25], v1 offset:960
	ds_load_b128 v[26:29], v1 offset:976
	s_mov_b32 s2, exec_lo
	s_waitcnt vmcnt(4) lgkmcnt(1)
	v_mul_f64 v[30:31], v[24:25], v[4:5]
	v_mul_f64 v[4:5], v[22:23], v[4:5]
	s_waitcnt vmcnt(3) lgkmcnt(0)
	v_mul_f64 v[32:33], v[26:27], v[8:9]
	v_mul_f64 v[8:9], v[28:29], v[8:9]
	s_delay_alu instid0(VALU_DEP_4) | instskip(NEXT) | instid1(VALU_DEP_4)
	v_fma_f64 v[30:31], v[22:23], v[2:3], -v[30:31]
	v_fma_f64 v[34:35], v[24:25], v[2:3], v[4:5]
	ds_load_b128 v[2:5], v1 offset:992
	ds_load_b128 v[22:25], v1 offset:1008
	v_fma_f64 v[28:29], v[28:29], v[6:7], v[32:33]
	v_fma_f64 v[6:7], v[26:27], v[6:7], -v[8:9]
	s_waitcnt vmcnt(2) lgkmcnt(1)
	v_mul_f64 v[36:37], v[2:3], v[12:13]
	v_mul_f64 v[12:13], v[4:5], v[12:13]
	v_add_f64 v[8:9], v[30:31], 0
	v_add_f64 v[26:27], v[34:35], 0
	s_waitcnt vmcnt(1) lgkmcnt(0)
	v_mul_f64 v[30:31], v[22:23], v[16:17]
	v_mul_f64 v[16:17], v[24:25], v[16:17]
	v_fma_f64 v[4:5], v[4:5], v[10:11], v[36:37]
	v_fma_f64 v[1:2], v[2:3], v[10:11], -v[12:13]
	v_add_f64 v[6:7], v[8:9], v[6:7]
	v_add_f64 v[8:9], v[26:27], v[28:29]
	v_fma_f64 v[10:11], v[24:25], v[14:15], v[30:31]
	v_fma_f64 v[12:13], v[22:23], v[14:15], -v[16:17]
	s_delay_alu instid0(VALU_DEP_4) | instskip(NEXT) | instid1(VALU_DEP_4)
	v_add_f64 v[1:2], v[6:7], v[1:2]
	v_add_f64 v[3:4], v[8:9], v[4:5]
	s_delay_alu instid0(VALU_DEP_2) | instskip(NEXT) | instid1(VALU_DEP_2)
	v_add_f64 v[1:2], v[1:2], v[12:13]
	v_add_f64 v[3:4], v[3:4], v[10:11]
	s_waitcnt vmcnt(0)
	s_delay_alu instid0(VALU_DEP_2) | instskip(NEXT) | instid1(VALU_DEP_2)
	v_add_f64 v[1:2], v[18:19], -v[1:2]
	v_add_f64 v[3:4], v[20:21], -v[3:4]
	scratch_store_b128 off, v[1:4], off offset:432
	v_cmpx_lt_u32_e32 26, v106
	s_cbranch_execz .LBB31_153
; %bb.152:
	scratch_load_b128 v[1:4], v115, off
	v_mov_b32_e32 v5, 0
	s_delay_alu instid0(VALU_DEP_1)
	v_mov_b32_e32 v6, v5
	v_mov_b32_e32 v7, v5
	;; [unrolled: 1-line block ×3, first 2 shown]
	scratch_store_b128 off, v[5:8], off offset:416
	s_waitcnt vmcnt(0)
	ds_store_b128 v138, v[1:4]
.LBB31_153:
	s_or_b32 exec_lo, exec_lo, s2
	s_waitcnt lgkmcnt(0)
	s_waitcnt_vscnt null, 0x0
	s_barrier
	buffer_gl0_inv
	s_clause 0x5
	scratch_load_b128 v[2:5], off, off offset:432
	scratch_load_b128 v[6:9], off, off offset:448
	;; [unrolled: 1-line block ×6, first 2 shown]
	v_mov_b32_e32 v1, 0
	ds_load_b128 v[26:29], v1 offset:944
	ds_load_b128 v[30:33], v1 offset:960
	s_mov_b32 s2, exec_lo
	s_waitcnt vmcnt(5) lgkmcnt(1)
	v_mul_f64 v[34:35], v[28:29], v[4:5]
	v_mul_f64 v[4:5], v[26:27], v[4:5]
	s_waitcnt vmcnt(4) lgkmcnt(0)
	v_mul_f64 v[36:37], v[30:31], v[8:9]
	v_mul_f64 v[8:9], v[32:33], v[8:9]
	s_delay_alu instid0(VALU_DEP_4) | instskip(NEXT) | instid1(VALU_DEP_4)
	v_fma_f64 v[34:35], v[26:27], v[2:3], -v[34:35]
	v_fma_f64 v[38:39], v[28:29], v[2:3], v[4:5]
	ds_load_b128 v[2:5], v1 offset:976
	ds_load_b128 v[26:29], v1 offset:992
	v_fma_f64 v[32:33], v[32:33], v[6:7], v[36:37]
	v_fma_f64 v[6:7], v[30:31], v[6:7], -v[8:9]
	s_waitcnt vmcnt(3) lgkmcnt(1)
	v_mul_f64 v[40:41], v[2:3], v[12:13]
	v_mul_f64 v[12:13], v[4:5], v[12:13]
	v_add_f64 v[8:9], v[34:35], 0
	v_add_f64 v[30:31], v[38:39], 0
	s_waitcnt vmcnt(2) lgkmcnt(0)
	v_mul_f64 v[34:35], v[26:27], v[16:17]
	v_mul_f64 v[16:17], v[28:29], v[16:17]
	v_fma_f64 v[36:37], v[4:5], v[10:11], v[40:41]
	v_fma_f64 v[10:11], v[2:3], v[10:11], -v[12:13]
	ds_load_b128 v[2:5], v1 offset:1008
	v_add_f64 v[6:7], v[8:9], v[6:7]
	v_add_f64 v[8:9], v[30:31], v[32:33]
	v_fma_f64 v[28:29], v[28:29], v[14:15], v[34:35]
	v_fma_f64 v[14:15], v[26:27], v[14:15], -v[16:17]
	s_waitcnt vmcnt(1) lgkmcnt(0)
	v_mul_f64 v[12:13], v[2:3], v[20:21]
	v_mul_f64 v[20:21], v[4:5], v[20:21]
	v_add_f64 v[6:7], v[6:7], v[10:11]
	v_add_f64 v[8:9], v[8:9], v[36:37]
	s_delay_alu instid0(VALU_DEP_4) | instskip(NEXT) | instid1(VALU_DEP_4)
	v_fma_f64 v[4:5], v[4:5], v[18:19], v[12:13]
	v_fma_f64 v[2:3], v[2:3], v[18:19], -v[20:21]
	s_delay_alu instid0(VALU_DEP_4) | instskip(NEXT) | instid1(VALU_DEP_4)
	v_add_f64 v[6:7], v[6:7], v[14:15]
	v_add_f64 v[8:9], v[8:9], v[28:29]
	s_delay_alu instid0(VALU_DEP_2) | instskip(NEXT) | instid1(VALU_DEP_2)
	v_add_f64 v[2:3], v[6:7], v[2:3]
	v_add_f64 v[4:5], v[8:9], v[4:5]
	s_waitcnt vmcnt(0)
	s_delay_alu instid0(VALU_DEP_2) | instskip(NEXT) | instid1(VALU_DEP_2)
	v_add_f64 v[2:3], v[22:23], -v[2:3]
	v_add_f64 v[4:5], v[24:25], -v[4:5]
	scratch_store_b128 off, v[2:5], off offset:416
	v_cmpx_lt_u32_e32 25, v106
	s_cbranch_execz .LBB31_155
; %bb.154:
	scratch_load_b128 v[5:8], v117, off
	v_mov_b32_e32 v2, v1
	v_mov_b32_e32 v3, v1
	v_mov_b32_e32 v4, v1
	scratch_store_b128 off, v[1:4], off offset:400
	s_waitcnt vmcnt(0)
	ds_store_b128 v138, v[5:8]
.LBB31_155:
	s_or_b32 exec_lo, exec_lo, s2
	s_waitcnt lgkmcnt(0)
	s_waitcnt_vscnt null, 0x0
	s_barrier
	buffer_gl0_inv
	s_clause 0x5
	scratch_load_b128 v[2:5], off, off offset:416
	scratch_load_b128 v[6:9], off, off offset:432
	;; [unrolled: 1-line block ×6, first 2 shown]
	ds_load_b128 v[26:29], v1 offset:928
	ds_load_b128 v[34:37], v1 offset:944
	scratch_load_b128 v[30:33], off, off offset:400
	s_mov_b32 s2, exec_lo
	s_waitcnt vmcnt(6) lgkmcnt(1)
	v_mul_f64 v[38:39], v[28:29], v[4:5]
	v_mul_f64 v[4:5], v[26:27], v[4:5]
	s_waitcnt vmcnt(5) lgkmcnt(0)
	v_mul_f64 v[40:41], v[34:35], v[8:9]
	v_mul_f64 v[8:9], v[36:37], v[8:9]
	s_delay_alu instid0(VALU_DEP_4) | instskip(NEXT) | instid1(VALU_DEP_4)
	v_fma_f64 v[38:39], v[26:27], v[2:3], -v[38:39]
	v_fma_f64 v[139:140], v[28:29], v[2:3], v[4:5]
	ds_load_b128 v[2:5], v1 offset:960
	ds_load_b128 v[26:29], v1 offset:976
	v_fma_f64 v[36:37], v[36:37], v[6:7], v[40:41]
	v_fma_f64 v[6:7], v[34:35], v[6:7], -v[8:9]
	s_waitcnt vmcnt(4) lgkmcnt(1)
	v_mul_f64 v[141:142], v[2:3], v[12:13]
	v_mul_f64 v[12:13], v[4:5], v[12:13]
	v_add_f64 v[8:9], v[38:39], 0
	v_add_f64 v[34:35], v[139:140], 0
	s_waitcnt vmcnt(3) lgkmcnt(0)
	v_mul_f64 v[38:39], v[26:27], v[16:17]
	v_mul_f64 v[16:17], v[28:29], v[16:17]
	v_fma_f64 v[40:41], v[4:5], v[10:11], v[141:142]
	v_fma_f64 v[10:11], v[2:3], v[10:11], -v[12:13]
	v_add_f64 v[12:13], v[8:9], v[6:7]
	v_add_f64 v[34:35], v[34:35], v[36:37]
	ds_load_b128 v[2:5], v1 offset:992
	ds_load_b128 v[6:9], v1 offset:1008
	v_fma_f64 v[28:29], v[28:29], v[14:15], v[38:39]
	v_fma_f64 v[14:15], v[26:27], v[14:15], -v[16:17]
	s_waitcnt vmcnt(2) lgkmcnt(1)
	v_mul_f64 v[36:37], v[2:3], v[20:21]
	v_mul_f64 v[20:21], v[4:5], v[20:21]
	s_waitcnt vmcnt(1) lgkmcnt(0)
	v_mul_f64 v[16:17], v[6:7], v[24:25]
	v_mul_f64 v[24:25], v[8:9], v[24:25]
	v_add_f64 v[10:11], v[12:13], v[10:11]
	v_add_f64 v[12:13], v[34:35], v[40:41]
	v_fma_f64 v[4:5], v[4:5], v[18:19], v[36:37]
	v_fma_f64 v[1:2], v[2:3], v[18:19], -v[20:21]
	v_fma_f64 v[8:9], v[8:9], v[22:23], v[16:17]
	v_fma_f64 v[6:7], v[6:7], v[22:23], -v[24:25]
	v_add_f64 v[10:11], v[10:11], v[14:15]
	v_add_f64 v[12:13], v[12:13], v[28:29]
	s_delay_alu instid0(VALU_DEP_2) | instskip(NEXT) | instid1(VALU_DEP_2)
	v_add_f64 v[1:2], v[10:11], v[1:2]
	v_add_f64 v[3:4], v[12:13], v[4:5]
	s_delay_alu instid0(VALU_DEP_2) | instskip(NEXT) | instid1(VALU_DEP_2)
	v_add_f64 v[1:2], v[1:2], v[6:7]
	v_add_f64 v[3:4], v[3:4], v[8:9]
	s_waitcnt vmcnt(0)
	s_delay_alu instid0(VALU_DEP_2) | instskip(NEXT) | instid1(VALU_DEP_2)
	v_add_f64 v[1:2], v[30:31], -v[1:2]
	v_add_f64 v[3:4], v[32:33], -v[3:4]
	scratch_store_b128 off, v[1:4], off offset:400
	v_cmpx_lt_u32_e32 24, v106
	s_cbranch_execz .LBB31_157
; %bb.156:
	scratch_load_b128 v[1:4], v118, off
	v_mov_b32_e32 v5, 0
	s_delay_alu instid0(VALU_DEP_1)
	v_mov_b32_e32 v6, v5
	v_mov_b32_e32 v7, v5
	;; [unrolled: 1-line block ×3, first 2 shown]
	scratch_store_b128 off, v[5:8], off offset:384
	s_waitcnt vmcnt(0)
	ds_store_b128 v138, v[1:4]
.LBB31_157:
	s_or_b32 exec_lo, exec_lo, s2
	s_waitcnt lgkmcnt(0)
	s_waitcnt_vscnt null, 0x0
	s_barrier
	buffer_gl0_inv
	s_clause 0x6
	scratch_load_b128 v[2:5], off, off offset:400
	scratch_load_b128 v[6:9], off, off offset:416
	;; [unrolled: 1-line block ×7, first 2 shown]
	v_mov_b32_e32 v1, 0
	scratch_load_b128 v[34:37], off, off offset:384
	s_mov_b32 s2, exec_lo
	ds_load_b128 v[30:33], v1 offset:912
	ds_load_b128 v[38:41], v1 offset:928
	s_waitcnt vmcnt(7) lgkmcnt(1)
	v_mul_f64 v[139:140], v[32:33], v[4:5]
	v_mul_f64 v[4:5], v[30:31], v[4:5]
	s_waitcnt vmcnt(6) lgkmcnt(0)
	v_mul_f64 v[141:142], v[38:39], v[8:9]
	v_mul_f64 v[8:9], v[40:41], v[8:9]
	s_delay_alu instid0(VALU_DEP_4) | instskip(NEXT) | instid1(VALU_DEP_4)
	v_fma_f64 v[139:140], v[30:31], v[2:3], -v[139:140]
	v_fma_f64 v[143:144], v[32:33], v[2:3], v[4:5]
	ds_load_b128 v[2:5], v1 offset:944
	ds_load_b128 v[30:33], v1 offset:960
	v_fma_f64 v[40:41], v[40:41], v[6:7], v[141:142]
	v_fma_f64 v[6:7], v[38:39], v[6:7], -v[8:9]
	s_waitcnt vmcnt(5) lgkmcnt(1)
	v_mul_f64 v[145:146], v[2:3], v[12:13]
	v_mul_f64 v[12:13], v[4:5], v[12:13]
	v_add_f64 v[8:9], v[139:140], 0
	v_add_f64 v[38:39], v[143:144], 0
	s_waitcnt vmcnt(4) lgkmcnt(0)
	v_mul_f64 v[139:140], v[30:31], v[16:17]
	v_mul_f64 v[16:17], v[32:33], v[16:17]
	v_fma_f64 v[141:142], v[4:5], v[10:11], v[145:146]
	v_fma_f64 v[10:11], v[2:3], v[10:11], -v[12:13]
	v_add_f64 v[12:13], v[8:9], v[6:7]
	v_add_f64 v[38:39], v[38:39], v[40:41]
	ds_load_b128 v[2:5], v1 offset:976
	ds_load_b128 v[6:9], v1 offset:992
	v_fma_f64 v[32:33], v[32:33], v[14:15], v[139:140]
	v_fma_f64 v[14:15], v[30:31], v[14:15], -v[16:17]
	s_waitcnt vmcnt(3) lgkmcnt(1)
	v_mul_f64 v[40:41], v[2:3], v[20:21]
	v_mul_f64 v[20:21], v[4:5], v[20:21]
	s_waitcnt vmcnt(2) lgkmcnt(0)
	v_mul_f64 v[16:17], v[6:7], v[24:25]
	v_mul_f64 v[24:25], v[8:9], v[24:25]
	v_add_f64 v[10:11], v[12:13], v[10:11]
	v_add_f64 v[12:13], v[38:39], v[141:142]
	v_fma_f64 v[30:31], v[4:5], v[18:19], v[40:41]
	v_fma_f64 v[18:19], v[2:3], v[18:19], -v[20:21]
	ds_load_b128 v[2:5], v1 offset:1008
	v_fma_f64 v[8:9], v[8:9], v[22:23], v[16:17]
	v_fma_f64 v[6:7], v[6:7], v[22:23], -v[24:25]
	v_add_f64 v[10:11], v[10:11], v[14:15]
	v_add_f64 v[12:13], v[12:13], v[32:33]
	s_waitcnt vmcnt(1) lgkmcnt(0)
	v_mul_f64 v[14:15], v[2:3], v[28:29]
	v_mul_f64 v[20:21], v[4:5], v[28:29]
	s_delay_alu instid0(VALU_DEP_4) | instskip(NEXT) | instid1(VALU_DEP_4)
	v_add_f64 v[10:11], v[10:11], v[18:19]
	v_add_f64 v[12:13], v[12:13], v[30:31]
	s_delay_alu instid0(VALU_DEP_4) | instskip(NEXT) | instid1(VALU_DEP_4)
	v_fma_f64 v[4:5], v[4:5], v[26:27], v[14:15]
	v_fma_f64 v[2:3], v[2:3], v[26:27], -v[20:21]
	s_delay_alu instid0(VALU_DEP_4) | instskip(NEXT) | instid1(VALU_DEP_4)
	v_add_f64 v[6:7], v[10:11], v[6:7]
	v_add_f64 v[8:9], v[12:13], v[8:9]
	s_delay_alu instid0(VALU_DEP_2) | instskip(NEXT) | instid1(VALU_DEP_2)
	v_add_f64 v[2:3], v[6:7], v[2:3]
	v_add_f64 v[4:5], v[8:9], v[4:5]
	s_waitcnt vmcnt(0)
	s_delay_alu instid0(VALU_DEP_2) | instskip(NEXT) | instid1(VALU_DEP_2)
	v_add_f64 v[2:3], v[34:35], -v[2:3]
	v_add_f64 v[4:5], v[36:37], -v[4:5]
	scratch_store_b128 off, v[2:5], off offset:384
	v_cmpx_lt_u32_e32 23, v106
	s_cbranch_execz .LBB31_159
; %bb.158:
	scratch_load_b128 v[5:8], v120, off
	v_mov_b32_e32 v2, v1
	v_mov_b32_e32 v3, v1
	;; [unrolled: 1-line block ×3, first 2 shown]
	scratch_store_b128 off, v[1:4], off offset:368
	s_waitcnt vmcnt(0)
	ds_store_b128 v138, v[5:8]
.LBB31_159:
	s_or_b32 exec_lo, exec_lo, s2
	s_waitcnt lgkmcnt(0)
	s_waitcnt_vscnt null, 0x0
	s_barrier
	buffer_gl0_inv
	s_clause 0x7
	scratch_load_b128 v[2:5], off, off offset:384
	scratch_load_b128 v[6:9], off, off offset:400
	;; [unrolled: 1-line block ×8, first 2 shown]
	ds_load_b128 v[34:37], v1 offset:896
	ds_load_b128 v[38:41], v1 offset:912
	scratch_load_b128 v[139:142], off, off offset:368
	s_mov_b32 s2, exec_lo
	s_waitcnt vmcnt(8) lgkmcnt(1)
	v_mul_f64 v[143:144], v[36:37], v[4:5]
	v_mul_f64 v[4:5], v[34:35], v[4:5]
	s_waitcnt vmcnt(7) lgkmcnt(0)
	v_mul_f64 v[145:146], v[38:39], v[8:9]
	v_mul_f64 v[8:9], v[40:41], v[8:9]
	s_delay_alu instid0(VALU_DEP_4) | instskip(NEXT) | instid1(VALU_DEP_4)
	v_fma_f64 v[143:144], v[34:35], v[2:3], -v[143:144]
	v_fma_f64 v[147:148], v[36:37], v[2:3], v[4:5]
	ds_load_b128 v[2:5], v1 offset:928
	ds_load_b128 v[34:37], v1 offset:944
	v_fma_f64 v[40:41], v[40:41], v[6:7], v[145:146]
	v_fma_f64 v[6:7], v[38:39], v[6:7], -v[8:9]
	s_waitcnt vmcnt(6) lgkmcnt(1)
	v_mul_f64 v[149:150], v[2:3], v[12:13]
	v_mul_f64 v[12:13], v[4:5], v[12:13]
	v_add_f64 v[8:9], v[143:144], 0
	v_add_f64 v[38:39], v[147:148], 0
	s_waitcnt vmcnt(5) lgkmcnt(0)
	v_mul_f64 v[143:144], v[34:35], v[16:17]
	v_mul_f64 v[16:17], v[36:37], v[16:17]
	v_fma_f64 v[145:146], v[4:5], v[10:11], v[149:150]
	v_fma_f64 v[10:11], v[2:3], v[10:11], -v[12:13]
	v_add_f64 v[12:13], v[8:9], v[6:7]
	v_add_f64 v[38:39], v[38:39], v[40:41]
	ds_load_b128 v[2:5], v1 offset:960
	ds_load_b128 v[6:9], v1 offset:976
	v_fma_f64 v[36:37], v[36:37], v[14:15], v[143:144]
	v_fma_f64 v[14:15], v[34:35], v[14:15], -v[16:17]
	s_waitcnt vmcnt(4) lgkmcnt(1)
	v_mul_f64 v[40:41], v[2:3], v[20:21]
	v_mul_f64 v[20:21], v[4:5], v[20:21]
	s_waitcnt vmcnt(3) lgkmcnt(0)
	v_mul_f64 v[16:17], v[6:7], v[24:25]
	v_mul_f64 v[24:25], v[8:9], v[24:25]
	v_add_f64 v[10:11], v[12:13], v[10:11]
	v_add_f64 v[12:13], v[38:39], v[145:146]
	v_fma_f64 v[34:35], v[4:5], v[18:19], v[40:41]
	v_fma_f64 v[18:19], v[2:3], v[18:19], -v[20:21]
	v_fma_f64 v[8:9], v[8:9], v[22:23], v[16:17]
	v_fma_f64 v[6:7], v[6:7], v[22:23], -v[24:25]
	v_add_f64 v[14:15], v[10:11], v[14:15]
	v_add_f64 v[20:21], v[12:13], v[36:37]
	ds_load_b128 v[2:5], v1 offset:992
	ds_load_b128 v[10:13], v1 offset:1008
	s_waitcnt vmcnt(2) lgkmcnt(1)
	v_mul_f64 v[36:37], v[2:3], v[28:29]
	v_mul_f64 v[28:29], v[4:5], v[28:29]
	v_add_f64 v[14:15], v[14:15], v[18:19]
	v_add_f64 v[16:17], v[20:21], v[34:35]
	s_waitcnt vmcnt(1) lgkmcnt(0)
	v_mul_f64 v[18:19], v[10:11], v[32:33]
	v_mul_f64 v[20:21], v[12:13], v[32:33]
	v_fma_f64 v[4:5], v[4:5], v[26:27], v[36:37]
	v_fma_f64 v[1:2], v[2:3], v[26:27], -v[28:29]
	v_add_f64 v[6:7], v[14:15], v[6:7]
	v_add_f64 v[8:9], v[16:17], v[8:9]
	v_fma_f64 v[12:13], v[12:13], v[30:31], v[18:19]
	v_fma_f64 v[10:11], v[10:11], v[30:31], -v[20:21]
	s_delay_alu instid0(VALU_DEP_4) | instskip(NEXT) | instid1(VALU_DEP_4)
	v_add_f64 v[1:2], v[6:7], v[1:2]
	v_add_f64 v[3:4], v[8:9], v[4:5]
	s_delay_alu instid0(VALU_DEP_2) | instskip(NEXT) | instid1(VALU_DEP_2)
	v_add_f64 v[1:2], v[1:2], v[10:11]
	v_add_f64 v[3:4], v[3:4], v[12:13]
	s_waitcnt vmcnt(0)
	s_delay_alu instid0(VALU_DEP_2) | instskip(NEXT) | instid1(VALU_DEP_2)
	v_add_f64 v[1:2], v[139:140], -v[1:2]
	v_add_f64 v[3:4], v[141:142], -v[3:4]
	scratch_store_b128 off, v[1:4], off offset:368
	v_cmpx_lt_u32_e32 22, v106
	s_cbranch_execz .LBB31_161
; %bb.160:
	scratch_load_b128 v[1:4], v119, off
	v_mov_b32_e32 v5, 0
	s_delay_alu instid0(VALU_DEP_1)
	v_mov_b32_e32 v6, v5
	v_mov_b32_e32 v7, v5
	;; [unrolled: 1-line block ×3, first 2 shown]
	scratch_store_b128 off, v[5:8], off offset:352
	s_waitcnt vmcnt(0)
	ds_store_b128 v138, v[1:4]
.LBB31_161:
	s_or_b32 exec_lo, exec_lo, s2
	s_waitcnt lgkmcnt(0)
	s_waitcnt_vscnt null, 0x0
	s_barrier
	buffer_gl0_inv
	s_clause 0x7
	scratch_load_b128 v[2:5], off, off offset:368
	scratch_load_b128 v[6:9], off, off offset:384
	;; [unrolled: 1-line block ×8, first 2 shown]
	v_mov_b32_e32 v1, 0
	s_mov_b32 s2, exec_lo
	ds_load_b128 v[34:37], v1 offset:880
	s_clause 0x1
	scratch_load_b128 v[38:41], off, off offset:496
	scratch_load_b128 v[139:142], off, off offset:352
	ds_load_b128 v[143:146], v1 offset:896
	s_waitcnt vmcnt(9) lgkmcnt(1)
	v_mul_f64 v[147:148], v[36:37], v[4:5]
	v_mul_f64 v[4:5], v[34:35], v[4:5]
	s_waitcnt vmcnt(8) lgkmcnt(0)
	v_mul_f64 v[149:150], v[143:144], v[8:9]
	v_mul_f64 v[8:9], v[145:146], v[8:9]
	s_delay_alu instid0(VALU_DEP_4) | instskip(NEXT) | instid1(VALU_DEP_4)
	v_fma_f64 v[147:148], v[34:35], v[2:3], -v[147:148]
	v_fma_f64 v[151:152], v[36:37], v[2:3], v[4:5]
	ds_load_b128 v[2:5], v1 offset:912
	ds_load_b128 v[34:37], v1 offset:928
	v_fma_f64 v[145:146], v[145:146], v[6:7], v[149:150]
	v_fma_f64 v[6:7], v[143:144], v[6:7], -v[8:9]
	s_waitcnt vmcnt(7) lgkmcnt(1)
	v_mul_f64 v[153:154], v[2:3], v[12:13]
	v_mul_f64 v[12:13], v[4:5], v[12:13]
	v_add_f64 v[8:9], v[147:148], 0
	v_add_f64 v[143:144], v[151:152], 0
	s_waitcnt vmcnt(6) lgkmcnt(0)
	v_mul_f64 v[147:148], v[34:35], v[16:17]
	v_mul_f64 v[16:17], v[36:37], v[16:17]
	v_fma_f64 v[149:150], v[4:5], v[10:11], v[153:154]
	v_fma_f64 v[10:11], v[2:3], v[10:11], -v[12:13]
	v_add_f64 v[12:13], v[8:9], v[6:7]
	v_add_f64 v[143:144], v[143:144], v[145:146]
	ds_load_b128 v[2:5], v1 offset:944
	ds_load_b128 v[6:9], v1 offset:960
	v_fma_f64 v[36:37], v[36:37], v[14:15], v[147:148]
	v_fma_f64 v[14:15], v[34:35], v[14:15], -v[16:17]
	s_waitcnt vmcnt(5) lgkmcnt(1)
	v_mul_f64 v[145:146], v[2:3], v[20:21]
	v_mul_f64 v[20:21], v[4:5], v[20:21]
	s_waitcnt vmcnt(4) lgkmcnt(0)
	v_mul_f64 v[16:17], v[6:7], v[24:25]
	v_mul_f64 v[24:25], v[8:9], v[24:25]
	v_add_f64 v[10:11], v[12:13], v[10:11]
	v_add_f64 v[12:13], v[143:144], v[149:150]
	v_fma_f64 v[34:35], v[4:5], v[18:19], v[145:146]
	v_fma_f64 v[18:19], v[2:3], v[18:19], -v[20:21]
	v_fma_f64 v[8:9], v[8:9], v[22:23], v[16:17]
	v_fma_f64 v[6:7], v[6:7], v[22:23], -v[24:25]
	v_add_f64 v[14:15], v[10:11], v[14:15]
	v_add_f64 v[20:21], v[12:13], v[36:37]
	ds_load_b128 v[2:5], v1 offset:976
	ds_load_b128 v[10:13], v1 offset:992
	s_waitcnt vmcnt(3) lgkmcnt(1)
	v_mul_f64 v[36:37], v[2:3], v[28:29]
	v_mul_f64 v[28:29], v[4:5], v[28:29]
	v_add_f64 v[14:15], v[14:15], v[18:19]
	v_add_f64 v[16:17], v[20:21], v[34:35]
	s_waitcnt vmcnt(2) lgkmcnt(0)
	v_mul_f64 v[18:19], v[10:11], v[32:33]
	v_mul_f64 v[20:21], v[12:13], v[32:33]
	v_fma_f64 v[22:23], v[4:5], v[26:27], v[36:37]
	v_fma_f64 v[24:25], v[2:3], v[26:27], -v[28:29]
	ds_load_b128 v[2:5], v1 offset:1008
	v_add_f64 v[6:7], v[14:15], v[6:7]
	v_add_f64 v[8:9], v[16:17], v[8:9]
	v_fma_f64 v[12:13], v[12:13], v[30:31], v[18:19]
	v_fma_f64 v[10:11], v[10:11], v[30:31], -v[20:21]
	s_waitcnt vmcnt(1) lgkmcnt(0)
	v_mul_f64 v[14:15], v[2:3], v[40:41]
	v_mul_f64 v[16:17], v[4:5], v[40:41]
	v_add_f64 v[6:7], v[6:7], v[24:25]
	v_add_f64 v[8:9], v[8:9], v[22:23]
	s_delay_alu instid0(VALU_DEP_4) | instskip(NEXT) | instid1(VALU_DEP_4)
	v_fma_f64 v[4:5], v[4:5], v[38:39], v[14:15]
	v_fma_f64 v[2:3], v[2:3], v[38:39], -v[16:17]
	s_delay_alu instid0(VALU_DEP_4) | instskip(NEXT) | instid1(VALU_DEP_4)
	v_add_f64 v[6:7], v[6:7], v[10:11]
	v_add_f64 v[8:9], v[8:9], v[12:13]
	s_delay_alu instid0(VALU_DEP_2) | instskip(NEXT) | instid1(VALU_DEP_2)
	v_add_f64 v[2:3], v[6:7], v[2:3]
	v_add_f64 v[4:5], v[8:9], v[4:5]
	s_waitcnt vmcnt(0)
	s_delay_alu instid0(VALU_DEP_2) | instskip(NEXT) | instid1(VALU_DEP_2)
	v_add_f64 v[2:3], v[139:140], -v[2:3]
	v_add_f64 v[4:5], v[141:142], -v[4:5]
	scratch_store_b128 off, v[2:5], off offset:352
	v_cmpx_lt_u32_e32 21, v106
	s_cbranch_execz .LBB31_163
; %bb.162:
	scratch_load_b128 v[5:8], v121, off
	v_mov_b32_e32 v2, v1
	v_mov_b32_e32 v3, v1
	;; [unrolled: 1-line block ×3, first 2 shown]
	scratch_store_b128 off, v[1:4], off offset:336
	s_waitcnt vmcnt(0)
	ds_store_b128 v138, v[5:8]
.LBB31_163:
	s_or_b32 exec_lo, exec_lo, s2
	s_waitcnt lgkmcnt(0)
	s_waitcnt_vscnt null, 0x0
	s_barrier
	buffer_gl0_inv
	s_clause 0x8
	scratch_load_b128 v[2:5], off, off offset:352
	scratch_load_b128 v[6:9], off, off offset:368
	;; [unrolled: 1-line block ×9, first 2 shown]
	ds_load_b128 v[38:41], v1 offset:864
	ds_load_b128 v[139:142], v1 offset:880
	s_clause 0x1
	scratch_load_b128 v[143:146], off, off offset:336
	scratch_load_b128 v[147:150], off, off offset:496
	s_mov_b32 s2, exec_lo
	s_waitcnt vmcnt(10) lgkmcnt(1)
	v_mul_f64 v[151:152], v[40:41], v[4:5]
	v_mul_f64 v[4:5], v[38:39], v[4:5]
	s_waitcnt vmcnt(9) lgkmcnt(0)
	v_mul_f64 v[153:154], v[139:140], v[8:9]
	v_mul_f64 v[8:9], v[141:142], v[8:9]
	s_delay_alu instid0(VALU_DEP_4) | instskip(NEXT) | instid1(VALU_DEP_4)
	v_fma_f64 v[151:152], v[38:39], v[2:3], -v[151:152]
	v_fma_f64 v[155:156], v[40:41], v[2:3], v[4:5]
	ds_load_b128 v[2:5], v1 offset:896
	ds_load_b128 v[38:41], v1 offset:912
	v_fma_f64 v[141:142], v[141:142], v[6:7], v[153:154]
	v_fma_f64 v[6:7], v[139:140], v[6:7], -v[8:9]
	s_waitcnt vmcnt(8) lgkmcnt(1)
	v_mul_f64 v[157:158], v[2:3], v[12:13]
	v_mul_f64 v[12:13], v[4:5], v[12:13]
	v_add_f64 v[8:9], v[151:152], 0
	v_add_f64 v[139:140], v[155:156], 0
	s_waitcnt vmcnt(7) lgkmcnt(0)
	v_mul_f64 v[151:152], v[38:39], v[16:17]
	v_mul_f64 v[16:17], v[40:41], v[16:17]
	v_fma_f64 v[153:154], v[4:5], v[10:11], v[157:158]
	v_fma_f64 v[10:11], v[2:3], v[10:11], -v[12:13]
	v_add_f64 v[12:13], v[8:9], v[6:7]
	v_add_f64 v[139:140], v[139:140], v[141:142]
	ds_load_b128 v[2:5], v1 offset:928
	ds_load_b128 v[6:9], v1 offset:944
	v_fma_f64 v[40:41], v[40:41], v[14:15], v[151:152]
	v_fma_f64 v[14:15], v[38:39], v[14:15], -v[16:17]
	s_waitcnt vmcnt(6) lgkmcnt(1)
	v_mul_f64 v[141:142], v[2:3], v[20:21]
	v_mul_f64 v[20:21], v[4:5], v[20:21]
	s_waitcnt vmcnt(5) lgkmcnt(0)
	v_mul_f64 v[16:17], v[6:7], v[24:25]
	v_mul_f64 v[24:25], v[8:9], v[24:25]
	v_add_f64 v[10:11], v[12:13], v[10:11]
	v_add_f64 v[12:13], v[139:140], v[153:154]
	v_fma_f64 v[38:39], v[4:5], v[18:19], v[141:142]
	v_fma_f64 v[18:19], v[2:3], v[18:19], -v[20:21]
	v_fma_f64 v[8:9], v[8:9], v[22:23], v[16:17]
	v_fma_f64 v[6:7], v[6:7], v[22:23], -v[24:25]
	v_add_f64 v[14:15], v[10:11], v[14:15]
	v_add_f64 v[20:21], v[12:13], v[40:41]
	ds_load_b128 v[2:5], v1 offset:960
	ds_load_b128 v[10:13], v1 offset:976
	s_waitcnt vmcnt(4) lgkmcnt(1)
	v_mul_f64 v[40:41], v[2:3], v[28:29]
	v_mul_f64 v[28:29], v[4:5], v[28:29]
	v_add_f64 v[14:15], v[14:15], v[18:19]
	v_add_f64 v[16:17], v[20:21], v[38:39]
	s_waitcnt vmcnt(3) lgkmcnt(0)
	v_mul_f64 v[18:19], v[10:11], v[32:33]
	v_mul_f64 v[20:21], v[12:13], v[32:33]
	v_fma_f64 v[22:23], v[4:5], v[26:27], v[40:41]
	v_fma_f64 v[24:25], v[2:3], v[26:27], -v[28:29]
	v_add_f64 v[14:15], v[14:15], v[6:7]
	v_add_f64 v[16:17], v[16:17], v[8:9]
	ds_load_b128 v[2:5], v1 offset:992
	ds_load_b128 v[6:9], v1 offset:1008
	v_fma_f64 v[12:13], v[12:13], v[30:31], v[18:19]
	v_fma_f64 v[10:11], v[10:11], v[30:31], -v[20:21]
	s_waitcnt vmcnt(2) lgkmcnt(1)
	v_mul_f64 v[26:27], v[2:3], v[36:37]
	v_mul_f64 v[28:29], v[4:5], v[36:37]
	s_waitcnt vmcnt(0) lgkmcnt(0)
	v_mul_f64 v[18:19], v[6:7], v[149:150]
	v_mul_f64 v[20:21], v[8:9], v[149:150]
	v_add_f64 v[14:15], v[14:15], v[24:25]
	v_add_f64 v[16:17], v[16:17], v[22:23]
	v_fma_f64 v[4:5], v[4:5], v[34:35], v[26:27]
	v_fma_f64 v[1:2], v[2:3], v[34:35], -v[28:29]
	v_fma_f64 v[8:9], v[8:9], v[147:148], v[18:19]
	v_fma_f64 v[6:7], v[6:7], v[147:148], -v[20:21]
	v_add_f64 v[10:11], v[14:15], v[10:11]
	v_add_f64 v[12:13], v[16:17], v[12:13]
	s_delay_alu instid0(VALU_DEP_2) | instskip(NEXT) | instid1(VALU_DEP_2)
	v_add_f64 v[1:2], v[10:11], v[1:2]
	v_add_f64 v[3:4], v[12:13], v[4:5]
	s_delay_alu instid0(VALU_DEP_2) | instskip(NEXT) | instid1(VALU_DEP_2)
	;; [unrolled: 3-line block ×3, first 2 shown]
	v_add_f64 v[1:2], v[143:144], -v[1:2]
	v_add_f64 v[3:4], v[145:146], -v[3:4]
	scratch_store_b128 off, v[1:4], off offset:336
	v_cmpx_lt_u32_e32 20, v106
	s_cbranch_execz .LBB31_165
; %bb.164:
	scratch_load_b128 v[1:4], v122, off
	v_mov_b32_e32 v5, 0
	s_delay_alu instid0(VALU_DEP_1)
	v_mov_b32_e32 v6, v5
	v_mov_b32_e32 v7, v5
	;; [unrolled: 1-line block ×3, first 2 shown]
	scratch_store_b128 off, v[5:8], off offset:320
	s_waitcnt vmcnt(0)
	ds_store_b128 v138, v[1:4]
.LBB31_165:
	s_or_b32 exec_lo, exec_lo, s2
	s_waitcnt lgkmcnt(0)
	s_waitcnt_vscnt null, 0x0
	s_barrier
	buffer_gl0_inv
	s_clause 0x7
	scratch_load_b128 v[2:5], off, off offset:336
	scratch_load_b128 v[6:9], off, off offset:352
	;; [unrolled: 1-line block ×8, first 2 shown]
	v_mov_b32_e32 v1, 0
	s_mov_b32 s2, exec_lo
	ds_load_b128 v[34:37], v1 offset:848
	s_clause 0x1
	scratch_load_b128 v[38:41], off, off offset:464
	scratch_load_b128 v[139:142], off, off offset:320
	ds_load_b128 v[143:146], v1 offset:864
	scratch_load_b128 v[147:150], off, off offset:480
	s_waitcnt vmcnt(10) lgkmcnt(1)
	v_mul_f64 v[151:152], v[36:37], v[4:5]
	v_mul_f64 v[4:5], v[34:35], v[4:5]
	s_delay_alu instid0(VALU_DEP_2) | instskip(NEXT) | instid1(VALU_DEP_2)
	v_fma_f64 v[157:158], v[34:35], v[2:3], -v[151:152]
	v_fma_f64 v[159:160], v[36:37], v[2:3], v[4:5]
	scratch_load_b128 v[34:37], off, off offset:496
	ds_load_b128 v[2:5], v1 offset:880
	s_waitcnt vmcnt(10) lgkmcnt(1)
	v_mul_f64 v[155:156], v[143:144], v[8:9]
	v_mul_f64 v[8:9], v[145:146], v[8:9]
	ds_load_b128 v[151:154], v1 offset:896
	s_waitcnt vmcnt(9) lgkmcnt(1)
	v_mul_f64 v[161:162], v[2:3], v[12:13]
	v_mul_f64 v[12:13], v[4:5], v[12:13]
	v_fma_f64 v[145:146], v[145:146], v[6:7], v[155:156]
	v_fma_f64 v[6:7], v[143:144], v[6:7], -v[8:9]
	v_add_f64 v[8:9], v[157:158], 0
	v_add_f64 v[143:144], v[159:160], 0
	s_waitcnt vmcnt(8) lgkmcnt(0)
	v_mul_f64 v[155:156], v[151:152], v[16:17]
	v_mul_f64 v[16:17], v[153:154], v[16:17]
	v_fma_f64 v[157:158], v[4:5], v[10:11], v[161:162]
	v_fma_f64 v[10:11], v[2:3], v[10:11], -v[12:13]
	v_add_f64 v[12:13], v[8:9], v[6:7]
	v_add_f64 v[143:144], v[143:144], v[145:146]
	ds_load_b128 v[2:5], v1 offset:912
	ds_load_b128 v[6:9], v1 offset:928
	v_fma_f64 v[153:154], v[153:154], v[14:15], v[155:156]
	v_fma_f64 v[14:15], v[151:152], v[14:15], -v[16:17]
	s_waitcnt vmcnt(7) lgkmcnt(1)
	v_mul_f64 v[145:146], v[2:3], v[20:21]
	v_mul_f64 v[20:21], v[4:5], v[20:21]
	s_waitcnt vmcnt(6) lgkmcnt(0)
	v_mul_f64 v[16:17], v[6:7], v[24:25]
	v_mul_f64 v[24:25], v[8:9], v[24:25]
	v_add_f64 v[10:11], v[12:13], v[10:11]
	v_add_f64 v[12:13], v[143:144], v[157:158]
	v_fma_f64 v[143:144], v[4:5], v[18:19], v[145:146]
	v_fma_f64 v[18:19], v[2:3], v[18:19], -v[20:21]
	v_fma_f64 v[8:9], v[8:9], v[22:23], v[16:17]
	v_fma_f64 v[6:7], v[6:7], v[22:23], -v[24:25]
	v_add_f64 v[14:15], v[10:11], v[14:15]
	v_add_f64 v[20:21], v[12:13], v[153:154]
	ds_load_b128 v[2:5], v1 offset:944
	ds_load_b128 v[10:13], v1 offset:960
	s_waitcnt vmcnt(5) lgkmcnt(1)
	v_mul_f64 v[145:146], v[2:3], v[28:29]
	v_mul_f64 v[28:29], v[4:5], v[28:29]
	v_add_f64 v[14:15], v[14:15], v[18:19]
	v_add_f64 v[16:17], v[20:21], v[143:144]
	s_waitcnt vmcnt(4) lgkmcnt(0)
	v_mul_f64 v[18:19], v[10:11], v[32:33]
	v_mul_f64 v[20:21], v[12:13], v[32:33]
	v_fma_f64 v[22:23], v[4:5], v[26:27], v[145:146]
	v_fma_f64 v[24:25], v[2:3], v[26:27], -v[28:29]
	v_add_f64 v[14:15], v[14:15], v[6:7]
	v_add_f64 v[16:17], v[16:17], v[8:9]
	ds_load_b128 v[2:5], v1 offset:976
	ds_load_b128 v[6:9], v1 offset:992
	v_fma_f64 v[12:13], v[12:13], v[30:31], v[18:19]
	v_fma_f64 v[10:11], v[10:11], v[30:31], -v[20:21]
	s_waitcnt vmcnt(3) lgkmcnt(1)
	v_mul_f64 v[26:27], v[2:3], v[40:41]
	v_mul_f64 v[28:29], v[4:5], v[40:41]
	s_waitcnt vmcnt(1) lgkmcnt(0)
	v_mul_f64 v[18:19], v[6:7], v[149:150]
	v_mul_f64 v[20:21], v[8:9], v[149:150]
	v_add_f64 v[14:15], v[14:15], v[24:25]
	v_add_f64 v[16:17], v[16:17], v[22:23]
	v_fma_f64 v[22:23], v[4:5], v[38:39], v[26:27]
	v_fma_f64 v[24:25], v[2:3], v[38:39], -v[28:29]
	ds_load_b128 v[2:5], v1 offset:1008
	v_fma_f64 v[8:9], v[8:9], v[147:148], v[18:19]
	v_fma_f64 v[6:7], v[6:7], v[147:148], -v[20:21]
	v_add_f64 v[10:11], v[14:15], v[10:11]
	v_add_f64 v[12:13], v[16:17], v[12:13]
	s_waitcnt vmcnt(0) lgkmcnt(0)
	v_mul_f64 v[14:15], v[2:3], v[36:37]
	v_mul_f64 v[16:17], v[4:5], v[36:37]
	s_delay_alu instid0(VALU_DEP_4) | instskip(NEXT) | instid1(VALU_DEP_4)
	v_add_f64 v[10:11], v[10:11], v[24:25]
	v_add_f64 v[12:13], v[12:13], v[22:23]
	s_delay_alu instid0(VALU_DEP_4) | instskip(NEXT) | instid1(VALU_DEP_4)
	v_fma_f64 v[4:5], v[4:5], v[34:35], v[14:15]
	v_fma_f64 v[2:3], v[2:3], v[34:35], -v[16:17]
	s_delay_alu instid0(VALU_DEP_4) | instskip(NEXT) | instid1(VALU_DEP_4)
	v_add_f64 v[6:7], v[10:11], v[6:7]
	v_add_f64 v[8:9], v[12:13], v[8:9]
	s_delay_alu instid0(VALU_DEP_2) | instskip(NEXT) | instid1(VALU_DEP_2)
	v_add_f64 v[2:3], v[6:7], v[2:3]
	v_add_f64 v[4:5], v[8:9], v[4:5]
	s_delay_alu instid0(VALU_DEP_2) | instskip(NEXT) | instid1(VALU_DEP_2)
	v_add_f64 v[2:3], v[139:140], -v[2:3]
	v_add_f64 v[4:5], v[141:142], -v[4:5]
	scratch_store_b128 off, v[2:5], off offset:320
	v_cmpx_lt_u32_e32 19, v106
	s_cbranch_execz .LBB31_167
; %bb.166:
	scratch_load_b128 v[5:8], v134, off
	v_mov_b32_e32 v2, v1
	v_mov_b32_e32 v3, v1
	;; [unrolled: 1-line block ×3, first 2 shown]
	scratch_store_b128 off, v[1:4], off offset:304
	s_waitcnt vmcnt(0)
	ds_store_b128 v138, v[5:8]
.LBB31_167:
	s_or_b32 exec_lo, exec_lo, s2
	s_waitcnt lgkmcnt(0)
	s_waitcnt_vscnt null, 0x0
	s_barrier
	buffer_gl0_inv
	s_clause 0x8
	scratch_load_b128 v[2:5], off, off offset:320
	scratch_load_b128 v[6:9], off, off offset:336
	;; [unrolled: 1-line block ×9, first 2 shown]
	ds_load_b128 v[38:41], v1 offset:832
	ds_load_b128 v[139:142], v1 offset:848
	s_clause 0x1
	scratch_load_b128 v[143:146], off, off offset:304
	scratch_load_b128 v[147:150], off, off offset:464
	s_mov_b32 s2, exec_lo
	s_waitcnt vmcnt(10) lgkmcnt(1)
	v_mul_f64 v[151:152], v[40:41], v[4:5]
	v_mul_f64 v[4:5], v[38:39], v[4:5]
	s_waitcnt vmcnt(9) lgkmcnt(0)
	v_mul_f64 v[155:156], v[139:140], v[8:9]
	v_mul_f64 v[8:9], v[141:142], v[8:9]
	s_delay_alu instid0(VALU_DEP_4) | instskip(NEXT) | instid1(VALU_DEP_4)
	v_fma_f64 v[157:158], v[38:39], v[2:3], -v[151:152]
	v_fma_f64 v[159:160], v[40:41], v[2:3], v[4:5]
	ds_load_b128 v[2:5], v1 offset:864
	ds_load_b128 v[151:154], v1 offset:880
	scratch_load_b128 v[38:41], off, off offset:480
	v_fma_f64 v[141:142], v[141:142], v[6:7], v[155:156]
	v_fma_f64 v[139:140], v[139:140], v[6:7], -v[8:9]
	scratch_load_b128 v[6:9], off, off offset:496
	s_waitcnt vmcnt(10) lgkmcnt(1)
	v_mul_f64 v[161:162], v[2:3], v[12:13]
	v_mul_f64 v[12:13], v[4:5], v[12:13]
	v_add_f64 v[155:156], v[157:158], 0
	v_add_f64 v[157:158], v[159:160], 0
	s_waitcnt vmcnt(9) lgkmcnt(0)
	v_mul_f64 v[159:160], v[151:152], v[16:17]
	v_mul_f64 v[16:17], v[153:154], v[16:17]
	v_fma_f64 v[161:162], v[4:5], v[10:11], v[161:162]
	v_fma_f64 v[163:164], v[2:3], v[10:11], -v[12:13]
	ds_load_b128 v[2:5], v1 offset:896
	ds_load_b128 v[10:13], v1 offset:912
	v_add_f64 v[139:140], v[155:156], v[139:140]
	v_add_f64 v[141:142], v[157:158], v[141:142]
	v_fma_f64 v[153:154], v[153:154], v[14:15], v[159:160]
	v_fma_f64 v[14:15], v[151:152], v[14:15], -v[16:17]
	s_waitcnt vmcnt(8) lgkmcnt(1)
	v_mul_f64 v[155:156], v[2:3], v[20:21]
	v_mul_f64 v[20:21], v[4:5], v[20:21]
	v_add_f64 v[16:17], v[139:140], v[163:164]
	v_add_f64 v[139:140], v[141:142], v[161:162]
	s_waitcnt vmcnt(7) lgkmcnt(0)
	v_mul_f64 v[141:142], v[10:11], v[24:25]
	v_mul_f64 v[24:25], v[12:13], v[24:25]
	v_fma_f64 v[151:152], v[4:5], v[18:19], v[155:156]
	v_fma_f64 v[18:19], v[2:3], v[18:19], -v[20:21]
	v_add_f64 v[20:21], v[16:17], v[14:15]
	v_add_f64 v[139:140], v[139:140], v[153:154]
	ds_load_b128 v[2:5], v1 offset:928
	ds_load_b128 v[14:17], v1 offset:944
	v_fma_f64 v[12:13], v[12:13], v[22:23], v[141:142]
	v_fma_f64 v[10:11], v[10:11], v[22:23], -v[24:25]
	s_waitcnt vmcnt(6) lgkmcnt(1)
	v_mul_f64 v[153:154], v[2:3], v[28:29]
	v_mul_f64 v[28:29], v[4:5], v[28:29]
	s_waitcnt vmcnt(5) lgkmcnt(0)
	v_mul_f64 v[22:23], v[14:15], v[32:33]
	v_mul_f64 v[24:25], v[16:17], v[32:33]
	v_add_f64 v[18:19], v[20:21], v[18:19]
	v_add_f64 v[20:21], v[139:140], v[151:152]
	v_fma_f64 v[32:33], v[4:5], v[26:27], v[153:154]
	v_fma_f64 v[26:27], v[2:3], v[26:27], -v[28:29]
	v_fma_f64 v[16:17], v[16:17], v[30:31], v[22:23]
	v_fma_f64 v[14:15], v[14:15], v[30:31], -v[24:25]
	v_add_f64 v[18:19], v[18:19], v[10:11]
	v_add_f64 v[20:21], v[20:21], v[12:13]
	ds_load_b128 v[2:5], v1 offset:960
	ds_load_b128 v[10:13], v1 offset:976
	s_waitcnt vmcnt(4) lgkmcnt(1)
	v_mul_f64 v[28:29], v[2:3], v[36:37]
	v_mul_f64 v[36:37], v[4:5], v[36:37]
	s_waitcnt vmcnt(2) lgkmcnt(0)
	v_mul_f64 v[22:23], v[10:11], v[149:150]
	v_mul_f64 v[24:25], v[12:13], v[149:150]
	v_add_f64 v[18:19], v[18:19], v[26:27]
	v_add_f64 v[20:21], v[20:21], v[32:33]
	v_fma_f64 v[26:27], v[4:5], v[34:35], v[28:29]
	v_fma_f64 v[28:29], v[2:3], v[34:35], -v[36:37]
	v_fma_f64 v[12:13], v[12:13], v[147:148], v[22:23]
	v_fma_f64 v[10:11], v[10:11], v[147:148], -v[24:25]
	v_add_f64 v[18:19], v[18:19], v[14:15]
	v_add_f64 v[20:21], v[20:21], v[16:17]
	ds_load_b128 v[2:5], v1 offset:992
	ds_load_b128 v[14:17], v1 offset:1008
	s_waitcnt vmcnt(1) lgkmcnt(1)
	v_mul_f64 v[30:31], v[2:3], v[40:41]
	v_mul_f64 v[32:33], v[4:5], v[40:41]
	s_waitcnt vmcnt(0) lgkmcnt(0)
	v_mul_f64 v[22:23], v[14:15], v[8:9]
	v_mul_f64 v[8:9], v[16:17], v[8:9]
	v_add_f64 v[18:19], v[18:19], v[28:29]
	v_add_f64 v[20:21], v[20:21], v[26:27]
	v_fma_f64 v[4:5], v[4:5], v[38:39], v[30:31]
	v_fma_f64 v[1:2], v[2:3], v[38:39], -v[32:33]
	v_fma_f64 v[16:17], v[16:17], v[6:7], v[22:23]
	v_fma_f64 v[6:7], v[14:15], v[6:7], -v[8:9]
	v_add_f64 v[10:11], v[18:19], v[10:11]
	v_add_f64 v[12:13], v[20:21], v[12:13]
	s_delay_alu instid0(VALU_DEP_2) | instskip(NEXT) | instid1(VALU_DEP_2)
	v_add_f64 v[1:2], v[10:11], v[1:2]
	v_add_f64 v[3:4], v[12:13], v[4:5]
	s_delay_alu instid0(VALU_DEP_2) | instskip(NEXT) | instid1(VALU_DEP_2)
	;; [unrolled: 3-line block ×3, first 2 shown]
	v_add_f64 v[1:2], v[143:144], -v[1:2]
	v_add_f64 v[3:4], v[145:146], -v[3:4]
	scratch_store_b128 off, v[1:4], off offset:304
	v_cmpx_lt_u32_e32 18, v106
	s_cbranch_execz .LBB31_169
; %bb.168:
	scratch_load_b128 v[1:4], v135, off
	v_mov_b32_e32 v5, 0
	s_delay_alu instid0(VALU_DEP_1)
	v_mov_b32_e32 v6, v5
	v_mov_b32_e32 v7, v5
	;; [unrolled: 1-line block ×3, first 2 shown]
	scratch_store_b128 off, v[5:8], off offset:288
	s_waitcnt vmcnt(0)
	ds_store_b128 v138, v[1:4]
.LBB31_169:
	s_or_b32 exec_lo, exec_lo, s2
	s_waitcnt lgkmcnt(0)
	s_waitcnt_vscnt null, 0x0
	s_barrier
	buffer_gl0_inv
	s_clause 0x7
	scratch_load_b128 v[2:5], off, off offset:304
	scratch_load_b128 v[6:9], off, off offset:320
	;; [unrolled: 1-line block ×8, first 2 shown]
	v_mov_b32_e32 v1, 0
	s_clause 0x1
	scratch_load_b128 v[38:41], off, off offset:432
	scratch_load_b128 v[143:146], off, off offset:448
	s_mov_b32 s2, exec_lo
	ds_load_b128 v[34:37], v1 offset:816
	ds_load_b128 v[139:142], v1 offset:832
	s_waitcnt vmcnt(9) lgkmcnt(1)
	v_mul_f64 v[147:148], v[36:37], v[4:5]
	v_mul_f64 v[4:5], v[34:35], v[4:5]
	s_waitcnt vmcnt(8) lgkmcnt(0)
	v_mul_f64 v[149:150], v[139:140], v[8:9]
	v_mul_f64 v[8:9], v[141:142], v[8:9]
	s_delay_alu instid0(VALU_DEP_4) | instskip(NEXT) | instid1(VALU_DEP_4)
	v_fma_f64 v[147:148], v[34:35], v[2:3], -v[147:148]
	v_fma_f64 v[151:152], v[36:37], v[2:3], v[4:5]
	ds_load_b128 v[2:5], v1 offset:848
	scratch_load_b128 v[34:37], off, off offset:464
	v_fma_f64 v[149:150], v[141:142], v[6:7], v[149:150]
	v_fma_f64 v[155:156], v[139:140], v[6:7], -v[8:9]
	ds_load_b128 v[6:9], v1 offset:864
	scratch_load_b128 v[139:142], off, off offset:480
	s_waitcnt vmcnt(9) lgkmcnt(1)
	v_mul_f64 v[153:154], v[2:3], v[12:13]
	v_mul_f64 v[12:13], v[4:5], v[12:13]
	s_waitcnt vmcnt(8) lgkmcnt(0)
	v_mul_f64 v[157:158], v[6:7], v[16:17]
	v_mul_f64 v[16:17], v[8:9], v[16:17]
	v_add_f64 v[147:148], v[147:148], 0
	v_add_f64 v[151:152], v[151:152], 0
	v_fma_f64 v[153:154], v[4:5], v[10:11], v[153:154]
	v_fma_f64 v[159:160], v[2:3], v[10:11], -v[12:13]
	scratch_load_b128 v[10:13], off, off offset:496
	ds_load_b128 v[2:5], v1 offset:880
	v_add_f64 v[147:148], v[147:148], v[155:156]
	v_add_f64 v[149:150], v[151:152], v[149:150]
	v_fma_f64 v[155:156], v[8:9], v[14:15], v[157:158]
	v_fma_f64 v[14:15], v[6:7], v[14:15], -v[16:17]
	ds_load_b128 v[6:9], v1 offset:896
	s_waitcnt vmcnt(8) lgkmcnt(1)
	v_mul_f64 v[151:152], v[2:3], v[20:21]
	v_mul_f64 v[20:21], v[4:5], v[20:21]
	v_add_f64 v[16:17], v[147:148], v[159:160]
	v_add_f64 v[147:148], v[149:150], v[153:154]
	s_waitcnt vmcnt(7) lgkmcnt(0)
	v_mul_f64 v[149:150], v[6:7], v[24:25]
	v_mul_f64 v[24:25], v[8:9], v[24:25]
	v_fma_f64 v[151:152], v[4:5], v[18:19], v[151:152]
	v_fma_f64 v[18:19], v[2:3], v[18:19], -v[20:21]
	ds_load_b128 v[2:5], v1 offset:912
	v_add_f64 v[14:15], v[16:17], v[14:15]
	v_add_f64 v[16:17], v[147:148], v[155:156]
	v_fma_f64 v[147:148], v[8:9], v[22:23], v[149:150]
	v_fma_f64 v[22:23], v[6:7], v[22:23], -v[24:25]
	ds_load_b128 v[6:9], v1 offset:928
	s_waitcnt vmcnt(6) lgkmcnt(1)
	v_mul_f64 v[20:21], v[2:3], v[28:29]
	v_mul_f64 v[28:29], v[4:5], v[28:29]
	s_waitcnt vmcnt(5) lgkmcnt(0)
	v_mul_f64 v[149:150], v[6:7], v[32:33]
	v_mul_f64 v[32:33], v[8:9], v[32:33]
	v_add_f64 v[18:19], v[14:15], v[18:19]
	v_add_f64 v[24:25], v[16:17], v[151:152]
	scratch_load_b128 v[14:17], off, off offset:288
	v_fma_f64 v[20:21], v[4:5], v[26:27], v[20:21]
	v_fma_f64 v[26:27], v[2:3], v[26:27], -v[28:29]
	ds_load_b128 v[2:5], v1 offset:944
	s_waitcnt vmcnt(5) lgkmcnt(0)
	v_mul_f64 v[28:29], v[4:5], v[40:41]
	v_add_f64 v[18:19], v[18:19], v[22:23]
	v_add_f64 v[22:23], v[24:25], v[147:148]
	v_mul_f64 v[24:25], v[2:3], v[40:41]
	v_fma_f64 v[40:41], v[8:9], v[30:31], v[149:150]
	v_fma_f64 v[30:31], v[6:7], v[30:31], -v[32:33]
	ds_load_b128 v[6:9], v1 offset:960
	v_fma_f64 v[28:29], v[2:3], v[38:39], -v[28:29]
	v_add_f64 v[18:19], v[18:19], v[26:27]
	v_add_f64 v[20:21], v[22:23], v[20:21]
	v_fma_f64 v[24:25], v[4:5], v[38:39], v[24:25]
	ds_load_b128 v[2:5], v1 offset:976
	s_waitcnt vmcnt(4) lgkmcnt(1)
	v_mul_f64 v[22:23], v[6:7], v[145:146]
	v_mul_f64 v[26:27], v[8:9], v[145:146]
	v_add_f64 v[18:19], v[18:19], v[30:31]
	v_add_f64 v[20:21], v[20:21], v[40:41]
	s_delay_alu instid0(VALU_DEP_4) | instskip(NEXT) | instid1(VALU_DEP_4)
	v_fma_f64 v[22:23], v[8:9], v[143:144], v[22:23]
	v_fma_f64 v[26:27], v[6:7], v[143:144], -v[26:27]
	ds_load_b128 v[6:9], v1 offset:992
	s_waitcnt vmcnt(3) lgkmcnt(1)
	v_mul_f64 v[30:31], v[2:3], v[36:37]
	v_mul_f64 v[32:33], v[4:5], v[36:37]
	v_add_f64 v[18:19], v[18:19], v[28:29]
	v_add_f64 v[20:21], v[20:21], v[24:25]
	s_delay_alu instid0(VALU_DEP_4) | instskip(NEXT) | instid1(VALU_DEP_4)
	v_fma_f64 v[30:31], v[4:5], v[34:35], v[30:31]
	v_fma_f64 v[32:33], v[2:3], v[34:35], -v[32:33]
	ds_load_b128 v[2:5], v1 offset:1008
	s_waitcnt vmcnt(2) lgkmcnt(1)
	v_mul_f64 v[24:25], v[6:7], v[141:142]
	v_mul_f64 v[28:29], v[8:9], v[141:142]
	v_add_f64 v[18:19], v[18:19], v[26:27]
	v_add_f64 v[20:21], v[20:21], v[22:23]
	s_waitcnt vmcnt(1) lgkmcnt(0)
	v_mul_f64 v[22:23], v[2:3], v[12:13]
	v_mul_f64 v[12:13], v[4:5], v[12:13]
	v_fma_f64 v[8:9], v[8:9], v[139:140], v[24:25]
	v_fma_f64 v[6:7], v[6:7], v[139:140], -v[28:29]
	v_add_f64 v[18:19], v[18:19], v[32:33]
	v_add_f64 v[20:21], v[20:21], v[30:31]
	v_fma_f64 v[4:5], v[4:5], v[10:11], v[22:23]
	v_fma_f64 v[2:3], v[2:3], v[10:11], -v[12:13]
	s_delay_alu instid0(VALU_DEP_4) | instskip(NEXT) | instid1(VALU_DEP_4)
	v_add_f64 v[6:7], v[18:19], v[6:7]
	v_add_f64 v[8:9], v[20:21], v[8:9]
	s_delay_alu instid0(VALU_DEP_2) | instskip(NEXT) | instid1(VALU_DEP_2)
	v_add_f64 v[2:3], v[6:7], v[2:3]
	v_add_f64 v[4:5], v[8:9], v[4:5]
	s_waitcnt vmcnt(0)
	s_delay_alu instid0(VALU_DEP_2) | instskip(NEXT) | instid1(VALU_DEP_2)
	v_add_f64 v[2:3], v[14:15], -v[2:3]
	v_add_f64 v[4:5], v[16:17], -v[4:5]
	scratch_store_b128 off, v[2:5], off offset:288
	v_cmpx_lt_u32_e32 17, v106
	s_cbranch_execz .LBB31_171
; %bb.170:
	scratch_load_b128 v[5:8], v136, off
	v_mov_b32_e32 v2, v1
	v_mov_b32_e32 v3, v1
	;; [unrolled: 1-line block ×3, first 2 shown]
	scratch_store_b128 off, v[1:4], off offset:272
	s_waitcnt vmcnt(0)
	ds_store_b128 v138, v[5:8]
.LBB31_171:
	s_or_b32 exec_lo, exec_lo, s2
	s_waitcnt lgkmcnt(0)
	s_waitcnt_vscnt null, 0x0
	s_barrier
	buffer_gl0_inv
	s_clause 0x7
	scratch_load_b128 v[2:5], off, off offset:288
	scratch_load_b128 v[6:9], off, off offset:304
	;; [unrolled: 1-line block ×8, first 2 shown]
	ds_load_b128 v[34:37], v1 offset:800
	ds_load_b128 v[139:142], v1 offset:816
	s_clause 0x1
	scratch_load_b128 v[38:41], off, off offset:416
	scratch_load_b128 v[143:146], off, off offset:432
	s_mov_b32 s2, exec_lo
	s_waitcnt vmcnt(9) lgkmcnt(1)
	v_mul_f64 v[147:148], v[36:37], v[4:5]
	v_mul_f64 v[4:5], v[34:35], v[4:5]
	s_waitcnt vmcnt(8) lgkmcnt(0)
	v_mul_f64 v[149:150], v[139:140], v[8:9]
	v_mul_f64 v[8:9], v[141:142], v[8:9]
	s_delay_alu instid0(VALU_DEP_4) | instskip(NEXT) | instid1(VALU_DEP_4)
	v_fma_f64 v[147:148], v[34:35], v[2:3], -v[147:148]
	v_fma_f64 v[151:152], v[36:37], v[2:3], v[4:5]
	scratch_load_b128 v[34:37], off, off offset:448
	ds_load_b128 v[2:5], v1 offset:832
	v_fma_f64 v[149:150], v[141:142], v[6:7], v[149:150]
	v_fma_f64 v[155:156], v[139:140], v[6:7], -v[8:9]
	ds_load_b128 v[6:9], v1 offset:848
	scratch_load_b128 v[139:142], off, off offset:464
	s_waitcnt vmcnt(9) lgkmcnt(1)
	v_mul_f64 v[153:154], v[2:3], v[12:13]
	v_mul_f64 v[12:13], v[4:5], v[12:13]
	s_waitcnt vmcnt(8) lgkmcnt(0)
	v_mul_f64 v[157:158], v[6:7], v[16:17]
	v_mul_f64 v[16:17], v[8:9], v[16:17]
	v_add_f64 v[147:148], v[147:148], 0
	v_add_f64 v[151:152], v[151:152], 0
	v_fma_f64 v[153:154], v[4:5], v[10:11], v[153:154]
	v_fma_f64 v[159:160], v[2:3], v[10:11], -v[12:13]
	scratch_load_b128 v[10:13], off, off offset:480
	ds_load_b128 v[2:5], v1 offset:864
	v_add_f64 v[147:148], v[147:148], v[155:156]
	v_add_f64 v[149:150], v[151:152], v[149:150]
	v_fma_f64 v[155:156], v[8:9], v[14:15], v[157:158]
	v_fma_f64 v[157:158], v[6:7], v[14:15], -v[16:17]
	ds_load_b128 v[6:9], v1 offset:880
	scratch_load_b128 v[14:17], off, off offset:496
	s_waitcnt vmcnt(9) lgkmcnt(1)
	v_mul_f64 v[151:152], v[2:3], v[20:21]
	v_mul_f64 v[20:21], v[4:5], v[20:21]
	v_add_f64 v[147:148], v[147:148], v[159:160]
	v_add_f64 v[149:150], v[149:150], v[153:154]
	s_waitcnt vmcnt(8) lgkmcnt(0)
	v_mul_f64 v[153:154], v[6:7], v[24:25]
	v_mul_f64 v[24:25], v[8:9], v[24:25]
	v_fma_f64 v[151:152], v[4:5], v[18:19], v[151:152]
	v_fma_f64 v[18:19], v[2:3], v[18:19], -v[20:21]
	ds_load_b128 v[2:5], v1 offset:896
	v_add_f64 v[20:21], v[147:148], v[157:158]
	v_add_f64 v[147:148], v[149:150], v[155:156]
	v_fma_f64 v[153:154], v[8:9], v[22:23], v[153:154]
	v_fma_f64 v[22:23], v[6:7], v[22:23], -v[24:25]
	ds_load_b128 v[6:9], v1 offset:912
	s_waitcnt vmcnt(7) lgkmcnt(1)
	v_mul_f64 v[149:150], v[2:3], v[28:29]
	v_mul_f64 v[28:29], v[4:5], v[28:29]
	s_waitcnt vmcnt(6) lgkmcnt(0)
	v_mul_f64 v[24:25], v[6:7], v[32:33]
	v_mul_f64 v[32:33], v[8:9], v[32:33]
	v_add_f64 v[18:19], v[20:21], v[18:19]
	v_add_f64 v[20:21], v[147:148], v[151:152]
	v_fma_f64 v[147:148], v[4:5], v[26:27], v[149:150]
	v_fma_f64 v[26:27], v[2:3], v[26:27], -v[28:29]
	ds_load_b128 v[2:5], v1 offset:928
	v_fma_f64 v[24:25], v[8:9], v[30:31], v[24:25]
	v_fma_f64 v[30:31], v[6:7], v[30:31], -v[32:33]
	ds_load_b128 v[6:9], v1 offset:944
	v_add_f64 v[22:23], v[18:19], v[22:23]
	v_add_f64 v[28:29], v[20:21], v[153:154]
	scratch_load_b128 v[18:21], off, off offset:272
	s_waitcnt vmcnt(6) lgkmcnt(1)
	v_mul_f64 v[149:150], v[2:3], v[40:41]
	v_mul_f64 v[40:41], v[4:5], v[40:41]
	s_waitcnt vmcnt(5) lgkmcnt(0)
	v_mul_f64 v[32:33], v[8:9], v[145:146]
	v_add_f64 v[22:23], v[22:23], v[26:27]
	v_add_f64 v[26:27], v[28:29], v[147:148]
	v_mul_f64 v[28:29], v[6:7], v[145:146]
	v_fma_f64 v[145:146], v[4:5], v[38:39], v[149:150]
	v_fma_f64 v[38:39], v[2:3], v[38:39], -v[40:41]
	ds_load_b128 v[2:5], v1 offset:960
	v_fma_f64 v[32:33], v[6:7], v[143:144], -v[32:33]
	v_add_f64 v[22:23], v[22:23], v[30:31]
	v_add_f64 v[24:25], v[26:27], v[24:25]
	v_fma_f64 v[28:29], v[8:9], v[143:144], v[28:29]
	ds_load_b128 v[6:9], v1 offset:976
	s_waitcnt vmcnt(4) lgkmcnt(1)
	v_mul_f64 v[26:27], v[2:3], v[36:37]
	v_mul_f64 v[30:31], v[4:5], v[36:37]
	s_waitcnt vmcnt(3) lgkmcnt(0)
	v_mul_f64 v[36:37], v[6:7], v[141:142]
	v_add_f64 v[22:23], v[22:23], v[38:39]
	v_add_f64 v[24:25], v[24:25], v[145:146]
	v_mul_f64 v[38:39], v[8:9], v[141:142]
	v_fma_f64 v[26:27], v[4:5], v[34:35], v[26:27]
	v_fma_f64 v[30:31], v[2:3], v[34:35], -v[30:31]
	ds_load_b128 v[2:5], v1 offset:992
	v_add_f64 v[22:23], v[22:23], v[32:33]
	v_add_f64 v[24:25], v[24:25], v[28:29]
	v_fma_f64 v[32:33], v[8:9], v[139:140], v[36:37]
	v_fma_f64 v[34:35], v[6:7], v[139:140], -v[38:39]
	ds_load_b128 v[6:9], v1 offset:1008
	s_waitcnt vmcnt(2) lgkmcnt(1)
	v_mul_f64 v[28:29], v[2:3], v[12:13]
	v_mul_f64 v[12:13], v[4:5], v[12:13]
	v_add_f64 v[22:23], v[22:23], v[30:31]
	v_add_f64 v[24:25], v[24:25], v[26:27]
	s_waitcnt vmcnt(1) lgkmcnt(0)
	v_mul_f64 v[26:27], v[6:7], v[16:17]
	v_mul_f64 v[16:17], v[8:9], v[16:17]
	v_fma_f64 v[4:5], v[4:5], v[10:11], v[28:29]
	v_fma_f64 v[1:2], v[2:3], v[10:11], -v[12:13]
	v_add_f64 v[10:11], v[22:23], v[34:35]
	v_add_f64 v[12:13], v[24:25], v[32:33]
	v_fma_f64 v[8:9], v[8:9], v[14:15], v[26:27]
	v_fma_f64 v[6:7], v[6:7], v[14:15], -v[16:17]
	s_delay_alu instid0(VALU_DEP_4) | instskip(NEXT) | instid1(VALU_DEP_4)
	v_add_f64 v[1:2], v[10:11], v[1:2]
	v_add_f64 v[3:4], v[12:13], v[4:5]
	s_delay_alu instid0(VALU_DEP_2) | instskip(NEXT) | instid1(VALU_DEP_2)
	v_add_f64 v[1:2], v[1:2], v[6:7]
	v_add_f64 v[3:4], v[3:4], v[8:9]
	s_waitcnt vmcnt(0)
	s_delay_alu instid0(VALU_DEP_2) | instskip(NEXT) | instid1(VALU_DEP_2)
	v_add_f64 v[1:2], v[18:19], -v[1:2]
	v_add_f64 v[3:4], v[20:21], -v[3:4]
	scratch_store_b128 off, v[1:4], off offset:272
	v_cmpx_lt_u32_e32 16, v106
	s_cbranch_execz .LBB31_173
; %bb.172:
	scratch_load_b128 v[1:4], v137, off
	v_mov_b32_e32 v5, 0
	s_delay_alu instid0(VALU_DEP_1)
	v_mov_b32_e32 v6, v5
	v_mov_b32_e32 v7, v5
	;; [unrolled: 1-line block ×3, first 2 shown]
	scratch_store_b128 off, v[5:8], off offset:256
	s_waitcnt vmcnt(0)
	ds_store_b128 v138, v[1:4]
.LBB31_173:
	s_or_b32 exec_lo, exec_lo, s2
	s_waitcnt lgkmcnt(0)
	s_waitcnt_vscnt null, 0x0
	s_barrier
	buffer_gl0_inv
	s_clause 0x7
	scratch_load_b128 v[2:5], off, off offset:272
	scratch_load_b128 v[6:9], off, off offset:288
	;; [unrolled: 1-line block ×8, first 2 shown]
	v_mov_b32_e32 v1, 0
	s_clause 0x1
	scratch_load_b128 v[38:41], off, off offset:400
	scratch_load_b128 v[143:146], off, off offset:416
	s_mov_b32 s2, exec_lo
	ds_load_b128 v[34:37], v1 offset:784
	ds_load_b128 v[139:142], v1 offset:800
	s_waitcnt vmcnt(9) lgkmcnt(1)
	v_mul_f64 v[147:148], v[36:37], v[4:5]
	v_mul_f64 v[4:5], v[34:35], v[4:5]
	s_waitcnt vmcnt(8) lgkmcnt(0)
	v_mul_f64 v[149:150], v[139:140], v[8:9]
	v_mul_f64 v[8:9], v[141:142], v[8:9]
	s_delay_alu instid0(VALU_DEP_4) | instskip(NEXT) | instid1(VALU_DEP_4)
	v_fma_f64 v[147:148], v[34:35], v[2:3], -v[147:148]
	v_fma_f64 v[151:152], v[36:37], v[2:3], v[4:5]
	ds_load_b128 v[2:5], v1 offset:816
	scratch_load_b128 v[34:37], off, off offset:432
	v_fma_f64 v[149:150], v[141:142], v[6:7], v[149:150]
	v_fma_f64 v[155:156], v[139:140], v[6:7], -v[8:9]
	ds_load_b128 v[6:9], v1 offset:832
	scratch_load_b128 v[139:142], off, off offset:448
	s_waitcnt vmcnt(9) lgkmcnt(1)
	v_mul_f64 v[153:154], v[2:3], v[12:13]
	v_mul_f64 v[12:13], v[4:5], v[12:13]
	s_waitcnt vmcnt(8) lgkmcnt(0)
	v_mul_f64 v[157:158], v[6:7], v[16:17]
	v_mul_f64 v[16:17], v[8:9], v[16:17]
	v_add_f64 v[147:148], v[147:148], 0
	v_add_f64 v[151:152], v[151:152], 0
	v_fma_f64 v[153:154], v[4:5], v[10:11], v[153:154]
	v_fma_f64 v[159:160], v[2:3], v[10:11], -v[12:13]
	scratch_load_b128 v[10:13], off, off offset:464
	ds_load_b128 v[2:5], v1 offset:848
	v_add_f64 v[147:148], v[147:148], v[155:156]
	v_add_f64 v[149:150], v[151:152], v[149:150]
	v_fma_f64 v[155:156], v[8:9], v[14:15], v[157:158]
	v_fma_f64 v[157:158], v[6:7], v[14:15], -v[16:17]
	ds_load_b128 v[6:9], v1 offset:864
	scratch_load_b128 v[14:17], off, off offset:480
	s_waitcnt vmcnt(9) lgkmcnt(1)
	v_mul_f64 v[151:152], v[2:3], v[20:21]
	v_mul_f64 v[20:21], v[4:5], v[20:21]
	v_add_f64 v[147:148], v[147:148], v[159:160]
	v_add_f64 v[149:150], v[149:150], v[153:154]
	s_waitcnt vmcnt(8) lgkmcnt(0)
	v_mul_f64 v[153:154], v[6:7], v[24:25]
	v_mul_f64 v[24:25], v[8:9], v[24:25]
	v_fma_f64 v[151:152], v[4:5], v[18:19], v[151:152]
	v_fma_f64 v[159:160], v[2:3], v[18:19], -v[20:21]
	scratch_load_b128 v[18:21], off, off offset:496
	ds_load_b128 v[2:5], v1 offset:880
	v_add_f64 v[147:148], v[147:148], v[157:158]
	v_add_f64 v[149:150], v[149:150], v[155:156]
	v_fma_f64 v[153:154], v[8:9], v[22:23], v[153:154]
	v_fma_f64 v[22:23], v[6:7], v[22:23], -v[24:25]
	ds_load_b128 v[6:9], v1 offset:896
	s_waitcnt vmcnt(8) lgkmcnt(1)
	v_mul_f64 v[155:156], v[2:3], v[28:29]
	v_mul_f64 v[28:29], v[4:5], v[28:29]
	v_add_f64 v[24:25], v[147:148], v[159:160]
	v_add_f64 v[147:148], v[149:150], v[151:152]
	s_waitcnt vmcnt(7) lgkmcnt(0)
	v_mul_f64 v[149:150], v[6:7], v[32:33]
	v_mul_f64 v[32:33], v[8:9], v[32:33]
	v_fma_f64 v[151:152], v[4:5], v[26:27], v[155:156]
	v_fma_f64 v[26:27], v[2:3], v[26:27], -v[28:29]
	ds_load_b128 v[2:5], v1 offset:912
	v_add_f64 v[22:23], v[24:25], v[22:23]
	v_add_f64 v[24:25], v[147:148], v[153:154]
	v_fma_f64 v[147:148], v[8:9], v[30:31], v[149:150]
	v_fma_f64 v[30:31], v[6:7], v[30:31], -v[32:33]
	ds_load_b128 v[6:9], v1 offset:928
	s_waitcnt vmcnt(5) lgkmcnt(0)
	v_mul_f64 v[149:150], v[6:7], v[145:146]
	v_mul_f64 v[145:146], v[8:9], v[145:146]
	v_add_f64 v[26:27], v[22:23], v[26:27]
	v_add_f64 v[32:33], v[24:25], v[151:152]
	scratch_load_b128 v[22:25], off, off offset:256
	v_mul_f64 v[28:29], v[2:3], v[40:41]
	v_mul_f64 v[40:41], v[4:5], v[40:41]
	v_add_f64 v[26:27], v[26:27], v[30:31]
	v_add_f64 v[30:31], v[32:33], v[147:148]
	s_delay_alu instid0(VALU_DEP_4) | instskip(NEXT) | instid1(VALU_DEP_4)
	v_fma_f64 v[28:29], v[4:5], v[38:39], v[28:29]
	v_fma_f64 v[38:39], v[2:3], v[38:39], -v[40:41]
	ds_load_b128 v[2:5], v1 offset:944
	v_fma_f64 v[40:41], v[8:9], v[143:144], v[149:150]
	v_fma_f64 v[143:144], v[6:7], v[143:144], -v[145:146]
	ds_load_b128 v[6:9], v1 offset:960
	s_waitcnt vmcnt(5) lgkmcnt(1)
	v_mul_f64 v[32:33], v[2:3], v[36:37]
	v_mul_f64 v[36:37], v[4:5], v[36:37]
	v_add_f64 v[28:29], v[30:31], v[28:29]
	v_add_f64 v[26:27], v[26:27], v[38:39]
	s_waitcnt vmcnt(4) lgkmcnt(0)
	v_mul_f64 v[30:31], v[6:7], v[141:142]
	v_mul_f64 v[38:39], v[8:9], v[141:142]
	v_fma_f64 v[32:33], v[4:5], v[34:35], v[32:33]
	v_fma_f64 v[34:35], v[2:3], v[34:35], -v[36:37]
	ds_load_b128 v[2:5], v1 offset:976
	v_add_f64 v[28:29], v[28:29], v[40:41]
	v_add_f64 v[26:27], v[26:27], v[143:144]
	v_fma_f64 v[30:31], v[8:9], v[139:140], v[30:31]
	v_fma_f64 v[38:39], v[6:7], v[139:140], -v[38:39]
	ds_load_b128 v[6:9], v1 offset:992
	s_waitcnt vmcnt(3) lgkmcnt(1)
	v_mul_f64 v[36:37], v[2:3], v[12:13]
	v_mul_f64 v[12:13], v[4:5], v[12:13]
	v_add_f64 v[28:29], v[28:29], v[32:33]
	v_add_f64 v[26:27], v[26:27], v[34:35]
	s_waitcnt vmcnt(2) lgkmcnt(0)
	v_mul_f64 v[32:33], v[6:7], v[16:17]
	v_mul_f64 v[16:17], v[8:9], v[16:17]
	v_fma_f64 v[34:35], v[4:5], v[10:11], v[36:37]
	v_fma_f64 v[10:11], v[2:3], v[10:11], -v[12:13]
	ds_load_b128 v[2:5], v1 offset:1008
	v_add_f64 v[12:13], v[26:27], v[38:39]
	v_add_f64 v[26:27], v[28:29], v[30:31]
	s_waitcnt vmcnt(1) lgkmcnt(0)
	v_mul_f64 v[28:29], v[2:3], v[20:21]
	v_mul_f64 v[20:21], v[4:5], v[20:21]
	v_fma_f64 v[8:9], v[8:9], v[14:15], v[32:33]
	v_fma_f64 v[6:7], v[6:7], v[14:15], -v[16:17]
	v_add_f64 v[10:11], v[12:13], v[10:11]
	v_add_f64 v[12:13], v[26:27], v[34:35]
	v_fma_f64 v[4:5], v[4:5], v[18:19], v[28:29]
	v_fma_f64 v[2:3], v[2:3], v[18:19], -v[20:21]
	s_delay_alu instid0(VALU_DEP_4) | instskip(NEXT) | instid1(VALU_DEP_4)
	v_add_f64 v[6:7], v[10:11], v[6:7]
	v_add_f64 v[8:9], v[12:13], v[8:9]
	s_delay_alu instid0(VALU_DEP_2) | instskip(NEXT) | instid1(VALU_DEP_2)
	v_add_f64 v[2:3], v[6:7], v[2:3]
	v_add_f64 v[4:5], v[8:9], v[4:5]
	s_waitcnt vmcnt(0)
	s_delay_alu instid0(VALU_DEP_2) | instskip(NEXT) | instid1(VALU_DEP_2)
	v_add_f64 v[2:3], v[22:23], -v[2:3]
	v_add_f64 v[4:5], v[24:25], -v[4:5]
	scratch_store_b128 off, v[2:5], off offset:256
	v_cmpx_lt_u32_e32 15, v106
	s_cbranch_execz .LBB31_175
; %bb.174:
	scratch_load_b128 v[5:8], v124, off
	v_mov_b32_e32 v2, v1
	v_mov_b32_e32 v3, v1
	;; [unrolled: 1-line block ×3, first 2 shown]
	scratch_store_b128 off, v[1:4], off offset:240
	s_waitcnt vmcnt(0)
	ds_store_b128 v138, v[5:8]
.LBB31_175:
	s_or_b32 exec_lo, exec_lo, s2
	s_waitcnt lgkmcnt(0)
	s_waitcnt_vscnt null, 0x0
	s_barrier
	buffer_gl0_inv
	s_clause 0x7
	scratch_load_b128 v[2:5], off, off offset:256
	scratch_load_b128 v[6:9], off, off offset:272
	;; [unrolled: 1-line block ×8, first 2 shown]
	ds_load_b128 v[34:37], v1 offset:768
	ds_load_b128 v[139:142], v1 offset:784
	s_clause 0x1
	scratch_load_b128 v[38:41], off, off offset:384
	scratch_load_b128 v[143:146], off, off offset:400
	s_mov_b32 s2, exec_lo
	s_waitcnt vmcnt(9) lgkmcnt(1)
	v_mul_f64 v[147:148], v[36:37], v[4:5]
	v_mul_f64 v[4:5], v[34:35], v[4:5]
	s_waitcnt vmcnt(8) lgkmcnt(0)
	v_mul_f64 v[149:150], v[139:140], v[8:9]
	v_mul_f64 v[8:9], v[141:142], v[8:9]
	s_delay_alu instid0(VALU_DEP_4) | instskip(NEXT) | instid1(VALU_DEP_4)
	v_fma_f64 v[147:148], v[34:35], v[2:3], -v[147:148]
	v_fma_f64 v[151:152], v[36:37], v[2:3], v[4:5]
	ds_load_b128 v[2:5], v1 offset:800
	scratch_load_b128 v[34:37], off, off offset:416
	v_fma_f64 v[149:150], v[141:142], v[6:7], v[149:150]
	v_fma_f64 v[155:156], v[139:140], v[6:7], -v[8:9]
	ds_load_b128 v[6:9], v1 offset:816
	scratch_load_b128 v[139:142], off, off offset:432
	s_waitcnt vmcnt(9) lgkmcnt(1)
	v_mul_f64 v[153:154], v[2:3], v[12:13]
	v_mul_f64 v[12:13], v[4:5], v[12:13]
	s_waitcnt vmcnt(8) lgkmcnt(0)
	v_mul_f64 v[157:158], v[6:7], v[16:17]
	v_mul_f64 v[16:17], v[8:9], v[16:17]
	v_add_f64 v[147:148], v[147:148], 0
	v_add_f64 v[151:152], v[151:152], 0
	v_fma_f64 v[153:154], v[4:5], v[10:11], v[153:154]
	v_fma_f64 v[159:160], v[2:3], v[10:11], -v[12:13]
	scratch_load_b128 v[10:13], off, off offset:448
	ds_load_b128 v[2:5], v1 offset:832
	v_add_f64 v[147:148], v[147:148], v[155:156]
	v_add_f64 v[149:150], v[151:152], v[149:150]
	v_fma_f64 v[155:156], v[8:9], v[14:15], v[157:158]
	v_fma_f64 v[157:158], v[6:7], v[14:15], -v[16:17]
	ds_load_b128 v[6:9], v1 offset:848
	scratch_load_b128 v[14:17], off, off offset:464
	s_waitcnt vmcnt(9) lgkmcnt(1)
	v_mul_f64 v[151:152], v[2:3], v[20:21]
	v_mul_f64 v[20:21], v[4:5], v[20:21]
	v_add_f64 v[147:148], v[147:148], v[159:160]
	v_add_f64 v[149:150], v[149:150], v[153:154]
	s_waitcnt vmcnt(8) lgkmcnt(0)
	v_mul_f64 v[153:154], v[6:7], v[24:25]
	v_mul_f64 v[24:25], v[8:9], v[24:25]
	v_fma_f64 v[151:152], v[4:5], v[18:19], v[151:152]
	v_fma_f64 v[159:160], v[2:3], v[18:19], -v[20:21]
	scratch_load_b128 v[18:21], off, off offset:480
	ds_load_b128 v[2:5], v1 offset:864
	v_add_f64 v[147:148], v[147:148], v[157:158]
	v_add_f64 v[149:150], v[149:150], v[155:156]
	v_fma_f64 v[153:154], v[8:9], v[22:23], v[153:154]
	v_fma_f64 v[157:158], v[6:7], v[22:23], -v[24:25]
	ds_load_b128 v[6:9], v1 offset:880
	s_waitcnt vmcnt(8) lgkmcnt(1)
	v_mul_f64 v[155:156], v[2:3], v[28:29]
	v_mul_f64 v[28:29], v[4:5], v[28:29]
	scratch_load_b128 v[22:25], off, off offset:496
	v_add_f64 v[147:148], v[147:148], v[159:160]
	v_add_f64 v[149:150], v[149:150], v[151:152]
	s_waitcnt vmcnt(8) lgkmcnt(0)
	v_mul_f64 v[151:152], v[6:7], v[32:33]
	v_mul_f64 v[32:33], v[8:9], v[32:33]
	v_fma_f64 v[155:156], v[4:5], v[26:27], v[155:156]
	v_fma_f64 v[26:27], v[2:3], v[26:27], -v[28:29]
	ds_load_b128 v[2:5], v1 offset:896
	v_add_f64 v[28:29], v[147:148], v[157:158]
	v_add_f64 v[147:148], v[149:150], v[153:154]
	v_fma_f64 v[151:152], v[8:9], v[30:31], v[151:152]
	v_fma_f64 v[30:31], v[6:7], v[30:31], -v[32:33]
	ds_load_b128 v[6:9], v1 offset:912
	s_waitcnt vmcnt(7) lgkmcnt(1)
	v_mul_f64 v[149:150], v[2:3], v[40:41]
	v_mul_f64 v[40:41], v[4:5], v[40:41]
	v_add_f64 v[26:27], v[28:29], v[26:27]
	v_add_f64 v[28:29], v[147:148], v[155:156]
	s_delay_alu instid0(VALU_DEP_4) | instskip(NEXT) | instid1(VALU_DEP_4)
	v_fma_f64 v[147:148], v[4:5], v[38:39], v[149:150]
	v_fma_f64 v[38:39], v[2:3], v[38:39], -v[40:41]
	ds_load_b128 v[2:5], v1 offset:928
	v_add_f64 v[30:31], v[26:27], v[30:31]
	v_add_f64 v[40:41], v[28:29], v[151:152]
	scratch_load_b128 v[26:29], off, off offset:240
	s_waitcnt vmcnt(7) lgkmcnt(1)
	v_mul_f64 v[32:33], v[6:7], v[145:146]
	v_mul_f64 v[145:146], v[8:9], v[145:146]
	v_add_f64 v[30:31], v[30:31], v[38:39]
	v_add_f64 v[38:39], v[40:41], v[147:148]
	s_delay_alu instid0(VALU_DEP_4) | instskip(NEXT) | instid1(VALU_DEP_4)
	v_fma_f64 v[32:33], v[8:9], v[143:144], v[32:33]
	v_fma_f64 v[143:144], v[6:7], v[143:144], -v[145:146]
	ds_load_b128 v[6:9], v1 offset:944
	s_waitcnt vmcnt(6) lgkmcnt(1)
	v_mul_f64 v[149:150], v[2:3], v[36:37]
	v_mul_f64 v[36:37], v[4:5], v[36:37]
	s_waitcnt vmcnt(5) lgkmcnt(0)
	v_mul_f64 v[40:41], v[6:7], v[141:142]
	v_mul_f64 v[141:142], v[8:9], v[141:142]
	v_add_f64 v[32:33], v[38:39], v[32:33]
	v_add_f64 v[30:31], v[30:31], v[143:144]
	v_fma_f64 v[145:146], v[4:5], v[34:35], v[149:150]
	v_fma_f64 v[34:35], v[2:3], v[34:35], -v[36:37]
	ds_load_b128 v[2:5], v1 offset:960
	v_fma_f64 v[38:39], v[8:9], v[139:140], v[40:41]
	v_fma_f64 v[40:41], v[6:7], v[139:140], -v[141:142]
	ds_load_b128 v[6:9], v1 offset:976
	s_waitcnt vmcnt(4) lgkmcnt(1)
	v_mul_f64 v[36:37], v[2:3], v[12:13]
	v_mul_f64 v[12:13], v[4:5], v[12:13]
	v_add_f64 v[32:33], v[32:33], v[145:146]
	v_add_f64 v[30:31], v[30:31], v[34:35]
	s_waitcnt vmcnt(3) lgkmcnt(0)
	v_mul_f64 v[34:35], v[6:7], v[16:17]
	v_mul_f64 v[16:17], v[8:9], v[16:17]
	v_fma_f64 v[36:37], v[4:5], v[10:11], v[36:37]
	v_fma_f64 v[10:11], v[2:3], v[10:11], -v[12:13]
	ds_load_b128 v[2:5], v1 offset:992
	v_add_f64 v[12:13], v[30:31], v[40:41]
	v_add_f64 v[30:31], v[32:33], v[38:39]
	v_fma_f64 v[34:35], v[8:9], v[14:15], v[34:35]
	v_fma_f64 v[14:15], v[6:7], v[14:15], -v[16:17]
	ds_load_b128 v[6:9], v1 offset:1008
	s_waitcnt vmcnt(2) lgkmcnt(1)
	v_mul_f64 v[32:33], v[2:3], v[20:21]
	v_mul_f64 v[20:21], v[4:5], v[20:21]
	s_waitcnt vmcnt(1) lgkmcnt(0)
	v_mul_f64 v[16:17], v[6:7], v[24:25]
	v_mul_f64 v[24:25], v[8:9], v[24:25]
	v_add_f64 v[10:11], v[12:13], v[10:11]
	v_add_f64 v[12:13], v[30:31], v[36:37]
	v_fma_f64 v[4:5], v[4:5], v[18:19], v[32:33]
	v_fma_f64 v[1:2], v[2:3], v[18:19], -v[20:21]
	v_fma_f64 v[8:9], v[8:9], v[22:23], v[16:17]
	v_fma_f64 v[6:7], v[6:7], v[22:23], -v[24:25]
	v_add_f64 v[10:11], v[10:11], v[14:15]
	v_add_f64 v[12:13], v[12:13], v[34:35]
	s_delay_alu instid0(VALU_DEP_2) | instskip(NEXT) | instid1(VALU_DEP_2)
	v_add_f64 v[1:2], v[10:11], v[1:2]
	v_add_f64 v[3:4], v[12:13], v[4:5]
	s_delay_alu instid0(VALU_DEP_2) | instskip(NEXT) | instid1(VALU_DEP_2)
	v_add_f64 v[1:2], v[1:2], v[6:7]
	v_add_f64 v[3:4], v[3:4], v[8:9]
	s_waitcnt vmcnt(0)
	s_delay_alu instid0(VALU_DEP_2) | instskip(NEXT) | instid1(VALU_DEP_2)
	v_add_f64 v[1:2], v[26:27], -v[1:2]
	v_add_f64 v[3:4], v[28:29], -v[3:4]
	scratch_store_b128 off, v[1:4], off offset:240
	v_cmpx_lt_u32_e32 14, v106
	s_cbranch_execz .LBB31_177
; %bb.176:
	scratch_load_b128 v[1:4], v123, off
	v_mov_b32_e32 v5, 0
	s_delay_alu instid0(VALU_DEP_1)
	v_mov_b32_e32 v6, v5
	v_mov_b32_e32 v7, v5
	;; [unrolled: 1-line block ×3, first 2 shown]
	scratch_store_b128 off, v[5:8], off offset:224
	s_waitcnt vmcnt(0)
	ds_store_b128 v138, v[1:4]
.LBB31_177:
	s_or_b32 exec_lo, exec_lo, s2
	s_waitcnt lgkmcnt(0)
	s_waitcnt_vscnt null, 0x0
	s_barrier
	buffer_gl0_inv
	s_clause 0x7
	scratch_load_b128 v[2:5], off, off offset:240
	scratch_load_b128 v[6:9], off, off offset:256
	;; [unrolled: 1-line block ×8, first 2 shown]
	v_mov_b32_e32 v1, 0
	s_clause 0x1
	scratch_load_b128 v[38:41], off, off offset:368
	scratch_load_b128 v[143:146], off, off offset:384
	s_mov_b32 s2, exec_lo
	ds_load_b128 v[34:37], v1 offset:752
	ds_load_b128 v[139:142], v1 offset:768
	s_waitcnt vmcnt(9) lgkmcnt(1)
	v_mul_f64 v[147:148], v[36:37], v[4:5]
	v_mul_f64 v[4:5], v[34:35], v[4:5]
	s_waitcnt vmcnt(8) lgkmcnt(0)
	v_mul_f64 v[149:150], v[139:140], v[8:9]
	v_mul_f64 v[8:9], v[141:142], v[8:9]
	s_delay_alu instid0(VALU_DEP_4) | instskip(NEXT) | instid1(VALU_DEP_4)
	v_fma_f64 v[147:148], v[34:35], v[2:3], -v[147:148]
	v_fma_f64 v[151:152], v[36:37], v[2:3], v[4:5]
	ds_load_b128 v[2:5], v1 offset:784
	scratch_load_b128 v[34:37], off, off offset:400
	v_fma_f64 v[149:150], v[141:142], v[6:7], v[149:150]
	v_fma_f64 v[155:156], v[139:140], v[6:7], -v[8:9]
	ds_load_b128 v[6:9], v1 offset:800
	scratch_load_b128 v[139:142], off, off offset:416
	s_waitcnt vmcnt(9) lgkmcnt(1)
	v_mul_f64 v[153:154], v[2:3], v[12:13]
	v_mul_f64 v[12:13], v[4:5], v[12:13]
	s_waitcnt vmcnt(8) lgkmcnt(0)
	v_mul_f64 v[157:158], v[6:7], v[16:17]
	v_mul_f64 v[16:17], v[8:9], v[16:17]
	v_add_f64 v[147:148], v[147:148], 0
	v_add_f64 v[151:152], v[151:152], 0
	v_fma_f64 v[153:154], v[4:5], v[10:11], v[153:154]
	v_fma_f64 v[159:160], v[2:3], v[10:11], -v[12:13]
	scratch_load_b128 v[10:13], off, off offset:432
	ds_load_b128 v[2:5], v1 offset:816
	v_add_f64 v[147:148], v[147:148], v[155:156]
	v_add_f64 v[149:150], v[151:152], v[149:150]
	v_fma_f64 v[155:156], v[8:9], v[14:15], v[157:158]
	v_fma_f64 v[157:158], v[6:7], v[14:15], -v[16:17]
	ds_load_b128 v[6:9], v1 offset:832
	scratch_load_b128 v[14:17], off, off offset:448
	s_waitcnt vmcnt(9) lgkmcnt(1)
	v_mul_f64 v[151:152], v[2:3], v[20:21]
	v_mul_f64 v[20:21], v[4:5], v[20:21]
	v_add_f64 v[147:148], v[147:148], v[159:160]
	v_add_f64 v[149:150], v[149:150], v[153:154]
	s_waitcnt vmcnt(8) lgkmcnt(0)
	v_mul_f64 v[153:154], v[6:7], v[24:25]
	v_mul_f64 v[24:25], v[8:9], v[24:25]
	v_fma_f64 v[151:152], v[4:5], v[18:19], v[151:152]
	v_fma_f64 v[159:160], v[2:3], v[18:19], -v[20:21]
	scratch_load_b128 v[18:21], off, off offset:464
	ds_load_b128 v[2:5], v1 offset:848
	v_add_f64 v[147:148], v[147:148], v[157:158]
	v_add_f64 v[149:150], v[149:150], v[155:156]
	v_fma_f64 v[153:154], v[8:9], v[22:23], v[153:154]
	v_fma_f64 v[157:158], v[6:7], v[22:23], -v[24:25]
	ds_load_b128 v[6:9], v1 offset:864
	s_waitcnt vmcnt(8) lgkmcnt(1)
	v_mul_f64 v[155:156], v[2:3], v[28:29]
	v_mul_f64 v[28:29], v[4:5], v[28:29]
	scratch_load_b128 v[22:25], off, off offset:480
	v_add_f64 v[147:148], v[147:148], v[159:160]
	v_add_f64 v[149:150], v[149:150], v[151:152]
	s_waitcnt vmcnt(8) lgkmcnt(0)
	v_mul_f64 v[151:152], v[6:7], v[32:33]
	v_mul_f64 v[32:33], v[8:9], v[32:33]
	v_fma_f64 v[155:156], v[4:5], v[26:27], v[155:156]
	v_fma_f64 v[159:160], v[2:3], v[26:27], -v[28:29]
	scratch_load_b128 v[26:29], off, off offset:496
	ds_load_b128 v[2:5], v1 offset:880
	v_add_f64 v[147:148], v[147:148], v[157:158]
	v_add_f64 v[149:150], v[149:150], v[153:154]
	v_fma_f64 v[151:152], v[8:9], v[30:31], v[151:152]
	v_fma_f64 v[30:31], v[6:7], v[30:31], -v[32:33]
	ds_load_b128 v[6:9], v1 offset:896
	s_waitcnt vmcnt(8) lgkmcnt(1)
	v_mul_f64 v[153:154], v[2:3], v[40:41]
	v_mul_f64 v[40:41], v[4:5], v[40:41]
	v_add_f64 v[32:33], v[147:148], v[159:160]
	v_add_f64 v[147:148], v[149:150], v[155:156]
	s_waitcnt vmcnt(7) lgkmcnt(0)
	v_mul_f64 v[149:150], v[6:7], v[145:146]
	v_mul_f64 v[145:146], v[8:9], v[145:146]
	v_fma_f64 v[153:154], v[4:5], v[38:39], v[153:154]
	v_fma_f64 v[38:39], v[2:3], v[38:39], -v[40:41]
	ds_load_b128 v[2:5], v1 offset:912
	v_add_f64 v[30:31], v[32:33], v[30:31]
	v_add_f64 v[32:33], v[147:148], v[151:152]
	v_fma_f64 v[147:148], v[8:9], v[143:144], v[149:150]
	v_fma_f64 v[143:144], v[6:7], v[143:144], -v[145:146]
	ds_load_b128 v[6:9], v1 offset:928
	s_waitcnt vmcnt(5) lgkmcnt(0)
	v_mul_f64 v[149:150], v[6:7], v[141:142]
	v_mul_f64 v[141:142], v[8:9], v[141:142]
	v_add_f64 v[38:39], v[30:31], v[38:39]
	v_add_f64 v[145:146], v[32:33], v[153:154]
	scratch_load_b128 v[30:33], off, off offset:224
	v_mul_f64 v[40:41], v[2:3], v[36:37]
	v_mul_f64 v[36:37], v[4:5], v[36:37]
	s_delay_alu instid0(VALU_DEP_2) | instskip(NEXT) | instid1(VALU_DEP_2)
	v_fma_f64 v[40:41], v[4:5], v[34:35], v[40:41]
	v_fma_f64 v[34:35], v[2:3], v[34:35], -v[36:37]
	v_add_f64 v[36:37], v[38:39], v[143:144]
	v_add_f64 v[38:39], v[145:146], v[147:148]
	ds_load_b128 v[2:5], v1 offset:944
	v_fma_f64 v[145:146], v[8:9], v[139:140], v[149:150]
	v_fma_f64 v[139:140], v[6:7], v[139:140], -v[141:142]
	ds_load_b128 v[6:9], v1 offset:960
	s_waitcnt vmcnt(5) lgkmcnt(1)
	v_mul_f64 v[143:144], v[2:3], v[12:13]
	v_mul_f64 v[12:13], v[4:5], v[12:13]
	v_add_f64 v[34:35], v[36:37], v[34:35]
	v_add_f64 v[36:37], v[38:39], v[40:41]
	s_waitcnt vmcnt(4) lgkmcnt(0)
	v_mul_f64 v[38:39], v[6:7], v[16:17]
	v_mul_f64 v[16:17], v[8:9], v[16:17]
	v_fma_f64 v[40:41], v[4:5], v[10:11], v[143:144]
	v_fma_f64 v[10:11], v[2:3], v[10:11], -v[12:13]
	ds_load_b128 v[2:5], v1 offset:976
	v_add_f64 v[12:13], v[34:35], v[139:140]
	v_add_f64 v[34:35], v[36:37], v[145:146]
	v_fma_f64 v[38:39], v[8:9], v[14:15], v[38:39]
	v_fma_f64 v[14:15], v[6:7], v[14:15], -v[16:17]
	ds_load_b128 v[6:9], v1 offset:992
	s_waitcnt vmcnt(3) lgkmcnt(1)
	v_mul_f64 v[36:37], v[2:3], v[20:21]
	v_mul_f64 v[20:21], v[4:5], v[20:21]
	s_waitcnt vmcnt(2) lgkmcnt(0)
	v_mul_f64 v[16:17], v[6:7], v[24:25]
	v_mul_f64 v[24:25], v[8:9], v[24:25]
	v_add_f64 v[10:11], v[12:13], v[10:11]
	v_add_f64 v[12:13], v[34:35], v[40:41]
	v_fma_f64 v[34:35], v[4:5], v[18:19], v[36:37]
	v_fma_f64 v[18:19], v[2:3], v[18:19], -v[20:21]
	ds_load_b128 v[2:5], v1 offset:1008
	v_fma_f64 v[8:9], v[8:9], v[22:23], v[16:17]
	v_fma_f64 v[6:7], v[6:7], v[22:23], -v[24:25]
	s_waitcnt vmcnt(1) lgkmcnt(0)
	v_mul_f64 v[20:21], v[4:5], v[28:29]
	v_add_f64 v[10:11], v[10:11], v[14:15]
	v_add_f64 v[12:13], v[12:13], v[38:39]
	v_mul_f64 v[14:15], v[2:3], v[28:29]
	s_delay_alu instid0(VALU_DEP_4) | instskip(NEXT) | instid1(VALU_DEP_4)
	v_fma_f64 v[2:3], v[2:3], v[26:27], -v[20:21]
	v_add_f64 v[10:11], v[10:11], v[18:19]
	s_delay_alu instid0(VALU_DEP_4) | instskip(NEXT) | instid1(VALU_DEP_4)
	v_add_f64 v[12:13], v[12:13], v[34:35]
	v_fma_f64 v[4:5], v[4:5], v[26:27], v[14:15]
	s_delay_alu instid0(VALU_DEP_3) | instskip(NEXT) | instid1(VALU_DEP_3)
	v_add_f64 v[6:7], v[10:11], v[6:7]
	v_add_f64 v[8:9], v[12:13], v[8:9]
	s_delay_alu instid0(VALU_DEP_2) | instskip(NEXT) | instid1(VALU_DEP_2)
	v_add_f64 v[2:3], v[6:7], v[2:3]
	v_add_f64 v[4:5], v[8:9], v[4:5]
	s_waitcnt vmcnt(0)
	s_delay_alu instid0(VALU_DEP_2) | instskip(NEXT) | instid1(VALU_DEP_2)
	v_add_f64 v[2:3], v[30:31], -v[2:3]
	v_add_f64 v[4:5], v[32:33], -v[4:5]
	scratch_store_b128 off, v[2:5], off offset:224
	v_cmpx_lt_u32_e32 13, v106
	s_cbranch_execz .LBB31_179
; %bb.178:
	scratch_load_b128 v[5:8], v125, off
	v_mov_b32_e32 v2, v1
	v_mov_b32_e32 v3, v1
	;; [unrolled: 1-line block ×3, first 2 shown]
	scratch_store_b128 off, v[1:4], off offset:208
	s_waitcnt vmcnt(0)
	ds_store_b128 v138, v[5:8]
.LBB31_179:
	s_or_b32 exec_lo, exec_lo, s2
	s_waitcnt lgkmcnt(0)
	s_waitcnt_vscnt null, 0x0
	s_barrier
	buffer_gl0_inv
	s_clause 0x7
	scratch_load_b128 v[2:5], off, off offset:224
	scratch_load_b128 v[6:9], off, off offset:240
	;; [unrolled: 1-line block ×8, first 2 shown]
	ds_load_b128 v[34:37], v1 offset:736
	ds_load_b128 v[139:142], v1 offset:752
	s_clause 0x1
	scratch_load_b128 v[38:41], off, off offset:352
	scratch_load_b128 v[143:146], off, off offset:368
	s_mov_b32 s2, exec_lo
	s_waitcnt vmcnt(9) lgkmcnt(1)
	v_mul_f64 v[147:148], v[36:37], v[4:5]
	v_mul_f64 v[4:5], v[34:35], v[4:5]
	s_waitcnt vmcnt(8) lgkmcnt(0)
	v_mul_f64 v[149:150], v[139:140], v[8:9]
	v_mul_f64 v[8:9], v[141:142], v[8:9]
	s_delay_alu instid0(VALU_DEP_4) | instskip(NEXT) | instid1(VALU_DEP_4)
	v_fma_f64 v[147:148], v[34:35], v[2:3], -v[147:148]
	v_fma_f64 v[151:152], v[36:37], v[2:3], v[4:5]
	scratch_load_b128 v[34:37], off, off offset:384
	ds_load_b128 v[2:5], v1 offset:768
	v_fma_f64 v[149:150], v[141:142], v[6:7], v[149:150]
	v_fma_f64 v[155:156], v[139:140], v[6:7], -v[8:9]
	ds_load_b128 v[6:9], v1 offset:784
	scratch_load_b128 v[139:142], off, off offset:400
	s_waitcnt vmcnt(9) lgkmcnt(1)
	v_mul_f64 v[153:154], v[2:3], v[12:13]
	v_mul_f64 v[12:13], v[4:5], v[12:13]
	s_waitcnt vmcnt(8) lgkmcnt(0)
	v_mul_f64 v[157:158], v[6:7], v[16:17]
	v_mul_f64 v[16:17], v[8:9], v[16:17]
	v_add_f64 v[147:148], v[147:148], 0
	v_add_f64 v[151:152], v[151:152], 0
	v_fma_f64 v[153:154], v[4:5], v[10:11], v[153:154]
	v_fma_f64 v[159:160], v[2:3], v[10:11], -v[12:13]
	scratch_load_b128 v[10:13], off, off offset:416
	ds_load_b128 v[2:5], v1 offset:800
	v_add_f64 v[147:148], v[147:148], v[155:156]
	v_add_f64 v[149:150], v[151:152], v[149:150]
	v_fma_f64 v[155:156], v[8:9], v[14:15], v[157:158]
	v_fma_f64 v[157:158], v[6:7], v[14:15], -v[16:17]
	ds_load_b128 v[6:9], v1 offset:816
	scratch_load_b128 v[14:17], off, off offset:432
	s_waitcnt vmcnt(9) lgkmcnt(1)
	v_mul_f64 v[151:152], v[2:3], v[20:21]
	v_mul_f64 v[20:21], v[4:5], v[20:21]
	v_add_f64 v[147:148], v[147:148], v[159:160]
	v_add_f64 v[149:150], v[149:150], v[153:154]
	s_waitcnt vmcnt(8) lgkmcnt(0)
	v_mul_f64 v[153:154], v[6:7], v[24:25]
	v_mul_f64 v[24:25], v[8:9], v[24:25]
	v_fma_f64 v[151:152], v[4:5], v[18:19], v[151:152]
	v_fma_f64 v[159:160], v[2:3], v[18:19], -v[20:21]
	scratch_load_b128 v[18:21], off, off offset:448
	ds_load_b128 v[2:5], v1 offset:832
	v_add_f64 v[147:148], v[147:148], v[157:158]
	v_add_f64 v[149:150], v[149:150], v[155:156]
	v_fma_f64 v[153:154], v[8:9], v[22:23], v[153:154]
	v_fma_f64 v[157:158], v[6:7], v[22:23], -v[24:25]
	ds_load_b128 v[6:9], v1 offset:848
	s_waitcnt vmcnt(8) lgkmcnt(1)
	v_mul_f64 v[155:156], v[2:3], v[28:29]
	v_mul_f64 v[28:29], v[4:5], v[28:29]
	scratch_load_b128 v[22:25], off, off offset:464
	v_add_f64 v[147:148], v[147:148], v[159:160]
	v_add_f64 v[149:150], v[149:150], v[151:152]
	s_waitcnt vmcnt(8) lgkmcnt(0)
	v_mul_f64 v[151:152], v[6:7], v[32:33]
	v_mul_f64 v[32:33], v[8:9], v[32:33]
	v_fma_f64 v[155:156], v[4:5], v[26:27], v[155:156]
	v_fma_f64 v[159:160], v[2:3], v[26:27], -v[28:29]
	scratch_load_b128 v[26:29], off, off offset:480
	ds_load_b128 v[2:5], v1 offset:864
	v_add_f64 v[147:148], v[147:148], v[157:158]
	v_add_f64 v[149:150], v[149:150], v[153:154]
	v_fma_f64 v[151:152], v[8:9], v[30:31], v[151:152]
	v_fma_f64 v[157:158], v[6:7], v[30:31], -v[32:33]
	ds_load_b128 v[6:9], v1 offset:880
	s_waitcnt vmcnt(8) lgkmcnt(1)
	v_mul_f64 v[153:154], v[2:3], v[40:41]
	v_mul_f64 v[40:41], v[4:5], v[40:41]
	scratch_load_b128 v[30:33], off, off offset:496
	v_add_f64 v[147:148], v[147:148], v[159:160]
	v_add_f64 v[149:150], v[149:150], v[155:156]
	v_fma_f64 v[153:154], v[4:5], v[38:39], v[153:154]
	v_fma_f64 v[38:39], v[2:3], v[38:39], -v[40:41]
	ds_load_b128 v[2:5], v1 offset:896
	v_add_f64 v[40:41], v[147:148], v[157:158]
	v_add_f64 v[147:148], v[149:150], v[151:152]
	s_waitcnt vmcnt(7) lgkmcnt(0)
	v_mul_f64 v[149:150], v[2:3], v[36:37]
	v_mul_f64 v[36:37], v[4:5], v[36:37]
	s_delay_alu instid0(VALU_DEP_4) | instskip(NEXT) | instid1(VALU_DEP_4)
	v_add_f64 v[38:39], v[40:41], v[38:39]
	v_add_f64 v[40:41], v[147:148], v[153:154]
	s_delay_alu instid0(VALU_DEP_4) | instskip(NEXT) | instid1(VALU_DEP_4)
	v_fma_f64 v[147:148], v[4:5], v[34:35], v[149:150]
	v_fma_f64 v[149:150], v[2:3], v[34:35], -v[36:37]
	scratch_load_b128 v[34:37], off, off offset:208
	v_mul_f64 v[155:156], v[6:7], v[145:146]
	v_mul_f64 v[145:146], v[8:9], v[145:146]
	ds_load_b128 v[2:5], v1 offset:928
	v_fma_f64 v[151:152], v[8:9], v[143:144], v[155:156]
	v_fma_f64 v[143:144], v[6:7], v[143:144], -v[145:146]
	ds_load_b128 v[6:9], v1 offset:912
	s_waitcnt vmcnt(7) lgkmcnt(0)
	v_mul_f64 v[145:146], v[6:7], v[141:142]
	v_mul_f64 v[141:142], v[8:9], v[141:142]
	v_add_f64 v[40:41], v[40:41], v[151:152]
	v_add_f64 v[38:39], v[38:39], v[143:144]
	s_waitcnt vmcnt(6)
	v_mul_f64 v[143:144], v[2:3], v[12:13]
	v_mul_f64 v[12:13], v[4:5], v[12:13]
	v_fma_f64 v[145:146], v[8:9], v[139:140], v[145:146]
	v_fma_f64 v[139:140], v[6:7], v[139:140], -v[141:142]
	ds_load_b128 v[6:9], v1 offset:944
	v_add_f64 v[40:41], v[40:41], v[147:148]
	v_add_f64 v[38:39], v[38:39], v[149:150]
	v_fma_f64 v[143:144], v[4:5], v[10:11], v[143:144]
	v_fma_f64 v[10:11], v[2:3], v[10:11], -v[12:13]
	ds_load_b128 v[2:5], v1 offset:960
	s_waitcnt vmcnt(5) lgkmcnt(1)
	v_mul_f64 v[141:142], v[6:7], v[16:17]
	v_mul_f64 v[16:17], v[8:9], v[16:17]
	v_add_f64 v[12:13], v[38:39], v[139:140]
	v_add_f64 v[38:39], v[40:41], v[145:146]
	s_waitcnt vmcnt(4) lgkmcnt(0)
	v_mul_f64 v[40:41], v[2:3], v[20:21]
	v_mul_f64 v[20:21], v[4:5], v[20:21]
	v_fma_f64 v[139:140], v[8:9], v[14:15], v[141:142]
	v_fma_f64 v[14:15], v[6:7], v[14:15], -v[16:17]
	ds_load_b128 v[6:9], v1 offset:976
	v_add_f64 v[10:11], v[12:13], v[10:11]
	v_add_f64 v[12:13], v[38:39], v[143:144]
	v_fma_f64 v[38:39], v[4:5], v[18:19], v[40:41]
	v_fma_f64 v[18:19], v[2:3], v[18:19], -v[20:21]
	ds_load_b128 v[2:5], v1 offset:992
	s_waitcnt vmcnt(3) lgkmcnt(1)
	v_mul_f64 v[16:17], v[6:7], v[24:25]
	v_mul_f64 v[24:25], v[8:9], v[24:25]
	s_waitcnt vmcnt(2) lgkmcnt(0)
	v_mul_f64 v[20:21], v[4:5], v[28:29]
	v_add_f64 v[10:11], v[10:11], v[14:15]
	v_add_f64 v[12:13], v[12:13], v[139:140]
	v_mul_f64 v[14:15], v[2:3], v[28:29]
	v_fma_f64 v[16:17], v[8:9], v[22:23], v[16:17]
	v_fma_f64 v[22:23], v[6:7], v[22:23], -v[24:25]
	ds_load_b128 v[6:9], v1 offset:1008
	v_fma_f64 v[1:2], v[2:3], v[26:27], -v[20:21]
	s_waitcnt vmcnt(1) lgkmcnt(0)
	v_mul_f64 v[24:25], v[8:9], v[32:33]
	v_add_f64 v[10:11], v[10:11], v[18:19]
	v_add_f64 v[12:13], v[12:13], v[38:39]
	v_mul_f64 v[18:19], v[6:7], v[32:33]
	v_fma_f64 v[4:5], v[4:5], v[26:27], v[14:15]
	v_fma_f64 v[6:7], v[6:7], v[30:31], -v[24:25]
	v_add_f64 v[10:11], v[10:11], v[22:23]
	v_add_f64 v[12:13], v[12:13], v[16:17]
	v_fma_f64 v[8:9], v[8:9], v[30:31], v[18:19]
	s_delay_alu instid0(VALU_DEP_3) | instskip(NEXT) | instid1(VALU_DEP_3)
	v_add_f64 v[1:2], v[10:11], v[1:2]
	v_add_f64 v[3:4], v[12:13], v[4:5]
	s_delay_alu instid0(VALU_DEP_2) | instskip(NEXT) | instid1(VALU_DEP_2)
	v_add_f64 v[1:2], v[1:2], v[6:7]
	v_add_f64 v[3:4], v[3:4], v[8:9]
	s_waitcnt vmcnt(0)
	s_delay_alu instid0(VALU_DEP_2) | instskip(NEXT) | instid1(VALU_DEP_2)
	v_add_f64 v[1:2], v[34:35], -v[1:2]
	v_add_f64 v[3:4], v[36:37], -v[3:4]
	scratch_store_b128 off, v[1:4], off offset:208
	v_cmpx_lt_u32_e32 12, v106
	s_cbranch_execz .LBB31_181
; %bb.180:
	scratch_load_b128 v[1:4], v126, off
	v_mov_b32_e32 v5, 0
	s_delay_alu instid0(VALU_DEP_1)
	v_mov_b32_e32 v6, v5
	v_mov_b32_e32 v7, v5
	;; [unrolled: 1-line block ×3, first 2 shown]
	scratch_store_b128 off, v[5:8], off offset:192
	s_waitcnt vmcnt(0)
	ds_store_b128 v138, v[1:4]
.LBB31_181:
	s_or_b32 exec_lo, exec_lo, s2
	s_waitcnt lgkmcnt(0)
	s_waitcnt_vscnt null, 0x0
	s_barrier
	buffer_gl0_inv
	s_clause 0x7
	scratch_load_b128 v[2:5], off, off offset:208
	scratch_load_b128 v[6:9], off, off offset:224
	;; [unrolled: 1-line block ×8, first 2 shown]
	v_mov_b32_e32 v1, 0
	s_clause 0x1
	scratch_load_b128 v[38:41], off, off offset:336
	scratch_load_b128 v[143:146], off, off offset:352
	s_mov_b32 s2, exec_lo
	ds_load_b128 v[34:37], v1 offset:720
	ds_load_b128 v[139:142], v1 offset:736
	s_waitcnt vmcnt(9) lgkmcnt(1)
	v_mul_f64 v[147:148], v[36:37], v[4:5]
	v_mul_f64 v[4:5], v[34:35], v[4:5]
	s_waitcnt vmcnt(8) lgkmcnt(0)
	v_mul_f64 v[149:150], v[139:140], v[8:9]
	v_mul_f64 v[8:9], v[141:142], v[8:9]
	s_delay_alu instid0(VALU_DEP_4) | instskip(NEXT) | instid1(VALU_DEP_4)
	v_fma_f64 v[147:148], v[34:35], v[2:3], -v[147:148]
	v_fma_f64 v[151:152], v[36:37], v[2:3], v[4:5]
	ds_load_b128 v[2:5], v1 offset:752
	scratch_load_b128 v[34:37], off, off offset:368
	v_fma_f64 v[149:150], v[141:142], v[6:7], v[149:150]
	v_fma_f64 v[155:156], v[139:140], v[6:7], -v[8:9]
	scratch_load_b128 v[139:142], off, off offset:384
	ds_load_b128 v[6:9], v1 offset:768
	s_waitcnt vmcnt(9) lgkmcnt(1)
	v_mul_f64 v[153:154], v[2:3], v[12:13]
	v_mul_f64 v[12:13], v[4:5], v[12:13]
	s_waitcnt vmcnt(8) lgkmcnt(0)
	v_mul_f64 v[157:158], v[6:7], v[16:17]
	v_mul_f64 v[16:17], v[8:9], v[16:17]
	v_add_f64 v[147:148], v[147:148], 0
	v_add_f64 v[151:152], v[151:152], 0
	v_fma_f64 v[153:154], v[4:5], v[10:11], v[153:154]
	v_fma_f64 v[159:160], v[2:3], v[10:11], -v[12:13]
	ds_load_b128 v[2:5], v1 offset:784
	scratch_load_b128 v[10:13], off, off offset:400
	v_add_f64 v[147:148], v[147:148], v[155:156]
	v_add_f64 v[149:150], v[151:152], v[149:150]
	v_fma_f64 v[155:156], v[8:9], v[14:15], v[157:158]
	v_fma_f64 v[157:158], v[6:7], v[14:15], -v[16:17]
	ds_load_b128 v[6:9], v1 offset:800
	scratch_load_b128 v[14:17], off, off offset:416
	s_waitcnt vmcnt(9) lgkmcnt(1)
	v_mul_f64 v[151:152], v[2:3], v[20:21]
	v_mul_f64 v[20:21], v[4:5], v[20:21]
	v_add_f64 v[147:148], v[147:148], v[159:160]
	v_add_f64 v[149:150], v[149:150], v[153:154]
	s_waitcnt vmcnt(8) lgkmcnt(0)
	v_mul_f64 v[153:154], v[6:7], v[24:25]
	v_mul_f64 v[24:25], v[8:9], v[24:25]
	v_fma_f64 v[151:152], v[4:5], v[18:19], v[151:152]
	v_fma_f64 v[159:160], v[2:3], v[18:19], -v[20:21]
	scratch_load_b128 v[18:21], off, off offset:432
	ds_load_b128 v[2:5], v1 offset:816
	v_add_f64 v[147:148], v[147:148], v[157:158]
	v_add_f64 v[149:150], v[149:150], v[155:156]
	v_fma_f64 v[153:154], v[8:9], v[22:23], v[153:154]
	v_fma_f64 v[157:158], v[6:7], v[22:23], -v[24:25]
	ds_load_b128 v[6:9], v1 offset:832
	s_waitcnt vmcnt(8) lgkmcnt(1)
	v_mul_f64 v[155:156], v[2:3], v[28:29]
	v_mul_f64 v[28:29], v[4:5], v[28:29]
	scratch_load_b128 v[22:25], off, off offset:448
	v_add_f64 v[147:148], v[147:148], v[159:160]
	v_add_f64 v[149:150], v[149:150], v[151:152]
	s_waitcnt vmcnt(8) lgkmcnt(0)
	v_mul_f64 v[151:152], v[6:7], v[32:33]
	v_mul_f64 v[32:33], v[8:9], v[32:33]
	v_fma_f64 v[155:156], v[4:5], v[26:27], v[155:156]
	v_fma_f64 v[159:160], v[2:3], v[26:27], -v[28:29]
	scratch_load_b128 v[26:29], off, off offset:464
	ds_load_b128 v[2:5], v1 offset:848
	v_add_f64 v[147:148], v[147:148], v[157:158]
	v_add_f64 v[149:150], v[149:150], v[153:154]
	v_fma_f64 v[151:152], v[8:9], v[30:31], v[151:152]
	v_fma_f64 v[157:158], v[6:7], v[30:31], -v[32:33]
	ds_load_b128 v[6:9], v1 offset:864
	s_waitcnt vmcnt(8) lgkmcnt(1)
	v_mul_f64 v[153:154], v[2:3], v[40:41]
	v_mul_f64 v[40:41], v[4:5], v[40:41]
	scratch_load_b128 v[30:33], off, off offset:480
	v_add_f64 v[147:148], v[147:148], v[159:160]
	v_add_f64 v[149:150], v[149:150], v[155:156]
	s_waitcnt vmcnt(8) lgkmcnt(0)
	v_mul_f64 v[155:156], v[6:7], v[145:146]
	v_mul_f64 v[145:146], v[8:9], v[145:146]
	v_fma_f64 v[153:154], v[4:5], v[38:39], v[153:154]
	v_fma_f64 v[159:160], v[2:3], v[38:39], -v[40:41]
	scratch_load_b128 v[38:41], off, off offset:496
	ds_load_b128 v[2:5], v1 offset:880
	v_add_f64 v[147:148], v[147:148], v[157:158]
	v_add_f64 v[149:150], v[149:150], v[151:152]
	v_fma_f64 v[155:156], v[8:9], v[143:144], v[155:156]
	v_fma_f64 v[143:144], v[6:7], v[143:144], -v[145:146]
	ds_load_b128 v[6:9], v1 offset:896
	s_waitcnt vmcnt(8) lgkmcnt(1)
	v_mul_f64 v[151:152], v[2:3], v[36:37]
	v_mul_f64 v[36:37], v[4:5], v[36:37]
	v_add_f64 v[145:146], v[147:148], v[159:160]
	v_add_f64 v[147:148], v[149:150], v[153:154]
	s_waitcnt vmcnt(7) lgkmcnt(0)
	v_mul_f64 v[149:150], v[6:7], v[141:142]
	v_mul_f64 v[141:142], v[8:9], v[141:142]
	v_fma_f64 v[151:152], v[4:5], v[34:35], v[151:152]
	v_fma_f64 v[34:35], v[2:3], v[34:35], -v[36:37]
	ds_load_b128 v[2:5], v1 offset:912
	v_add_f64 v[36:37], v[145:146], v[143:144]
	v_add_f64 v[143:144], v[147:148], v[155:156]
	v_fma_f64 v[147:148], v[8:9], v[139:140], v[149:150]
	v_fma_f64 v[139:140], v[6:7], v[139:140], -v[141:142]
	ds_load_b128 v[6:9], v1 offset:928
	s_waitcnt vmcnt(5) lgkmcnt(0)
	v_mul_f64 v[149:150], v[6:7], v[16:17]
	v_mul_f64 v[16:17], v[8:9], v[16:17]
	v_add_f64 v[141:142], v[36:37], v[34:35]
	v_add_f64 v[143:144], v[143:144], v[151:152]
	scratch_load_b128 v[34:37], off, off offset:192
	v_mul_f64 v[145:146], v[2:3], v[12:13]
	v_mul_f64 v[12:13], v[4:5], v[12:13]
	s_delay_alu instid0(VALU_DEP_2) | instskip(NEXT) | instid1(VALU_DEP_2)
	v_fma_f64 v[145:146], v[4:5], v[10:11], v[145:146]
	v_fma_f64 v[10:11], v[2:3], v[10:11], -v[12:13]
	v_add_f64 v[12:13], v[141:142], v[139:140]
	v_add_f64 v[139:140], v[143:144], v[147:148]
	ds_load_b128 v[2:5], v1 offset:944
	v_fma_f64 v[143:144], v[8:9], v[14:15], v[149:150]
	v_fma_f64 v[14:15], v[6:7], v[14:15], -v[16:17]
	ds_load_b128 v[6:9], v1 offset:960
	s_waitcnt vmcnt(5) lgkmcnt(1)
	v_mul_f64 v[141:142], v[2:3], v[20:21]
	v_mul_f64 v[20:21], v[4:5], v[20:21]
	s_waitcnt vmcnt(4) lgkmcnt(0)
	v_mul_f64 v[16:17], v[6:7], v[24:25]
	v_mul_f64 v[24:25], v[8:9], v[24:25]
	v_add_f64 v[10:11], v[12:13], v[10:11]
	v_add_f64 v[12:13], v[139:140], v[145:146]
	v_fma_f64 v[139:140], v[4:5], v[18:19], v[141:142]
	v_fma_f64 v[18:19], v[2:3], v[18:19], -v[20:21]
	ds_load_b128 v[2:5], v1 offset:976
	v_fma_f64 v[16:17], v[8:9], v[22:23], v[16:17]
	v_fma_f64 v[22:23], v[6:7], v[22:23], -v[24:25]
	ds_load_b128 v[6:9], v1 offset:992
	v_add_f64 v[10:11], v[10:11], v[14:15]
	v_add_f64 v[12:13], v[12:13], v[143:144]
	s_waitcnt vmcnt(3) lgkmcnt(1)
	v_mul_f64 v[14:15], v[2:3], v[28:29]
	v_mul_f64 v[20:21], v[4:5], v[28:29]
	s_waitcnt vmcnt(2) lgkmcnt(0)
	v_mul_f64 v[24:25], v[8:9], v[32:33]
	v_add_f64 v[10:11], v[10:11], v[18:19]
	v_add_f64 v[12:13], v[12:13], v[139:140]
	v_mul_f64 v[18:19], v[6:7], v[32:33]
	v_fma_f64 v[14:15], v[4:5], v[26:27], v[14:15]
	v_fma_f64 v[20:21], v[2:3], v[26:27], -v[20:21]
	ds_load_b128 v[2:5], v1 offset:1008
	v_fma_f64 v[6:7], v[6:7], v[30:31], -v[24:25]
	v_add_f64 v[10:11], v[10:11], v[22:23]
	v_add_f64 v[12:13], v[12:13], v[16:17]
	s_waitcnt vmcnt(1) lgkmcnt(0)
	v_mul_f64 v[16:17], v[2:3], v[40:41]
	v_mul_f64 v[22:23], v[4:5], v[40:41]
	v_fma_f64 v[8:9], v[8:9], v[30:31], v[18:19]
	v_add_f64 v[10:11], v[10:11], v[20:21]
	v_add_f64 v[12:13], v[12:13], v[14:15]
	v_fma_f64 v[4:5], v[4:5], v[38:39], v[16:17]
	v_fma_f64 v[2:3], v[2:3], v[38:39], -v[22:23]
	s_delay_alu instid0(VALU_DEP_4) | instskip(NEXT) | instid1(VALU_DEP_4)
	v_add_f64 v[6:7], v[10:11], v[6:7]
	v_add_f64 v[8:9], v[12:13], v[8:9]
	s_delay_alu instid0(VALU_DEP_2) | instskip(NEXT) | instid1(VALU_DEP_2)
	v_add_f64 v[2:3], v[6:7], v[2:3]
	v_add_f64 v[4:5], v[8:9], v[4:5]
	s_waitcnt vmcnt(0)
	s_delay_alu instid0(VALU_DEP_2) | instskip(NEXT) | instid1(VALU_DEP_2)
	v_add_f64 v[2:3], v[34:35], -v[2:3]
	v_add_f64 v[4:5], v[36:37], -v[4:5]
	scratch_store_b128 off, v[2:5], off offset:192
	v_cmpx_lt_u32_e32 11, v106
	s_cbranch_execz .LBB31_183
; %bb.182:
	scratch_load_b128 v[5:8], v128, off
	v_mov_b32_e32 v2, v1
	v_mov_b32_e32 v3, v1
	;; [unrolled: 1-line block ×3, first 2 shown]
	scratch_store_b128 off, v[1:4], off offset:176
	s_waitcnt vmcnt(0)
	ds_store_b128 v138, v[5:8]
.LBB31_183:
	s_or_b32 exec_lo, exec_lo, s2
	s_waitcnt lgkmcnt(0)
	s_waitcnt_vscnt null, 0x0
	s_barrier
	buffer_gl0_inv
	s_clause 0x7
	scratch_load_b128 v[2:5], off, off offset:192
	scratch_load_b128 v[6:9], off, off offset:208
	;; [unrolled: 1-line block ×8, first 2 shown]
	ds_load_b128 v[34:37], v1 offset:704
	ds_load_b128 v[139:142], v1 offset:720
	s_clause 0x1
	scratch_load_b128 v[38:41], off, off offset:320
	scratch_load_b128 v[143:146], off, off offset:336
	s_mov_b32 s2, exec_lo
	s_waitcnt vmcnt(9) lgkmcnt(1)
	v_mul_f64 v[147:148], v[36:37], v[4:5]
	v_mul_f64 v[4:5], v[34:35], v[4:5]
	s_waitcnt vmcnt(8) lgkmcnt(0)
	v_mul_f64 v[149:150], v[139:140], v[8:9]
	v_mul_f64 v[8:9], v[141:142], v[8:9]
	s_delay_alu instid0(VALU_DEP_4) | instskip(NEXT) | instid1(VALU_DEP_4)
	v_fma_f64 v[147:148], v[34:35], v[2:3], -v[147:148]
	v_fma_f64 v[151:152], v[36:37], v[2:3], v[4:5]
	ds_load_b128 v[2:5], v1 offset:736
	scratch_load_b128 v[34:37], off, off offset:352
	v_fma_f64 v[149:150], v[141:142], v[6:7], v[149:150]
	v_fma_f64 v[155:156], v[139:140], v[6:7], -v[8:9]
	ds_load_b128 v[6:9], v1 offset:752
	scratch_load_b128 v[139:142], off, off offset:368
	s_waitcnt vmcnt(9) lgkmcnt(1)
	v_mul_f64 v[153:154], v[2:3], v[12:13]
	v_mul_f64 v[12:13], v[4:5], v[12:13]
	s_waitcnt vmcnt(8) lgkmcnt(0)
	v_mul_f64 v[157:158], v[6:7], v[16:17]
	v_mul_f64 v[16:17], v[8:9], v[16:17]
	v_add_f64 v[147:148], v[147:148], 0
	v_add_f64 v[151:152], v[151:152], 0
	v_fma_f64 v[153:154], v[4:5], v[10:11], v[153:154]
	v_fma_f64 v[159:160], v[2:3], v[10:11], -v[12:13]
	scratch_load_b128 v[10:13], off, off offset:384
	ds_load_b128 v[2:5], v1 offset:768
	v_add_f64 v[147:148], v[147:148], v[155:156]
	v_add_f64 v[149:150], v[151:152], v[149:150]
	v_fma_f64 v[155:156], v[8:9], v[14:15], v[157:158]
	v_fma_f64 v[157:158], v[6:7], v[14:15], -v[16:17]
	ds_load_b128 v[6:9], v1 offset:784
	scratch_load_b128 v[14:17], off, off offset:400
	s_waitcnt vmcnt(9) lgkmcnt(1)
	v_mul_f64 v[151:152], v[2:3], v[20:21]
	v_mul_f64 v[20:21], v[4:5], v[20:21]
	v_add_f64 v[147:148], v[147:148], v[159:160]
	v_add_f64 v[149:150], v[149:150], v[153:154]
	s_waitcnt vmcnt(8) lgkmcnt(0)
	v_mul_f64 v[153:154], v[6:7], v[24:25]
	v_mul_f64 v[24:25], v[8:9], v[24:25]
	v_fma_f64 v[151:152], v[4:5], v[18:19], v[151:152]
	v_fma_f64 v[159:160], v[2:3], v[18:19], -v[20:21]
	scratch_load_b128 v[18:21], off, off offset:416
	ds_load_b128 v[2:5], v1 offset:800
	v_add_f64 v[147:148], v[147:148], v[157:158]
	v_add_f64 v[149:150], v[149:150], v[155:156]
	v_fma_f64 v[153:154], v[8:9], v[22:23], v[153:154]
	v_fma_f64 v[157:158], v[6:7], v[22:23], -v[24:25]
	ds_load_b128 v[6:9], v1 offset:816
	s_waitcnt vmcnt(8) lgkmcnt(1)
	v_mul_f64 v[155:156], v[2:3], v[28:29]
	v_mul_f64 v[28:29], v[4:5], v[28:29]
	scratch_load_b128 v[22:25], off, off offset:432
	v_add_f64 v[147:148], v[147:148], v[159:160]
	v_add_f64 v[149:150], v[149:150], v[151:152]
	s_waitcnt vmcnt(8) lgkmcnt(0)
	v_mul_f64 v[151:152], v[6:7], v[32:33]
	v_mul_f64 v[32:33], v[8:9], v[32:33]
	v_fma_f64 v[155:156], v[4:5], v[26:27], v[155:156]
	v_fma_f64 v[159:160], v[2:3], v[26:27], -v[28:29]
	scratch_load_b128 v[26:29], off, off offset:448
	ds_load_b128 v[2:5], v1 offset:832
	v_add_f64 v[147:148], v[147:148], v[157:158]
	v_add_f64 v[149:150], v[149:150], v[153:154]
	v_fma_f64 v[151:152], v[8:9], v[30:31], v[151:152]
	v_fma_f64 v[157:158], v[6:7], v[30:31], -v[32:33]
	ds_load_b128 v[6:9], v1 offset:848
	s_waitcnt vmcnt(8) lgkmcnt(1)
	v_mul_f64 v[153:154], v[2:3], v[40:41]
	v_mul_f64 v[40:41], v[4:5], v[40:41]
	scratch_load_b128 v[30:33], off, off offset:464
	v_add_f64 v[147:148], v[147:148], v[159:160]
	v_add_f64 v[149:150], v[149:150], v[155:156]
	s_waitcnt vmcnt(8) lgkmcnt(0)
	v_mul_f64 v[155:156], v[6:7], v[145:146]
	v_mul_f64 v[145:146], v[8:9], v[145:146]
	v_fma_f64 v[153:154], v[4:5], v[38:39], v[153:154]
	v_fma_f64 v[159:160], v[2:3], v[38:39], -v[40:41]
	scratch_load_b128 v[38:41], off, off offset:480
	ds_load_b128 v[2:5], v1 offset:864
	v_add_f64 v[147:148], v[147:148], v[157:158]
	v_add_f64 v[149:150], v[149:150], v[151:152]
	v_fma_f64 v[155:156], v[8:9], v[143:144], v[155:156]
	v_fma_f64 v[157:158], v[6:7], v[143:144], -v[145:146]
	ds_load_b128 v[6:9], v1 offset:880
	scratch_load_b128 v[143:146], off, off offset:496
	s_waitcnt vmcnt(9) lgkmcnt(1)
	v_mul_f64 v[151:152], v[2:3], v[36:37]
	v_mul_f64 v[36:37], v[4:5], v[36:37]
	v_add_f64 v[147:148], v[147:148], v[159:160]
	v_add_f64 v[149:150], v[149:150], v[153:154]
	s_delay_alu instid0(VALU_DEP_4) | instskip(NEXT) | instid1(VALU_DEP_4)
	v_fma_f64 v[151:152], v[4:5], v[34:35], v[151:152]
	v_fma_f64 v[34:35], v[2:3], v[34:35], -v[36:37]
	ds_load_b128 v[2:5], v1 offset:896
	v_add_f64 v[36:37], v[147:148], v[157:158]
	v_add_f64 v[147:148], v[149:150], v[155:156]
	s_waitcnt vmcnt(7) lgkmcnt(0)
	v_mul_f64 v[149:150], v[2:3], v[12:13]
	v_mul_f64 v[12:13], v[4:5], v[12:13]
	s_delay_alu instid0(VALU_DEP_4) | instskip(NEXT) | instid1(VALU_DEP_4)
	v_add_f64 v[34:35], v[36:37], v[34:35]
	v_add_f64 v[36:37], v[147:148], v[151:152]
	s_delay_alu instid0(VALU_DEP_4) | instskip(NEXT) | instid1(VALU_DEP_4)
	v_fma_f64 v[147:148], v[4:5], v[10:11], v[149:150]
	v_fma_f64 v[149:150], v[2:3], v[10:11], -v[12:13]
	scratch_load_b128 v[10:13], off, off offset:176
	v_mul_f64 v[153:154], v[6:7], v[141:142]
	v_mul_f64 v[141:142], v[8:9], v[141:142]
	ds_load_b128 v[2:5], v1 offset:928
	v_fma_f64 v[153:154], v[8:9], v[139:140], v[153:154]
	v_fma_f64 v[139:140], v[6:7], v[139:140], -v[141:142]
	ds_load_b128 v[6:9], v1 offset:912
	s_waitcnt vmcnt(7) lgkmcnt(0)
	v_mul_f64 v[141:142], v[6:7], v[16:17]
	v_mul_f64 v[16:17], v[8:9], v[16:17]
	v_add_f64 v[36:37], v[36:37], v[153:154]
	v_add_f64 v[34:35], v[34:35], v[139:140]
	s_waitcnt vmcnt(6)
	v_mul_f64 v[139:140], v[2:3], v[20:21]
	v_mul_f64 v[20:21], v[4:5], v[20:21]
	v_fma_f64 v[141:142], v[8:9], v[14:15], v[141:142]
	v_fma_f64 v[14:15], v[6:7], v[14:15], -v[16:17]
	ds_load_b128 v[6:9], v1 offset:944
	v_add_f64 v[16:17], v[34:35], v[149:150]
	v_add_f64 v[34:35], v[36:37], v[147:148]
	v_fma_f64 v[139:140], v[4:5], v[18:19], v[139:140]
	v_fma_f64 v[18:19], v[2:3], v[18:19], -v[20:21]
	ds_load_b128 v[2:5], v1 offset:960
	s_waitcnt vmcnt(5) lgkmcnt(1)
	v_mul_f64 v[36:37], v[6:7], v[24:25]
	v_mul_f64 v[24:25], v[8:9], v[24:25]
	s_waitcnt vmcnt(4) lgkmcnt(0)
	v_mul_f64 v[20:21], v[2:3], v[28:29]
	v_mul_f64 v[28:29], v[4:5], v[28:29]
	v_add_f64 v[14:15], v[16:17], v[14:15]
	v_add_f64 v[16:17], v[34:35], v[141:142]
	v_fma_f64 v[34:35], v[8:9], v[22:23], v[36:37]
	v_fma_f64 v[22:23], v[6:7], v[22:23], -v[24:25]
	ds_load_b128 v[6:9], v1 offset:976
	v_fma_f64 v[20:21], v[4:5], v[26:27], v[20:21]
	v_fma_f64 v[26:27], v[2:3], v[26:27], -v[28:29]
	ds_load_b128 v[2:5], v1 offset:992
	s_waitcnt vmcnt(3) lgkmcnt(1)
	v_mul_f64 v[24:25], v[8:9], v[32:33]
	v_add_f64 v[14:15], v[14:15], v[18:19]
	v_add_f64 v[16:17], v[16:17], v[139:140]
	v_mul_f64 v[18:19], v[6:7], v[32:33]
	s_waitcnt vmcnt(2) lgkmcnt(0)
	v_mul_f64 v[28:29], v[4:5], v[40:41]
	v_fma_f64 v[24:25], v[6:7], v[30:31], -v[24:25]
	v_add_f64 v[14:15], v[14:15], v[22:23]
	v_add_f64 v[16:17], v[16:17], v[34:35]
	v_mul_f64 v[22:23], v[2:3], v[40:41]
	v_fma_f64 v[18:19], v[8:9], v[30:31], v[18:19]
	ds_load_b128 v[6:9], v1 offset:1008
	v_fma_f64 v[1:2], v[2:3], v[38:39], -v[28:29]
	v_add_f64 v[14:15], v[14:15], v[26:27]
	v_add_f64 v[16:17], v[16:17], v[20:21]
	s_waitcnt vmcnt(1) lgkmcnt(0)
	v_mul_f64 v[20:21], v[6:7], v[145:146]
	v_mul_f64 v[26:27], v[8:9], v[145:146]
	v_fma_f64 v[4:5], v[4:5], v[38:39], v[22:23]
	v_add_f64 v[14:15], v[14:15], v[24:25]
	v_add_f64 v[16:17], v[16:17], v[18:19]
	v_fma_f64 v[8:9], v[8:9], v[143:144], v[20:21]
	v_fma_f64 v[6:7], v[6:7], v[143:144], -v[26:27]
	s_delay_alu instid0(VALU_DEP_4) | instskip(NEXT) | instid1(VALU_DEP_4)
	v_add_f64 v[1:2], v[14:15], v[1:2]
	v_add_f64 v[3:4], v[16:17], v[4:5]
	s_delay_alu instid0(VALU_DEP_2) | instskip(NEXT) | instid1(VALU_DEP_2)
	v_add_f64 v[1:2], v[1:2], v[6:7]
	v_add_f64 v[3:4], v[3:4], v[8:9]
	s_waitcnt vmcnt(0)
	s_delay_alu instid0(VALU_DEP_2) | instskip(NEXT) | instid1(VALU_DEP_2)
	v_add_f64 v[1:2], v[10:11], -v[1:2]
	v_add_f64 v[3:4], v[12:13], -v[3:4]
	scratch_store_b128 off, v[1:4], off offset:176
	v_cmpx_lt_u32_e32 10, v106
	s_cbranch_execz .LBB31_185
; %bb.184:
	scratch_load_b128 v[1:4], v127, off
	v_mov_b32_e32 v5, 0
	s_delay_alu instid0(VALU_DEP_1)
	v_mov_b32_e32 v6, v5
	v_mov_b32_e32 v7, v5
	;; [unrolled: 1-line block ×3, first 2 shown]
	scratch_store_b128 off, v[5:8], off offset:160
	s_waitcnt vmcnt(0)
	ds_store_b128 v138, v[1:4]
.LBB31_185:
	s_or_b32 exec_lo, exec_lo, s2
	s_waitcnt lgkmcnt(0)
	s_waitcnt_vscnt null, 0x0
	s_barrier
	buffer_gl0_inv
	s_clause 0x7
	scratch_load_b128 v[2:5], off, off offset:176
	scratch_load_b128 v[6:9], off, off offset:192
	;; [unrolled: 1-line block ×8, first 2 shown]
	v_mov_b32_e32 v1, 0
	s_clause 0x1
	scratch_load_b128 v[38:41], off, off offset:304
	scratch_load_b128 v[143:146], off, off offset:320
	s_mov_b32 s2, exec_lo
	ds_load_b128 v[34:37], v1 offset:688
	ds_load_b128 v[139:142], v1 offset:704
	s_waitcnt vmcnt(9) lgkmcnt(1)
	v_mul_f64 v[147:148], v[36:37], v[4:5]
	v_mul_f64 v[4:5], v[34:35], v[4:5]
	s_waitcnt vmcnt(8) lgkmcnt(0)
	v_mul_f64 v[149:150], v[139:140], v[8:9]
	v_mul_f64 v[8:9], v[141:142], v[8:9]
	s_delay_alu instid0(VALU_DEP_4) | instskip(NEXT) | instid1(VALU_DEP_4)
	v_fma_f64 v[147:148], v[34:35], v[2:3], -v[147:148]
	v_fma_f64 v[151:152], v[36:37], v[2:3], v[4:5]
	ds_load_b128 v[2:5], v1 offset:720
	scratch_load_b128 v[34:37], off, off offset:336
	v_fma_f64 v[149:150], v[141:142], v[6:7], v[149:150]
	v_fma_f64 v[155:156], v[139:140], v[6:7], -v[8:9]
	scratch_load_b128 v[139:142], off, off offset:352
	ds_load_b128 v[6:9], v1 offset:736
	s_waitcnt vmcnt(9) lgkmcnt(1)
	v_mul_f64 v[153:154], v[2:3], v[12:13]
	v_mul_f64 v[12:13], v[4:5], v[12:13]
	s_waitcnt vmcnt(8) lgkmcnt(0)
	v_mul_f64 v[157:158], v[6:7], v[16:17]
	v_mul_f64 v[16:17], v[8:9], v[16:17]
	v_add_f64 v[147:148], v[147:148], 0
	v_add_f64 v[151:152], v[151:152], 0
	v_fma_f64 v[153:154], v[4:5], v[10:11], v[153:154]
	v_fma_f64 v[159:160], v[2:3], v[10:11], -v[12:13]
	ds_load_b128 v[2:5], v1 offset:752
	scratch_load_b128 v[10:13], off, off offset:368
	v_add_f64 v[147:148], v[147:148], v[155:156]
	v_add_f64 v[149:150], v[151:152], v[149:150]
	v_fma_f64 v[155:156], v[8:9], v[14:15], v[157:158]
	v_fma_f64 v[157:158], v[6:7], v[14:15], -v[16:17]
	scratch_load_b128 v[14:17], off, off offset:384
	ds_load_b128 v[6:9], v1 offset:768
	s_waitcnt vmcnt(9) lgkmcnt(1)
	v_mul_f64 v[151:152], v[2:3], v[20:21]
	v_mul_f64 v[20:21], v[4:5], v[20:21]
	v_add_f64 v[147:148], v[147:148], v[159:160]
	v_add_f64 v[149:150], v[149:150], v[153:154]
	s_waitcnt vmcnt(8) lgkmcnt(0)
	v_mul_f64 v[153:154], v[6:7], v[24:25]
	v_mul_f64 v[24:25], v[8:9], v[24:25]
	v_fma_f64 v[151:152], v[4:5], v[18:19], v[151:152]
	v_fma_f64 v[159:160], v[2:3], v[18:19], -v[20:21]
	ds_load_b128 v[2:5], v1 offset:784
	scratch_load_b128 v[18:21], off, off offset:400
	v_add_f64 v[147:148], v[147:148], v[157:158]
	v_add_f64 v[149:150], v[149:150], v[155:156]
	v_fma_f64 v[153:154], v[8:9], v[22:23], v[153:154]
	v_fma_f64 v[157:158], v[6:7], v[22:23], -v[24:25]
	ds_load_b128 v[6:9], v1 offset:800
	s_waitcnt vmcnt(8) lgkmcnt(1)
	v_mul_f64 v[155:156], v[2:3], v[28:29]
	v_mul_f64 v[28:29], v[4:5], v[28:29]
	scratch_load_b128 v[22:25], off, off offset:416
	v_add_f64 v[147:148], v[147:148], v[159:160]
	v_add_f64 v[149:150], v[149:150], v[151:152]
	s_waitcnt vmcnt(8) lgkmcnt(0)
	v_mul_f64 v[151:152], v[6:7], v[32:33]
	v_mul_f64 v[32:33], v[8:9], v[32:33]
	v_fma_f64 v[155:156], v[4:5], v[26:27], v[155:156]
	v_fma_f64 v[159:160], v[2:3], v[26:27], -v[28:29]
	scratch_load_b128 v[26:29], off, off offset:432
	ds_load_b128 v[2:5], v1 offset:816
	v_add_f64 v[147:148], v[147:148], v[157:158]
	v_add_f64 v[149:150], v[149:150], v[153:154]
	v_fma_f64 v[151:152], v[8:9], v[30:31], v[151:152]
	v_fma_f64 v[157:158], v[6:7], v[30:31], -v[32:33]
	ds_load_b128 v[6:9], v1 offset:832
	s_waitcnt vmcnt(8) lgkmcnt(1)
	v_mul_f64 v[153:154], v[2:3], v[40:41]
	v_mul_f64 v[40:41], v[4:5], v[40:41]
	scratch_load_b128 v[30:33], off, off offset:448
	v_add_f64 v[147:148], v[147:148], v[159:160]
	v_add_f64 v[149:150], v[149:150], v[155:156]
	s_waitcnt vmcnt(8) lgkmcnt(0)
	v_mul_f64 v[155:156], v[6:7], v[145:146]
	v_mul_f64 v[145:146], v[8:9], v[145:146]
	v_fma_f64 v[153:154], v[4:5], v[38:39], v[153:154]
	v_fma_f64 v[159:160], v[2:3], v[38:39], -v[40:41]
	scratch_load_b128 v[38:41], off, off offset:464
	ds_load_b128 v[2:5], v1 offset:848
	v_add_f64 v[147:148], v[147:148], v[157:158]
	v_add_f64 v[149:150], v[149:150], v[151:152]
	v_fma_f64 v[155:156], v[8:9], v[143:144], v[155:156]
	v_fma_f64 v[157:158], v[6:7], v[143:144], -v[145:146]
	ds_load_b128 v[6:9], v1 offset:864
	scratch_load_b128 v[143:146], off, off offset:480
	s_waitcnt vmcnt(9) lgkmcnt(1)
	v_mul_f64 v[151:152], v[2:3], v[36:37]
	v_mul_f64 v[36:37], v[4:5], v[36:37]
	v_add_f64 v[147:148], v[147:148], v[159:160]
	v_add_f64 v[149:150], v[149:150], v[153:154]
	s_waitcnt vmcnt(8) lgkmcnt(0)
	v_mul_f64 v[153:154], v[6:7], v[141:142]
	v_mul_f64 v[141:142], v[8:9], v[141:142]
	v_fma_f64 v[151:152], v[4:5], v[34:35], v[151:152]
	v_fma_f64 v[159:160], v[2:3], v[34:35], -v[36:37]
	scratch_load_b128 v[34:37], off, off offset:496
	ds_load_b128 v[2:5], v1 offset:880
	v_add_f64 v[147:148], v[147:148], v[157:158]
	v_add_f64 v[149:150], v[149:150], v[155:156]
	v_fma_f64 v[153:154], v[8:9], v[139:140], v[153:154]
	v_fma_f64 v[139:140], v[6:7], v[139:140], -v[141:142]
	ds_load_b128 v[6:9], v1 offset:896
	s_waitcnt vmcnt(8) lgkmcnt(1)
	v_mul_f64 v[155:156], v[2:3], v[12:13]
	v_mul_f64 v[12:13], v[4:5], v[12:13]
	v_add_f64 v[141:142], v[147:148], v[159:160]
	v_add_f64 v[147:148], v[149:150], v[151:152]
	s_waitcnt vmcnt(7) lgkmcnt(0)
	v_mul_f64 v[149:150], v[6:7], v[16:17]
	v_mul_f64 v[16:17], v[8:9], v[16:17]
	v_fma_f64 v[151:152], v[4:5], v[10:11], v[155:156]
	v_fma_f64 v[10:11], v[2:3], v[10:11], -v[12:13]
	ds_load_b128 v[2:5], v1 offset:912
	v_add_f64 v[12:13], v[141:142], v[139:140]
	v_add_f64 v[139:140], v[147:148], v[153:154]
	v_fma_f64 v[147:148], v[8:9], v[14:15], v[149:150]
	v_fma_f64 v[14:15], v[6:7], v[14:15], -v[16:17]
	ds_load_b128 v[6:9], v1 offset:928
	s_waitcnt vmcnt(5) lgkmcnt(0)
	v_mul_f64 v[149:150], v[6:7], v[24:25]
	v_mul_f64 v[24:25], v[8:9], v[24:25]
	v_add_f64 v[16:17], v[12:13], v[10:11]
	v_add_f64 v[139:140], v[139:140], v[151:152]
	scratch_load_b128 v[10:13], off, off offset:160
	v_mul_f64 v[141:142], v[2:3], v[20:21]
	v_mul_f64 v[20:21], v[4:5], v[20:21]
	v_add_f64 v[14:15], v[16:17], v[14:15]
	v_add_f64 v[16:17], v[139:140], v[147:148]
	v_fma_f64 v[139:140], v[8:9], v[22:23], v[149:150]
	v_fma_f64 v[141:142], v[4:5], v[18:19], v[141:142]
	v_fma_f64 v[18:19], v[2:3], v[18:19], -v[20:21]
	ds_load_b128 v[2:5], v1 offset:944
	v_fma_f64 v[22:23], v[6:7], v[22:23], -v[24:25]
	ds_load_b128 v[6:9], v1 offset:960
	s_waitcnt vmcnt(5) lgkmcnt(1)
	v_mul_f64 v[20:21], v[2:3], v[28:29]
	v_mul_f64 v[28:29], v[4:5], v[28:29]
	s_waitcnt vmcnt(4) lgkmcnt(0)
	v_mul_f64 v[24:25], v[8:9], v[32:33]
	v_add_f64 v[16:17], v[16:17], v[141:142]
	v_add_f64 v[14:15], v[14:15], v[18:19]
	v_mul_f64 v[18:19], v[6:7], v[32:33]
	v_fma_f64 v[20:21], v[4:5], v[26:27], v[20:21]
	v_fma_f64 v[26:27], v[2:3], v[26:27], -v[28:29]
	ds_load_b128 v[2:5], v1 offset:976
	v_fma_f64 v[24:25], v[6:7], v[30:31], -v[24:25]
	v_add_f64 v[16:17], v[16:17], v[139:140]
	v_add_f64 v[14:15], v[14:15], v[22:23]
	v_fma_f64 v[18:19], v[8:9], v[30:31], v[18:19]
	ds_load_b128 v[6:9], v1 offset:992
	s_waitcnt vmcnt(3) lgkmcnt(1)
	v_mul_f64 v[22:23], v[2:3], v[40:41]
	v_mul_f64 v[28:29], v[4:5], v[40:41]
	v_add_f64 v[16:17], v[16:17], v[20:21]
	v_add_f64 v[14:15], v[14:15], v[26:27]
	s_waitcnt vmcnt(2) lgkmcnt(0)
	v_mul_f64 v[20:21], v[6:7], v[145:146]
	v_mul_f64 v[26:27], v[8:9], v[145:146]
	v_fma_f64 v[22:23], v[4:5], v[38:39], v[22:23]
	v_fma_f64 v[28:29], v[2:3], v[38:39], -v[28:29]
	ds_load_b128 v[2:5], v1 offset:1008
	v_add_f64 v[16:17], v[16:17], v[18:19]
	v_add_f64 v[14:15], v[14:15], v[24:25]
	s_waitcnt vmcnt(1) lgkmcnt(0)
	v_mul_f64 v[18:19], v[2:3], v[36:37]
	v_mul_f64 v[24:25], v[4:5], v[36:37]
	v_fma_f64 v[8:9], v[8:9], v[143:144], v[20:21]
	v_fma_f64 v[6:7], v[6:7], v[143:144], -v[26:27]
	v_add_f64 v[16:17], v[16:17], v[22:23]
	v_add_f64 v[14:15], v[14:15], v[28:29]
	v_fma_f64 v[4:5], v[4:5], v[34:35], v[18:19]
	v_fma_f64 v[2:3], v[2:3], v[34:35], -v[24:25]
	s_delay_alu instid0(VALU_DEP_4) | instskip(NEXT) | instid1(VALU_DEP_4)
	v_add_f64 v[8:9], v[16:17], v[8:9]
	v_add_f64 v[6:7], v[14:15], v[6:7]
	s_delay_alu instid0(VALU_DEP_2) | instskip(NEXT) | instid1(VALU_DEP_2)
	v_add_f64 v[4:5], v[8:9], v[4:5]
	v_add_f64 v[2:3], v[6:7], v[2:3]
	s_waitcnt vmcnt(0)
	s_delay_alu instid0(VALU_DEP_2) | instskip(NEXT) | instid1(VALU_DEP_2)
	v_add_f64 v[4:5], v[12:13], -v[4:5]
	v_add_f64 v[2:3], v[10:11], -v[2:3]
	scratch_store_b128 off, v[2:5], off offset:160
	v_cmpx_lt_u32_e32 9, v106
	s_cbranch_execz .LBB31_187
; %bb.186:
	scratch_load_b128 v[5:8], v129, off
	v_mov_b32_e32 v2, v1
	v_mov_b32_e32 v3, v1
	;; [unrolled: 1-line block ×3, first 2 shown]
	scratch_store_b128 off, v[1:4], off offset:144
	s_waitcnt vmcnt(0)
	ds_store_b128 v138, v[5:8]
.LBB31_187:
	s_or_b32 exec_lo, exec_lo, s2
	s_waitcnt lgkmcnt(0)
	s_waitcnt_vscnt null, 0x0
	s_barrier
	buffer_gl0_inv
	s_clause 0x7
	scratch_load_b128 v[2:5], off, off offset:160
	scratch_load_b128 v[6:9], off, off offset:176
	;; [unrolled: 1-line block ×8, first 2 shown]
	ds_load_b128 v[34:37], v1 offset:672
	ds_load_b128 v[139:142], v1 offset:688
	s_clause 0x1
	scratch_load_b128 v[38:41], off, off offset:288
	scratch_load_b128 v[143:146], off, off offset:304
	s_mov_b32 s2, exec_lo
	s_waitcnt vmcnt(9) lgkmcnt(1)
	v_mul_f64 v[147:148], v[36:37], v[4:5]
	v_mul_f64 v[4:5], v[34:35], v[4:5]
	s_waitcnt vmcnt(8) lgkmcnt(0)
	v_mul_f64 v[149:150], v[139:140], v[8:9]
	v_mul_f64 v[8:9], v[141:142], v[8:9]
	s_delay_alu instid0(VALU_DEP_4) | instskip(NEXT) | instid1(VALU_DEP_4)
	v_fma_f64 v[147:148], v[34:35], v[2:3], -v[147:148]
	v_fma_f64 v[151:152], v[36:37], v[2:3], v[4:5]
	ds_load_b128 v[2:5], v1 offset:704
	scratch_load_b128 v[34:37], off, off offset:320
	v_fma_f64 v[149:150], v[141:142], v[6:7], v[149:150]
	v_fma_f64 v[155:156], v[139:140], v[6:7], -v[8:9]
	scratch_load_b128 v[139:142], off, off offset:336
	ds_load_b128 v[6:9], v1 offset:720
	s_waitcnt vmcnt(9) lgkmcnt(1)
	v_mul_f64 v[153:154], v[2:3], v[12:13]
	v_mul_f64 v[12:13], v[4:5], v[12:13]
	s_waitcnt vmcnt(8) lgkmcnt(0)
	v_mul_f64 v[157:158], v[6:7], v[16:17]
	v_mul_f64 v[16:17], v[8:9], v[16:17]
	v_add_f64 v[147:148], v[147:148], 0
	v_add_f64 v[151:152], v[151:152], 0
	v_fma_f64 v[153:154], v[4:5], v[10:11], v[153:154]
	v_fma_f64 v[159:160], v[2:3], v[10:11], -v[12:13]
	ds_load_b128 v[2:5], v1 offset:736
	scratch_load_b128 v[10:13], off, off offset:352
	v_add_f64 v[147:148], v[147:148], v[155:156]
	v_add_f64 v[149:150], v[151:152], v[149:150]
	v_fma_f64 v[155:156], v[8:9], v[14:15], v[157:158]
	v_fma_f64 v[157:158], v[6:7], v[14:15], -v[16:17]
	scratch_load_b128 v[14:17], off, off offset:368
	ds_load_b128 v[6:9], v1 offset:752
	s_waitcnt vmcnt(9) lgkmcnt(1)
	v_mul_f64 v[151:152], v[2:3], v[20:21]
	v_mul_f64 v[20:21], v[4:5], v[20:21]
	v_add_f64 v[147:148], v[147:148], v[159:160]
	v_add_f64 v[149:150], v[149:150], v[153:154]
	s_waitcnt vmcnt(8) lgkmcnt(0)
	v_mul_f64 v[153:154], v[6:7], v[24:25]
	v_mul_f64 v[24:25], v[8:9], v[24:25]
	v_fma_f64 v[151:152], v[4:5], v[18:19], v[151:152]
	v_fma_f64 v[159:160], v[2:3], v[18:19], -v[20:21]
	ds_load_b128 v[2:5], v1 offset:768
	scratch_load_b128 v[18:21], off, off offset:384
	v_add_f64 v[147:148], v[147:148], v[157:158]
	v_add_f64 v[149:150], v[149:150], v[155:156]
	v_fma_f64 v[153:154], v[8:9], v[22:23], v[153:154]
	v_fma_f64 v[157:158], v[6:7], v[22:23], -v[24:25]
	ds_load_b128 v[6:9], v1 offset:784
	s_waitcnt vmcnt(8) lgkmcnt(1)
	v_mul_f64 v[155:156], v[2:3], v[28:29]
	v_mul_f64 v[28:29], v[4:5], v[28:29]
	scratch_load_b128 v[22:25], off, off offset:400
	v_add_f64 v[147:148], v[147:148], v[159:160]
	v_add_f64 v[149:150], v[149:150], v[151:152]
	s_waitcnt vmcnt(8) lgkmcnt(0)
	v_mul_f64 v[151:152], v[6:7], v[32:33]
	v_mul_f64 v[32:33], v[8:9], v[32:33]
	v_fma_f64 v[155:156], v[4:5], v[26:27], v[155:156]
	v_fma_f64 v[159:160], v[2:3], v[26:27], -v[28:29]
	ds_load_b128 v[2:5], v1 offset:800
	scratch_load_b128 v[26:29], off, off offset:416
	v_add_f64 v[147:148], v[147:148], v[157:158]
	v_add_f64 v[149:150], v[149:150], v[153:154]
	v_fma_f64 v[151:152], v[8:9], v[30:31], v[151:152]
	v_fma_f64 v[157:158], v[6:7], v[30:31], -v[32:33]
	ds_load_b128 v[6:9], v1 offset:816
	s_waitcnt vmcnt(8) lgkmcnt(1)
	v_mul_f64 v[153:154], v[2:3], v[40:41]
	v_mul_f64 v[40:41], v[4:5], v[40:41]
	scratch_load_b128 v[30:33], off, off offset:432
	v_add_f64 v[147:148], v[147:148], v[159:160]
	v_add_f64 v[149:150], v[149:150], v[155:156]
	s_waitcnt vmcnt(8) lgkmcnt(0)
	v_mul_f64 v[155:156], v[6:7], v[145:146]
	v_mul_f64 v[145:146], v[8:9], v[145:146]
	v_fma_f64 v[153:154], v[4:5], v[38:39], v[153:154]
	v_fma_f64 v[159:160], v[2:3], v[38:39], -v[40:41]
	scratch_load_b128 v[38:41], off, off offset:448
	ds_load_b128 v[2:5], v1 offset:832
	v_add_f64 v[147:148], v[147:148], v[157:158]
	v_add_f64 v[149:150], v[149:150], v[151:152]
	v_fma_f64 v[155:156], v[8:9], v[143:144], v[155:156]
	v_fma_f64 v[157:158], v[6:7], v[143:144], -v[145:146]
	ds_load_b128 v[6:9], v1 offset:848
	scratch_load_b128 v[143:146], off, off offset:464
	s_waitcnt vmcnt(9) lgkmcnt(1)
	v_mul_f64 v[151:152], v[2:3], v[36:37]
	v_mul_f64 v[36:37], v[4:5], v[36:37]
	v_add_f64 v[147:148], v[147:148], v[159:160]
	v_add_f64 v[149:150], v[149:150], v[153:154]
	s_waitcnt vmcnt(8) lgkmcnt(0)
	v_mul_f64 v[153:154], v[6:7], v[141:142]
	v_mul_f64 v[141:142], v[8:9], v[141:142]
	v_fma_f64 v[151:152], v[4:5], v[34:35], v[151:152]
	v_fma_f64 v[159:160], v[2:3], v[34:35], -v[36:37]
	scratch_load_b128 v[34:37], off, off offset:480
	ds_load_b128 v[2:5], v1 offset:864
	v_add_f64 v[147:148], v[147:148], v[157:158]
	v_add_f64 v[149:150], v[149:150], v[155:156]
	v_fma_f64 v[153:154], v[8:9], v[139:140], v[153:154]
	v_fma_f64 v[157:158], v[6:7], v[139:140], -v[141:142]
	ds_load_b128 v[6:9], v1 offset:880
	s_waitcnt vmcnt(8) lgkmcnt(1)
	v_mul_f64 v[155:156], v[2:3], v[12:13]
	v_mul_f64 v[12:13], v[4:5], v[12:13]
	scratch_load_b128 v[139:142], off, off offset:496
	v_add_f64 v[147:148], v[147:148], v[159:160]
	v_add_f64 v[149:150], v[149:150], v[151:152]
	s_waitcnt vmcnt(8) lgkmcnt(0)
	v_mul_f64 v[151:152], v[6:7], v[16:17]
	v_mul_f64 v[16:17], v[8:9], v[16:17]
	v_fma_f64 v[155:156], v[4:5], v[10:11], v[155:156]
	v_fma_f64 v[10:11], v[2:3], v[10:11], -v[12:13]
	ds_load_b128 v[2:5], v1 offset:896
	v_add_f64 v[12:13], v[147:148], v[157:158]
	v_add_f64 v[147:148], v[149:150], v[153:154]
	v_fma_f64 v[151:152], v[8:9], v[14:15], v[151:152]
	v_fma_f64 v[14:15], v[6:7], v[14:15], -v[16:17]
	ds_load_b128 v[6:9], v1 offset:912
	s_waitcnt vmcnt(7) lgkmcnt(1)
	v_mul_f64 v[149:150], v[2:3], v[20:21]
	v_mul_f64 v[20:21], v[4:5], v[20:21]
	v_add_f64 v[10:11], v[12:13], v[10:11]
	v_add_f64 v[12:13], v[147:148], v[155:156]
	s_delay_alu instid0(VALU_DEP_4) | instskip(NEXT) | instid1(VALU_DEP_4)
	v_fma_f64 v[147:148], v[4:5], v[18:19], v[149:150]
	v_fma_f64 v[18:19], v[2:3], v[18:19], -v[20:21]
	ds_load_b128 v[2:5], v1 offset:928
	v_add_f64 v[14:15], v[10:11], v[14:15]
	v_add_f64 v[20:21], v[12:13], v[151:152]
	scratch_load_b128 v[10:13], off, off offset:144
	s_waitcnt vmcnt(7) lgkmcnt(1)
	v_mul_f64 v[16:17], v[6:7], v[24:25]
	v_mul_f64 v[24:25], v[8:9], v[24:25]
	v_add_f64 v[14:15], v[14:15], v[18:19]
	v_add_f64 v[18:19], v[20:21], v[147:148]
	s_delay_alu instid0(VALU_DEP_4) | instskip(NEXT) | instid1(VALU_DEP_4)
	v_fma_f64 v[16:17], v[8:9], v[22:23], v[16:17]
	v_fma_f64 v[22:23], v[6:7], v[22:23], -v[24:25]
	ds_load_b128 v[6:9], v1 offset:944
	s_waitcnt vmcnt(6) lgkmcnt(1)
	v_mul_f64 v[149:150], v[2:3], v[28:29]
	v_mul_f64 v[28:29], v[4:5], v[28:29]
	s_waitcnt vmcnt(5) lgkmcnt(0)
	v_mul_f64 v[20:21], v[6:7], v[32:33]
	v_mul_f64 v[24:25], v[8:9], v[32:33]
	v_add_f64 v[16:17], v[18:19], v[16:17]
	v_add_f64 v[14:15], v[14:15], v[22:23]
	v_fma_f64 v[32:33], v[4:5], v[26:27], v[149:150]
	v_fma_f64 v[26:27], v[2:3], v[26:27], -v[28:29]
	ds_load_b128 v[2:5], v1 offset:960
	v_fma_f64 v[20:21], v[8:9], v[30:31], v[20:21]
	v_fma_f64 v[24:25], v[6:7], v[30:31], -v[24:25]
	ds_load_b128 v[6:9], v1 offset:976
	s_waitcnt vmcnt(4) lgkmcnt(1)
	v_mul_f64 v[18:19], v[2:3], v[40:41]
	v_mul_f64 v[22:23], v[4:5], v[40:41]
	v_add_f64 v[16:17], v[16:17], v[32:33]
	v_add_f64 v[14:15], v[14:15], v[26:27]
	s_waitcnt vmcnt(3) lgkmcnt(0)
	v_mul_f64 v[26:27], v[6:7], v[145:146]
	v_mul_f64 v[28:29], v[8:9], v[145:146]
	v_fma_f64 v[18:19], v[4:5], v[38:39], v[18:19]
	v_fma_f64 v[22:23], v[2:3], v[38:39], -v[22:23]
	ds_load_b128 v[2:5], v1 offset:992
	v_add_f64 v[16:17], v[16:17], v[20:21]
	v_add_f64 v[14:15], v[14:15], v[24:25]
	v_fma_f64 v[26:27], v[8:9], v[143:144], v[26:27]
	v_fma_f64 v[28:29], v[6:7], v[143:144], -v[28:29]
	ds_load_b128 v[6:9], v1 offset:1008
	s_waitcnt vmcnt(2) lgkmcnt(1)
	v_mul_f64 v[20:21], v[2:3], v[36:37]
	v_mul_f64 v[24:25], v[4:5], v[36:37]
	v_add_f64 v[16:17], v[16:17], v[18:19]
	v_add_f64 v[14:15], v[14:15], v[22:23]
	s_waitcnt vmcnt(1) lgkmcnt(0)
	v_mul_f64 v[18:19], v[6:7], v[141:142]
	v_mul_f64 v[22:23], v[8:9], v[141:142]
	v_fma_f64 v[4:5], v[4:5], v[34:35], v[20:21]
	v_fma_f64 v[1:2], v[2:3], v[34:35], -v[24:25]
	v_add_f64 v[16:17], v[16:17], v[26:27]
	v_add_f64 v[14:15], v[14:15], v[28:29]
	v_fma_f64 v[8:9], v[8:9], v[139:140], v[18:19]
	v_fma_f64 v[6:7], v[6:7], v[139:140], -v[22:23]
	s_delay_alu instid0(VALU_DEP_4) | instskip(NEXT) | instid1(VALU_DEP_4)
	v_add_f64 v[3:4], v[16:17], v[4:5]
	v_add_f64 v[1:2], v[14:15], v[1:2]
	s_delay_alu instid0(VALU_DEP_2) | instskip(NEXT) | instid1(VALU_DEP_2)
	v_add_f64 v[3:4], v[3:4], v[8:9]
	v_add_f64 v[1:2], v[1:2], v[6:7]
	s_waitcnt vmcnt(0)
	s_delay_alu instid0(VALU_DEP_2) | instskip(NEXT) | instid1(VALU_DEP_2)
	v_add_f64 v[3:4], v[12:13], -v[3:4]
	v_add_f64 v[1:2], v[10:11], -v[1:2]
	scratch_store_b128 off, v[1:4], off offset:144
	v_cmpx_lt_u32_e32 8, v106
	s_cbranch_execz .LBB31_189
; %bb.188:
	scratch_load_b128 v[1:4], v130, off
	v_mov_b32_e32 v5, 0
	s_delay_alu instid0(VALU_DEP_1)
	v_mov_b32_e32 v6, v5
	v_mov_b32_e32 v7, v5
	;; [unrolled: 1-line block ×3, first 2 shown]
	scratch_store_b128 off, v[5:8], off offset:128
	s_waitcnt vmcnt(0)
	ds_store_b128 v138, v[1:4]
.LBB31_189:
	s_or_b32 exec_lo, exec_lo, s2
	s_waitcnt lgkmcnt(0)
	s_waitcnt_vscnt null, 0x0
	s_barrier
	buffer_gl0_inv
	s_clause 0x7
	scratch_load_b128 v[2:5], off, off offset:144
	scratch_load_b128 v[6:9], off, off offset:160
	;; [unrolled: 1-line block ×8, first 2 shown]
	v_mov_b32_e32 v1, 0
	s_clause 0x1
	scratch_load_b128 v[38:41], off, off offset:272
	scratch_load_b128 v[143:146], off, off offset:288
	s_mov_b32 s2, exec_lo
	ds_load_b128 v[34:37], v1 offset:656
	ds_load_b128 v[139:142], v1 offset:672
	s_waitcnt vmcnt(9) lgkmcnt(1)
	v_mul_f64 v[147:148], v[36:37], v[4:5]
	v_mul_f64 v[4:5], v[34:35], v[4:5]
	s_waitcnt vmcnt(8) lgkmcnt(0)
	v_mul_f64 v[149:150], v[139:140], v[8:9]
	v_mul_f64 v[8:9], v[141:142], v[8:9]
	s_delay_alu instid0(VALU_DEP_4) | instskip(NEXT) | instid1(VALU_DEP_4)
	v_fma_f64 v[147:148], v[34:35], v[2:3], -v[147:148]
	v_fma_f64 v[151:152], v[36:37], v[2:3], v[4:5]
	ds_load_b128 v[2:5], v1 offset:688
	scratch_load_b128 v[34:37], off, off offset:304
	v_fma_f64 v[149:150], v[141:142], v[6:7], v[149:150]
	v_fma_f64 v[155:156], v[139:140], v[6:7], -v[8:9]
	scratch_load_b128 v[139:142], off, off offset:320
	ds_load_b128 v[6:9], v1 offset:704
	s_waitcnt vmcnt(9) lgkmcnt(1)
	v_mul_f64 v[153:154], v[2:3], v[12:13]
	v_mul_f64 v[12:13], v[4:5], v[12:13]
	s_waitcnt vmcnt(8) lgkmcnt(0)
	v_mul_f64 v[157:158], v[6:7], v[16:17]
	v_mul_f64 v[16:17], v[8:9], v[16:17]
	v_add_f64 v[147:148], v[147:148], 0
	v_add_f64 v[151:152], v[151:152], 0
	v_fma_f64 v[153:154], v[4:5], v[10:11], v[153:154]
	v_fma_f64 v[159:160], v[2:3], v[10:11], -v[12:13]
	ds_load_b128 v[2:5], v1 offset:720
	scratch_load_b128 v[10:13], off, off offset:336
	v_add_f64 v[147:148], v[147:148], v[155:156]
	v_add_f64 v[149:150], v[151:152], v[149:150]
	v_fma_f64 v[155:156], v[8:9], v[14:15], v[157:158]
	v_fma_f64 v[157:158], v[6:7], v[14:15], -v[16:17]
	scratch_load_b128 v[14:17], off, off offset:352
	ds_load_b128 v[6:9], v1 offset:736
	s_waitcnt vmcnt(9) lgkmcnt(1)
	v_mul_f64 v[151:152], v[2:3], v[20:21]
	v_mul_f64 v[20:21], v[4:5], v[20:21]
	v_add_f64 v[147:148], v[147:148], v[159:160]
	v_add_f64 v[149:150], v[149:150], v[153:154]
	s_waitcnt vmcnt(8) lgkmcnt(0)
	v_mul_f64 v[153:154], v[6:7], v[24:25]
	v_mul_f64 v[24:25], v[8:9], v[24:25]
	v_fma_f64 v[151:152], v[4:5], v[18:19], v[151:152]
	v_fma_f64 v[159:160], v[2:3], v[18:19], -v[20:21]
	ds_load_b128 v[2:5], v1 offset:752
	scratch_load_b128 v[18:21], off, off offset:368
	v_add_f64 v[147:148], v[147:148], v[157:158]
	v_add_f64 v[149:150], v[149:150], v[155:156]
	v_fma_f64 v[153:154], v[8:9], v[22:23], v[153:154]
	v_fma_f64 v[157:158], v[6:7], v[22:23], -v[24:25]
	scratch_load_b128 v[22:25], off, off offset:384
	ds_load_b128 v[6:9], v1 offset:768
	s_waitcnt vmcnt(9) lgkmcnt(1)
	v_mul_f64 v[155:156], v[2:3], v[28:29]
	v_mul_f64 v[28:29], v[4:5], v[28:29]
	v_add_f64 v[147:148], v[147:148], v[159:160]
	v_add_f64 v[149:150], v[149:150], v[151:152]
	s_waitcnt vmcnt(8) lgkmcnt(0)
	v_mul_f64 v[151:152], v[6:7], v[32:33]
	v_mul_f64 v[32:33], v[8:9], v[32:33]
	v_fma_f64 v[155:156], v[4:5], v[26:27], v[155:156]
	v_fma_f64 v[159:160], v[2:3], v[26:27], -v[28:29]
	ds_load_b128 v[2:5], v1 offset:784
	scratch_load_b128 v[26:29], off, off offset:400
	v_add_f64 v[147:148], v[147:148], v[157:158]
	v_add_f64 v[149:150], v[149:150], v[153:154]
	v_fma_f64 v[151:152], v[8:9], v[30:31], v[151:152]
	v_fma_f64 v[157:158], v[6:7], v[30:31], -v[32:33]
	ds_load_b128 v[6:9], v1 offset:800
	s_waitcnt vmcnt(8) lgkmcnt(1)
	v_mul_f64 v[153:154], v[2:3], v[40:41]
	v_mul_f64 v[40:41], v[4:5], v[40:41]
	scratch_load_b128 v[30:33], off, off offset:416
	v_add_f64 v[147:148], v[147:148], v[159:160]
	v_add_f64 v[149:150], v[149:150], v[155:156]
	s_waitcnt vmcnt(8) lgkmcnt(0)
	v_mul_f64 v[155:156], v[6:7], v[145:146]
	v_mul_f64 v[145:146], v[8:9], v[145:146]
	v_fma_f64 v[153:154], v[4:5], v[38:39], v[153:154]
	v_fma_f64 v[159:160], v[2:3], v[38:39], -v[40:41]
	scratch_load_b128 v[38:41], off, off offset:432
	ds_load_b128 v[2:5], v1 offset:816
	v_add_f64 v[147:148], v[147:148], v[157:158]
	v_add_f64 v[149:150], v[149:150], v[151:152]
	v_fma_f64 v[155:156], v[8:9], v[143:144], v[155:156]
	v_fma_f64 v[157:158], v[6:7], v[143:144], -v[145:146]
	ds_load_b128 v[6:9], v1 offset:832
	scratch_load_b128 v[143:146], off, off offset:448
	s_waitcnt vmcnt(9) lgkmcnt(1)
	v_mul_f64 v[151:152], v[2:3], v[36:37]
	v_mul_f64 v[36:37], v[4:5], v[36:37]
	v_add_f64 v[147:148], v[147:148], v[159:160]
	v_add_f64 v[149:150], v[149:150], v[153:154]
	s_waitcnt vmcnt(8) lgkmcnt(0)
	v_mul_f64 v[153:154], v[6:7], v[141:142]
	v_mul_f64 v[141:142], v[8:9], v[141:142]
	v_fma_f64 v[151:152], v[4:5], v[34:35], v[151:152]
	v_fma_f64 v[159:160], v[2:3], v[34:35], -v[36:37]
	scratch_load_b128 v[34:37], off, off offset:464
	ds_load_b128 v[2:5], v1 offset:848
	v_add_f64 v[147:148], v[147:148], v[157:158]
	v_add_f64 v[149:150], v[149:150], v[155:156]
	v_fma_f64 v[153:154], v[8:9], v[139:140], v[153:154]
	v_fma_f64 v[157:158], v[6:7], v[139:140], -v[141:142]
	ds_load_b128 v[6:9], v1 offset:864
	s_waitcnt vmcnt(8) lgkmcnt(1)
	v_mul_f64 v[155:156], v[2:3], v[12:13]
	v_mul_f64 v[12:13], v[4:5], v[12:13]
	scratch_load_b128 v[139:142], off, off offset:480
	v_add_f64 v[147:148], v[147:148], v[159:160]
	v_add_f64 v[149:150], v[149:150], v[151:152]
	s_waitcnt vmcnt(8) lgkmcnt(0)
	v_mul_f64 v[151:152], v[6:7], v[16:17]
	v_mul_f64 v[16:17], v[8:9], v[16:17]
	v_fma_f64 v[155:156], v[4:5], v[10:11], v[155:156]
	v_fma_f64 v[159:160], v[2:3], v[10:11], -v[12:13]
	scratch_load_b128 v[10:13], off, off offset:496
	ds_load_b128 v[2:5], v1 offset:880
	v_add_f64 v[147:148], v[147:148], v[157:158]
	v_add_f64 v[149:150], v[149:150], v[153:154]
	v_fma_f64 v[151:152], v[8:9], v[14:15], v[151:152]
	v_fma_f64 v[14:15], v[6:7], v[14:15], -v[16:17]
	ds_load_b128 v[6:9], v1 offset:896
	s_waitcnt vmcnt(8) lgkmcnt(1)
	v_mul_f64 v[153:154], v[2:3], v[20:21]
	v_mul_f64 v[20:21], v[4:5], v[20:21]
	v_add_f64 v[16:17], v[147:148], v[159:160]
	v_add_f64 v[147:148], v[149:150], v[155:156]
	s_waitcnt vmcnt(7) lgkmcnt(0)
	v_mul_f64 v[149:150], v[6:7], v[24:25]
	v_mul_f64 v[24:25], v[8:9], v[24:25]
	v_fma_f64 v[153:154], v[4:5], v[18:19], v[153:154]
	v_fma_f64 v[18:19], v[2:3], v[18:19], -v[20:21]
	ds_load_b128 v[2:5], v1 offset:912
	v_add_f64 v[14:15], v[16:17], v[14:15]
	v_add_f64 v[16:17], v[147:148], v[151:152]
	v_fma_f64 v[147:148], v[8:9], v[22:23], v[149:150]
	v_fma_f64 v[22:23], v[6:7], v[22:23], -v[24:25]
	ds_load_b128 v[6:9], v1 offset:928
	s_waitcnt vmcnt(5) lgkmcnt(0)
	v_mul_f64 v[149:150], v[6:7], v[32:33]
	v_mul_f64 v[32:33], v[8:9], v[32:33]
	v_add_f64 v[18:19], v[14:15], v[18:19]
	v_add_f64 v[24:25], v[16:17], v[153:154]
	scratch_load_b128 v[14:17], off, off offset:128
	v_mul_f64 v[20:21], v[2:3], v[28:29]
	v_mul_f64 v[28:29], v[4:5], v[28:29]
	v_add_f64 v[18:19], v[18:19], v[22:23]
	v_add_f64 v[22:23], v[24:25], v[147:148]
	s_delay_alu instid0(VALU_DEP_4) | instskip(NEXT) | instid1(VALU_DEP_4)
	v_fma_f64 v[20:21], v[4:5], v[26:27], v[20:21]
	v_fma_f64 v[26:27], v[2:3], v[26:27], -v[28:29]
	ds_load_b128 v[2:5], v1 offset:944
	s_waitcnt vmcnt(5) lgkmcnt(0)
	v_mul_f64 v[24:25], v[2:3], v[40:41]
	v_mul_f64 v[28:29], v[4:5], v[40:41]
	v_fma_f64 v[40:41], v[8:9], v[30:31], v[149:150]
	v_fma_f64 v[30:31], v[6:7], v[30:31], -v[32:33]
	ds_load_b128 v[6:9], v1 offset:960
	v_add_f64 v[20:21], v[22:23], v[20:21]
	v_add_f64 v[18:19], v[18:19], v[26:27]
	v_fma_f64 v[24:25], v[4:5], v[38:39], v[24:25]
	v_fma_f64 v[28:29], v[2:3], v[38:39], -v[28:29]
	ds_load_b128 v[2:5], v1 offset:976
	s_waitcnt vmcnt(4) lgkmcnt(1)
	v_mul_f64 v[22:23], v[6:7], v[145:146]
	v_mul_f64 v[26:27], v[8:9], v[145:146]
	v_add_f64 v[20:21], v[20:21], v[40:41]
	v_add_f64 v[18:19], v[18:19], v[30:31]
	s_waitcnt vmcnt(3) lgkmcnt(0)
	v_mul_f64 v[30:31], v[2:3], v[36:37]
	v_mul_f64 v[32:33], v[4:5], v[36:37]
	v_fma_f64 v[22:23], v[8:9], v[143:144], v[22:23]
	v_fma_f64 v[26:27], v[6:7], v[143:144], -v[26:27]
	ds_load_b128 v[6:9], v1 offset:992
	v_add_f64 v[20:21], v[20:21], v[24:25]
	v_add_f64 v[18:19], v[18:19], v[28:29]
	v_fma_f64 v[30:31], v[4:5], v[34:35], v[30:31]
	v_fma_f64 v[32:33], v[2:3], v[34:35], -v[32:33]
	ds_load_b128 v[2:5], v1 offset:1008
	s_waitcnt vmcnt(2) lgkmcnt(1)
	v_mul_f64 v[24:25], v[6:7], v[141:142]
	v_mul_f64 v[28:29], v[8:9], v[141:142]
	v_add_f64 v[20:21], v[20:21], v[22:23]
	v_add_f64 v[18:19], v[18:19], v[26:27]
	s_waitcnt vmcnt(1) lgkmcnt(0)
	v_mul_f64 v[22:23], v[2:3], v[12:13]
	v_mul_f64 v[12:13], v[4:5], v[12:13]
	v_fma_f64 v[8:9], v[8:9], v[139:140], v[24:25]
	v_fma_f64 v[6:7], v[6:7], v[139:140], -v[28:29]
	v_add_f64 v[20:21], v[20:21], v[30:31]
	v_add_f64 v[18:19], v[18:19], v[32:33]
	v_fma_f64 v[4:5], v[4:5], v[10:11], v[22:23]
	v_fma_f64 v[2:3], v[2:3], v[10:11], -v[12:13]
	s_delay_alu instid0(VALU_DEP_4) | instskip(NEXT) | instid1(VALU_DEP_4)
	v_add_f64 v[8:9], v[20:21], v[8:9]
	v_add_f64 v[6:7], v[18:19], v[6:7]
	s_delay_alu instid0(VALU_DEP_2) | instskip(NEXT) | instid1(VALU_DEP_2)
	v_add_f64 v[4:5], v[8:9], v[4:5]
	v_add_f64 v[2:3], v[6:7], v[2:3]
	s_waitcnt vmcnt(0)
	s_delay_alu instid0(VALU_DEP_2) | instskip(NEXT) | instid1(VALU_DEP_2)
	v_add_f64 v[4:5], v[16:17], -v[4:5]
	v_add_f64 v[2:3], v[14:15], -v[2:3]
	scratch_store_b128 off, v[2:5], off offset:128
	v_cmpx_lt_u32_e32 7, v106
	s_cbranch_execz .LBB31_191
; %bb.190:
	scratch_load_b128 v[5:8], v132, off
	v_mov_b32_e32 v2, v1
	v_mov_b32_e32 v3, v1
	;; [unrolled: 1-line block ×3, first 2 shown]
	scratch_store_b128 off, v[1:4], off offset:112
	s_waitcnt vmcnt(0)
	ds_store_b128 v138, v[5:8]
.LBB31_191:
	s_or_b32 exec_lo, exec_lo, s2
	s_waitcnt lgkmcnt(0)
	s_waitcnt_vscnt null, 0x0
	s_barrier
	buffer_gl0_inv
	s_clause 0x7
	scratch_load_b128 v[2:5], off, off offset:128
	scratch_load_b128 v[6:9], off, off offset:144
	;; [unrolled: 1-line block ×8, first 2 shown]
	ds_load_b128 v[34:37], v1 offset:640
	ds_load_b128 v[139:142], v1 offset:656
	s_clause 0x1
	scratch_load_b128 v[38:41], off, off offset:256
	scratch_load_b128 v[143:146], off, off offset:272
	s_mov_b32 s2, exec_lo
	s_waitcnt vmcnt(9) lgkmcnt(1)
	v_mul_f64 v[147:148], v[36:37], v[4:5]
	v_mul_f64 v[4:5], v[34:35], v[4:5]
	s_waitcnt vmcnt(8) lgkmcnt(0)
	v_mul_f64 v[149:150], v[139:140], v[8:9]
	v_mul_f64 v[8:9], v[141:142], v[8:9]
	s_delay_alu instid0(VALU_DEP_4) | instskip(NEXT) | instid1(VALU_DEP_4)
	v_fma_f64 v[147:148], v[34:35], v[2:3], -v[147:148]
	v_fma_f64 v[151:152], v[36:37], v[2:3], v[4:5]
	ds_load_b128 v[2:5], v1 offset:672
	scratch_load_b128 v[34:37], off, off offset:288
	v_fma_f64 v[149:150], v[141:142], v[6:7], v[149:150]
	v_fma_f64 v[155:156], v[139:140], v[6:7], -v[8:9]
	scratch_load_b128 v[139:142], off, off offset:304
	ds_load_b128 v[6:9], v1 offset:688
	s_waitcnt vmcnt(9) lgkmcnt(1)
	v_mul_f64 v[153:154], v[2:3], v[12:13]
	v_mul_f64 v[12:13], v[4:5], v[12:13]
	s_waitcnt vmcnt(8) lgkmcnt(0)
	v_mul_f64 v[157:158], v[6:7], v[16:17]
	v_mul_f64 v[16:17], v[8:9], v[16:17]
	v_add_f64 v[147:148], v[147:148], 0
	v_add_f64 v[151:152], v[151:152], 0
	v_fma_f64 v[153:154], v[4:5], v[10:11], v[153:154]
	v_fma_f64 v[159:160], v[2:3], v[10:11], -v[12:13]
	ds_load_b128 v[2:5], v1 offset:704
	scratch_load_b128 v[10:13], off, off offset:320
	v_add_f64 v[147:148], v[147:148], v[155:156]
	v_add_f64 v[149:150], v[151:152], v[149:150]
	v_fma_f64 v[155:156], v[8:9], v[14:15], v[157:158]
	v_fma_f64 v[157:158], v[6:7], v[14:15], -v[16:17]
	scratch_load_b128 v[14:17], off, off offset:336
	ds_load_b128 v[6:9], v1 offset:720
	s_waitcnt vmcnt(9) lgkmcnt(1)
	v_mul_f64 v[151:152], v[2:3], v[20:21]
	v_mul_f64 v[20:21], v[4:5], v[20:21]
	v_add_f64 v[147:148], v[147:148], v[159:160]
	v_add_f64 v[149:150], v[149:150], v[153:154]
	s_waitcnt vmcnt(8) lgkmcnt(0)
	v_mul_f64 v[153:154], v[6:7], v[24:25]
	v_mul_f64 v[24:25], v[8:9], v[24:25]
	v_fma_f64 v[151:152], v[4:5], v[18:19], v[151:152]
	v_fma_f64 v[159:160], v[2:3], v[18:19], -v[20:21]
	ds_load_b128 v[2:5], v1 offset:736
	scratch_load_b128 v[18:21], off, off offset:352
	v_add_f64 v[147:148], v[147:148], v[157:158]
	v_add_f64 v[149:150], v[149:150], v[155:156]
	v_fma_f64 v[153:154], v[8:9], v[22:23], v[153:154]
	v_fma_f64 v[157:158], v[6:7], v[22:23], -v[24:25]
	scratch_load_b128 v[22:25], off, off offset:368
	ds_load_b128 v[6:9], v1 offset:752
	s_waitcnt vmcnt(9) lgkmcnt(1)
	v_mul_f64 v[155:156], v[2:3], v[28:29]
	v_mul_f64 v[28:29], v[4:5], v[28:29]
	v_add_f64 v[147:148], v[147:148], v[159:160]
	v_add_f64 v[149:150], v[149:150], v[151:152]
	s_waitcnt vmcnt(8) lgkmcnt(0)
	v_mul_f64 v[151:152], v[6:7], v[32:33]
	v_mul_f64 v[32:33], v[8:9], v[32:33]
	v_fma_f64 v[155:156], v[4:5], v[26:27], v[155:156]
	v_fma_f64 v[159:160], v[2:3], v[26:27], -v[28:29]
	ds_load_b128 v[2:5], v1 offset:768
	scratch_load_b128 v[26:29], off, off offset:384
	v_add_f64 v[147:148], v[147:148], v[157:158]
	v_add_f64 v[149:150], v[149:150], v[153:154]
	v_fma_f64 v[151:152], v[8:9], v[30:31], v[151:152]
	v_fma_f64 v[157:158], v[6:7], v[30:31], -v[32:33]
	ds_load_b128 v[6:9], v1 offset:784
	s_waitcnt vmcnt(8) lgkmcnt(1)
	v_mul_f64 v[153:154], v[2:3], v[40:41]
	v_mul_f64 v[40:41], v[4:5], v[40:41]
	scratch_load_b128 v[30:33], off, off offset:400
	v_add_f64 v[147:148], v[147:148], v[159:160]
	v_add_f64 v[149:150], v[149:150], v[155:156]
	s_waitcnt vmcnt(8) lgkmcnt(0)
	v_mul_f64 v[155:156], v[6:7], v[145:146]
	v_mul_f64 v[145:146], v[8:9], v[145:146]
	v_fma_f64 v[153:154], v[4:5], v[38:39], v[153:154]
	v_fma_f64 v[159:160], v[2:3], v[38:39], -v[40:41]
	ds_load_b128 v[2:5], v1 offset:800
	scratch_load_b128 v[38:41], off, off offset:416
	v_add_f64 v[147:148], v[147:148], v[157:158]
	v_add_f64 v[149:150], v[149:150], v[151:152]
	v_fma_f64 v[155:156], v[8:9], v[143:144], v[155:156]
	v_fma_f64 v[157:158], v[6:7], v[143:144], -v[145:146]
	ds_load_b128 v[6:9], v1 offset:816
	scratch_load_b128 v[143:146], off, off offset:432
	s_waitcnt vmcnt(9) lgkmcnt(1)
	v_mul_f64 v[151:152], v[2:3], v[36:37]
	v_mul_f64 v[36:37], v[4:5], v[36:37]
	v_add_f64 v[147:148], v[147:148], v[159:160]
	v_add_f64 v[149:150], v[149:150], v[153:154]
	s_waitcnt vmcnt(8) lgkmcnt(0)
	v_mul_f64 v[153:154], v[6:7], v[141:142]
	v_mul_f64 v[141:142], v[8:9], v[141:142]
	v_fma_f64 v[151:152], v[4:5], v[34:35], v[151:152]
	v_fma_f64 v[159:160], v[2:3], v[34:35], -v[36:37]
	scratch_load_b128 v[34:37], off, off offset:448
	ds_load_b128 v[2:5], v1 offset:832
	v_add_f64 v[147:148], v[147:148], v[157:158]
	v_add_f64 v[149:150], v[149:150], v[155:156]
	v_fma_f64 v[153:154], v[8:9], v[139:140], v[153:154]
	v_fma_f64 v[157:158], v[6:7], v[139:140], -v[141:142]
	ds_load_b128 v[6:9], v1 offset:848
	s_waitcnt vmcnt(8) lgkmcnt(1)
	v_mul_f64 v[155:156], v[2:3], v[12:13]
	v_mul_f64 v[12:13], v[4:5], v[12:13]
	scratch_load_b128 v[139:142], off, off offset:464
	v_add_f64 v[147:148], v[147:148], v[159:160]
	v_add_f64 v[149:150], v[149:150], v[151:152]
	s_waitcnt vmcnt(8) lgkmcnt(0)
	v_mul_f64 v[151:152], v[6:7], v[16:17]
	v_mul_f64 v[16:17], v[8:9], v[16:17]
	v_fma_f64 v[155:156], v[4:5], v[10:11], v[155:156]
	v_fma_f64 v[159:160], v[2:3], v[10:11], -v[12:13]
	scratch_load_b128 v[10:13], off, off offset:480
	ds_load_b128 v[2:5], v1 offset:864
	v_add_f64 v[147:148], v[147:148], v[157:158]
	v_add_f64 v[149:150], v[149:150], v[153:154]
	v_fma_f64 v[151:152], v[8:9], v[14:15], v[151:152]
	v_fma_f64 v[157:158], v[6:7], v[14:15], -v[16:17]
	ds_load_b128 v[6:9], v1 offset:880
	s_waitcnt vmcnt(8) lgkmcnt(1)
	v_mul_f64 v[153:154], v[2:3], v[20:21]
	v_mul_f64 v[20:21], v[4:5], v[20:21]
	scratch_load_b128 v[14:17], off, off offset:496
	v_add_f64 v[147:148], v[147:148], v[159:160]
	v_add_f64 v[149:150], v[149:150], v[155:156]
	s_waitcnt vmcnt(8) lgkmcnt(0)
	v_mul_f64 v[155:156], v[6:7], v[24:25]
	v_mul_f64 v[24:25], v[8:9], v[24:25]
	v_fma_f64 v[153:154], v[4:5], v[18:19], v[153:154]
	v_fma_f64 v[18:19], v[2:3], v[18:19], -v[20:21]
	ds_load_b128 v[2:5], v1 offset:896
	v_add_f64 v[20:21], v[147:148], v[157:158]
	v_add_f64 v[147:148], v[149:150], v[151:152]
	v_fma_f64 v[151:152], v[8:9], v[22:23], v[155:156]
	v_fma_f64 v[22:23], v[6:7], v[22:23], -v[24:25]
	ds_load_b128 v[6:9], v1 offset:912
	s_waitcnt vmcnt(7) lgkmcnt(1)
	v_mul_f64 v[149:150], v[2:3], v[28:29]
	v_mul_f64 v[28:29], v[4:5], v[28:29]
	v_add_f64 v[18:19], v[20:21], v[18:19]
	v_add_f64 v[20:21], v[147:148], v[153:154]
	s_delay_alu instid0(VALU_DEP_4) | instskip(NEXT) | instid1(VALU_DEP_4)
	v_fma_f64 v[147:148], v[4:5], v[26:27], v[149:150]
	v_fma_f64 v[26:27], v[2:3], v[26:27], -v[28:29]
	ds_load_b128 v[2:5], v1 offset:928
	v_add_f64 v[22:23], v[18:19], v[22:23]
	v_add_f64 v[28:29], v[20:21], v[151:152]
	scratch_load_b128 v[18:21], off, off offset:112
	s_waitcnt vmcnt(7) lgkmcnt(1)
	v_mul_f64 v[24:25], v[6:7], v[32:33]
	v_mul_f64 v[32:33], v[8:9], v[32:33]
	v_add_f64 v[22:23], v[22:23], v[26:27]
	v_add_f64 v[26:27], v[28:29], v[147:148]
	s_delay_alu instid0(VALU_DEP_4) | instskip(NEXT) | instid1(VALU_DEP_4)
	v_fma_f64 v[24:25], v[8:9], v[30:31], v[24:25]
	v_fma_f64 v[30:31], v[6:7], v[30:31], -v[32:33]
	ds_load_b128 v[6:9], v1 offset:944
	s_waitcnt vmcnt(6) lgkmcnt(1)
	v_mul_f64 v[149:150], v[2:3], v[40:41]
	v_mul_f64 v[40:41], v[4:5], v[40:41]
	s_waitcnt vmcnt(5) lgkmcnt(0)
	v_mul_f64 v[28:29], v[6:7], v[145:146]
	v_mul_f64 v[32:33], v[8:9], v[145:146]
	v_add_f64 v[24:25], v[26:27], v[24:25]
	v_add_f64 v[22:23], v[22:23], v[30:31]
	v_fma_f64 v[145:146], v[4:5], v[38:39], v[149:150]
	v_fma_f64 v[38:39], v[2:3], v[38:39], -v[40:41]
	ds_load_b128 v[2:5], v1 offset:960
	v_fma_f64 v[28:29], v[8:9], v[143:144], v[28:29]
	v_fma_f64 v[32:33], v[6:7], v[143:144], -v[32:33]
	ds_load_b128 v[6:9], v1 offset:976
	s_waitcnt vmcnt(4) lgkmcnt(1)
	v_mul_f64 v[26:27], v[2:3], v[36:37]
	v_mul_f64 v[30:31], v[4:5], v[36:37]
	v_add_f64 v[24:25], v[24:25], v[145:146]
	v_add_f64 v[22:23], v[22:23], v[38:39]
	s_waitcnt vmcnt(3) lgkmcnt(0)
	v_mul_f64 v[36:37], v[6:7], v[141:142]
	v_mul_f64 v[38:39], v[8:9], v[141:142]
	v_fma_f64 v[26:27], v[4:5], v[34:35], v[26:27]
	v_fma_f64 v[30:31], v[2:3], v[34:35], -v[30:31]
	ds_load_b128 v[2:5], v1 offset:992
	v_add_f64 v[24:25], v[24:25], v[28:29]
	v_add_f64 v[22:23], v[22:23], v[32:33]
	v_fma_f64 v[32:33], v[8:9], v[139:140], v[36:37]
	v_fma_f64 v[34:35], v[6:7], v[139:140], -v[38:39]
	ds_load_b128 v[6:9], v1 offset:1008
	s_waitcnt vmcnt(2) lgkmcnt(1)
	v_mul_f64 v[28:29], v[2:3], v[12:13]
	v_mul_f64 v[12:13], v[4:5], v[12:13]
	v_add_f64 v[24:25], v[24:25], v[26:27]
	v_add_f64 v[22:23], v[22:23], v[30:31]
	s_waitcnt vmcnt(1) lgkmcnt(0)
	v_mul_f64 v[26:27], v[6:7], v[16:17]
	v_mul_f64 v[16:17], v[8:9], v[16:17]
	v_fma_f64 v[4:5], v[4:5], v[10:11], v[28:29]
	v_fma_f64 v[1:2], v[2:3], v[10:11], -v[12:13]
	v_add_f64 v[12:13], v[24:25], v[32:33]
	v_add_f64 v[10:11], v[22:23], v[34:35]
	v_fma_f64 v[8:9], v[8:9], v[14:15], v[26:27]
	v_fma_f64 v[6:7], v[6:7], v[14:15], -v[16:17]
	s_delay_alu instid0(VALU_DEP_4) | instskip(NEXT) | instid1(VALU_DEP_4)
	v_add_f64 v[3:4], v[12:13], v[4:5]
	v_add_f64 v[1:2], v[10:11], v[1:2]
	s_delay_alu instid0(VALU_DEP_2) | instskip(NEXT) | instid1(VALU_DEP_2)
	v_add_f64 v[3:4], v[3:4], v[8:9]
	v_add_f64 v[1:2], v[1:2], v[6:7]
	s_waitcnt vmcnt(0)
	s_delay_alu instid0(VALU_DEP_2) | instskip(NEXT) | instid1(VALU_DEP_2)
	v_add_f64 v[3:4], v[20:21], -v[3:4]
	v_add_f64 v[1:2], v[18:19], -v[1:2]
	scratch_store_b128 off, v[1:4], off offset:112
	v_cmpx_lt_u32_e32 6, v106
	s_cbranch_execz .LBB31_193
; %bb.192:
	scratch_load_b128 v[1:4], v131, off
	v_mov_b32_e32 v5, 0
	s_delay_alu instid0(VALU_DEP_1)
	v_mov_b32_e32 v6, v5
	v_mov_b32_e32 v7, v5
	;; [unrolled: 1-line block ×3, first 2 shown]
	scratch_store_b128 off, v[5:8], off offset:96
	s_waitcnt vmcnt(0)
	ds_store_b128 v138, v[1:4]
.LBB31_193:
	s_or_b32 exec_lo, exec_lo, s2
	s_waitcnt lgkmcnt(0)
	s_waitcnt_vscnt null, 0x0
	s_barrier
	buffer_gl0_inv
	s_clause 0x7
	scratch_load_b128 v[2:5], off, off offset:112
	scratch_load_b128 v[6:9], off, off offset:128
	scratch_load_b128 v[10:13], off, off offset:144
	scratch_load_b128 v[14:17], off, off offset:160
	scratch_load_b128 v[18:21], off, off offset:176
	scratch_load_b128 v[22:25], off, off offset:192
	scratch_load_b128 v[26:29], off, off offset:208
	scratch_load_b128 v[30:33], off, off offset:224
	v_mov_b32_e32 v1, 0
	s_clause 0x1
	scratch_load_b128 v[38:41], off, off offset:240
	scratch_load_b128 v[143:146], off, off offset:256
	s_mov_b32 s2, exec_lo
	ds_load_b128 v[34:37], v1 offset:624
	ds_load_b128 v[139:142], v1 offset:640
	s_waitcnt vmcnt(9) lgkmcnt(1)
	v_mul_f64 v[147:148], v[36:37], v[4:5]
	v_mul_f64 v[4:5], v[34:35], v[4:5]
	s_waitcnt vmcnt(8) lgkmcnt(0)
	v_mul_f64 v[149:150], v[139:140], v[8:9]
	v_mul_f64 v[8:9], v[141:142], v[8:9]
	s_delay_alu instid0(VALU_DEP_4) | instskip(NEXT) | instid1(VALU_DEP_4)
	v_fma_f64 v[147:148], v[34:35], v[2:3], -v[147:148]
	v_fma_f64 v[151:152], v[36:37], v[2:3], v[4:5]
	ds_load_b128 v[2:5], v1 offset:656
	scratch_load_b128 v[34:37], off, off offset:272
	v_fma_f64 v[149:150], v[141:142], v[6:7], v[149:150]
	v_fma_f64 v[155:156], v[139:140], v[6:7], -v[8:9]
	scratch_load_b128 v[139:142], off, off offset:288
	ds_load_b128 v[6:9], v1 offset:672
	s_waitcnt vmcnt(9) lgkmcnt(1)
	v_mul_f64 v[153:154], v[2:3], v[12:13]
	v_mul_f64 v[12:13], v[4:5], v[12:13]
	s_waitcnt vmcnt(8) lgkmcnt(0)
	v_mul_f64 v[157:158], v[6:7], v[16:17]
	v_mul_f64 v[16:17], v[8:9], v[16:17]
	v_add_f64 v[147:148], v[147:148], 0
	v_add_f64 v[151:152], v[151:152], 0
	v_fma_f64 v[153:154], v[4:5], v[10:11], v[153:154]
	v_fma_f64 v[159:160], v[2:3], v[10:11], -v[12:13]
	ds_load_b128 v[2:5], v1 offset:688
	scratch_load_b128 v[10:13], off, off offset:304
	v_add_f64 v[147:148], v[147:148], v[155:156]
	v_add_f64 v[149:150], v[151:152], v[149:150]
	v_fma_f64 v[155:156], v[8:9], v[14:15], v[157:158]
	v_fma_f64 v[157:158], v[6:7], v[14:15], -v[16:17]
	scratch_load_b128 v[14:17], off, off offset:320
	ds_load_b128 v[6:9], v1 offset:704
	s_waitcnt vmcnt(9) lgkmcnt(1)
	v_mul_f64 v[151:152], v[2:3], v[20:21]
	v_mul_f64 v[20:21], v[4:5], v[20:21]
	v_add_f64 v[147:148], v[147:148], v[159:160]
	v_add_f64 v[149:150], v[149:150], v[153:154]
	s_waitcnt vmcnt(8) lgkmcnt(0)
	v_mul_f64 v[153:154], v[6:7], v[24:25]
	v_mul_f64 v[24:25], v[8:9], v[24:25]
	v_fma_f64 v[151:152], v[4:5], v[18:19], v[151:152]
	v_fma_f64 v[159:160], v[2:3], v[18:19], -v[20:21]
	ds_load_b128 v[2:5], v1 offset:720
	scratch_load_b128 v[18:21], off, off offset:336
	v_add_f64 v[147:148], v[147:148], v[157:158]
	v_add_f64 v[149:150], v[149:150], v[155:156]
	v_fma_f64 v[153:154], v[8:9], v[22:23], v[153:154]
	v_fma_f64 v[157:158], v[6:7], v[22:23], -v[24:25]
	scratch_load_b128 v[22:25], off, off offset:352
	ds_load_b128 v[6:9], v1 offset:736
	s_waitcnt vmcnt(9) lgkmcnt(1)
	v_mul_f64 v[155:156], v[2:3], v[28:29]
	v_mul_f64 v[28:29], v[4:5], v[28:29]
	v_add_f64 v[147:148], v[147:148], v[159:160]
	v_add_f64 v[149:150], v[149:150], v[151:152]
	s_waitcnt vmcnt(8) lgkmcnt(0)
	v_mul_f64 v[151:152], v[6:7], v[32:33]
	v_mul_f64 v[32:33], v[8:9], v[32:33]
	;; [unrolled: 18-line block ×3, first 2 shown]
	v_fma_f64 v[153:154], v[4:5], v[38:39], v[153:154]
	v_fma_f64 v[159:160], v[2:3], v[38:39], -v[40:41]
	ds_load_b128 v[2:5], v1 offset:784
	scratch_load_b128 v[38:41], off, off offset:400
	v_add_f64 v[147:148], v[147:148], v[157:158]
	v_add_f64 v[149:150], v[149:150], v[151:152]
	v_fma_f64 v[155:156], v[8:9], v[143:144], v[155:156]
	v_fma_f64 v[157:158], v[6:7], v[143:144], -v[145:146]
	ds_load_b128 v[6:9], v1 offset:800
	scratch_load_b128 v[143:146], off, off offset:416
	s_waitcnt vmcnt(9) lgkmcnt(1)
	v_mul_f64 v[151:152], v[2:3], v[36:37]
	v_mul_f64 v[36:37], v[4:5], v[36:37]
	v_add_f64 v[147:148], v[147:148], v[159:160]
	v_add_f64 v[149:150], v[149:150], v[153:154]
	s_waitcnt vmcnt(8) lgkmcnt(0)
	v_mul_f64 v[153:154], v[6:7], v[141:142]
	v_mul_f64 v[141:142], v[8:9], v[141:142]
	v_fma_f64 v[151:152], v[4:5], v[34:35], v[151:152]
	v_fma_f64 v[159:160], v[2:3], v[34:35], -v[36:37]
	scratch_load_b128 v[34:37], off, off offset:432
	ds_load_b128 v[2:5], v1 offset:816
	v_add_f64 v[147:148], v[147:148], v[157:158]
	v_add_f64 v[149:150], v[149:150], v[155:156]
	v_fma_f64 v[153:154], v[8:9], v[139:140], v[153:154]
	v_fma_f64 v[157:158], v[6:7], v[139:140], -v[141:142]
	ds_load_b128 v[6:9], v1 offset:832
	s_waitcnt vmcnt(8) lgkmcnt(1)
	v_mul_f64 v[155:156], v[2:3], v[12:13]
	v_mul_f64 v[12:13], v[4:5], v[12:13]
	scratch_load_b128 v[139:142], off, off offset:448
	v_add_f64 v[147:148], v[147:148], v[159:160]
	v_add_f64 v[149:150], v[149:150], v[151:152]
	s_waitcnt vmcnt(8) lgkmcnt(0)
	v_mul_f64 v[151:152], v[6:7], v[16:17]
	v_mul_f64 v[16:17], v[8:9], v[16:17]
	v_fma_f64 v[155:156], v[4:5], v[10:11], v[155:156]
	v_fma_f64 v[159:160], v[2:3], v[10:11], -v[12:13]
	scratch_load_b128 v[10:13], off, off offset:464
	ds_load_b128 v[2:5], v1 offset:848
	v_add_f64 v[147:148], v[147:148], v[157:158]
	v_add_f64 v[149:150], v[149:150], v[153:154]
	v_fma_f64 v[151:152], v[8:9], v[14:15], v[151:152]
	v_fma_f64 v[157:158], v[6:7], v[14:15], -v[16:17]
	ds_load_b128 v[6:9], v1 offset:864
	s_waitcnt vmcnt(8) lgkmcnt(1)
	v_mul_f64 v[153:154], v[2:3], v[20:21]
	v_mul_f64 v[20:21], v[4:5], v[20:21]
	scratch_load_b128 v[14:17], off, off offset:480
	v_add_f64 v[147:148], v[147:148], v[159:160]
	v_add_f64 v[149:150], v[149:150], v[155:156]
	s_waitcnt vmcnt(8) lgkmcnt(0)
	v_mul_f64 v[155:156], v[6:7], v[24:25]
	v_mul_f64 v[24:25], v[8:9], v[24:25]
	v_fma_f64 v[153:154], v[4:5], v[18:19], v[153:154]
	v_fma_f64 v[159:160], v[2:3], v[18:19], -v[20:21]
	scratch_load_b128 v[18:21], off, off offset:496
	ds_load_b128 v[2:5], v1 offset:880
	v_add_f64 v[147:148], v[147:148], v[157:158]
	v_add_f64 v[149:150], v[149:150], v[151:152]
	v_fma_f64 v[155:156], v[8:9], v[22:23], v[155:156]
	v_fma_f64 v[22:23], v[6:7], v[22:23], -v[24:25]
	ds_load_b128 v[6:9], v1 offset:896
	s_waitcnt vmcnt(8) lgkmcnt(1)
	v_mul_f64 v[151:152], v[2:3], v[28:29]
	v_mul_f64 v[28:29], v[4:5], v[28:29]
	v_add_f64 v[24:25], v[147:148], v[159:160]
	v_add_f64 v[147:148], v[149:150], v[153:154]
	s_waitcnt vmcnt(7) lgkmcnt(0)
	v_mul_f64 v[149:150], v[6:7], v[32:33]
	v_mul_f64 v[32:33], v[8:9], v[32:33]
	v_fma_f64 v[151:152], v[4:5], v[26:27], v[151:152]
	v_fma_f64 v[26:27], v[2:3], v[26:27], -v[28:29]
	ds_load_b128 v[2:5], v1 offset:912
	v_add_f64 v[22:23], v[24:25], v[22:23]
	v_add_f64 v[24:25], v[147:148], v[155:156]
	v_fma_f64 v[147:148], v[8:9], v[30:31], v[149:150]
	v_fma_f64 v[30:31], v[6:7], v[30:31], -v[32:33]
	ds_load_b128 v[6:9], v1 offset:928
	s_waitcnt vmcnt(5) lgkmcnt(0)
	v_mul_f64 v[149:150], v[6:7], v[145:146]
	v_mul_f64 v[145:146], v[8:9], v[145:146]
	v_add_f64 v[26:27], v[22:23], v[26:27]
	v_add_f64 v[32:33], v[24:25], v[151:152]
	scratch_load_b128 v[22:25], off, off offset:96
	v_mul_f64 v[28:29], v[2:3], v[40:41]
	v_mul_f64 v[40:41], v[4:5], v[40:41]
	v_add_f64 v[26:27], v[26:27], v[30:31]
	v_add_f64 v[30:31], v[32:33], v[147:148]
	s_delay_alu instid0(VALU_DEP_4) | instskip(NEXT) | instid1(VALU_DEP_4)
	v_fma_f64 v[28:29], v[4:5], v[38:39], v[28:29]
	v_fma_f64 v[38:39], v[2:3], v[38:39], -v[40:41]
	ds_load_b128 v[2:5], v1 offset:944
	v_fma_f64 v[40:41], v[8:9], v[143:144], v[149:150]
	v_fma_f64 v[143:144], v[6:7], v[143:144], -v[145:146]
	ds_load_b128 v[6:9], v1 offset:960
	s_waitcnt vmcnt(5) lgkmcnt(1)
	v_mul_f64 v[32:33], v[2:3], v[36:37]
	v_mul_f64 v[36:37], v[4:5], v[36:37]
	v_add_f64 v[28:29], v[30:31], v[28:29]
	v_add_f64 v[26:27], v[26:27], v[38:39]
	s_waitcnt vmcnt(4) lgkmcnt(0)
	v_mul_f64 v[30:31], v[6:7], v[141:142]
	v_mul_f64 v[38:39], v[8:9], v[141:142]
	v_fma_f64 v[32:33], v[4:5], v[34:35], v[32:33]
	v_fma_f64 v[34:35], v[2:3], v[34:35], -v[36:37]
	ds_load_b128 v[2:5], v1 offset:976
	v_add_f64 v[28:29], v[28:29], v[40:41]
	v_add_f64 v[26:27], v[26:27], v[143:144]
	v_fma_f64 v[30:31], v[8:9], v[139:140], v[30:31]
	v_fma_f64 v[38:39], v[6:7], v[139:140], -v[38:39]
	ds_load_b128 v[6:9], v1 offset:992
	s_waitcnt vmcnt(3) lgkmcnt(1)
	v_mul_f64 v[36:37], v[2:3], v[12:13]
	v_mul_f64 v[12:13], v[4:5], v[12:13]
	v_add_f64 v[28:29], v[28:29], v[32:33]
	v_add_f64 v[26:27], v[26:27], v[34:35]
	s_waitcnt vmcnt(2) lgkmcnt(0)
	v_mul_f64 v[32:33], v[6:7], v[16:17]
	v_mul_f64 v[16:17], v[8:9], v[16:17]
	v_fma_f64 v[34:35], v[4:5], v[10:11], v[36:37]
	v_fma_f64 v[10:11], v[2:3], v[10:11], -v[12:13]
	ds_load_b128 v[2:5], v1 offset:1008
	v_add_f64 v[12:13], v[26:27], v[38:39]
	v_add_f64 v[26:27], v[28:29], v[30:31]
	s_waitcnt vmcnt(1) lgkmcnt(0)
	v_mul_f64 v[28:29], v[2:3], v[20:21]
	v_mul_f64 v[20:21], v[4:5], v[20:21]
	v_fma_f64 v[8:9], v[8:9], v[14:15], v[32:33]
	v_fma_f64 v[6:7], v[6:7], v[14:15], -v[16:17]
	v_add_f64 v[10:11], v[12:13], v[10:11]
	v_add_f64 v[12:13], v[26:27], v[34:35]
	v_fma_f64 v[4:5], v[4:5], v[18:19], v[28:29]
	v_fma_f64 v[2:3], v[2:3], v[18:19], -v[20:21]
	s_delay_alu instid0(VALU_DEP_4) | instskip(NEXT) | instid1(VALU_DEP_4)
	v_add_f64 v[6:7], v[10:11], v[6:7]
	v_add_f64 v[8:9], v[12:13], v[8:9]
	s_delay_alu instid0(VALU_DEP_2) | instskip(NEXT) | instid1(VALU_DEP_2)
	v_add_f64 v[2:3], v[6:7], v[2:3]
	v_add_f64 v[4:5], v[8:9], v[4:5]
	s_waitcnt vmcnt(0)
	s_delay_alu instid0(VALU_DEP_2) | instskip(NEXT) | instid1(VALU_DEP_2)
	v_add_f64 v[2:3], v[22:23], -v[2:3]
	v_add_f64 v[4:5], v[24:25], -v[4:5]
	scratch_store_b128 off, v[2:5], off offset:96
	v_cmpx_lt_u32_e32 5, v106
	s_cbranch_execz .LBB31_195
; %bb.194:
	scratch_load_b128 v[5:8], v133, off
	v_mov_b32_e32 v2, v1
	v_mov_b32_e32 v3, v1
	;; [unrolled: 1-line block ×3, first 2 shown]
	scratch_store_b128 off, v[1:4], off offset:80
	s_waitcnt vmcnt(0)
	ds_store_b128 v138, v[5:8]
.LBB31_195:
	s_or_b32 exec_lo, exec_lo, s2
	s_waitcnt lgkmcnt(0)
	s_waitcnt_vscnt null, 0x0
	s_barrier
	buffer_gl0_inv
	s_clause 0x7
	scratch_load_b128 v[2:5], off, off offset:96
	scratch_load_b128 v[6:9], off, off offset:112
	;; [unrolled: 1-line block ×8, first 2 shown]
	ds_load_b128 v[38:41], v1 offset:608
	ds_load_b128 v[139:142], v1 offset:624
	s_clause 0x1
	scratch_load_b128 v[34:37], off, off offset:224
	scratch_load_b128 v[143:146], off, off offset:240
	s_mov_b32 s2, exec_lo
	s_waitcnt vmcnt(9) lgkmcnt(1)
	v_mul_f64 v[147:148], v[40:41], v[4:5]
	v_mul_f64 v[4:5], v[38:39], v[4:5]
	s_waitcnt vmcnt(8) lgkmcnt(0)
	v_mul_f64 v[149:150], v[139:140], v[8:9]
	v_mul_f64 v[8:9], v[141:142], v[8:9]
	s_delay_alu instid0(VALU_DEP_4) | instskip(NEXT) | instid1(VALU_DEP_4)
	v_fma_f64 v[147:148], v[38:39], v[2:3], -v[147:148]
	v_fma_f64 v[151:152], v[40:41], v[2:3], v[4:5]
	ds_load_b128 v[2:5], v1 offset:640
	scratch_load_b128 v[38:41], off, off offset:256
	v_fma_f64 v[149:150], v[141:142], v[6:7], v[149:150]
	v_fma_f64 v[155:156], v[139:140], v[6:7], -v[8:9]
	scratch_load_b128 v[139:142], off, off offset:272
	ds_load_b128 v[6:9], v1 offset:656
	s_waitcnt vmcnt(9) lgkmcnt(1)
	v_mul_f64 v[153:154], v[2:3], v[12:13]
	v_mul_f64 v[12:13], v[4:5], v[12:13]
	s_waitcnt vmcnt(8) lgkmcnt(0)
	v_mul_f64 v[157:158], v[6:7], v[16:17]
	v_mul_f64 v[16:17], v[8:9], v[16:17]
	v_add_f64 v[147:148], v[147:148], 0
	v_add_f64 v[151:152], v[151:152], 0
	v_fma_f64 v[153:154], v[4:5], v[10:11], v[153:154]
	v_fma_f64 v[159:160], v[2:3], v[10:11], -v[12:13]
	ds_load_b128 v[2:5], v1 offset:672
	scratch_load_b128 v[10:13], off, off offset:288
	v_add_f64 v[147:148], v[147:148], v[155:156]
	v_add_f64 v[149:150], v[151:152], v[149:150]
	v_fma_f64 v[155:156], v[8:9], v[14:15], v[157:158]
	v_fma_f64 v[157:158], v[6:7], v[14:15], -v[16:17]
	scratch_load_b128 v[14:17], off, off offset:304
	ds_load_b128 v[6:9], v1 offset:688
	s_waitcnt vmcnt(9) lgkmcnt(1)
	v_mul_f64 v[151:152], v[2:3], v[20:21]
	v_mul_f64 v[20:21], v[4:5], v[20:21]
	v_add_f64 v[147:148], v[147:148], v[159:160]
	v_add_f64 v[149:150], v[149:150], v[153:154]
	s_waitcnt vmcnt(8) lgkmcnt(0)
	v_mul_f64 v[153:154], v[6:7], v[24:25]
	v_mul_f64 v[24:25], v[8:9], v[24:25]
	v_fma_f64 v[151:152], v[4:5], v[18:19], v[151:152]
	v_fma_f64 v[159:160], v[2:3], v[18:19], -v[20:21]
	ds_load_b128 v[2:5], v1 offset:704
	scratch_load_b128 v[18:21], off, off offset:320
	v_add_f64 v[147:148], v[147:148], v[157:158]
	v_add_f64 v[149:150], v[149:150], v[155:156]
	v_fma_f64 v[153:154], v[8:9], v[22:23], v[153:154]
	v_fma_f64 v[157:158], v[6:7], v[22:23], -v[24:25]
	scratch_load_b128 v[22:25], off, off offset:336
	ds_load_b128 v[6:9], v1 offset:720
	s_waitcnt vmcnt(9) lgkmcnt(1)
	v_mul_f64 v[155:156], v[2:3], v[28:29]
	v_mul_f64 v[28:29], v[4:5], v[28:29]
	v_add_f64 v[147:148], v[147:148], v[159:160]
	v_add_f64 v[149:150], v[149:150], v[151:152]
	s_waitcnt vmcnt(8) lgkmcnt(0)
	v_mul_f64 v[151:152], v[6:7], v[32:33]
	v_mul_f64 v[32:33], v[8:9], v[32:33]
	;; [unrolled: 18-line block ×3, first 2 shown]
	v_fma_f64 v[153:154], v[4:5], v[34:35], v[153:154]
	v_fma_f64 v[159:160], v[2:3], v[34:35], -v[36:37]
	ds_load_b128 v[2:5], v1 offset:768
	scratch_load_b128 v[34:37], off, off offset:384
	v_add_f64 v[147:148], v[147:148], v[157:158]
	v_add_f64 v[149:150], v[149:150], v[151:152]
	v_fma_f64 v[155:156], v[8:9], v[143:144], v[155:156]
	v_fma_f64 v[157:158], v[6:7], v[143:144], -v[145:146]
	ds_load_b128 v[6:9], v1 offset:784
	scratch_load_b128 v[143:146], off, off offset:400
	s_waitcnt vmcnt(9) lgkmcnt(1)
	v_mul_f64 v[151:152], v[2:3], v[40:41]
	v_mul_f64 v[40:41], v[4:5], v[40:41]
	v_add_f64 v[147:148], v[147:148], v[159:160]
	v_add_f64 v[149:150], v[149:150], v[153:154]
	s_waitcnt vmcnt(8) lgkmcnt(0)
	v_mul_f64 v[153:154], v[6:7], v[141:142]
	v_mul_f64 v[141:142], v[8:9], v[141:142]
	v_fma_f64 v[151:152], v[4:5], v[38:39], v[151:152]
	v_fma_f64 v[159:160], v[2:3], v[38:39], -v[40:41]
	ds_load_b128 v[2:5], v1 offset:800
	scratch_load_b128 v[38:41], off, off offset:416
	v_add_f64 v[147:148], v[147:148], v[157:158]
	v_add_f64 v[149:150], v[149:150], v[155:156]
	v_fma_f64 v[153:154], v[8:9], v[139:140], v[153:154]
	v_fma_f64 v[157:158], v[6:7], v[139:140], -v[141:142]
	ds_load_b128 v[6:9], v1 offset:816
	s_waitcnt vmcnt(8) lgkmcnt(1)
	v_mul_f64 v[155:156], v[2:3], v[12:13]
	v_mul_f64 v[12:13], v[4:5], v[12:13]
	scratch_load_b128 v[139:142], off, off offset:432
	v_add_f64 v[147:148], v[147:148], v[159:160]
	v_add_f64 v[149:150], v[149:150], v[151:152]
	s_waitcnt vmcnt(8) lgkmcnt(0)
	v_mul_f64 v[151:152], v[6:7], v[16:17]
	v_mul_f64 v[16:17], v[8:9], v[16:17]
	v_fma_f64 v[155:156], v[4:5], v[10:11], v[155:156]
	v_fma_f64 v[159:160], v[2:3], v[10:11], -v[12:13]
	scratch_load_b128 v[10:13], off, off offset:448
	ds_load_b128 v[2:5], v1 offset:832
	v_add_f64 v[147:148], v[147:148], v[157:158]
	v_add_f64 v[149:150], v[149:150], v[153:154]
	v_fma_f64 v[151:152], v[8:9], v[14:15], v[151:152]
	v_fma_f64 v[157:158], v[6:7], v[14:15], -v[16:17]
	ds_load_b128 v[6:9], v1 offset:848
	s_waitcnt vmcnt(8) lgkmcnt(1)
	v_mul_f64 v[153:154], v[2:3], v[20:21]
	v_mul_f64 v[20:21], v[4:5], v[20:21]
	scratch_load_b128 v[14:17], off, off offset:464
	v_add_f64 v[147:148], v[147:148], v[159:160]
	v_add_f64 v[149:150], v[149:150], v[155:156]
	s_waitcnt vmcnt(8) lgkmcnt(0)
	v_mul_f64 v[155:156], v[6:7], v[24:25]
	v_mul_f64 v[24:25], v[8:9], v[24:25]
	v_fma_f64 v[153:154], v[4:5], v[18:19], v[153:154]
	v_fma_f64 v[159:160], v[2:3], v[18:19], -v[20:21]
	scratch_load_b128 v[18:21], off, off offset:480
	ds_load_b128 v[2:5], v1 offset:864
	v_add_f64 v[147:148], v[147:148], v[157:158]
	v_add_f64 v[149:150], v[149:150], v[151:152]
	v_fma_f64 v[155:156], v[8:9], v[22:23], v[155:156]
	v_fma_f64 v[157:158], v[6:7], v[22:23], -v[24:25]
	ds_load_b128 v[6:9], v1 offset:880
	s_waitcnt vmcnt(8) lgkmcnt(1)
	v_mul_f64 v[151:152], v[2:3], v[28:29]
	v_mul_f64 v[28:29], v[4:5], v[28:29]
	scratch_load_b128 v[22:25], off, off offset:496
	v_add_f64 v[147:148], v[147:148], v[159:160]
	v_add_f64 v[149:150], v[149:150], v[153:154]
	s_waitcnt vmcnt(8) lgkmcnt(0)
	v_mul_f64 v[153:154], v[6:7], v[32:33]
	v_mul_f64 v[32:33], v[8:9], v[32:33]
	v_fma_f64 v[151:152], v[4:5], v[26:27], v[151:152]
	v_fma_f64 v[26:27], v[2:3], v[26:27], -v[28:29]
	ds_load_b128 v[2:5], v1 offset:896
	v_add_f64 v[28:29], v[147:148], v[157:158]
	v_add_f64 v[147:148], v[149:150], v[155:156]
	v_fma_f64 v[153:154], v[8:9], v[30:31], v[153:154]
	v_fma_f64 v[30:31], v[6:7], v[30:31], -v[32:33]
	ds_load_b128 v[6:9], v1 offset:912
	s_waitcnt vmcnt(7) lgkmcnt(1)
	v_mul_f64 v[149:150], v[2:3], v[36:37]
	v_mul_f64 v[36:37], v[4:5], v[36:37]
	v_add_f64 v[26:27], v[28:29], v[26:27]
	v_add_f64 v[28:29], v[147:148], v[151:152]
	s_delay_alu instid0(VALU_DEP_4) | instskip(NEXT) | instid1(VALU_DEP_4)
	v_fma_f64 v[147:148], v[4:5], v[34:35], v[149:150]
	v_fma_f64 v[34:35], v[2:3], v[34:35], -v[36:37]
	ds_load_b128 v[2:5], v1 offset:928
	v_add_f64 v[30:31], v[26:27], v[30:31]
	v_add_f64 v[36:37], v[28:29], v[153:154]
	scratch_load_b128 v[26:29], off, off offset:80
	s_waitcnt vmcnt(7) lgkmcnt(1)
	v_mul_f64 v[32:33], v[6:7], v[145:146]
	v_mul_f64 v[145:146], v[8:9], v[145:146]
	v_add_f64 v[30:31], v[30:31], v[34:35]
	v_add_f64 v[34:35], v[36:37], v[147:148]
	s_delay_alu instid0(VALU_DEP_4) | instskip(NEXT) | instid1(VALU_DEP_4)
	v_fma_f64 v[32:33], v[8:9], v[143:144], v[32:33]
	v_fma_f64 v[143:144], v[6:7], v[143:144], -v[145:146]
	ds_load_b128 v[6:9], v1 offset:944
	s_waitcnt vmcnt(6) lgkmcnt(1)
	v_mul_f64 v[149:150], v[2:3], v[40:41]
	v_mul_f64 v[40:41], v[4:5], v[40:41]
	s_waitcnt vmcnt(5) lgkmcnt(0)
	v_mul_f64 v[36:37], v[6:7], v[141:142]
	v_mul_f64 v[141:142], v[8:9], v[141:142]
	v_add_f64 v[32:33], v[34:35], v[32:33]
	v_add_f64 v[30:31], v[30:31], v[143:144]
	v_fma_f64 v[145:146], v[4:5], v[38:39], v[149:150]
	v_fma_f64 v[38:39], v[2:3], v[38:39], -v[40:41]
	ds_load_b128 v[2:5], v1 offset:960
	v_fma_f64 v[36:37], v[8:9], v[139:140], v[36:37]
	v_fma_f64 v[40:41], v[6:7], v[139:140], -v[141:142]
	ds_load_b128 v[6:9], v1 offset:976
	s_waitcnt vmcnt(4) lgkmcnt(1)
	v_mul_f64 v[34:35], v[2:3], v[12:13]
	v_mul_f64 v[12:13], v[4:5], v[12:13]
	v_add_f64 v[32:33], v[32:33], v[145:146]
	v_add_f64 v[30:31], v[30:31], v[38:39]
	s_waitcnt vmcnt(3) lgkmcnt(0)
	v_mul_f64 v[38:39], v[6:7], v[16:17]
	v_mul_f64 v[16:17], v[8:9], v[16:17]
	v_fma_f64 v[34:35], v[4:5], v[10:11], v[34:35]
	v_fma_f64 v[10:11], v[2:3], v[10:11], -v[12:13]
	ds_load_b128 v[2:5], v1 offset:992
	v_add_f64 v[12:13], v[30:31], v[40:41]
	v_add_f64 v[30:31], v[32:33], v[36:37]
	v_fma_f64 v[36:37], v[8:9], v[14:15], v[38:39]
	v_fma_f64 v[14:15], v[6:7], v[14:15], -v[16:17]
	ds_load_b128 v[6:9], v1 offset:1008
	s_waitcnt vmcnt(2) lgkmcnt(1)
	v_mul_f64 v[32:33], v[2:3], v[20:21]
	v_mul_f64 v[20:21], v[4:5], v[20:21]
	s_waitcnt vmcnt(1) lgkmcnt(0)
	v_mul_f64 v[16:17], v[6:7], v[24:25]
	v_mul_f64 v[24:25], v[8:9], v[24:25]
	v_add_f64 v[10:11], v[12:13], v[10:11]
	v_add_f64 v[12:13], v[30:31], v[34:35]
	v_fma_f64 v[4:5], v[4:5], v[18:19], v[32:33]
	v_fma_f64 v[1:2], v[2:3], v[18:19], -v[20:21]
	v_fma_f64 v[8:9], v[8:9], v[22:23], v[16:17]
	v_fma_f64 v[6:7], v[6:7], v[22:23], -v[24:25]
	v_add_f64 v[10:11], v[10:11], v[14:15]
	v_add_f64 v[12:13], v[12:13], v[36:37]
	s_delay_alu instid0(VALU_DEP_2) | instskip(NEXT) | instid1(VALU_DEP_2)
	v_add_f64 v[1:2], v[10:11], v[1:2]
	v_add_f64 v[3:4], v[12:13], v[4:5]
	s_delay_alu instid0(VALU_DEP_2) | instskip(NEXT) | instid1(VALU_DEP_2)
	v_add_f64 v[1:2], v[1:2], v[6:7]
	v_add_f64 v[3:4], v[3:4], v[8:9]
	s_waitcnt vmcnt(0)
	s_delay_alu instid0(VALU_DEP_2) | instskip(NEXT) | instid1(VALU_DEP_2)
	v_add_f64 v[1:2], v[26:27], -v[1:2]
	v_add_f64 v[3:4], v[28:29], -v[3:4]
	scratch_store_b128 off, v[1:4], off offset:80
	v_cmpx_lt_u32_e32 4, v106
	s_cbranch_execz .LBB31_197
; %bb.196:
	scratch_load_b128 v[1:4], v107, off
	v_mov_b32_e32 v5, 0
	s_delay_alu instid0(VALU_DEP_1)
	v_mov_b32_e32 v6, v5
	v_mov_b32_e32 v7, v5
	;; [unrolled: 1-line block ×3, first 2 shown]
	scratch_store_b128 off, v[5:8], off offset:64
	s_waitcnt vmcnt(0)
	ds_store_b128 v138, v[1:4]
.LBB31_197:
	s_or_b32 exec_lo, exec_lo, s2
	s_waitcnt lgkmcnt(0)
	s_waitcnt_vscnt null, 0x0
	s_barrier
	buffer_gl0_inv
	s_clause 0x7
	scratch_load_b128 v[2:5], off, off offset:80
	scratch_load_b128 v[6:9], off, off offset:96
	;; [unrolled: 1-line block ×8, first 2 shown]
	v_mov_b32_e32 v1, 0
	s_clause 0x1
	scratch_load_b128 v[34:37], off, off offset:208
	scratch_load_b128 v[143:146], off, off offset:224
	s_mov_b32 s2, exec_lo
	ds_load_b128 v[38:41], v1 offset:592
	ds_load_b128 v[139:142], v1 offset:608
	s_waitcnt vmcnt(9) lgkmcnt(1)
	v_mul_f64 v[147:148], v[40:41], v[4:5]
	v_mul_f64 v[4:5], v[38:39], v[4:5]
	s_waitcnt vmcnt(8) lgkmcnt(0)
	v_mul_f64 v[149:150], v[139:140], v[8:9]
	v_mul_f64 v[8:9], v[141:142], v[8:9]
	s_delay_alu instid0(VALU_DEP_4) | instskip(NEXT) | instid1(VALU_DEP_4)
	v_fma_f64 v[147:148], v[38:39], v[2:3], -v[147:148]
	v_fma_f64 v[151:152], v[40:41], v[2:3], v[4:5]
	ds_load_b128 v[2:5], v1 offset:624
	scratch_load_b128 v[38:41], off, off offset:240
	v_fma_f64 v[149:150], v[141:142], v[6:7], v[149:150]
	v_fma_f64 v[155:156], v[139:140], v[6:7], -v[8:9]
	scratch_load_b128 v[139:142], off, off offset:256
	ds_load_b128 v[6:9], v1 offset:640
	s_waitcnt vmcnt(9) lgkmcnt(1)
	v_mul_f64 v[153:154], v[2:3], v[12:13]
	v_mul_f64 v[12:13], v[4:5], v[12:13]
	s_waitcnt vmcnt(8) lgkmcnt(0)
	v_mul_f64 v[157:158], v[6:7], v[16:17]
	v_mul_f64 v[16:17], v[8:9], v[16:17]
	v_add_f64 v[147:148], v[147:148], 0
	v_add_f64 v[151:152], v[151:152], 0
	v_fma_f64 v[153:154], v[4:5], v[10:11], v[153:154]
	v_fma_f64 v[159:160], v[2:3], v[10:11], -v[12:13]
	ds_load_b128 v[2:5], v1 offset:656
	scratch_load_b128 v[10:13], off, off offset:272
	v_add_f64 v[147:148], v[147:148], v[155:156]
	v_add_f64 v[149:150], v[151:152], v[149:150]
	v_fma_f64 v[155:156], v[8:9], v[14:15], v[157:158]
	v_fma_f64 v[157:158], v[6:7], v[14:15], -v[16:17]
	scratch_load_b128 v[14:17], off, off offset:288
	ds_load_b128 v[6:9], v1 offset:672
	s_waitcnt vmcnt(9) lgkmcnt(1)
	v_mul_f64 v[151:152], v[2:3], v[20:21]
	v_mul_f64 v[20:21], v[4:5], v[20:21]
	v_add_f64 v[147:148], v[147:148], v[159:160]
	v_add_f64 v[149:150], v[149:150], v[153:154]
	s_waitcnt vmcnt(8) lgkmcnt(0)
	v_mul_f64 v[153:154], v[6:7], v[24:25]
	v_mul_f64 v[24:25], v[8:9], v[24:25]
	v_fma_f64 v[151:152], v[4:5], v[18:19], v[151:152]
	v_fma_f64 v[159:160], v[2:3], v[18:19], -v[20:21]
	ds_load_b128 v[2:5], v1 offset:688
	scratch_load_b128 v[18:21], off, off offset:304
	v_add_f64 v[147:148], v[147:148], v[157:158]
	v_add_f64 v[149:150], v[149:150], v[155:156]
	v_fma_f64 v[153:154], v[8:9], v[22:23], v[153:154]
	v_fma_f64 v[157:158], v[6:7], v[22:23], -v[24:25]
	scratch_load_b128 v[22:25], off, off offset:320
	ds_load_b128 v[6:9], v1 offset:704
	s_waitcnt vmcnt(9) lgkmcnt(1)
	v_mul_f64 v[155:156], v[2:3], v[28:29]
	v_mul_f64 v[28:29], v[4:5], v[28:29]
	v_add_f64 v[147:148], v[147:148], v[159:160]
	v_add_f64 v[149:150], v[149:150], v[151:152]
	s_waitcnt vmcnt(8) lgkmcnt(0)
	v_mul_f64 v[151:152], v[6:7], v[32:33]
	v_mul_f64 v[32:33], v[8:9], v[32:33]
	;; [unrolled: 18-line block ×4, first 2 shown]
	v_fma_f64 v[151:152], v[4:5], v[38:39], v[151:152]
	v_fma_f64 v[159:160], v[2:3], v[38:39], -v[40:41]
	ds_load_b128 v[2:5], v1 offset:784
	scratch_load_b128 v[38:41], off, off offset:400
	v_add_f64 v[147:148], v[147:148], v[157:158]
	v_add_f64 v[149:150], v[149:150], v[155:156]
	v_fma_f64 v[153:154], v[8:9], v[139:140], v[153:154]
	v_fma_f64 v[157:158], v[6:7], v[139:140], -v[141:142]
	ds_load_b128 v[6:9], v1 offset:800
	s_waitcnt vmcnt(8) lgkmcnt(1)
	v_mul_f64 v[155:156], v[2:3], v[12:13]
	v_mul_f64 v[12:13], v[4:5], v[12:13]
	scratch_load_b128 v[139:142], off, off offset:416
	v_add_f64 v[147:148], v[147:148], v[159:160]
	v_add_f64 v[149:150], v[149:150], v[151:152]
	s_waitcnt vmcnt(8) lgkmcnt(0)
	v_mul_f64 v[151:152], v[6:7], v[16:17]
	v_mul_f64 v[16:17], v[8:9], v[16:17]
	v_fma_f64 v[155:156], v[4:5], v[10:11], v[155:156]
	v_fma_f64 v[159:160], v[2:3], v[10:11], -v[12:13]
	scratch_load_b128 v[10:13], off, off offset:432
	ds_load_b128 v[2:5], v1 offset:816
	v_add_f64 v[147:148], v[147:148], v[157:158]
	v_add_f64 v[149:150], v[149:150], v[153:154]
	v_fma_f64 v[151:152], v[8:9], v[14:15], v[151:152]
	v_fma_f64 v[157:158], v[6:7], v[14:15], -v[16:17]
	ds_load_b128 v[6:9], v1 offset:832
	s_waitcnt vmcnt(8) lgkmcnt(1)
	v_mul_f64 v[153:154], v[2:3], v[20:21]
	v_mul_f64 v[20:21], v[4:5], v[20:21]
	scratch_load_b128 v[14:17], off, off offset:448
	v_add_f64 v[147:148], v[147:148], v[159:160]
	v_add_f64 v[149:150], v[149:150], v[155:156]
	s_waitcnt vmcnt(8) lgkmcnt(0)
	v_mul_f64 v[155:156], v[6:7], v[24:25]
	v_mul_f64 v[24:25], v[8:9], v[24:25]
	v_fma_f64 v[153:154], v[4:5], v[18:19], v[153:154]
	v_fma_f64 v[159:160], v[2:3], v[18:19], -v[20:21]
	scratch_load_b128 v[18:21], off, off offset:464
	ds_load_b128 v[2:5], v1 offset:848
	;; [unrolled: 18-line block ×3, first 2 shown]
	v_add_f64 v[147:148], v[147:148], v[157:158]
	v_add_f64 v[149:150], v[149:150], v[155:156]
	v_fma_f64 v[153:154], v[8:9], v[30:31], v[153:154]
	v_fma_f64 v[30:31], v[6:7], v[30:31], -v[32:33]
	ds_load_b128 v[6:9], v1 offset:896
	s_waitcnt vmcnt(8) lgkmcnt(1)
	v_mul_f64 v[155:156], v[2:3], v[36:37]
	v_mul_f64 v[36:37], v[4:5], v[36:37]
	v_add_f64 v[32:33], v[147:148], v[159:160]
	v_add_f64 v[147:148], v[149:150], v[151:152]
	s_waitcnt vmcnt(7) lgkmcnt(0)
	v_mul_f64 v[149:150], v[6:7], v[145:146]
	v_mul_f64 v[145:146], v[8:9], v[145:146]
	v_fma_f64 v[151:152], v[4:5], v[34:35], v[155:156]
	v_fma_f64 v[34:35], v[2:3], v[34:35], -v[36:37]
	ds_load_b128 v[2:5], v1 offset:912
	v_add_f64 v[30:31], v[32:33], v[30:31]
	v_add_f64 v[32:33], v[147:148], v[153:154]
	v_fma_f64 v[147:148], v[8:9], v[143:144], v[149:150]
	v_fma_f64 v[143:144], v[6:7], v[143:144], -v[145:146]
	ds_load_b128 v[6:9], v1 offset:928
	s_waitcnt vmcnt(5) lgkmcnt(0)
	v_mul_f64 v[149:150], v[6:7], v[141:142]
	v_mul_f64 v[141:142], v[8:9], v[141:142]
	v_add_f64 v[34:35], v[30:31], v[34:35]
	v_add_f64 v[145:146], v[32:33], v[151:152]
	scratch_load_b128 v[30:33], off, off offset:64
	v_mul_f64 v[36:37], v[2:3], v[40:41]
	v_mul_f64 v[40:41], v[4:5], v[40:41]
	v_add_f64 v[34:35], v[34:35], v[143:144]
	s_delay_alu instid0(VALU_DEP_3) | instskip(NEXT) | instid1(VALU_DEP_3)
	v_fma_f64 v[36:37], v[4:5], v[38:39], v[36:37]
	v_fma_f64 v[38:39], v[2:3], v[38:39], -v[40:41]
	v_add_f64 v[40:41], v[145:146], v[147:148]
	ds_load_b128 v[2:5], v1 offset:944
	v_fma_f64 v[145:146], v[8:9], v[139:140], v[149:150]
	v_fma_f64 v[139:140], v[6:7], v[139:140], -v[141:142]
	ds_load_b128 v[6:9], v1 offset:960
	s_waitcnt vmcnt(5) lgkmcnt(1)
	v_mul_f64 v[143:144], v[2:3], v[12:13]
	v_mul_f64 v[12:13], v[4:5], v[12:13]
	v_add_f64 v[34:35], v[34:35], v[38:39]
	v_add_f64 v[36:37], v[40:41], v[36:37]
	s_waitcnt vmcnt(4) lgkmcnt(0)
	v_mul_f64 v[38:39], v[6:7], v[16:17]
	v_mul_f64 v[16:17], v[8:9], v[16:17]
	v_fma_f64 v[40:41], v[4:5], v[10:11], v[143:144]
	v_fma_f64 v[10:11], v[2:3], v[10:11], -v[12:13]
	ds_load_b128 v[2:5], v1 offset:976
	v_add_f64 v[12:13], v[34:35], v[139:140]
	v_add_f64 v[34:35], v[36:37], v[145:146]
	v_fma_f64 v[38:39], v[8:9], v[14:15], v[38:39]
	v_fma_f64 v[14:15], v[6:7], v[14:15], -v[16:17]
	ds_load_b128 v[6:9], v1 offset:992
	s_waitcnt vmcnt(3) lgkmcnt(1)
	v_mul_f64 v[36:37], v[2:3], v[20:21]
	v_mul_f64 v[20:21], v[4:5], v[20:21]
	s_waitcnt vmcnt(2) lgkmcnt(0)
	v_mul_f64 v[16:17], v[6:7], v[24:25]
	v_mul_f64 v[24:25], v[8:9], v[24:25]
	v_add_f64 v[10:11], v[12:13], v[10:11]
	v_add_f64 v[12:13], v[34:35], v[40:41]
	v_fma_f64 v[34:35], v[4:5], v[18:19], v[36:37]
	v_fma_f64 v[18:19], v[2:3], v[18:19], -v[20:21]
	ds_load_b128 v[2:5], v1 offset:1008
	v_fma_f64 v[8:9], v[8:9], v[22:23], v[16:17]
	v_fma_f64 v[6:7], v[6:7], v[22:23], -v[24:25]
	s_waitcnt vmcnt(1) lgkmcnt(0)
	v_mul_f64 v[20:21], v[4:5], v[28:29]
	v_add_f64 v[10:11], v[10:11], v[14:15]
	v_add_f64 v[12:13], v[12:13], v[38:39]
	v_mul_f64 v[14:15], v[2:3], v[28:29]
	s_delay_alu instid0(VALU_DEP_4) | instskip(NEXT) | instid1(VALU_DEP_4)
	v_fma_f64 v[2:3], v[2:3], v[26:27], -v[20:21]
	v_add_f64 v[10:11], v[10:11], v[18:19]
	s_delay_alu instid0(VALU_DEP_4) | instskip(NEXT) | instid1(VALU_DEP_4)
	v_add_f64 v[12:13], v[12:13], v[34:35]
	v_fma_f64 v[4:5], v[4:5], v[26:27], v[14:15]
	s_delay_alu instid0(VALU_DEP_3) | instskip(NEXT) | instid1(VALU_DEP_3)
	v_add_f64 v[6:7], v[10:11], v[6:7]
	v_add_f64 v[8:9], v[12:13], v[8:9]
	s_delay_alu instid0(VALU_DEP_2) | instskip(NEXT) | instid1(VALU_DEP_2)
	v_add_f64 v[2:3], v[6:7], v[2:3]
	v_add_f64 v[4:5], v[8:9], v[4:5]
	s_waitcnt vmcnt(0)
	s_delay_alu instid0(VALU_DEP_2) | instskip(NEXT) | instid1(VALU_DEP_2)
	v_add_f64 v[2:3], v[30:31], -v[2:3]
	v_add_f64 v[4:5], v[32:33], -v[4:5]
	scratch_store_b128 off, v[2:5], off offset:64
	v_cmpx_lt_u32_e32 3, v106
	s_cbranch_execz .LBB31_199
; %bb.198:
	scratch_load_b128 v[5:8], v109, off
	v_mov_b32_e32 v2, v1
	v_mov_b32_e32 v3, v1
	;; [unrolled: 1-line block ×3, first 2 shown]
	scratch_store_b128 off, v[1:4], off offset:48
	s_waitcnt vmcnt(0)
	ds_store_b128 v138, v[5:8]
.LBB31_199:
	s_or_b32 exec_lo, exec_lo, s2
	s_waitcnt lgkmcnt(0)
	s_waitcnt_vscnt null, 0x0
	s_barrier
	buffer_gl0_inv
	s_clause 0x7
	scratch_load_b128 v[2:5], off, off offset:64
	scratch_load_b128 v[6:9], off, off offset:80
	;; [unrolled: 1-line block ×8, first 2 shown]
	ds_load_b128 v[38:41], v1 offset:576
	ds_load_b128 v[139:142], v1 offset:592
	s_clause 0x1
	scratch_load_b128 v[34:37], off, off offset:192
	scratch_load_b128 v[143:146], off, off offset:208
	s_mov_b32 s2, exec_lo
	s_waitcnt vmcnt(9) lgkmcnt(1)
	v_mul_f64 v[147:148], v[40:41], v[4:5]
	v_mul_f64 v[4:5], v[38:39], v[4:5]
	s_waitcnt vmcnt(8) lgkmcnt(0)
	v_mul_f64 v[149:150], v[139:140], v[8:9]
	v_mul_f64 v[8:9], v[141:142], v[8:9]
	s_delay_alu instid0(VALU_DEP_4) | instskip(NEXT) | instid1(VALU_DEP_4)
	v_fma_f64 v[147:148], v[38:39], v[2:3], -v[147:148]
	v_fma_f64 v[151:152], v[40:41], v[2:3], v[4:5]
	ds_load_b128 v[2:5], v1 offset:608
	scratch_load_b128 v[38:41], off, off offset:224
	v_fma_f64 v[149:150], v[141:142], v[6:7], v[149:150]
	v_fma_f64 v[155:156], v[139:140], v[6:7], -v[8:9]
	scratch_load_b128 v[139:142], off, off offset:240
	ds_load_b128 v[6:9], v1 offset:624
	s_waitcnt vmcnt(9) lgkmcnt(1)
	v_mul_f64 v[153:154], v[2:3], v[12:13]
	v_mul_f64 v[12:13], v[4:5], v[12:13]
	s_waitcnt vmcnt(8) lgkmcnt(0)
	v_mul_f64 v[157:158], v[6:7], v[16:17]
	v_mul_f64 v[16:17], v[8:9], v[16:17]
	v_add_f64 v[147:148], v[147:148], 0
	v_add_f64 v[151:152], v[151:152], 0
	v_fma_f64 v[153:154], v[4:5], v[10:11], v[153:154]
	v_fma_f64 v[159:160], v[2:3], v[10:11], -v[12:13]
	ds_load_b128 v[2:5], v1 offset:640
	scratch_load_b128 v[10:13], off, off offset:256
	v_add_f64 v[147:148], v[147:148], v[155:156]
	v_add_f64 v[149:150], v[151:152], v[149:150]
	v_fma_f64 v[155:156], v[8:9], v[14:15], v[157:158]
	v_fma_f64 v[157:158], v[6:7], v[14:15], -v[16:17]
	scratch_load_b128 v[14:17], off, off offset:272
	ds_load_b128 v[6:9], v1 offset:656
	s_waitcnt vmcnt(9) lgkmcnt(1)
	v_mul_f64 v[151:152], v[2:3], v[20:21]
	v_mul_f64 v[20:21], v[4:5], v[20:21]
	v_add_f64 v[147:148], v[147:148], v[159:160]
	v_add_f64 v[149:150], v[149:150], v[153:154]
	s_waitcnt vmcnt(8) lgkmcnt(0)
	v_mul_f64 v[153:154], v[6:7], v[24:25]
	v_mul_f64 v[24:25], v[8:9], v[24:25]
	v_fma_f64 v[151:152], v[4:5], v[18:19], v[151:152]
	v_fma_f64 v[159:160], v[2:3], v[18:19], -v[20:21]
	ds_load_b128 v[2:5], v1 offset:672
	scratch_load_b128 v[18:21], off, off offset:288
	v_add_f64 v[147:148], v[147:148], v[157:158]
	v_add_f64 v[149:150], v[149:150], v[155:156]
	v_fma_f64 v[153:154], v[8:9], v[22:23], v[153:154]
	v_fma_f64 v[157:158], v[6:7], v[22:23], -v[24:25]
	scratch_load_b128 v[22:25], off, off offset:304
	ds_load_b128 v[6:9], v1 offset:688
	s_waitcnt vmcnt(9) lgkmcnt(1)
	v_mul_f64 v[155:156], v[2:3], v[28:29]
	v_mul_f64 v[28:29], v[4:5], v[28:29]
	v_add_f64 v[147:148], v[147:148], v[159:160]
	v_add_f64 v[149:150], v[149:150], v[151:152]
	s_waitcnt vmcnt(8) lgkmcnt(0)
	v_mul_f64 v[151:152], v[6:7], v[32:33]
	v_mul_f64 v[32:33], v[8:9], v[32:33]
	;; [unrolled: 18-line block ×4, first 2 shown]
	v_fma_f64 v[151:152], v[4:5], v[38:39], v[151:152]
	v_fma_f64 v[159:160], v[2:3], v[38:39], -v[40:41]
	ds_load_b128 v[2:5], v1 offset:768
	scratch_load_b128 v[38:41], off, off offset:384
	v_add_f64 v[147:148], v[147:148], v[157:158]
	v_add_f64 v[149:150], v[149:150], v[155:156]
	v_fma_f64 v[153:154], v[8:9], v[139:140], v[153:154]
	v_fma_f64 v[157:158], v[6:7], v[139:140], -v[141:142]
	ds_load_b128 v[6:9], v1 offset:784
	s_waitcnt vmcnt(8) lgkmcnt(1)
	v_mul_f64 v[155:156], v[2:3], v[12:13]
	v_mul_f64 v[12:13], v[4:5], v[12:13]
	scratch_load_b128 v[139:142], off, off offset:400
	v_add_f64 v[147:148], v[147:148], v[159:160]
	v_add_f64 v[149:150], v[149:150], v[151:152]
	s_waitcnt vmcnt(8) lgkmcnt(0)
	v_mul_f64 v[151:152], v[6:7], v[16:17]
	v_mul_f64 v[16:17], v[8:9], v[16:17]
	v_fma_f64 v[155:156], v[4:5], v[10:11], v[155:156]
	v_fma_f64 v[159:160], v[2:3], v[10:11], -v[12:13]
	ds_load_b128 v[2:5], v1 offset:800
	scratch_load_b128 v[10:13], off, off offset:416
	v_add_f64 v[147:148], v[147:148], v[157:158]
	v_add_f64 v[149:150], v[149:150], v[153:154]
	v_fma_f64 v[151:152], v[8:9], v[14:15], v[151:152]
	v_fma_f64 v[157:158], v[6:7], v[14:15], -v[16:17]
	ds_load_b128 v[6:9], v1 offset:816
	s_waitcnt vmcnt(8) lgkmcnt(1)
	v_mul_f64 v[153:154], v[2:3], v[20:21]
	v_mul_f64 v[20:21], v[4:5], v[20:21]
	scratch_load_b128 v[14:17], off, off offset:432
	v_add_f64 v[147:148], v[147:148], v[159:160]
	v_add_f64 v[149:150], v[149:150], v[155:156]
	s_waitcnt vmcnt(8) lgkmcnt(0)
	v_mul_f64 v[155:156], v[6:7], v[24:25]
	v_mul_f64 v[24:25], v[8:9], v[24:25]
	v_fma_f64 v[153:154], v[4:5], v[18:19], v[153:154]
	v_fma_f64 v[159:160], v[2:3], v[18:19], -v[20:21]
	scratch_load_b128 v[18:21], off, off offset:448
	ds_load_b128 v[2:5], v1 offset:832
	v_add_f64 v[147:148], v[147:148], v[157:158]
	v_add_f64 v[149:150], v[149:150], v[151:152]
	v_fma_f64 v[155:156], v[8:9], v[22:23], v[155:156]
	v_fma_f64 v[157:158], v[6:7], v[22:23], -v[24:25]
	ds_load_b128 v[6:9], v1 offset:848
	s_waitcnt vmcnt(8) lgkmcnt(1)
	v_mul_f64 v[151:152], v[2:3], v[28:29]
	v_mul_f64 v[28:29], v[4:5], v[28:29]
	scratch_load_b128 v[22:25], off, off offset:464
	v_add_f64 v[147:148], v[147:148], v[159:160]
	v_add_f64 v[149:150], v[149:150], v[153:154]
	s_waitcnt vmcnt(8) lgkmcnt(0)
	v_mul_f64 v[153:154], v[6:7], v[32:33]
	v_mul_f64 v[32:33], v[8:9], v[32:33]
	v_fma_f64 v[151:152], v[4:5], v[26:27], v[151:152]
	v_fma_f64 v[159:160], v[2:3], v[26:27], -v[28:29]
	scratch_load_b128 v[26:29], off, off offset:480
	ds_load_b128 v[2:5], v1 offset:864
	v_add_f64 v[147:148], v[147:148], v[157:158]
	v_add_f64 v[149:150], v[149:150], v[155:156]
	v_fma_f64 v[153:154], v[8:9], v[30:31], v[153:154]
	v_fma_f64 v[157:158], v[6:7], v[30:31], -v[32:33]
	ds_load_b128 v[6:9], v1 offset:880
	s_waitcnt vmcnt(8) lgkmcnt(1)
	v_mul_f64 v[155:156], v[2:3], v[36:37]
	v_mul_f64 v[36:37], v[4:5], v[36:37]
	scratch_load_b128 v[30:33], off, off offset:496
	v_add_f64 v[147:148], v[147:148], v[159:160]
	v_add_f64 v[149:150], v[149:150], v[151:152]
	s_waitcnt vmcnt(8) lgkmcnt(0)
	v_mul_f64 v[151:152], v[6:7], v[145:146]
	v_mul_f64 v[145:146], v[8:9], v[145:146]
	v_fma_f64 v[155:156], v[4:5], v[34:35], v[155:156]
	v_fma_f64 v[34:35], v[2:3], v[34:35], -v[36:37]
	ds_load_b128 v[2:5], v1 offset:896
	v_add_f64 v[36:37], v[147:148], v[157:158]
	v_add_f64 v[147:148], v[149:150], v[153:154]
	v_fma_f64 v[151:152], v[8:9], v[143:144], v[151:152]
	v_fma_f64 v[143:144], v[6:7], v[143:144], -v[145:146]
	ds_load_b128 v[6:9], v1 offset:912
	s_waitcnt vmcnt(7) lgkmcnt(1)
	v_mul_f64 v[149:150], v[2:3], v[40:41]
	v_mul_f64 v[40:41], v[4:5], v[40:41]
	v_add_f64 v[34:35], v[36:37], v[34:35]
	v_add_f64 v[36:37], v[147:148], v[155:156]
	s_delay_alu instid0(VALU_DEP_4) | instskip(NEXT) | instid1(VALU_DEP_4)
	v_fma_f64 v[147:148], v[4:5], v[38:39], v[149:150]
	v_fma_f64 v[38:39], v[2:3], v[38:39], -v[40:41]
	ds_load_b128 v[2:5], v1 offset:928
	v_add_f64 v[40:41], v[34:35], v[143:144]
	v_add_f64 v[143:144], v[36:37], v[151:152]
	scratch_load_b128 v[34:37], off, off offset:48
	s_waitcnt vmcnt(7) lgkmcnt(1)
	v_mul_f64 v[145:146], v[6:7], v[141:142]
	v_mul_f64 v[141:142], v[8:9], v[141:142]
	v_add_f64 v[38:39], v[40:41], v[38:39]
	v_add_f64 v[40:41], v[143:144], v[147:148]
	s_delay_alu instid0(VALU_DEP_4) | instskip(NEXT) | instid1(VALU_DEP_4)
	v_fma_f64 v[145:146], v[8:9], v[139:140], v[145:146]
	v_fma_f64 v[139:140], v[6:7], v[139:140], -v[141:142]
	ds_load_b128 v[6:9], v1 offset:944
	s_waitcnt vmcnt(6) lgkmcnt(1)
	v_mul_f64 v[149:150], v[2:3], v[12:13]
	v_mul_f64 v[12:13], v[4:5], v[12:13]
	s_waitcnt vmcnt(5) lgkmcnt(0)
	v_mul_f64 v[141:142], v[6:7], v[16:17]
	v_mul_f64 v[16:17], v[8:9], v[16:17]
	s_delay_alu instid0(VALU_DEP_4) | instskip(NEXT) | instid1(VALU_DEP_4)
	v_fma_f64 v[143:144], v[4:5], v[10:11], v[149:150]
	v_fma_f64 v[10:11], v[2:3], v[10:11], -v[12:13]
	v_add_f64 v[12:13], v[38:39], v[139:140]
	v_add_f64 v[38:39], v[40:41], v[145:146]
	ds_load_b128 v[2:5], v1 offset:960
	v_fma_f64 v[139:140], v[8:9], v[14:15], v[141:142]
	v_fma_f64 v[14:15], v[6:7], v[14:15], -v[16:17]
	ds_load_b128 v[6:9], v1 offset:976
	s_waitcnt vmcnt(4) lgkmcnt(1)
	v_mul_f64 v[40:41], v[2:3], v[20:21]
	v_mul_f64 v[20:21], v[4:5], v[20:21]
	v_add_f64 v[10:11], v[12:13], v[10:11]
	v_add_f64 v[12:13], v[38:39], v[143:144]
	s_waitcnt vmcnt(3) lgkmcnt(0)
	v_mul_f64 v[16:17], v[6:7], v[24:25]
	v_mul_f64 v[24:25], v[8:9], v[24:25]
	v_fma_f64 v[38:39], v[4:5], v[18:19], v[40:41]
	v_fma_f64 v[18:19], v[2:3], v[18:19], -v[20:21]
	ds_load_b128 v[2:5], v1 offset:992
	v_add_f64 v[10:11], v[10:11], v[14:15]
	v_add_f64 v[12:13], v[12:13], v[139:140]
	v_fma_f64 v[16:17], v[8:9], v[22:23], v[16:17]
	v_fma_f64 v[22:23], v[6:7], v[22:23], -v[24:25]
	ds_load_b128 v[6:9], v1 offset:1008
	s_waitcnt vmcnt(2) lgkmcnt(1)
	v_mul_f64 v[14:15], v[2:3], v[28:29]
	v_mul_f64 v[20:21], v[4:5], v[28:29]
	s_waitcnt vmcnt(1) lgkmcnt(0)
	v_mul_f64 v[24:25], v[8:9], v[32:33]
	v_add_f64 v[10:11], v[10:11], v[18:19]
	v_add_f64 v[12:13], v[12:13], v[38:39]
	v_mul_f64 v[18:19], v[6:7], v[32:33]
	v_fma_f64 v[4:5], v[4:5], v[26:27], v[14:15]
	v_fma_f64 v[1:2], v[2:3], v[26:27], -v[20:21]
	v_fma_f64 v[6:7], v[6:7], v[30:31], -v[24:25]
	v_add_f64 v[10:11], v[10:11], v[22:23]
	v_add_f64 v[12:13], v[12:13], v[16:17]
	v_fma_f64 v[8:9], v[8:9], v[30:31], v[18:19]
	s_delay_alu instid0(VALU_DEP_3) | instskip(NEXT) | instid1(VALU_DEP_3)
	v_add_f64 v[1:2], v[10:11], v[1:2]
	v_add_f64 v[3:4], v[12:13], v[4:5]
	s_delay_alu instid0(VALU_DEP_2) | instskip(NEXT) | instid1(VALU_DEP_2)
	v_add_f64 v[1:2], v[1:2], v[6:7]
	v_add_f64 v[3:4], v[3:4], v[8:9]
	s_waitcnt vmcnt(0)
	s_delay_alu instid0(VALU_DEP_2) | instskip(NEXT) | instid1(VALU_DEP_2)
	v_add_f64 v[1:2], v[34:35], -v[1:2]
	v_add_f64 v[3:4], v[36:37], -v[3:4]
	scratch_store_b128 off, v[1:4], off offset:48
	v_cmpx_lt_u32_e32 2, v106
	s_cbranch_execz .LBB31_201
; %bb.200:
	scratch_load_b128 v[1:4], v108, off
	v_mov_b32_e32 v5, 0
	s_delay_alu instid0(VALU_DEP_1)
	v_mov_b32_e32 v6, v5
	v_mov_b32_e32 v7, v5
	;; [unrolled: 1-line block ×3, first 2 shown]
	scratch_store_b128 off, v[5:8], off offset:32
	s_waitcnt vmcnt(0)
	ds_store_b128 v138, v[1:4]
.LBB31_201:
	s_or_b32 exec_lo, exec_lo, s2
	s_waitcnt lgkmcnt(0)
	s_waitcnt_vscnt null, 0x0
	s_barrier
	buffer_gl0_inv
	s_clause 0x7
	scratch_load_b128 v[2:5], off, off offset:48
	scratch_load_b128 v[6:9], off, off offset:64
	scratch_load_b128 v[10:13], off, off offset:80
	scratch_load_b128 v[14:17], off, off offset:96
	scratch_load_b128 v[18:21], off, off offset:112
	scratch_load_b128 v[22:25], off, off offset:128
	scratch_load_b128 v[26:29], off, off offset:144
	scratch_load_b128 v[30:33], off, off offset:160
	v_mov_b32_e32 v1, 0
	s_clause 0x1
	scratch_load_b128 v[34:37], off, off offset:176
	scratch_load_b128 v[143:146], off, off offset:192
	s_mov_b32 s2, exec_lo
	ds_load_b128 v[38:41], v1 offset:560
	ds_load_b128 v[139:142], v1 offset:576
	s_waitcnt vmcnt(9) lgkmcnt(1)
	v_mul_f64 v[147:148], v[40:41], v[4:5]
	v_mul_f64 v[4:5], v[38:39], v[4:5]
	s_waitcnt vmcnt(8) lgkmcnt(0)
	v_mul_f64 v[149:150], v[139:140], v[8:9]
	v_mul_f64 v[8:9], v[141:142], v[8:9]
	s_delay_alu instid0(VALU_DEP_4) | instskip(NEXT) | instid1(VALU_DEP_4)
	v_fma_f64 v[147:148], v[38:39], v[2:3], -v[147:148]
	v_fma_f64 v[151:152], v[40:41], v[2:3], v[4:5]
	ds_load_b128 v[2:5], v1 offset:592
	scratch_load_b128 v[38:41], off, off offset:208
	v_fma_f64 v[149:150], v[141:142], v[6:7], v[149:150]
	v_fma_f64 v[155:156], v[139:140], v[6:7], -v[8:9]
	scratch_load_b128 v[139:142], off, off offset:224
	ds_load_b128 v[6:9], v1 offset:608
	s_waitcnt vmcnt(9) lgkmcnt(1)
	v_mul_f64 v[153:154], v[2:3], v[12:13]
	v_mul_f64 v[12:13], v[4:5], v[12:13]
	s_waitcnt vmcnt(8) lgkmcnt(0)
	v_mul_f64 v[157:158], v[6:7], v[16:17]
	v_mul_f64 v[16:17], v[8:9], v[16:17]
	v_add_f64 v[147:148], v[147:148], 0
	v_add_f64 v[151:152], v[151:152], 0
	v_fma_f64 v[153:154], v[4:5], v[10:11], v[153:154]
	v_fma_f64 v[159:160], v[2:3], v[10:11], -v[12:13]
	ds_load_b128 v[2:5], v1 offset:624
	scratch_load_b128 v[10:13], off, off offset:240
	v_add_f64 v[147:148], v[147:148], v[155:156]
	v_add_f64 v[149:150], v[151:152], v[149:150]
	v_fma_f64 v[155:156], v[8:9], v[14:15], v[157:158]
	v_fma_f64 v[157:158], v[6:7], v[14:15], -v[16:17]
	scratch_load_b128 v[14:17], off, off offset:256
	ds_load_b128 v[6:9], v1 offset:640
	s_waitcnt vmcnt(9) lgkmcnt(1)
	v_mul_f64 v[151:152], v[2:3], v[20:21]
	v_mul_f64 v[20:21], v[4:5], v[20:21]
	v_add_f64 v[147:148], v[147:148], v[159:160]
	v_add_f64 v[149:150], v[149:150], v[153:154]
	s_waitcnt vmcnt(8) lgkmcnt(0)
	v_mul_f64 v[153:154], v[6:7], v[24:25]
	v_mul_f64 v[24:25], v[8:9], v[24:25]
	v_fma_f64 v[151:152], v[4:5], v[18:19], v[151:152]
	v_fma_f64 v[159:160], v[2:3], v[18:19], -v[20:21]
	ds_load_b128 v[2:5], v1 offset:656
	scratch_load_b128 v[18:21], off, off offset:272
	v_add_f64 v[147:148], v[147:148], v[157:158]
	v_add_f64 v[149:150], v[149:150], v[155:156]
	v_fma_f64 v[153:154], v[8:9], v[22:23], v[153:154]
	v_fma_f64 v[157:158], v[6:7], v[22:23], -v[24:25]
	scratch_load_b128 v[22:25], off, off offset:288
	ds_load_b128 v[6:9], v1 offset:672
	s_waitcnt vmcnt(9) lgkmcnt(1)
	v_mul_f64 v[155:156], v[2:3], v[28:29]
	v_mul_f64 v[28:29], v[4:5], v[28:29]
	v_add_f64 v[147:148], v[147:148], v[159:160]
	v_add_f64 v[149:150], v[149:150], v[151:152]
	s_waitcnt vmcnt(8) lgkmcnt(0)
	v_mul_f64 v[151:152], v[6:7], v[32:33]
	v_mul_f64 v[32:33], v[8:9], v[32:33]
	;; [unrolled: 18-line block ×5, first 2 shown]
	v_fma_f64 v[155:156], v[4:5], v[10:11], v[155:156]
	v_fma_f64 v[159:160], v[2:3], v[10:11], -v[12:13]
	ds_load_b128 v[2:5], v1 offset:784
	scratch_load_b128 v[10:13], off, off offset:400
	v_add_f64 v[147:148], v[147:148], v[157:158]
	v_add_f64 v[149:150], v[149:150], v[153:154]
	v_fma_f64 v[151:152], v[8:9], v[14:15], v[151:152]
	v_fma_f64 v[157:158], v[6:7], v[14:15], -v[16:17]
	ds_load_b128 v[6:9], v1 offset:800
	s_waitcnt vmcnt(8) lgkmcnt(1)
	v_mul_f64 v[153:154], v[2:3], v[20:21]
	v_mul_f64 v[20:21], v[4:5], v[20:21]
	scratch_load_b128 v[14:17], off, off offset:416
	v_add_f64 v[147:148], v[147:148], v[159:160]
	v_add_f64 v[149:150], v[149:150], v[155:156]
	s_waitcnt vmcnt(8) lgkmcnt(0)
	v_mul_f64 v[155:156], v[6:7], v[24:25]
	v_mul_f64 v[24:25], v[8:9], v[24:25]
	v_fma_f64 v[153:154], v[4:5], v[18:19], v[153:154]
	v_fma_f64 v[159:160], v[2:3], v[18:19], -v[20:21]
	scratch_load_b128 v[18:21], off, off offset:432
	ds_load_b128 v[2:5], v1 offset:816
	v_add_f64 v[147:148], v[147:148], v[157:158]
	v_add_f64 v[149:150], v[149:150], v[151:152]
	v_fma_f64 v[155:156], v[8:9], v[22:23], v[155:156]
	v_fma_f64 v[157:158], v[6:7], v[22:23], -v[24:25]
	ds_load_b128 v[6:9], v1 offset:832
	s_waitcnt vmcnt(8) lgkmcnt(1)
	v_mul_f64 v[151:152], v[2:3], v[28:29]
	v_mul_f64 v[28:29], v[4:5], v[28:29]
	scratch_load_b128 v[22:25], off, off offset:448
	v_add_f64 v[147:148], v[147:148], v[159:160]
	v_add_f64 v[149:150], v[149:150], v[153:154]
	s_waitcnt vmcnt(8) lgkmcnt(0)
	v_mul_f64 v[153:154], v[6:7], v[32:33]
	v_mul_f64 v[32:33], v[8:9], v[32:33]
	v_fma_f64 v[151:152], v[4:5], v[26:27], v[151:152]
	v_fma_f64 v[159:160], v[2:3], v[26:27], -v[28:29]
	scratch_load_b128 v[26:29], off, off offset:464
	ds_load_b128 v[2:5], v1 offset:848
	;; [unrolled: 18-line block ×3, first 2 shown]
	v_add_f64 v[147:148], v[147:148], v[157:158]
	v_add_f64 v[149:150], v[149:150], v[153:154]
	v_fma_f64 v[151:152], v[8:9], v[143:144], v[151:152]
	v_fma_f64 v[143:144], v[6:7], v[143:144], -v[145:146]
	ds_load_b128 v[6:9], v1 offset:896
	s_waitcnt vmcnt(8) lgkmcnt(1)
	v_mul_f64 v[153:154], v[2:3], v[40:41]
	v_mul_f64 v[40:41], v[4:5], v[40:41]
	v_add_f64 v[145:146], v[147:148], v[159:160]
	v_add_f64 v[147:148], v[149:150], v[155:156]
	s_waitcnt vmcnt(7) lgkmcnt(0)
	v_mul_f64 v[149:150], v[6:7], v[141:142]
	v_mul_f64 v[141:142], v[8:9], v[141:142]
	v_fma_f64 v[153:154], v[4:5], v[38:39], v[153:154]
	v_fma_f64 v[38:39], v[2:3], v[38:39], -v[40:41]
	ds_load_b128 v[2:5], v1 offset:912
	v_add_f64 v[40:41], v[145:146], v[143:144]
	v_add_f64 v[143:144], v[147:148], v[151:152]
	v_fma_f64 v[147:148], v[8:9], v[139:140], v[149:150]
	v_fma_f64 v[139:140], v[6:7], v[139:140], -v[141:142]
	ds_load_b128 v[6:9], v1 offset:928
	s_waitcnt vmcnt(5) lgkmcnt(0)
	v_mul_f64 v[149:150], v[6:7], v[16:17]
	v_mul_f64 v[16:17], v[8:9], v[16:17]
	v_add_f64 v[141:142], v[40:41], v[38:39]
	v_add_f64 v[143:144], v[143:144], v[153:154]
	scratch_load_b128 v[38:41], off, off offset:32
	v_mul_f64 v[145:146], v[2:3], v[12:13]
	v_mul_f64 v[12:13], v[4:5], v[12:13]
	s_delay_alu instid0(VALU_DEP_2) | instskip(NEXT) | instid1(VALU_DEP_2)
	v_fma_f64 v[145:146], v[4:5], v[10:11], v[145:146]
	v_fma_f64 v[10:11], v[2:3], v[10:11], -v[12:13]
	v_add_f64 v[12:13], v[141:142], v[139:140]
	v_add_f64 v[139:140], v[143:144], v[147:148]
	ds_load_b128 v[2:5], v1 offset:944
	v_fma_f64 v[143:144], v[8:9], v[14:15], v[149:150]
	v_fma_f64 v[14:15], v[6:7], v[14:15], -v[16:17]
	ds_load_b128 v[6:9], v1 offset:960
	s_waitcnt vmcnt(5) lgkmcnt(1)
	v_mul_f64 v[141:142], v[2:3], v[20:21]
	v_mul_f64 v[20:21], v[4:5], v[20:21]
	s_waitcnt vmcnt(4) lgkmcnt(0)
	v_mul_f64 v[16:17], v[6:7], v[24:25]
	v_mul_f64 v[24:25], v[8:9], v[24:25]
	v_add_f64 v[10:11], v[12:13], v[10:11]
	v_add_f64 v[12:13], v[139:140], v[145:146]
	v_fma_f64 v[139:140], v[4:5], v[18:19], v[141:142]
	v_fma_f64 v[18:19], v[2:3], v[18:19], -v[20:21]
	ds_load_b128 v[2:5], v1 offset:976
	v_fma_f64 v[16:17], v[8:9], v[22:23], v[16:17]
	v_fma_f64 v[22:23], v[6:7], v[22:23], -v[24:25]
	ds_load_b128 v[6:9], v1 offset:992
	v_add_f64 v[10:11], v[10:11], v[14:15]
	v_add_f64 v[12:13], v[12:13], v[143:144]
	s_waitcnt vmcnt(3) lgkmcnt(1)
	v_mul_f64 v[14:15], v[2:3], v[28:29]
	v_mul_f64 v[20:21], v[4:5], v[28:29]
	s_waitcnt vmcnt(2) lgkmcnt(0)
	v_mul_f64 v[24:25], v[8:9], v[32:33]
	v_add_f64 v[10:11], v[10:11], v[18:19]
	v_add_f64 v[12:13], v[12:13], v[139:140]
	v_mul_f64 v[18:19], v[6:7], v[32:33]
	v_fma_f64 v[14:15], v[4:5], v[26:27], v[14:15]
	v_fma_f64 v[20:21], v[2:3], v[26:27], -v[20:21]
	ds_load_b128 v[2:5], v1 offset:1008
	v_fma_f64 v[6:7], v[6:7], v[30:31], -v[24:25]
	v_add_f64 v[10:11], v[10:11], v[22:23]
	v_add_f64 v[12:13], v[12:13], v[16:17]
	s_waitcnt vmcnt(1) lgkmcnt(0)
	v_mul_f64 v[16:17], v[2:3], v[36:37]
	v_mul_f64 v[22:23], v[4:5], v[36:37]
	v_fma_f64 v[8:9], v[8:9], v[30:31], v[18:19]
	v_add_f64 v[10:11], v[10:11], v[20:21]
	v_add_f64 v[12:13], v[12:13], v[14:15]
	v_fma_f64 v[4:5], v[4:5], v[34:35], v[16:17]
	v_fma_f64 v[2:3], v[2:3], v[34:35], -v[22:23]
	s_delay_alu instid0(VALU_DEP_4) | instskip(NEXT) | instid1(VALU_DEP_4)
	v_add_f64 v[6:7], v[10:11], v[6:7]
	v_add_f64 v[8:9], v[12:13], v[8:9]
	s_delay_alu instid0(VALU_DEP_2) | instskip(NEXT) | instid1(VALU_DEP_2)
	v_add_f64 v[2:3], v[6:7], v[2:3]
	v_add_f64 v[4:5], v[8:9], v[4:5]
	s_waitcnt vmcnt(0)
	s_delay_alu instid0(VALU_DEP_2) | instskip(NEXT) | instid1(VALU_DEP_2)
	v_add_f64 v[2:3], v[38:39], -v[2:3]
	v_add_f64 v[4:5], v[40:41], -v[4:5]
	scratch_store_b128 off, v[2:5], off offset:32
	v_cmpx_lt_u32_e32 1, v106
	s_cbranch_execz .LBB31_203
; %bb.202:
	scratch_load_b128 v[5:8], v110, off
	v_mov_b32_e32 v2, v1
	v_mov_b32_e32 v3, v1
	;; [unrolled: 1-line block ×3, first 2 shown]
	scratch_store_b128 off, v[1:4], off offset:16
	s_waitcnt vmcnt(0)
	ds_store_b128 v138, v[5:8]
.LBB31_203:
	s_or_b32 exec_lo, exec_lo, s2
	s_waitcnt lgkmcnt(0)
	s_waitcnt_vscnt null, 0x0
	s_barrier
	buffer_gl0_inv
	s_clause 0x7
	scratch_load_b128 v[2:5], off, off offset:32
	scratch_load_b128 v[6:9], off, off offset:48
	;; [unrolled: 1-line block ×8, first 2 shown]
	ds_load_b128 v[38:41], v1 offset:544
	ds_load_b128 v[139:142], v1 offset:560
	s_clause 0x1
	scratch_load_b128 v[34:37], off, off offset:160
	scratch_load_b128 v[143:146], off, off offset:176
	s_mov_b32 s2, exec_lo
	s_waitcnt vmcnt(9) lgkmcnt(1)
	v_mul_f64 v[147:148], v[40:41], v[4:5]
	v_mul_f64 v[4:5], v[38:39], v[4:5]
	s_waitcnt vmcnt(8) lgkmcnt(0)
	v_mul_f64 v[149:150], v[139:140], v[8:9]
	v_mul_f64 v[8:9], v[141:142], v[8:9]
	s_delay_alu instid0(VALU_DEP_4) | instskip(NEXT) | instid1(VALU_DEP_4)
	v_fma_f64 v[147:148], v[38:39], v[2:3], -v[147:148]
	v_fma_f64 v[151:152], v[40:41], v[2:3], v[4:5]
	ds_load_b128 v[2:5], v1 offset:576
	scratch_load_b128 v[38:41], off, off offset:192
	v_fma_f64 v[149:150], v[141:142], v[6:7], v[149:150]
	v_fma_f64 v[155:156], v[139:140], v[6:7], -v[8:9]
	scratch_load_b128 v[139:142], off, off offset:208
	ds_load_b128 v[6:9], v1 offset:592
	s_waitcnt vmcnt(9) lgkmcnt(1)
	v_mul_f64 v[153:154], v[2:3], v[12:13]
	v_mul_f64 v[12:13], v[4:5], v[12:13]
	s_waitcnt vmcnt(8) lgkmcnt(0)
	v_mul_f64 v[157:158], v[6:7], v[16:17]
	v_mul_f64 v[16:17], v[8:9], v[16:17]
	v_add_f64 v[147:148], v[147:148], 0
	v_add_f64 v[151:152], v[151:152], 0
	v_fma_f64 v[153:154], v[4:5], v[10:11], v[153:154]
	v_fma_f64 v[159:160], v[2:3], v[10:11], -v[12:13]
	scratch_load_b128 v[10:13], off, off offset:224
	ds_load_b128 v[2:5], v1 offset:608
	v_add_f64 v[147:148], v[147:148], v[155:156]
	v_add_f64 v[149:150], v[151:152], v[149:150]
	v_fma_f64 v[155:156], v[8:9], v[14:15], v[157:158]
	v_fma_f64 v[157:158], v[6:7], v[14:15], -v[16:17]
	ds_load_b128 v[6:9], v1 offset:624
	scratch_load_b128 v[14:17], off, off offset:240
	s_waitcnt vmcnt(9) lgkmcnt(1)
	v_mul_f64 v[151:152], v[2:3], v[20:21]
	v_mul_f64 v[20:21], v[4:5], v[20:21]
	v_add_f64 v[147:148], v[147:148], v[159:160]
	v_add_f64 v[149:150], v[149:150], v[153:154]
	s_waitcnt vmcnt(8) lgkmcnt(0)
	v_mul_f64 v[153:154], v[6:7], v[24:25]
	v_mul_f64 v[24:25], v[8:9], v[24:25]
	v_fma_f64 v[151:152], v[4:5], v[18:19], v[151:152]
	v_fma_f64 v[159:160], v[2:3], v[18:19], -v[20:21]
	ds_load_b128 v[2:5], v1 offset:640
	scratch_load_b128 v[18:21], off, off offset:256
	v_add_f64 v[147:148], v[147:148], v[157:158]
	v_add_f64 v[149:150], v[149:150], v[155:156]
	v_fma_f64 v[153:154], v[8:9], v[22:23], v[153:154]
	v_fma_f64 v[157:158], v[6:7], v[22:23], -v[24:25]
	scratch_load_b128 v[22:25], off, off offset:272
	ds_load_b128 v[6:9], v1 offset:656
	s_waitcnt vmcnt(9) lgkmcnt(1)
	v_mul_f64 v[155:156], v[2:3], v[28:29]
	v_mul_f64 v[28:29], v[4:5], v[28:29]
	v_add_f64 v[147:148], v[147:148], v[159:160]
	v_add_f64 v[149:150], v[149:150], v[151:152]
	s_waitcnt vmcnt(8) lgkmcnt(0)
	v_mul_f64 v[151:152], v[6:7], v[32:33]
	v_mul_f64 v[32:33], v[8:9], v[32:33]
	v_fma_f64 v[155:156], v[4:5], v[26:27], v[155:156]
	v_fma_f64 v[159:160], v[2:3], v[26:27], -v[28:29]
	ds_load_b128 v[2:5], v1 offset:672
	scratch_load_b128 v[26:29], off, off offset:288
	v_add_f64 v[147:148], v[147:148], v[157:158]
	v_add_f64 v[149:150], v[149:150], v[153:154]
	v_fma_f64 v[151:152], v[8:9], v[30:31], v[151:152]
	v_fma_f64 v[157:158], v[6:7], v[30:31], -v[32:33]
	scratch_load_b128 v[30:33], off, off offset:304
	ds_load_b128 v[6:9], v1 offset:688
	;; [unrolled: 18-line block ×3, first 2 shown]
	s_waitcnt vmcnt(9) lgkmcnt(1)
	v_mul_f64 v[151:152], v[2:3], v[40:41]
	v_mul_f64 v[40:41], v[4:5], v[40:41]
	v_add_f64 v[147:148], v[147:148], v[159:160]
	v_add_f64 v[149:150], v[149:150], v[153:154]
	s_waitcnt vmcnt(8) lgkmcnt(0)
	v_mul_f64 v[153:154], v[6:7], v[141:142]
	v_mul_f64 v[141:142], v[8:9], v[141:142]
	v_fma_f64 v[151:152], v[4:5], v[38:39], v[151:152]
	v_fma_f64 v[159:160], v[2:3], v[38:39], -v[40:41]
	ds_load_b128 v[2:5], v1 offset:736
	scratch_load_b128 v[38:41], off, off offset:352
	v_add_f64 v[147:148], v[147:148], v[157:158]
	v_add_f64 v[149:150], v[149:150], v[155:156]
	v_fma_f64 v[153:154], v[8:9], v[139:140], v[153:154]
	v_fma_f64 v[157:158], v[6:7], v[139:140], -v[141:142]
	ds_load_b128 v[6:9], v1 offset:752
	s_waitcnt vmcnt(8) lgkmcnt(1)
	v_mul_f64 v[155:156], v[2:3], v[12:13]
	v_mul_f64 v[12:13], v[4:5], v[12:13]
	scratch_load_b128 v[139:142], off, off offset:368
	v_add_f64 v[147:148], v[147:148], v[159:160]
	v_add_f64 v[149:150], v[149:150], v[151:152]
	s_waitcnt vmcnt(8) lgkmcnt(0)
	v_mul_f64 v[151:152], v[6:7], v[16:17]
	v_mul_f64 v[16:17], v[8:9], v[16:17]
	v_fma_f64 v[155:156], v[4:5], v[10:11], v[155:156]
	v_fma_f64 v[159:160], v[2:3], v[10:11], -v[12:13]
	scratch_load_b128 v[10:13], off, off offset:384
	ds_load_b128 v[2:5], v1 offset:768
	v_add_f64 v[147:148], v[147:148], v[157:158]
	v_add_f64 v[149:150], v[149:150], v[153:154]
	v_fma_f64 v[151:152], v[8:9], v[14:15], v[151:152]
	v_fma_f64 v[157:158], v[6:7], v[14:15], -v[16:17]
	ds_load_b128 v[6:9], v1 offset:784
	s_waitcnt vmcnt(8) lgkmcnt(1)
	v_mul_f64 v[153:154], v[2:3], v[20:21]
	v_mul_f64 v[20:21], v[4:5], v[20:21]
	scratch_load_b128 v[14:17], off, off offset:400
	v_add_f64 v[147:148], v[147:148], v[159:160]
	v_add_f64 v[149:150], v[149:150], v[155:156]
	s_waitcnt vmcnt(8) lgkmcnt(0)
	v_mul_f64 v[155:156], v[6:7], v[24:25]
	v_mul_f64 v[24:25], v[8:9], v[24:25]
	v_fma_f64 v[153:154], v[4:5], v[18:19], v[153:154]
	v_fma_f64 v[159:160], v[2:3], v[18:19], -v[20:21]
	scratch_load_b128 v[18:21], off, off offset:416
	ds_load_b128 v[2:5], v1 offset:800
	;; [unrolled: 18-line block ×4, first 2 shown]
	v_add_f64 v[147:148], v[147:148], v[157:158]
	v_add_f64 v[149:150], v[149:150], v[153:154]
	v_fma_f64 v[151:152], v[8:9], v[143:144], v[151:152]
	v_fma_f64 v[157:158], v[6:7], v[143:144], -v[145:146]
	ds_load_b128 v[6:9], v1 offset:880
	s_waitcnt vmcnt(8) lgkmcnt(1)
	v_mul_f64 v[153:154], v[2:3], v[40:41]
	v_mul_f64 v[40:41], v[4:5], v[40:41]
	scratch_load_b128 v[143:146], off, off offset:496
	v_add_f64 v[147:148], v[147:148], v[159:160]
	v_add_f64 v[149:150], v[149:150], v[155:156]
	v_fma_f64 v[153:154], v[4:5], v[38:39], v[153:154]
	v_fma_f64 v[38:39], v[2:3], v[38:39], -v[40:41]
	ds_load_b128 v[2:5], v1 offset:896
	v_add_f64 v[40:41], v[147:148], v[157:158]
	v_add_f64 v[147:148], v[149:150], v[151:152]
	s_waitcnt vmcnt(7) lgkmcnt(0)
	v_mul_f64 v[149:150], v[2:3], v[12:13]
	v_mul_f64 v[12:13], v[4:5], v[12:13]
	s_delay_alu instid0(VALU_DEP_4) | instskip(NEXT) | instid1(VALU_DEP_4)
	v_add_f64 v[38:39], v[40:41], v[38:39]
	v_add_f64 v[40:41], v[147:148], v[153:154]
	s_delay_alu instid0(VALU_DEP_4) | instskip(NEXT) | instid1(VALU_DEP_4)
	v_fma_f64 v[147:148], v[4:5], v[10:11], v[149:150]
	v_fma_f64 v[149:150], v[2:3], v[10:11], -v[12:13]
	scratch_load_b128 v[10:13], off, off offset:16
	v_mul_f64 v[155:156], v[6:7], v[141:142]
	v_mul_f64 v[141:142], v[8:9], v[141:142]
	ds_load_b128 v[2:5], v1 offset:928
	v_fma_f64 v[151:152], v[8:9], v[139:140], v[155:156]
	v_fma_f64 v[139:140], v[6:7], v[139:140], -v[141:142]
	ds_load_b128 v[6:9], v1 offset:912
	s_waitcnt vmcnt(7) lgkmcnt(0)
	v_mul_f64 v[141:142], v[6:7], v[16:17]
	v_mul_f64 v[16:17], v[8:9], v[16:17]
	v_add_f64 v[40:41], v[40:41], v[151:152]
	v_add_f64 v[38:39], v[38:39], v[139:140]
	s_waitcnt vmcnt(6)
	v_mul_f64 v[139:140], v[2:3], v[20:21]
	v_mul_f64 v[20:21], v[4:5], v[20:21]
	v_fma_f64 v[141:142], v[8:9], v[14:15], v[141:142]
	v_fma_f64 v[14:15], v[6:7], v[14:15], -v[16:17]
	ds_load_b128 v[6:9], v1 offset:944
	v_add_f64 v[16:17], v[38:39], v[149:150]
	v_add_f64 v[38:39], v[40:41], v[147:148]
	v_fma_f64 v[139:140], v[4:5], v[18:19], v[139:140]
	v_fma_f64 v[18:19], v[2:3], v[18:19], -v[20:21]
	ds_load_b128 v[2:5], v1 offset:960
	s_waitcnt vmcnt(5) lgkmcnt(1)
	v_mul_f64 v[40:41], v[6:7], v[24:25]
	v_mul_f64 v[24:25], v[8:9], v[24:25]
	s_waitcnt vmcnt(4) lgkmcnt(0)
	v_mul_f64 v[20:21], v[2:3], v[28:29]
	v_mul_f64 v[28:29], v[4:5], v[28:29]
	v_add_f64 v[14:15], v[16:17], v[14:15]
	v_add_f64 v[16:17], v[38:39], v[141:142]
	v_fma_f64 v[38:39], v[8:9], v[22:23], v[40:41]
	v_fma_f64 v[22:23], v[6:7], v[22:23], -v[24:25]
	ds_load_b128 v[6:9], v1 offset:976
	v_fma_f64 v[20:21], v[4:5], v[26:27], v[20:21]
	v_fma_f64 v[26:27], v[2:3], v[26:27], -v[28:29]
	ds_load_b128 v[2:5], v1 offset:992
	s_waitcnt vmcnt(3) lgkmcnt(1)
	v_mul_f64 v[24:25], v[8:9], v[32:33]
	v_add_f64 v[14:15], v[14:15], v[18:19]
	v_add_f64 v[16:17], v[16:17], v[139:140]
	v_mul_f64 v[18:19], v[6:7], v[32:33]
	s_waitcnt vmcnt(2) lgkmcnt(0)
	v_mul_f64 v[28:29], v[4:5], v[36:37]
	v_fma_f64 v[24:25], v[6:7], v[30:31], -v[24:25]
	v_add_f64 v[14:15], v[14:15], v[22:23]
	v_add_f64 v[16:17], v[16:17], v[38:39]
	v_mul_f64 v[22:23], v[2:3], v[36:37]
	v_fma_f64 v[18:19], v[8:9], v[30:31], v[18:19]
	ds_load_b128 v[6:9], v1 offset:1008
	v_fma_f64 v[1:2], v[2:3], v[34:35], -v[28:29]
	v_add_f64 v[14:15], v[14:15], v[26:27]
	v_add_f64 v[16:17], v[16:17], v[20:21]
	s_waitcnt vmcnt(1) lgkmcnt(0)
	v_mul_f64 v[20:21], v[6:7], v[145:146]
	v_mul_f64 v[26:27], v[8:9], v[145:146]
	v_fma_f64 v[4:5], v[4:5], v[34:35], v[22:23]
	v_add_f64 v[14:15], v[14:15], v[24:25]
	v_add_f64 v[16:17], v[16:17], v[18:19]
	v_fma_f64 v[8:9], v[8:9], v[143:144], v[20:21]
	v_fma_f64 v[6:7], v[6:7], v[143:144], -v[26:27]
	s_delay_alu instid0(VALU_DEP_4) | instskip(NEXT) | instid1(VALU_DEP_4)
	v_add_f64 v[1:2], v[14:15], v[1:2]
	v_add_f64 v[3:4], v[16:17], v[4:5]
	s_delay_alu instid0(VALU_DEP_2) | instskip(NEXT) | instid1(VALU_DEP_2)
	v_add_f64 v[1:2], v[1:2], v[6:7]
	v_add_f64 v[3:4], v[3:4], v[8:9]
	s_waitcnt vmcnt(0)
	s_delay_alu instid0(VALU_DEP_2) | instskip(NEXT) | instid1(VALU_DEP_2)
	v_add_f64 v[1:2], v[10:11], -v[1:2]
	v_add_f64 v[3:4], v[12:13], -v[3:4]
	scratch_store_b128 off, v[1:4], off offset:16
	v_cmpx_ne_u32_e32 0, v106
	s_cbranch_execz .LBB31_205
; %bb.204:
	scratch_load_b128 v[1:4], off, off
	v_mov_b32_e32 v5, 0
	s_delay_alu instid0(VALU_DEP_1)
	v_mov_b32_e32 v6, v5
	v_mov_b32_e32 v7, v5
	v_mov_b32_e32 v8, v5
	scratch_store_b128 off, v[5:8], off
	s_waitcnt vmcnt(0)
	ds_store_b128 v138, v[1:4]
.LBB31_205:
	s_or_b32 exec_lo, exec_lo, s2
	s_waitcnt lgkmcnt(0)
	s_waitcnt_vscnt null, 0x0
	s_barrier
	buffer_gl0_inv
	s_clause 0x7
	scratch_load_b128 v[1:4], off, off offset:16
	scratch_load_b128 v[5:8], off, off offset:32
	;; [unrolled: 1-line block ×8, first 2 shown]
	v_mov_b32_e32 v41, 0
	s_and_b32 vcc_lo, exec_lo, s20
	ds_load_b128 v[37:40], v41 offset:528
	s_clause 0x1
	scratch_load_b128 v[33:36], off, off offset:144
	scratch_load_b128 v[138:141], off, off
	ds_load_b128 v[142:145], v41 offset:544
	scratch_load_b128 v[146:149], off, off offset:160
	s_waitcnt vmcnt(10) lgkmcnt(1)
	v_mul_f64 v[150:151], v[39:40], v[3:4]
	v_mul_f64 v[3:4], v[37:38], v[3:4]
	s_delay_alu instid0(VALU_DEP_2) | instskip(NEXT) | instid1(VALU_DEP_2)
	v_fma_f64 v[156:157], v[37:38], v[1:2], -v[150:151]
	v_fma_f64 v[158:159], v[39:40], v[1:2], v[3:4]
	scratch_load_b128 v[37:40], off, off offset:176
	ds_load_b128 v[1:4], v41 offset:560
	s_waitcnt vmcnt(10) lgkmcnt(1)
	v_mul_f64 v[154:155], v[142:143], v[7:8]
	v_mul_f64 v[7:8], v[144:145], v[7:8]
	ds_load_b128 v[150:153], v41 offset:576
	s_waitcnt vmcnt(9) lgkmcnt(1)
	v_mul_f64 v[160:161], v[1:2], v[11:12]
	v_mul_f64 v[11:12], v[3:4], v[11:12]
	v_fma_f64 v[144:145], v[144:145], v[5:6], v[154:155]
	v_fma_f64 v[142:143], v[142:143], v[5:6], -v[7:8]
	v_add_f64 v[154:155], v[156:157], 0
	v_add_f64 v[156:157], v[158:159], 0
	scratch_load_b128 v[5:8], off, off offset:192
	v_fma_f64 v[160:161], v[3:4], v[9:10], v[160:161]
	v_fma_f64 v[162:163], v[1:2], v[9:10], -v[11:12]
	scratch_load_b128 v[9:12], off, off offset:208
	ds_load_b128 v[1:4], v41 offset:592
	s_waitcnt vmcnt(10) lgkmcnt(1)
	v_mul_f64 v[158:159], v[150:151], v[15:16]
	v_mul_f64 v[15:16], v[152:153], v[15:16]
	v_add_f64 v[154:155], v[154:155], v[142:143]
	v_add_f64 v[156:157], v[156:157], v[144:145]
	s_waitcnt vmcnt(9) lgkmcnt(0)
	v_mul_f64 v[164:165], v[1:2], v[19:20]
	v_mul_f64 v[19:20], v[3:4], v[19:20]
	ds_load_b128 v[142:145], v41 offset:608
	v_fma_f64 v[152:153], v[152:153], v[13:14], v[158:159]
	v_fma_f64 v[150:151], v[150:151], v[13:14], -v[15:16]
	scratch_load_b128 v[13:16], off, off offset:224
	v_add_f64 v[154:155], v[154:155], v[162:163]
	v_add_f64 v[156:157], v[156:157], v[160:161]
	v_fma_f64 v[160:161], v[3:4], v[17:18], v[164:165]
	v_fma_f64 v[162:163], v[1:2], v[17:18], -v[19:20]
	scratch_load_b128 v[17:20], off, off offset:240
	ds_load_b128 v[1:4], v41 offset:624
	s_waitcnt vmcnt(10) lgkmcnt(1)
	v_mul_f64 v[158:159], v[142:143], v[23:24]
	v_mul_f64 v[23:24], v[144:145], v[23:24]
	s_waitcnt vmcnt(9) lgkmcnt(0)
	v_mul_f64 v[164:165], v[1:2], v[27:28]
	v_mul_f64 v[27:28], v[3:4], v[27:28]
	v_add_f64 v[154:155], v[154:155], v[150:151]
	v_add_f64 v[156:157], v[156:157], v[152:153]
	ds_load_b128 v[150:153], v41 offset:640
	v_fma_f64 v[144:145], v[144:145], v[21:22], v[158:159]
	v_fma_f64 v[142:143], v[142:143], v[21:22], -v[23:24]
	scratch_load_b128 v[21:24], off, off offset:256
	v_add_f64 v[154:155], v[154:155], v[162:163]
	v_add_f64 v[156:157], v[156:157], v[160:161]
	v_fma_f64 v[160:161], v[3:4], v[25:26], v[164:165]
	v_fma_f64 v[162:163], v[1:2], v[25:26], -v[27:28]
	scratch_load_b128 v[25:28], off, off offset:272
	ds_load_b128 v[1:4], v41 offset:656
	s_waitcnt vmcnt(10) lgkmcnt(1)
	v_mul_f64 v[158:159], v[150:151], v[31:32]
	v_mul_f64 v[31:32], v[152:153], v[31:32]
	s_waitcnt vmcnt(9) lgkmcnt(0)
	v_mul_f64 v[164:165], v[1:2], v[35:36]
	v_mul_f64 v[35:36], v[3:4], v[35:36]
	v_add_f64 v[154:155], v[154:155], v[142:143]
	v_add_f64 v[156:157], v[156:157], v[144:145]
	ds_load_b128 v[142:145], v41 offset:672
	v_fma_f64 v[152:153], v[152:153], v[29:30], v[158:159]
	v_fma_f64 v[150:151], v[150:151], v[29:30], -v[31:32]
	scratch_load_b128 v[29:32], off, off offset:288
	v_add_f64 v[154:155], v[154:155], v[162:163]
	v_add_f64 v[156:157], v[156:157], v[160:161]
	v_fma_f64 v[162:163], v[3:4], v[33:34], v[164:165]
	v_fma_f64 v[164:165], v[1:2], v[33:34], -v[35:36]
	scratch_load_b128 v[33:36], off, off offset:304
	ds_load_b128 v[1:4], v41 offset:688
	s_waitcnt vmcnt(9) lgkmcnt(1)
	v_mul_f64 v[158:159], v[142:143], v[148:149]
	v_mul_f64 v[160:161], v[144:145], v[148:149]
	v_add_f64 v[154:155], v[154:155], v[150:151]
	v_add_f64 v[152:153], v[156:157], v[152:153]
	ds_load_b128 v[148:151], v41 offset:704
	v_fma_f64 v[158:159], v[144:145], v[146:147], v[158:159]
	v_fma_f64 v[146:147], v[142:143], v[146:147], -v[160:161]
	scratch_load_b128 v[142:145], off, off offset:320
	s_waitcnt vmcnt(9) lgkmcnt(1)
	v_mul_f64 v[156:157], v[1:2], v[39:40]
	v_mul_f64 v[39:40], v[3:4], v[39:40]
	v_add_f64 v[154:155], v[154:155], v[164:165]
	v_add_f64 v[152:153], v[152:153], v[162:163]
	s_delay_alu instid0(VALU_DEP_4) | instskip(NEXT) | instid1(VALU_DEP_4)
	v_fma_f64 v[156:157], v[3:4], v[37:38], v[156:157]
	v_fma_f64 v[162:163], v[1:2], v[37:38], -v[39:40]
	scratch_load_b128 v[37:40], off, off offset:336
	ds_load_b128 v[1:4], v41 offset:720
	s_waitcnt vmcnt(9) lgkmcnt(1)
	v_mul_f64 v[160:161], v[148:149], v[7:8]
	v_mul_f64 v[7:8], v[150:151], v[7:8]
	s_waitcnt vmcnt(8) lgkmcnt(0)
	v_mul_f64 v[164:165], v[1:2], v[11:12]
	v_mul_f64 v[11:12], v[3:4], v[11:12]
	v_add_f64 v[146:147], v[154:155], v[146:147]
	v_add_f64 v[158:159], v[152:153], v[158:159]
	ds_load_b128 v[152:155], v41 offset:736
	v_fma_f64 v[150:151], v[150:151], v[5:6], v[160:161]
	v_fma_f64 v[148:149], v[148:149], v[5:6], -v[7:8]
	scratch_load_b128 v[5:8], off, off offset:352
	v_fma_f64 v[160:161], v[3:4], v[9:10], v[164:165]
	v_add_f64 v[146:147], v[146:147], v[162:163]
	v_add_f64 v[156:157], v[158:159], v[156:157]
	v_fma_f64 v[162:163], v[1:2], v[9:10], -v[11:12]
	scratch_load_b128 v[9:12], off, off offset:368
	ds_load_b128 v[1:4], v41 offset:752
	s_waitcnt vmcnt(9) lgkmcnt(1)
	v_mul_f64 v[158:159], v[152:153], v[15:16]
	v_mul_f64 v[15:16], v[154:155], v[15:16]
	v_add_f64 v[164:165], v[146:147], v[148:149]
	v_add_f64 v[150:151], v[156:157], v[150:151]
	s_waitcnt vmcnt(8) lgkmcnt(0)
	v_mul_f64 v[156:157], v[1:2], v[19:20]
	v_mul_f64 v[19:20], v[3:4], v[19:20]
	ds_load_b128 v[146:149], v41 offset:768
	v_fma_f64 v[154:155], v[154:155], v[13:14], v[158:159]
	v_fma_f64 v[152:153], v[152:153], v[13:14], -v[15:16]
	scratch_load_b128 v[13:16], off, off offset:384
	v_add_f64 v[158:159], v[164:165], v[162:163]
	v_add_f64 v[150:151], v[150:151], v[160:161]
	v_fma_f64 v[156:157], v[3:4], v[17:18], v[156:157]
	v_fma_f64 v[162:163], v[1:2], v[17:18], -v[19:20]
	scratch_load_b128 v[17:20], off, off offset:400
	ds_load_b128 v[1:4], v41 offset:784
	s_waitcnt vmcnt(9) lgkmcnt(1)
	v_mul_f64 v[160:161], v[146:147], v[23:24]
	v_mul_f64 v[23:24], v[148:149], v[23:24]
	s_waitcnt vmcnt(8) lgkmcnt(0)
	v_mul_f64 v[164:165], v[1:2], v[27:28]
	v_mul_f64 v[27:28], v[3:4], v[27:28]
	v_add_f64 v[158:159], v[158:159], v[152:153]
	v_add_f64 v[154:155], v[150:151], v[154:155]
	ds_load_b128 v[150:153], v41 offset:800
	v_fma_f64 v[148:149], v[148:149], v[21:22], v[160:161]
	v_fma_f64 v[146:147], v[146:147], v[21:22], -v[23:24]
	scratch_load_b128 v[21:24], off, off offset:416
	v_fma_f64 v[160:161], v[3:4], v[25:26], v[164:165]
	v_add_f64 v[158:159], v[158:159], v[162:163]
	v_add_f64 v[154:155], v[154:155], v[156:157]
	v_fma_f64 v[162:163], v[1:2], v[25:26], -v[27:28]
	scratch_load_b128 v[25:28], off, off offset:432
	ds_load_b128 v[1:4], v41 offset:816
	s_waitcnt vmcnt(9) lgkmcnt(1)
	v_mul_f64 v[156:157], v[150:151], v[31:32]
	v_mul_f64 v[31:32], v[152:153], v[31:32]
	s_waitcnt vmcnt(8) lgkmcnt(0)
	v_mul_f64 v[164:165], v[1:2], v[35:36]
	v_mul_f64 v[35:36], v[3:4], v[35:36]
	v_add_f64 v[158:159], v[158:159], v[146:147]
	v_add_f64 v[154:155], v[154:155], v[148:149]
	ds_load_b128 v[146:149], v41 offset:832
	v_fma_f64 v[152:153], v[152:153], v[29:30], v[156:157]
	v_fma_f64 v[150:151], v[150:151], v[29:30], -v[31:32]
	scratch_load_b128 v[29:32], off, off offset:448
	v_add_f64 v[156:157], v[158:159], v[162:163]
	v_add_f64 v[154:155], v[154:155], v[160:161]
	v_fma_f64 v[160:161], v[3:4], v[33:34], v[164:165]
	v_fma_f64 v[162:163], v[1:2], v[33:34], -v[35:36]
	scratch_load_b128 v[33:36], off, off offset:464
	ds_load_b128 v[1:4], v41 offset:848
	s_waitcnt vmcnt(9) lgkmcnt(1)
	v_mul_f64 v[158:159], v[146:147], v[144:145]
	v_mul_f64 v[144:145], v[148:149], v[144:145]
	s_waitcnt vmcnt(8) lgkmcnt(0)
	v_mul_f64 v[164:165], v[1:2], v[39:40]
	v_mul_f64 v[39:40], v[3:4], v[39:40]
	v_add_f64 v[156:157], v[156:157], v[150:151]
	v_add_f64 v[154:155], v[154:155], v[152:153]
	ds_load_b128 v[150:153], v41 offset:864
	v_fma_f64 v[148:149], v[148:149], v[142:143], v[158:159]
	v_fma_f64 v[146:147], v[146:147], v[142:143], -v[144:145]
	scratch_load_b128 v[142:145], off, off offset:480
	v_add_f64 v[156:157], v[156:157], v[162:163]
	v_add_f64 v[154:155], v[154:155], v[160:161]
	v_fma_f64 v[160:161], v[3:4], v[37:38], v[164:165]
	v_fma_f64 v[162:163], v[1:2], v[37:38], -v[39:40]
	scratch_load_b128 v[37:40], off, off offset:496
	ds_load_b128 v[1:4], v41 offset:880
	s_waitcnt vmcnt(9) lgkmcnt(1)
	v_mul_f64 v[158:159], v[150:151], v[7:8]
	v_mul_f64 v[7:8], v[152:153], v[7:8]
	s_waitcnt vmcnt(8) lgkmcnt(0)
	v_mul_f64 v[164:165], v[1:2], v[11:12]
	v_mul_f64 v[11:12], v[3:4], v[11:12]
	v_add_f64 v[156:157], v[156:157], v[146:147]
	v_add_f64 v[154:155], v[154:155], v[148:149]
	ds_load_b128 v[146:149], v41 offset:896
	v_fma_f64 v[152:153], v[152:153], v[5:6], v[158:159]
	v_fma_f64 v[5:6], v[150:151], v[5:6], -v[7:8]
	v_add_f64 v[7:8], v[156:157], v[162:163]
	v_add_f64 v[150:151], v[154:155], v[160:161]
	s_waitcnt vmcnt(7) lgkmcnt(0)
	v_mul_f64 v[154:155], v[146:147], v[15:16]
	v_mul_f64 v[15:16], v[148:149], v[15:16]
	v_fma_f64 v[156:157], v[3:4], v[9:10], v[164:165]
	v_fma_f64 v[9:10], v[1:2], v[9:10], -v[11:12]
	v_add_f64 v[11:12], v[7:8], v[5:6]
	v_add_f64 v[150:151], v[150:151], v[152:153]
	ds_load_b128 v[1:4], v41 offset:912
	ds_load_b128 v[5:8], v41 offset:928
	v_fma_f64 v[148:149], v[148:149], v[13:14], v[154:155]
	v_fma_f64 v[13:14], v[146:147], v[13:14], -v[15:16]
	s_waitcnt vmcnt(6) lgkmcnt(1)
	v_mul_f64 v[152:153], v[1:2], v[19:20]
	v_mul_f64 v[19:20], v[3:4], v[19:20]
	s_waitcnt vmcnt(5) lgkmcnt(0)
	v_mul_f64 v[15:16], v[5:6], v[23:24]
	v_mul_f64 v[23:24], v[7:8], v[23:24]
	v_add_f64 v[9:10], v[11:12], v[9:10]
	v_add_f64 v[11:12], v[150:151], v[156:157]
	v_fma_f64 v[146:147], v[3:4], v[17:18], v[152:153]
	v_fma_f64 v[17:18], v[1:2], v[17:18], -v[19:20]
	v_fma_f64 v[7:8], v[7:8], v[21:22], v[15:16]
	v_fma_f64 v[5:6], v[5:6], v[21:22], -v[23:24]
	v_add_f64 v[13:14], v[9:10], v[13:14]
	v_add_f64 v[19:20], v[11:12], v[148:149]
	ds_load_b128 v[1:4], v41 offset:944
	ds_load_b128 v[9:12], v41 offset:960
	s_waitcnt vmcnt(4) lgkmcnt(1)
	v_mul_f64 v[148:149], v[1:2], v[27:28]
	v_mul_f64 v[27:28], v[3:4], v[27:28]
	v_add_f64 v[13:14], v[13:14], v[17:18]
	v_add_f64 v[15:16], v[19:20], v[146:147]
	s_waitcnt vmcnt(3) lgkmcnt(0)
	v_mul_f64 v[17:18], v[9:10], v[31:32]
	v_mul_f64 v[19:20], v[11:12], v[31:32]
	v_fma_f64 v[21:22], v[3:4], v[25:26], v[148:149]
	v_fma_f64 v[23:24], v[1:2], v[25:26], -v[27:28]
	v_add_f64 v[13:14], v[13:14], v[5:6]
	v_add_f64 v[15:16], v[15:16], v[7:8]
	ds_load_b128 v[1:4], v41 offset:976
	ds_load_b128 v[5:8], v41 offset:992
	v_fma_f64 v[11:12], v[11:12], v[29:30], v[17:18]
	v_fma_f64 v[9:10], v[9:10], v[29:30], -v[19:20]
	s_waitcnt vmcnt(2) lgkmcnt(1)
	v_mul_f64 v[25:26], v[1:2], v[35:36]
	v_mul_f64 v[27:28], v[3:4], v[35:36]
	s_waitcnt vmcnt(1) lgkmcnt(0)
	v_mul_f64 v[17:18], v[5:6], v[144:145]
	v_mul_f64 v[19:20], v[7:8], v[144:145]
	v_add_f64 v[13:14], v[13:14], v[23:24]
	v_add_f64 v[15:16], v[15:16], v[21:22]
	v_fma_f64 v[21:22], v[3:4], v[33:34], v[25:26]
	v_fma_f64 v[23:24], v[1:2], v[33:34], -v[27:28]
	ds_load_b128 v[1:4], v41 offset:1008
	v_fma_f64 v[7:8], v[7:8], v[142:143], v[17:18]
	v_fma_f64 v[5:6], v[5:6], v[142:143], -v[19:20]
	v_add_f64 v[9:10], v[13:14], v[9:10]
	v_add_f64 v[11:12], v[15:16], v[11:12]
	s_waitcnt vmcnt(0) lgkmcnt(0)
	v_mul_f64 v[13:14], v[1:2], v[39:40]
	v_mul_f64 v[15:16], v[3:4], v[39:40]
	s_delay_alu instid0(VALU_DEP_4) | instskip(NEXT) | instid1(VALU_DEP_4)
	v_add_f64 v[9:10], v[9:10], v[23:24]
	v_add_f64 v[11:12], v[11:12], v[21:22]
	s_delay_alu instid0(VALU_DEP_4) | instskip(NEXT) | instid1(VALU_DEP_4)
	v_fma_f64 v[3:4], v[3:4], v[37:38], v[13:14]
	v_fma_f64 v[1:2], v[1:2], v[37:38], -v[15:16]
	s_delay_alu instid0(VALU_DEP_4) | instskip(NEXT) | instid1(VALU_DEP_4)
	v_add_f64 v[5:6], v[9:10], v[5:6]
	v_add_f64 v[7:8], v[11:12], v[7:8]
	s_delay_alu instid0(VALU_DEP_2) | instskip(NEXT) | instid1(VALU_DEP_2)
	v_add_f64 v[1:2], v[5:6], v[1:2]
	v_add_f64 v[3:4], v[7:8], v[3:4]
	s_delay_alu instid0(VALU_DEP_2) | instskip(NEXT) | instid1(VALU_DEP_2)
	v_add_f64 v[1:2], v[138:139], -v[1:2]
	v_add_f64 v[3:4], v[140:141], -v[3:4]
	scratch_store_b128 off, v[1:4], off
	s_cbranch_vccz .LBB31_269
; %bb.206:
	v_dual_mov_b32 v1, s16 :: v_dual_mov_b32 v2, s17
	s_load_b64 s[0:1], s[0:1], 0x4
	flat_load_b32 v1, v[1:2] offset:120
	v_bfe_u32 v2, v0, 10, 10
	v_bfe_u32 v0, v0, 20, 10
	s_waitcnt lgkmcnt(0)
	s_lshr_b32 s0, s0, 16
	s_delay_alu instid0(VALU_DEP_2) | instskip(SKIP_1) | instid1(SALU_CYCLE_1)
	v_mul_u32_u24_e32 v2, s1, v2
	s_mul_i32 s0, s0, s1
	v_mul_u32_u24_e32 v3, s0, v106
	s_mov_b32 s0, exec_lo
	s_delay_alu instid0(VALU_DEP_1) | instskip(NEXT) | instid1(VALU_DEP_1)
	v_add3_u32 v0, v3, v2, v0
	v_lshl_add_u32 v0, v0, 4, 0x408
	s_waitcnt vmcnt(0)
	v_cmpx_ne_u32_e32 31, v1
	s_cbranch_execz .LBB31_208
; %bb.207:
	v_lshl_add_u32 v9, v1, 4, 0
	s_clause 0x1
	scratch_load_b128 v[1:4], v112, off
	scratch_load_b128 v[5:8], v9, off offset:-16
	s_waitcnt vmcnt(1)
	ds_store_2addr_b64 v0, v[1:2], v[3:4] offset1:1
	s_waitcnt vmcnt(0)
	s_clause 0x1
	scratch_store_b128 v112, v[5:8], off
	scratch_store_b128 v9, v[1:4], off offset:-16
.LBB31_208:
	s_or_b32 exec_lo, exec_lo, s0
	v_dual_mov_b32 v1, s16 :: v_dual_mov_b32 v2, s17
	s_mov_b32 s0, exec_lo
	flat_load_b32 v1, v[1:2] offset:116
	s_waitcnt vmcnt(0) lgkmcnt(0)
	v_cmpx_ne_u32_e32 30, v1
	s_cbranch_execz .LBB31_210
; %bb.209:
	v_lshl_add_u32 v9, v1, 4, 0
	s_clause 0x1
	scratch_load_b128 v[1:4], v113, off
	scratch_load_b128 v[5:8], v9, off offset:-16
	s_waitcnt vmcnt(1)
	ds_store_2addr_b64 v0, v[1:2], v[3:4] offset1:1
	s_waitcnt vmcnt(0)
	s_clause 0x1
	scratch_store_b128 v113, v[5:8], off
	scratch_store_b128 v9, v[1:4], off offset:-16
.LBB31_210:
	s_or_b32 exec_lo, exec_lo, s0
	v_dual_mov_b32 v1, s16 :: v_dual_mov_b32 v2, s17
	s_mov_b32 s0, exec_lo
	flat_load_b32 v1, v[1:2] offset:112
	s_waitcnt vmcnt(0) lgkmcnt(0)
	;; [unrolled: 19-line block ×29, first 2 shown]
	v_cmpx_ne_u32_e32 2, v1
	s_cbranch_execz .LBB31_266
; %bb.265:
	v_lshl_add_u32 v9, v1, 4, 0
	s_clause 0x1
	scratch_load_b128 v[1:4], v110, off
	scratch_load_b128 v[5:8], v9, off offset:-16
	s_waitcnt vmcnt(1)
	ds_store_2addr_b64 v0, v[1:2], v[3:4] offset1:1
	s_waitcnt vmcnt(0)
	s_clause 0x1
	scratch_store_b128 v110, v[5:8], off
	scratch_store_b128 v9, v[1:4], off offset:-16
.LBB31_266:
	s_or_b32 exec_lo, exec_lo, s0
	v_dual_mov_b32 v1, s16 :: v_dual_mov_b32 v2, s17
	s_mov_b32 s0, exec_lo
	flat_load_b32 v1, v[1:2]
	s_waitcnt vmcnt(0) lgkmcnt(0)
	v_cmpx_ne_u32_e32 1, v1
	s_cbranch_execz .LBB31_268
; %bb.267:
	v_lshl_add_u32 v9, v1, 4, 0
	scratch_load_b128 v[1:4], off, off
	scratch_load_b128 v[5:8], v9, off offset:-16
	s_waitcnt vmcnt(1)
	ds_store_2addr_b64 v0, v[1:2], v[3:4] offset1:1
	s_waitcnt vmcnt(0)
	scratch_store_b128 off, v[5:8], off
	scratch_store_b128 v9, v[1:4], off offset:-16
.LBB31_268:
	s_or_b32 exec_lo, exec_lo, s0
.LBB31_269:
	scratch_load_b128 v[0:3], off, off
	s_clause 0x14
	scratch_load_b128 v[4:7], v110, off
	scratch_load_b128 v[8:11], v108, off
	;; [unrolled: 1-line block ×21, first 2 shown]
	s_waitcnt vmcnt(21)
	global_store_b128 v[44:45], v[0:3], off
	s_clause 0x1
	scratch_load_b128 v[0:3], v119, off
	scratch_load_b128 v[119:122], v120, off
	s_waitcnt vmcnt(22)
	global_store_b128 v[42:43], v[4:7], off
	s_clause 0x1
	scratch_load_b128 v[4:7], v118, off
	scratch_load_b128 v[40:43], v117, off
	s_waitcnt vmcnt(23)
	global_store_b128 v[46:47], v[8:11], off
	s_clause 0x1
	scratch_load_b128 v[8:11], v115, off
	scratch_load_b128 v[44:47], v116, off
	s_waitcnt vmcnt(24)
	global_store_b128 v[48:49], v[12:15], off
	s_clause 0x1
	scratch_load_b128 v[12:15], v114, off
	scratch_load_b128 v[113:116], v113, off
	s_waitcnt vmcnt(25)
	global_store_b128 v[50:51], v[16:19], off
	s_clause 0x1
	scratch_load_b128 v[16:19], v112, off
	scratch_load_b128 v[48:51], v111, off
	s_waitcnt vmcnt(26)
	global_store_b128 v[52:53], v[20:23], off
	s_waitcnt vmcnt(25)
	global_store_b128 v[54:55], v[24:27], off
	;; [unrolled: 2-line block ×27, first 2 shown]
	s_endpgm
	.section	.rodata,"a",@progbits
	.p2align	6, 0x0
	.amdhsa_kernel _ZN9rocsolver6v33100L18getri_kernel_smallILi32E19rocblas_complex_numIdEPS3_EEvT1_iilPiilS6_bb
		.amdhsa_group_segment_fixed_size 2056
		.amdhsa_private_segment_fixed_size 528
		.amdhsa_kernarg_size 60
		.amdhsa_user_sgpr_count 15
		.amdhsa_user_sgpr_dispatch_ptr 1
		.amdhsa_user_sgpr_queue_ptr 0
		.amdhsa_user_sgpr_kernarg_segment_ptr 1
		.amdhsa_user_sgpr_dispatch_id 0
		.amdhsa_user_sgpr_private_segment_size 0
		.amdhsa_wavefront_size32 1
		.amdhsa_uses_dynamic_stack 0
		.amdhsa_enable_private_segment 1
		.amdhsa_system_sgpr_workgroup_id_x 1
		.amdhsa_system_sgpr_workgroup_id_y 0
		.amdhsa_system_sgpr_workgroup_id_z 0
		.amdhsa_system_sgpr_workgroup_info 0
		.amdhsa_system_vgpr_workitem_id 2
		.amdhsa_next_free_vgpr 178
		.amdhsa_next_free_sgpr 39
		.amdhsa_reserve_vcc 1
		.amdhsa_float_round_mode_32 0
		.amdhsa_float_round_mode_16_64 0
		.amdhsa_float_denorm_mode_32 3
		.amdhsa_float_denorm_mode_16_64 3
		.amdhsa_dx10_clamp 1
		.amdhsa_ieee_mode 1
		.amdhsa_fp16_overflow 0
		.amdhsa_workgroup_processor_mode 1
		.amdhsa_memory_ordered 1
		.amdhsa_forward_progress 0
		.amdhsa_shared_vgpr_count 0
		.amdhsa_exception_fp_ieee_invalid_op 0
		.amdhsa_exception_fp_denorm_src 0
		.amdhsa_exception_fp_ieee_div_zero 0
		.amdhsa_exception_fp_ieee_overflow 0
		.amdhsa_exception_fp_ieee_underflow 0
		.amdhsa_exception_fp_ieee_inexact 0
		.amdhsa_exception_int_div_zero 0
	.end_amdhsa_kernel
	.section	.text._ZN9rocsolver6v33100L18getri_kernel_smallILi32E19rocblas_complex_numIdEPS3_EEvT1_iilPiilS6_bb,"axG",@progbits,_ZN9rocsolver6v33100L18getri_kernel_smallILi32E19rocblas_complex_numIdEPS3_EEvT1_iilPiilS6_bb,comdat
.Lfunc_end31:
	.size	_ZN9rocsolver6v33100L18getri_kernel_smallILi32E19rocblas_complex_numIdEPS3_EEvT1_iilPiilS6_bb, .Lfunc_end31-_ZN9rocsolver6v33100L18getri_kernel_smallILi32E19rocblas_complex_numIdEPS3_EEvT1_iilPiilS6_bb
                                        ; -- End function
	.section	.AMDGPU.csdata,"",@progbits
; Kernel info:
; codeLenInByte = 53856
; NumSgprs: 41
; NumVgprs: 178
; ScratchSize: 528
; MemoryBound: 0
; FloatMode: 240
; IeeeMode: 1
; LDSByteSize: 2056 bytes/workgroup (compile time only)
; SGPRBlocks: 5
; VGPRBlocks: 22
; NumSGPRsForWavesPerEU: 41
; NumVGPRsForWavesPerEU: 178
; Occupancy: 8
; WaveLimiterHint : 1
; COMPUTE_PGM_RSRC2:SCRATCH_EN: 1
; COMPUTE_PGM_RSRC2:USER_SGPR: 15
; COMPUTE_PGM_RSRC2:TRAP_HANDLER: 0
; COMPUTE_PGM_RSRC2:TGID_X_EN: 1
; COMPUTE_PGM_RSRC2:TGID_Y_EN: 0
; COMPUTE_PGM_RSRC2:TGID_Z_EN: 0
; COMPUTE_PGM_RSRC2:TIDIG_COMP_CNT: 2
	.section	.text._ZN9rocsolver6v33100L18getri_kernel_smallILi33E19rocblas_complex_numIdEPS3_EEvT1_iilPiilS6_bb,"axG",@progbits,_ZN9rocsolver6v33100L18getri_kernel_smallILi33E19rocblas_complex_numIdEPS3_EEvT1_iilPiilS6_bb,comdat
	.globl	_ZN9rocsolver6v33100L18getri_kernel_smallILi33E19rocblas_complex_numIdEPS3_EEvT1_iilPiilS6_bb ; -- Begin function _ZN9rocsolver6v33100L18getri_kernel_smallILi33E19rocblas_complex_numIdEPS3_EEvT1_iilPiilS6_bb
	.p2align	8
	.type	_ZN9rocsolver6v33100L18getri_kernel_smallILi33E19rocblas_complex_numIdEPS3_EEvT1_iilPiilS6_bb,@function
_ZN9rocsolver6v33100L18getri_kernel_smallILi33E19rocblas_complex_numIdEPS3_EEvT1_iilPiilS6_bb: ; @_ZN9rocsolver6v33100L18getri_kernel_smallILi33E19rocblas_complex_numIdEPS3_EEvT1_iilPiilS6_bb
; %bb.0:
	v_and_b32_e32 v108, 0x3ff, v0
	s_mov_b32 s4, exec_lo
	s_delay_alu instid0(VALU_DEP_1)
	v_cmpx_gt_u32_e32 33, v108
	s_cbranch_execz .LBB32_146
; %bb.1:
	s_mov_b32 s18, s15
	s_clause 0x2
	s_load_b32 s21, s[2:3], 0x38
	s_load_b128 s[12:15], s[2:3], 0x10
	s_load_b128 s[4:7], s[2:3], 0x28
                                        ; implicit-def: $sgpr16_sgpr17
	s_waitcnt lgkmcnt(0)
	s_bitcmp1_b32 s21, 8
	s_cselect_b32 s20, -1, 0
	s_bfe_u32 s8, s21, 0x10008
	s_ashr_i32 s19, s18, 31
	s_cmp_eq_u32 s8, 0
	s_cbranch_scc1 .LBB32_3
; %bb.2:
	s_load_b32 s8, s[2:3], 0x20
	s_mul_i32 s5, s18, s5
	s_mul_hi_u32 s9, s18, s4
	s_mul_i32 s10, s19, s4
	s_add_i32 s5, s9, s5
	s_mul_i32 s4, s18, s4
	s_add_i32 s5, s5, s10
	s_delay_alu instid0(SALU_CYCLE_1)
	s_lshl_b64 s[4:5], s[4:5], 2
	s_waitcnt lgkmcnt(0)
	s_ashr_i32 s9, s8, 31
	s_add_u32 s10, s14, s4
	s_addc_u32 s11, s15, s5
	s_lshl_b64 s[4:5], s[8:9], 2
	s_delay_alu instid0(SALU_CYCLE_1)
	s_add_u32 s16, s10, s4
	s_addc_u32 s17, s11, s5
.LBB32_3:
	s_load_b128 s[8:11], s[2:3], 0x0
	s_mul_i32 s2, s18, s13
	s_mul_hi_u32 s3, s18, s12
	s_mul_i32 s4, s19, s12
	s_add_i32 s3, s3, s2
	s_mul_i32 s2, s18, s12
	s_add_i32 s3, s3, s4
	v_lshlrev_b32_e32 v21, 4, v108
	s_lshl_b64 s[2:3], s[2:3], 4
	s_movk_i32 s12, 0xc0
	s_movk_i32 s13, 0xd0
	;; [unrolled: 1-line block ×11, first 2 shown]
	s_waitcnt lgkmcnt(0)
	v_add3_u32 v5, s11, s11, v108
	s_ashr_i32 s5, s10, 31
	s_mov_b32 s4, s10
	s_add_u32 s8, s8, s2
	s_addc_u32 s9, s9, s3
	v_add_nc_u32_e32 v7, s11, v5
	s_lshl_b64 s[2:3], s[4:5], 4
	v_ashrrev_i32_e32 v6, 31, v5
	s_add_u32 s2, s8, s2
	s_addc_u32 s3, s9, s3
	v_add_nc_u32_e32 v13, s11, v7
	v_add_co_u32 v42, s8, s2, v21
	v_ashrrev_i32_e32 v8, 31, v7
	s_mov_b32 s4, s11
	s_delay_alu instid0(VALU_DEP_3) | instskip(SKIP_3) | instid1(VALU_DEP_3)
	v_add_nc_u32_e32 v15, s11, v13
	s_ashr_i32 s5, s11, 31
	v_add_co_ci_u32_e64 v43, null, s3, 0, s8
	v_lshlrev_b64 v[5:6], 4, v[5:6]
	v_add_nc_u32_e32 v19, s11, v15
	s_lshl_b64 s[4:5], s[4:5], 4
	v_ashrrev_i32_e32 v14, 31, v13
	v_add_co_u32 v46, vcc_lo, v42, s4
	v_lshlrev_b64 v[17:18], 4, v[7:8]
	v_ashrrev_i32_e32 v16, 31, v15
	v_add_co_ci_u32_e32 v47, vcc_lo, s5, v43, vcc_lo
	v_add_nc_u32_e32 v22, s11, v19
	v_add_co_u32 v44, vcc_lo, s2, v5
	v_lshlrev_b64 v[13:14], 4, v[13:14]
	v_ashrrev_i32_e32 v20, 31, v19
	v_add_co_ci_u32_e32 v45, vcc_lo, s3, v6, vcc_lo
	v_add_co_u32 v48, vcc_lo, s2, v17
	v_lshlrev_b64 v[15:16], 4, v[15:16]
	v_add_nc_u32_e32 v38, s11, v22
	v_add_co_ci_u32_e32 v49, vcc_lo, s3, v18, vcc_lo
	v_add_co_u32 v50, vcc_lo, s2, v13
	v_lshlrev_b64 v[26:27], 4, v[19:20]
	v_ashrrev_i32_e32 v23, 31, v22
	v_add_co_ci_u32_e32 v51, vcc_lo, s3, v14, vcc_lo
	v_add_co_u32 v52, vcc_lo, s2, v15
	v_ashrrev_i32_e32 v39, 31, v38
	v_add_co_ci_u32_e32 v53, vcc_lo, s3, v16, vcc_lo
	v_lshlrev_b64 v[28:29], 4, v[22:23]
	v_add_co_u32 v54, vcc_lo, s2, v26
	v_add_co_ci_u32_e32 v55, vcc_lo, s3, v27, vcc_lo
	v_lshlrev_b64 v[26:27], 4, v[38:39]
	s_delay_alu instid0(VALU_DEP_4)
	v_add_co_u32 v56, vcc_lo, s2, v28
	v_add_co_ci_u32_e32 v57, vcc_lo, s3, v29, vcc_lo
	global_load_b128 v[1:4], v21, s[2:3]
	v_add_co_u32 v58, vcc_lo, s2, v26
	v_add_co_ci_u32_e32 v59, vcc_lo, s3, v27, vcc_lo
	s_clause 0x7
	global_load_b128 v[5:8], v[46:47], off
	global_load_b128 v[9:12], v[44:45], off
	;; [unrolled: 1-line block ×8, first 2 shown]
	v_add_nc_u32_e32 v38, s11, v38
	s_movk_i32 s4, 0x60
	s_movk_i32 s5, 0x70
	;; [unrolled: 1-line block ×4, first 2 shown]
	v_add_nc_u32_e32 v40, s11, v38
	v_ashrrev_i32_e32 v39, 31, v38
	s_movk_i32 s10, 0xa0
	s_movk_i32 s29, 0x170
	;; [unrolled: 1-line block ×3, first 2 shown]
	v_add_nc_u32_e32 v62, s11, v40
	v_ashrrev_i32_e32 v41, 31, v40
	v_lshlrev_b64 v[38:39], 4, v[38:39]
	s_movk_i32 s31, 0x190
	s_movk_i32 s33, 0x1a0
	v_add_nc_u32_e32 v64, s11, v62
	v_ashrrev_i32_e32 v63, 31, v62
	v_lshlrev_b64 v[40:41], 4, v[40:41]
	v_add_co_u32 v60, vcc_lo, s2, v38
	s_delay_alu instid0(VALU_DEP_4) | instskip(SKIP_3) | instid1(VALU_DEP_4)
	v_add_nc_u32_e32 v66, s11, v64
	v_ashrrev_i32_e32 v65, 31, v64
	v_add_co_ci_u32_e32 v61, vcc_lo, s3, v39, vcc_lo
	v_lshlrev_b64 v[38:39], 4, v[62:63]
	v_add_nc_u32_e32 v70, s11, v66
	v_ashrrev_i32_e32 v67, 31, v66
	v_add_co_u32 v62, vcc_lo, s2, v40
	v_lshlrev_b64 v[68:69], 4, v[64:65]
	s_delay_alu instid0(VALU_DEP_4)
	v_add_nc_u32_e32 v74, s11, v70
	v_add_co_ci_u32_e32 v63, vcc_lo, s3, v41, vcc_lo
	v_add_co_u32 v64, vcc_lo, s2, v38
	v_lshlrev_b64 v[72:73], 4, v[66:67]
	v_add_co_ci_u32_e32 v65, vcc_lo, s3, v39, vcc_lo
	v_add_co_u32 v66, vcc_lo, s2, v68
	v_ashrrev_i32_e32 v75, 31, v74
	v_add_nc_u32_e32 v76, s11, v74
	v_add_co_ci_u32_e32 v67, vcc_lo, s3, v69, vcc_lo
	v_ashrrev_i32_e32 v71, 31, v70
	v_add_co_u32 v68, vcc_lo, s2, v72
	v_add_co_ci_u32_e32 v69, vcc_lo, s3, v73, vcc_lo
	v_lshlrev_b64 v[72:73], 4, v[74:75]
	v_add_nc_u32_e32 v74, s11, v76
	v_lshlrev_b64 v[70:71], 4, v[70:71]
	v_ashrrev_i32_e32 v77, 31, v76
	s_clause 0x3
	global_load_b128 v[38:41], v[60:61], off
	global_load_b128 v[114:117], v[62:63], off
	global_load_b128 v[119:122], v[64:65], off
	global_load_b128 v[123:126], v[66:67], off
	v_add_nc_u32_e32 v78, s11, v74
	v_ashrrev_i32_e32 v75, 31, v74
	v_add_co_u32 v70, vcc_lo, s2, v70
	v_lshlrev_b64 v[76:77], 4, v[76:77]
	s_delay_alu instid0(VALU_DEP_4)
	v_add_nc_u32_e32 v82, s11, v78
	v_add_co_ci_u32_e32 v71, vcc_lo, s3, v71, vcc_lo
	v_add_co_u32 v72, vcc_lo, s2, v72
	v_lshlrev_b64 v[80:81], 4, v[74:75]
	v_add_co_ci_u32_e32 v73, vcc_lo, s3, v73, vcc_lo
	v_add_co_u32 v74, vcc_lo, s2, v76
	v_ashrrev_i32_e32 v83, 31, v82
	v_add_nc_u32_e32 v84, s11, v82
	v_add_co_ci_u32_e32 v75, vcc_lo, s3, v77, vcc_lo
	v_ashrrev_i32_e32 v79, 31, v78
	v_add_co_u32 v76, vcc_lo, s2, v80
	v_add_co_ci_u32_e32 v77, vcc_lo, s3, v81, vcc_lo
	v_lshlrev_b64 v[80:81], 4, v[82:83]
	v_add_nc_u32_e32 v82, s11, v84
	v_lshlrev_b64 v[78:79], 4, v[78:79]
	v_ashrrev_i32_e32 v85, 31, v84
	s_clause 0x3
	global_load_b128 v[141:144], v[68:69], off
	global_load_b128 v[145:148], v[70:71], off
	global_load_b128 v[149:152], v[72:73], off
	global_load_b128 v[153:156], v[74:75], off
	;; [unrolled: 26-line block ×3, first 2 shown]
	v_add_nc_u32_e32 v94, s11, v90
	v_ashrrev_i32_e32 v91, 31, v90
	v_add_co_u32 v86, vcc_lo, s2, v86
	v_lshlrev_b64 v[92:93], 4, v[92:93]
	s_delay_alu instid0(VALU_DEP_4)
	v_add_nc_u32_e32 v98, s11, v94
	v_add_co_ci_u32_e32 v87, vcc_lo, s3, v87, vcc_lo
	v_add_co_u32 v88, vcc_lo, s2, v88
	v_lshlrev_b64 v[96:97], 4, v[90:91]
	v_add_co_ci_u32_e32 v89, vcc_lo, s3, v89, vcc_lo
	v_add_co_u32 v90, vcc_lo, s2, v92
	v_ashrrev_i32_e32 v99, 31, v98
	v_add_nc_u32_e32 v100, s11, v98
	v_add_co_ci_u32_e32 v91, vcc_lo, s3, v93, vcc_lo
	v_add_co_u32 v92, vcc_lo, s2, v96
	v_ashrrev_i32_e32 v95, 31, v94
	v_add_co_ci_u32_e32 v93, vcc_lo, s3, v97, vcc_lo
	v_lshlrev_b64 v[96:97], 4, v[98:99]
	v_add_nc_u32_e32 v98, s11, v100
	s_delay_alu instid0(VALU_DEP_4)
	v_lshlrev_b64 v[94:95], 4, v[94:95]
	v_ashrrev_i32_e32 v101, 31, v100
	s_clause 0x1
	global_load_b128 v[173:176], v[84:85], off
	global_load_b128 v[177:180], v[86:87], off
	s_movk_i32 s34, 0x1b0
	v_add_nc_u32_e32 v102, s11, v98
	v_ashrrev_i32_e32 v99, 31, v98
	v_add_co_u32 v94, vcc_lo, s2, v94
	v_lshlrev_b64 v[100:101], 4, v[100:101]
	s_delay_alu instid0(VALU_DEP_4)
	v_add_nc_u32_e32 v106, s11, v102
	v_add_co_ci_u32_e32 v95, vcc_lo, s3, v95, vcc_lo
	v_add_co_u32 v96, vcc_lo, s2, v96
	v_lshlrev_b64 v[104:105], 4, v[98:99]
	v_ashrrev_i32_e32 v103, 31, v102
	v_add_nc_u32_e32 v109, s11, v106
	v_add_co_ci_u32_e32 v97, vcc_lo, s3, v97, vcc_lo
	v_add_co_u32 v98, vcc_lo, s2, v100
	v_ashrrev_i32_e32 v107, 31, v106
	v_add_co_ci_u32_e32 v99, vcc_lo, s3, v101, vcc_lo
	v_lshlrev_b64 v[102:103], 4, v[102:103]
	v_add_co_u32 v100, vcc_lo, s2, v104
	v_ashrrev_i32_e32 v110, 31, v109
	v_add_co_ci_u32_e32 v101, vcc_lo, s3, v105, vcc_lo
	v_lshlrev_b64 v[104:105], 4, v[106:107]
	v_add_co_u32 v102, vcc_lo, s2, v102
	s_delay_alu instid0(VALU_DEP_4) | instskip(SKIP_1) | instid1(VALU_DEP_4)
	v_lshlrev_b64 v[106:107], 4, v[109:110]
	v_add_co_ci_u32_e32 v103, vcc_lo, s3, v103, vcc_lo
	v_add_co_u32 v104, vcc_lo, s2, v104
	v_add_co_ci_u32_e32 v105, vcc_lo, s3, v105, vcc_lo
	s_delay_alu instid0(VALU_DEP_4)
	v_add_co_u32 v106, vcc_lo, s2, v106
	v_add_co_ci_u32_e32 v107, vcc_lo, s3, v107, vcc_lo
	s_movk_i32 s2, 0x50
	s_movk_i32 s11, 0xb0
	;; [unrolled: 1-line block ×7, first 2 shown]
	v_add_nc_u32_e64 v118, 0, 16
	v_add_nc_u32_e64 v113, 0, 32
	;; [unrolled: 1-line block ×20, first 2 shown]
	s_mov_b32 s3, -1
	s_bitcmp0_b32 s21, 0
	s_waitcnt vmcnt(22)
	scratch_store_b128 off, v[1:4], off
	s_clause 0x1
	global_load_b128 v[1:4], v[88:89], off
	global_load_b128 v[181:184], v[90:91], off
	s_waitcnt vmcnt(23)
	scratch_store_b128 off, v[5:8], off offset:16
	s_waitcnt vmcnt(22)
	scratch_store_b128 off, v[9:12], off offset:32
	s_clause 0x1
	global_load_b128 v[5:8], v[92:93], off
	global_load_b128 v[9:12], v[94:95], off
	s_waitcnt vmcnt(23)
	scratch_store_b128 off, v[13:16], off offset:48
	s_waitcnt vmcnt(22)
	scratch_store_b128 off, v[17:20], off offset:64
	;; [unrolled: 7-line block ×5, first 2 shown]
	s_waitcnt vmcnt(21)
	scratch_store_b128 off, v[119:122], off offset:176
	s_waitcnt vmcnt(20)
	scratch_store_b128 off, v[123:126], off offset:192
	v_add_nc_u32_e64 v117, s25, 0
	v_add_nc_u32_e64 v116, s26, 0
	;; [unrolled: 1-line block ×12, first 2 shown]
	s_waitcnt vmcnt(19)
	scratch_store_b128 off, v[141:144], off offset:208
	s_waitcnt vmcnt(18)
	scratch_store_b128 off, v[145:148], off offset:224
	;; [unrolled: 2-line block ×20, first 2 shown]
	s_cbranch_scc1 .LBB32_144
; %bb.4:
	v_cmp_eq_u32_e64 s2, 0, v108
	s_delay_alu instid0(VALU_DEP_1)
	s_and_saveexec_b32 s3, s2
	s_cbranch_execz .LBB32_6
; %bb.5:
	v_mov_b32_e32 v1, 0
	ds_store_b32 v1, v1 offset:1056
.LBB32_6:
	s_or_b32 exec_lo, exec_lo, s3
	s_waitcnt lgkmcnt(0)
	s_waitcnt_vscnt null, 0x0
	s_barrier
	buffer_gl0_inv
	scratch_load_b128 v[1:4], v21, off
	s_waitcnt vmcnt(0)
	v_cmp_eq_f64_e32 vcc_lo, 0, v[1:2]
	v_cmp_eq_f64_e64 s3, 0, v[3:4]
	s_delay_alu instid0(VALU_DEP_1) | instskip(NEXT) | instid1(SALU_CYCLE_1)
	s_and_b32 s3, vcc_lo, s3
	s_and_saveexec_b32 s4, s3
	s_cbranch_execz .LBB32_10
; %bb.7:
	v_mov_b32_e32 v1, 0
	s_mov_b32 s5, 0
	ds_load_b32 v2, v1 offset:1056
	s_waitcnt lgkmcnt(0)
	v_readfirstlane_b32 s3, v2
	v_add_nc_u32_e32 v2, 1, v108
	s_delay_alu instid0(VALU_DEP_2) | instskip(NEXT) | instid1(VALU_DEP_1)
	s_cmp_eq_u32 s3, 0
	v_cmp_gt_i32_e32 vcc_lo, s3, v2
	s_cselect_b32 s8, -1, 0
	s_delay_alu instid0(SALU_CYCLE_1) | instskip(NEXT) | instid1(SALU_CYCLE_1)
	s_or_b32 s8, s8, vcc_lo
	s_and_b32 exec_lo, exec_lo, s8
	s_cbranch_execz .LBB32_10
; %bb.8:
	v_mov_b32_e32 v3, s3
.LBB32_9:                               ; =>This Inner Loop Header: Depth=1
	ds_cmpstore_rtn_b32 v3, v1, v2, v3 offset:1056
	s_waitcnt lgkmcnt(0)
	v_cmp_ne_u32_e32 vcc_lo, 0, v3
	v_cmp_le_i32_e64 s3, v3, v2
	s_delay_alu instid0(VALU_DEP_1) | instskip(NEXT) | instid1(SALU_CYCLE_1)
	s_and_b32 s3, vcc_lo, s3
	s_and_b32 s3, exec_lo, s3
	s_delay_alu instid0(SALU_CYCLE_1) | instskip(NEXT) | instid1(SALU_CYCLE_1)
	s_or_b32 s5, s3, s5
	s_and_not1_b32 exec_lo, exec_lo, s5
	s_cbranch_execnz .LBB32_9
.LBB32_10:
	s_or_b32 exec_lo, exec_lo, s4
	v_mov_b32_e32 v1, 0
	s_barrier
	buffer_gl0_inv
	ds_load_b32 v2, v1 offset:1056
	s_and_saveexec_b32 s3, s2
	s_cbranch_execz .LBB32_12
; %bb.11:
	s_lshl_b64 s[4:5], s[18:19], 2
	s_delay_alu instid0(SALU_CYCLE_1)
	s_add_u32 s4, s6, s4
	s_addc_u32 s5, s7, s5
	s_waitcnt lgkmcnt(0)
	global_store_b32 v1, v2, s[4:5]
.LBB32_12:
	s_or_b32 exec_lo, exec_lo, s3
	s_waitcnt lgkmcnt(0)
	v_cmp_ne_u32_e32 vcc_lo, 0, v2
	s_mov_b32 s3, 0
	s_cbranch_vccnz .LBB32_144
; %bb.13:
	v_add_nc_u32_e32 v13, 0, v21
                                        ; implicit-def: $vgpr9_vgpr10
	scratch_load_b128 v[1:4], v13, off
	s_waitcnt vmcnt(0)
	v_cmp_gt_f64_e32 vcc_lo, 0, v[1:2]
	v_xor_b32_e32 v6, 0x80000000, v2
	v_xor_b32_e32 v7, 0x80000000, v4
	s_delay_alu instid0(VALU_DEP_2) | instskip(SKIP_1) | instid1(VALU_DEP_3)
	v_cndmask_b32_e32 v6, v2, v6, vcc_lo
	v_cmp_gt_f64_e32 vcc_lo, 0, v[3:4]
	v_dual_mov_b32 v5, v1 :: v_dual_cndmask_b32 v8, v4, v7
	v_mov_b32_e32 v7, v3
	s_delay_alu instid0(VALU_DEP_1) | instskip(SKIP_1) | instid1(SALU_CYCLE_1)
	v_cmp_ngt_f64_e32 vcc_lo, v[5:6], v[7:8]
                                        ; implicit-def: $vgpr5_vgpr6
	s_and_saveexec_b32 s3, vcc_lo
	s_xor_b32 s3, exec_lo, s3
	s_cbranch_execz .LBB32_15
; %bb.14:
	v_div_scale_f64 v[5:6], null, v[3:4], v[3:4], v[1:2]
	v_div_scale_f64 v[11:12], vcc_lo, v[1:2], v[3:4], v[1:2]
	s_delay_alu instid0(VALU_DEP_2) | instskip(SKIP_2) | instid1(VALU_DEP_1)
	v_rcp_f64_e32 v[7:8], v[5:6]
	s_waitcnt_depctr 0xfff
	v_fma_f64 v[9:10], -v[5:6], v[7:8], 1.0
	v_fma_f64 v[7:8], v[7:8], v[9:10], v[7:8]
	s_delay_alu instid0(VALU_DEP_1) | instskip(NEXT) | instid1(VALU_DEP_1)
	v_fma_f64 v[9:10], -v[5:6], v[7:8], 1.0
	v_fma_f64 v[7:8], v[7:8], v[9:10], v[7:8]
	s_delay_alu instid0(VALU_DEP_1) | instskip(NEXT) | instid1(VALU_DEP_1)
	v_mul_f64 v[9:10], v[11:12], v[7:8]
	v_fma_f64 v[5:6], -v[5:6], v[9:10], v[11:12]
	s_delay_alu instid0(VALU_DEP_1) | instskip(NEXT) | instid1(VALU_DEP_1)
	v_div_fmas_f64 v[5:6], v[5:6], v[7:8], v[9:10]
	v_div_fixup_f64 v[5:6], v[5:6], v[3:4], v[1:2]
	s_delay_alu instid0(VALU_DEP_1) | instskip(NEXT) | instid1(VALU_DEP_1)
	v_fma_f64 v[1:2], v[1:2], v[5:6], v[3:4]
	v_div_scale_f64 v[3:4], null, v[1:2], v[1:2], 1.0
	v_div_scale_f64 v[11:12], vcc_lo, 1.0, v[1:2], 1.0
	s_delay_alu instid0(VALU_DEP_2) | instskip(SKIP_2) | instid1(VALU_DEP_1)
	v_rcp_f64_e32 v[7:8], v[3:4]
	s_waitcnt_depctr 0xfff
	v_fma_f64 v[9:10], -v[3:4], v[7:8], 1.0
	v_fma_f64 v[7:8], v[7:8], v[9:10], v[7:8]
	s_delay_alu instid0(VALU_DEP_1) | instskip(NEXT) | instid1(VALU_DEP_1)
	v_fma_f64 v[9:10], -v[3:4], v[7:8], 1.0
	v_fma_f64 v[7:8], v[7:8], v[9:10], v[7:8]
	s_delay_alu instid0(VALU_DEP_1) | instskip(NEXT) | instid1(VALU_DEP_1)
	v_mul_f64 v[9:10], v[11:12], v[7:8]
	v_fma_f64 v[3:4], -v[3:4], v[9:10], v[11:12]
	s_delay_alu instid0(VALU_DEP_1) | instskip(NEXT) | instid1(VALU_DEP_1)
	v_div_fmas_f64 v[3:4], v[3:4], v[7:8], v[9:10]
	v_div_fixup_f64 v[7:8], v[3:4], v[1:2], 1.0
                                        ; implicit-def: $vgpr1_vgpr2
	s_delay_alu instid0(VALU_DEP_1) | instskip(SKIP_1) | instid1(VALU_DEP_2)
	v_mul_f64 v[5:6], v[5:6], v[7:8]
	v_xor_b32_e32 v8, 0x80000000, v8
	v_xor_b32_e32 v10, 0x80000000, v6
	s_delay_alu instid0(VALU_DEP_3)
	v_mov_b32_e32 v9, v5
.LBB32_15:
	s_and_not1_saveexec_b32 s3, s3
	s_cbranch_execz .LBB32_17
; %bb.16:
	v_div_scale_f64 v[5:6], null, v[1:2], v[1:2], v[3:4]
	v_div_scale_f64 v[11:12], vcc_lo, v[3:4], v[1:2], v[3:4]
	s_delay_alu instid0(VALU_DEP_2) | instskip(SKIP_2) | instid1(VALU_DEP_1)
	v_rcp_f64_e32 v[7:8], v[5:6]
	s_waitcnt_depctr 0xfff
	v_fma_f64 v[9:10], -v[5:6], v[7:8], 1.0
	v_fma_f64 v[7:8], v[7:8], v[9:10], v[7:8]
	s_delay_alu instid0(VALU_DEP_1) | instskip(NEXT) | instid1(VALU_DEP_1)
	v_fma_f64 v[9:10], -v[5:6], v[7:8], 1.0
	v_fma_f64 v[7:8], v[7:8], v[9:10], v[7:8]
	s_delay_alu instid0(VALU_DEP_1) | instskip(NEXT) | instid1(VALU_DEP_1)
	v_mul_f64 v[9:10], v[11:12], v[7:8]
	v_fma_f64 v[5:6], -v[5:6], v[9:10], v[11:12]
	s_delay_alu instid0(VALU_DEP_1) | instskip(NEXT) | instid1(VALU_DEP_1)
	v_div_fmas_f64 v[5:6], v[5:6], v[7:8], v[9:10]
	v_div_fixup_f64 v[7:8], v[5:6], v[1:2], v[3:4]
	s_delay_alu instid0(VALU_DEP_1) | instskip(NEXT) | instid1(VALU_DEP_1)
	v_fma_f64 v[1:2], v[3:4], v[7:8], v[1:2]
	v_div_scale_f64 v[3:4], null, v[1:2], v[1:2], 1.0
	s_delay_alu instid0(VALU_DEP_1) | instskip(SKIP_2) | instid1(VALU_DEP_1)
	v_rcp_f64_e32 v[5:6], v[3:4]
	s_waitcnt_depctr 0xfff
	v_fma_f64 v[9:10], -v[3:4], v[5:6], 1.0
	v_fma_f64 v[5:6], v[5:6], v[9:10], v[5:6]
	s_delay_alu instid0(VALU_DEP_1) | instskip(NEXT) | instid1(VALU_DEP_1)
	v_fma_f64 v[9:10], -v[3:4], v[5:6], 1.0
	v_fma_f64 v[5:6], v[5:6], v[9:10], v[5:6]
	v_div_scale_f64 v[9:10], vcc_lo, 1.0, v[1:2], 1.0
	s_delay_alu instid0(VALU_DEP_1) | instskip(NEXT) | instid1(VALU_DEP_1)
	v_mul_f64 v[11:12], v[9:10], v[5:6]
	v_fma_f64 v[3:4], -v[3:4], v[11:12], v[9:10]
	s_delay_alu instid0(VALU_DEP_1) | instskip(NEXT) | instid1(VALU_DEP_1)
	v_div_fmas_f64 v[3:4], v[3:4], v[5:6], v[11:12]
	v_div_fixup_f64 v[5:6], v[3:4], v[1:2], 1.0
	s_delay_alu instid0(VALU_DEP_1)
	v_mul_f64 v[7:8], v[7:8], -v[5:6]
	v_xor_b32_e32 v10, 0x80000000, v6
	v_mov_b32_e32 v9, v5
.LBB32_17:
	s_or_b32 exec_lo, exec_lo, s3
	scratch_store_b128 v13, v[5:8], off
	scratch_load_b128 v[1:4], v118, off
	v_xor_b32_e32 v12, 0x80000000, v8
	v_mov_b32_e32 v11, v7
	v_add_nc_u32_e32 v5, 0x210, v21
	ds_store_b128 v21, v[9:12]
	s_waitcnt vmcnt(0)
	ds_store_b128 v21, v[1:4] offset:528
	s_waitcnt lgkmcnt(0)
	s_waitcnt_vscnt null, 0x0
	s_barrier
	buffer_gl0_inv
	s_and_saveexec_b32 s3, s2
	s_cbranch_execz .LBB32_19
; %bb.18:
	scratch_load_b128 v[1:4], v13, off
	ds_load_b128 v[6:9], v5
	v_mov_b32_e32 v10, 0
	ds_load_b128 v[14:17], v10 offset:16
	s_waitcnt vmcnt(0) lgkmcnt(1)
	v_mul_f64 v[10:11], v[6:7], v[3:4]
	v_mul_f64 v[3:4], v[8:9], v[3:4]
	s_delay_alu instid0(VALU_DEP_2) | instskip(NEXT) | instid1(VALU_DEP_2)
	v_fma_f64 v[8:9], v[8:9], v[1:2], v[10:11]
	v_fma_f64 v[1:2], v[6:7], v[1:2], -v[3:4]
	s_delay_alu instid0(VALU_DEP_2) | instskip(NEXT) | instid1(VALU_DEP_2)
	v_add_f64 v[3:4], v[8:9], 0
	v_add_f64 v[1:2], v[1:2], 0
	s_waitcnt lgkmcnt(0)
	s_delay_alu instid0(VALU_DEP_2) | instskip(NEXT) | instid1(VALU_DEP_2)
	v_mul_f64 v[6:7], v[3:4], v[16:17]
	v_mul_f64 v[8:9], v[1:2], v[16:17]
	s_delay_alu instid0(VALU_DEP_2) | instskip(NEXT) | instid1(VALU_DEP_2)
	v_fma_f64 v[1:2], v[1:2], v[14:15], -v[6:7]
	v_fma_f64 v[3:4], v[3:4], v[14:15], v[8:9]
	scratch_store_b128 off, v[1:4], off offset:16
.LBB32_19:
	s_or_b32 exec_lo, exec_lo, s3
	s_waitcnt_vscnt null, 0x0
	s_barrier
	buffer_gl0_inv
	scratch_load_b128 v[1:4], v113, off
	s_mov_b32 s3, exec_lo
	s_waitcnt vmcnt(0)
	ds_store_b128 v5, v[1:4]
	s_waitcnt lgkmcnt(0)
	s_barrier
	buffer_gl0_inv
	v_cmpx_gt_u32_e32 2, v108
	s_cbranch_execz .LBB32_23
; %bb.20:
	scratch_load_b128 v[1:4], v13, off
	ds_load_b128 v[6:9], v5
	s_waitcnt vmcnt(0) lgkmcnt(0)
	v_mul_f64 v[10:11], v[8:9], v[3:4]
	v_mul_f64 v[3:4], v[6:7], v[3:4]
	s_delay_alu instid0(VALU_DEP_2) | instskip(NEXT) | instid1(VALU_DEP_2)
	v_fma_f64 v[6:7], v[6:7], v[1:2], -v[10:11]
	v_fma_f64 v[3:4], v[8:9], v[1:2], v[3:4]
	s_delay_alu instid0(VALU_DEP_2) | instskip(NEXT) | instid1(VALU_DEP_2)
	v_add_f64 v[1:2], v[6:7], 0
	v_add_f64 v[3:4], v[3:4], 0
	s_and_saveexec_b32 s4, s2
	s_cbranch_execz .LBB32_22
; %bb.21:
	scratch_load_b128 v[6:9], off, off offset:16
	v_mov_b32_e32 v10, 0
	ds_load_b128 v[14:17], v10 offset:544
	s_waitcnt vmcnt(0) lgkmcnt(0)
	v_mul_f64 v[10:11], v[14:15], v[8:9]
	v_mul_f64 v[8:9], v[16:17], v[8:9]
	s_delay_alu instid0(VALU_DEP_2) | instskip(NEXT) | instid1(VALU_DEP_2)
	v_fma_f64 v[10:11], v[16:17], v[6:7], v[10:11]
	v_fma_f64 v[6:7], v[14:15], v[6:7], -v[8:9]
	s_delay_alu instid0(VALU_DEP_2) | instskip(NEXT) | instid1(VALU_DEP_2)
	v_add_f64 v[3:4], v[3:4], v[10:11]
	v_add_f64 v[1:2], v[1:2], v[6:7]
.LBB32_22:
	s_or_b32 exec_lo, exec_lo, s4
	v_mov_b32_e32 v6, 0
	ds_load_b128 v[6:9], v6 offset:32
	s_waitcnt lgkmcnt(0)
	v_mul_f64 v[10:11], v[3:4], v[8:9]
	v_mul_f64 v[8:9], v[1:2], v[8:9]
	s_delay_alu instid0(VALU_DEP_2) | instskip(NEXT) | instid1(VALU_DEP_2)
	v_fma_f64 v[1:2], v[1:2], v[6:7], -v[10:11]
	v_fma_f64 v[3:4], v[3:4], v[6:7], v[8:9]
	scratch_store_b128 off, v[1:4], off offset:32
.LBB32_23:
	s_or_b32 exec_lo, exec_lo, s3
	s_waitcnt_vscnt null, 0x0
	s_barrier
	buffer_gl0_inv
	scratch_load_b128 v[1:4], v112, off
	v_add_nc_u32_e32 v6, -1, v108
	s_mov_b32 s2, exec_lo
	s_waitcnt vmcnt(0)
	ds_store_b128 v5, v[1:4]
	s_waitcnt lgkmcnt(0)
	s_barrier
	buffer_gl0_inv
	v_cmpx_gt_u32_e32 3, v108
	s_cbranch_execz .LBB32_27
; %bb.24:
	v_dual_mov_b32 v1, 0 :: v_dual_add_nc_u32 v8, 0x210, v21
	v_dual_mov_b32 v2, 0 :: v_dual_add_nc_u32 v7, -1, v108
	v_or_b32_e32 v9, 8, v13
	s_mov_b32 s3, 0
	s_delay_alu instid0(VALU_DEP_2)
	v_dual_mov_b32 v4, v2 :: v_dual_mov_b32 v3, v1
	.p2align	6
.LBB32_25:                              ; =>This Inner Loop Header: Depth=1
	scratch_load_b128 v[14:17], v9, off offset:-8
	ds_load_b128 v[22:25], v8
	v_add_nc_u32_e32 v7, 1, v7
	v_add_nc_u32_e32 v8, 16, v8
	;; [unrolled: 1-line block ×3, first 2 shown]
	s_delay_alu instid0(VALU_DEP_3) | instskip(SKIP_4) | instid1(VALU_DEP_2)
	v_cmp_lt_u32_e32 vcc_lo, 1, v7
	s_or_b32 s3, vcc_lo, s3
	s_waitcnt vmcnt(0) lgkmcnt(0)
	v_mul_f64 v[10:11], v[24:25], v[16:17]
	v_mul_f64 v[16:17], v[22:23], v[16:17]
	v_fma_f64 v[10:11], v[22:23], v[14:15], -v[10:11]
	s_delay_alu instid0(VALU_DEP_2) | instskip(NEXT) | instid1(VALU_DEP_2)
	v_fma_f64 v[14:15], v[24:25], v[14:15], v[16:17]
	v_add_f64 v[3:4], v[3:4], v[10:11]
	s_delay_alu instid0(VALU_DEP_2)
	v_add_f64 v[1:2], v[1:2], v[14:15]
	s_and_not1_b32 exec_lo, exec_lo, s3
	s_cbranch_execnz .LBB32_25
; %bb.26:
	s_or_b32 exec_lo, exec_lo, s3
	v_mov_b32_e32 v7, 0
	ds_load_b128 v[7:10], v7 offset:48
	s_waitcnt lgkmcnt(0)
	v_mul_f64 v[11:12], v[1:2], v[9:10]
	v_mul_f64 v[14:15], v[3:4], v[9:10]
	s_delay_alu instid0(VALU_DEP_2) | instskip(NEXT) | instid1(VALU_DEP_2)
	v_fma_f64 v[9:10], v[3:4], v[7:8], -v[11:12]
	v_fma_f64 v[11:12], v[1:2], v[7:8], v[14:15]
	scratch_store_b128 off, v[9:12], off offset:48
.LBB32_27:
	s_or_b32 exec_lo, exec_lo, s2
	s_waitcnt_vscnt null, 0x0
	s_barrier
	buffer_gl0_inv
	scratch_load_b128 v[1:4], v109, off
	s_mov_b32 s2, exec_lo
	s_waitcnt vmcnt(0)
	ds_store_b128 v5, v[1:4]
	s_waitcnt lgkmcnt(0)
	s_barrier
	buffer_gl0_inv
	v_cmpx_gt_u32_e32 4, v108
	s_cbranch_execz .LBB32_31
; %bb.28:
	v_dual_mov_b32 v1, 0 :: v_dual_add_nc_u32 v8, 0x210, v21
	v_dual_mov_b32 v2, 0 :: v_dual_add_nc_u32 v7, -1, v108
	v_or_b32_e32 v9, 8, v13
	s_mov_b32 s3, 0
	s_delay_alu instid0(VALU_DEP_2)
	v_dual_mov_b32 v4, v2 :: v_dual_mov_b32 v3, v1
	.p2align	6
.LBB32_29:                              ; =>This Inner Loop Header: Depth=1
	scratch_load_b128 v[14:17], v9, off offset:-8
	ds_load_b128 v[22:25], v8
	v_add_nc_u32_e32 v7, 1, v7
	v_add_nc_u32_e32 v8, 16, v8
	v_add_nc_u32_e32 v9, 16, v9
	s_delay_alu instid0(VALU_DEP_3) | instskip(SKIP_4) | instid1(VALU_DEP_2)
	v_cmp_lt_u32_e32 vcc_lo, 2, v7
	s_or_b32 s3, vcc_lo, s3
	s_waitcnt vmcnt(0) lgkmcnt(0)
	v_mul_f64 v[10:11], v[24:25], v[16:17]
	v_mul_f64 v[16:17], v[22:23], v[16:17]
	v_fma_f64 v[10:11], v[22:23], v[14:15], -v[10:11]
	s_delay_alu instid0(VALU_DEP_2) | instskip(NEXT) | instid1(VALU_DEP_2)
	v_fma_f64 v[14:15], v[24:25], v[14:15], v[16:17]
	v_add_f64 v[3:4], v[3:4], v[10:11]
	s_delay_alu instid0(VALU_DEP_2)
	v_add_f64 v[1:2], v[1:2], v[14:15]
	s_and_not1_b32 exec_lo, exec_lo, s3
	s_cbranch_execnz .LBB32_29
; %bb.30:
	s_or_b32 exec_lo, exec_lo, s3
	v_mov_b32_e32 v7, 0
	ds_load_b128 v[7:10], v7 offset:64
	s_waitcnt lgkmcnt(0)
	v_mul_f64 v[11:12], v[1:2], v[9:10]
	v_mul_f64 v[14:15], v[3:4], v[9:10]
	s_delay_alu instid0(VALU_DEP_2) | instskip(NEXT) | instid1(VALU_DEP_2)
	v_fma_f64 v[9:10], v[3:4], v[7:8], -v[11:12]
	v_fma_f64 v[11:12], v[1:2], v[7:8], v[14:15]
	scratch_store_b128 off, v[9:12], off offset:64
.LBB32_31:
	s_or_b32 exec_lo, exec_lo, s2
	s_waitcnt_vscnt null, 0x0
	s_barrier
	buffer_gl0_inv
	scratch_load_b128 v[1:4], v140, off
	s_mov_b32 s2, exec_lo
	s_waitcnt vmcnt(0)
	ds_store_b128 v5, v[1:4]
	s_waitcnt lgkmcnt(0)
	s_barrier
	buffer_gl0_inv
	v_cmpx_gt_u32_e32 5, v108
	s_cbranch_execz .LBB32_35
; %bb.32:
	v_dual_mov_b32 v1, 0 :: v_dual_add_nc_u32 v8, 0x210, v21
	v_dual_mov_b32 v2, 0 :: v_dual_add_nc_u32 v7, -1, v108
	v_or_b32_e32 v9, 8, v13
	s_mov_b32 s3, 0
	s_delay_alu instid0(VALU_DEP_2)
	v_dual_mov_b32 v4, v2 :: v_dual_mov_b32 v3, v1
	.p2align	6
.LBB32_33:                              ; =>This Inner Loop Header: Depth=1
	scratch_load_b128 v[14:17], v9, off offset:-8
	ds_load_b128 v[22:25], v8
	v_add_nc_u32_e32 v7, 1, v7
	v_add_nc_u32_e32 v8, 16, v8
	;; [unrolled: 1-line block ×3, first 2 shown]
	s_delay_alu instid0(VALU_DEP_3) | instskip(SKIP_4) | instid1(VALU_DEP_2)
	v_cmp_lt_u32_e32 vcc_lo, 3, v7
	s_or_b32 s3, vcc_lo, s3
	s_waitcnt vmcnt(0) lgkmcnt(0)
	v_mul_f64 v[10:11], v[24:25], v[16:17]
	v_mul_f64 v[16:17], v[22:23], v[16:17]
	v_fma_f64 v[10:11], v[22:23], v[14:15], -v[10:11]
	s_delay_alu instid0(VALU_DEP_2) | instskip(NEXT) | instid1(VALU_DEP_2)
	v_fma_f64 v[14:15], v[24:25], v[14:15], v[16:17]
	v_add_f64 v[3:4], v[3:4], v[10:11]
	s_delay_alu instid0(VALU_DEP_2)
	v_add_f64 v[1:2], v[1:2], v[14:15]
	s_and_not1_b32 exec_lo, exec_lo, s3
	s_cbranch_execnz .LBB32_33
; %bb.34:
	s_or_b32 exec_lo, exec_lo, s3
	v_mov_b32_e32 v7, 0
	ds_load_b128 v[7:10], v7 offset:80
	s_waitcnt lgkmcnt(0)
	v_mul_f64 v[11:12], v[1:2], v[9:10]
	v_mul_f64 v[14:15], v[3:4], v[9:10]
	s_delay_alu instid0(VALU_DEP_2) | instskip(NEXT) | instid1(VALU_DEP_2)
	v_fma_f64 v[9:10], v[3:4], v[7:8], -v[11:12]
	v_fma_f64 v[11:12], v[1:2], v[7:8], v[14:15]
	scratch_store_b128 off, v[9:12], off offset:80
.LBB32_35:
	s_or_b32 exec_lo, exec_lo, s2
	s_waitcnt_vscnt null, 0x0
	s_barrier
	buffer_gl0_inv
	scratch_load_b128 v[1:4], v139, off
	s_mov_b32 s2, exec_lo
	s_waitcnt vmcnt(0)
	ds_store_b128 v5, v[1:4]
	s_waitcnt lgkmcnt(0)
	s_barrier
	buffer_gl0_inv
	v_cmpx_gt_u32_e32 6, v108
	s_cbranch_execz .LBB32_39
; %bb.36:
	v_dual_mov_b32 v1, 0 :: v_dual_add_nc_u32 v8, 0x210, v21
	v_dual_mov_b32 v2, 0 :: v_dual_add_nc_u32 v7, -1, v108
	v_or_b32_e32 v9, 8, v13
	s_mov_b32 s3, 0
	s_delay_alu instid0(VALU_DEP_2)
	v_dual_mov_b32 v4, v2 :: v_dual_mov_b32 v3, v1
	.p2align	6
.LBB32_37:                              ; =>This Inner Loop Header: Depth=1
	scratch_load_b128 v[14:17], v9, off offset:-8
	ds_load_b128 v[22:25], v8
	v_add_nc_u32_e32 v7, 1, v7
	v_add_nc_u32_e32 v8, 16, v8
	;; [unrolled: 1-line block ×3, first 2 shown]
	s_delay_alu instid0(VALU_DEP_3) | instskip(SKIP_4) | instid1(VALU_DEP_2)
	v_cmp_lt_u32_e32 vcc_lo, 4, v7
	s_or_b32 s3, vcc_lo, s3
	s_waitcnt vmcnt(0) lgkmcnt(0)
	v_mul_f64 v[10:11], v[24:25], v[16:17]
	v_mul_f64 v[16:17], v[22:23], v[16:17]
	v_fma_f64 v[10:11], v[22:23], v[14:15], -v[10:11]
	s_delay_alu instid0(VALU_DEP_2) | instskip(NEXT) | instid1(VALU_DEP_2)
	v_fma_f64 v[14:15], v[24:25], v[14:15], v[16:17]
	v_add_f64 v[3:4], v[3:4], v[10:11]
	s_delay_alu instid0(VALU_DEP_2)
	v_add_f64 v[1:2], v[1:2], v[14:15]
	s_and_not1_b32 exec_lo, exec_lo, s3
	s_cbranch_execnz .LBB32_37
; %bb.38:
	s_or_b32 exec_lo, exec_lo, s3
	v_mov_b32_e32 v7, 0
	ds_load_b128 v[7:10], v7 offset:96
	s_waitcnt lgkmcnt(0)
	v_mul_f64 v[11:12], v[1:2], v[9:10]
	v_mul_f64 v[14:15], v[3:4], v[9:10]
	s_delay_alu instid0(VALU_DEP_2) | instskip(NEXT) | instid1(VALU_DEP_2)
	v_fma_f64 v[9:10], v[3:4], v[7:8], -v[11:12]
	v_fma_f64 v[11:12], v[1:2], v[7:8], v[14:15]
	scratch_store_b128 off, v[9:12], off offset:96
.LBB32_39:
	s_or_b32 exec_lo, exec_lo, s2
	s_waitcnt_vscnt null, 0x0
	s_barrier
	buffer_gl0_inv
	scratch_load_b128 v[1:4], v138, off
	s_mov_b32 s2, exec_lo
	s_waitcnt vmcnt(0)
	ds_store_b128 v5, v[1:4]
	s_waitcnt lgkmcnt(0)
	s_barrier
	buffer_gl0_inv
	v_cmpx_gt_u32_e32 7, v108
	s_cbranch_execz .LBB32_43
; %bb.40:
	v_dual_mov_b32 v1, 0 :: v_dual_add_nc_u32 v8, 0x210, v21
	v_dual_mov_b32 v2, 0 :: v_dual_add_nc_u32 v7, -1, v108
	v_or_b32_e32 v9, 8, v13
	s_mov_b32 s3, 0
	s_delay_alu instid0(VALU_DEP_2)
	v_dual_mov_b32 v4, v2 :: v_dual_mov_b32 v3, v1
	.p2align	6
.LBB32_41:                              ; =>This Inner Loop Header: Depth=1
	scratch_load_b128 v[14:17], v9, off offset:-8
	ds_load_b128 v[22:25], v8
	v_add_nc_u32_e32 v7, 1, v7
	v_add_nc_u32_e32 v8, 16, v8
	;; [unrolled: 1-line block ×3, first 2 shown]
	s_delay_alu instid0(VALU_DEP_3) | instskip(SKIP_4) | instid1(VALU_DEP_2)
	v_cmp_lt_u32_e32 vcc_lo, 5, v7
	s_or_b32 s3, vcc_lo, s3
	s_waitcnt vmcnt(0) lgkmcnt(0)
	v_mul_f64 v[10:11], v[24:25], v[16:17]
	v_mul_f64 v[16:17], v[22:23], v[16:17]
	v_fma_f64 v[10:11], v[22:23], v[14:15], -v[10:11]
	s_delay_alu instid0(VALU_DEP_2) | instskip(NEXT) | instid1(VALU_DEP_2)
	v_fma_f64 v[14:15], v[24:25], v[14:15], v[16:17]
	v_add_f64 v[3:4], v[3:4], v[10:11]
	s_delay_alu instid0(VALU_DEP_2)
	v_add_f64 v[1:2], v[1:2], v[14:15]
	s_and_not1_b32 exec_lo, exec_lo, s3
	s_cbranch_execnz .LBB32_41
; %bb.42:
	s_or_b32 exec_lo, exec_lo, s3
	v_mov_b32_e32 v7, 0
	ds_load_b128 v[7:10], v7 offset:112
	s_waitcnt lgkmcnt(0)
	v_mul_f64 v[11:12], v[1:2], v[9:10]
	v_mul_f64 v[14:15], v[3:4], v[9:10]
	s_delay_alu instid0(VALU_DEP_2) | instskip(NEXT) | instid1(VALU_DEP_2)
	v_fma_f64 v[9:10], v[3:4], v[7:8], -v[11:12]
	v_fma_f64 v[11:12], v[1:2], v[7:8], v[14:15]
	scratch_store_b128 off, v[9:12], off offset:112
.LBB32_43:
	s_or_b32 exec_lo, exec_lo, s2
	s_waitcnt_vscnt null, 0x0
	s_barrier
	buffer_gl0_inv
	scratch_load_b128 v[1:4], v136, off
	s_mov_b32 s2, exec_lo
	s_waitcnt vmcnt(0)
	ds_store_b128 v5, v[1:4]
	s_waitcnt lgkmcnt(0)
	s_barrier
	buffer_gl0_inv
	v_cmpx_gt_u32_e32 8, v108
	s_cbranch_execz .LBB32_47
; %bb.44:
	v_dual_mov_b32 v1, 0 :: v_dual_add_nc_u32 v8, 0x210, v21
	v_dual_mov_b32 v2, 0 :: v_dual_add_nc_u32 v7, -1, v108
	v_or_b32_e32 v9, 8, v13
	s_mov_b32 s3, 0
	s_delay_alu instid0(VALU_DEP_2)
	v_dual_mov_b32 v4, v2 :: v_dual_mov_b32 v3, v1
	.p2align	6
.LBB32_45:                              ; =>This Inner Loop Header: Depth=1
	scratch_load_b128 v[14:17], v9, off offset:-8
	ds_load_b128 v[22:25], v8
	v_add_nc_u32_e32 v7, 1, v7
	v_add_nc_u32_e32 v8, 16, v8
	;; [unrolled: 1-line block ×3, first 2 shown]
	s_delay_alu instid0(VALU_DEP_3) | instskip(SKIP_4) | instid1(VALU_DEP_2)
	v_cmp_lt_u32_e32 vcc_lo, 6, v7
	s_or_b32 s3, vcc_lo, s3
	s_waitcnt vmcnt(0) lgkmcnt(0)
	v_mul_f64 v[10:11], v[24:25], v[16:17]
	v_mul_f64 v[16:17], v[22:23], v[16:17]
	v_fma_f64 v[10:11], v[22:23], v[14:15], -v[10:11]
	s_delay_alu instid0(VALU_DEP_2) | instskip(NEXT) | instid1(VALU_DEP_2)
	v_fma_f64 v[14:15], v[24:25], v[14:15], v[16:17]
	v_add_f64 v[3:4], v[3:4], v[10:11]
	s_delay_alu instid0(VALU_DEP_2)
	v_add_f64 v[1:2], v[1:2], v[14:15]
	s_and_not1_b32 exec_lo, exec_lo, s3
	s_cbranch_execnz .LBB32_45
; %bb.46:
	s_or_b32 exec_lo, exec_lo, s3
	v_mov_b32_e32 v7, 0
	ds_load_b128 v[7:10], v7 offset:128
	s_waitcnt lgkmcnt(0)
	v_mul_f64 v[11:12], v[1:2], v[9:10]
	v_mul_f64 v[14:15], v[3:4], v[9:10]
	s_delay_alu instid0(VALU_DEP_2) | instskip(NEXT) | instid1(VALU_DEP_2)
	v_fma_f64 v[9:10], v[3:4], v[7:8], -v[11:12]
	v_fma_f64 v[11:12], v[1:2], v[7:8], v[14:15]
	scratch_store_b128 off, v[9:12], off offset:128
.LBB32_47:
	s_or_b32 exec_lo, exec_lo, s2
	s_waitcnt_vscnt null, 0x0
	s_barrier
	buffer_gl0_inv
	scratch_load_b128 v[1:4], v137, off
	s_mov_b32 s2, exec_lo
	s_waitcnt vmcnt(0)
	ds_store_b128 v5, v[1:4]
	s_waitcnt lgkmcnt(0)
	s_barrier
	buffer_gl0_inv
	v_cmpx_gt_u32_e32 9, v108
	s_cbranch_execz .LBB32_51
; %bb.48:
	v_dual_mov_b32 v1, 0 :: v_dual_add_nc_u32 v8, 0x210, v21
	v_dual_mov_b32 v2, 0 :: v_dual_add_nc_u32 v7, -1, v108
	v_or_b32_e32 v9, 8, v13
	s_mov_b32 s3, 0
	s_delay_alu instid0(VALU_DEP_2)
	v_dual_mov_b32 v4, v2 :: v_dual_mov_b32 v3, v1
	.p2align	6
.LBB32_49:                              ; =>This Inner Loop Header: Depth=1
	scratch_load_b128 v[14:17], v9, off offset:-8
	ds_load_b128 v[22:25], v8
	v_add_nc_u32_e32 v7, 1, v7
	v_add_nc_u32_e32 v8, 16, v8
	;; [unrolled: 1-line block ×3, first 2 shown]
	s_delay_alu instid0(VALU_DEP_3) | instskip(SKIP_4) | instid1(VALU_DEP_2)
	v_cmp_lt_u32_e32 vcc_lo, 7, v7
	s_or_b32 s3, vcc_lo, s3
	s_waitcnt vmcnt(0) lgkmcnt(0)
	v_mul_f64 v[10:11], v[24:25], v[16:17]
	v_mul_f64 v[16:17], v[22:23], v[16:17]
	v_fma_f64 v[10:11], v[22:23], v[14:15], -v[10:11]
	s_delay_alu instid0(VALU_DEP_2) | instskip(NEXT) | instid1(VALU_DEP_2)
	v_fma_f64 v[14:15], v[24:25], v[14:15], v[16:17]
	v_add_f64 v[3:4], v[3:4], v[10:11]
	s_delay_alu instid0(VALU_DEP_2)
	v_add_f64 v[1:2], v[1:2], v[14:15]
	s_and_not1_b32 exec_lo, exec_lo, s3
	s_cbranch_execnz .LBB32_49
; %bb.50:
	s_or_b32 exec_lo, exec_lo, s3
	v_mov_b32_e32 v7, 0
	ds_load_b128 v[7:10], v7 offset:144
	s_waitcnt lgkmcnt(0)
	v_mul_f64 v[11:12], v[1:2], v[9:10]
	v_mul_f64 v[14:15], v[3:4], v[9:10]
	s_delay_alu instid0(VALU_DEP_2) | instskip(NEXT) | instid1(VALU_DEP_2)
	v_fma_f64 v[9:10], v[3:4], v[7:8], -v[11:12]
	v_fma_f64 v[11:12], v[1:2], v[7:8], v[14:15]
	scratch_store_b128 off, v[9:12], off offset:144
.LBB32_51:
	s_or_b32 exec_lo, exec_lo, s2
	s_waitcnt_vscnt null, 0x0
	s_barrier
	buffer_gl0_inv
	scratch_load_b128 v[1:4], v135, off
	s_mov_b32 s2, exec_lo
	s_waitcnt vmcnt(0)
	ds_store_b128 v5, v[1:4]
	s_waitcnt lgkmcnt(0)
	s_barrier
	buffer_gl0_inv
	v_cmpx_gt_u32_e32 10, v108
	s_cbranch_execz .LBB32_55
; %bb.52:
	v_dual_mov_b32 v1, 0 :: v_dual_add_nc_u32 v8, 0x210, v21
	v_dual_mov_b32 v2, 0 :: v_dual_add_nc_u32 v7, -1, v108
	v_or_b32_e32 v9, 8, v13
	s_mov_b32 s3, 0
	s_delay_alu instid0(VALU_DEP_2)
	v_dual_mov_b32 v4, v2 :: v_dual_mov_b32 v3, v1
	.p2align	6
.LBB32_53:                              ; =>This Inner Loop Header: Depth=1
	scratch_load_b128 v[14:17], v9, off offset:-8
	ds_load_b128 v[22:25], v8
	v_add_nc_u32_e32 v7, 1, v7
	v_add_nc_u32_e32 v8, 16, v8
	;; [unrolled: 1-line block ×3, first 2 shown]
	s_delay_alu instid0(VALU_DEP_3) | instskip(SKIP_4) | instid1(VALU_DEP_2)
	v_cmp_lt_u32_e32 vcc_lo, 8, v7
	s_or_b32 s3, vcc_lo, s3
	s_waitcnt vmcnt(0) lgkmcnt(0)
	v_mul_f64 v[10:11], v[24:25], v[16:17]
	v_mul_f64 v[16:17], v[22:23], v[16:17]
	v_fma_f64 v[10:11], v[22:23], v[14:15], -v[10:11]
	s_delay_alu instid0(VALU_DEP_2) | instskip(NEXT) | instid1(VALU_DEP_2)
	v_fma_f64 v[14:15], v[24:25], v[14:15], v[16:17]
	v_add_f64 v[3:4], v[3:4], v[10:11]
	s_delay_alu instid0(VALU_DEP_2)
	v_add_f64 v[1:2], v[1:2], v[14:15]
	s_and_not1_b32 exec_lo, exec_lo, s3
	s_cbranch_execnz .LBB32_53
; %bb.54:
	s_or_b32 exec_lo, exec_lo, s3
	v_mov_b32_e32 v7, 0
	ds_load_b128 v[7:10], v7 offset:160
	s_waitcnt lgkmcnt(0)
	v_mul_f64 v[11:12], v[1:2], v[9:10]
	v_mul_f64 v[14:15], v[3:4], v[9:10]
	s_delay_alu instid0(VALU_DEP_2) | instskip(NEXT) | instid1(VALU_DEP_2)
	v_fma_f64 v[9:10], v[3:4], v[7:8], -v[11:12]
	v_fma_f64 v[11:12], v[1:2], v[7:8], v[14:15]
	scratch_store_b128 off, v[9:12], off offset:160
.LBB32_55:
	s_or_b32 exec_lo, exec_lo, s2
	s_waitcnt_vscnt null, 0x0
	s_barrier
	buffer_gl0_inv
	scratch_load_b128 v[1:4], v134, off
	s_mov_b32 s2, exec_lo
	s_waitcnt vmcnt(0)
	ds_store_b128 v5, v[1:4]
	s_waitcnt lgkmcnt(0)
	s_barrier
	buffer_gl0_inv
	v_cmpx_gt_u32_e32 11, v108
	s_cbranch_execz .LBB32_59
; %bb.56:
	v_dual_mov_b32 v1, 0 :: v_dual_add_nc_u32 v8, 0x210, v21
	v_dual_mov_b32 v2, 0 :: v_dual_add_nc_u32 v7, -1, v108
	v_or_b32_e32 v9, 8, v13
	s_mov_b32 s3, 0
	s_delay_alu instid0(VALU_DEP_2)
	v_dual_mov_b32 v4, v2 :: v_dual_mov_b32 v3, v1
	.p2align	6
.LBB32_57:                              ; =>This Inner Loop Header: Depth=1
	scratch_load_b128 v[14:17], v9, off offset:-8
	ds_load_b128 v[22:25], v8
	v_add_nc_u32_e32 v7, 1, v7
	v_add_nc_u32_e32 v8, 16, v8
	;; [unrolled: 1-line block ×3, first 2 shown]
	s_delay_alu instid0(VALU_DEP_3) | instskip(SKIP_4) | instid1(VALU_DEP_2)
	v_cmp_lt_u32_e32 vcc_lo, 9, v7
	s_or_b32 s3, vcc_lo, s3
	s_waitcnt vmcnt(0) lgkmcnt(0)
	v_mul_f64 v[10:11], v[24:25], v[16:17]
	v_mul_f64 v[16:17], v[22:23], v[16:17]
	v_fma_f64 v[10:11], v[22:23], v[14:15], -v[10:11]
	s_delay_alu instid0(VALU_DEP_2) | instskip(NEXT) | instid1(VALU_DEP_2)
	v_fma_f64 v[14:15], v[24:25], v[14:15], v[16:17]
	v_add_f64 v[3:4], v[3:4], v[10:11]
	s_delay_alu instid0(VALU_DEP_2)
	v_add_f64 v[1:2], v[1:2], v[14:15]
	s_and_not1_b32 exec_lo, exec_lo, s3
	s_cbranch_execnz .LBB32_57
; %bb.58:
	s_or_b32 exec_lo, exec_lo, s3
	v_mov_b32_e32 v7, 0
	ds_load_b128 v[7:10], v7 offset:176
	s_waitcnt lgkmcnt(0)
	v_mul_f64 v[11:12], v[1:2], v[9:10]
	v_mul_f64 v[14:15], v[3:4], v[9:10]
	s_delay_alu instid0(VALU_DEP_2) | instskip(NEXT) | instid1(VALU_DEP_2)
	v_fma_f64 v[9:10], v[3:4], v[7:8], -v[11:12]
	v_fma_f64 v[11:12], v[1:2], v[7:8], v[14:15]
	scratch_store_b128 off, v[9:12], off offset:176
.LBB32_59:
	s_or_b32 exec_lo, exec_lo, s2
	s_waitcnt_vscnt null, 0x0
	s_barrier
	buffer_gl0_inv
	scratch_load_b128 v[1:4], v132, off
	s_mov_b32 s2, exec_lo
	s_waitcnt vmcnt(0)
	ds_store_b128 v5, v[1:4]
	s_waitcnt lgkmcnt(0)
	s_barrier
	buffer_gl0_inv
	v_cmpx_gt_u32_e32 12, v108
	s_cbranch_execz .LBB32_63
; %bb.60:
	v_dual_mov_b32 v1, 0 :: v_dual_add_nc_u32 v8, 0x210, v21
	v_dual_mov_b32 v2, 0 :: v_dual_add_nc_u32 v7, -1, v108
	v_or_b32_e32 v9, 8, v13
	s_mov_b32 s3, 0
	s_delay_alu instid0(VALU_DEP_2)
	v_dual_mov_b32 v4, v2 :: v_dual_mov_b32 v3, v1
	.p2align	6
.LBB32_61:                              ; =>This Inner Loop Header: Depth=1
	scratch_load_b128 v[14:17], v9, off offset:-8
	ds_load_b128 v[22:25], v8
	v_add_nc_u32_e32 v7, 1, v7
	v_add_nc_u32_e32 v8, 16, v8
	;; [unrolled: 1-line block ×3, first 2 shown]
	s_delay_alu instid0(VALU_DEP_3) | instskip(SKIP_4) | instid1(VALU_DEP_2)
	v_cmp_lt_u32_e32 vcc_lo, 10, v7
	s_or_b32 s3, vcc_lo, s3
	s_waitcnt vmcnt(0) lgkmcnt(0)
	v_mul_f64 v[10:11], v[24:25], v[16:17]
	v_mul_f64 v[16:17], v[22:23], v[16:17]
	v_fma_f64 v[10:11], v[22:23], v[14:15], -v[10:11]
	s_delay_alu instid0(VALU_DEP_2) | instskip(NEXT) | instid1(VALU_DEP_2)
	v_fma_f64 v[14:15], v[24:25], v[14:15], v[16:17]
	v_add_f64 v[3:4], v[3:4], v[10:11]
	s_delay_alu instid0(VALU_DEP_2)
	v_add_f64 v[1:2], v[1:2], v[14:15]
	s_and_not1_b32 exec_lo, exec_lo, s3
	s_cbranch_execnz .LBB32_61
; %bb.62:
	s_or_b32 exec_lo, exec_lo, s3
	v_mov_b32_e32 v7, 0
	ds_load_b128 v[7:10], v7 offset:192
	s_waitcnt lgkmcnt(0)
	v_mul_f64 v[11:12], v[1:2], v[9:10]
	v_mul_f64 v[14:15], v[3:4], v[9:10]
	s_delay_alu instid0(VALU_DEP_2) | instskip(NEXT) | instid1(VALU_DEP_2)
	v_fma_f64 v[9:10], v[3:4], v[7:8], -v[11:12]
	v_fma_f64 v[11:12], v[1:2], v[7:8], v[14:15]
	scratch_store_b128 off, v[9:12], off offset:192
.LBB32_63:
	s_or_b32 exec_lo, exec_lo, s2
	s_waitcnt_vscnt null, 0x0
	s_barrier
	buffer_gl0_inv
	scratch_load_b128 v[1:4], v133, off
	s_mov_b32 s2, exec_lo
	s_waitcnt vmcnt(0)
	ds_store_b128 v5, v[1:4]
	s_waitcnt lgkmcnt(0)
	s_barrier
	buffer_gl0_inv
	v_cmpx_gt_u32_e32 13, v108
	s_cbranch_execz .LBB32_67
; %bb.64:
	v_dual_mov_b32 v1, 0 :: v_dual_add_nc_u32 v8, 0x210, v21
	v_dual_mov_b32 v2, 0 :: v_dual_add_nc_u32 v7, -1, v108
	v_or_b32_e32 v9, 8, v13
	s_mov_b32 s3, 0
	s_delay_alu instid0(VALU_DEP_2)
	v_dual_mov_b32 v4, v2 :: v_dual_mov_b32 v3, v1
	.p2align	6
.LBB32_65:                              ; =>This Inner Loop Header: Depth=1
	scratch_load_b128 v[14:17], v9, off offset:-8
	ds_load_b128 v[22:25], v8
	v_add_nc_u32_e32 v7, 1, v7
	v_add_nc_u32_e32 v8, 16, v8
	;; [unrolled: 1-line block ×3, first 2 shown]
	s_delay_alu instid0(VALU_DEP_3) | instskip(SKIP_4) | instid1(VALU_DEP_2)
	v_cmp_lt_u32_e32 vcc_lo, 11, v7
	s_or_b32 s3, vcc_lo, s3
	s_waitcnt vmcnt(0) lgkmcnt(0)
	v_mul_f64 v[10:11], v[24:25], v[16:17]
	v_mul_f64 v[16:17], v[22:23], v[16:17]
	v_fma_f64 v[10:11], v[22:23], v[14:15], -v[10:11]
	s_delay_alu instid0(VALU_DEP_2) | instskip(NEXT) | instid1(VALU_DEP_2)
	v_fma_f64 v[14:15], v[24:25], v[14:15], v[16:17]
	v_add_f64 v[3:4], v[3:4], v[10:11]
	s_delay_alu instid0(VALU_DEP_2)
	v_add_f64 v[1:2], v[1:2], v[14:15]
	s_and_not1_b32 exec_lo, exec_lo, s3
	s_cbranch_execnz .LBB32_65
; %bb.66:
	s_or_b32 exec_lo, exec_lo, s3
	v_mov_b32_e32 v7, 0
	ds_load_b128 v[7:10], v7 offset:208
	s_waitcnt lgkmcnt(0)
	v_mul_f64 v[11:12], v[1:2], v[9:10]
	v_mul_f64 v[14:15], v[3:4], v[9:10]
	s_delay_alu instid0(VALU_DEP_2) | instskip(NEXT) | instid1(VALU_DEP_2)
	v_fma_f64 v[9:10], v[3:4], v[7:8], -v[11:12]
	v_fma_f64 v[11:12], v[1:2], v[7:8], v[14:15]
	scratch_store_b128 off, v[9:12], off offset:208
.LBB32_67:
	s_or_b32 exec_lo, exec_lo, s2
	s_waitcnt_vscnt null, 0x0
	s_barrier
	buffer_gl0_inv
	scratch_load_b128 v[1:4], v131, off
	s_mov_b32 s2, exec_lo
	s_waitcnt vmcnt(0)
	ds_store_b128 v5, v[1:4]
	s_waitcnt lgkmcnt(0)
	s_barrier
	buffer_gl0_inv
	v_cmpx_gt_u32_e32 14, v108
	s_cbranch_execz .LBB32_71
; %bb.68:
	v_dual_mov_b32 v1, 0 :: v_dual_add_nc_u32 v8, 0x210, v21
	v_dual_mov_b32 v2, 0 :: v_dual_add_nc_u32 v7, -1, v108
	v_or_b32_e32 v9, 8, v13
	s_mov_b32 s3, 0
	s_delay_alu instid0(VALU_DEP_2)
	v_dual_mov_b32 v4, v2 :: v_dual_mov_b32 v3, v1
	.p2align	6
.LBB32_69:                              ; =>This Inner Loop Header: Depth=1
	scratch_load_b128 v[14:17], v9, off offset:-8
	ds_load_b128 v[22:25], v8
	v_add_nc_u32_e32 v7, 1, v7
	v_add_nc_u32_e32 v8, 16, v8
	;; [unrolled: 1-line block ×3, first 2 shown]
	s_delay_alu instid0(VALU_DEP_3) | instskip(SKIP_4) | instid1(VALU_DEP_2)
	v_cmp_lt_u32_e32 vcc_lo, 12, v7
	s_or_b32 s3, vcc_lo, s3
	s_waitcnt vmcnt(0) lgkmcnt(0)
	v_mul_f64 v[10:11], v[24:25], v[16:17]
	v_mul_f64 v[16:17], v[22:23], v[16:17]
	v_fma_f64 v[10:11], v[22:23], v[14:15], -v[10:11]
	s_delay_alu instid0(VALU_DEP_2) | instskip(NEXT) | instid1(VALU_DEP_2)
	v_fma_f64 v[14:15], v[24:25], v[14:15], v[16:17]
	v_add_f64 v[3:4], v[3:4], v[10:11]
	s_delay_alu instid0(VALU_DEP_2)
	v_add_f64 v[1:2], v[1:2], v[14:15]
	s_and_not1_b32 exec_lo, exec_lo, s3
	s_cbranch_execnz .LBB32_69
; %bb.70:
	s_or_b32 exec_lo, exec_lo, s3
	v_mov_b32_e32 v7, 0
	ds_load_b128 v[7:10], v7 offset:224
	s_waitcnt lgkmcnt(0)
	v_mul_f64 v[11:12], v[1:2], v[9:10]
	v_mul_f64 v[14:15], v[3:4], v[9:10]
	s_delay_alu instid0(VALU_DEP_2) | instskip(NEXT) | instid1(VALU_DEP_2)
	v_fma_f64 v[9:10], v[3:4], v[7:8], -v[11:12]
	v_fma_f64 v[11:12], v[1:2], v[7:8], v[14:15]
	scratch_store_b128 off, v[9:12], off offset:224
.LBB32_71:
	s_or_b32 exec_lo, exec_lo, s2
	s_waitcnt_vscnt null, 0x0
	s_barrier
	buffer_gl0_inv
	scratch_load_b128 v[1:4], v130, off
	s_mov_b32 s2, exec_lo
	s_waitcnt vmcnt(0)
	ds_store_b128 v5, v[1:4]
	s_waitcnt lgkmcnt(0)
	s_barrier
	buffer_gl0_inv
	v_cmpx_gt_u32_e32 15, v108
	s_cbranch_execz .LBB32_75
; %bb.72:
	v_dual_mov_b32 v1, 0 :: v_dual_add_nc_u32 v8, 0x210, v21
	v_dual_mov_b32 v2, 0 :: v_dual_add_nc_u32 v7, -1, v108
	v_or_b32_e32 v9, 8, v13
	s_mov_b32 s3, 0
	s_delay_alu instid0(VALU_DEP_2)
	v_dual_mov_b32 v4, v2 :: v_dual_mov_b32 v3, v1
	.p2align	6
.LBB32_73:                              ; =>This Inner Loop Header: Depth=1
	scratch_load_b128 v[14:17], v9, off offset:-8
	ds_load_b128 v[22:25], v8
	v_add_nc_u32_e32 v7, 1, v7
	v_add_nc_u32_e32 v8, 16, v8
	v_add_nc_u32_e32 v9, 16, v9
	s_delay_alu instid0(VALU_DEP_3) | instskip(SKIP_4) | instid1(VALU_DEP_2)
	v_cmp_lt_u32_e32 vcc_lo, 13, v7
	s_or_b32 s3, vcc_lo, s3
	s_waitcnt vmcnt(0) lgkmcnt(0)
	v_mul_f64 v[10:11], v[24:25], v[16:17]
	v_mul_f64 v[16:17], v[22:23], v[16:17]
	v_fma_f64 v[10:11], v[22:23], v[14:15], -v[10:11]
	s_delay_alu instid0(VALU_DEP_2) | instskip(NEXT) | instid1(VALU_DEP_2)
	v_fma_f64 v[14:15], v[24:25], v[14:15], v[16:17]
	v_add_f64 v[3:4], v[3:4], v[10:11]
	s_delay_alu instid0(VALU_DEP_2)
	v_add_f64 v[1:2], v[1:2], v[14:15]
	s_and_not1_b32 exec_lo, exec_lo, s3
	s_cbranch_execnz .LBB32_73
; %bb.74:
	s_or_b32 exec_lo, exec_lo, s3
	v_mov_b32_e32 v7, 0
	ds_load_b128 v[7:10], v7 offset:240
	s_waitcnt lgkmcnt(0)
	v_mul_f64 v[11:12], v[1:2], v[9:10]
	v_mul_f64 v[14:15], v[3:4], v[9:10]
	s_delay_alu instid0(VALU_DEP_2) | instskip(NEXT) | instid1(VALU_DEP_2)
	v_fma_f64 v[9:10], v[3:4], v[7:8], -v[11:12]
	v_fma_f64 v[11:12], v[1:2], v[7:8], v[14:15]
	scratch_store_b128 off, v[9:12], off offset:240
.LBB32_75:
	s_or_b32 exec_lo, exec_lo, s2
	s_waitcnt_vscnt null, 0x0
	s_barrier
	buffer_gl0_inv
	scratch_load_b128 v[1:4], v128, off
	s_mov_b32 s2, exec_lo
	s_waitcnt vmcnt(0)
	ds_store_b128 v5, v[1:4]
	s_waitcnt lgkmcnt(0)
	s_barrier
	buffer_gl0_inv
	v_cmpx_gt_u32_e32 16, v108
	s_cbranch_execz .LBB32_79
; %bb.76:
	v_dual_mov_b32 v1, 0 :: v_dual_add_nc_u32 v8, 0x210, v21
	v_dual_mov_b32 v2, 0 :: v_dual_add_nc_u32 v7, -1, v108
	v_or_b32_e32 v9, 8, v13
	s_mov_b32 s3, 0
	s_delay_alu instid0(VALU_DEP_2)
	v_dual_mov_b32 v4, v2 :: v_dual_mov_b32 v3, v1
	.p2align	6
.LBB32_77:                              ; =>This Inner Loop Header: Depth=1
	scratch_load_b128 v[14:17], v9, off offset:-8
	ds_load_b128 v[22:25], v8
	v_add_nc_u32_e32 v7, 1, v7
	v_add_nc_u32_e32 v8, 16, v8
	;; [unrolled: 1-line block ×3, first 2 shown]
	s_delay_alu instid0(VALU_DEP_3) | instskip(SKIP_4) | instid1(VALU_DEP_2)
	v_cmp_lt_u32_e32 vcc_lo, 14, v7
	s_or_b32 s3, vcc_lo, s3
	s_waitcnt vmcnt(0) lgkmcnt(0)
	v_mul_f64 v[10:11], v[24:25], v[16:17]
	v_mul_f64 v[16:17], v[22:23], v[16:17]
	v_fma_f64 v[10:11], v[22:23], v[14:15], -v[10:11]
	s_delay_alu instid0(VALU_DEP_2) | instskip(NEXT) | instid1(VALU_DEP_2)
	v_fma_f64 v[14:15], v[24:25], v[14:15], v[16:17]
	v_add_f64 v[3:4], v[3:4], v[10:11]
	s_delay_alu instid0(VALU_DEP_2)
	v_add_f64 v[1:2], v[1:2], v[14:15]
	s_and_not1_b32 exec_lo, exec_lo, s3
	s_cbranch_execnz .LBB32_77
; %bb.78:
	s_or_b32 exec_lo, exec_lo, s3
	v_mov_b32_e32 v7, 0
	ds_load_b128 v[7:10], v7 offset:256
	s_waitcnt lgkmcnt(0)
	v_mul_f64 v[11:12], v[1:2], v[9:10]
	v_mul_f64 v[14:15], v[3:4], v[9:10]
	s_delay_alu instid0(VALU_DEP_2) | instskip(NEXT) | instid1(VALU_DEP_2)
	v_fma_f64 v[9:10], v[3:4], v[7:8], -v[11:12]
	v_fma_f64 v[11:12], v[1:2], v[7:8], v[14:15]
	scratch_store_b128 off, v[9:12], off offset:256
.LBB32_79:
	s_or_b32 exec_lo, exec_lo, s2
	s_waitcnt_vscnt null, 0x0
	s_barrier
	buffer_gl0_inv
	scratch_load_b128 v[1:4], v129, off
	s_mov_b32 s2, exec_lo
	s_waitcnt vmcnt(0)
	ds_store_b128 v5, v[1:4]
	s_waitcnt lgkmcnt(0)
	s_barrier
	buffer_gl0_inv
	v_cmpx_gt_u32_e32 17, v108
	s_cbranch_execz .LBB32_83
; %bb.80:
	v_dual_mov_b32 v1, 0 :: v_dual_add_nc_u32 v8, 0x210, v21
	v_dual_mov_b32 v2, 0 :: v_dual_add_nc_u32 v7, -1, v108
	v_or_b32_e32 v9, 8, v13
	s_mov_b32 s3, 0
	s_delay_alu instid0(VALU_DEP_2)
	v_dual_mov_b32 v4, v2 :: v_dual_mov_b32 v3, v1
	.p2align	6
.LBB32_81:                              ; =>This Inner Loop Header: Depth=1
	scratch_load_b128 v[14:17], v9, off offset:-8
	ds_load_b128 v[22:25], v8
	v_add_nc_u32_e32 v7, 1, v7
	v_add_nc_u32_e32 v8, 16, v8
	;; [unrolled: 1-line block ×3, first 2 shown]
	s_delay_alu instid0(VALU_DEP_3) | instskip(SKIP_4) | instid1(VALU_DEP_2)
	v_cmp_lt_u32_e32 vcc_lo, 15, v7
	s_or_b32 s3, vcc_lo, s3
	s_waitcnt vmcnt(0) lgkmcnt(0)
	v_mul_f64 v[10:11], v[24:25], v[16:17]
	v_mul_f64 v[16:17], v[22:23], v[16:17]
	v_fma_f64 v[10:11], v[22:23], v[14:15], -v[10:11]
	s_delay_alu instid0(VALU_DEP_2) | instskip(NEXT) | instid1(VALU_DEP_2)
	v_fma_f64 v[14:15], v[24:25], v[14:15], v[16:17]
	v_add_f64 v[3:4], v[3:4], v[10:11]
	s_delay_alu instid0(VALU_DEP_2)
	v_add_f64 v[1:2], v[1:2], v[14:15]
	s_and_not1_b32 exec_lo, exec_lo, s3
	s_cbranch_execnz .LBB32_81
; %bb.82:
	s_or_b32 exec_lo, exec_lo, s3
	v_mov_b32_e32 v7, 0
	ds_load_b128 v[7:10], v7 offset:272
	s_waitcnt lgkmcnt(0)
	v_mul_f64 v[11:12], v[1:2], v[9:10]
	v_mul_f64 v[14:15], v[3:4], v[9:10]
	s_delay_alu instid0(VALU_DEP_2) | instskip(NEXT) | instid1(VALU_DEP_2)
	v_fma_f64 v[9:10], v[3:4], v[7:8], -v[11:12]
	v_fma_f64 v[11:12], v[1:2], v[7:8], v[14:15]
	scratch_store_b128 off, v[9:12], off offset:272
.LBB32_83:
	s_or_b32 exec_lo, exec_lo, s2
	s_waitcnt_vscnt null, 0x0
	s_barrier
	buffer_gl0_inv
	scratch_load_b128 v[1:4], v127, off
	s_mov_b32 s2, exec_lo
	s_waitcnt vmcnt(0)
	ds_store_b128 v5, v[1:4]
	s_waitcnt lgkmcnt(0)
	s_barrier
	buffer_gl0_inv
	v_cmpx_gt_u32_e32 18, v108
	s_cbranch_execz .LBB32_87
; %bb.84:
	v_dual_mov_b32 v1, 0 :: v_dual_add_nc_u32 v8, 0x210, v21
	v_dual_mov_b32 v2, 0 :: v_dual_add_nc_u32 v7, -1, v108
	v_or_b32_e32 v9, 8, v13
	s_mov_b32 s3, 0
	s_delay_alu instid0(VALU_DEP_2)
	v_dual_mov_b32 v4, v2 :: v_dual_mov_b32 v3, v1
	.p2align	6
.LBB32_85:                              ; =>This Inner Loop Header: Depth=1
	scratch_load_b128 v[14:17], v9, off offset:-8
	ds_load_b128 v[22:25], v8
	v_add_nc_u32_e32 v7, 1, v7
	v_add_nc_u32_e32 v8, 16, v8
	;; [unrolled: 1-line block ×3, first 2 shown]
	s_delay_alu instid0(VALU_DEP_3) | instskip(SKIP_4) | instid1(VALU_DEP_2)
	v_cmp_lt_u32_e32 vcc_lo, 16, v7
	s_or_b32 s3, vcc_lo, s3
	s_waitcnt vmcnt(0) lgkmcnt(0)
	v_mul_f64 v[10:11], v[24:25], v[16:17]
	v_mul_f64 v[16:17], v[22:23], v[16:17]
	v_fma_f64 v[10:11], v[22:23], v[14:15], -v[10:11]
	s_delay_alu instid0(VALU_DEP_2) | instskip(NEXT) | instid1(VALU_DEP_2)
	v_fma_f64 v[14:15], v[24:25], v[14:15], v[16:17]
	v_add_f64 v[3:4], v[3:4], v[10:11]
	s_delay_alu instid0(VALU_DEP_2)
	v_add_f64 v[1:2], v[1:2], v[14:15]
	s_and_not1_b32 exec_lo, exec_lo, s3
	s_cbranch_execnz .LBB32_85
; %bb.86:
	s_or_b32 exec_lo, exec_lo, s3
	v_mov_b32_e32 v7, 0
	ds_load_b128 v[7:10], v7 offset:288
	s_waitcnt lgkmcnt(0)
	v_mul_f64 v[11:12], v[1:2], v[9:10]
	v_mul_f64 v[14:15], v[3:4], v[9:10]
	s_delay_alu instid0(VALU_DEP_2) | instskip(NEXT) | instid1(VALU_DEP_2)
	v_fma_f64 v[9:10], v[3:4], v[7:8], -v[11:12]
	v_fma_f64 v[11:12], v[1:2], v[7:8], v[14:15]
	scratch_store_b128 off, v[9:12], off offset:288
.LBB32_87:
	s_or_b32 exec_lo, exec_lo, s2
	s_waitcnt_vscnt null, 0x0
	s_barrier
	buffer_gl0_inv
	scratch_load_b128 v[1:4], v117, off
	s_mov_b32 s2, exec_lo
	s_waitcnt vmcnt(0)
	ds_store_b128 v5, v[1:4]
	s_waitcnt lgkmcnt(0)
	s_barrier
	buffer_gl0_inv
	v_cmpx_gt_u32_e32 19, v108
	s_cbranch_execz .LBB32_91
; %bb.88:
	v_dual_mov_b32 v1, 0 :: v_dual_add_nc_u32 v8, 0x210, v21
	v_dual_mov_b32 v2, 0 :: v_dual_add_nc_u32 v7, -1, v108
	v_or_b32_e32 v9, 8, v13
	s_mov_b32 s3, 0
	s_delay_alu instid0(VALU_DEP_2)
	v_dual_mov_b32 v4, v2 :: v_dual_mov_b32 v3, v1
	.p2align	6
.LBB32_89:                              ; =>This Inner Loop Header: Depth=1
	scratch_load_b128 v[14:17], v9, off offset:-8
	ds_load_b128 v[22:25], v8
	v_add_nc_u32_e32 v7, 1, v7
	v_add_nc_u32_e32 v8, 16, v8
	;; [unrolled: 1-line block ×3, first 2 shown]
	s_delay_alu instid0(VALU_DEP_3) | instskip(SKIP_4) | instid1(VALU_DEP_2)
	v_cmp_lt_u32_e32 vcc_lo, 17, v7
	s_or_b32 s3, vcc_lo, s3
	s_waitcnt vmcnt(0) lgkmcnt(0)
	v_mul_f64 v[10:11], v[24:25], v[16:17]
	v_mul_f64 v[16:17], v[22:23], v[16:17]
	v_fma_f64 v[10:11], v[22:23], v[14:15], -v[10:11]
	s_delay_alu instid0(VALU_DEP_2) | instskip(NEXT) | instid1(VALU_DEP_2)
	v_fma_f64 v[14:15], v[24:25], v[14:15], v[16:17]
	v_add_f64 v[3:4], v[3:4], v[10:11]
	s_delay_alu instid0(VALU_DEP_2)
	v_add_f64 v[1:2], v[1:2], v[14:15]
	s_and_not1_b32 exec_lo, exec_lo, s3
	s_cbranch_execnz .LBB32_89
; %bb.90:
	s_or_b32 exec_lo, exec_lo, s3
	v_mov_b32_e32 v7, 0
	ds_load_b128 v[7:10], v7 offset:304
	s_waitcnt lgkmcnt(0)
	v_mul_f64 v[11:12], v[1:2], v[9:10]
	v_mul_f64 v[14:15], v[3:4], v[9:10]
	s_delay_alu instid0(VALU_DEP_2) | instskip(NEXT) | instid1(VALU_DEP_2)
	v_fma_f64 v[9:10], v[3:4], v[7:8], -v[11:12]
	v_fma_f64 v[11:12], v[1:2], v[7:8], v[14:15]
	scratch_store_b128 off, v[9:12], off offset:304
.LBB32_91:
	s_or_b32 exec_lo, exec_lo, s2
	s_waitcnt_vscnt null, 0x0
	s_barrier
	buffer_gl0_inv
	scratch_load_b128 v[1:4], v116, off
	s_mov_b32 s2, exec_lo
	s_waitcnt vmcnt(0)
	ds_store_b128 v5, v[1:4]
	s_waitcnt lgkmcnt(0)
	s_barrier
	buffer_gl0_inv
	v_cmpx_gt_u32_e32 20, v108
	s_cbranch_execz .LBB32_95
; %bb.92:
	v_dual_mov_b32 v1, 0 :: v_dual_add_nc_u32 v8, 0x210, v21
	v_dual_mov_b32 v2, 0 :: v_dual_add_nc_u32 v7, -1, v108
	v_or_b32_e32 v9, 8, v13
	s_mov_b32 s3, 0
	s_delay_alu instid0(VALU_DEP_2)
	v_dual_mov_b32 v4, v2 :: v_dual_mov_b32 v3, v1
	.p2align	6
.LBB32_93:                              ; =>This Inner Loop Header: Depth=1
	scratch_load_b128 v[14:17], v9, off offset:-8
	ds_load_b128 v[22:25], v8
	v_add_nc_u32_e32 v7, 1, v7
	v_add_nc_u32_e32 v8, 16, v8
	;; [unrolled: 1-line block ×3, first 2 shown]
	s_delay_alu instid0(VALU_DEP_3) | instskip(SKIP_4) | instid1(VALU_DEP_2)
	v_cmp_lt_u32_e32 vcc_lo, 18, v7
	s_or_b32 s3, vcc_lo, s3
	s_waitcnt vmcnt(0) lgkmcnt(0)
	v_mul_f64 v[10:11], v[24:25], v[16:17]
	v_mul_f64 v[16:17], v[22:23], v[16:17]
	v_fma_f64 v[10:11], v[22:23], v[14:15], -v[10:11]
	s_delay_alu instid0(VALU_DEP_2) | instskip(NEXT) | instid1(VALU_DEP_2)
	v_fma_f64 v[14:15], v[24:25], v[14:15], v[16:17]
	v_add_f64 v[3:4], v[3:4], v[10:11]
	s_delay_alu instid0(VALU_DEP_2)
	v_add_f64 v[1:2], v[1:2], v[14:15]
	s_and_not1_b32 exec_lo, exec_lo, s3
	s_cbranch_execnz .LBB32_93
; %bb.94:
	s_or_b32 exec_lo, exec_lo, s3
	v_mov_b32_e32 v7, 0
	ds_load_b128 v[7:10], v7 offset:320
	s_waitcnt lgkmcnt(0)
	v_mul_f64 v[11:12], v[1:2], v[9:10]
	v_mul_f64 v[14:15], v[3:4], v[9:10]
	s_delay_alu instid0(VALU_DEP_2) | instskip(NEXT) | instid1(VALU_DEP_2)
	v_fma_f64 v[9:10], v[3:4], v[7:8], -v[11:12]
	v_fma_f64 v[11:12], v[1:2], v[7:8], v[14:15]
	scratch_store_b128 off, v[9:12], off offset:320
.LBB32_95:
	s_or_b32 exec_lo, exec_lo, s2
	s_waitcnt_vscnt null, 0x0
	s_barrier
	buffer_gl0_inv
	scratch_load_b128 v[1:4], v126, off
	s_mov_b32 s2, exec_lo
	s_waitcnt vmcnt(0)
	ds_store_b128 v5, v[1:4]
	s_waitcnt lgkmcnt(0)
	s_barrier
	buffer_gl0_inv
	v_cmpx_gt_u32_e32 21, v108
	s_cbranch_execz .LBB32_99
; %bb.96:
	v_dual_mov_b32 v1, 0 :: v_dual_add_nc_u32 v8, 0x210, v21
	v_dual_mov_b32 v2, 0 :: v_dual_add_nc_u32 v7, -1, v108
	v_or_b32_e32 v9, 8, v13
	s_mov_b32 s3, 0
	s_delay_alu instid0(VALU_DEP_2)
	v_dual_mov_b32 v4, v2 :: v_dual_mov_b32 v3, v1
	.p2align	6
.LBB32_97:                              ; =>This Inner Loop Header: Depth=1
	scratch_load_b128 v[14:17], v9, off offset:-8
	ds_load_b128 v[22:25], v8
	v_add_nc_u32_e32 v7, 1, v7
	v_add_nc_u32_e32 v8, 16, v8
	;; [unrolled: 1-line block ×3, first 2 shown]
	s_delay_alu instid0(VALU_DEP_3) | instskip(SKIP_4) | instid1(VALU_DEP_2)
	v_cmp_lt_u32_e32 vcc_lo, 19, v7
	s_or_b32 s3, vcc_lo, s3
	s_waitcnt vmcnt(0) lgkmcnt(0)
	v_mul_f64 v[10:11], v[24:25], v[16:17]
	v_mul_f64 v[16:17], v[22:23], v[16:17]
	v_fma_f64 v[10:11], v[22:23], v[14:15], -v[10:11]
	s_delay_alu instid0(VALU_DEP_2) | instskip(NEXT) | instid1(VALU_DEP_2)
	v_fma_f64 v[14:15], v[24:25], v[14:15], v[16:17]
	v_add_f64 v[3:4], v[3:4], v[10:11]
	s_delay_alu instid0(VALU_DEP_2)
	v_add_f64 v[1:2], v[1:2], v[14:15]
	s_and_not1_b32 exec_lo, exec_lo, s3
	s_cbranch_execnz .LBB32_97
; %bb.98:
	s_or_b32 exec_lo, exec_lo, s3
	v_mov_b32_e32 v7, 0
	ds_load_b128 v[7:10], v7 offset:336
	s_waitcnt lgkmcnt(0)
	v_mul_f64 v[11:12], v[1:2], v[9:10]
	v_mul_f64 v[14:15], v[3:4], v[9:10]
	s_delay_alu instid0(VALU_DEP_2) | instskip(NEXT) | instid1(VALU_DEP_2)
	v_fma_f64 v[9:10], v[3:4], v[7:8], -v[11:12]
	v_fma_f64 v[11:12], v[1:2], v[7:8], v[14:15]
	scratch_store_b128 off, v[9:12], off offset:336
.LBB32_99:
	s_or_b32 exec_lo, exec_lo, s2
	s_waitcnt_vscnt null, 0x0
	s_barrier
	buffer_gl0_inv
	scratch_load_b128 v[1:4], v125, off
	s_mov_b32 s2, exec_lo
	s_waitcnt vmcnt(0)
	ds_store_b128 v5, v[1:4]
	s_waitcnt lgkmcnt(0)
	s_barrier
	buffer_gl0_inv
	v_cmpx_gt_u32_e32 22, v108
	s_cbranch_execz .LBB32_103
; %bb.100:
	v_dual_mov_b32 v1, 0 :: v_dual_add_nc_u32 v8, 0x210, v21
	v_dual_mov_b32 v2, 0 :: v_dual_add_nc_u32 v7, -1, v108
	v_or_b32_e32 v9, 8, v13
	s_mov_b32 s3, 0
	s_delay_alu instid0(VALU_DEP_2)
	v_dual_mov_b32 v4, v2 :: v_dual_mov_b32 v3, v1
	.p2align	6
.LBB32_101:                             ; =>This Inner Loop Header: Depth=1
	scratch_load_b128 v[14:17], v9, off offset:-8
	ds_load_b128 v[22:25], v8
	v_add_nc_u32_e32 v7, 1, v7
	v_add_nc_u32_e32 v8, 16, v8
	;; [unrolled: 1-line block ×3, first 2 shown]
	s_delay_alu instid0(VALU_DEP_3) | instskip(SKIP_4) | instid1(VALU_DEP_2)
	v_cmp_lt_u32_e32 vcc_lo, 20, v7
	s_or_b32 s3, vcc_lo, s3
	s_waitcnt vmcnt(0) lgkmcnt(0)
	v_mul_f64 v[10:11], v[24:25], v[16:17]
	v_mul_f64 v[16:17], v[22:23], v[16:17]
	v_fma_f64 v[10:11], v[22:23], v[14:15], -v[10:11]
	s_delay_alu instid0(VALU_DEP_2) | instskip(NEXT) | instid1(VALU_DEP_2)
	v_fma_f64 v[14:15], v[24:25], v[14:15], v[16:17]
	v_add_f64 v[3:4], v[3:4], v[10:11]
	s_delay_alu instid0(VALU_DEP_2)
	v_add_f64 v[1:2], v[1:2], v[14:15]
	s_and_not1_b32 exec_lo, exec_lo, s3
	s_cbranch_execnz .LBB32_101
; %bb.102:
	s_or_b32 exec_lo, exec_lo, s3
	v_mov_b32_e32 v7, 0
	ds_load_b128 v[7:10], v7 offset:352
	s_waitcnt lgkmcnt(0)
	v_mul_f64 v[11:12], v[1:2], v[9:10]
	v_mul_f64 v[14:15], v[3:4], v[9:10]
	s_delay_alu instid0(VALU_DEP_2) | instskip(NEXT) | instid1(VALU_DEP_2)
	v_fma_f64 v[9:10], v[3:4], v[7:8], -v[11:12]
	v_fma_f64 v[11:12], v[1:2], v[7:8], v[14:15]
	scratch_store_b128 off, v[9:12], off offset:352
.LBB32_103:
	s_or_b32 exec_lo, exec_lo, s2
	s_waitcnt_vscnt null, 0x0
	s_barrier
	buffer_gl0_inv
	scratch_load_b128 v[1:4], v124, off
	s_mov_b32 s2, exec_lo
	s_waitcnt vmcnt(0)
	ds_store_b128 v5, v[1:4]
	s_waitcnt lgkmcnt(0)
	s_barrier
	buffer_gl0_inv
	v_cmpx_gt_u32_e32 23, v108
	s_cbranch_execz .LBB32_107
; %bb.104:
	v_dual_mov_b32 v1, 0 :: v_dual_add_nc_u32 v8, 0x210, v21
	v_dual_mov_b32 v2, 0 :: v_dual_add_nc_u32 v7, -1, v108
	v_or_b32_e32 v9, 8, v13
	s_mov_b32 s3, 0
	s_delay_alu instid0(VALU_DEP_2)
	v_dual_mov_b32 v4, v2 :: v_dual_mov_b32 v3, v1
	.p2align	6
.LBB32_105:                             ; =>This Inner Loop Header: Depth=1
	scratch_load_b128 v[14:17], v9, off offset:-8
	ds_load_b128 v[22:25], v8
	v_add_nc_u32_e32 v7, 1, v7
	v_add_nc_u32_e32 v8, 16, v8
	;; [unrolled: 1-line block ×3, first 2 shown]
	s_delay_alu instid0(VALU_DEP_3) | instskip(SKIP_4) | instid1(VALU_DEP_2)
	v_cmp_lt_u32_e32 vcc_lo, 21, v7
	s_or_b32 s3, vcc_lo, s3
	s_waitcnt vmcnt(0) lgkmcnt(0)
	v_mul_f64 v[10:11], v[24:25], v[16:17]
	v_mul_f64 v[16:17], v[22:23], v[16:17]
	v_fma_f64 v[10:11], v[22:23], v[14:15], -v[10:11]
	s_delay_alu instid0(VALU_DEP_2) | instskip(NEXT) | instid1(VALU_DEP_2)
	v_fma_f64 v[14:15], v[24:25], v[14:15], v[16:17]
	v_add_f64 v[3:4], v[3:4], v[10:11]
	s_delay_alu instid0(VALU_DEP_2)
	v_add_f64 v[1:2], v[1:2], v[14:15]
	s_and_not1_b32 exec_lo, exec_lo, s3
	s_cbranch_execnz .LBB32_105
; %bb.106:
	s_or_b32 exec_lo, exec_lo, s3
	v_mov_b32_e32 v7, 0
	ds_load_b128 v[7:10], v7 offset:368
	s_waitcnt lgkmcnt(0)
	v_mul_f64 v[11:12], v[1:2], v[9:10]
	v_mul_f64 v[14:15], v[3:4], v[9:10]
	s_delay_alu instid0(VALU_DEP_2) | instskip(NEXT) | instid1(VALU_DEP_2)
	v_fma_f64 v[9:10], v[3:4], v[7:8], -v[11:12]
	v_fma_f64 v[11:12], v[1:2], v[7:8], v[14:15]
	scratch_store_b128 off, v[9:12], off offset:368
.LBB32_107:
	s_or_b32 exec_lo, exec_lo, s2
	s_waitcnt_vscnt null, 0x0
	s_barrier
	buffer_gl0_inv
	scratch_load_b128 v[1:4], v123, off
	s_mov_b32 s2, exec_lo
	s_waitcnt vmcnt(0)
	ds_store_b128 v5, v[1:4]
	s_waitcnt lgkmcnt(0)
	s_barrier
	buffer_gl0_inv
	v_cmpx_gt_u32_e32 24, v108
	s_cbranch_execz .LBB32_111
; %bb.108:
	v_dual_mov_b32 v1, 0 :: v_dual_add_nc_u32 v8, 0x210, v21
	v_dual_mov_b32 v2, 0 :: v_dual_add_nc_u32 v7, -1, v108
	v_or_b32_e32 v9, 8, v13
	s_mov_b32 s3, 0
	s_delay_alu instid0(VALU_DEP_2)
	v_dual_mov_b32 v4, v2 :: v_dual_mov_b32 v3, v1
	.p2align	6
.LBB32_109:                             ; =>This Inner Loop Header: Depth=1
	scratch_load_b128 v[14:17], v9, off offset:-8
	ds_load_b128 v[22:25], v8
	v_add_nc_u32_e32 v7, 1, v7
	v_add_nc_u32_e32 v8, 16, v8
	v_add_nc_u32_e32 v9, 16, v9
	s_delay_alu instid0(VALU_DEP_3) | instskip(SKIP_4) | instid1(VALU_DEP_2)
	v_cmp_lt_u32_e32 vcc_lo, 22, v7
	s_or_b32 s3, vcc_lo, s3
	s_waitcnt vmcnt(0) lgkmcnt(0)
	v_mul_f64 v[10:11], v[24:25], v[16:17]
	v_mul_f64 v[16:17], v[22:23], v[16:17]
	v_fma_f64 v[10:11], v[22:23], v[14:15], -v[10:11]
	s_delay_alu instid0(VALU_DEP_2) | instskip(NEXT) | instid1(VALU_DEP_2)
	v_fma_f64 v[14:15], v[24:25], v[14:15], v[16:17]
	v_add_f64 v[3:4], v[3:4], v[10:11]
	s_delay_alu instid0(VALU_DEP_2)
	v_add_f64 v[1:2], v[1:2], v[14:15]
	s_and_not1_b32 exec_lo, exec_lo, s3
	s_cbranch_execnz .LBB32_109
; %bb.110:
	s_or_b32 exec_lo, exec_lo, s3
	v_mov_b32_e32 v7, 0
	ds_load_b128 v[7:10], v7 offset:384
	s_waitcnt lgkmcnt(0)
	v_mul_f64 v[11:12], v[1:2], v[9:10]
	v_mul_f64 v[14:15], v[3:4], v[9:10]
	s_delay_alu instid0(VALU_DEP_2) | instskip(NEXT) | instid1(VALU_DEP_2)
	v_fma_f64 v[9:10], v[3:4], v[7:8], -v[11:12]
	v_fma_f64 v[11:12], v[1:2], v[7:8], v[14:15]
	scratch_store_b128 off, v[9:12], off offset:384
.LBB32_111:
	s_or_b32 exec_lo, exec_lo, s2
	s_waitcnt_vscnt null, 0x0
	s_barrier
	buffer_gl0_inv
	scratch_load_b128 v[1:4], v122, off
	s_mov_b32 s2, exec_lo
	s_waitcnt vmcnt(0)
	ds_store_b128 v5, v[1:4]
	s_waitcnt lgkmcnt(0)
	s_barrier
	buffer_gl0_inv
	v_cmpx_gt_u32_e32 25, v108
	s_cbranch_execz .LBB32_115
; %bb.112:
	v_dual_mov_b32 v1, 0 :: v_dual_add_nc_u32 v8, 0x210, v21
	v_dual_mov_b32 v2, 0 :: v_dual_add_nc_u32 v7, -1, v108
	v_or_b32_e32 v9, 8, v13
	s_mov_b32 s3, 0
	s_delay_alu instid0(VALU_DEP_2)
	v_dual_mov_b32 v4, v2 :: v_dual_mov_b32 v3, v1
	.p2align	6
.LBB32_113:                             ; =>This Inner Loop Header: Depth=1
	scratch_load_b128 v[14:17], v9, off offset:-8
	ds_load_b128 v[22:25], v8
	v_add_nc_u32_e32 v7, 1, v7
	v_add_nc_u32_e32 v8, 16, v8
	;; [unrolled: 1-line block ×3, first 2 shown]
	s_delay_alu instid0(VALU_DEP_3) | instskip(SKIP_4) | instid1(VALU_DEP_2)
	v_cmp_lt_u32_e32 vcc_lo, 23, v7
	s_or_b32 s3, vcc_lo, s3
	s_waitcnt vmcnt(0) lgkmcnt(0)
	v_mul_f64 v[10:11], v[24:25], v[16:17]
	v_mul_f64 v[16:17], v[22:23], v[16:17]
	v_fma_f64 v[10:11], v[22:23], v[14:15], -v[10:11]
	s_delay_alu instid0(VALU_DEP_2) | instskip(NEXT) | instid1(VALU_DEP_2)
	v_fma_f64 v[14:15], v[24:25], v[14:15], v[16:17]
	v_add_f64 v[3:4], v[3:4], v[10:11]
	s_delay_alu instid0(VALU_DEP_2)
	v_add_f64 v[1:2], v[1:2], v[14:15]
	s_and_not1_b32 exec_lo, exec_lo, s3
	s_cbranch_execnz .LBB32_113
; %bb.114:
	s_or_b32 exec_lo, exec_lo, s3
	v_mov_b32_e32 v7, 0
	ds_load_b128 v[7:10], v7 offset:400
	s_waitcnt lgkmcnt(0)
	v_mul_f64 v[11:12], v[1:2], v[9:10]
	v_mul_f64 v[14:15], v[3:4], v[9:10]
	s_delay_alu instid0(VALU_DEP_2) | instskip(NEXT) | instid1(VALU_DEP_2)
	v_fma_f64 v[9:10], v[3:4], v[7:8], -v[11:12]
	v_fma_f64 v[11:12], v[1:2], v[7:8], v[14:15]
	scratch_store_b128 off, v[9:12], off offset:400
.LBB32_115:
	s_or_b32 exec_lo, exec_lo, s2
	s_waitcnt_vscnt null, 0x0
	s_barrier
	buffer_gl0_inv
	scratch_load_b128 v[1:4], v121, off
	s_mov_b32 s2, exec_lo
	s_waitcnt vmcnt(0)
	ds_store_b128 v5, v[1:4]
	s_waitcnt lgkmcnt(0)
	s_barrier
	buffer_gl0_inv
	v_cmpx_gt_u32_e32 26, v108
	s_cbranch_execz .LBB32_119
; %bb.116:
	v_dual_mov_b32 v1, 0 :: v_dual_add_nc_u32 v8, 0x210, v21
	v_dual_mov_b32 v2, 0 :: v_dual_add_nc_u32 v7, -1, v108
	v_or_b32_e32 v9, 8, v13
	s_mov_b32 s3, 0
	s_delay_alu instid0(VALU_DEP_2)
	v_dual_mov_b32 v4, v2 :: v_dual_mov_b32 v3, v1
	.p2align	6
.LBB32_117:                             ; =>This Inner Loop Header: Depth=1
	scratch_load_b128 v[14:17], v9, off offset:-8
	ds_load_b128 v[22:25], v8
	v_add_nc_u32_e32 v7, 1, v7
	v_add_nc_u32_e32 v8, 16, v8
	;; [unrolled: 1-line block ×3, first 2 shown]
	s_delay_alu instid0(VALU_DEP_3) | instskip(SKIP_4) | instid1(VALU_DEP_2)
	v_cmp_lt_u32_e32 vcc_lo, 24, v7
	s_or_b32 s3, vcc_lo, s3
	s_waitcnt vmcnt(0) lgkmcnt(0)
	v_mul_f64 v[10:11], v[24:25], v[16:17]
	v_mul_f64 v[16:17], v[22:23], v[16:17]
	v_fma_f64 v[10:11], v[22:23], v[14:15], -v[10:11]
	s_delay_alu instid0(VALU_DEP_2) | instskip(NEXT) | instid1(VALU_DEP_2)
	v_fma_f64 v[14:15], v[24:25], v[14:15], v[16:17]
	v_add_f64 v[3:4], v[3:4], v[10:11]
	s_delay_alu instid0(VALU_DEP_2)
	v_add_f64 v[1:2], v[1:2], v[14:15]
	s_and_not1_b32 exec_lo, exec_lo, s3
	s_cbranch_execnz .LBB32_117
; %bb.118:
	s_or_b32 exec_lo, exec_lo, s3
	v_mov_b32_e32 v7, 0
	ds_load_b128 v[7:10], v7 offset:416
	s_waitcnt lgkmcnt(0)
	v_mul_f64 v[11:12], v[1:2], v[9:10]
	v_mul_f64 v[14:15], v[3:4], v[9:10]
	s_delay_alu instid0(VALU_DEP_2) | instskip(NEXT) | instid1(VALU_DEP_2)
	v_fma_f64 v[9:10], v[3:4], v[7:8], -v[11:12]
	v_fma_f64 v[11:12], v[1:2], v[7:8], v[14:15]
	scratch_store_b128 off, v[9:12], off offset:416
.LBB32_119:
	s_or_b32 exec_lo, exec_lo, s2
	s_waitcnt_vscnt null, 0x0
	s_barrier
	buffer_gl0_inv
	scratch_load_b128 v[1:4], v120, off
	s_mov_b32 s2, exec_lo
	s_waitcnt vmcnt(0)
	ds_store_b128 v5, v[1:4]
	s_waitcnt lgkmcnt(0)
	s_barrier
	buffer_gl0_inv
	v_cmpx_gt_u32_e32 27, v108
	s_cbranch_execz .LBB32_123
; %bb.120:
	v_dual_mov_b32 v1, 0 :: v_dual_add_nc_u32 v8, 0x210, v21
	v_dual_mov_b32 v2, 0 :: v_dual_add_nc_u32 v7, -1, v108
	v_or_b32_e32 v9, 8, v13
	s_mov_b32 s3, 0
	s_delay_alu instid0(VALU_DEP_2)
	v_dual_mov_b32 v4, v2 :: v_dual_mov_b32 v3, v1
	.p2align	6
.LBB32_121:                             ; =>This Inner Loop Header: Depth=1
	scratch_load_b128 v[14:17], v9, off offset:-8
	ds_load_b128 v[22:25], v8
	v_add_nc_u32_e32 v7, 1, v7
	v_add_nc_u32_e32 v8, 16, v8
	;; [unrolled: 1-line block ×3, first 2 shown]
	s_delay_alu instid0(VALU_DEP_3) | instskip(SKIP_4) | instid1(VALU_DEP_2)
	v_cmp_lt_u32_e32 vcc_lo, 25, v7
	s_or_b32 s3, vcc_lo, s3
	s_waitcnt vmcnt(0) lgkmcnt(0)
	v_mul_f64 v[10:11], v[24:25], v[16:17]
	v_mul_f64 v[16:17], v[22:23], v[16:17]
	v_fma_f64 v[10:11], v[22:23], v[14:15], -v[10:11]
	s_delay_alu instid0(VALU_DEP_2) | instskip(NEXT) | instid1(VALU_DEP_2)
	v_fma_f64 v[14:15], v[24:25], v[14:15], v[16:17]
	v_add_f64 v[3:4], v[3:4], v[10:11]
	s_delay_alu instid0(VALU_DEP_2)
	v_add_f64 v[1:2], v[1:2], v[14:15]
	s_and_not1_b32 exec_lo, exec_lo, s3
	s_cbranch_execnz .LBB32_121
; %bb.122:
	s_or_b32 exec_lo, exec_lo, s3
	v_mov_b32_e32 v7, 0
	ds_load_b128 v[7:10], v7 offset:432
	s_waitcnt lgkmcnt(0)
	v_mul_f64 v[11:12], v[1:2], v[9:10]
	v_mul_f64 v[14:15], v[3:4], v[9:10]
	s_delay_alu instid0(VALU_DEP_2) | instskip(NEXT) | instid1(VALU_DEP_2)
	v_fma_f64 v[9:10], v[3:4], v[7:8], -v[11:12]
	v_fma_f64 v[11:12], v[1:2], v[7:8], v[14:15]
	scratch_store_b128 off, v[9:12], off offset:432
.LBB32_123:
	s_or_b32 exec_lo, exec_lo, s2
	s_waitcnt_vscnt null, 0x0
	s_barrier
	buffer_gl0_inv
	scratch_load_b128 v[1:4], v119, off
	s_mov_b32 s2, exec_lo
	s_waitcnt vmcnt(0)
	ds_store_b128 v5, v[1:4]
	s_waitcnt lgkmcnt(0)
	s_barrier
	buffer_gl0_inv
	v_cmpx_gt_u32_e32 28, v108
	s_cbranch_execz .LBB32_127
; %bb.124:
	v_dual_mov_b32 v1, 0 :: v_dual_add_nc_u32 v8, 0x210, v21
	v_dual_mov_b32 v2, 0 :: v_dual_add_nc_u32 v7, -1, v108
	v_or_b32_e32 v9, 8, v13
	s_mov_b32 s3, 0
	s_delay_alu instid0(VALU_DEP_2)
	v_dual_mov_b32 v4, v2 :: v_dual_mov_b32 v3, v1
	.p2align	6
.LBB32_125:                             ; =>This Inner Loop Header: Depth=1
	scratch_load_b128 v[14:17], v9, off offset:-8
	ds_load_b128 v[22:25], v8
	v_add_nc_u32_e32 v7, 1, v7
	v_add_nc_u32_e32 v8, 16, v8
	;; [unrolled: 1-line block ×3, first 2 shown]
	s_delay_alu instid0(VALU_DEP_3) | instskip(SKIP_4) | instid1(VALU_DEP_2)
	v_cmp_lt_u32_e32 vcc_lo, 26, v7
	s_or_b32 s3, vcc_lo, s3
	s_waitcnt vmcnt(0) lgkmcnt(0)
	v_mul_f64 v[10:11], v[24:25], v[16:17]
	v_mul_f64 v[16:17], v[22:23], v[16:17]
	v_fma_f64 v[10:11], v[22:23], v[14:15], -v[10:11]
	s_delay_alu instid0(VALU_DEP_2) | instskip(NEXT) | instid1(VALU_DEP_2)
	v_fma_f64 v[14:15], v[24:25], v[14:15], v[16:17]
	v_add_f64 v[3:4], v[3:4], v[10:11]
	s_delay_alu instid0(VALU_DEP_2)
	v_add_f64 v[1:2], v[1:2], v[14:15]
	s_and_not1_b32 exec_lo, exec_lo, s3
	s_cbranch_execnz .LBB32_125
; %bb.126:
	s_or_b32 exec_lo, exec_lo, s3
	v_mov_b32_e32 v7, 0
	ds_load_b128 v[7:10], v7 offset:448
	s_waitcnt lgkmcnt(0)
	v_mul_f64 v[11:12], v[1:2], v[9:10]
	v_mul_f64 v[14:15], v[3:4], v[9:10]
	s_delay_alu instid0(VALU_DEP_2) | instskip(NEXT) | instid1(VALU_DEP_2)
	v_fma_f64 v[9:10], v[3:4], v[7:8], -v[11:12]
	v_fma_f64 v[11:12], v[1:2], v[7:8], v[14:15]
	scratch_store_b128 off, v[9:12], off offset:448
.LBB32_127:
	s_or_b32 exec_lo, exec_lo, s2
	s_waitcnt_vscnt null, 0x0
	s_barrier
	buffer_gl0_inv
	scratch_load_b128 v[1:4], v115, off
	s_mov_b32 s2, exec_lo
	s_waitcnt vmcnt(0)
	ds_store_b128 v5, v[1:4]
	s_waitcnt lgkmcnt(0)
	s_barrier
	buffer_gl0_inv
	v_cmpx_gt_u32_e32 29, v108
	s_cbranch_execz .LBB32_131
; %bb.128:
	v_dual_mov_b32 v1, 0 :: v_dual_add_nc_u32 v8, 0x210, v21
	v_dual_mov_b32 v2, 0 :: v_dual_add_nc_u32 v7, -1, v108
	v_or_b32_e32 v9, 8, v13
	s_mov_b32 s3, 0
	s_delay_alu instid0(VALU_DEP_2)
	v_dual_mov_b32 v4, v2 :: v_dual_mov_b32 v3, v1
	.p2align	6
.LBB32_129:                             ; =>This Inner Loop Header: Depth=1
	scratch_load_b128 v[14:17], v9, off offset:-8
	ds_load_b128 v[22:25], v8
	v_add_nc_u32_e32 v7, 1, v7
	v_add_nc_u32_e32 v8, 16, v8
	;; [unrolled: 1-line block ×3, first 2 shown]
	s_delay_alu instid0(VALU_DEP_3) | instskip(SKIP_4) | instid1(VALU_DEP_2)
	v_cmp_lt_u32_e32 vcc_lo, 27, v7
	s_or_b32 s3, vcc_lo, s3
	s_waitcnt vmcnt(0) lgkmcnt(0)
	v_mul_f64 v[10:11], v[24:25], v[16:17]
	v_mul_f64 v[16:17], v[22:23], v[16:17]
	v_fma_f64 v[10:11], v[22:23], v[14:15], -v[10:11]
	s_delay_alu instid0(VALU_DEP_2) | instskip(NEXT) | instid1(VALU_DEP_2)
	v_fma_f64 v[14:15], v[24:25], v[14:15], v[16:17]
	v_add_f64 v[3:4], v[3:4], v[10:11]
	s_delay_alu instid0(VALU_DEP_2)
	v_add_f64 v[1:2], v[1:2], v[14:15]
	s_and_not1_b32 exec_lo, exec_lo, s3
	s_cbranch_execnz .LBB32_129
; %bb.130:
	s_or_b32 exec_lo, exec_lo, s3
	v_mov_b32_e32 v7, 0
	ds_load_b128 v[7:10], v7 offset:464
	s_waitcnt lgkmcnt(0)
	v_mul_f64 v[11:12], v[1:2], v[9:10]
	v_mul_f64 v[14:15], v[3:4], v[9:10]
	s_delay_alu instid0(VALU_DEP_2) | instskip(NEXT) | instid1(VALU_DEP_2)
	v_fma_f64 v[9:10], v[3:4], v[7:8], -v[11:12]
	v_fma_f64 v[11:12], v[1:2], v[7:8], v[14:15]
	scratch_store_b128 off, v[9:12], off offset:464
.LBB32_131:
	s_or_b32 exec_lo, exec_lo, s2
	s_waitcnt_vscnt null, 0x0
	s_barrier
	buffer_gl0_inv
	scratch_load_b128 v[1:4], v114, off
	s_mov_b32 s2, exec_lo
	s_waitcnt vmcnt(0)
	ds_store_b128 v5, v[1:4]
	s_waitcnt lgkmcnt(0)
	s_barrier
	buffer_gl0_inv
	v_cmpx_gt_u32_e32 30, v108
	s_cbranch_execz .LBB32_135
; %bb.132:
	v_dual_mov_b32 v1, 0 :: v_dual_add_nc_u32 v8, 0x210, v21
	v_dual_mov_b32 v2, 0 :: v_dual_add_nc_u32 v7, -1, v108
	v_or_b32_e32 v9, 8, v13
	s_mov_b32 s3, 0
	s_delay_alu instid0(VALU_DEP_2)
	v_dual_mov_b32 v4, v2 :: v_dual_mov_b32 v3, v1
	.p2align	6
.LBB32_133:                             ; =>This Inner Loop Header: Depth=1
	scratch_load_b128 v[14:17], v9, off offset:-8
	ds_load_b128 v[22:25], v8
	v_add_nc_u32_e32 v7, 1, v7
	v_add_nc_u32_e32 v8, 16, v8
	;; [unrolled: 1-line block ×3, first 2 shown]
	s_delay_alu instid0(VALU_DEP_3) | instskip(SKIP_4) | instid1(VALU_DEP_2)
	v_cmp_lt_u32_e32 vcc_lo, 28, v7
	s_or_b32 s3, vcc_lo, s3
	s_waitcnt vmcnt(0) lgkmcnt(0)
	v_mul_f64 v[10:11], v[24:25], v[16:17]
	v_mul_f64 v[16:17], v[22:23], v[16:17]
	v_fma_f64 v[10:11], v[22:23], v[14:15], -v[10:11]
	s_delay_alu instid0(VALU_DEP_2) | instskip(NEXT) | instid1(VALU_DEP_2)
	v_fma_f64 v[14:15], v[24:25], v[14:15], v[16:17]
	v_add_f64 v[3:4], v[3:4], v[10:11]
	s_delay_alu instid0(VALU_DEP_2)
	v_add_f64 v[1:2], v[1:2], v[14:15]
	s_and_not1_b32 exec_lo, exec_lo, s3
	s_cbranch_execnz .LBB32_133
; %bb.134:
	s_or_b32 exec_lo, exec_lo, s3
	v_mov_b32_e32 v7, 0
	ds_load_b128 v[7:10], v7 offset:480
	s_waitcnt lgkmcnt(0)
	v_mul_f64 v[11:12], v[1:2], v[9:10]
	v_mul_f64 v[14:15], v[3:4], v[9:10]
	s_delay_alu instid0(VALU_DEP_2) | instskip(NEXT) | instid1(VALU_DEP_2)
	v_fma_f64 v[9:10], v[3:4], v[7:8], -v[11:12]
	v_fma_f64 v[11:12], v[1:2], v[7:8], v[14:15]
	scratch_store_b128 off, v[9:12], off offset:480
.LBB32_135:
	s_or_b32 exec_lo, exec_lo, s2
	s_waitcnt_vscnt null, 0x0
	s_barrier
	buffer_gl0_inv
	scratch_load_b128 v[1:4], v111, off
	s_mov_b32 s2, exec_lo
	s_waitcnt vmcnt(0)
	ds_store_b128 v5, v[1:4]
	s_waitcnt lgkmcnt(0)
	s_barrier
	buffer_gl0_inv
	v_cmpx_gt_u32_e32 31, v108
	s_cbranch_execz .LBB32_139
; %bb.136:
	v_dual_mov_b32 v1, 0 :: v_dual_add_nc_u32 v8, 0x210, v21
	v_dual_mov_b32 v2, 0 :: v_dual_add_nc_u32 v7, -1, v108
	v_or_b32_e32 v9, 8, v13
	s_mov_b32 s3, 0
	s_delay_alu instid0(VALU_DEP_2)
	v_dual_mov_b32 v4, v2 :: v_dual_mov_b32 v3, v1
	.p2align	6
.LBB32_137:                             ; =>This Inner Loop Header: Depth=1
	scratch_load_b128 v[14:17], v9, off offset:-8
	ds_load_b128 v[18:21], v8
	v_add_nc_u32_e32 v7, 1, v7
	v_add_nc_u32_e32 v8, 16, v8
	v_add_nc_u32_e32 v9, 16, v9
	s_delay_alu instid0(VALU_DEP_3) | instskip(SKIP_4) | instid1(VALU_DEP_2)
	v_cmp_lt_u32_e32 vcc_lo, 29, v7
	s_or_b32 s3, vcc_lo, s3
	s_waitcnt vmcnt(0) lgkmcnt(0)
	v_mul_f64 v[10:11], v[20:21], v[16:17]
	v_mul_f64 v[16:17], v[18:19], v[16:17]
	v_fma_f64 v[10:11], v[18:19], v[14:15], -v[10:11]
	s_delay_alu instid0(VALU_DEP_2) | instskip(NEXT) | instid1(VALU_DEP_2)
	v_fma_f64 v[14:15], v[20:21], v[14:15], v[16:17]
	v_add_f64 v[3:4], v[3:4], v[10:11]
	s_delay_alu instid0(VALU_DEP_2)
	v_add_f64 v[1:2], v[1:2], v[14:15]
	s_and_not1_b32 exec_lo, exec_lo, s3
	s_cbranch_execnz .LBB32_137
; %bb.138:
	s_or_b32 exec_lo, exec_lo, s3
	v_mov_b32_e32 v7, 0
	ds_load_b128 v[7:10], v7 offset:496
	s_waitcnt lgkmcnt(0)
	v_mul_f64 v[11:12], v[1:2], v[9:10]
	v_mul_f64 v[14:15], v[3:4], v[9:10]
	s_delay_alu instid0(VALU_DEP_2) | instskip(NEXT) | instid1(VALU_DEP_2)
	v_fma_f64 v[9:10], v[3:4], v[7:8], -v[11:12]
	v_fma_f64 v[11:12], v[1:2], v[7:8], v[14:15]
	scratch_store_b128 off, v[9:12], off offset:496
.LBB32_139:
	s_or_b32 exec_lo, exec_lo, s2
	s_waitcnt_vscnt null, 0x0
	s_barrier
	buffer_gl0_inv
	scratch_load_b128 v[1:4], v110, off
	s_mov_b32 s2, exec_lo
	s_waitcnt vmcnt(0)
	ds_store_b128 v5, v[1:4]
	s_waitcnt lgkmcnt(0)
	s_barrier
	buffer_gl0_inv
	v_cmpx_ne_u32_e32 32, v108
	s_cbranch_execz .LBB32_143
; %bb.140:
	v_mov_b32_e32 v1, 0
	v_mov_b32_e32 v2, 0
	v_or_b32_e32 v7, 8, v13
	s_mov_b32 s3, 0
	s_delay_alu instid0(VALU_DEP_2)
	v_dual_mov_b32 v4, v2 :: v_dual_mov_b32 v3, v1
	.p2align	6
.LBB32_141:                             ; =>This Inner Loop Header: Depth=1
	scratch_load_b128 v[8:11], v7, off offset:-8
	ds_load_b128 v[12:15], v5
	v_add_nc_u32_e32 v6, 1, v6
	v_add_nc_u32_e32 v5, 16, v5
	;; [unrolled: 1-line block ×3, first 2 shown]
	s_delay_alu instid0(VALU_DEP_3) | instskip(SKIP_4) | instid1(VALU_DEP_2)
	v_cmp_lt_u32_e32 vcc_lo, 30, v6
	s_or_b32 s3, vcc_lo, s3
	s_waitcnt vmcnt(0) lgkmcnt(0)
	v_mul_f64 v[16:17], v[14:15], v[10:11]
	v_mul_f64 v[10:11], v[12:13], v[10:11]
	v_fma_f64 v[12:13], v[12:13], v[8:9], -v[16:17]
	s_delay_alu instid0(VALU_DEP_2) | instskip(NEXT) | instid1(VALU_DEP_2)
	v_fma_f64 v[8:9], v[14:15], v[8:9], v[10:11]
	v_add_f64 v[3:4], v[3:4], v[12:13]
	s_delay_alu instid0(VALU_DEP_2)
	v_add_f64 v[1:2], v[1:2], v[8:9]
	s_and_not1_b32 exec_lo, exec_lo, s3
	s_cbranch_execnz .LBB32_141
; %bb.142:
	s_or_b32 exec_lo, exec_lo, s3
	v_mov_b32_e32 v5, 0
	ds_load_b128 v[5:8], v5 offset:512
	s_waitcnt lgkmcnt(0)
	v_mul_f64 v[9:10], v[1:2], v[7:8]
	v_mul_f64 v[7:8], v[3:4], v[7:8]
	s_delay_alu instid0(VALU_DEP_2) | instskip(NEXT) | instid1(VALU_DEP_2)
	v_fma_f64 v[3:4], v[3:4], v[5:6], -v[9:10]
	v_fma_f64 v[5:6], v[1:2], v[5:6], v[7:8]
	scratch_store_b128 off, v[3:6], off offset:512
.LBB32_143:
	s_or_b32 exec_lo, exec_lo, s2
	s_mov_b32 s3, -1
	s_waitcnt_vscnt null, 0x0
	s_barrier
	buffer_gl0_inv
.LBB32_144:
	s_and_b32 vcc_lo, exec_lo, s3
	s_cbranch_vccz .LBB32_146
; %bb.145:
	s_lshl_b64 s[2:3], s[18:19], 2
	v_mov_b32_e32 v1, 0
	s_add_u32 s2, s6, s2
	s_addc_u32 s3, s7, s3
	global_load_b32 v1, v1, s[2:3]
	s_waitcnt vmcnt(0)
	v_cmp_ne_u32_e32 vcc_lo, 0, v1
	s_cbranch_vccz .LBB32_147
.LBB32_146:
	s_endpgm
.LBB32_147:
	v_lshl_add_u32 v141, v108, 4, 0x210
	s_mov_b32 s2, exec_lo
	v_cmpx_eq_u32_e32 32, v108
	s_cbranch_execz .LBB32_149
; %bb.148:
	scratch_load_b128 v[1:4], v111, off
	v_mov_b32_e32 v5, 0
	s_delay_alu instid0(VALU_DEP_1)
	v_mov_b32_e32 v6, v5
	v_mov_b32_e32 v7, v5
	v_mov_b32_e32 v8, v5
	scratch_store_b128 off, v[5:8], off offset:496
	s_waitcnt vmcnt(0)
	ds_store_b128 v141, v[1:4]
.LBB32_149:
	s_or_b32 exec_lo, exec_lo, s2
	s_waitcnt lgkmcnt(0)
	s_waitcnt_vscnt null, 0x0
	s_barrier
	buffer_gl0_inv
	s_clause 0x1
	scratch_load_b128 v[2:5], off, off offset:512
	scratch_load_b128 v[6:9], off, off offset:496
	v_mov_b32_e32 v1, 0
	s_mov_b32 s2, exec_lo
	ds_load_b128 v[10:13], v1 offset:1040
	s_waitcnt vmcnt(1) lgkmcnt(0)
	v_mul_f64 v[14:15], v[12:13], v[4:5]
	v_mul_f64 v[4:5], v[10:11], v[4:5]
	s_delay_alu instid0(VALU_DEP_2) | instskip(NEXT) | instid1(VALU_DEP_2)
	v_fma_f64 v[10:11], v[10:11], v[2:3], -v[14:15]
	v_fma_f64 v[2:3], v[12:13], v[2:3], v[4:5]
	s_delay_alu instid0(VALU_DEP_2) | instskip(NEXT) | instid1(VALU_DEP_2)
	v_add_f64 v[4:5], v[10:11], 0
	v_add_f64 v[10:11], v[2:3], 0
	s_waitcnt vmcnt(0)
	s_delay_alu instid0(VALU_DEP_2) | instskip(NEXT) | instid1(VALU_DEP_2)
	v_add_f64 v[2:3], v[6:7], -v[4:5]
	v_add_f64 v[4:5], v[8:9], -v[10:11]
	scratch_store_b128 off, v[2:5], off offset:496
	v_cmpx_lt_u32_e32 30, v108
	s_cbranch_execz .LBB32_151
; %bb.150:
	scratch_load_b128 v[5:8], v114, off
	v_mov_b32_e32 v2, v1
	v_mov_b32_e32 v3, v1
	;; [unrolled: 1-line block ×3, first 2 shown]
	scratch_store_b128 off, v[1:4], off offset:480
	s_waitcnt vmcnt(0)
	ds_store_b128 v141, v[5:8]
.LBB32_151:
	s_or_b32 exec_lo, exec_lo, s2
	s_waitcnt lgkmcnt(0)
	s_waitcnt_vscnt null, 0x0
	s_barrier
	buffer_gl0_inv
	s_clause 0x2
	scratch_load_b128 v[2:5], off, off offset:496
	scratch_load_b128 v[6:9], off, off offset:512
	scratch_load_b128 v[10:13], off, off offset:480
	ds_load_b128 v[14:17], v1 offset:1024
	ds_load_b128 v[18:21], v1 offset:1040
	s_mov_b32 s2, exec_lo
	s_waitcnt vmcnt(2) lgkmcnt(1)
	v_mul_f64 v[22:23], v[16:17], v[4:5]
	v_mul_f64 v[4:5], v[14:15], v[4:5]
	s_waitcnt vmcnt(1) lgkmcnt(0)
	v_mul_f64 v[24:25], v[18:19], v[8:9]
	v_mul_f64 v[8:9], v[20:21], v[8:9]
	s_delay_alu instid0(VALU_DEP_4) | instskip(NEXT) | instid1(VALU_DEP_4)
	v_fma_f64 v[14:15], v[14:15], v[2:3], -v[22:23]
	v_fma_f64 v[1:2], v[16:17], v[2:3], v[4:5]
	s_delay_alu instid0(VALU_DEP_4) | instskip(NEXT) | instid1(VALU_DEP_4)
	v_fma_f64 v[3:4], v[20:21], v[6:7], v[24:25]
	v_fma_f64 v[5:6], v[18:19], v[6:7], -v[8:9]
	s_delay_alu instid0(VALU_DEP_4) | instskip(NEXT) | instid1(VALU_DEP_4)
	v_add_f64 v[7:8], v[14:15], 0
	v_add_f64 v[1:2], v[1:2], 0
	s_delay_alu instid0(VALU_DEP_2) | instskip(NEXT) | instid1(VALU_DEP_2)
	v_add_f64 v[5:6], v[7:8], v[5:6]
	v_add_f64 v[3:4], v[1:2], v[3:4]
	s_waitcnt vmcnt(0)
	s_delay_alu instid0(VALU_DEP_2) | instskip(NEXT) | instid1(VALU_DEP_2)
	v_add_f64 v[1:2], v[10:11], -v[5:6]
	v_add_f64 v[3:4], v[12:13], -v[3:4]
	scratch_store_b128 off, v[1:4], off offset:480
	v_cmpx_lt_u32_e32 29, v108
	s_cbranch_execz .LBB32_153
; %bb.152:
	scratch_load_b128 v[1:4], v115, off
	v_mov_b32_e32 v5, 0
	s_delay_alu instid0(VALU_DEP_1)
	v_mov_b32_e32 v6, v5
	v_mov_b32_e32 v7, v5
	;; [unrolled: 1-line block ×3, first 2 shown]
	scratch_store_b128 off, v[5:8], off offset:464
	s_waitcnt vmcnt(0)
	ds_store_b128 v141, v[1:4]
.LBB32_153:
	s_or_b32 exec_lo, exec_lo, s2
	s_waitcnt lgkmcnt(0)
	s_waitcnt_vscnt null, 0x0
	s_barrier
	buffer_gl0_inv
	s_clause 0x3
	scratch_load_b128 v[2:5], off, off offset:480
	scratch_load_b128 v[6:9], off, off offset:496
	;; [unrolled: 1-line block ×4, first 2 shown]
	v_mov_b32_e32 v1, 0
	ds_load_b128 v[18:21], v1 offset:1008
	ds_load_b128 v[22:25], v1 offset:1024
	s_mov_b32 s2, exec_lo
	s_waitcnt vmcnt(3) lgkmcnt(1)
	v_mul_f64 v[26:27], v[20:21], v[4:5]
	v_mul_f64 v[4:5], v[18:19], v[4:5]
	s_waitcnt vmcnt(2) lgkmcnt(0)
	v_mul_f64 v[28:29], v[22:23], v[8:9]
	v_mul_f64 v[8:9], v[24:25], v[8:9]
	s_delay_alu instid0(VALU_DEP_4) | instskip(NEXT) | instid1(VALU_DEP_4)
	v_fma_f64 v[18:19], v[18:19], v[2:3], -v[26:27]
	v_fma_f64 v[20:21], v[20:21], v[2:3], v[4:5]
	ds_load_b128 v[2:5], v1 offset:1040
	v_fma_f64 v[24:25], v[24:25], v[6:7], v[28:29]
	v_fma_f64 v[6:7], v[22:23], v[6:7], -v[8:9]
	s_waitcnt vmcnt(1) lgkmcnt(0)
	v_mul_f64 v[26:27], v[2:3], v[12:13]
	v_mul_f64 v[12:13], v[4:5], v[12:13]
	v_add_f64 v[8:9], v[18:19], 0
	v_add_f64 v[18:19], v[20:21], 0
	s_delay_alu instid0(VALU_DEP_4) | instskip(NEXT) | instid1(VALU_DEP_4)
	v_fma_f64 v[4:5], v[4:5], v[10:11], v[26:27]
	v_fma_f64 v[2:3], v[2:3], v[10:11], -v[12:13]
	s_delay_alu instid0(VALU_DEP_4) | instskip(NEXT) | instid1(VALU_DEP_4)
	v_add_f64 v[6:7], v[8:9], v[6:7]
	v_add_f64 v[8:9], v[18:19], v[24:25]
	s_delay_alu instid0(VALU_DEP_2) | instskip(NEXT) | instid1(VALU_DEP_2)
	v_add_f64 v[2:3], v[6:7], v[2:3]
	v_add_f64 v[4:5], v[8:9], v[4:5]
	s_waitcnt vmcnt(0)
	s_delay_alu instid0(VALU_DEP_2) | instskip(NEXT) | instid1(VALU_DEP_2)
	v_add_f64 v[2:3], v[14:15], -v[2:3]
	v_add_f64 v[4:5], v[16:17], -v[4:5]
	scratch_store_b128 off, v[2:5], off offset:464
	v_cmpx_lt_u32_e32 28, v108
	s_cbranch_execz .LBB32_155
; %bb.154:
	scratch_load_b128 v[5:8], v119, off
	v_mov_b32_e32 v2, v1
	v_mov_b32_e32 v3, v1
	;; [unrolled: 1-line block ×3, first 2 shown]
	scratch_store_b128 off, v[1:4], off offset:448
	s_waitcnt vmcnt(0)
	ds_store_b128 v141, v[5:8]
.LBB32_155:
	s_or_b32 exec_lo, exec_lo, s2
	s_waitcnt lgkmcnt(0)
	s_waitcnt_vscnt null, 0x0
	s_barrier
	buffer_gl0_inv
	s_clause 0x4
	scratch_load_b128 v[2:5], off, off offset:464
	scratch_load_b128 v[6:9], off, off offset:480
	;; [unrolled: 1-line block ×5, first 2 shown]
	ds_load_b128 v[22:25], v1 offset:992
	ds_load_b128 v[26:29], v1 offset:1008
	s_mov_b32 s2, exec_lo
	s_waitcnt vmcnt(4) lgkmcnt(1)
	v_mul_f64 v[30:31], v[24:25], v[4:5]
	v_mul_f64 v[4:5], v[22:23], v[4:5]
	s_waitcnt vmcnt(3) lgkmcnt(0)
	v_mul_f64 v[32:33], v[26:27], v[8:9]
	v_mul_f64 v[8:9], v[28:29], v[8:9]
	s_delay_alu instid0(VALU_DEP_4) | instskip(NEXT) | instid1(VALU_DEP_4)
	v_fma_f64 v[30:31], v[22:23], v[2:3], -v[30:31]
	v_fma_f64 v[34:35], v[24:25], v[2:3], v[4:5]
	ds_load_b128 v[2:5], v1 offset:1024
	ds_load_b128 v[22:25], v1 offset:1040
	v_fma_f64 v[28:29], v[28:29], v[6:7], v[32:33]
	v_fma_f64 v[6:7], v[26:27], v[6:7], -v[8:9]
	s_waitcnt vmcnt(2) lgkmcnt(1)
	v_mul_f64 v[36:37], v[2:3], v[12:13]
	v_mul_f64 v[12:13], v[4:5], v[12:13]
	v_add_f64 v[8:9], v[30:31], 0
	v_add_f64 v[26:27], v[34:35], 0
	s_waitcnt vmcnt(1) lgkmcnt(0)
	v_mul_f64 v[30:31], v[22:23], v[16:17]
	v_mul_f64 v[16:17], v[24:25], v[16:17]
	v_fma_f64 v[4:5], v[4:5], v[10:11], v[36:37]
	v_fma_f64 v[1:2], v[2:3], v[10:11], -v[12:13]
	v_add_f64 v[6:7], v[8:9], v[6:7]
	v_add_f64 v[8:9], v[26:27], v[28:29]
	v_fma_f64 v[10:11], v[24:25], v[14:15], v[30:31]
	v_fma_f64 v[12:13], v[22:23], v[14:15], -v[16:17]
	s_delay_alu instid0(VALU_DEP_4) | instskip(NEXT) | instid1(VALU_DEP_4)
	v_add_f64 v[1:2], v[6:7], v[1:2]
	v_add_f64 v[3:4], v[8:9], v[4:5]
	s_delay_alu instid0(VALU_DEP_2) | instskip(NEXT) | instid1(VALU_DEP_2)
	v_add_f64 v[1:2], v[1:2], v[12:13]
	v_add_f64 v[3:4], v[3:4], v[10:11]
	s_waitcnt vmcnt(0)
	s_delay_alu instid0(VALU_DEP_2) | instskip(NEXT) | instid1(VALU_DEP_2)
	v_add_f64 v[1:2], v[18:19], -v[1:2]
	v_add_f64 v[3:4], v[20:21], -v[3:4]
	scratch_store_b128 off, v[1:4], off offset:448
	v_cmpx_lt_u32_e32 27, v108
	s_cbranch_execz .LBB32_157
; %bb.156:
	scratch_load_b128 v[1:4], v120, off
	v_mov_b32_e32 v5, 0
	s_delay_alu instid0(VALU_DEP_1)
	v_mov_b32_e32 v6, v5
	v_mov_b32_e32 v7, v5
	;; [unrolled: 1-line block ×3, first 2 shown]
	scratch_store_b128 off, v[5:8], off offset:432
	s_waitcnt vmcnt(0)
	ds_store_b128 v141, v[1:4]
.LBB32_157:
	s_or_b32 exec_lo, exec_lo, s2
	s_waitcnt lgkmcnt(0)
	s_waitcnt_vscnt null, 0x0
	s_barrier
	buffer_gl0_inv
	s_clause 0x5
	scratch_load_b128 v[2:5], off, off offset:448
	scratch_load_b128 v[6:9], off, off offset:464
	;; [unrolled: 1-line block ×6, first 2 shown]
	v_mov_b32_e32 v1, 0
	ds_load_b128 v[26:29], v1 offset:976
	ds_load_b128 v[30:33], v1 offset:992
	s_mov_b32 s2, exec_lo
	s_waitcnt vmcnt(5) lgkmcnt(1)
	v_mul_f64 v[34:35], v[28:29], v[4:5]
	v_mul_f64 v[4:5], v[26:27], v[4:5]
	s_waitcnt vmcnt(4) lgkmcnt(0)
	v_mul_f64 v[36:37], v[30:31], v[8:9]
	v_mul_f64 v[8:9], v[32:33], v[8:9]
	s_delay_alu instid0(VALU_DEP_4) | instskip(NEXT) | instid1(VALU_DEP_4)
	v_fma_f64 v[34:35], v[26:27], v[2:3], -v[34:35]
	v_fma_f64 v[38:39], v[28:29], v[2:3], v[4:5]
	ds_load_b128 v[2:5], v1 offset:1008
	ds_load_b128 v[26:29], v1 offset:1024
	v_fma_f64 v[32:33], v[32:33], v[6:7], v[36:37]
	v_fma_f64 v[6:7], v[30:31], v[6:7], -v[8:9]
	s_waitcnt vmcnt(3) lgkmcnt(1)
	v_mul_f64 v[40:41], v[2:3], v[12:13]
	v_mul_f64 v[12:13], v[4:5], v[12:13]
	v_add_f64 v[8:9], v[34:35], 0
	v_add_f64 v[30:31], v[38:39], 0
	s_waitcnt vmcnt(2) lgkmcnt(0)
	v_mul_f64 v[34:35], v[26:27], v[16:17]
	v_mul_f64 v[16:17], v[28:29], v[16:17]
	v_fma_f64 v[36:37], v[4:5], v[10:11], v[40:41]
	v_fma_f64 v[10:11], v[2:3], v[10:11], -v[12:13]
	ds_load_b128 v[2:5], v1 offset:1040
	v_add_f64 v[6:7], v[8:9], v[6:7]
	v_add_f64 v[8:9], v[30:31], v[32:33]
	v_fma_f64 v[28:29], v[28:29], v[14:15], v[34:35]
	v_fma_f64 v[14:15], v[26:27], v[14:15], -v[16:17]
	s_waitcnt vmcnt(1) lgkmcnt(0)
	v_mul_f64 v[12:13], v[2:3], v[20:21]
	v_mul_f64 v[20:21], v[4:5], v[20:21]
	v_add_f64 v[6:7], v[6:7], v[10:11]
	v_add_f64 v[8:9], v[8:9], v[36:37]
	s_delay_alu instid0(VALU_DEP_4) | instskip(NEXT) | instid1(VALU_DEP_4)
	v_fma_f64 v[4:5], v[4:5], v[18:19], v[12:13]
	v_fma_f64 v[2:3], v[2:3], v[18:19], -v[20:21]
	s_delay_alu instid0(VALU_DEP_4) | instskip(NEXT) | instid1(VALU_DEP_4)
	v_add_f64 v[6:7], v[6:7], v[14:15]
	v_add_f64 v[8:9], v[8:9], v[28:29]
	s_delay_alu instid0(VALU_DEP_2) | instskip(NEXT) | instid1(VALU_DEP_2)
	v_add_f64 v[2:3], v[6:7], v[2:3]
	v_add_f64 v[4:5], v[8:9], v[4:5]
	s_waitcnt vmcnt(0)
	s_delay_alu instid0(VALU_DEP_2) | instskip(NEXT) | instid1(VALU_DEP_2)
	v_add_f64 v[2:3], v[22:23], -v[2:3]
	v_add_f64 v[4:5], v[24:25], -v[4:5]
	scratch_store_b128 off, v[2:5], off offset:432
	v_cmpx_lt_u32_e32 26, v108
	s_cbranch_execz .LBB32_159
; %bb.158:
	scratch_load_b128 v[5:8], v121, off
	v_mov_b32_e32 v2, v1
	v_mov_b32_e32 v3, v1
	;; [unrolled: 1-line block ×3, first 2 shown]
	scratch_store_b128 off, v[1:4], off offset:416
	s_waitcnt vmcnt(0)
	ds_store_b128 v141, v[5:8]
.LBB32_159:
	s_or_b32 exec_lo, exec_lo, s2
	s_waitcnt lgkmcnt(0)
	s_waitcnt_vscnt null, 0x0
	s_barrier
	buffer_gl0_inv
	s_clause 0x5
	scratch_load_b128 v[2:5], off, off offset:432
	scratch_load_b128 v[6:9], off, off offset:448
	;; [unrolled: 1-line block ×6, first 2 shown]
	ds_load_b128 v[26:29], v1 offset:960
	ds_load_b128 v[34:37], v1 offset:976
	scratch_load_b128 v[30:33], off, off offset:416
	s_mov_b32 s2, exec_lo
	s_waitcnt vmcnt(6) lgkmcnt(1)
	v_mul_f64 v[38:39], v[28:29], v[4:5]
	v_mul_f64 v[4:5], v[26:27], v[4:5]
	s_waitcnt vmcnt(5) lgkmcnt(0)
	v_mul_f64 v[40:41], v[34:35], v[8:9]
	v_mul_f64 v[8:9], v[36:37], v[8:9]
	s_delay_alu instid0(VALU_DEP_4) | instskip(NEXT) | instid1(VALU_DEP_4)
	v_fma_f64 v[38:39], v[26:27], v[2:3], -v[38:39]
	v_fma_f64 v[142:143], v[28:29], v[2:3], v[4:5]
	ds_load_b128 v[2:5], v1 offset:992
	ds_load_b128 v[26:29], v1 offset:1008
	v_fma_f64 v[36:37], v[36:37], v[6:7], v[40:41]
	v_fma_f64 v[6:7], v[34:35], v[6:7], -v[8:9]
	s_waitcnt vmcnt(4) lgkmcnt(1)
	v_mul_f64 v[144:145], v[2:3], v[12:13]
	v_mul_f64 v[12:13], v[4:5], v[12:13]
	v_add_f64 v[8:9], v[38:39], 0
	v_add_f64 v[34:35], v[142:143], 0
	s_waitcnt vmcnt(3) lgkmcnt(0)
	v_mul_f64 v[38:39], v[26:27], v[16:17]
	v_mul_f64 v[16:17], v[28:29], v[16:17]
	v_fma_f64 v[40:41], v[4:5], v[10:11], v[144:145]
	v_fma_f64 v[10:11], v[2:3], v[10:11], -v[12:13]
	v_add_f64 v[12:13], v[8:9], v[6:7]
	v_add_f64 v[34:35], v[34:35], v[36:37]
	ds_load_b128 v[2:5], v1 offset:1024
	ds_load_b128 v[6:9], v1 offset:1040
	v_fma_f64 v[28:29], v[28:29], v[14:15], v[38:39]
	v_fma_f64 v[14:15], v[26:27], v[14:15], -v[16:17]
	s_waitcnt vmcnt(2) lgkmcnt(1)
	v_mul_f64 v[36:37], v[2:3], v[20:21]
	v_mul_f64 v[20:21], v[4:5], v[20:21]
	s_waitcnt vmcnt(1) lgkmcnt(0)
	v_mul_f64 v[16:17], v[6:7], v[24:25]
	v_mul_f64 v[24:25], v[8:9], v[24:25]
	v_add_f64 v[10:11], v[12:13], v[10:11]
	v_add_f64 v[12:13], v[34:35], v[40:41]
	v_fma_f64 v[4:5], v[4:5], v[18:19], v[36:37]
	v_fma_f64 v[1:2], v[2:3], v[18:19], -v[20:21]
	v_fma_f64 v[8:9], v[8:9], v[22:23], v[16:17]
	v_fma_f64 v[6:7], v[6:7], v[22:23], -v[24:25]
	v_add_f64 v[10:11], v[10:11], v[14:15]
	v_add_f64 v[12:13], v[12:13], v[28:29]
	s_delay_alu instid0(VALU_DEP_2) | instskip(NEXT) | instid1(VALU_DEP_2)
	v_add_f64 v[1:2], v[10:11], v[1:2]
	v_add_f64 v[3:4], v[12:13], v[4:5]
	s_delay_alu instid0(VALU_DEP_2) | instskip(NEXT) | instid1(VALU_DEP_2)
	v_add_f64 v[1:2], v[1:2], v[6:7]
	v_add_f64 v[3:4], v[3:4], v[8:9]
	s_waitcnt vmcnt(0)
	s_delay_alu instid0(VALU_DEP_2) | instskip(NEXT) | instid1(VALU_DEP_2)
	v_add_f64 v[1:2], v[30:31], -v[1:2]
	v_add_f64 v[3:4], v[32:33], -v[3:4]
	scratch_store_b128 off, v[1:4], off offset:416
	v_cmpx_lt_u32_e32 25, v108
	s_cbranch_execz .LBB32_161
; %bb.160:
	scratch_load_b128 v[1:4], v122, off
	v_mov_b32_e32 v5, 0
	s_delay_alu instid0(VALU_DEP_1)
	v_mov_b32_e32 v6, v5
	v_mov_b32_e32 v7, v5
	;; [unrolled: 1-line block ×3, first 2 shown]
	scratch_store_b128 off, v[5:8], off offset:400
	s_waitcnt vmcnt(0)
	ds_store_b128 v141, v[1:4]
.LBB32_161:
	s_or_b32 exec_lo, exec_lo, s2
	s_waitcnt lgkmcnt(0)
	s_waitcnt_vscnt null, 0x0
	s_barrier
	buffer_gl0_inv
	s_clause 0x6
	scratch_load_b128 v[2:5], off, off offset:416
	scratch_load_b128 v[6:9], off, off offset:432
	;; [unrolled: 1-line block ×7, first 2 shown]
	v_mov_b32_e32 v1, 0
	scratch_load_b128 v[34:37], off, off offset:400
	s_mov_b32 s2, exec_lo
	ds_load_b128 v[30:33], v1 offset:944
	ds_load_b128 v[38:41], v1 offset:960
	s_waitcnt vmcnt(7) lgkmcnt(1)
	v_mul_f64 v[142:143], v[32:33], v[4:5]
	v_mul_f64 v[4:5], v[30:31], v[4:5]
	s_waitcnt vmcnt(6) lgkmcnt(0)
	v_mul_f64 v[144:145], v[38:39], v[8:9]
	v_mul_f64 v[8:9], v[40:41], v[8:9]
	s_delay_alu instid0(VALU_DEP_4) | instskip(NEXT) | instid1(VALU_DEP_4)
	v_fma_f64 v[142:143], v[30:31], v[2:3], -v[142:143]
	v_fma_f64 v[146:147], v[32:33], v[2:3], v[4:5]
	ds_load_b128 v[2:5], v1 offset:976
	ds_load_b128 v[30:33], v1 offset:992
	v_fma_f64 v[40:41], v[40:41], v[6:7], v[144:145]
	v_fma_f64 v[6:7], v[38:39], v[6:7], -v[8:9]
	s_waitcnt vmcnt(5) lgkmcnt(1)
	v_mul_f64 v[148:149], v[2:3], v[12:13]
	v_mul_f64 v[12:13], v[4:5], v[12:13]
	v_add_f64 v[8:9], v[142:143], 0
	v_add_f64 v[38:39], v[146:147], 0
	s_waitcnt vmcnt(4) lgkmcnt(0)
	v_mul_f64 v[142:143], v[30:31], v[16:17]
	v_mul_f64 v[16:17], v[32:33], v[16:17]
	v_fma_f64 v[144:145], v[4:5], v[10:11], v[148:149]
	v_fma_f64 v[10:11], v[2:3], v[10:11], -v[12:13]
	v_add_f64 v[12:13], v[8:9], v[6:7]
	v_add_f64 v[38:39], v[38:39], v[40:41]
	ds_load_b128 v[2:5], v1 offset:1008
	ds_load_b128 v[6:9], v1 offset:1024
	v_fma_f64 v[32:33], v[32:33], v[14:15], v[142:143]
	v_fma_f64 v[14:15], v[30:31], v[14:15], -v[16:17]
	s_waitcnt vmcnt(3) lgkmcnt(1)
	v_mul_f64 v[40:41], v[2:3], v[20:21]
	v_mul_f64 v[20:21], v[4:5], v[20:21]
	s_waitcnt vmcnt(2) lgkmcnt(0)
	v_mul_f64 v[16:17], v[6:7], v[24:25]
	v_mul_f64 v[24:25], v[8:9], v[24:25]
	v_add_f64 v[10:11], v[12:13], v[10:11]
	v_add_f64 v[12:13], v[38:39], v[144:145]
	v_fma_f64 v[30:31], v[4:5], v[18:19], v[40:41]
	v_fma_f64 v[18:19], v[2:3], v[18:19], -v[20:21]
	ds_load_b128 v[2:5], v1 offset:1040
	v_fma_f64 v[8:9], v[8:9], v[22:23], v[16:17]
	v_fma_f64 v[6:7], v[6:7], v[22:23], -v[24:25]
	v_add_f64 v[10:11], v[10:11], v[14:15]
	v_add_f64 v[12:13], v[12:13], v[32:33]
	s_waitcnt vmcnt(1) lgkmcnt(0)
	v_mul_f64 v[14:15], v[2:3], v[28:29]
	v_mul_f64 v[20:21], v[4:5], v[28:29]
	s_delay_alu instid0(VALU_DEP_4) | instskip(NEXT) | instid1(VALU_DEP_4)
	v_add_f64 v[10:11], v[10:11], v[18:19]
	v_add_f64 v[12:13], v[12:13], v[30:31]
	s_delay_alu instid0(VALU_DEP_4) | instskip(NEXT) | instid1(VALU_DEP_4)
	v_fma_f64 v[4:5], v[4:5], v[26:27], v[14:15]
	v_fma_f64 v[2:3], v[2:3], v[26:27], -v[20:21]
	s_delay_alu instid0(VALU_DEP_4) | instskip(NEXT) | instid1(VALU_DEP_4)
	v_add_f64 v[6:7], v[10:11], v[6:7]
	v_add_f64 v[8:9], v[12:13], v[8:9]
	s_delay_alu instid0(VALU_DEP_2) | instskip(NEXT) | instid1(VALU_DEP_2)
	v_add_f64 v[2:3], v[6:7], v[2:3]
	v_add_f64 v[4:5], v[8:9], v[4:5]
	s_waitcnt vmcnt(0)
	s_delay_alu instid0(VALU_DEP_2) | instskip(NEXT) | instid1(VALU_DEP_2)
	v_add_f64 v[2:3], v[34:35], -v[2:3]
	v_add_f64 v[4:5], v[36:37], -v[4:5]
	scratch_store_b128 off, v[2:5], off offset:400
	v_cmpx_lt_u32_e32 24, v108
	s_cbranch_execz .LBB32_163
; %bb.162:
	scratch_load_b128 v[5:8], v123, off
	v_mov_b32_e32 v2, v1
	v_mov_b32_e32 v3, v1
	;; [unrolled: 1-line block ×3, first 2 shown]
	scratch_store_b128 off, v[1:4], off offset:384
	s_waitcnt vmcnt(0)
	ds_store_b128 v141, v[5:8]
.LBB32_163:
	s_or_b32 exec_lo, exec_lo, s2
	s_waitcnt lgkmcnt(0)
	s_waitcnt_vscnt null, 0x0
	s_barrier
	buffer_gl0_inv
	s_clause 0x7
	scratch_load_b128 v[2:5], off, off offset:400
	scratch_load_b128 v[6:9], off, off offset:416
	;; [unrolled: 1-line block ×8, first 2 shown]
	ds_load_b128 v[34:37], v1 offset:928
	ds_load_b128 v[38:41], v1 offset:944
	scratch_load_b128 v[142:145], off, off offset:384
	s_mov_b32 s2, exec_lo
	s_waitcnt vmcnt(8) lgkmcnt(1)
	v_mul_f64 v[146:147], v[36:37], v[4:5]
	v_mul_f64 v[4:5], v[34:35], v[4:5]
	s_waitcnt vmcnt(7) lgkmcnt(0)
	v_mul_f64 v[148:149], v[38:39], v[8:9]
	v_mul_f64 v[8:9], v[40:41], v[8:9]
	s_delay_alu instid0(VALU_DEP_4) | instskip(NEXT) | instid1(VALU_DEP_4)
	v_fma_f64 v[146:147], v[34:35], v[2:3], -v[146:147]
	v_fma_f64 v[150:151], v[36:37], v[2:3], v[4:5]
	ds_load_b128 v[2:5], v1 offset:960
	ds_load_b128 v[34:37], v1 offset:976
	v_fma_f64 v[40:41], v[40:41], v[6:7], v[148:149]
	v_fma_f64 v[6:7], v[38:39], v[6:7], -v[8:9]
	s_waitcnt vmcnt(6) lgkmcnt(1)
	v_mul_f64 v[152:153], v[2:3], v[12:13]
	v_mul_f64 v[12:13], v[4:5], v[12:13]
	v_add_f64 v[8:9], v[146:147], 0
	v_add_f64 v[38:39], v[150:151], 0
	s_waitcnt vmcnt(5) lgkmcnt(0)
	v_mul_f64 v[146:147], v[34:35], v[16:17]
	v_mul_f64 v[16:17], v[36:37], v[16:17]
	v_fma_f64 v[148:149], v[4:5], v[10:11], v[152:153]
	v_fma_f64 v[10:11], v[2:3], v[10:11], -v[12:13]
	v_add_f64 v[12:13], v[8:9], v[6:7]
	v_add_f64 v[38:39], v[38:39], v[40:41]
	ds_load_b128 v[2:5], v1 offset:992
	ds_load_b128 v[6:9], v1 offset:1008
	v_fma_f64 v[36:37], v[36:37], v[14:15], v[146:147]
	v_fma_f64 v[14:15], v[34:35], v[14:15], -v[16:17]
	s_waitcnt vmcnt(4) lgkmcnt(1)
	v_mul_f64 v[40:41], v[2:3], v[20:21]
	v_mul_f64 v[20:21], v[4:5], v[20:21]
	s_waitcnt vmcnt(3) lgkmcnt(0)
	v_mul_f64 v[16:17], v[6:7], v[24:25]
	v_mul_f64 v[24:25], v[8:9], v[24:25]
	v_add_f64 v[10:11], v[12:13], v[10:11]
	v_add_f64 v[12:13], v[38:39], v[148:149]
	v_fma_f64 v[34:35], v[4:5], v[18:19], v[40:41]
	v_fma_f64 v[18:19], v[2:3], v[18:19], -v[20:21]
	v_fma_f64 v[8:9], v[8:9], v[22:23], v[16:17]
	v_fma_f64 v[6:7], v[6:7], v[22:23], -v[24:25]
	v_add_f64 v[14:15], v[10:11], v[14:15]
	v_add_f64 v[20:21], v[12:13], v[36:37]
	ds_load_b128 v[2:5], v1 offset:1024
	ds_load_b128 v[10:13], v1 offset:1040
	s_waitcnt vmcnt(2) lgkmcnt(1)
	v_mul_f64 v[36:37], v[2:3], v[28:29]
	v_mul_f64 v[28:29], v[4:5], v[28:29]
	v_add_f64 v[14:15], v[14:15], v[18:19]
	v_add_f64 v[16:17], v[20:21], v[34:35]
	s_waitcnt vmcnt(1) lgkmcnt(0)
	v_mul_f64 v[18:19], v[10:11], v[32:33]
	v_mul_f64 v[20:21], v[12:13], v[32:33]
	v_fma_f64 v[4:5], v[4:5], v[26:27], v[36:37]
	v_fma_f64 v[1:2], v[2:3], v[26:27], -v[28:29]
	v_add_f64 v[6:7], v[14:15], v[6:7]
	v_add_f64 v[8:9], v[16:17], v[8:9]
	v_fma_f64 v[12:13], v[12:13], v[30:31], v[18:19]
	v_fma_f64 v[10:11], v[10:11], v[30:31], -v[20:21]
	s_delay_alu instid0(VALU_DEP_4) | instskip(NEXT) | instid1(VALU_DEP_4)
	v_add_f64 v[1:2], v[6:7], v[1:2]
	v_add_f64 v[3:4], v[8:9], v[4:5]
	s_delay_alu instid0(VALU_DEP_2) | instskip(NEXT) | instid1(VALU_DEP_2)
	v_add_f64 v[1:2], v[1:2], v[10:11]
	v_add_f64 v[3:4], v[3:4], v[12:13]
	s_waitcnt vmcnt(0)
	s_delay_alu instid0(VALU_DEP_2) | instskip(NEXT) | instid1(VALU_DEP_2)
	v_add_f64 v[1:2], v[142:143], -v[1:2]
	v_add_f64 v[3:4], v[144:145], -v[3:4]
	scratch_store_b128 off, v[1:4], off offset:384
	v_cmpx_lt_u32_e32 23, v108
	s_cbranch_execz .LBB32_165
; %bb.164:
	scratch_load_b128 v[1:4], v124, off
	v_mov_b32_e32 v5, 0
	s_delay_alu instid0(VALU_DEP_1)
	v_mov_b32_e32 v6, v5
	v_mov_b32_e32 v7, v5
	;; [unrolled: 1-line block ×3, first 2 shown]
	scratch_store_b128 off, v[5:8], off offset:368
	s_waitcnt vmcnt(0)
	ds_store_b128 v141, v[1:4]
.LBB32_165:
	s_or_b32 exec_lo, exec_lo, s2
	s_waitcnt lgkmcnt(0)
	s_waitcnt_vscnt null, 0x0
	s_barrier
	buffer_gl0_inv
	s_clause 0x7
	scratch_load_b128 v[2:5], off, off offset:384
	scratch_load_b128 v[6:9], off, off offset:400
	;; [unrolled: 1-line block ×8, first 2 shown]
	v_mov_b32_e32 v1, 0
	s_mov_b32 s2, exec_lo
	ds_load_b128 v[34:37], v1 offset:912
	s_clause 0x1
	scratch_load_b128 v[38:41], off, off offset:512
	scratch_load_b128 v[142:145], off, off offset:368
	ds_load_b128 v[146:149], v1 offset:928
	s_waitcnt vmcnt(9) lgkmcnt(1)
	v_mul_f64 v[150:151], v[36:37], v[4:5]
	v_mul_f64 v[4:5], v[34:35], v[4:5]
	s_waitcnt vmcnt(8) lgkmcnt(0)
	v_mul_f64 v[152:153], v[146:147], v[8:9]
	v_mul_f64 v[8:9], v[148:149], v[8:9]
	s_delay_alu instid0(VALU_DEP_4) | instskip(NEXT) | instid1(VALU_DEP_4)
	v_fma_f64 v[150:151], v[34:35], v[2:3], -v[150:151]
	v_fma_f64 v[154:155], v[36:37], v[2:3], v[4:5]
	ds_load_b128 v[2:5], v1 offset:944
	ds_load_b128 v[34:37], v1 offset:960
	v_fma_f64 v[148:149], v[148:149], v[6:7], v[152:153]
	v_fma_f64 v[6:7], v[146:147], v[6:7], -v[8:9]
	s_waitcnt vmcnt(7) lgkmcnt(1)
	v_mul_f64 v[156:157], v[2:3], v[12:13]
	v_mul_f64 v[12:13], v[4:5], v[12:13]
	v_add_f64 v[8:9], v[150:151], 0
	v_add_f64 v[146:147], v[154:155], 0
	s_waitcnt vmcnt(6) lgkmcnt(0)
	v_mul_f64 v[150:151], v[34:35], v[16:17]
	v_mul_f64 v[16:17], v[36:37], v[16:17]
	v_fma_f64 v[152:153], v[4:5], v[10:11], v[156:157]
	v_fma_f64 v[10:11], v[2:3], v[10:11], -v[12:13]
	v_add_f64 v[12:13], v[8:9], v[6:7]
	v_add_f64 v[146:147], v[146:147], v[148:149]
	ds_load_b128 v[2:5], v1 offset:976
	ds_load_b128 v[6:9], v1 offset:992
	v_fma_f64 v[36:37], v[36:37], v[14:15], v[150:151]
	v_fma_f64 v[14:15], v[34:35], v[14:15], -v[16:17]
	s_waitcnt vmcnt(5) lgkmcnt(1)
	v_mul_f64 v[148:149], v[2:3], v[20:21]
	v_mul_f64 v[20:21], v[4:5], v[20:21]
	s_waitcnt vmcnt(4) lgkmcnt(0)
	v_mul_f64 v[16:17], v[6:7], v[24:25]
	v_mul_f64 v[24:25], v[8:9], v[24:25]
	v_add_f64 v[10:11], v[12:13], v[10:11]
	v_add_f64 v[12:13], v[146:147], v[152:153]
	v_fma_f64 v[34:35], v[4:5], v[18:19], v[148:149]
	v_fma_f64 v[18:19], v[2:3], v[18:19], -v[20:21]
	v_fma_f64 v[8:9], v[8:9], v[22:23], v[16:17]
	v_fma_f64 v[6:7], v[6:7], v[22:23], -v[24:25]
	v_add_f64 v[14:15], v[10:11], v[14:15]
	v_add_f64 v[20:21], v[12:13], v[36:37]
	ds_load_b128 v[2:5], v1 offset:1008
	ds_load_b128 v[10:13], v1 offset:1024
	s_waitcnt vmcnt(3) lgkmcnt(1)
	v_mul_f64 v[36:37], v[2:3], v[28:29]
	v_mul_f64 v[28:29], v[4:5], v[28:29]
	v_add_f64 v[14:15], v[14:15], v[18:19]
	v_add_f64 v[16:17], v[20:21], v[34:35]
	s_waitcnt vmcnt(2) lgkmcnt(0)
	v_mul_f64 v[18:19], v[10:11], v[32:33]
	v_mul_f64 v[20:21], v[12:13], v[32:33]
	v_fma_f64 v[22:23], v[4:5], v[26:27], v[36:37]
	v_fma_f64 v[24:25], v[2:3], v[26:27], -v[28:29]
	ds_load_b128 v[2:5], v1 offset:1040
	v_add_f64 v[6:7], v[14:15], v[6:7]
	v_add_f64 v[8:9], v[16:17], v[8:9]
	v_fma_f64 v[12:13], v[12:13], v[30:31], v[18:19]
	v_fma_f64 v[10:11], v[10:11], v[30:31], -v[20:21]
	s_waitcnt vmcnt(1) lgkmcnt(0)
	v_mul_f64 v[14:15], v[2:3], v[40:41]
	v_mul_f64 v[16:17], v[4:5], v[40:41]
	v_add_f64 v[6:7], v[6:7], v[24:25]
	v_add_f64 v[8:9], v[8:9], v[22:23]
	s_delay_alu instid0(VALU_DEP_4) | instskip(NEXT) | instid1(VALU_DEP_4)
	v_fma_f64 v[4:5], v[4:5], v[38:39], v[14:15]
	v_fma_f64 v[2:3], v[2:3], v[38:39], -v[16:17]
	s_delay_alu instid0(VALU_DEP_4) | instskip(NEXT) | instid1(VALU_DEP_4)
	v_add_f64 v[6:7], v[6:7], v[10:11]
	v_add_f64 v[8:9], v[8:9], v[12:13]
	s_delay_alu instid0(VALU_DEP_2) | instskip(NEXT) | instid1(VALU_DEP_2)
	v_add_f64 v[2:3], v[6:7], v[2:3]
	v_add_f64 v[4:5], v[8:9], v[4:5]
	s_waitcnt vmcnt(0)
	s_delay_alu instid0(VALU_DEP_2) | instskip(NEXT) | instid1(VALU_DEP_2)
	v_add_f64 v[2:3], v[142:143], -v[2:3]
	v_add_f64 v[4:5], v[144:145], -v[4:5]
	scratch_store_b128 off, v[2:5], off offset:368
	v_cmpx_lt_u32_e32 22, v108
	s_cbranch_execz .LBB32_167
; %bb.166:
	scratch_load_b128 v[5:8], v125, off
	v_mov_b32_e32 v2, v1
	v_mov_b32_e32 v3, v1
	;; [unrolled: 1-line block ×3, first 2 shown]
	scratch_store_b128 off, v[1:4], off offset:352
	s_waitcnt vmcnt(0)
	ds_store_b128 v141, v[5:8]
.LBB32_167:
	s_or_b32 exec_lo, exec_lo, s2
	s_waitcnt lgkmcnt(0)
	s_waitcnt_vscnt null, 0x0
	s_barrier
	buffer_gl0_inv
	s_clause 0x8
	scratch_load_b128 v[2:5], off, off offset:368
	scratch_load_b128 v[6:9], off, off offset:384
	scratch_load_b128 v[10:13], off, off offset:400
	scratch_load_b128 v[14:17], off, off offset:416
	scratch_load_b128 v[18:21], off, off offset:432
	scratch_load_b128 v[22:25], off, off offset:448
	scratch_load_b128 v[26:29], off, off offset:464
	scratch_load_b128 v[30:33], off, off offset:480
	scratch_load_b128 v[34:37], off, off offset:496
	ds_load_b128 v[38:41], v1 offset:896
	ds_load_b128 v[142:145], v1 offset:912
	s_clause 0x1
	scratch_load_b128 v[146:149], off, off offset:352
	scratch_load_b128 v[150:153], off, off offset:512
	s_mov_b32 s2, exec_lo
	s_waitcnt vmcnt(10) lgkmcnt(1)
	v_mul_f64 v[154:155], v[40:41], v[4:5]
	v_mul_f64 v[4:5], v[38:39], v[4:5]
	s_waitcnt vmcnt(9) lgkmcnt(0)
	v_mul_f64 v[156:157], v[142:143], v[8:9]
	v_mul_f64 v[8:9], v[144:145], v[8:9]
	s_delay_alu instid0(VALU_DEP_4) | instskip(NEXT) | instid1(VALU_DEP_4)
	v_fma_f64 v[154:155], v[38:39], v[2:3], -v[154:155]
	v_fma_f64 v[158:159], v[40:41], v[2:3], v[4:5]
	ds_load_b128 v[2:5], v1 offset:928
	ds_load_b128 v[38:41], v1 offset:944
	v_fma_f64 v[144:145], v[144:145], v[6:7], v[156:157]
	v_fma_f64 v[6:7], v[142:143], v[6:7], -v[8:9]
	s_waitcnt vmcnt(8) lgkmcnt(1)
	v_mul_f64 v[160:161], v[2:3], v[12:13]
	v_mul_f64 v[12:13], v[4:5], v[12:13]
	v_add_f64 v[8:9], v[154:155], 0
	v_add_f64 v[142:143], v[158:159], 0
	s_waitcnt vmcnt(7) lgkmcnt(0)
	v_mul_f64 v[154:155], v[38:39], v[16:17]
	v_mul_f64 v[16:17], v[40:41], v[16:17]
	v_fma_f64 v[156:157], v[4:5], v[10:11], v[160:161]
	v_fma_f64 v[10:11], v[2:3], v[10:11], -v[12:13]
	v_add_f64 v[12:13], v[8:9], v[6:7]
	v_add_f64 v[142:143], v[142:143], v[144:145]
	ds_load_b128 v[2:5], v1 offset:960
	ds_load_b128 v[6:9], v1 offset:976
	v_fma_f64 v[40:41], v[40:41], v[14:15], v[154:155]
	v_fma_f64 v[14:15], v[38:39], v[14:15], -v[16:17]
	s_waitcnt vmcnt(6) lgkmcnt(1)
	v_mul_f64 v[144:145], v[2:3], v[20:21]
	v_mul_f64 v[20:21], v[4:5], v[20:21]
	s_waitcnt vmcnt(5) lgkmcnt(0)
	v_mul_f64 v[16:17], v[6:7], v[24:25]
	v_mul_f64 v[24:25], v[8:9], v[24:25]
	v_add_f64 v[10:11], v[12:13], v[10:11]
	v_add_f64 v[12:13], v[142:143], v[156:157]
	v_fma_f64 v[38:39], v[4:5], v[18:19], v[144:145]
	v_fma_f64 v[18:19], v[2:3], v[18:19], -v[20:21]
	v_fma_f64 v[8:9], v[8:9], v[22:23], v[16:17]
	v_fma_f64 v[6:7], v[6:7], v[22:23], -v[24:25]
	v_add_f64 v[14:15], v[10:11], v[14:15]
	v_add_f64 v[20:21], v[12:13], v[40:41]
	ds_load_b128 v[2:5], v1 offset:992
	ds_load_b128 v[10:13], v1 offset:1008
	s_waitcnt vmcnt(4) lgkmcnt(1)
	v_mul_f64 v[40:41], v[2:3], v[28:29]
	v_mul_f64 v[28:29], v[4:5], v[28:29]
	v_add_f64 v[14:15], v[14:15], v[18:19]
	v_add_f64 v[16:17], v[20:21], v[38:39]
	s_waitcnt vmcnt(3) lgkmcnt(0)
	v_mul_f64 v[18:19], v[10:11], v[32:33]
	v_mul_f64 v[20:21], v[12:13], v[32:33]
	v_fma_f64 v[22:23], v[4:5], v[26:27], v[40:41]
	v_fma_f64 v[24:25], v[2:3], v[26:27], -v[28:29]
	v_add_f64 v[14:15], v[14:15], v[6:7]
	v_add_f64 v[16:17], v[16:17], v[8:9]
	ds_load_b128 v[2:5], v1 offset:1024
	ds_load_b128 v[6:9], v1 offset:1040
	v_fma_f64 v[12:13], v[12:13], v[30:31], v[18:19]
	v_fma_f64 v[10:11], v[10:11], v[30:31], -v[20:21]
	s_waitcnt vmcnt(2) lgkmcnt(1)
	v_mul_f64 v[26:27], v[2:3], v[36:37]
	v_mul_f64 v[28:29], v[4:5], v[36:37]
	s_waitcnt vmcnt(0) lgkmcnt(0)
	v_mul_f64 v[18:19], v[6:7], v[152:153]
	v_mul_f64 v[20:21], v[8:9], v[152:153]
	v_add_f64 v[14:15], v[14:15], v[24:25]
	v_add_f64 v[16:17], v[16:17], v[22:23]
	v_fma_f64 v[4:5], v[4:5], v[34:35], v[26:27]
	v_fma_f64 v[1:2], v[2:3], v[34:35], -v[28:29]
	v_fma_f64 v[8:9], v[8:9], v[150:151], v[18:19]
	v_fma_f64 v[6:7], v[6:7], v[150:151], -v[20:21]
	v_add_f64 v[10:11], v[14:15], v[10:11]
	v_add_f64 v[12:13], v[16:17], v[12:13]
	s_delay_alu instid0(VALU_DEP_2) | instskip(NEXT) | instid1(VALU_DEP_2)
	v_add_f64 v[1:2], v[10:11], v[1:2]
	v_add_f64 v[3:4], v[12:13], v[4:5]
	s_delay_alu instid0(VALU_DEP_2) | instskip(NEXT) | instid1(VALU_DEP_2)
	;; [unrolled: 3-line block ×3, first 2 shown]
	v_add_f64 v[1:2], v[146:147], -v[1:2]
	v_add_f64 v[3:4], v[148:149], -v[3:4]
	scratch_store_b128 off, v[1:4], off offset:352
	v_cmpx_lt_u32_e32 21, v108
	s_cbranch_execz .LBB32_169
; %bb.168:
	scratch_load_b128 v[1:4], v126, off
	v_mov_b32_e32 v5, 0
	s_delay_alu instid0(VALU_DEP_1)
	v_mov_b32_e32 v6, v5
	v_mov_b32_e32 v7, v5
	;; [unrolled: 1-line block ×3, first 2 shown]
	scratch_store_b128 off, v[5:8], off offset:336
	s_waitcnt vmcnt(0)
	ds_store_b128 v141, v[1:4]
.LBB32_169:
	s_or_b32 exec_lo, exec_lo, s2
	s_waitcnt lgkmcnt(0)
	s_waitcnt_vscnt null, 0x0
	s_barrier
	buffer_gl0_inv
	s_clause 0x7
	scratch_load_b128 v[2:5], off, off offset:352
	scratch_load_b128 v[6:9], off, off offset:368
	;; [unrolled: 1-line block ×8, first 2 shown]
	v_mov_b32_e32 v1, 0
	s_mov_b32 s2, exec_lo
	ds_load_b128 v[34:37], v1 offset:880
	s_clause 0x1
	scratch_load_b128 v[38:41], off, off offset:480
	scratch_load_b128 v[142:145], off, off offset:336
	ds_load_b128 v[146:149], v1 offset:896
	scratch_load_b128 v[150:153], off, off offset:496
	s_waitcnt vmcnt(10) lgkmcnt(1)
	v_mul_f64 v[154:155], v[36:37], v[4:5]
	v_mul_f64 v[4:5], v[34:35], v[4:5]
	s_delay_alu instid0(VALU_DEP_2) | instskip(NEXT) | instid1(VALU_DEP_2)
	v_fma_f64 v[160:161], v[34:35], v[2:3], -v[154:155]
	v_fma_f64 v[162:163], v[36:37], v[2:3], v[4:5]
	scratch_load_b128 v[34:37], off, off offset:512
	ds_load_b128 v[2:5], v1 offset:912
	s_waitcnt vmcnt(10) lgkmcnt(1)
	v_mul_f64 v[158:159], v[146:147], v[8:9]
	v_mul_f64 v[8:9], v[148:149], v[8:9]
	ds_load_b128 v[154:157], v1 offset:928
	s_waitcnt vmcnt(9) lgkmcnt(1)
	v_mul_f64 v[164:165], v[2:3], v[12:13]
	v_mul_f64 v[12:13], v[4:5], v[12:13]
	v_fma_f64 v[148:149], v[148:149], v[6:7], v[158:159]
	v_fma_f64 v[6:7], v[146:147], v[6:7], -v[8:9]
	v_add_f64 v[8:9], v[160:161], 0
	v_add_f64 v[146:147], v[162:163], 0
	s_waitcnt vmcnt(8) lgkmcnt(0)
	v_mul_f64 v[158:159], v[154:155], v[16:17]
	v_mul_f64 v[16:17], v[156:157], v[16:17]
	v_fma_f64 v[160:161], v[4:5], v[10:11], v[164:165]
	v_fma_f64 v[10:11], v[2:3], v[10:11], -v[12:13]
	v_add_f64 v[12:13], v[8:9], v[6:7]
	v_add_f64 v[146:147], v[146:147], v[148:149]
	ds_load_b128 v[2:5], v1 offset:944
	ds_load_b128 v[6:9], v1 offset:960
	v_fma_f64 v[156:157], v[156:157], v[14:15], v[158:159]
	v_fma_f64 v[14:15], v[154:155], v[14:15], -v[16:17]
	s_waitcnt vmcnt(7) lgkmcnt(1)
	v_mul_f64 v[148:149], v[2:3], v[20:21]
	v_mul_f64 v[20:21], v[4:5], v[20:21]
	s_waitcnt vmcnt(6) lgkmcnt(0)
	v_mul_f64 v[16:17], v[6:7], v[24:25]
	v_mul_f64 v[24:25], v[8:9], v[24:25]
	v_add_f64 v[10:11], v[12:13], v[10:11]
	v_add_f64 v[12:13], v[146:147], v[160:161]
	v_fma_f64 v[146:147], v[4:5], v[18:19], v[148:149]
	v_fma_f64 v[18:19], v[2:3], v[18:19], -v[20:21]
	v_fma_f64 v[8:9], v[8:9], v[22:23], v[16:17]
	v_fma_f64 v[6:7], v[6:7], v[22:23], -v[24:25]
	v_add_f64 v[14:15], v[10:11], v[14:15]
	v_add_f64 v[20:21], v[12:13], v[156:157]
	ds_load_b128 v[2:5], v1 offset:976
	ds_load_b128 v[10:13], v1 offset:992
	s_waitcnt vmcnt(5) lgkmcnt(1)
	v_mul_f64 v[148:149], v[2:3], v[28:29]
	v_mul_f64 v[28:29], v[4:5], v[28:29]
	v_add_f64 v[14:15], v[14:15], v[18:19]
	v_add_f64 v[16:17], v[20:21], v[146:147]
	s_waitcnt vmcnt(4) lgkmcnt(0)
	v_mul_f64 v[18:19], v[10:11], v[32:33]
	v_mul_f64 v[20:21], v[12:13], v[32:33]
	v_fma_f64 v[22:23], v[4:5], v[26:27], v[148:149]
	v_fma_f64 v[24:25], v[2:3], v[26:27], -v[28:29]
	v_add_f64 v[14:15], v[14:15], v[6:7]
	v_add_f64 v[16:17], v[16:17], v[8:9]
	ds_load_b128 v[2:5], v1 offset:1008
	ds_load_b128 v[6:9], v1 offset:1024
	v_fma_f64 v[12:13], v[12:13], v[30:31], v[18:19]
	v_fma_f64 v[10:11], v[10:11], v[30:31], -v[20:21]
	s_waitcnt vmcnt(3) lgkmcnt(1)
	v_mul_f64 v[26:27], v[2:3], v[40:41]
	v_mul_f64 v[28:29], v[4:5], v[40:41]
	s_waitcnt vmcnt(1) lgkmcnt(0)
	v_mul_f64 v[18:19], v[6:7], v[152:153]
	v_mul_f64 v[20:21], v[8:9], v[152:153]
	v_add_f64 v[14:15], v[14:15], v[24:25]
	v_add_f64 v[16:17], v[16:17], v[22:23]
	v_fma_f64 v[22:23], v[4:5], v[38:39], v[26:27]
	v_fma_f64 v[24:25], v[2:3], v[38:39], -v[28:29]
	ds_load_b128 v[2:5], v1 offset:1040
	v_fma_f64 v[8:9], v[8:9], v[150:151], v[18:19]
	v_fma_f64 v[6:7], v[6:7], v[150:151], -v[20:21]
	v_add_f64 v[10:11], v[14:15], v[10:11]
	v_add_f64 v[12:13], v[16:17], v[12:13]
	s_waitcnt vmcnt(0) lgkmcnt(0)
	v_mul_f64 v[14:15], v[2:3], v[36:37]
	v_mul_f64 v[16:17], v[4:5], v[36:37]
	s_delay_alu instid0(VALU_DEP_4) | instskip(NEXT) | instid1(VALU_DEP_4)
	v_add_f64 v[10:11], v[10:11], v[24:25]
	v_add_f64 v[12:13], v[12:13], v[22:23]
	s_delay_alu instid0(VALU_DEP_4) | instskip(NEXT) | instid1(VALU_DEP_4)
	v_fma_f64 v[4:5], v[4:5], v[34:35], v[14:15]
	v_fma_f64 v[2:3], v[2:3], v[34:35], -v[16:17]
	s_delay_alu instid0(VALU_DEP_4) | instskip(NEXT) | instid1(VALU_DEP_4)
	v_add_f64 v[6:7], v[10:11], v[6:7]
	v_add_f64 v[8:9], v[12:13], v[8:9]
	s_delay_alu instid0(VALU_DEP_2) | instskip(NEXT) | instid1(VALU_DEP_2)
	v_add_f64 v[2:3], v[6:7], v[2:3]
	v_add_f64 v[4:5], v[8:9], v[4:5]
	s_delay_alu instid0(VALU_DEP_2) | instskip(NEXT) | instid1(VALU_DEP_2)
	v_add_f64 v[2:3], v[142:143], -v[2:3]
	v_add_f64 v[4:5], v[144:145], -v[4:5]
	scratch_store_b128 off, v[2:5], off offset:336
	v_cmpx_lt_u32_e32 20, v108
	s_cbranch_execz .LBB32_171
; %bb.170:
	scratch_load_b128 v[5:8], v116, off
	v_mov_b32_e32 v2, v1
	v_mov_b32_e32 v3, v1
	;; [unrolled: 1-line block ×3, first 2 shown]
	scratch_store_b128 off, v[1:4], off offset:320
	s_waitcnt vmcnt(0)
	ds_store_b128 v141, v[5:8]
.LBB32_171:
	s_or_b32 exec_lo, exec_lo, s2
	s_waitcnt lgkmcnt(0)
	s_waitcnt_vscnt null, 0x0
	s_barrier
	buffer_gl0_inv
	s_clause 0x8
	scratch_load_b128 v[2:5], off, off offset:336
	scratch_load_b128 v[6:9], off, off offset:352
	;; [unrolled: 1-line block ×9, first 2 shown]
	ds_load_b128 v[38:41], v1 offset:864
	ds_load_b128 v[142:145], v1 offset:880
	s_clause 0x1
	scratch_load_b128 v[146:149], off, off offset:320
	scratch_load_b128 v[150:153], off, off offset:480
	s_mov_b32 s2, exec_lo
	s_waitcnt vmcnt(10) lgkmcnt(1)
	v_mul_f64 v[154:155], v[40:41], v[4:5]
	v_mul_f64 v[4:5], v[38:39], v[4:5]
	s_waitcnt vmcnt(9) lgkmcnt(0)
	v_mul_f64 v[158:159], v[142:143], v[8:9]
	v_mul_f64 v[8:9], v[144:145], v[8:9]
	s_delay_alu instid0(VALU_DEP_4) | instskip(NEXT) | instid1(VALU_DEP_4)
	v_fma_f64 v[160:161], v[38:39], v[2:3], -v[154:155]
	v_fma_f64 v[162:163], v[40:41], v[2:3], v[4:5]
	ds_load_b128 v[2:5], v1 offset:896
	ds_load_b128 v[154:157], v1 offset:912
	scratch_load_b128 v[38:41], off, off offset:496
	v_fma_f64 v[144:145], v[144:145], v[6:7], v[158:159]
	v_fma_f64 v[142:143], v[142:143], v[6:7], -v[8:9]
	scratch_load_b128 v[6:9], off, off offset:512
	s_waitcnt vmcnt(10) lgkmcnt(1)
	v_mul_f64 v[164:165], v[2:3], v[12:13]
	v_mul_f64 v[12:13], v[4:5], v[12:13]
	v_add_f64 v[158:159], v[160:161], 0
	v_add_f64 v[160:161], v[162:163], 0
	s_waitcnt vmcnt(9) lgkmcnt(0)
	v_mul_f64 v[162:163], v[154:155], v[16:17]
	v_mul_f64 v[16:17], v[156:157], v[16:17]
	v_fma_f64 v[164:165], v[4:5], v[10:11], v[164:165]
	v_fma_f64 v[166:167], v[2:3], v[10:11], -v[12:13]
	ds_load_b128 v[2:5], v1 offset:928
	ds_load_b128 v[10:13], v1 offset:944
	v_add_f64 v[142:143], v[158:159], v[142:143]
	v_add_f64 v[144:145], v[160:161], v[144:145]
	v_fma_f64 v[156:157], v[156:157], v[14:15], v[162:163]
	v_fma_f64 v[14:15], v[154:155], v[14:15], -v[16:17]
	s_waitcnt vmcnt(8) lgkmcnt(1)
	v_mul_f64 v[158:159], v[2:3], v[20:21]
	v_mul_f64 v[20:21], v[4:5], v[20:21]
	v_add_f64 v[16:17], v[142:143], v[166:167]
	v_add_f64 v[142:143], v[144:145], v[164:165]
	s_waitcnt vmcnt(7) lgkmcnt(0)
	v_mul_f64 v[144:145], v[10:11], v[24:25]
	v_mul_f64 v[24:25], v[12:13], v[24:25]
	v_fma_f64 v[154:155], v[4:5], v[18:19], v[158:159]
	v_fma_f64 v[18:19], v[2:3], v[18:19], -v[20:21]
	v_add_f64 v[20:21], v[16:17], v[14:15]
	v_add_f64 v[142:143], v[142:143], v[156:157]
	ds_load_b128 v[2:5], v1 offset:960
	ds_load_b128 v[14:17], v1 offset:976
	v_fma_f64 v[12:13], v[12:13], v[22:23], v[144:145]
	v_fma_f64 v[10:11], v[10:11], v[22:23], -v[24:25]
	s_waitcnt vmcnt(6) lgkmcnt(1)
	v_mul_f64 v[156:157], v[2:3], v[28:29]
	v_mul_f64 v[28:29], v[4:5], v[28:29]
	s_waitcnt vmcnt(5) lgkmcnt(0)
	v_mul_f64 v[22:23], v[14:15], v[32:33]
	v_mul_f64 v[24:25], v[16:17], v[32:33]
	v_add_f64 v[18:19], v[20:21], v[18:19]
	v_add_f64 v[20:21], v[142:143], v[154:155]
	v_fma_f64 v[32:33], v[4:5], v[26:27], v[156:157]
	v_fma_f64 v[26:27], v[2:3], v[26:27], -v[28:29]
	v_fma_f64 v[16:17], v[16:17], v[30:31], v[22:23]
	v_fma_f64 v[14:15], v[14:15], v[30:31], -v[24:25]
	v_add_f64 v[18:19], v[18:19], v[10:11]
	v_add_f64 v[20:21], v[20:21], v[12:13]
	ds_load_b128 v[2:5], v1 offset:992
	ds_load_b128 v[10:13], v1 offset:1008
	s_waitcnt vmcnt(4) lgkmcnt(1)
	v_mul_f64 v[28:29], v[2:3], v[36:37]
	v_mul_f64 v[36:37], v[4:5], v[36:37]
	s_waitcnt vmcnt(2) lgkmcnt(0)
	v_mul_f64 v[22:23], v[10:11], v[152:153]
	v_mul_f64 v[24:25], v[12:13], v[152:153]
	v_add_f64 v[18:19], v[18:19], v[26:27]
	v_add_f64 v[20:21], v[20:21], v[32:33]
	v_fma_f64 v[26:27], v[4:5], v[34:35], v[28:29]
	v_fma_f64 v[28:29], v[2:3], v[34:35], -v[36:37]
	v_fma_f64 v[12:13], v[12:13], v[150:151], v[22:23]
	v_fma_f64 v[10:11], v[10:11], v[150:151], -v[24:25]
	v_add_f64 v[18:19], v[18:19], v[14:15]
	v_add_f64 v[20:21], v[20:21], v[16:17]
	ds_load_b128 v[2:5], v1 offset:1024
	ds_load_b128 v[14:17], v1 offset:1040
	s_waitcnt vmcnt(1) lgkmcnt(1)
	v_mul_f64 v[30:31], v[2:3], v[40:41]
	v_mul_f64 v[32:33], v[4:5], v[40:41]
	s_waitcnt vmcnt(0) lgkmcnt(0)
	v_mul_f64 v[22:23], v[14:15], v[8:9]
	v_mul_f64 v[8:9], v[16:17], v[8:9]
	v_add_f64 v[18:19], v[18:19], v[28:29]
	v_add_f64 v[20:21], v[20:21], v[26:27]
	v_fma_f64 v[4:5], v[4:5], v[38:39], v[30:31]
	v_fma_f64 v[1:2], v[2:3], v[38:39], -v[32:33]
	v_fma_f64 v[16:17], v[16:17], v[6:7], v[22:23]
	v_fma_f64 v[6:7], v[14:15], v[6:7], -v[8:9]
	v_add_f64 v[10:11], v[18:19], v[10:11]
	v_add_f64 v[12:13], v[20:21], v[12:13]
	s_delay_alu instid0(VALU_DEP_2) | instskip(NEXT) | instid1(VALU_DEP_2)
	v_add_f64 v[1:2], v[10:11], v[1:2]
	v_add_f64 v[3:4], v[12:13], v[4:5]
	s_delay_alu instid0(VALU_DEP_2) | instskip(NEXT) | instid1(VALU_DEP_2)
	;; [unrolled: 3-line block ×3, first 2 shown]
	v_add_f64 v[1:2], v[146:147], -v[1:2]
	v_add_f64 v[3:4], v[148:149], -v[3:4]
	scratch_store_b128 off, v[1:4], off offset:320
	v_cmpx_lt_u32_e32 19, v108
	s_cbranch_execz .LBB32_173
; %bb.172:
	scratch_load_b128 v[1:4], v117, off
	v_mov_b32_e32 v5, 0
	s_delay_alu instid0(VALU_DEP_1)
	v_mov_b32_e32 v6, v5
	v_mov_b32_e32 v7, v5
	;; [unrolled: 1-line block ×3, first 2 shown]
	scratch_store_b128 off, v[5:8], off offset:304
	s_waitcnt vmcnt(0)
	ds_store_b128 v141, v[1:4]
.LBB32_173:
	s_or_b32 exec_lo, exec_lo, s2
	s_waitcnt lgkmcnt(0)
	s_waitcnt_vscnt null, 0x0
	s_barrier
	buffer_gl0_inv
	s_clause 0x7
	scratch_load_b128 v[2:5], off, off offset:320
	scratch_load_b128 v[6:9], off, off offset:336
	scratch_load_b128 v[10:13], off, off offset:352
	scratch_load_b128 v[14:17], off, off offset:368
	scratch_load_b128 v[18:21], off, off offset:384
	scratch_load_b128 v[22:25], off, off offset:400
	scratch_load_b128 v[26:29], off, off offset:416
	scratch_load_b128 v[30:33], off, off offset:432
	v_mov_b32_e32 v1, 0
	s_clause 0x1
	scratch_load_b128 v[38:41], off, off offset:448
	scratch_load_b128 v[146:149], off, off offset:464
	s_mov_b32 s2, exec_lo
	ds_load_b128 v[34:37], v1 offset:848
	ds_load_b128 v[142:145], v1 offset:864
	s_waitcnt vmcnt(9) lgkmcnt(1)
	v_mul_f64 v[150:151], v[36:37], v[4:5]
	v_mul_f64 v[4:5], v[34:35], v[4:5]
	s_waitcnt vmcnt(8) lgkmcnt(0)
	v_mul_f64 v[152:153], v[142:143], v[8:9]
	v_mul_f64 v[8:9], v[144:145], v[8:9]
	s_delay_alu instid0(VALU_DEP_4) | instskip(NEXT) | instid1(VALU_DEP_4)
	v_fma_f64 v[150:151], v[34:35], v[2:3], -v[150:151]
	v_fma_f64 v[154:155], v[36:37], v[2:3], v[4:5]
	ds_load_b128 v[2:5], v1 offset:880
	scratch_load_b128 v[34:37], off, off offset:480
	v_fma_f64 v[152:153], v[144:145], v[6:7], v[152:153]
	v_fma_f64 v[158:159], v[142:143], v[6:7], -v[8:9]
	ds_load_b128 v[6:9], v1 offset:896
	scratch_load_b128 v[142:145], off, off offset:496
	s_waitcnt vmcnt(9) lgkmcnt(1)
	v_mul_f64 v[156:157], v[2:3], v[12:13]
	v_mul_f64 v[12:13], v[4:5], v[12:13]
	s_waitcnt vmcnt(8) lgkmcnt(0)
	v_mul_f64 v[160:161], v[6:7], v[16:17]
	v_mul_f64 v[16:17], v[8:9], v[16:17]
	v_add_f64 v[150:151], v[150:151], 0
	v_add_f64 v[154:155], v[154:155], 0
	v_fma_f64 v[156:157], v[4:5], v[10:11], v[156:157]
	v_fma_f64 v[162:163], v[2:3], v[10:11], -v[12:13]
	scratch_load_b128 v[10:13], off, off offset:512
	ds_load_b128 v[2:5], v1 offset:912
	v_add_f64 v[150:151], v[150:151], v[158:159]
	v_add_f64 v[152:153], v[154:155], v[152:153]
	v_fma_f64 v[158:159], v[8:9], v[14:15], v[160:161]
	v_fma_f64 v[14:15], v[6:7], v[14:15], -v[16:17]
	ds_load_b128 v[6:9], v1 offset:928
	s_waitcnt vmcnt(8) lgkmcnt(1)
	v_mul_f64 v[154:155], v[2:3], v[20:21]
	v_mul_f64 v[20:21], v[4:5], v[20:21]
	v_add_f64 v[16:17], v[150:151], v[162:163]
	v_add_f64 v[150:151], v[152:153], v[156:157]
	s_waitcnt vmcnt(7) lgkmcnt(0)
	v_mul_f64 v[152:153], v[6:7], v[24:25]
	v_mul_f64 v[24:25], v[8:9], v[24:25]
	v_fma_f64 v[154:155], v[4:5], v[18:19], v[154:155]
	v_fma_f64 v[18:19], v[2:3], v[18:19], -v[20:21]
	ds_load_b128 v[2:5], v1 offset:944
	v_add_f64 v[14:15], v[16:17], v[14:15]
	v_add_f64 v[16:17], v[150:151], v[158:159]
	v_fma_f64 v[150:151], v[8:9], v[22:23], v[152:153]
	v_fma_f64 v[22:23], v[6:7], v[22:23], -v[24:25]
	ds_load_b128 v[6:9], v1 offset:960
	s_waitcnt vmcnt(6) lgkmcnt(1)
	v_mul_f64 v[20:21], v[2:3], v[28:29]
	v_mul_f64 v[28:29], v[4:5], v[28:29]
	s_waitcnt vmcnt(5) lgkmcnt(0)
	v_mul_f64 v[152:153], v[6:7], v[32:33]
	v_mul_f64 v[32:33], v[8:9], v[32:33]
	v_add_f64 v[18:19], v[14:15], v[18:19]
	v_add_f64 v[24:25], v[16:17], v[154:155]
	scratch_load_b128 v[14:17], off, off offset:304
	v_fma_f64 v[20:21], v[4:5], v[26:27], v[20:21]
	v_fma_f64 v[26:27], v[2:3], v[26:27], -v[28:29]
	ds_load_b128 v[2:5], v1 offset:976
	s_waitcnt vmcnt(5) lgkmcnt(0)
	v_mul_f64 v[28:29], v[4:5], v[40:41]
	v_add_f64 v[18:19], v[18:19], v[22:23]
	v_add_f64 v[22:23], v[24:25], v[150:151]
	v_mul_f64 v[24:25], v[2:3], v[40:41]
	v_fma_f64 v[40:41], v[8:9], v[30:31], v[152:153]
	v_fma_f64 v[30:31], v[6:7], v[30:31], -v[32:33]
	ds_load_b128 v[6:9], v1 offset:992
	v_fma_f64 v[28:29], v[2:3], v[38:39], -v[28:29]
	v_add_f64 v[18:19], v[18:19], v[26:27]
	v_add_f64 v[20:21], v[22:23], v[20:21]
	v_fma_f64 v[24:25], v[4:5], v[38:39], v[24:25]
	ds_load_b128 v[2:5], v1 offset:1008
	s_waitcnt vmcnt(4) lgkmcnt(1)
	v_mul_f64 v[22:23], v[6:7], v[148:149]
	v_mul_f64 v[26:27], v[8:9], v[148:149]
	v_add_f64 v[18:19], v[18:19], v[30:31]
	v_add_f64 v[20:21], v[20:21], v[40:41]
	s_delay_alu instid0(VALU_DEP_4) | instskip(NEXT) | instid1(VALU_DEP_4)
	v_fma_f64 v[22:23], v[8:9], v[146:147], v[22:23]
	v_fma_f64 v[26:27], v[6:7], v[146:147], -v[26:27]
	ds_load_b128 v[6:9], v1 offset:1024
	s_waitcnt vmcnt(3) lgkmcnt(1)
	v_mul_f64 v[30:31], v[2:3], v[36:37]
	v_mul_f64 v[32:33], v[4:5], v[36:37]
	v_add_f64 v[18:19], v[18:19], v[28:29]
	v_add_f64 v[20:21], v[20:21], v[24:25]
	s_delay_alu instid0(VALU_DEP_4) | instskip(NEXT) | instid1(VALU_DEP_4)
	v_fma_f64 v[30:31], v[4:5], v[34:35], v[30:31]
	v_fma_f64 v[32:33], v[2:3], v[34:35], -v[32:33]
	ds_load_b128 v[2:5], v1 offset:1040
	s_waitcnt vmcnt(2) lgkmcnt(1)
	v_mul_f64 v[24:25], v[6:7], v[144:145]
	v_mul_f64 v[28:29], v[8:9], v[144:145]
	v_add_f64 v[18:19], v[18:19], v[26:27]
	v_add_f64 v[20:21], v[20:21], v[22:23]
	s_waitcnt vmcnt(1) lgkmcnt(0)
	v_mul_f64 v[22:23], v[2:3], v[12:13]
	v_mul_f64 v[12:13], v[4:5], v[12:13]
	v_fma_f64 v[8:9], v[8:9], v[142:143], v[24:25]
	v_fma_f64 v[6:7], v[6:7], v[142:143], -v[28:29]
	v_add_f64 v[18:19], v[18:19], v[32:33]
	v_add_f64 v[20:21], v[20:21], v[30:31]
	v_fma_f64 v[4:5], v[4:5], v[10:11], v[22:23]
	v_fma_f64 v[2:3], v[2:3], v[10:11], -v[12:13]
	s_delay_alu instid0(VALU_DEP_4) | instskip(NEXT) | instid1(VALU_DEP_4)
	v_add_f64 v[6:7], v[18:19], v[6:7]
	v_add_f64 v[8:9], v[20:21], v[8:9]
	s_delay_alu instid0(VALU_DEP_2) | instskip(NEXT) | instid1(VALU_DEP_2)
	v_add_f64 v[2:3], v[6:7], v[2:3]
	v_add_f64 v[4:5], v[8:9], v[4:5]
	s_waitcnt vmcnt(0)
	s_delay_alu instid0(VALU_DEP_2) | instskip(NEXT) | instid1(VALU_DEP_2)
	v_add_f64 v[2:3], v[14:15], -v[2:3]
	v_add_f64 v[4:5], v[16:17], -v[4:5]
	scratch_store_b128 off, v[2:5], off offset:304
	v_cmpx_lt_u32_e32 18, v108
	s_cbranch_execz .LBB32_175
; %bb.174:
	scratch_load_b128 v[5:8], v127, off
	v_mov_b32_e32 v2, v1
	v_mov_b32_e32 v3, v1
	;; [unrolled: 1-line block ×3, first 2 shown]
	scratch_store_b128 off, v[1:4], off offset:288
	s_waitcnt vmcnt(0)
	ds_store_b128 v141, v[5:8]
.LBB32_175:
	s_or_b32 exec_lo, exec_lo, s2
	s_waitcnt lgkmcnt(0)
	s_waitcnt_vscnt null, 0x0
	s_barrier
	buffer_gl0_inv
	s_clause 0x7
	scratch_load_b128 v[2:5], off, off offset:304
	scratch_load_b128 v[6:9], off, off offset:320
	;; [unrolled: 1-line block ×8, first 2 shown]
	ds_load_b128 v[34:37], v1 offset:832
	ds_load_b128 v[142:145], v1 offset:848
	s_clause 0x1
	scratch_load_b128 v[38:41], off, off offset:432
	scratch_load_b128 v[146:149], off, off offset:448
	s_mov_b32 s2, exec_lo
	s_waitcnt vmcnt(9) lgkmcnt(1)
	v_mul_f64 v[150:151], v[36:37], v[4:5]
	v_mul_f64 v[4:5], v[34:35], v[4:5]
	s_waitcnt vmcnt(8) lgkmcnt(0)
	v_mul_f64 v[152:153], v[142:143], v[8:9]
	v_mul_f64 v[8:9], v[144:145], v[8:9]
	s_delay_alu instid0(VALU_DEP_4) | instskip(NEXT) | instid1(VALU_DEP_4)
	v_fma_f64 v[150:151], v[34:35], v[2:3], -v[150:151]
	v_fma_f64 v[154:155], v[36:37], v[2:3], v[4:5]
	scratch_load_b128 v[34:37], off, off offset:464
	ds_load_b128 v[2:5], v1 offset:864
	v_fma_f64 v[152:153], v[144:145], v[6:7], v[152:153]
	v_fma_f64 v[158:159], v[142:143], v[6:7], -v[8:9]
	ds_load_b128 v[6:9], v1 offset:880
	scratch_load_b128 v[142:145], off, off offset:480
	s_waitcnt vmcnt(9) lgkmcnt(1)
	v_mul_f64 v[156:157], v[2:3], v[12:13]
	v_mul_f64 v[12:13], v[4:5], v[12:13]
	s_waitcnt vmcnt(8) lgkmcnt(0)
	v_mul_f64 v[160:161], v[6:7], v[16:17]
	v_mul_f64 v[16:17], v[8:9], v[16:17]
	v_add_f64 v[150:151], v[150:151], 0
	v_add_f64 v[154:155], v[154:155], 0
	v_fma_f64 v[156:157], v[4:5], v[10:11], v[156:157]
	v_fma_f64 v[162:163], v[2:3], v[10:11], -v[12:13]
	scratch_load_b128 v[10:13], off, off offset:496
	ds_load_b128 v[2:5], v1 offset:896
	v_add_f64 v[150:151], v[150:151], v[158:159]
	v_add_f64 v[152:153], v[154:155], v[152:153]
	v_fma_f64 v[158:159], v[8:9], v[14:15], v[160:161]
	v_fma_f64 v[160:161], v[6:7], v[14:15], -v[16:17]
	ds_load_b128 v[6:9], v1 offset:912
	scratch_load_b128 v[14:17], off, off offset:512
	s_waitcnt vmcnt(9) lgkmcnt(1)
	v_mul_f64 v[154:155], v[2:3], v[20:21]
	v_mul_f64 v[20:21], v[4:5], v[20:21]
	v_add_f64 v[150:151], v[150:151], v[162:163]
	v_add_f64 v[152:153], v[152:153], v[156:157]
	s_waitcnt vmcnt(8) lgkmcnt(0)
	v_mul_f64 v[156:157], v[6:7], v[24:25]
	v_mul_f64 v[24:25], v[8:9], v[24:25]
	v_fma_f64 v[154:155], v[4:5], v[18:19], v[154:155]
	v_fma_f64 v[18:19], v[2:3], v[18:19], -v[20:21]
	ds_load_b128 v[2:5], v1 offset:928
	v_add_f64 v[20:21], v[150:151], v[160:161]
	v_add_f64 v[150:151], v[152:153], v[158:159]
	v_fma_f64 v[156:157], v[8:9], v[22:23], v[156:157]
	v_fma_f64 v[22:23], v[6:7], v[22:23], -v[24:25]
	ds_load_b128 v[6:9], v1 offset:944
	s_waitcnt vmcnt(7) lgkmcnt(1)
	v_mul_f64 v[152:153], v[2:3], v[28:29]
	v_mul_f64 v[28:29], v[4:5], v[28:29]
	s_waitcnt vmcnt(6) lgkmcnt(0)
	v_mul_f64 v[24:25], v[6:7], v[32:33]
	v_mul_f64 v[32:33], v[8:9], v[32:33]
	v_add_f64 v[18:19], v[20:21], v[18:19]
	v_add_f64 v[20:21], v[150:151], v[154:155]
	v_fma_f64 v[150:151], v[4:5], v[26:27], v[152:153]
	v_fma_f64 v[26:27], v[2:3], v[26:27], -v[28:29]
	ds_load_b128 v[2:5], v1 offset:960
	v_fma_f64 v[24:25], v[8:9], v[30:31], v[24:25]
	v_fma_f64 v[30:31], v[6:7], v[30:31], -v[32:33]
	ds_load_b128 v[6:9], v1 offset:976
	v_add_f64 v[22:23], v[18:19], v[22:23]
	v_add_f64 v[28:29], v[20:21], v[156:157]
	scratch_load_b128 v[18:21], off, off offset:288
	s_waitcnt vmcnt(6) lgkmcnt(1)
	v_mul_f64 v[152:153], v[2:3], v[40:41]
	v_mul_f64 v[40:41], v[4:5], v[40:41]
	s_waitcnt vmcnt(5) lgkmcnt(0)
	v_mul_f64 v[32:33], v[8:9], v[148:149]
	v_add_f64 v[22:23], v[22:23], v[26:27]
	v_add_f64 v[26:27], v[28:29], v[150:151]
	v_mul_f64 v[28:29], v[6:7], v[148:149]
	v_fma_f64 v[148:149], v[4:5], v[38:39], v[152:153]
	v_fma_f64 v[38:39], v[2:3], v[38:39], -v[40:41]
	ds_load_b128 v[2:5], v1 offset:992
	v_fma_f64 v[32:33], v[6:7], v[146:147], -v[32:33]
	v_add_f64 v[22:23], v[22:23], v[30:31]
	v_add_f64 v[24:25], v[26:27], v[24:25]
	v_fma_f64 v[28:29], v[8:9], v[146:147], v[28:29]
	ds_load_b128 v[6:9], v1 offset:1008
	s_waitcnt vmcnt(4) lgkmcnt(1)
	v_mul_f64 v[26:27], v[2:3], v[36:37]
	v_mul_f64 v[30:31], v[4:5], v[36:37]
	s_waitcnt vmcnt(3) lgkmcnt(0)
	v_mul_f64 v[36:37], v[6:7], v[144:145]
	v_add_f64 v[22:23], v[22:23], v[38:39]
	v_add_f64 v[24:25], v[24:25], v[148:149]
	v_mul_f64 v[38:39], v[8:9], v[144:145]
	v_fma_f64 v[26:27], v[4:5], v[34:35], v[26:27]
	v_fma_f64 v[30:31], v[2:3], v[34:35], -v[30:31]
	ds_load_b128 v[2:5], v1 offset:1024
	v_add_f64 v[22:23], v[22:23], v[32:33]
	v_add_f64 v[24:25], v[24:25], v[28:29]
	v_fma_f64 v[32:33], v[8:9], v[142:143], v[36:37]
	v_fma_f64 v[34:35], v[6:7], v[142:143], -v[38:39]
	ds_load_b128 v[6:9], v1 offset:1040
	s_waitcnt vmcnt(2) lgkmcnt(1)
	v_mul_f64 v[28:29], v[2:3], v[12:13]
	v_mul_f64 v[12:13], v[4:5], v[12:13]
	v_add_f64 v[22:23], v[22:23], v[30:31]
	v_add_f64 v[24:25], v[24:25], v[26:27]
	s_waitcnt vmcnt(1) lgkmcnt(0)
	v_mul_f64 v[26:27], v[6:7], v[16:17]
	v_mul_f64 v[16:17], v[8:9], v[16:17]
	v_fma_f64 v[4:5], v[4:5], v[10:11], v[28:29]
	v_fma_f64 v[1:2], v[2:3], v[10:11], -v[12:13]
	v_add_f64 v[10:11], v[22:23], v[34:35]
	v_add_f64 v[12:13], v[24:25], v[32:33]
	v_fma_f64 v[8:9], v[8:9], v[14:15], v[26:27]
	v_fma_f64 v[6:7], v[6:7], v[14:15], -v[16:17]
	s_delay_alu instid0(VALU_DEP_4) | instskip(NEXT) | instid1(VALU_DEP_4)
	v_add_f64 v[1:2], v[10:11], v[1:2]
	v_add_f64 v[3:4], v[12:13], v[4:5]
	s_delay_alu instid0(VALU_DEP_2) | instskip(NEXT) | instid1(VALU_DEP_2)
	v_add_f64 v[1:2], v[1:2], v[6:7]
	v_add_f64 v[3:4], v[3:4], v[8:9]
	s_waitcnt vmcnt(0)
	s_delay_alu instid0(VALU_DEP_2) | instskip(NEXT) | instid1(VALU_DEP_2)
	v_add_f64 v[1:2], v[18:19], -v[1:2]
	v_add_f64 v[3:4], v[20:21], -v[3:4]
	scratch_store_b128 off, v[1:4], off offset:288
	v_cmpx_lt_u32_e32 17, v108
	s_cbranch_execz .LBB32_177
; %bb.176:
	scratch_load_b128 v[1:4], v129, off
	v_mov_b32_e32 v5, 0
	s_delay_alu instid0(VALU_DEP_1)
	v_mov_b32_e32 v6, v5
	v_mov_b32_e32 v7, v5
	;; [unrolled: 1-line block ×3, first 2 shown]
	scratch_store_b128 off, v[5:8], off offset:272
	s_waitcnt vmcnt(0)
	ds_store_b128 v141, v[1:4]
.LBB32_177:
	s_or_b32 exec_lo, exec_lo, s2
	s_waitcnt lgkmcnt(0)
	s_waitcnt_vscnt null, 0x0
	s_barrier
	buffer_gl0_inv
	s_clause 0x7
	scratch_load_b128 v[2:5], off, off offset:288
	scratch_load_b128 v[6:9], off, off offset:304
	;; [unrolled: 1-line block ×8, first 2 shown]
	v_mov_b32_e32 v1, 0
	s_clause 0x1
	scratch_load_b128 v[38:41], off, off offset:416
	scratch_load_b128 v[146:149], off, off offset:432
	s_mov_b32 s2, exec_lo
	ds_load_b128 v[34:37], v1 offset:816
	ds_load_b128 v[142:145], v1 offset:832
	s_waitcnt vmcnt(9) lgkmcnt(1)
	v_mul_f64 v[150:151], v[36:37], v[4:5]
	v_mul_f64 v[4:5], v[34:35], v[4:5]
	s_waitcnt vmcnt(8) lgkmcnt(0)
	v_mul_f64 v[152:153], v[142:143], v[8:9]
	v_mul_f64 v[8:9], v[144:145], v[8:9]
	s_delay_alu instid0(VALU_DEP_4) | instskip(NEXT) | instid1(VALU_DEP_4)
	v_fma_f64 v[150:151], v[34:35], v[2:3], -v[150:151]
	v_fma_f64 v[154:155], v[36:37], v[2:3], v[4:5]
	ds_load_b128 v[2:5], v1 offset:848
	scratch_load_b128 v[34:37], off, off offset:448
	v_fma_f64 v[152:153], v[144:145], v[6:7], v[152:153]
	v_fma_f64 v[158:159], v[142:143], v[6:7], -v[8:9]
	ds_load_b128 v[6:9], v1 offset:864
	scratch_load_b128 v[142:145], off, off offset:464
	s_waitcnt vmcnt(9) lgkmcnt(1)
	v_mul_f64 v[156:157], v[2:3], v[12:13]
	v_mul_f64 v[12:13], v[4:5], v[12:13]
	s_waitcnt vmcnt(8) lgkmcnt(0)
	v_mul_f64 v[160:161], v[6:7], v[16:17]
	v_mul_f64 v[16:17], v[8:9], v[16:17]
	v_add_f64 v[150:151], v[150:151], 0
	v_add_f64 v[154:155], v[154:155], 0
	v_fma_f64 v[156:157], v[4:5], v[10:11], v[156:157]
	v_fma_f64 v[162:163], v[2:3], v[10:11], -v[12:13]
	scratch_load_b128 v[10:13], off, off offset:480
	ds_load_b128 v[2:5], v1 offset:880
	v_add_f64 v[150:151], v[150:151], v[158:159]
	v_add_f64 v[152:153], v[154:155], v[152:153]
	v_fma_f64 v[158:159], v[8:9], v[14:15], v[160:161]
	v_fma_f64 v[160:161], v[6:7], v[14:15], -v[16:17]
	ds_load_b128 v[6:9], v1 offset:896
	scratch_load_b128 v[14:17], off, off offset:496
	s_waitcnt vmcnt(9) lgkmcnt(1)
	v_mul_f64 v[154:155], v[2:3], v[20:21]
	v_mul_f64 v[20:21], v[4:5], v[20:21]
	v_add_f64 v[150:151], v[150:151], v[162:163]
	v_add_f64 v[152:153], v[152:153], v[156:157]
	s_waitcnt vmcnt(8) lgkmcnt(0)
	v_mul_f64 v[156:157], v[6:7], v[24:25]
	v_mul_f64 v[24:25], v[8:9], v[24:25]
	v_fma_f64 v[154:155], v[4:5], v[18:19], v[154:155]
	v_fma_f64 v[162:163], v[2:3], v[18:19], -v[20:21]
	scratch_load_b128 v[18:21], off, off offset:512
	ds_load_b128 v[2:5], v1 offset:912
	v_add_f64 v[150:151], v[150:151], v[160:161]
	v_add_f64 v[152:153], v[152:153], v[158:159]
	v_fma_f64 v[156:157], v[8:9], v[22:23], v[156:157]
	v_fma_f64 v[22:23], v[6:7], v[22:23], -v[24:25]
	ds_load_b128 v[6:9], v1 offset:928
	s_waitcnt vmcnt(8) lgkmcnt(1)
	v_mul_f64 v[158:159], v[2:3], v[28:29]
	v_mul_f64 v[28:29], v[4:5], v[28:29]
	v_add_f64 v[24:25], v[150:151], v[162:163]
	v_add_f64 v[150:151], v[152:153], v[154:155]
	s_waitcnt vmcnt(7) lgkmcnt(0)
	v_mul_f64 v[152:153], v[6:7], v[32:33]
	v_mul_f64 v[32:33], v[8:9], v[32:33]
	v_fma_f64 v[154:155], v[4:5], v[26:27], v[158:159]
	v_fma_f64 v[26:27], v[2:3], v[26:27], -v[28:29]
	ds_load_b128 v[2:5], v1 offset:944
	v_add_f64 v[22:23], v[24:25], v[22:23]
	v_add_f64 v[24:25], v[150:151], v[156:157]
	v_fma_f64 v[150:151], v[8:9], v[30:31], v[152:153]
	v_fma_f64 v[30:31], v[6:7], v[30:31], -v[32:33]
	ds_load_b128 v[6:9], v1 offset:960
	s_waitcnt vmcnt(5) lgkmcnt(0)
	v_mul_f64 v[152:153], v[6:7], v[148:149]
	v_mul_f64 v[148:149], v[8:9], v[148:149]
	v_add_f64 v[26:27], v[22:23], v[26:27]
	v_add_f64 v[32:33], v[24:25], v[154:155]
	scratch_load_b128 v[22:25], off, off offset:272
	v_mul_f64 v[28:29], v[2:3], v[40:41]
	v_mul_f64 v[40:41], v[4:5], v[40:41]
	v_add_f64 v[26:27], v[26:27], v[30:31]
	v_add_f64 v[30:31], v[32:33], v[150:151]
	s_delay_alu instid0(VALU_DEP_4) | instskip(NEXT) | instid1(VALU_DEP_4)
	v_fma_f64 v[28:29], v[4:5], v[38:39], v[28:29]
	v_fma_f64 v[38:39], v[2:3], v[38:39], -v[40:41]
	ds_load_b128 v[2:5], v1 offset:976
	v_fma_f64 v[40:41], v[8:9], v[146:147], v[152:153]
	v_fma_f64 v[146:147], v[6:7], v[146:147], -v[148:149]
	ds_load_b128 v[6:9], v1 offset:992
	s_waitcnt vmcnt(5) lgkmcnt(1)
	v_mul_f64 v[32:33], v[2:3], v[36:37]
	v_mul_f64 v[36:37], v[4:5], v[36:37]
	v_add_f64 v[28:29], v[30:31], v[28:29]
	v_add_f64 v[26:27], v[26:27], v[38:39]
	s_waitcnt vmcnt(4) lgkmcnt(0)
	v_mul_f64 v[30:31], v[6:7], v[144:145]
	v_mul_f64 v[38:39], v[8:9], v[144:145]
	v_fma_f64 v[32:33], v[4:5], v[34:35], v[32:33]
	v_fma_f64 v[34:35], v[2:3], v[34:35], -v[36:37]
	ds_load_b128 v[2:5], v1 offset:1008
	v_add_f64 v[28:29], v[28:29], v[40:41]
	v_add_f64 v[26:27], v[26:27], v[146:147]
	v_fma_f64 v[30:31], v[8:9], v[142:143], v[30:31]
	v_fma_f64 v[38:39], v[6:7], v[142:143], -v[38:39]
	ds_load_b128 v[6:9], v1 offset:1024
	s_waitcnt vmcnt(3) lgkmcnt(1)
	v_mul_f64 v[36:37], v[2:3], v[12:13]
	v_mul_f64 v[12:13], v[4:5], v[12:13]
	v_add_f64 v[28:29], v[28:29], v[32:33]
	v_add_f64 v[26:27], v[26:27], v[34:35]
	s_waitcnt vmcnt(2) lgkmcnt(0)
	v_mul_f64 v[32:33], v[6:7], v[16:17]
	v_mul_f64 v[16:17], v[8:9], v[16:17]
	v_fma_f64 v[34:35], v[4:5], v[10:11], v[36:37]
	v_fma_f64 v[10:11], v[2:3], v[10:11], -v[12:13]
	ds_load_b128 v[2:5], v1 offset:1040
	v_add_f64 v[12:13], v[26:27], v[38:39]
	v_add_f64 v[26:27], v[28:29], v[30:31]
	s_waitcnt vmcnt(1) lgkmcnt(0)
	v_mul_f64 v[28:29], v[2:3], v[20:21]
	v_mul_f64 v[20:21], v[4:5], v[20:21]
	v_fma_f64 v[8:9], v[8:9], v[14:15], v[32:33]
	v_fma_f64 v[6:7], v[6:7], v[14:15], -v[16:17]
	v_add_f64 v[10:11], v[12:13], v[10:11]
	v_add_f64 v[12:13], v[26:27], v[34:35]
	v_fma_f64 v[4:5], v[4:5], v[18:19], v[28:29]
	v_fma_f64 v[2:3], v[2:3], v[18:19], -v[20:21]
	s_delay_alu instid0(VALU_DEP_4) | instskip(NEXT) | instid1(VALU_DEP_4)
	v_add_f64 v[6:7], v[10:11], v[6:7]
	v_add_f64 v[8:9], v[12:13], v[8:9]
	s_delay_alu instid0(VALU_DEP_2) | instskip(NEXT) | instid1(VALU_DEP_2)
	v_add_f64 v[2:3], v[6:7], v[2:3]
	v_add_f64 v[4:5], v[8:9], v[4:5]
	s_waitcnt vmcnt(0)
	s_delay_alu instid0(VALU_DEP_2) | instskip(NEXT) | instid1(VALU_DEP_2)
	v_add_f64 v[2:3], v[22:23], -v[2:3]
	v_add_f64 v[4:5], v[24:25], -v[4:5]
	scratch_store_b128 off, v[2:5], off offset:272
	v_cmpx_lt_u32_e32 16, v108
	s_cbranch_execz .LBB32_179
; %bb.178:
	scratch_load_b128 v[5:8], v128, off
	v_mov_b32_e32 v2, v1
	v_mov_b32_e32 v3, v1
	;; [unrolled: 1-line block ×3, first 2 shown]
	scratch_store_b128 off, v[1:4], off offset:256
	s_waitcnt vmcnt(0)
	ds_store_b128 v141, v[5:8]
.LBB32_179:
	s_or_b32 exec_lo, exec_lo, s2
	s_waitcnt lgkmcnt(0)
	s_waitcnt_vscnt null, 0x0
	s_barrier
	buffer_gl0_inv
	s_clause 0x7
	scratch_load_b128 v[2:5], off, off offset:272
	scratch_load_b128 v[6:9], off, off offset:288
	;; [unrolled: 1-line block ×8, first 2 shown]
	ds_load_b128 v[34:37], v1 offset:800
	ds_load_b128 v[142:145], v1 offset:816
	s_clause 0x1
	scratch_load_b128 v[38:41], off, off offset:400
	scratch_load_b128 v[146:149], off, off offset:416
	s_mov_b32 s2, exec_lo
	s_waitcnt vmcnt(9) lgkmcnt(1)
	v_mul_f64 v[150:151], v[36:37], v[4:5]
	v_mul_f64 v[4:5], v[34:35], v[4:5]
	s_waitcnt vmcnt(8) lgkmcnt(0)
	v_mul_f64 v[152:153], v[142:143], v[8:9]
	v_mul_f64 v[8:9], v[144:145], v[8:9]
	s_delay_alu instid0(VALU_DEP_4) | instskip(NEXT) | instid1(VALU_DEP_4)
	v_fma_f64 v[150:151], v[34:35], v[2:3], -v[150:151]
	v_fma_f64 v[154:155], v[36:37], v[2:3], v[4:5]
	ds_load_b128 v[2:5], v1 offset:832
	scratch_load_b128 v[34:37], off, off offset:432
	v_fma_f64 v[152:153], v[144:145], v[6:7], v[152:153]
	v_fma_f64 v[158:159], v[142:143], v[6:7], -v[8:9]
	ds_load_b128 v[6:9], v1 offset:848
	scratch_load_b128 v[142:145], off, off offset:448
	s_waitcnt vmcnt(9) lgkmcnt(1)
	v_mul_f64 v[156:157], v[2:3], v[12:13]
	v_mul_f64 v[12:13], v[4:5], v[12:13]
	s_waitcnt vmcnt(8) lgkmcnt(0)
	v_mul_f64 v[160:161], v[6:7], v[16:17]
	v_mul_f64 v[16:17], v[8:9], v[16:17]
	v_add_f64 v[150:151], v[150:151], 0
	v_add_f64 v[154:155], v[154:155], 0
	v_fma_f64 v[156:157], v[4:5], v[10:11], v[156:157]
	v_fma_f64 v[162:163], v[2:3], v[10:11], -v[12:13]
	scratch_load_b128 v[10:13], off, off offset:464
	ds_load_b128 v[2:5], v1 offset:864
	v_add_f64 v[150:151], v[150:151], v[158:159]
	v_add_f64 v[152:153], v[154:155], v[152:153]
	v_fma_f64 v[158:159], v[8:9], v[14:15], v[160:161]
	v_fma_f64 v[160:161], v[6:7], v[14:15], -v[16:17]
	ds_load_b128 v[6:9], v1 offset:880
	scratch_load_b128 v[14:17], off, off offset:480
	s_waitcnt vmcnt(9) lgkmcnt(1)
	v_mul_f64 v[154:155], v[2:3], v[20:21]
	v_mul_f64 v[20:21], v[4:5], v[20:21]
	v_add_f64 v[150:151], v[150:151], v[162:163]
	v_add_f64 v[152:153], v[152:153], v[156:157]
	s_waitcnt vmcnt(8) lgkmcnt(0)
	v_mul_f64 v[156:157], v[6:7], v[24:25]
	v_mul_f64 v[24:25], v[8:9], v[24:25]
	v_fma_f64 v[154:155], v[4:5], v[18:19], v[154:155]
	v_fma_f64 v[162:163], v[2:3], v[18:19], -v[20:21]
	scratch_load_b128 v[18:21], off, off offset:496
	ds_load_b128 v[2:5], v1 offset:896
	v_add_f64 v[150:151], v[150:151], v[160:161]
	v_add_f64 v[152:153], v[152:153], v[158:159]
	v_fma_f64 v[156:157], v[8:9], v[22:23], v[156:157]
	v_fma_f64 v[160:161], v[6:7], v[22:23], -v[24:25]
	ds_load_b128 v[6:9], v1 offset:912
	s_waitcnt vmcnt(8) lgkmcnt(1)
	v_mul_f64 v[158:159], v[2:3], v[28:29]
	v_mul_f64 v[28:29], v[4:5], v[28:29]
	scratch_load_b128 v[22:25], off, off offset:512
	v_add_f64 v[150:151], v[150:151], v[162:163]
	v_add_f64 v[152:153], v[152:153], v[154:155]
	s_waitcnt vmcnt(8) lgkmcnt(0)
	v_mul_f64 v[154:155], v[6:7], v[32:33]
	v_mul_f64 v[32:33], v[8:9], v[32:33]
	v_fma_f64 v[158:159], v[4:5], v[26:27], v[158:159]
	v_fma_f64 v[26:27], v[2:3], v[26:27], -v[28:29]
	ds_load_b128 v[2:5], v1 offset:928
	v_add_f64 v[28:29], v[150:151], v[160:161]
	v_add_f64 v[150:151], v[152:153], v[156:157]
	v_fma_f64 v[154:155], v[8:9], v[30:31], v[154:155]
	v_fma_f64 v[30:31], v[6:7], v[30:31], -v[32:33]
	ds_load_b128 v[6:9], v1 offset:944
	s_waitcnt vmcnt(7) lgkmcnt(1)
	v_mul_f64 v[152:153], v[2:3], v[40:41]
	v_mul_f64 v[40:41], v[4:5], v[40:41]
	v_add_f64 v[26:27], v[28:29], v[26:27]
	v_add_f64 v[28:29], v[150:151], v[158:159]
	s_delay_alu instid0(VALU_DEP_4) | instskip(NEXT) | instid1(VALU_DEP_4)
	v_fma_f64 v[150:151], v[4:5], v[38:39], v[152:153]
	v_fma_f64 v[38:39], v[2:3], v[38:39], -v[40:41]
	ds_load_b128 v[2:5], v1 offset:960
	v_add_f64 v[30:31], v[26:27], v[30:31]
	v_add_f64 v[40:41], v[28:29], v[154:155]
	scratch_load_b128 v[26:29], off, off offset:256
	s_waitcnt vmcnt(7) lgkmcnt(1)
	v_mul_f64 v[32:33], v[6:7], v[148:149]
	v_mul_f64 v[148:149], v[8:9], v[148:149]
	v_add_f64 v[30:31], v[30:31], v[38:39]
	v_add_f64 v[38:39], v[40:41], v[150:151]
	s_delay_alu instid0(VALU_DEP_4) | instskip(NEXT) | instid1(VALU_DEP_4)
	v_fma_f64 v[32:33], v[8:9], v[146:147], v[32:33]
	v_fma_f64 v[146:147], v[6:7], v[146:147], -v[148:149]
	ds_load_b128 v[6:9], v1 offset:976
	s_waitcnt vmcnt(6) lgkmcnt(1)
	v_mul_f64 v[152:153], v[2:3], v[36:37]
	v_mul_f64 v[36:37], v[4:5], v[36:37]
	s_waitcnt vmcnt(5) lgkmcnt(0)
	v_mul_f64 v[40:41], v[6:7], v[144:145]
	v_mul_f64 v[144:145], v[8:9], v[144:145]
	v_add_f64 v[32:33], v[38:39], v[32:33]
	v_add_f64 v[30:31], v[30:31], v[146:147]
	v_fma_f64 v[148:149], v[4:5], v[34:35], v[152:153]
	v_fma_f64 v[34:35], v[2:3], v[34:35], -v[36:37]
	ds_load_b128 v[2:5], v1 offset:992
	v_fma_f64 v[38:39], v[8:9], v[142:143], v[40:41]
	v_fma_f64 v[40:41], v[6:7], v[142:143], -v[144:145]
	ds_load_b128 v[6:9], v1 offset:1008
	s_waitcnt vmcnt(4) lgkmcnt(1)
	v_mul_f64 v[36:37], v[2:3], v[12:13]
	v_mul_f64 v[12:13], v[4:5], v[12:13]
	v_add_f64 v[32:33], v[32:33], v[148:149]
	v_add_f64 v[30:31], v[30:31], v[34:35]
	s_waitcnt vmcnt(3) lgkmcnt(0)
	v_mul_f64 v[34:35], v[6:7], v[16:17]
	v_mul_f64 v[16:17], v[8:9], v[16:17]
	v_fma_f64 v[36:37], v[4:5], v[10:11], v[36:37]
	v_fma_f64 v[10:11], v[2:3], v[10:11], -v[12:13]
	ds_load_b128 v[2:5], v1 offset:1024
	v_add_f64 v[12:13], v[30:31], v[40:41]
	v_add_f64 v[30:31], v[32:33], v[38:39]
	v_fma_f64 v[34:35], v[8:9], v[14:15], v[34:35]
	v_fma_f64 v[14:15], v[6:7], v[14:15], -v[16:17]
	ds_load_b128 v[6:9], v1 offset:1040
	s_waitcnt vmcnt(2) lgkmcnt(1)
	v_mul_f64 v[32:33], v[2:3], v[20:21]
	v_mul_f64 v[20:21], v[4:5], v[20:21]
	s_waitcnt vmcnt(1) lgkmcnt(0)
	v_mul_f64 v[16:17], v[6:7], v[24:25]
	v_mul_f64 v[24:25], v[8:9], v[24:25]
	v_add_f64 v[10:11], v[12:13], v[10:11]
	v_add_f64 v[12:13], v[30:31], v[36:37]
	v_fma_f64 v[4:5], v[4:5], v[18:19], v[32:33]
	v_fma_f64 v[1:2], v[2:3], v[18:19], -v[20:21]
	v_fma_f64 v[8:9], v[8:9], v[22:23], v[16:17]
	v_fma_f64 v[6:7], v[6:7], v[22:23], -v[24:25]
	v_add_f64 v[10:11], v[10:11], v[14:15]
	v_add_f64 v[12:13], v[12:13], v[34:35]
	s_delay_alu instid0(VALU_DEP_2) | instskip(NEXT) | instid1(VALU_DEP_2)
	v_add_f64 v[1:2], v[10:11], v[1:2]
	v_add_f64 v[3:4], v[12:13], v[4:5]
	s_delay_alu instid0(VALU_DEP_2) | instskip(NEXT) | instid1(VALU_DEP_2)
	v_add_f64 v[1:2], v[1:2], v[6:7]
	v_add_f64 v[3:4], v[3:4], v[8:9]
	s_waitcnt vmcnt(0)
	s_delay_alu instid0(VALU_DEP_2) | instskip(NEXT) | instid1(VALU_DEP_2)
	v_add_f64 v[1:2], v[26:27], -v[1:2]
	v_add_f64 v[3:4], v[28:29], -v[3:4]
	scratch_store_b128 off, v[1:4], off offset:256
	v_cmpx_lt_u32_e32 15, v108
	s_cbranch_execz .LBB32_181
; %bb.180:
	scratch_load_b128 v[1:4], v130, off
	v_mov_b32_e32 v5, 0
	s_delay_alu instid0(VALU_DEP_1)
	v_mov_b32_e32 v6, v5
	v_mov_b32_e32 v7, v5
	;; [unrolled: 1-line block ×3, first 2 shown]
	scratch_store_b128 off, v[5:8], off offset:240
	s_waitcnt vmcnt(0)
	ds_store_b128 v141, v[1:4]
.LBB32_181:
	s_or_b32 exec_lo, exec_lo, s2
	s_waitcnt lgkmcnt(0)
	s_waitcnt_vscnt null, 0x0
	s_barrier
	buffer_gl0_inv
	s_clause 0x7
	scratch_load_b128 v[2:5], off, off offset:256
	scratch_load_b128 v[6:9], off, off offset:272
	;; [unrolled: 1-line block ×8, first 2 shown]
	v_mov_b32_e32 v1, 0
	s_clause 0x1
	scratch_load_b128 v[38:41], off, off offset:384
	scratch_load_b128 v[146:149], off, off offset:400
	s_mov_b32 s2, exec_lo
	ds_load_b128 v[34:37], v1 offset:784
	ds_load_b128 v[142:145], v1 offset:800
	s_waitcnt vmcnt(9) lgkmcnt(1)
	v_mul_f64 v[150:151], v[36:37], v[4:5]
	v_mul_f64 v[4:5], v[34:35], v[4:5]
	s_waitcnt vmcnt(8) lgkmcnt(0)
	v_mul_f64 v[152:153], v[142:143], v[8:9]
	v_mul_f64 v[8:9], v[144:145], v[8:9]
	s_delay_alu instid0(VALU_DEP_4) | instskip(NEXT) | instid1(VALU_DEP_4)
	v_fma_f64 v[150:151], v[34:35], v[2:3], -v[150:151]
	v_fma_f64 v[154:155], v[36:37], v[2:3], v[4:5]
	ds_load_b128 v[2:5], v1 offset:816
	scratch_load_b128 v[34:37], off, off offset:416
	v_fma_f64 v[152:153], v[144:145], v[6:7], v[152:153]
	v_fma_f64 v[158:159], v[142:143], v[6:7], -v[8:9]
	ds_load_b128 v[6:9], v1 offset:832
	scratch_load_b128 v[142:145], off, off offset:432
	s_waitcnt vmcnt(9) lgkmcnt(1)
	v_mul_f64 v[156:157], v[2:3], v[12:13]
	v_mul_f64 v[12:13], v[4:5], v[12:13]
	s_waitcnt vmcnt(8) lgkmcnt(0)
	v_mul_f64 v[160:161], v[6:7], v[16:17]
	v_mul_f64 v[16:17], v[8:9], v[16:17]
	v_add_f64 v[150:151], v[150:151], 0
	v_add_f64 v[154:155], v[154:155], 0
	v_fma_f64 v[156:157], v[4:5], v[10:11], v[156:157]
	v_fma_f64 v[162:163], v[2:3], v[10:11], -v[12:13]
	scratch_load_b128 v[10:13], off, off offset:448
	ds_load_b128 v[2:5], v1 offset:848
	v_add_f64 v[150:151], v[150:151], v[158:159]
	v_add_f64 v[152:153], v[154:155], v[152:153]
	v_fma_f64 v[158:159], v[8:9], v[14:15], v[160:161]
	v_fma_f64 v[160:161], v[6:7], v[14:15], -v[16:17]
	ds_load_b128 v[6:9], v1 offset:864
	scratch_load_b128 v[14:17], off, off offset:464
	s_waitcnt vmcnt(9) lgkmcnt(1)
	v_mul_f64 v[154:155], v[2:3], v[20:21]
	v_mul_f64 v[20:21], v[4:5], v[20:21]
	v_add_f64 v[150:151], v[150:151], v[162:163]
	v_add_f64 v[152:153], v[152:153], v[156:157]
	s_waitcnt vmcnt(8) lgkmcnt(0)
	v_mul_f64 v[156:157], v[6:7], v[24:25]
	v_mul_f64 v[24:25], v[8:9], v[24:25]
	v_fma_f64 v[154:155], v[4:5], v[18:19], v[154:155]
	v_fma_f64 v[162:163], v[2:3], v[18:19], -v[20:21]
	scratch_load_b128 v[18:21], off, off offset:480
	ds_load_b128 v[2:5], v1 offset:880
	v_add_f64 v[150:151], v[150:151], v[160:161]
	v_add_f64 v[152:153], v[152:153], v[158:159]
	v_fma_f64 v[156:157], v[8:9], v[22:23], v[156:157]
	v_fma_f64 v[160:161], v[6:7], v[22:23], -v[24:25]
	ds_load_b128 v[6:9], v1 offset:896
	s_waitcnt vmcnt(8) lgkmcnt(1)
	v_mul_f64 v[158:159], v[2:3], v[28:29]
	v_mul_f64 v[28:29], v[4:5], v[28:29]
	scratch_load_b128 v[22:25], off, off offset:496
	v_add_f64 v[150:151], v[150:151], v[162:163]
	v_add_f64 v[152:153], v[152:153], v[154:155]
	s_waitcnt vmcnt(8) lgkmcnt(0)
	v_mul_f64 v[154:155], v[6:7], v[32:33]
	v_mul_f64 v[32:33], v[8:9], v[32:33]
	v_fma_f64 v[158:159], v[4:5], v[26:27], v[158:159]
	v_fma_f64 v[162:163], v[2:3], v[26:27], -v[28:29]
	scratch_load_b128 v[26:29], off, off offset:512
	ds_load_b128 v[2:5], v1 offset:912
	v_add_f64 v[150:151], v[150:151], v[160:161]
	v_add_f64 v[152:153], v[152:153], v[156:157]
	v_fma_f64 v[154:155], v[8:9], v[30:31], v[154:155]
	v_fma_f64 v[30:31], v[6:7], v[30:31], -v[32:33]
	ds_load_b128 v[6:9], v1 offset:928
	s_waitcnt vmcnt(8) lgkmcnt(1)
	v_mul_f64 v[156:157], v[2:3], v[40:41]
	v_mul_f64 v[40:41], v[4:5], v[40:41]
	v_add_f64 v[32:33], v[150:151], v[162:163]
	v_add_f64 v[150:151], v[152:153], v[158:159]
	s_waitcnt vmcnt(7) lgkmcnt(0)
	v_mul_f64 v[152:153], v[6:7], v[148:149]
	v_mul_f64 v[148:149], v[8:9], v[148:149]
	v_fma_f64 v[156:157], v[4:5], v[38:39], v[156:157]
	v_fma_f64 v[38:39], v[2:3], v[38:39], -v[40:41]
	ds_load_b128 v[2:5], v1 offset:944
	v_add_f64 v[30:31], v[32:33], v[30:31]
	v_add_f64 v[32:33], v[150:151], v[154:155]
	v_fma_f64 v[150:151], v[8:9], v[146:147], v[152:153]
	v_fma_f64 v[146:147], v[6:7], v[146:147], -v[148:149]
	ds_load_b128 v[6:9], v1 offset:960
	s_waitcnt vmcnt(5) lgkmcnt(0)
	v_mul_f64 v[152:153], v[6:7], v[144:145]
	v_mul_f64 v[144:145], v[8:9], v[144:145]
	v_add_f64 v[38:39], v[30:31], v[38:39]
	v_add_f64 v[148:149], v[32:33], v[156:157]
	scratch_load_b128 v[30:33], off, off offset:240
	v_mul_f64 v[40:41], v[2:3], v[36:37]
	v_mul_f64 v[36:37], v[4:5], v[36:37]
	s_delay_alu instid0(VALU_DEP_2) | instskip(NEXT) | instid1(VALU_DEP_2)
	v_fma_f64 v[40:41], v[4:5], v[34:35], v[40:41]
	v_fma_f64 v[34:35], v[2:3], v[34:35], -v[36:37]
	v_add_f64 v[36:37], v[38:39], v[146:147]
	v_add_f64 v[38:39], v[148:149], v[150:151]
	ds_load_b128 v[2:5], v1 offset:976
	v_fma_f64 v[148:149], v[8:9], v[142:143], v[152:153]
	v_fma_f64 v[142:143], v[6:7], v[142:143], -v[144:145]
	ds_load_b128 v[6:9], v1 offset:992
	s_waitcnt vmcnt(5) lgkmcnt(1)
	v_mul_f64 v[146:147], v[2:3], v[12:13]
	v_mul_f64 v[12:13], v[4:5], v[12:13]
	v_add_f64 v[34:35], v[36:37], v[34:35]
	v_add_f64 v[36:37], v[38:39], v[40:41]
	s_waitcnt vmcnt(4) lgkmcnt(0)
	v_mul_f64 v[38:39], v[6:7], v[16:17]
	v_mul_f64 v[16:17], v[8:9], v[16:17]
	v_fma_f64 v[40:41], v[4:5], v[10:11], v[146:147]
	v_fma_f64 v[10:11], v[2:3], v[10:11], -v[12:13]
	ds_load_b128 v[2:5], v1 offset:1008
	v_add_f64 v[12:13], v[34:35], v[142:143]
	v_add_f64 v[34:35], v[36:37], v[148:149]
	v_fma_f64 v[38:39], v[8:9], v[14:15], v[38:39]
	v_fma_f64 v[14:15], v[6:7], v[14:15], -v[16:17]
	ds_load_b128 v[6:9], v1 offset:1024
	s_waitcnt vmcnt(3) lgkmcnt(1)
	v_mul_f64 v[36:37], v[2:3], v[20:21]
	v_mul_f64 v[20:21], v[4:5], v[20:21]
	s_waitcnt vmcnt(2) lgkmcnt(0)
	v_mul_f64 v[16:17], v[6:7], v[24:25]
	v_mul_f64 v[24:25], v[8:9], v[24:25]
	v_add_f64 v[10:11], v[12:13], v[10:11]
	v_add_f64 v[12:13], v[34:35], v[40:41]
	v_fma_f64 v[34:35], v[4:5], v[18:19], v[36:37]
	v_fma_f64 v[18:19], v[2:3], v[18:19], -v[20:21]
	ds_load_b128 v[2:5], v1 offset:1040
	v_fma_f64 v[8:9], v[8:9], v[22:23], v[16:17]
	v_fma_f64 v[6:7], v[6:7], v[22:23], -v[24:25]
	s_waitcnt vmcnt(1) lgkmcnt(0)
	v_mul_f64 v[20:21], v[4:5], v[28:29]
	v_add_f64 v[10:11], v[10:11], v[14:15]
	v_add_f64 v[12:13], v[12:13], v[38:39]
	v_mul_f64 v[14:15], v[2:3], v[28:29]
	s_delay_alu instid0(VALU_DEP_4) | instskip(NEXT) | instid1(VALU_DEP_4)
	v_fma_f64 v[2:3], v[2:3], v[26:27], -v[20:21]
	v_add_f64 v[10:11], v[10:11], v[18:19]
	s_delay_alu instid0(VALU_DEP_4) | instskip(NEXT) | instid1(VALU_DEP_4)
	v_add_f64 v[12:13], v[12:13], v[34:35]
	v_fma_f64 v[4:5], v[4:5], v[26:27], v[14:15]
	s_delay_alu instid0(VALU_DEP_3) | instskip(NEXT) | instid1(VALU_DEP_3)
	v_add_f64 v[6:7], v[10:11], v[6:7]
	v_add_f64 v[8:9], v[12:13], v[8:9]
	s_delay_alu instid0(VALU_DEP_2) | instskip(NEXT) | instid1(VALU_DEP_2)
	v_add_f64 v[2:3], v[6:7], v[2:3]
	v_add_f64 v[4:5], v[8:9], v[4:5]
	s_waitcnt vmcnt(0)
	s_delay_alu instid0(VALU_DEP_2) | instskip(NEXT) | instid1(VALU_DEP_2)
	v_add_f64 v[2:3], v[30:31], -v[2:3]
	v_add_f64 v[4:5], v[32:33], -v[4:5]
	scratch_store_b128 off, v[2:5], off offset:240
	v_cmpx_lt_u32_e32 14, v108
	s_cbranch_execz .LBB32_183
; %bb.182:
	scratch_load_b128 v[5:8], v131, off
	v_mov_b32_e32 v2, v1
	v_mov_b32_e32 v3, v1
	;; [unrolled: 1-line block ×3, first 2 shown]
	scratch_store_b128 off, v[1:4], off offset:224
	s_waitcnt vmcnt(0)
	ds_store_b128 v141, v[5:8]
.LBB32_183:
	s_or_b32 exec_lo, exec_lo, s2
	s_waitcnt lgkmcnt(0)
	s_waitcnt_vscnt null, 0x0
	s_barrier
	buffer_gl0_inv
	s_clause 0x7
	scratch_load_b128 v[2:5], off, off offset:240
	scratch_load_b128 v[6:9], off, off offset:256
	;; [unrolled: 1-line block ×8, first 2 shown]
	ds_load_b128 v[34:37], v1 offset:768
	ds_load_b128 v[142:145], v1 offset:784
	s_clause 0x1
	scratch_load_b128 v[38:41], off, off offset:368
	scratch_load_b128 v[146:149], off, off offset:384
	s_mov_b32 s2, exec_lo
	s_waitcnt vmcnt(9) lgkmcnt(1)
	v_mul_f64 v[150:151], v[36:37], v[4:5]
	v_mul_f64 v[4:5], v[34:35], v[4:5]
	s_waitcnt vmcnt(8) lgkmcnt(0)
	v_mul_f64 v[152:153], v[142:143], v[8:9]
	v_mul_f64 v[8:9], v[144:145], v[8:9]
	s_delay_alu instid0(VALU_DEP_4) | instskip(NEXT) | instid1(VALU_DEP_4)
	v_fma_f64 v[150:151], v[34:35], v[2:3], -v[150:151]
	v_fma_f64 v[154:155], v[36:37], v[2:3], v[4:5]
	scratch_load_b128 v[34:37], off, off offset:400
	ds_load_b128 v[2:5], v1 offset:800
	v_fma_f64 v[152:153], v[144:145], v[6:7], v[152:153]
	v_fma_f64 v[158:159], v[142:143], v[6:7], -v[8:9]
	ds_load_b128 v[6:9], v1 offset:816
	scratch_load_b128 v[142:145], off, off offset:416
	s_waitcnt vmcnt(9) lgkmcnt(1)
	v_mul_f64 v[156:157], v[2:3], v[12:13]
	v_mul_f64 v[12:13], v[4:5], v[12:13]
	s_waitcnt vmcnt(8) lgkmcnt(0)
	v_mul_f64 v[160:161], v[6:7], v[16:17]
	v_mul_f64 v[16:17], v[8:9], v[16:17]
	v_add_f64 v[150:151], v[150:151], 0
	v_add_f64 v[154:155], v[154:155], 0
	v_fma_f64 v[156:157], v[4:5], v[10:11], v[156:157]
	v_fma_f64 v[162:163], v[2:3], v[10:11], -v[12:13]
	scratch_load_b128 v[10:13], off, off offset:432
	ds_load_b128 v[2:5], v1 offset:832
	v_add_f64 v[150:151], v[150:151], v[158:159]
	v_add_f64 v[152:153], v[154:155], v[152:153]
	v_fma_f64 v[158:159], v[8:9], v[14:15], v[160:161]
	v_fma_f64 v[160:161], v[6:7], v[14:15], -v[16:17]
	ds_load_b128 v[6:9], v1 offset:848
	scratch_load_b128 v[14:17], off, off offset:448
	s_waitcnt vmcnt(9) lgkmcnt(1)
	v_mul_f64 v[154:155], v[2:3], v[20:21]
	v_mul_f64 v[20:21], v[4:5], v[20:21]
	v_add_f64 v[150:151], v[150:151], v[162:163]
	v_add_f64 v[152:153], v[152:153], v[156:157]
	s_waitcnt vmcnt(8) lgkmcnt(0)
	v_mul_f64 v[156:157], v[6:7], v[24:25]
	v_mul_f64 v[24:25], v[8:9], v[24:25]
	v_fma_f64 v[154:155], v[4:5], v[18:19], v[154:155]
	v_fma_f64 v[162:163], v[2:3], v[18:19], -v[20:21]
	scratch_load_b128 v[18:21], off, off offset:464
	ds_load_b128 v[2:5], v1 offset:864
	v_add_f64 v[150:151], v[150:151], v[160:161]
	v_add_f64 v[152:153], v[152:153], v[158:159]
	v_fma_f64 v[156:157], v[8:9], v[22:23], v[156:157]
	v_fma_f64 v[160:161], v[6:7], v[22:23], -v[24:25]
	ds_load_b128 v[6:9], v1 offset:880
	s_waitcnt vmcnt(8) lgkmcnt(1)
	v_mul_f64 v[158:159], v[2:3], v[28:29]
	v_mul_f64 v[28:29], v[4:5], v[28:29]
	scratch_load_b128 v[22:25], off, off offset:480
	v_add_f64 v[150:151], v[150:151], v[162:163]
	v_add_f64 v[152:153], v[152:153], v[154:155]
	s_waitcnt vmcnt(8) lgkmcnt(0)
	v_mul_f64 v[154:155], v[6:7], v[32:33]
	v_mul_f64 v[32:33], v[8:9], v[32:33]
	v_fma_f64 v[158:159], v[4:5], v[26:27], v[158:159]
	v_fma_f64 v[162:163], v[2:3], v[26:27], -v[28:29]
	scratch_load_b128 v[26:29], off, off offset:496
	ds_load_b128 v[2:5], v1 offset:896
	v_add_f64 v[150:151], v[150:151], v[160:161]
	v_add_f64 v[152:153], v[152:153], v[156:157]
	v_fma_f64 v[154:155], v[8:9], v[30:31], v[154:155]
	v_fma_f64 v[160:161], v[6:7], v[30:31], -v[32:33]
	ds_load_b128 v[6:9], v1 offset:912
	s_waitcnt vmcnt(8) lgkmcnt(1)
	v_mul_f64 v[156:157], v[2:3], v[40:41]
	v_mul_f64 v[40:41], v[4:5], v[40:41]
	scratch_load_b128 v[30:33], off, off offset:512
	v_add_f64 v[150:151], v[150:151], v[162:163]
	v_add_f64 v[152:153], v[152:153], v[158:159]
	v_fma_f64 v[156:157], v[4:5], v[38:39], v[156:157]
	v_fma_f64 v[38:39], v[2:3], v[38:39], -v[40:41]
	ds_load_b128 v[2:5], v1 offset:928
	v_add_f64 v[40:41], v[150:151], v[160:161]
	v_add_f64 v[150:151], v[152:153], v[154:155]
	s_waitcnt vmcnt(7) lgkmcnt(0)
	v_mul_f64 v[152:153], v[2:3], v[36:37]
	v_mul_f64 v[36:37], v[4:5], v[36:37]
	s_delay_alu instid0(VALU_DEP_4) | instskip(NEXT) | instid1(VALU_DEP_4)
	v_add_f64 v[38:39], v[40:41], v[38:39]
	v_add_f64 v[40:41], v[150:151], v[156:157]
	s_delay_alu instid0(VALU_DEP_4) | instskip(NEXT) | instid1(VALU_DEP_4)
	v_fma_f64 v[150:151], v[4:5], v[34:35], v[152:153]
	v_fma_f64 v[152:153], v[2:3], v[34:35], -v[36:37]
	scratch_load_b128 v[34:37], off, off offset:224
	v_mul_f64 v[158:159], v[6:7], v[148:149]
	v_mul_f64 v[148:149], v[8:9], v[148:149]
	ds_load_b128 v[2:5], v1 offset:960
	v_fma_f64 v[154:155], v[8:9], v[146:147], v[158:159]
	v_fma_f64 v[146:147], v[6:7], v[146:147], -v[148:149]
	ds_load_b128 v[6:9], v1 offset:944
	s_waitcnt vmcnt(7) lgkmcnt(0)
	v_mul_f64 v[148:149], v[6:7], v[144:145]
	v_mul_f64 v[144:145], v[8:9], v[144:145]
	v_add_f64 v[40:41], v[40:41], v[154:155]
	v_add_f64 v[38:39], v[38:39], v[146:147]
	s_waitcnt vmcnt(6)
	v_mul_f64 v[146:147], v[2:3], v[12:13]
	v_mul_f64 v[12:13], v[4:5], v[12:13]
	v_fma_f64 v[148:149], v[8:9], v[142:143], v[148:149]
	v_fma_f64 v[142:143], v[6:7], v[142:143], -v[144:145]
	ds_load_b128 v[6:9], v1 offset:976
	v_add_f64 v[40:41], v[40:41], v[150:151]
	v_add_f64 v[38:39], v[38:39], v[152:153]
	v_fma_f64 v[146:147], v[4:5], v[10:11], v[146:147]
	v_fma_f64 v[10:11], v[2:3], v[10:11], -v[12:13]
	ds_load_b128 v[2:5], v1 offset:992
	s_waitcnt vmcnt(5) lgkmcnt(1)
	v_mul_f64 v[144:145], v[6:7], v[16:17]
	v_mul_f64 v[16:17], v[8:9], v[16:17]
	v_add_f64 v[12:13], v[38:39], v[142:143]
	v_add_f64 v[38:39], v[40:41], v[148:149]
	s_waitcnt vmcnt(4) lgkmcnt(0)
	v_mul_f64 v[40:41], v[2:3], v[20:21]
	v_mul_f64 v[20:21], v[4:5], v[20:21]
	v_fma_f64 v[142:143], v[8:9], v[14:15], v[144:145]
	v_fma_f64 v[14:15], v[6:7], v[14:15], -v[16:17]
	ds_load_b128 v[6:9], v1 offset:1008
	v_add_f64 v[10:11], v[12:13], v[10:11]
	v_add_f64 v[12:13], v[38:39], v[146:147]
	v_fma_f64 v[38:39], v[4:5], v[18:19], v[40:41]
	v_fma_f64 v[18:19], v[2:3], v[18:19], -v[20:21]
	ds_load_b128 v[2:5], v1 offset:1024
	s_waitcnt vmcnt(3) lgkmcnt(1)
	v_mul_f64 v[16:17], v[6:7], v[24:25]
	v_mul_f64 v[24:25], v[8:9], v[24:25]
	s_waitcnt vmcnt(2) lgkmcnt(0)
	v_mul_f64 v[20:21], v[4:5], v[28:29]
	v_add_f64 v[10:11], v[10:11], v[14:15]
	v_add_f64 v[12:13], v[12:13], v[142:143]
	v_mul_f64 v[14:15], v[2:3], v[28:29]
	v_fma_f64 v[16:17], v[8:9], v[22:23], v[16:17]
	v_fma_f64 v[22:23], v[6:7], v[22:23], -v[24:25]
	ds_load_b128 v[6:9], v1 offset:1040
	v_fma_f64 v[1:2], v[2:3], v[26:27], -v[20:21]
	s_waitcnt vmcnt(1) lgkmcnt(0)
	v_mul_f64 v[24:25], v[8:9], v[32:33]
	v_add_f64 v[10:11], v[10:11], v[18:19]
	v_add_f64 v[12:13], v[12:13], v[38:39]
	v_mul_f64 v[18:19], v[6:7], v[32:33]
	v_fma_f64 v[4:5], v[4:5], v[26:27], v[14:15]
	v_fma_f64 v[6:7], v[6:7], v[30:31], -v[24:25]
	v_add_f64 v[10:11], v[10:11], v[22:23]
	v_add_f64 v[12:13], v[12:13], v[16:17]
	v_fma_f64 v[8:9], v[8:9], v[30:31], v[18:19]
	s_delay_alu instid0(VALU_DEP_3) | instskip(NEXT) | instid1(VALU_DEP_3)
	v_add_f64 v[1:2], v[10:11], v[1:2]
	v_add_f64 v[3:4], v[12:13], v[4:5]
	s_delay_alu instid0(VALU_DEP_2) | instskip(NEXT) | instid1(VALU_DEP_2)
	v_add_f64 v[1:2], v[1:2], v[6:7]
	v_add_f64 v[3:4], v[3:4], v[8:9]
	s_waitcnt vmcnt(0)
	s_delay_alu instid0(VALU_DEP_2) | instskip(NEXT) | instid1(VALU_DEP_2)
	v_add_f64 v[1:2], v[34:35], -v[1:2]
	v_add_f64 v[3:4], v[36:37], -v[3:4]
	scratch_store_b128 off, v[1:4], off offset:224
	v_cmpx_lt_u32_e32 13, v108
	s_cbranch_execz .LBB32_185
; %bb.184:
	scratch_load_b128 v[1:4], v133, off
	v_mov_b32_e32 v5, 0
	s_delay_alu instid0(VALU_DEP_1)
	v_mov_b32_e32 v6, v5
	v_mov_b32_e32 v7, v5
	;; [unrolled: 1-line block ×3, first 2 shown]
	scratch_store_b128 off, v[5:8], off offset:208
	s_waitcnt vmcnt(0)
	ds_store_b128 v141, v[1:4]
.LBB32_185:
	s_or_b32 exec_lo, exec_lo, s2
	s_waitcnt lgkmcnt(0)
	s_waitcnt_vscnt null, 0x0
	s_barrier
	buffer_gl0_inv
	s_clause 0x7
	scratch_load_b128 v[2:5], off, off offset:224
	scratch_load_b128 v[6:9], off, off offset:240
	;; [unrolled: 1-line block ×8, first 2 shown]
	v_mov_b32_e32 v1, 0
	s_clause 0x1
	scratch_load_b128 v[38:41], off, off offset:352
	scratch_load_b128 v[146:149], off, off offset:368
	s_mov_b32 s2, exec_lo
	ds_load_b128 v[34:37], v1 offset:752
	ds_load_b128 v[142:145], v1 offset:768
	s_waitcnt vmcnt(9) lgkmcnt(1)
	v_mul_f64 v[150:151], v[36:37], v[4:5]
	v_mul_f64 v[4:5], v[34:35], v[4:5]
	s_waitcnt vmcnt(8) lgkmcnt(0)
	v_mul_f64 v[152:153], v[142:143], v[8:9]
	v_mul_f64 v[8:9], v[144:145], v[8:9]
	s_delay_alu instid0(VALU_DEP_4) | instskip(NEXT) | instid1(VALU_DEP_4)
	v_fma_f64 v[150:151], v[34:35], v[2:3], -v[150:151]
	v_fma_f64 v[154:155], v[36:37], v[2:3], v[4:5]
	ds_load_b128 v[2:5], v1 offset:784
	scratch_load_b128 v[34:37], off, off offset:384
	v_fma_f64 v[152:153], v[144:145], v[6:7], v[152:153]
	v_fma_f64 v[158:159], v[142:143], v[6:7], -v[8:9]
	scratch_load_b128 v[142:145], off, off offset:400
	ds_load_b128 v[6:9], v1 offset:800
	s_waitcnt vmcnt(9) lgkmcnt(1)
	v_mul_f64 v[156:157], v[2:3], v[12:13]
	v_mul_f64 v[12:13], v[4:5], v[12:13]
	s_waitcnt vmcnt(8) lgkmcnt(0)
	v_mul_f64 v[160:161], v[6:7], v[16:17]
	v_mul_f64 v[16:17], v[8:9], v[16:17]
	v_add_f64 v[150:151], v[150:151], 0
	v_add_f64 v[154:155], v[154:155], 0
	v_fma_f64 v[156:157], v[4:5], v[10:11], v[156:157]
	v_fma_f64 v[162:163], v[2:3], v[10:11], -v[12:13]
	ds_load_b128 v[2:5], v1 offset:816
	scratch_load_b128 v[10:13], off, off offset:416
	v_add_f64 v[150:151], v[150:151], v[158:159]
	v_add_f64 v[152:153], v[154:155], v[152:153]
	v_fma_f64 v[158:159], v[8:9], v[14:15], v[160:161]
	v_fma_f64 v[160:161], v[6:7], v[14:15], -v[16:17]
	ds_load_b128 v[6:9], v1 offset:832
	scratch_load_b128 v[14:17], off, off offset:432
	s_waitcnt vmcnt(9) lgkmcnt(1)
	v_mul_f64 v[154:155], v[2:3], v[20:21]
	v_mul_f64 v[20:21], v[4:5], v[20:21]
	v_add_f64 v[150:151], v[150:151], v[162:163]
	v_add_f64 v[152:153], v[152:153], v[156:157]
	s_waitcnt vmcnt(8) lgkmcnt(0)
	v_mul_f64 v[156:157], v[6:7], v[24:25]
	v_mul_f64 v[24:25], v[8:9], v[24:25]
	v_fma_f64 v[154:155], v[4:5], v[18:19], v[154:155]
	v_fma_f64 v[162:163], v[2:3], v[18:19], -v[20:21]
	scratch_load_b128 v[18:21], off, off offset:448
	ds_load_b128 v[2:5], v1 offset:848
	v_add_f64 v[150:151], v[150:151], v[160:161]
	v_add_f64 v[152:153], v[152:153], v[158:159]
	v_fma_f64 v[156:157], v[8:9], v[22:23], v[156:157]
	v_fma_f64 v[160:161], v[6:7], v[22:23], -v[24:25]
	ds_load_b128 v[6:9], v1 offset:864
	s_waitcnt vmcnt(8) lgkmcnt(1)
	v_mul_f64 v[158:159], v[2:3], v[28:29]
	v_mul_f64 v[28:29], v[4:5], v[28:29]
	scratch_load_b128 v[22:25], off, off offset:464
	v_add_f64 v[150:151], v[150:151], v[162:163]
	v_add_f64 v[152:153], v[152:153], v[154:155]
	s_waitcnt vmcnt(8) lgkmcnt(0)
	v_mul_f64 v[154:155], v[6:7], v[32:33]
	v_mul_f64 v[32:33], v[8:9], v[32:33]
	v_fma_f64 v[158:159], v[4:5], v[26:27], v[158:159]
	v_fma_f64 v[162:163], v[2:3], v[26:27], -v[28:29]
	scratch_load_b128 v[26:29], off, off offset:480
	ds_load_b128 v[2:5], v1 offset:880
	v_add_f64 v[150:151], v[150:151], v[160:161]
	v_add_f64 v[152:153], v[152:153], v[156:157]
	v_fma_f64 v[154:155], v[8:9], v[30:31], v[154:155]
	v_fma_f64 v[160:161], v[6:7], v[30:31], -v[32:33]
	ds_load_b128 v[6:9], v1 offset:896
	s_waitcnt vmcnt(8) lgkmcnt(1)
	v_mul_f64 v[156:157], v[2:3], v[40:41]
	v_mul_f64 v[40:41], v[4:5], v[40:41]
	scratch_load_b128 v[30:33], off, off offset:496
	v_add_f64 v[150:151], v[150:151], v[162:163]
	v_add_f64 v[152:153], v[152:153], v[158:159]
	s_waitcnt vmcnt(8) lgkmcnt(0)
	v_mul_f64 v[158:159], v[6:7], v[148:149]
	v_mul_f64 v[148:149], v[8:9], v[148:149]
	v_fma_f64 v[156:157], v[4:5], v[38:39], v[156:157]
	v_fma_f64 v[162:163], v[2:3], v[38:39], -v[40:41]
	scratch_load_b128 v[38:41], off, off offset:512
	ds_load_b128 v[2:5], v1 offset:912
	v_add_f64 v[150:151], v[150:151], v[160:161]
	v_add_f64 v[152:153], v[152:153], v[154:155]
	v_fma_f64 v[158:159], v[8:9], v[146:147], v[158:159]
	v_fma_f64 v[146:147], v[6:7], v[146:147], -v[148:149]
	ds_load_b128 v[6:9], v1 offset:928
	s_waitcnt vmcnt(8) lgkmcnt(1)
	v_mul_f64 v[154:155], v[2:3], v[36:37]
	v_mul_f64 v[36:37], v[4:5], v[36:37]
	v_add_f64 v[148:149], v[150:151], v[162:163]
	v_add_f64 v[150:151], v[152:153], v[156:157]
	s_waitcnt vmcnt(7) lgkmcnt(0)
	v_mul_f64 v[152:153], v[6:7], v[144:145]
	v_mul_f64 v[144:145], v[8:9], v[144:145]
	v_fma_f64 v[154:155], v[4:5], v[34:35], v[154:155]
	v_fma_f64 v[34:35], v[2:3], v[34:35], -v[36:37]
	ds_load_b128 v[2:5], v1 offset:944
	v_add_f64 v[36:37], v[148:149], v[146:147]
	v_add_f64 v[146:147], v[150:151], v[158:159]
	v_fma_f64 v[150:151], v[8:9], v[142:143], v[152:153]
	v_fma_f64 v[142:143], v[6:7], v[142:143], -v[144:145]
	ds_load_b128 v[6:9], v1 offset:960
	s_waitcnt vmcnt(5) lgkmcnt(0)
	v_mul_f64 v[152:153], v[6:7], v[16:17]
	v_mul_f64 v[16:17], v[8:9], v[16:17]
	v_add_f64 v[144:145], v[36:37], v[34:35]
	v_add_f64 v[146:147], v[146:147], v[154:155]
	scratch_load_b128 v[34:37], off, off offset:208
	v_mul_f64 v[148:149], v[2:3], v[12:13]
	v_mul_f64 v[12:13], v[4:5], v[12:13]
	s_delay_alu instid0(VALU_DEP_2) | instskip(NEXT) | instid1(VALU_DEP_2)
	v_fma_f64 v[148:149], v[4:5], v[10:11], v[148:149]
	v_fma_f64 v[10:11], v[2:3], v[10:11], -v[12:13]
	v_add_f64 v[12:13], v[144:145], v[142:143]
	v_add_f64 v[142:143], v[146:147], v[150:151]
	ds_load_b128 v[2:5], v1 offset:976
	v_fma_f64 v[146:147], v[8:9], v[14:15], v[152:153]
	v_fma_f64 v[14:15], v[6:7], v[14:15], -v[16:17]
	ds_load_b128 v[6:9], v1 offset:992
	s_waitcnt vmcnt(5) lgkmcnt(1)
	v_mul_f64 v[144:145], v[2:3], v[20:21]
	v_mul_f64 v[20:21], v[4:5], v[20:21]
	s_waitcnt vmcnt(4) lgkmcnt(0)
	v_mul_f64 v[16:17], v[6:7], v[24:25]
	v_mul_f64 v[24:25], v[8:9], v[24:25]
	v_add_f64 v[10:11], v[12:13], v[10:11]
	v_add_f64 v[12:13], v[142:143], v[148:149]
	v_fma_f64 v[142:143], v[4:5], v[18:19], v[144:145]
	v_fma_f64 v[18:19], v[2:3], v[18:19], -v[20:21]
	ds_load_b128 v[2:5], v1 offset:1008
	v_fma_f64 v[16:17], v[8:9], v[22:23], v[16:17]
	v_fma_f64 v[22:23], v[6:7], v[22:23], -v[24:25]
	ds_load_b128 v[6:9], v1 offset:1024
	v_add_f64 v[10:11], v[10:11], v[14:15]
	v_add_f64 v[12:13], v[12:13], v[146:147]
	s_waitcnt vmcnt(3) lgkmcnt(1)
	v_mul_f64 v[14:15], v[2:3], v[28:29]
	v_mul_f64 v[20:21], v[4:5], v[28:29]
	s_waitcnt vmcnt(2) lgkmcnt(0)
	v_mul_f64 v[24:25], v[8:9], v[32:33]
	v_add_f64 v[10:11], v[10:11], v[18:19]
	v_add_f64 v[12:13], v[12:13], v[142:143]
	v_mul_f64 v[18:19], v[6:7], v[32:33]
	v_fma_f64 v[14:15], v[4:5], v[26:27], v[14:15]
	v_fma_f64 v[20:21], v[2:3], v[26:27], -v[20:21]
	ds_load_b128 v[2:5], v1 offset:1040
	v_fma_f64 v[6:7], v[6:7], v[30:31], -v[24:25]
	v_add_f64 v[10:11], v[10:11], v[22:23]
	v_add_f64 v[12:13], v[12:13], v[16:17]
	s_waitcnt vmcnt(1) lgkmcnt(0)
	v_mul_f64 v[16:17], v[2:3], v[40:41]
	v_mul_f64 v[22:23], v[4:5], v[40:41]
	v_fma_f64 v[8:9], v[8:9], v[30:31], v[18:19]
	v_add_f64 v[10:11], v[10:11], v[20:21]
	v_add_f64 v[12:13], v[12:13], v[14:15]
	v_fma_f64 v[4:5], v[4:5], v[38:39], v[16:17]
	v_fma_f64 v[2:3], v[2:3], v[38:39], -v[22:23]
	s_delay_alu instid0(VALU_DEP_4) | instskip(NEXT) | instid1(VALU_DEP_4)
	v_add_f64 v[6:7], v[10:11], v[6:7]
	v_add_f64 v[8:9], v[12:13], v[8:9]
	s_delay_alu instid0(VALU_DEP_2) | instskip(NEXT) | instid1(VALU_DEP_2)
	v_add_f64 v[2:3], v[6:7], v[2:3]
	v_add_f64 v[4:5], v[8:9], v[4:5]
	s_waitcnt vmcnt(0)
	s_delay_alu instid0(VALU_DEP_2) | instskip(NEXT) | instid1(VALU_DEP_2)
	v_add_f64 v[2:3], v[34:35], -v[2:3]
	v_add_f64 v[4:5], v[36:37], -v[4:5]
	scratch_store_b128 off, v[2:5], off offset:208
	v_cmpx_lt_u32_e32 12, v108
	s_cbranch_execz .LBB32_187
; %bb.186:
	scratch_load_b128 v[5:8], v132, off
	v_mov_b32_e32 v2, v1
	v_mov_b32_e32 v3, v1
	;; [unrolled: 1-line block ×3, first 2 shown]
	scratch_store_b128 off, v[1:4], off offset:192
	s_waitcnt vmcnt(0)
	ds_store_b128 v141, v[5:8]
.LBB32_187:
	s_or_b32 exec_lo, exec_lo, s2
	s_waitcnt lgkmcnt(0)
	s_waitcnt_vscnt null, 0x0
	s_barrier
	buffer_gl0_inv
	s_clause 0x7
	scratch_load_b128 v[2:5], off, off offset:208
	scratch_load_b128 v[6:9], off, off offset:224
	;; [unrolled: 1-line block ×8, first 2 shown]
	ds_load_b128 v[34:37], v1 offset:736
	ds_load_b128 v[142:145], v1 offset:752
	s_clause 0x1
	scratch_load_b128 v[38:41], off, off offset:336
	scratch_load_b128 v[146:149], off, off offset:352
	s_mov_b32 s2, exec_lo
	s_waitcnt vmcnt(9) lgkmcnt(1)
	v_mul_f64 v[150:151], v[36:37], v[4:5]
	v_mul_f64 v[4:5], v[34:35], v[4:5]
	s_waitcnt vmcnt(8) lgkmcnt(0)
	v_mul_f64 v[152:153], v[142:143], v[8:9]
	v_mul_f64 v[8:9], v[144:145], v[8:9]
	s_delay_alu instid0(VALU_DEP_4) | instskip(NEXT) | instid1(VALU_DEP_4)
	v_fma_f64 v[150:151], v[34:35], v[2:3], -v[150:151]
	v_fma_f64 v[154:155], v[36:37], v[2:3], v[4:5]
	ds_load_b128 v[2:5], v1 offset:768
	scratch_load_b128 v[34:37], off, off offset:368
	v_fma_f64 v[152:153], v[144:145], v[6:7], v[152:153]
	v_fma_f64 v[158:159], v[142:143], v[6:7], -v[8:9]
	ds_load_b128 v[6:9], v1 offset:784
	scratch_load_b128 v[142:145], off, off offset:384
	s_waitcnt vmcnt(9) lgkmcnt(1)
	v_mul_f64 v[156:157], v[2:3], v[12:13]
	v_mul_f64 v[12:13], v[4:5], v[12:13]
	s_waitcnt vmcnt(8) lgkmcnt(0)
	v_mul_f64 v[160:161], v[6:7], v[16:17]
	v_mul_f64 v[16:17], v[8:9], v[16:17]
	v_add_f64 v[150:151], v[150:151], 0
	v_add_f64 v[154:155], v[154:155], 0
	v_fma_f64 v[156:157], v[4:5], v[10:11], v[156:157]
	v_fma_f64 v[162:163], v[2:3], v[10:11], -v[12:13]
	scratch_load_b128 v[10:13], off, off offset:400
	ds_load_b128 v[2:5], v1 offset:800
	v_add_f64 v[150:151], v[150:151], v[158:159]
	v_add_f64 v[152:153], v[154:155], v[152:153]
	v_fma_f64 v[158:159], v[8:9], v[14:15], v[160:161]
	v_fma_f64 v[160:161], v[6:7], v[14:15], -v[16:17]
	ds_load_b128 v[6:9], v1 offset:816
	scratch_load_b128 v[14:17], off, off offset:416
	s_waitcnt vmcnt(9) lgkmcnt(1)
	v_mul_f64 v[154:155], v[2:3], v[20:21]
	v_mul_f64 v[20:21], v[4:5], v[20:21]
	v_add_f64 v[150:151], v[150:151], v[162:163]
	v_add_f64 v[152:153], v[152:153], v[156:157]
	s_waitcnt vmcnt(8) lgkmcnt(0)
	v_mul_f64 v[156:157], v[6:7], v[24:25]
	v_mul_f64 v[24:25], v[8:9], v[24:25]
	v_fma_f64 v[154:155], v[4:5], v[18:19], v[154:155]
	v_fma_f64 v[162:163], v[2:3], v[18:19], -v[20:21]
	scratch_load_b128 v[18:21], off, off offset:432
	ds_load_b128 v[2:5], v1 offset:832
	v_add_f64 v[150:151], v[150:151], v[160:161]
	v_add_f64 v[152:153], v[152:153], v[158:159]
	v_fma_f64 v[156:157], v[8:9], v[22:23], v[156:157]
	v_fma_f64 v[160:161], v[6:7], v[22:23], -v[24:25]
	ds_load_b128 v[6:9], v1 offset:848
	s_waitcnt vmcnt(8) lgkmcnt(1)
	v_mul_f64 v[158:159], v[2:3], v[28:29]
	v_mul_f64 v[28:29], v[4:5], v[28:29]
	scratch_load_b128 v[22:25], off, off offset:448
	v_add_f64 v[150:151], v[150:151], v[162:163]
	v_add_f64 v[152:153], v[152:153], v[154:155]
	s_waitcnt vmcnt(8) lgkmcnt(0)
	v_mul_f64 v[154:155], v[6:7], v[32:33]
	v_mul_f64 v[32:33], v[8:9], v[32:33]
	v_fma_f64 v[158:159], v[4:5], v[26:27], v[158:159]
	v_fma_f64 v[162:163], v[2:3], v[26:27], -v[28:29]
	scratch_load_b128 v[26:29], off, off offset:464
	ds_load_b128 v[2:5], v1 offset:864
	v_add_f64 v[150:151], v[150:151], v[160:161]
	v_add_f64 v[152:153], v[152:153], v[156:157]
	v_fma_f64 v[154:155], v[8:9], v[30:31], v[154:155]
	v_fma_f64 v[160:161], v[6:7], v[30:31], -v[32:33]
	ds_load_b128 v[6:9], v1 offset:880
	s_waitcnt vmcnt(8) lgkmcnt(1)
	v_mul_f64 v[156:157], v[2:3], v[40:41]
	v_mul_f64 v[40:41], v[4:5], v[40:41]
	scratch_load_b128 v[30:33], off, off offset:480
	v_add_f64 v[150:151], v[150:151], v[162:163]
	v_add_f64 v[152:153], v[152:153], v[158:159]
	s_waitcnt vmcnt(8) lgkmcnt(0)
	v_mul_f64 v[158:159], v[6:7], v[148:149]
	v_mul_f64 v[148:149], v[8:9], v[148:149]
	v_fma_f64 v[156:157], v[4:5], v[38:39], v[156:157]
	v_fma_f64 v[162:163], v[2:3], v[38:39], -v[40:41]
	scratch_load_b128 v[38:41], off, off offset:496
	ds_load_b128 v[2:5], v1 offset:896
	v_add_f64 v[150:151], v[150:151], v[160:161]
	v_add_f64 v[152:153], v[152:153], v[154:155]
	v_fma_f64 v[158:159], v[8:9], v[146:147], v[158:159]
	v_fma_f64 v[160:161], v[6:7], v[146:147], -v[148:149]
	ds_load_b128 v[6:9], v1 offset:912
	scratch_load_b128 v[146:149], off, off offset:512
	s_waitcnt vmcnt(9) lgkmcnt(1)
	v_mul_f64 v[154:155], v[2:3], v[36:37]
	v_mul_f64 v[36:37], v[4:5], v[36:37]
	v_add_f64 v[150:151], v[150:151], v[162:163]
	v_add_f64 v[152:153], v[152:153], v[156:157]
	s_delay_alu instid0(VALU_DEP_4) | instskip(NEXT) | instid1(VALU_DEP_4)
	v_fma_f64 v[154:155], v[4:5], v[34:35], v[154:155]
	v_fma_f64 v[34:35], v[2:3], v[34:35], -v[36:37]
	ds_load_b128 v[2:5], v1 offset:928
	v_add_f64 v[36:37], v[150:151], v[160:161]
	v_add_f64 v[150:151], v[152:153], v[158:159]
	s_waitcnt vmcnt(7) lgkmcnt(0)
	v_mul_f64 v[152:153], v[2:3], v[12:13]
	v_mul_f64 v[12:13], v[4:5], v[12:13]
	s_delay_alu instid0(VALU_DEP_4) | instskip(NEXT) | instid1(VALU_DEP_4)
	v_add_f64 v[34:35], v[36:37], v[34:35]
	v_add_f64 v[36:37], v[150:151], v[154:155]
	s_delay_alu instid0(VALU_DEP_4) | instskip(NEXT) | instid1(VALU_DEP_4)
	v_fma_f64 v[150:151], v[4:5], v[10:11], v[152:153]
	v_fma_f64 v[152:153], v[2:3], v[10:11], -v[12:13]
	scratch_load_b128 v[10:13], off, off offset:192
	v_mul_f64 v[156:157], v[6:7], v[144:145]
	v_mul_f64 v[144:145], v[8:9], v[144:145]
	ds_load_b128 v[2:5], v1 offset:960
	v_fma_f64 v[156:157], v[8:9], v[142:143], v[156:157]
	v_fma_f64 v[142:143], v[6:7], v[142:143], -v[144:145]
	ds_load_b128 v[6:9], v1 offset:944
	s_waitcnt vmcnt(7) lgkmcnt(0)
	v_mul_f64 v[144:145], v[6:7], v[16:17]
	v_mul_f64 v[16:17], v[8:9], v[16:17]
	v_add_f64 v[36:37], v[36:37], v[156:157]
	v_add_f64 v[34:35], v[34:35], v[142:143]
	s_waitcnt vmcnt(6)
	v_mul_f64 v[142:143], v[2:3], v[20:21]
	v_mul_f64 v[20:21], v[4:5], v[20:21]
	v_fma_f64 v[144:145], v[8:9], v[14:15], v[144:145]
	v_fma_f64 v[14:15], v[6:7], v[14:15], -v[16:17]
	ds_load_b128 v[6:9], v1 offset:976
	v_add_f64 v[16:17], v[34:35], v[152:153]
	v_add_f64 v[34:35], v[36:37], v[150:151]
	v_fma_f64 v[142:143], v[4:5], v[18:19], v[142:143]
	v_fma_f64 v[18:19], v[2:3], v[18:19], -v[20:21]
	ds_load_b128 v[2:5], v1 offset:992
	s_waitcnt vmcnt(5) lgkmcnt(1)
	v_mul_f64 v[36:37], v[6:7], v[24:25]
	v_mul_f64 v[24:25], v[8:9], v[24:25]
	s_waitcnt vmcnt(4) lgkmcnt(0)
	v_mul_f64 v[20:21], v[2:3], v[28:29]
	v_mul_f64 v[28:29], v[4:5], v[28:29]
	v_add_f64 v[14:15], v[16:17], v[14:15]
	v_add_f64 v[16:17], v[34:35], v[144:145]
	v_fma_f64 v[34:35], v[8:9], v[22:23], v[36:37]
	v_fma_f64 v[22:23], v[6:7], v[22:23], -v[24:25]
	ds_load_b128 v[6:9], v1 offset:1008
	v_fma_f64 v[20:21], v[4:5], v[26:27], v[20:21]
	v_fma_f64 v[26:27], v[2:3], v[26:27], -v[28:29]
	ds_load_b128 v[2:5], v1 offset:1024
	s_waitcnt vmcnt(3) lgkmcnt(1)
	v_mul_f64 v[24:25], v[8:9], v[32:33]
	v_add_f64 v[14:15], v[14:15], v[18:19]
	v_add_f64 v[16:17], v[16:17], v[142:143]
	v_mul_f64 v[18:19], v[6:7], v[32:33]
	s_waitcnt vmcnt(2) lgkmcnt(0)
	v_mul_f64 v[28:29], v[4:5], v[40:41]
	v_fma_f64 v[24:25], v[6:7], v[30:31], -v[24:25]
	v_add_f64 v[14:15], v[14:15], v[22:23]
	v_add_f64 v[16:17], v[16:17], v[34:35]
	v_mul_f64 v[22:23], v[2:3], v[40:41]
	v_fma_f64 v[18:19], v[8:9], v[30:31], v[18:19]
	ds_load_b128 v[6:9], v1 offset:1040
	v_fma_f64 v[1:2], v[2:3], v[38:39], -v[28:29]
	v_add_f64 v[14:15], v[14:15], v[26:27]
	v_add_f64 v[16:17], v[16:17], v[20:21]
	s_waitcnt vmcnt(1) lgkmcnt(0)
	v_mul_f64 v[20:21], v[6:7], v[148:149]
	v_mul_f64 v[26:27], v[8:9], v[148:149]
	v_fma_f64 v[4:5], v[4:5], v[38:39], v[22:23]
	v_add_f64 v[14:15], v[14:15], v[24:25]
	v_add_f64 v[16:17], v[16:17], v[18:19]
	v_fma_f64 v[8:9], v[8:9], v[146:147], v[20:21]
	v_fma_f64 v[6:7], v[6:7], v[146:147], -v[26:27]
	s_delay_alu instid0(VALU_DEP_4) | instskip(NEXT) | instid1(VALU_DEP_4)
	v_add_f64 v[1:2], v[14:15], v[1:2]
	v_add_f64 v[3:4], v[16:17], v[4:5]
	s_delay_alu instid0(VALU_DEP_2) | instskip(NEXT) | instid1(VALU_DEP_2)
	v_add_f64 v[1:2], v[1:2], v[6:7]
	v_add_f64 v[3:4], v[3:4], v[8:9]
	s_waitcnt vmcnt(0)
	s_delay_alu instid0(VALU_DEP_2) | instskip(NEXT) | instid1(VALU_DEP_2)
	v_add_f64 v[1:2], v[10:11], -v[1:2]
	v_add_f64 v[3:4], v[12:13], -v[3:4]
	scratch_store_b128 off, v[1:4], off offset:192
	v_cmpx_lt_u32_e32 11, v108
	s_cbranch_execz .LBB32_189
; %bb.188:
	scratch_load_b128 v[1:4], v134, off
	v_mov_b32_e32 v5, 0
	s_delay_alu instid0(VALU_DEP_1)
	v_mov_b32_e32 v6, v5
	v_mov_b32_e32 v7, v5
	;; [unrolled: 1-line block ×3, first 2 shown]
	scratch_store_b128 off, v[5:8], off offset:176
	s_waitcnt vmcnt(0)
	ds_store_b128 v141, v[1:4]
.LBB32_189:
	s_or_b32 exec_lo, exec_lo, s2
	s_waitcnt lgkmcnt(0)
	s_waitcnt_vscnt null, 0x0
	s_barrier
	buffer_gl0_inv
	s_clause 0x7
	scratch_load_b128 v[2:5], off, off offset:192
	scratch_load_b128 v[6:9], off, off offset:208
	;; [unrolled: 1-line block ×8, first 2 shown]
	v_mov_b32_e32 v1, 0
	s_clause 0x1
	scratch_load_b128 v[38:41], off, off offset:320
	scratch_load_b128 v[146:149], off, off offset:336
	s_mov_b32 s2, exec_lo
	ds_load_b128 v[34:37], v1 offset:720
	ds_load_b128 v[142:145], v1 offset:736
	s_waitcnt vmcnt(9) lgkmcnt(1)
	v_mul_f64 v[150:151], v[36:37], v[4:5]
	v_mul_f64 v[4:5], v[34:35], v[4:5]
	s_waitcnt vmcnt(8) lgkmcnt(0)
	v_mul_f64 v[152:153], v[142:143], v[8:9]
	v_mul_f64 v[8:9], v[144:145], v[8:9]
	s_delay_alu instid0(VALU_DEP_4) | instskip(NEXT) | instid1(VALU_DEP_4)
	v_fma_f64 v[150:151], v[34:35], v[2:3], -v[150:151]
	v_fma_f64 v[154:155], v[36:37], v[2:3], v[4:5]
	ds_load_b128 v[2:5], v1 offset:752
	scratch_load_b128 v[34:37], off, off offset:352
	v_fma_f64 v[152:153], v[144:145], v[6:7], v[152:153]
	v_fma_f64 v[158:159], v[142:143], v[6:7], -v[8:9]
	scratch_load_b128 v[142:145], off, off offset:368
	ds_load_b128 v[6:9], v1 offset:768
	s_waitcnt vmcnt(9) lgkmcnt(1)
	v_mul_f64 v[156:157], v[2:3], v[12:13]
	v_mul_f64 v[12:13], v[4:5], v[12:13]
	s_waitcnt vmcnt(8) lgkmcnt(0)
	v_mul_f64 v[160:161], v[6:7], v[16:17]
	v_mul_f64 v[16:17], v[8:9], v[16:17]
	v_add_f64 v[150:151], v[150:151], 0
	v_add_f64 v[154:155], v[154:155], 0
	v_fma_f64 v[156:157], v[4:5], v[10:11], v[156:157]
	v_fma_f64 v[162:163], v[2:3], v[10:11], -v[12:13]
	ds_load_b128 v[2:5], v1 offset:784
	scratch_load_b128 v[10:13], off, off offset:384
	v_add_f64 v[150:151], v[150:151], v[158:159]
	v_add_f64 v[152:153], v[154:155], v[152:153]
	v_fma_f64 v[158:159], v[8:9], v[14:15], v[160:161]
	v_fma_f64 v[160:161], v[6:7], v[14:15], -v[16:17]
	scratch_load_b128 v[14:17], off, off offset:400
	ds_load_b128 v[6:9], v1 offset:800
	s_waitcnt vmcnt(9) lgkmcnt(1)
	v_mul_f64 v[154:155], v[2:3], v[20:21]
	v_mul_f64 v[20:21], v[4:5], v[20:21]
	v_add_f64 v[150:151], v[150:151], v[162:163]
	v_add_f64 v[152:153], v[152:153], v[156:157]
	s_waitcnt vmcnt(8) lgkmcnt(0)
	v_mul_f64 v[156:157], v[6:7], v[24:25]
	v_mul_f64 v[24:25], v[8:9], v[24:25]
	v_fma_f64 v[154:155], v[4:5], v[18:19], v[154:155]
	v_fma_f64 v[162:163], v[2:3], v[18:19], -v[20:21]
	ds_load_b128 v[2:5], v1 offset:816
	scratch_load_b128 v[18:21], off, off offset:416
	v_add_f64 v[150:151], v[150:151], v[160:161]
	v_add_f64 v[152:153], v[152:153], v[158:159]
	v_fma_f64 v[156:157], v[8:9], v[22:23], v[156:157]
	v_fma_f64 v[160:161], v[6:7], v[22:23], -v[24:25]
	ds_load_b128 v[6:9], v1 offset:832
	s_waitcnt vmcnt(8) lgkmcnt(1)
	v_mul_f64 v[158:159], v[2:3], v[28:29]
	v_mul_f64 v[28:29], v[4:5], v[28:29]
	scratch_load_b128 v[22:25], off, off offset:432
	v_add_f64 v[150:151], v[150:151], v[162:163]
	v_add_f64 v[152:153], v[152:153], v[154:155]
	s_waitcnt vmcnt(8) lgkmcnt(0)
	v_mul_f64 v[154:155], v[6:7], v[32:33]
	v_mul_f64 v[32:33], v[8:9], v[32:33]
	v_fma_f64 v[158:159], v[4:5], v[26:27], v[158:159]
	v_fma_f64 v[162:163], v[2:3], v[26:27], -v[28:29]
	scratch_load_b128 v[26:29], off, off offset:448
	ds_load_b128 v[2:5], v1 offset:848
	v_add_f64 v[150:151], v[150:151], v[160:161]
	v_add_f64 v[152:153], v[152:153], v[156:157]
	v_fma_f64 v[154:155], v[8:9], v[30:31], v[154:155]
	v_fma_f64 v[160:161], v[6:7], v[30:31], -v[32:33]
	ds_load_b128 v[6:9], v1 offset:864
	s_waitcnt vmcnt(8) lgkmcnt(1)
	v_mul_f64 v[156:157], v[2:3], v[40:41]
	v_mul_f64 v[40:41], v[4:5], v[40:41]
	scratch_load_b128 v[30:33], off, off offset:464
	v_add_f64 v[150:151], v[150:151], v[162:163]
	v_add_f64 v[152:153], v[152:153], v[158:159]
	s_waitcnt vmcnt(8) lgkmcnt(0)
	v_mul_f64 v[158:159], v[6:7], v[148:149]
	v_mul_f64 v[148:149], v[8:9], v[148:149]
	v_fma_f64 v[156:157], v[4:5], v[38:39], v[156:157]
	v_fma_f64 v[162:163], v[2:3], v[38:39], -v[40:41]
	scratch_load_b128 v[38:41], off, off offset:480
	ds_load_b128 v[2:5], v1 offset:880
	v_add_f64 v[150:151], v[150:151], v[160:161]
	v_add_f64 v[152:153], v[152:153], v[154:155]
	v_fma_f64 v[158:159], v[8:9], v[146:147], v[158:159]
	v_fma_f64 v[160:161], v[6:7], v[146:147], -v[148:149]
	ds_load_b128 v[6:9], v1 offset:896
	scratch_load_b128 v[146:149], off, off offset:496
	s_waitcnt vmcnt(9) lgkmcnt(1)
	v_mul_f64 v[154:155], v[2:3], v[36:37]
	v_mul_f64 v[36:37], v[4:5], v[36:37]
	v_add_f64 v[150:151], v[150:151], v[162:163]
	v_add_f64 v[152:153], v[152:153], v[156:157]
	s_waitcnt vmcnt(8) lgkmcnt(0)
	v_mul_f64 v[156:157], v[6:7], v[144:145]
	v_mul_f64 v[144:145], v[8:9], v[144:145]
	v_fma_f64 v[154:155], v[4:5], v[34:35], v[154:155]
	v_fma_f64 v[162:163], v[2:3], v[34:35], -v[36:37]
	scratch_load_b128 v[34:37], off, off offset:512
	ds_load_b128 v[2:5], v1 offset:912
	v_add_f64 v[150:151], v[150:151], v[160:161]
	v_add_f64 v[152:153], v[152:153], v[158:159]
	v_fma_f64 v[156:157], v[8:9], v[142:143], v[156:157]
	v_fma_f64 v[142:143], v[6:7], v[142:143], -v[144:145]
	ds_load_b128 v[6:9], v1 offset:928
	s_waitcnt vmcnt(8) lgkmcnt(1)
	v_mul_f64 v[158:159], v[2:3], v[12:13]
	v_mul_f64 v[12:13], v[4:5], v[12:13]
	v_add_f64 v[144:145], v[150:151], v[162:163]
	v_add_f64 v[150:151], v[152:153], v[154:155]
	s_waitcnt vmcnt(7) lgkmcnt(0)
	v_mul_f64 v[152:153], v[6:7], v[16:17]
	v_mul_f64 v[16:17], v[8:9], v[16:17]
	v_fma_f64 v[154:155], v[4:5], v[10:11], v[158:159]
	v_fma_f64 v[10:11], v[2:3], v[10:11], -v[12:13]
	ds_load_b128 v[2:5], v1 offset:944
	v_add_f64 v[12:13], v[144:145], v[142:143]
	v_add_f64 v[142:143], v[150:151], v[156:157]
	v_fma_f64 v[150:151], v[8:9], v[14:15], v[152:153]
	v_fma_f64 v[14:15], v[6:7], v[14:15], -v[16:17]
	ds_load_b128 v[6:9], v1 offset:960
	s_waitcnt vmcnt(5) lgkmcnt(0)
	v_mul_f64 v[152:153], v[6:7], v[24:25]
	v_mul_f64 v[24:25], v[8:9], v[24:25]
	v_add_f64 v[16:17], v[12:13], v[10:11]
	v_add_f64 v[142:143], v[142:143], v[154:155]
	scratch_load_b128 v[10:13], off, off offset:176
	v_mul_f64 v[144:145], v[2:3], v[20:21]
	v_mul_f64 v[20:21], v[4:5], v[20:21]
	v_add_f64 v[14:15], v[16:17], v[14:15]
	v_add_f64 v[16:17], v[142:143], v[150:151]
	v_fma_f64 v[142:143], v[8:9], v[22:23], v[152:153]
	v_fma_f64 v[144:145], v[4:5], v[18:19], v[144:145]
	v_fma_f64 v[18:19], v[2:3], v[18:19], -v[20:21]
	ds_load_b128 v[2:5], v1 offset:976
	v_fma_f64 v[22:23], v[6:7], v[22:23], -v[24:25]
	ds_load_b128 v[6:9], v1 offset:992
	s_waitcnt vmcnt(5) lgkmcnt(1)
	v_mul_f64 v[20:21], v[2:3], v[28:29]
	v_mul_f64 v[28:29], v[4:5], v[28:29]
	s_waitcnt vmcnt(4) lgkmcnt(0)
	v_mul_f64 v[24:25], v[8:9], v[32:33]
	v_add_f64 v[16:17], v[16:17], v[144:145]
	v_add_f64 v[14:15], v[14:15], v[18:19]
	v_mul_f64 v[18:19], v[6:7], v[32:33]
	v_fma_f64 v[20:21], v[4:5], v[26:27], v[20:21]
	v_fma_f64 v[26:27], v[2:3], v[26:27], -v[28:29]
	ds_load_b128 v[2:5], v1 offset:1008
	v_fma_f64 v[24:25], v[6:7], v[30:31], -v[24:25]
	v_add_f64 v[16:17], v[16:17], v[142:143]
	v_add_f64 v[14:15], v[14:15], v[22:23]
	v_fma_f64 v[18:19], v[8:9], v[30:31], v[18:19]
	ds_load_b128 v[6:9], v1 offset:1024
	s_waitcnt vmcnt(3) lgkmcnt(1)
	v_mul_f64 v[22:23], v[2:3], v[40:41]
	v_mul_f64 v[28:29], v[4:5], v[40:41]
	v_add_f64 v[16:17], v[16:17], v[20:21]
	v_add_f64 v[14:15], v[14:15], v[26:27]
	s_waitcnt vmcnt(2) lgkmcnt(0)
	v_mul_f64 v[20:21], v[6:7], v[148:149]
	v_mul_f64 v[26:27], v[8:9], v[148:149]
	v_fma_f64 v[22:23], v[4:5], v[38:39], v[22:23]
	v_fma_f64 v[28:29], v[2:3], v[38:39], -v[28:29]
	ds_load_b128 v[2:5], v1 offset:1040
	v_add_f64 v[16:17], v[16:17], v[18:19]
	v_add_f64 v[14:15], v[14:15], v[24:25]
	s_waitcnt vmcnt(1) lgkmcnt(0)
	v_mul_f64 v[18:19], v[2:3], v[36:37]
	v_mul_f64 v[24:25], v[4:5], v[36:37]
	v_fma_f64 v[8:9], v[8:9], v[146:147], v[20:21]
	v_fma_f64 v[6:7], v[6:7], v[146:147], -v[26:27]
	v_add_f64 v[16:17], v[16:17], v[22:23]
	v_add_f64 v[14:15], v[14:15], v[28:29]
	v_fma_f64 v[4:5], v[4:5], v[34:35], v[18:19]
	v_fma_f64 v[2:3], v[2:3], v[34:35], -v[24:25]
	s_delay_alu instid0(VALU_DEP_4) | instskip(NEXT) | instid1(VALU_DEP_4)
	v_add_f64 v[8:9], v[16:17], v[8:9]
	v_add_f64 v[6:7], v[14:15], v[6:7]
	s_delay_alu instid0(VALU_DEP_2) | instskip(NEXT) | instid1(VALU_DEP_2)
	v_add_f64 v[4:5], v[8:9], v[4:5]
	v_add_f64 v[2:3], v[6:7], v[2:3]
	s_waitcnt vmcnt(0)
	s_delay_alu instid0(VALU_DEP_2) | instskip(NEXT) | instid1(VALU_DEP_2)
	v_add_f64 v[4:5], v[12:13], -v[4:5]
	v_add_f64 v[2:3], v[10:11], -v[2:3]
	scratch_store_b128 off, v[2:5], off offset:176
	v_cmpx_lt_u32_e32 10, v108
	s_cbranch_execz .LBB32_191
; %bb.190:
	scratch_load_b128 v[5:8], v135, off
	v_mov_b32_e32 v2, v1
	v_mov_b32_e32 v3, v1
	;; [unrolled: 1-line block ×3, first 2 shown]
	scratch_store_b128 off, v[1:4], off offset:160
	s_waitcnt vmcnt(0)
	ds_store_b128 v141, v[5:8]
.LBB32_191:
	s_or_b32 exec_lo, exec_lo, s2
	s_waitcnt lgkmcnt(0)
	s_waitcnt_vscnt null, 0x0
	s_barrier
	buffer_gl0_inv
	s_clause 0x7
	scratch_load_b128 v[2:5], off, off offset:176
	scratch_load_b128 v[6:9], off, off offset:192
	;; [unrolled: 1-line block ×8, first 2 shown]
	ds_load_b128 v[34:37], v1 offset:704
	ds_load_b128 v[142:145], v1 offset:720
	s_clause 0x1
	scratch_load_b128 v[38:41], off, off offset:304
	scratch_load_b128 v[146:149], off, off offset:320
	s_mov_b32 s2, exec_lo
	s_waitcnt vmcnt(9) lgkmcnt(1)
	v_mul_f64 v[150:151], v[36:37], v[4:5]
	v_mul_f64 v[4:5], v[34:35], v[4:5]
	s_waitcnt vmcnt(8) lgkmcnt(0)
	v_mul_f64 v[152:153], v[142:143], v[8:9]
	v_mul_f64 v[8:9], v[144:145], v[8:9]
	s_delay_alu instid0(VALU_DEP_4) | instskip(NEXT) | instid1(VALU_DEP_4)
	v_fma_f64 v[150:151], v[34:35], v[2:3], -v[150:151]
	v_fma_f64 v[154:155], v[36:37], v[2:3], v[4:5]
	ds_load_b128 v[2:5], v1 offset:736
	scratch_load_b128 v[34:37], off, off offset:336
	v_fma_f64 v[152:153], v[144:145], v[6:7], v[152:153]
	v_fma_f64 v[158:159], v[142:143], v[6:7], -v[8:9]
	scratch_load_b128 v[142:145], off, off offset:352
	ds_load_b128 v[6:9], v1 offset:752
	s_waitcnt vmcnt(9) lgkmcnt(1)
	v_mul_f64 v[156:157], v[2:3], v[12:13]
	v_mul_f64 v[12:13], v[4:5], v[12:13]
	s_waitcnt vmcnt(8) lgkmcnt(0)
	v_mul_f64 v[160:161], v[6:7], v[16:17]
	v_mul_f64 v[16:17], v[8:9], v[16:17]
	v_add_f64 v[150:151], v[150:151], 0
	v_add_f64 v[154:155], v[154:155], 0
	v_fma_f64 v[156:157], v[4:5], v[10:11], v[156:157]
	v_fma_f64 v[162:163], v[2:3], v[10:11], -v[12:13]
	ds_load_b128 v[2:5], v1 offset:768
	scratch_load_b128 v[10:13], off, off offset:368
	v_add_f64 v[150:151], v[150:151], v[158:159]
	v_add_f64 v[152:153], v[154:155], v[152:153]
	v_fma_f64 v[158:159], v[8:9], v[14:15], v[160:161]
	v_fma_f64 v[160:161], v[6:7], v[14:15], -v[16:17]
	scratch_load_b128 v[14:17], off, off offset:384
	ds_load_b128 v[6:9], v1 offset:784
	s_waitcnt vmcnt(9) lgkmcnt(1)
	v_mul_f64 v[154:155], v[2:3], v[20:21]
	v_mul_f64 v[20:21], v[4:5], v[20:21]
	v_add_f64 v[150:151], v[150:151], v[162:163]
	v_add_f64 v[152:153], v[152:153], v[156:157]
	s_waitcnt vmcnt(8) lgkmcnt(0)
	v_mul_f64 v[156:157], v[6:7], v[24:25]
	v_mul_f64 v[24:25], v[8:9], v[24:25]
	v_fma_f64 v[154:155], v[4:5], v[18:19], v[154:155]
	v_fma_f64 v[162:163], v[2:3], v[18:19], -v[20:21]
	ds_load_b128 v[2:5], v1 offset:800
	scratch_load_b128 v[18:21], off, off offset:400
	v_add_f64 v[150:151], v[150:151], v[160:161]
	v_add_f64 v[152:153], v[152:153], v[158:159]
	v_fma_f64 v[156:157], v[8:9], v[22:23], v[156:157]
	v_fma_f64 v[160:161], v[6:7], v[22:23], -v[24:25]
	ds_load_b128 v[6:9], v1 offset:816
	s_waitcnt vmcnt(8) lgkmcnt(1)
	v_mul_f64 v[158:159], v[2:3], v[28:29]
	v_mul_f64 v[28:29], v[4:5], v[28:29]
	scratch_load_b128 v[22:25], off, off offset:416
	v_add_f64 v[150:151], v[150:151], v[162:163]
	v_add_f64 v[152:153], v[152:153], v[154:155]
	s_waitcnt vmcnt(8) lgkmcnt(0)
	v_mul_f64 v[154:155], v[6:7], v[32:33]
	v_mul_f64 v[32:33], v[8:9], v[32:33]
	v_fma_f64 v[158:159], v[4:5], v[26:27], v[158:159]
	v_fma_f64 v[162:163], v[2:3], v[26:27], -v[28:29]
	ds_load_b128 v[2:5], v1 offset:832
	scratch_load_b128 v[26:29], off, off offset:432
	v_add_f64 v[150:151], v[150:151], v[160:161]
	v_add_f64 v[152:153], v[152:153], v[156:157]
	v_fma_f64 v[154:155], v[8:9], v[30:31], v[154:155]
	v_fma_f64 v[160:161], v[6:7], v[30:31], -v[32:33]
	ds_load_b128 v[6:9], v1 offset:848
	s_waitcnt vmcnt(8) lgkmcnt(1)
	v_mul_f64 v[156:157], v[2:3], v[40:41]
	v_mul_f64 v[40:41], v[4:5], v[40:41]
	scratch_load_b128 v[30:33], off, off offset:448
	v_add_f64 v[150:151], v[150:151], v[162:163]
	v_add_f64 v[152:153], v[152:153], v[158:159]
	s_waitcnt vmcnt(8) lgkmcnt(0)
	v_mul_f64 v[158:159], v[6:7], v[148:149]
	v_mul_f64 v[148:149], v[8:9], v[148:149]
	v_fma_f64 v[156:157], v[4:5], v[38:39], v[156:157]
	v_fma_f64 v[162:163], v[2:3], v[38:39], -v[40:41]
	scratch_load_b128 v[38:41], off, off offset:464
	ds_load_b128 v[2:5], v1 offset:864
	v_add_f64 v[150:151], v[150:151], v[160:161]
	v_add_f64 v[152:153], v[152:153], v[154:155]
	v_fma_f64 v[158:159], v[8:9], v[146:147], v[158:159]
	v_fma_f64 v[160:161], v[6:7], v[146:147], -v[148:149]
	ds_load_b128 v[6:9], v1 offset:880
	scratch_load_b128 v[146:149], off, off offset:480
	s_waitcnt vmcnt(9) lgkmcnt(1)
	v_mul_f64 v[154:155], v[2:3], v[36:37]
	v_mul_f64 v[36:37], v[4:5], v[36:37]
	v_add_f64 v[150:151], v[150:151], v[162:163]
	v_add_f64 v[152:153], v[152:153], v[156:157]
	s_waitcnt vmcnt(8) lgkmcnt(0)
	v_mul_f64 v[156:157], v[6:7], v[144:145]
	v_mul_f64 v[144:145], v[8:9], v[144:145]
	v_fma_f64 v[154:155], v[4:5], v[34:35], v[154:155]
	v_fma_f64 v[162:163], v[2:3], v[34:35], -v[36:37]
	scratch_load_b128 v[34:37], off, off offset:496
	ds_load_b128 v[2:5], v1 offset:896
	v_add_f64 v[150:151], v[150:151], v[160:161]
	v_add_f64 v[152:153], v[152:153], v[158:159]
	v_fma_f64 v[156:157], v[8:9], v[142:143], v[156:157]
	v_fma_f64 v[160:161], v[6:7], v[142:143], -v[144:145]
	ds_load_b128 v[6:9], v1 offset:912
	s_waitcnt vmcnt(8) lgkmcnt(1)
	v_mul_f64 v[158:159], v[2:3], v[12:13]
	v_mul_f64 v[12:13], v[4:5], v[12:13]
	scratch_load_b128 v[142:145], off, off offset:512
	v_add_f64 v[150:151], v[150:151], v[162:163]
	v_add_f64 v[152:153], v[152:153], v[154:155]
	s_waitcnt vmcnt(8) lgkmcnt(0)
	v_mul_f64 v[154:155], v[6:7], v[16:17]
	v_mul_f64 v[16:17], v[8:9], v[16:17]
	v_fma_f64 v[158:159], v[4:5], v[10:11], v[158:159]
	v_fma_f64 v[10:11], v[2:3], v[10:11], -v[12:13]
	ds_load_b128 v[2:5], v1 offset:928
	v_add_f64 v[12:13], v[150:151], v[160:161]
	v_add_f64 v[150:151], v[152:153], v[156:157]
	v_fma_f64 v[154:155], v[8:9], v[14:15], v[154:155]
	v_fma_f64 v[14:15], v[6:7], v[14:15], -v[16:17]
	ds_load_b128 v[6:9], v1 offset:944
	s_waitcnt vmcnt(7) lgkmcnt(1)
	v_mul_f64 v[152:153], v[2:3], v[20:21]
	v_mul_f64 v[20:21], v[4:5], v[20:21]
	v_add_f64 v[10:11], v[12:13], v[10:11]
	v_add_f64 v[12:13], v[150:151], v[158:159]
	s_delay_alu instid0(VALU_DEP_4) | instskip(NEXT) | instid1(VALU_DEP_4)
	v_fma_f64 v[150:151], v[4:5], v[18:19], v[152:153]
	v_fma_f64 v[18:19], v[2:3], v[18:19], -v[20:21]
	ds_load_b128 v[2:5], v1 offset:960
	v_add_f64 v[14:15], v[10:11], v[14:15]
	v_add_f64 v[20:21], v[12:13], v[154:155]
	scratch_load_b128 v[10:13], off, off offset:160
	s_waitcnt vmcnt(7) lgkmcnt(1)
	v_mul_f64 v[16:17], v[6:7], v[24:25]
	v_mul_f64 v[24:25], v[8:9], v[24:25]
	v_add_f64 v[14:15], v[14:15], v[18:19]
	v_add_f64 v[18:19], v[20:21], v[150:151]
	s_delay_alu instid0(VALU_DEP_4) | instskip(NEXT) | instid1(VALU_DEP_4)
	v_fma_f64 v[16:17], v[8:9], v[22:23], v[16:17]
	v_fma_f64 v[22:23], v[6:7], v[22:23], -v[24:25]
	ds_load_b128 v[6:9], v1 offset:976
	s_waitcnt vmcnt(6) lgkmcnt(1)
	v_mul_f64 v[152:153], v[2:3], v[28:29]
	v_mul_f64 v[28:29], v[4:5], v[28:29]
	s_waitcnt vmcnt(5) lgkmcnt(0)
	v_mul_f64 v[20:21], v[6:7], v[32:33]
	v_mul_f64 v[24:25], v[8:9], v[32:33]
	v_add_f64 v[16:17], v[18:19], v[16:17]
	v_add_f64 v[14:15], v[14:15], v[22:23]
	v_fma_f64 v[32:33], v[4:5], v[26:27], v[152:153]
	v_fma_f64 v[26:27], v[2:3], v[26:27], -v[28:29]
	ds_load_b128 v[2:5], v1 offset:992
	v_fma_f64 v[20:21], v[8:9], v[30:31], v[20:21]
	v_fma_f64 v[24:25], v[6:7], v[30:31], -v[24:25]
	ds_load_b128 v[6:9], v1 offset:1008
	s_waitcnt vmcnt(4) lgkmcnt(1)
	v_mul_f64 v[18:19], v[2:3], v[40:41]
	v_mul_f64 v[22:23], v[4:5], v[40:41]
	v_add_f64 v[16:17], v[16:17], v[32:33]
	v_add_f64 v[14:15], v[14:15], v[26:27]
	s_waitcnt vmcnt(3) lgkmcnt(0)
	v_mul_f64 v[26:27], v[6:7], v[148:149]
	v_mul_f64 v[28:29], v[8:9], v[148:149]
	v_fma_f64 v[18:19], v[4:5], v[38:39], v[18:19]
	v_fma_f64 v[22:23], v[2:3], v[38:39], -v[22:23]
	ds_load_b128 v[2:5], v1 offset:1024
	v_add_f64 v[16:17], v[16:17], v[20:21]
	v_add_f64 v[14:15], v[14:15], v[24:25]
	v_fma_f64 v[26:27], v[8:9], v[146:147], v[26:27]
	v_fma_f64 v[28:29], v[6:7], v[146:147], -v[28:29]
	ds_load_b128 v[6:9], v1 offset:1040
	s_waitcnt vmcnt(2) lgkmcnt(1)
	v_mul_f64 v[20:21], v[2:3], v[36:37]
	v_mul_f64 v[24:25], v[4:5], v[36:37]
	v_add_f64 v[16:17], v[16:17], v[18:19]
	v_add_f64 v[14:15], v[14:15], v[22:23]
	s_waitcnt vmcnt(1) lgkmcnt(0)
	v_mul_f64 v[18:19], v[6:7], v[144:145]
	v_mul_f64 v[22:23], v[8:9], v[144:145]
	v_fma_f64 v[4:5], v[4:5], v[34:35], v[20:21]
	v_fma_f64 v[1:2], v[2:3], v[34:35], -v[24:25]
	v_add_f64 v[16:17], v[16:17], v[26:27]
	v_add_f64 v[14:15], v[14:15], v[28:29]
	v_fma_f64 v[8:9], v[8:9], v[142:143], v[18:19]
	v_fma_f64 v[6:7], v[6:7], v[142:143], -v[22:23]
	s_delay_alu instid0(VALU_DEP_4) | instskip(NEXT) | instid1(VALU_DEP_4)
	v_add_f64 v[3:4], v[16:17], v[4:5]
	v_add_f64 v[1:2], v[14:15], v[1:2]
	s_delay_alu instid0(VALU_DEP_2) | instskip(NEXT) | instid1(VALU_DEP_2)
	v_add_f64 v[3:4], v[3:4], v[8:9]
	v_add_f64 v[1:2], v[1:2], v[6:7]
	s_waitcnt vmcnt(0)
	s_delay_alu instid0(VALU_DEP_2) | instskip(NEXT) | instid1(VALU_DEP_2)
	v_add_f64 v[3:4], v[12:13], -v[3:4]
	v_add_f64 v[1:2], v[10:11], -v[1:2]
	scratch_store_b128 off, v[1:4], off offset:160
	v_cmpx_lt_u32_e32 9, v108
	s_cbranch_execz .LBB32_193
; %bb.192:
	scratch_load_b128 v[1:4], v137, off
	v_mov_b32_e32 v5, 0
	s_delay_alu instid0(VALU_DEP_1)
	v_mov_b32_e32 v6, v5
	v_mov_b32_e32 v7, v5
	;; [unrolled: 1-line block ×3, first 2 shown]
	scratch_store_b128 off, v[5:8], off offset:144
	s_waitcnt vmcnt(0)
	ds_store_b128 v141, v[1:4]
.LBB32_193:
	s_or_b32 exec_lo, exec_lo, s2
	s_waitcnt lgkmcnt(0)
	s_waitcnt_vscnt null, 0x0
	s_barrier
	buffer_gl0_inv
	s_clause 0x7
	scratch_load_b128 v[2:5], off, off offset:160
	scratch_load_b128 v[6:9], off, off offset:176
	;; [unrolled: 1-line block ×8, first 2 shown]
	v_mov_b32_e32 v1, 0
	s_clause 0x1
	scratch_load_b128 v[38:41], off, off offset:288
	scratch_load_b128 v[146:149], off, off offset:304
	s_mov_b32 s2, exec_lo
	ds_load_b128 v[34:37], v1 offset:688
	ds_load_b128 v[142:145], v1 offset:704
	s_waitcnt vmcnt(9) lgkmcnt(1)
	v_mul_f64 v[150:151], v[36:37], v[4:5]
	v_mul_f64 v[4:5], v[34:35], v[4:5]
	s_waitcnt vmcnt(8) lgkmcnt(0)
	v_mul_f64 v[152:153], v[142:143], v[8:9]
	v_mul_f64 v[8:9], v[144:145], v[8:9]
	s_delay_alu instid0(VALU_DEP_4) | instskip(NEXT) | instid1(VALU_DEP_4)
	v_fma_f64 v[150:151], v[34:35], v[2:3], -v[150:151]
	v_fma_f64 v[154:155], v[36:37], v[2:3], v[4:5]
	ds_load_b128 v[2:5], v1 offset:720
	scratch_load_b128 v[34:37], off, off offset:320
	v_fma_f64 v[152:153], v[144:145], v[6:7], v[152:153]
	v_fma_f64 v[158:159], v[142:143], v[6:7], -v[8:9]
	scratch_load_b128 v[142:145], off, off offset:336
	ds_load_b128 v[6:9], v1 offset:736
	s_waitcnt vmcnt(9) lgkmcnt(1)
	v_mul_f64 v[156:157], v[2:3], v[12:13]
	v_mul_f64 v[12:13], v[4:5], v[12:13]
	s_waitcnt vmcnt(8) lgkmcnt(0)
	v_mul_f64 v[160:161], v[6:7], v[16:17]
	v_mul_f64 v[16:17], v[8:9], v[16:17]
	v_add_f64 v[150:151], v[150:151], 0
	v_add_f64 v[154:155], v[154:155], 0
	v_fma_f64 v[156:157], v[4:5], v[10:11], v[156:157]
	v_fma_f64 v[162:163], v[2:3], v[10:11], -v[12:13]
	ds_load_b128 v[2:5], v1 offset:752
	scratch_load_b128 v[10:13], off, off offset:352
	v_add_f64 v[150:151], v[150:151], v[158:159]
	v_add_f64 v[152:153], v[154:155], v[152:153]
	v_fma_f64 v[158:159], v[8:9], v[14:15], v[160:161]
	v_fma_f64 v[160:161], v[6:7], v[14:15], -v[16:17]
	scratch_load_b128 v[14:17], off, off offset:368
	ds_load_b128 v[6:9], v1 offset:768
	s_waitcnt vmcnt(9) lgkmcnt(1)
	v_mul_f64 v[154:155], v[2:3], v[20:21]
	v_mul_f64 v[20:21], v[4:5], v[20:21]
	v_add_f64 v[150:151], v[150:151], v[162:163]
	v_add_f64 v[152:153], v[152:153], v[156:157]
	s_waitcnt vmcnt(8) lgkmcnt(0)
	v_mul_f64 v[156:157], v[6:7], v[24:25]
	v_mul_f64 v[24:25], v[8:9], v[24:25]
	v_fma_f64 v[154:155], v[4:5], v[18:19], v[154:155]
	v_fma_f64 v[162:163], v[2:3], v[18:19], -v[20:21]
	ds_load_b128 v[2:5], v1 offset:784
	scratch_load_b128 v[18:21], off, off offset:384
	v_add_f64 v[150:151], v[150:151], v[160:161]
	v_add_f64 v[152:153], v[152:153], v[158:159]
	v_fma_f64 v[156:157], v[8:9], v[22:23], v[156:157]
	v_fma_f64 v[160:161], v[6:7], v[22:23], -v[24:25]
	scratch_load_b128 v[22:25], off, off offset:400
	ds_load_b128 v[6:9], v1 offset:800
	s_waitcnt vmcnt(9) lgkmcnt(1)
	v_mul_f64 v[158:159], v[2:3], v[28:29]
	v_mul_f64 v[28:29], v[4:5], v[28:29]
	v_add_f64 v[150:151], v[150:151], v[162:163]
	v_add_f64 v[152:153], v[152:153], v[154:155]
	s_waitcnt vmcnt(8) lgkmcnt(0)
	v_mul_f64 v[154:155], v[6:7], v[32:33]
	v_mul_f64 v[32:33], v[8:9], v[32:33]
	v_fma_f64 v[158:159], v[4:5], v[26:27], v[158:159]
	v_fma_f64 v[162:163], v[2:3], v[26:27], -v[28:29]
	ds_load_b128 v[2:5], v1 offset:816
	scratch_load_b128 v[26:29], off, off offset:416
	v_add_f64 v[150:151], v[150:151], v[160:161]
	v_add_f64 v[152:153], v[152:153], v[156:157]
	v_fma_f64 v[154:155], v[8:9], v[30:31], v[154:155]
	v_fma_f64 v[160:161], v[6:7], v[30:31], -v[32:33]
	ds_load_b128 v[6:9], v1 offset:832
	s_waitcnt vmcnt(8) lgkmcnt(1)
	v_mul_f64 v[156:157], v[2:3], v[40:41]
	v_mul_f64 v[40:41], v[4:5], v[40:41]
	scratch_load_b128 v[30:33], off, off offset:432
	v_add_f64 v[150:151], v[150:151], v[162:163]
	v_add_f64 v[152:153], v[152:153], v[158:159]
	s_waitcnt vmcnt(8) lgkmcnt(0)
	v_mul_f64 v[158:159], v[6:7], v[148:149]
	v_mul_f64 v[148:149], v[8:9], v[148:149]
	v_fma_f64 v[156:157], v[4:5], v[38:39], v[156:157]
	v_fma_f64 v[162:163], v[2:3], v[38:39], -v[40:41]
	scratch_load_b128 v[38:41], off, off offset:448
	ds_load_b128 v[2:5], v1 offset:848
	v_add_f64 v[150:151], v[150:151], v[160:161]
	v_add_f64 v[152:153], v[152:153], v[154:155]
	v_fma_f64 v[158:159], v[8:9], v[146:147], v[158:159]
	v_fma_f64 v[160:161], v[6:7], v[146:147], -v[148:149]
	ds_load_b128 v[6:9], v1 offset:864
	scratch_load_b128 v[146:149], off, off offset:464
	s_waitcnt vmcnt(9) lgkmcnt(1)
	v_mul_f64 v[154:155], v[2:3], v[36:37]
	v_mul_f64 v[36:37], v[4:5], v[36:37]
	v_add_f64 v[150:151], v[150:151], v[162:163]
	v_add_f64 v[152:153], v[152:153], v[156:157]
	s_waitcnt vmcnt(8) lgkmcnt(0)
	v_mul_f64 v[156:157], v[6:7], v[144:145]
	v_mul_f64 v[144:145], v[8:9], v[144:145]
	v_fma_f64 v[154:155], v[4:5], v[34:35], v[154:155]
	v_fma_f64 v[162:163], v[2:3], v[34:35], -v[36:37]
	scratch_load_b128 v[34:37], off, off offset:480
	ds_load_b128 v[2:5], v1 offset:880
	v_add_f64 v[150:151], v[150:151], v[160:161]
	v_add_f64 v[152:153], v[152:153], v[158:159]
	v_fma_f64 v[156:157], v[8:9], v[142:143], v[156:157]
	v_fma_f64 v[160:161], v[6:7], v[142:143], -v[144:145]
	ds_load_b128 v[6:9], v1 offset:896
	s_waitcnt vmcnt(8) lgkmcnt(1)
	v_mul_f64 v[158:159], v[2:3], v[12:13]
	v_mul_f64 v[12:13], v[4:5], v[12:13]
	scratch_load_b128 v[142:145], off, off offset:496
	v_add_f64 v[150:151], v[150:151], v[162:163]
	v_add_f64 v[152:153], v[152:153], v[154:155]
	s_waitcnt vmcnt(8) lgkmcnt(0)
	v_mul_f64 v[154:155], v[6:7], v[16:17]
	v_mul_f64 v[16:17], v[8:9], v[16:17]
	v_fma_f64 v[158:159], v[4:5], v[10:11], v[158:159]
	v_fma_f64 v[162:163], v[2:3], v[10:11], -v[12:13]
	scratch_load_b128 v[10:13], off, off offset:512
	ds_load_b128 v[2:5], v1 offset:912
	v_add_f64 v[150:151], v[150:151], v[160:161]
	v_add_f64 v[152:153], v[152:153], v[156:157]
	v_fma_f64 v[154:155], v[8:9], v[14:15], v[154:155]
	v_fma_f64 v[14:15], v[6:7], v[14:15], -v[16:17]
	ds_load_b128 v[6:9], v1 offset:928
	s_waitcnt vmcnt(8) lgkmcnt(1)
	v_mul_f64 v[156:157], v[2:3], v[20:21]
	v_mul_f64 v[20:21], v[4:5], v[20:21]
	v_add_f64 v[16:17], v[150:151], v[162:163]
	v_add_f64 v[150:151], v[152:153], v[158:159]
	s_waitcnt vmcnt(7) lgkmcnt(0)
	v_mul_f64 v[152:153], v[6:7], v[24:25]
	v_mul_f64 v[24:25], v[8:9], v[24:25]
	v_fma_f64 v[156:157], v[4:5], v[18:19], v[156:157]
	v_fma_f64 v[18:19], v[2:3], v[18:19], -v[20:21]
	ds_load_b128 v[2:5], v1 offset:944
	v_add_f64 v[14:15], v[16:17], v[14:15]
	v_add_f64 v[16:17], v[150:151], v[154:155]
	v_fma_f64 v[150:151], v[8:9], v[22:23], v[152:153]
	v_fma_f64 v[22:23], v[6:7], v[22:23], -v[24:25]
	ds_load_b128 v[6:9], v1 offset:960
	s_waitcnt vmcnt(5) lgkmcnt(0)
	v_mul_f64 v[152:153], v[6:7], v[32:33]
	v_mul_f64 v[32:33], v[8:9], v[32:33]
	v_add_f64 v[18:19], v[14:15], v[18:19]
	v_add_f64 v[24:25], v[16:17], v[156:157]
	scratch_load_b128 v[14:17], off, off offset:144
	v_mul_f64 v[20:21], v[2:3], v[28:29]
	v_mul_f64 v[28:29], v[4:5], v[28:29]
	v_add_f64 v[18:19], v[18:19], v[22:23]
	v_add_f64 v[22:23], v[24:25], v[150:151]
	s_delay_alu instid0(VALU_DEP_4) | instskip(NEXT) | instid1(VALU_DEP_4)
	v_fma_f64 v[20:21], v[4:5], v[26:27], v[20:21]
	v_fma_f64 v[26:27], v[2:3], v[26:27], -v[28:29]
	ds_load_b128 v[2:5], v1 offset:976
	s_waitcnt vmcnt(5) lgkmcnt(0)
	v_mul_f64 v[24:25], v[2:3], v[40:41]
	v_mul_f64 v[28:29], v[4:5], v[40:41]
	v_fma_f64 v[40:41], v[8:9], v[30:31], v[152:153]
	v_fma_f64 v[30:31], v[6:7], v[30:31], -v[32:33]
	ds_load_b128 v[6:9], v1 offset:992
	v_add_f64 v[20:21], v[22:23], v[20:21]
	v_add_f64 v[18:19], v[18:19], v[26:27]
	v_fma_f64 v[24:25], v[4:5], v[38:39], v[24:25]
	v_fma_f64 v[28:29], v[2:3], v[38:39], -v[28:29]
	ds_load_b128 v[2:5], v1 offset:1008
	s_waitcnt vmcnt(4) lgkmcnt(1)
	v_mul_f64 v[22:23], v[6:7], v[148:149]
	v_mul_f64 v[26:27], v[8:9], v[148:149]
	v_add_f64 v[20:21], v[20:21], v[40:41]
	v_add_f64 v[18:19], v[18:19], v[30:31]
	s_waitcnt vmcnt(3) lgkmcnt(0)
	v_mul_f64 v[30:31], v[2:3], v[36:37]
	v_mul_f64 v[32:33], v[4:5], v[36:37]
	v_fma_f64 v[22:23], v[8:9], v[146:147], v[22:23]
	v_fma_f64 v[26:27], v[6:7], v[146:147], -v[26:27]
	ds_load_b128 v[6:9], v1 offset:1024
	v_add_f64 v[20:21], v[20:21], v[24:25]
	v_add_f64 v[18:19], v[18:19], v[28:29]
	v_fma_f64 v[30:31], v[4:5], v[34:35], v[30:31]
	v_fma_f64 v[32:33], v[2:3], v[34:35], -v[32:33]
	ds_load_b128 v[2:5], v1 offset:1040
	s_waitcnt vmcnt(2) lgkmcnt(1)
	v_mul_f64 v[24:25], v[6:7], v[144:145]
	v_mul_f64 v[28:29], v[8:9], v[144:145]
	v_add_f64 v[20:21], v[20:21], v[22:23]
	v_add_f64 v[18:19], v[18:19], v[26:27]
	s_waitcnt vmcnt(1) lgkmcnt(0)
	v_mul_f64 v[22:23], v[2:3], v[12:13]
	v_mul_f64 v[12:13], v[4:5], v[12:13]
	v_fma_f64 v[8:9], v[8:9], v[142:143], v[24:25]
	v_fma_f64 v[6:7], v[6:7], v[142:143], -v[28:29]
	v_add_f64 v[20:21], v[20:21], v[30:31]
	v_add_f64 v[18:19], v[18:19], v[32:33]
	v_fma_f64 v[4:5], v[4:5], v[10:11], v[22:23]
	v_fma_f64 v[2:3], v[2:3], v[10:11], -v[12:13]
	s_delay_alu instid0(VALU_DEP_4) | instskip(NEXT) | instid1(VALU_DEP_4)
	v_add_f64 v[8:9], v[20:21], v[8:9]
	v_add_f64 v[6:7], v[18:19], v[6:7]
	s_delay_alu instid0(VALU_DEP_2) | instskip(NEXT) | instid1(VALU_DEP_2)
	v_add_f64 v[4:5], v[8:9], v[4:5]
	v_add_f64 v[2:3], v[6:7], v[2:3]
	s_waitcnt vmcnt(0)
	s_delay_alu instid0(VALU_DEP_2) | instskip(NEXT) | instid1(VALU_DEP_2)
	v_add_f64 v[4:5], v[16:17], -v[4:5]
	v_add_f64 v[2:3], v[14:15], -v[2:3]
	scratch_store_b128 off, v[2:5], off offset:144
	v_cmpx_lt_u32_e32 8, v108
	s_cbranch_execz .LBB32_195
; %bb.194:
	scratch_load_b128 v[5:8], v136, off
	v_mov_b32_e32 v2, v1
	v_mov_b32_e32 v3, v1
	;; [unrolled: 1-line block ×3, first 2 shown]
	scratch_store_b128 off, v[1:4], off offset:128
	s_waitcnt vmcnt(0)
	ds_store_b128 v141, v[5:8]
.LBB32_195:
	s_or_b32 exec_lo, exec_lo, s2
	s_waitcnt lgkmcnt(0)
	s_waitcnt_vscnt null, 0x0
	s_barrier
	buffer_gl0_inv
	s_clause 0x7
	scratch_load_b128 v[2:5], off, off offset:144
	scratch_load_b128 v[6:9], off, off offset:160
	;; [unrolled: 1-line block ×8, first 2 shown]
	ds_load_b128 v[34:37], v1 offset:672
	ds_load_b128 v[142:145], v1 offset:688
	s_clause 0x1
	scratch_load_b128 v[38:41], off, off offset:272
	scratch_load_b128 v[146:149], off, off offset:288
	s_mov_b32 s2, exec_lo
	s_waitcnt vmcnt(9) lgkmcnt(1)
	v_mul_f64 v[150:151], v[36:37], v[4:5]
	v_mul_f64 v[4:5], v[34:35], v[4:5]
	s_waitcnt vmcnt(8) lgkmcnt(0)
	v_mul_f64 v[152:153], v[142:143], v[8:9]
	v_mul_f64 v[8:9], v[144:145], v[8:9]
	s_delay_alu instid0(VALU_DEP_4) | instskip(NEXT) | instid1(VALU_DEP_4)
	v_fma_f64 v[150:151], v[34:35], v[2:3], -v[150:151]
	v_fma_f64 v[154:155], v[36:37], v[2:3], v[4:5]
	ds_load_b128 v[2:5], v1 offset:704
	scratch_load_b128 v[34:37], off, off offset:304
	v_fma_f64 v[152:153], v[144:145], v[6:7], v[152:153]
	v_fma_f64 v[158:159], v[142:143], v[6:7], -v[8:9]
	scratch_load_b128 v[142:145], off, off offset:320
	ds_load_b128 v[6:9], v1 offset:720
	s_waitcnt vmcnt(9) lgkmcnt(1)
	v_mul_f64 v[156:157], v[2:3], v[12:13]
	v_mul_f64 v[12:13], v[4:5], v[12:13]
	s_waitcnt vmcnt(8) lgkmcnt(0)
	v_mul_f64 v[160:161], v[6:7], v[16:17]
	v_mul_f64 v[16:17], v[8:9], v[16:17]
	v_add_f64 v[150:151], v[150:151], 0
	v_add_f64 v[154:155], v[154:155], 0
	v_fma_f64 v[156:157], v[4:5], v[10:11], v[156:157]
	v_fma_f64 v[162:163], v[2:3], v[10:11], -v[12:13]
	ds_load_b128 v[2:5], v1 offset:736
	scratch_load_b128 v[10:13], off, off offset:336
	v_add_f64 v[150:151], v[150:151], v[158:159]
	v_add_f64 v[152:153], v[154:155], v[152:153]
	v_fma_f64 v[158:159], v[8:9], v[14:15], v[160:161]
	v_fma_f64 v[160:161], v[6:7], v[14:15], -v[16:17]
	scratch_load_b128 v[14:17], off, off offset:352
	ds_load_b128 v[6:9], v1 offset:752
	s_waitcnt vmcnt(9) lgkmcnt(1)
	v_mul_f64 v[154:155], v[2:3], v[20:21]
	v_mul_f64 v[20:21], v[4:5], v[20:21]
	v_add_f64 v[150:151], v[150:151], v[162:163]
	v_add_f64 v[152:153], v[152:153], v[156:157]
	s_waitcnt vmcnt(8) lgkmcnt(0)
	v_mul_f64 v[156:157], v[6:7], v[24:25]
	v_mul_f64 v[24:25], v[8:9], v[24:25]
	v_fma_f64 v[154:155], v[4:5], v[18:19], v[154:155]
	v_fma_f64 v[162:163], v[2:3], v[18:19], -v[20:21]
	ds_load_b128 v[2:5], v1 offset:768
	scratch_load_b128 v[18:21], off, off offset:368
	v_add_f64 v[150:151], v[150:151], v[160:161]
	v_add_f64 v[152:153], v[152:153], v[158:159]
	v_fma_f64 v[156:157], v[8:9], v[22:23], v[156:157]
	v_fma_f64 v[160:161], v[6:7], v[22:23], -v[24:25]
	scratch_load_b128 v[22:25], off, off offset:384
	ds_load_b128 v[6:9], v1 offset:784
	s_waitcnt vmcnt(9) lgkmcnt(1)
	v_mul_f64 v[158:159], v[2:3], v[28:29]
	v_mul_f64 v[28:29], v[4:5], v[28:29]
	v_add_f64 v[150:151], v[150:151], v[162:163]
	v_add_f64 v[152:153], v[152:153], v[154:155]
	s_waitcnt vmcnt(8) lgkmcnt(0)
	v_mul_f64 v[154:155], v[6:7], v[32:33]
	v_mul_f64 v[32:33], v[8:9], v[32:33]
	v_fma_f64 v[158:159], v[4:5], v[26:27], v[158:159]
	v_fma_f64 v[162:163], v[2:3], v[26:27], -v[28:29]
	ds_load_b128 v[2:5], v1 offset:800
	scratch_load_b128 v[26:29], off, off offset:400
	v_add_f64 v[150:151], v[150:151], v[160:161]
	v_add_f64 v[152:153], v[152:153], v[156:157]
	v_fma_f64 v[154:155], v[8:9], v[30:31], v[154:155]
	v_fma_f64 v[160:161], v[6:7], v[30:31], -v[32:33]
	ds_load_b128 v[6:9], v1 offset:816
	s_waitcnt vmcnt(8) lgkmcnt(1)
	v_mul_f64 v[156:157], v[2:3], v[40:41]
	v_mul_f64 v[40:41], v[4:5], v[40:41]
	scratch_load_b128 v[30:33], off, off offset:416
	v_add_f64 v[150:151], v[150:151], v[162:163]
	v_add_f64 v[152:153], v[152:153], v[158:159]
	s_waitcnt vmcnt(8) lgkmcnt(0)
	v_mul_f64 v[158:159], v[6:7], v[148:149]
	v_mul_f64 v[148:149], v[8:9], v[148:149]
	v_fma_f64 v[156:157], v[4:5], v[38:39], v[156:157]
	v_fma_f64 v[162:163], v[2:3], v[38:39], -v[40:41]
	ds_load_b128 v[2:5], v1 offset:832
	scratch_load_b128 v[38:41], off, off offset:432
	v_add_f64 v[150:151], v[150:151], v[160:161]
	v_add_f64 v[152:153], v[152:153], v[154:155]
	v_fma_f64 v[158:159], v[8:9], v[146:147], v[158:159]
	v_fma_f64 v[160:161], v[6:7], v[146:147], -v[148:149]
	ds_load_b128 v[6:9], v1 offset:848
	scratch_load_b128 v[146:149], off, off offset:448
	s_waitcnt vmcnt(9) lgkmcnt(1)
	v_mul_f64 v[154:155], v[2:3], v[36:37]
	v_mul_f64 v[36:37], v[4:5], v[36:37]
	v_add_f64 v[150:151], v[150:151], v[162:163]
	v_add_f64 v[152:153], v[152:153], v[156:157]
	s_waitcnt vmcnt(8) lgkmcnt(0)
	v_mul_f64 v[156:157], v[6:7], v[144:145]
	v_mul_f64 v[144:145], v[8:9], v[144:145]
	v_fma_f64 v[154:155], v[4:5], v[34:35], v[154:155]
	v_fma_f64 v[162:163], v[2:3], v[34:35], -v[36:37]
	scratch_load_b128 v[34:37], off, off offset:464
	ds_load_b128 v[2:5], v1 offset:864
	v_add_f64 v[150:151], v[150:151], v[160:161]
	v_add_f64 v[152:153], v[152:153], v[158:159]
	v_fma_f64 v[156:157], v[8:9], v[142:143], v[156:157]
	v_fma_f64 v[160:161], v[6:7], v[142:143], -v[144:145]
	ds_load_b128 v[6:9], v1 offset:880
	s_waitcnt vmcnt(8) lgkmcnt(1)
	v_mul_f64 v[158:159], v[2:3], v[12:13]
	v_mul_f64 v[12:13], v[4:5], v[12:13]
	scratch_load_b128 v[142:145], off, off offset:480
	v_add_f64 v[150:151], v[150:151], v[162:163]
	v_add_f64 v[152:153], v[152:153], v[154:155]
	s_waitcnt vmcnt(8) lgkmcnt(0)
	v_mul_f64 v[154:155], v[6:7], v[16:17]
	v_mul_f64 v[16:17], v[8:9], v[16:17]
	v_fma_f64 v[158:159], v[4:5], v[10:11], v[158:159]
	v_fma_f64 v[162:163], v[2:3], v[10:11], -v[12:13]
	scratch_load_b128 v[10:13], off, off offset:496
	ds_load_b128 v[2:5], v1 offset:896
	v_add_f64 v[150:151], v[150:151], v[160:161]
	v_add_f64 v[152:153], v[152:153], v[156:157]
	v_fma_f64 v[154:155], v[8:9], v[14:15], v[154:155]
	v_fma_f64 v[160:161], v[6:7], v[14:15], -v[16:17]
	ds_load_b128 v[6:9], v1 offset:912
	s_waitcnt vmcnt(8) lgkmcnt(1)
	v_mul_f64 v[156:157], v[2:3], v[20:21]
	v_mul_f64 v[20:21], v[4:5], v[20:21]
	scratch_load_b128 v[14:17], off, off offset:512
	v_add_f64 v[150:151], v[150:151], v[162:163]
	v_add_f64 v[152:153], v[152:153], v[158:159]
	s_waitcnt vmcnt(8) lgkmcnt(0)
	v_mul_f64 v[158:159], v[6:7], v[24:25]
	v_mul_f64 v[24:25], v[8:9], v[24:25]
	v_fma_f64 v[156:157], v[4:5], v[18:19], v[156:157]
	v_fma_f64 v[18:19], v[2:3], v[18:19], -v[20:21]
	ds_load_b128 v[2:5], v1 offset:928
	v_add_f64 v[20:21], v[150:151], v[160:161]
	v_add_f64 v[150:151], v[152:153], v[154:155]
	v_fma_f64 v[154:155], v[8:9], v[22:23], v[158:159]
	v_fma_f64 v[22:23], v[6:7], v[22:23], -v[24:25]
	ds_load_b128 v[6:9], v1 offset:944
	s_waitcnt vmcnt(7) lgkmcnt(1)
	v_mul_f64 v[152:153], v[2:3], v[28:29]
	v_mul_f64 v[28:29], v[4:5], v[28:29]
	v_add_f64 v[18:19], v[20:21], v[18:19]
	v_add_f64 v[20:21], v[150:151], v[156:157]
	s_delay_alu instid0(VALU_DEP_4) | instskip(NEXT) | instid1(VALU_DEP_4)
	v_fma_f64 v[150:151], v[4:5], v[26:27], v[152:153]
	v_fma_f64 v[26:27], v[2:3], v[26:27], -v[28:29]
	ds_load_b128 v[2:5], v1 offset:960
	v_add_f64 v[22:23], v[18:19], v[22:23]
	v_add_f64 v[28:29], v[20:21], v[154:155]
	scratch_load_b128 v[18:21], off, off offset:128
	s_waitcnt vmcnt(7) lgkmcnt(1)
	v_mul_f64 v[24:25], v[6:7], v[32:33]
	v_mul_f64 v[32:33], v[8:9], v[32:33]
	v_add_f64 v[22:23], v[22:23], v[26:27]
	v_add_f64 v[26:27], v[28:29], v[150:151]
	s_delay_alu instid0(VALU_DEP_4) | instskip(NEXT) | instid1(VALU_DEP_4)
	v_fma_f64 v[24:25], v[8:9], v[30:31], v[24:25]
	v_fma_f64 v[30:31], v[6:7], v[30:31], -v[32:33]
	ds_load_b128 v[6:9], v1 offset:976
	s_waitcnt vmcnt(6) lgkmcnt(1)
	v_mul_f64 v[152:153], v[2:3], v[40:41]
	v_mul_f64 v[40:41], v[4:5], v[40:41]
	s_waitcnt vmcnt(5) lgkmcnt(0)
	v_mul_f64 v[28:29], v[6:7], v[148:149]
	v_mul_f64 v[32:33], v[8:9], v[148:149]
	v_add_f64 v[24:25], v[26:27], v[24:25]
	v_add_f64 v[22:23], v[22:23], v[30:31]
	v_fma_f64 v[148:149], v[4:5], v[38:39], v[152:153]
	v_fma_f64 v[38:39], v[2:3], v[38:39], -v[40:41]
	ds_load_b128 v[2:5], v1 offset:992
	v_fma_f64 v[28:29], v[8:9], v[146:147], v[28:29]
	v_fma_f64 v[32:33], v[6:7], v[146:147], -v[32:33]
	ds_load_b128 v[6:9], v1 offset:1008
	s_waitcnt vmcnt(4) lgkmcnt(1)
	v_mul_f64 v[26:27], v[2:3], v[36:37]
	v_mul_f64 v[30:31], v[4:5], v[36:37]
	v_add_f64 v[24:25], v[24:25], v[148:149]
	v_add_f64 v[22:23], v[22:23], v[38:39]
	s_waitcnt vmcnt(3) lgkmcnt(0)
	v_mul_f64 v[36:37], v[6:7], v[144:145]
	v_mul_f64 v[38:39], v[8:9], v[144:145]
	v_fma_f64 v[26:27], v[4:5], v[34:35], v[26:27]
	v_fma_f64 v[30:31], v[2:3], v[34:35], -v[30:31]
	ds_load_b128 v[2:5], v1 offset:1024
	v_add_f64 v[24:25], v[24:25], v[28:29]
	v_add_f64 v[22:23], v[22:23], v[32:33]
	v_fma_f64 v[32:33], v[8:9], v[142:143], v[36:37]
	v_fma_f64 v[34:35], v[6:7], v[142:143], -v[38:39]
	ds_load_b128 v[6:9], v1 offset:1040
	s_waitcnt vmcnt(2) lgkmcnt(1)
	v_mul_f64 v[28:29], v[2:3], v[12:13]
	v_mul_f64 v[12:13], v[4:5], v[12:13]
	v_add_f64 v[24:25], v[24:25], v[26:27]
	v_add_f64 v[22:23], v[22:23], v[30:31]
	s_waitcnt vmcnt(1) lgkmcnt(0)
	v_mul_f64 v[26:27], v[6:7], v[16:17]
	v_mul_f64 v[16:17], v[8:9], v[16:17]
	v_fma_f64 v[4:5], v[4:5], v[10:11], v[28:29]
	v_fma_f64 v[1:2], v[2:3], v[10:11], -v[12:13]
	v_add_f64 v[12:13], v[24:25], v[32:33]
	v_add_f64 v[10:11], v[22:23], v[34:35]
	v_fma_f64 v[8:9], v[8:9], v[14:15], v[26:27]
	v_fma_f64 v[6:7], v[6:7], v[14:15], -v[16:17]
	s_delay_alu instid0(VALU_DEP_4) | instskip(NEXT) | instid1(VALU_DEP_4)
	v_add_f64 v[3:4], v[12:13], v[4:5]
	v_add_f64 v[1:2], v[10:11], v[1:2]
	s_delay_alu instid0(VALU_DEP_2) | instskip(NEXT) | instid1(VALU_DEP_2)
	v_add_f64 v[3:4], v[3:4], v[8:9]
	v_add_f64 v[1:2], v[1:2], v[6:7]
	s_waitcnt vmcnt(0)
	s_delay_alu instid0(VALU_DEP_2) | instskip(NEXT) | instid1(VALU_DEP_2)
	v_add_f64 v[3:4], v[20:21], -v[3:4]
	v_add_f64 v[1:2], v[18:19], -v[1:2]
	scratch_store_b128 off, v[1:4], off offset:128
	v_cmpx_lt_u32_e32 7, v108
	s_cbranch_execz .LBB32_197
; %bb.196:
	scratch_load_b128 v[1:4], v138, off
	v_mov_b32_e32 v5, 0
	s_delay_alu instid0(VALU_DEP_1)
	v_mov_b32_e32 v6, v5
	v_mov_b32_e32 v7, v5
	;; [unrolled: 1-line block ×3, first 2 shown]
	scratch_store_b128 off, v[5:8], off offset:112
	s_waitcnt vmcnt(0)
	ds_store_b128 v141, v[1:4]
.LBB32_197:
	s_or_b32 exec_lo, exec_lo, s2
	s_waitcnt lgkmcnt(0)
	s_waitcnt_vscnt null, 0x0
	s_barrier
	buffer_gl0_inv
	s_clause 0x7
	scratch_load_b128 v[2:5], off, off offset:128
	scratch_load_b128 v[6:9], off, off offset:144
	scratch_load_b128 v[10:13], off, off offset:160
	scratch_load_b128 v[14:17], off, off offset:176
	scratch_load_b128 v[18:21], off, off offset:192
	scratch_load_b128 v[22:25], off, off offset:208
	scratch_load_b128 v[26:29], off, off offset:224
	scratch_load_b128 v[30:33], off, off offset:240
	v_mov_b32_e32 v1, 0
	s_clause 0x1
	scratch_load_b128 v[38:41], off, off offset:256
	scratch_load_b128 v[146:149], off, off offset:272
	s_mov_b32 s2, exec_lo
	ds_load_b128 v[34:37], v1 offset:656
	ds_load_b128 v[142:145], v1 offset:672
	s_waitcnt vmcnt(9) lgkmcnt(1)
	v_mul_f64 v[150:151], v[36:37], v[4:5]
	v_mul_f64 v[4:5], v[34:35], v[4:5]
	s_waitcnt vmcnt(8) lgkmcnt(0)
	v_mul_f64 v[152:153], v[142:143], v[8:9]
	v_mul_f64 v[8:9], v[144:145], v[8:9]
	s_delay_alu instid0(VALU_DEP_4) | instskip(NEXT) | instid1(VALU_DEP_4)
	v_fma_f64 v[150:151], v[34:35], v[2:3], -v[150:151]
	v_fma_f64 v[154:155], v[36:37], v[2:3], v[4:5]
	ds_load_b128 v[2:5], v1 offset:688
	scratch_load_b128 v[34:37], off, off offset:288
	v_fma_f64 v[152:153], v[144:145], v[6:7], v[152:153]
	v_fma_f64 v[158:159], v[142:143], v[6:7], -v[8:9]
	scratch_load_b128 v[142:145], off, off offset:304
	ds_load_b128 v[6:9], v1 offset:704
	s_waitcnt vmcnt(9) lgkmcnt(1)
	v_mul_f64 v[156:157], v[2:3], v[12:13]
	v_mul_f64 v[12:13], v[4:5], v[12:13]
	s_waitcnt vmcnt(8) lgkmcnt(0)
	v_mul_f64 v[160:161], v[6:7], v[16:17]
	v_mul_f64 v[16:17], v[8:9], v[16:17]
	v_add_f64 v[150:151], v[150:151], 0
	v_add_f64 v[154:155], v[154:155], 0
	v_fma_f64 v[156:157], v[4:5], v[10:11], v[156:157]
	v_fma_f64 v[162:163], v[2:3], v[10:11], -v[12:13]
	ds_load_b128 v[2:5], v1 offset:720
	scratch_load_b128 v[10:13], off, off offset:320
	v_add_f64 v[150:151], v[150:151], v[158:159]
	v_add_f64 v[152:153], v[154:155], v[152:153]
	v_fma_f64 v[158:159], v[8:9], v[14:15], v[160:161]
	v_fma_f64 v[160:161], v[6:7], v[14:15], -v[16:17]
	scratch_load_b128 v[14:17], off, off offset:336
	ds_load_b128 v[6:9], v1 offset:736
	s_waitcnt vmcnt(9) lgkmcnt(1)
	v_mul_f64 v[154:155], v[2:3], v[20:21]
	v_mul_f64 v[20:21], v[4:5], v[20:21]
	v_add_f64 v[150:151], v[150:151], v[162:163]
	v_add_f64 v[152:153], v[152:153], v[156:157]
	s_waitcnt vmcnt(8) lgkmcnt(0)
	v_mul_f64 v[156:157], v[6:7], v[24:25]
	v_mul_f64 v[24:25], v[8:9], v[24:25]
	v_fma_f64 v[154:155], v[4:5], v[18:19], v[154:155]
	v_fma_f64 v[162:163], v[2:3], v[18:19], -v[20:21]
	ds_load_b128 v[2:5], v1 offset:752
	scratch_load_b128 v[18:21], off, off offset:352
	v_add_f64 v[150:151], v[150:151], v[160:161]
	v_add_f64 v[152:153], v[152:153], v[158:159]
	v_fma_f64 v[156:157], v[8:9], v[22:23], v[156:157]
	v_fma_f64 v[160:161], v[6:7], v[22:23], -v[24:25]
	scratch_load_b128 v[22:25], off, off offset:368
	ds_load_b128 v[6:9], v1 offset:768
	s_waitcnt vmcnt(9) lgkmcnt(1)
	v_mul_f64 v[158:159], v[2:3], v[28:29]
	v_mul_f64 v[28:29], v[4:5], v[28:29]
	v_add_f64 v[150:151], v[150:151], v[162:163]
	v_add_f64 v[152:153], v[152:153], v[154:155]
	s_waitcnt vmcnt(8) lgkmcnt(0)
	v_mul_f64 v[154:155], v[6:7], v[32:33]
	v_mul_f64 v[32:33], v[8:9], v[32:33]
	;; [unrolled: 18-line block ×3, first 2 shown]
	v_fma_f64 v[156:157], v[4:5], v[38:39], v[156:157]
	v_fma_f64 v[162:163], v[2:3], v[38:39], -v[40:41]
	ds_load_b128 v[2:5], v1 offset:816
	scratch_load_b128 v[38:41], off, off offset:416
	v_add_f64 v[150:151], v[150:151], v[160:161]
	v_add_f64 v[152:153], v[152:153], v[154:155]
	v_fma_f64 v[158:159], v[8:9], v[146:147], v[158:159]
	v_fma_f64 v[160:161], v[6:7], v[146:147], -v[148:149]
	ds_load_b128 v[6:9], v1 offset:832
	scratch_load_b128 v[146:149], off, off offset:432
	s_waitcnt vmcnt(9) lgkmcnt(1)
	v_mul_f64 v[154:155], v[2:3], v[36:37]
	v_mul_f64 v[36:37], v[4:5], v[36:37]
	v_add_f64 v[150:151], v[150:151], v[162:163]
	v_add_f64 v[152:153], v[152:153], v[156:157]
	s_waitcnt vmcnt(8) lgkmcnt(0)
	v_mul_f64 v[156:157], v[6:7], v[144:145]
	v_mul_f64 v[144:145], v[8:9], v[144:145]
	v_fma_f64 v[154:155], v[4:5], v[34:35], v[154:155]
	v_fma_f64 v[162:163], v[2:3], v[34:35], -v[36:37]
	scratch_load_b128 v[34:37], off, off offset:448
	ds_load_b128 v[2:5], v1 offset:848
	v_add_f64 v[150:151], v[150:151], v[160:161]
	v_add_f64 v[152:153], v[152:153], v[158:159]
	v_fma_f64 v[156:157], v[8:9], v[142:143], v[156:157]
	v_fma_f64 v[160:161], v[6:7], v[142:143], -v[144:145]
	ds_load_b128 v[6:9], v1 offset:864
	s_waitcnt vmcnt(8) lgkmcnt(1)
	v_mul_f64 v[158:159], v[2:3], v[12:13]
	v_mul_f64 v[12:13], v[4:5], v[12:13]
	scratch_load_b128 v[142:145], off, off offset:464
	v_add_f64 v[150:151], v[150:151], v[162:163]
	v_add_f64 v[152:153], v[152:153], v[154:155]
	s_waitcnt vmcnt(8) lgkmcnt(0)
	v_mul_f64 v[154:155], v[6:7], v[16:17]
	v_mul_f64 v[16:17], v[8:9], v[16:17]
	v_fma_f64 v[158:159], v[4:5], v[10:11], v[158:159]
	v_fma_f64 v[162:163], v[2:3], v[10:11], -v[12:13]
	scratch_load_b128 v[10:13], off, off offset:480
	ds_load_b128 v[2:5], v1 offset:880
	v_add_f64 v[150:151], v[150:151], v[160:161]
	v_add_f64 v[152:153], v[152:153], v[156:157]
	v_fma_f64 v[154:155], v[8:9], v[14:15], v[154:155]
	v_fma_f64 v[160:161], v[6:7], v[14:15], -v[16:17]
	ds_load_b128 v[6:9], v1 offset:896
	s_waitcnt vmcnt(8) lgkmcnt(1)
	v_mul_f64 v[156:157], v[2:3], v[20:21]
	v_mul_f64 v[20:21], v[4:5], v[20:21]
	scratch_load_b128 v[14:17], off, off offset:496
	v_add_f64 v[150:151], v[150:151], v[162:163]
	v_add_f64 v[152:153], v[152:153], v[158:159]
	s_waitcnt vmcnt(8) lgkmcnt(0)
	v_mul_f64 v[158:159], v[6:7], v[24:25]
	v_mul_f64 v[24:25], v[8:9], v[24:25]
	v_fma_f64 v[156:157], v[4:5], v[18:19], v[156:157]
	v_fma_f64 v[162:163], v[2:3], v[18:19], -v[20:21]
	scratch_load_b128 v[18:21], off, off offset:512
	ds_load_b128 v[2:5], v1 offset:912
	v_add_f64 v[150:151], v[150:151], v[160:161]
	v_add_f64 v[152:153], v[152:153], v[154:155]
	v_fma_f64 v[158:159], v[8:9], v[22:23], v[158:159]
	v_fma_f64 v[22:23], v[6:7], v[22:23], -v[24:25]
	ds_load_b128 v[6:9], v1 offset:928
	s_waitcnt vmcnt(8) lgkmcnt(1)
	v_mul_f64 v[154:155], v[2:3], v[28:29]
	v_mul_f64 v[28:29], v[4:5], v[28:29]
	v_add_f64 v[24:25], v[150:151], v[162:163]
	v_add_f64 v[150:151], v[152:153], v[156:157]
	s_waitcnt vmcnt(7) lgkmcnt(0)
	v_mul_f64 v[152:153], v[6:7], v[32:33]
	v_mul_f64 v[32:33], v[8:9], v[32:33]
	v_fma_f64 v[154:155], v[4:5], v[26:27], v[154:155]
	v_fma_f64 v[26:27], v[2:3], v[26:27], -v[28:29]
	ds_load_b128 v[2:5], v1 offset:944
	v_add_f64 v[22:23], v[24:25], v[22:23]
	v_add_f64 v[24:25], v[150:151], v[158:159]
	v_fma_f64 v[150:151], v[8:9], v[30:31], v[152:153]
	v_fma_f64 v[30:31], v[6:7], v[30:31], -v[32:33]
	ds_load_b128 v[6:9], v1 offset:960
	s_waitcnt vmcnt(5) lgkmcnt(0)
	v_mul_f64 v[152:153], v[6:7], v[148:149]
	v_mul_f64 v[148:149], v[8:9], v[148:149]
	v_add_f64 v[26:27], v[22:23], v[26:27]
	v_add_f64 v[32:33], v[24:25], v[154:155]
	scratch_load_b128 v[22:25], off, off offset:112
	v_mul_f64 v[28:29], v[2:3], v[40:41]
	v_mul_f64 v[40:41], v[4:5], v[40:41]
	v_add_f64 v[26:27], v[26:27], v[30:31]
	v_add_f64 v[30:31], v[32:33], v[150:151]
	s_delay_alu instid0(VALU_DEP_4) | instskip(NEXT) | instid1(VALU_DEP_4)
	v_fma_f64 v[28:29], v[4:5], v[38:39], v[28:29]
	v_fma_f64 v[38:39], v[2:3], v[38:39], -v[40:41]
	ds_load_b128 v[2:5], v1 offset:976
	v_fma_f64 v[40:41], v[8:9], v[146:147], v[152:153]
	v_fma_f64 v[146:147], v[6:7], v[146:147], -v[148:149]
	ds_load_b128 v[6:9], v1 offset:992
	s_waitcnt vmcnt(5) lgkmcnt(1)
	v_mul_f64 v[32:33], v[2:3], v[36:37]
	v_mul_f64 v[36:37], v[4:5], v[36:37]
	v_add_f64 v[28:29], v[30:31], v[28:29]
	v_add_f64 v[26:27], v[26:27], v[38:39]
	s_waitcnt vmcnt(4) lgkmcnt(0)
	v_mul_f64 v[30:31], v[6:7], v[144:145]
	v_mul_f64 v[38:39], v[8:9], v[144:145]
	v_fma_f64 v[32:33], v[4:5], v[34:35], v[32:33]
	v_fma_f64 v[34:35], v[2:3], v[34:35], -v[36:37]
	ds_load_b128 v[2:5], v1 offset:1008
	v_add_f64 v[28:29], v[28:29], v[40:41]
	v_add_f64 v[26:27], v[26:27], v[146:147]
	v_fma_f64 v[30:31], v[8:9], v[142:143], v[30:31]
	v_fma_f64 v[38:39], v[6:7], v[142:143], -v[38:39]
	ds_load_b128 v[6:9], v1 offset:1024
	s_waitcnt vmcnt(3) lgkmcnt(1)
	v_mul_f64 v[36:37], v[2:3], v[12:13]
	v_mul_f64 v[12:13], v[4:5], v[12:13]
	v_add_f64 v[28:29], v[28:29], v[32:33]
	v_add_f64 v[26:27], v[26:27], v[34:35]
	s_waitcnt vmcnt(2) lgkmcnt(0)
	v_mul_f64 v[32:33], v[6:7], v[16:17]
	v_mul_f64 v[16:17], v[8:9], v[16:17]
	v_fma_f64 v[34:35], v[4:5], v[10:11], v[36:37]
	v_fma_f64 v[10:11], v[2:3], v[10:11], -v[12:13]
	ds_load_b128 v[2:5], v1 offset:1040
	v_add_f64 v[12:13], v[26:27], v[38:39]
	v_add_f64 v[26:27], v[28:29], v[30:31]
	s_waitcnt vmcnt(1) lgkmcnt(0)
	v_mul_f64 v[28:29], v[2:3], v[20:21]
	v_mul_f64 v[20:21], v[4:5], v[20:21]
	v_fma_f64 v[8:9], v[8:9], v[14:15], v[32:33]
	v_fma_f64 v[6:7], v[6:7], v[14:15], -v[16:17]
	v_add_f64 v[10:11], v[12:13], v[10:11]
	v_add_f64 v[12:13], v[26:27], v[34:35]
	v_fma_f64 v[4:5], v[4:5], v[18:19], v[28:29]
	v_fma_f64 v[2:3], v[2:3], v[18:19], -v[20:21]
	s_delay_alu instid0(VALU_DEP_4) | instskip(NEXT) | instid1(VALU_DEP_4)
	v_add_f64 v[6:7], v[10:11], v[6:7]
	v_add_f64 v[8:9], v[12:13], v[8:9]
	s_delay_alu instid0(VALU_DEP_2) | instskip(NEXT) | instid1(VALU_DEP_2)
	v_add_f64 v[2:3], v[6:7], v[2:3]
	v_add_f64 v[4:5], v[8:9], v[4:5]
	s_waitcnt vmcnt(0)
	s_delay_alu instid0(VALU_DEP_2) | instskip(NEXT) | instid1(VALU_DEP_2)
	v_add_f64 v[2:3], v[22:23], -v[2:3]
	v_add_f64 v[4:5], v[24:25], -v[4:5]
	scratch_store_b128 off, v[2:5], off offset:112
	v_cmpx_lt_u32_e32 6, v108
	s_cbranch_execz .LBB32_199
; %bb.198:
	scratch_load_b128 v[5:8], v139, off
	v_mov_b32_e32 v2, v1
	v_mov_b32_e32 v3, v1
	v_mov_b32_e32 v4, v1
	scratch_store_b128 off, v[1:4], off offset:96
	s_waitcnt vmcnt(0)
	ds_store_b128 v141, v[5:8]
.LBB32_199:
	s_or_b32 exec_lo, exec_lo, s2
	s_waitcnt lgkmcnt(0)
	s_waitcnt_vscnt null, 0x0
	s_barrier
	buffer_gl0_inv
	s_clause 0x7
	scratch_load_b128 v[2:5], off, off offset:112
	scratch_load_b128 v[6:9], off, off offset:128
	;; [unrolled: 1-line block ×8, first 2 shown]
	ds_load_b128 v[38:41], v1 offset:640
	ds_load_b128 v[142:145], v1 offset:656
	s_clause 0x1
	scratch_load_b128 v[34:37], off, off offset:240
	scratch_load_b128 v[146:149], off, off offset:256
	s_mov_b32 s2, exec_lo
	s_waitcnt vmcnt(9) lgkmcnt(1)
	v_mul_f64 v[150:151], v[40:41], v[4:5]
	v_mul_f64 v[4:5], v[38:39], v[4:5]
	s_waitcnt vmcnt(8) lgkmcnt(0)
	v_mul_f64 v[152:153], v[142:143], v[8:9]
	v_mul_f64 v[8:9], v[144:145], v[8:9]
	s_delay_alu instid0(VALU_DEP_4) | instskip(NEXT) | instid1(VALU_DEP_4)
	v_fma_f64 v[150:151], v[38:39], v[2:3], -v[150:151]
	v_fma_f64 v[154:155], v[40:41], v[2:3], v[4:5]
	ds_load_b128 v[2:5], v1 offset:672
	scratch_load_b128 v[38:41], off, off offset:272
	v_fma_f64 v[152:153], v[144:145], v[6:7], v[152:153]
	v_fma_f64 v[158:159], v[142:143], v[6:7], -v[8:9]
	scratch_load_b128 v[142:145], off, off offset:288
	ds_load_b128 v[6:9], v1 offset:688
	s_waitcnt vmcnt(9) lgkmcnt(1)
	v_mul_f64 v[156:157], v[2:3], v[12:13]
	v_mul_f64 v[12:13], v[4:5], v[12:13]
	s_waitcnt vmcnt(8) lgkmcnt(0)
	v_mul_f64 v[160:161], v[6:7], v[16:17]
	v_mul_f64 v[16:17], v[8:9], v[16:17]
	v_add_f64 v[150:151], v[150:151], 0
	v_add_f64 v[154:155], v[154:155], 0
	v_fma_f64 v[156:157], v[4:5], v[10:11], v[156:157]
	v_fma_f64 v[162:163], v[2:3], v[10:11], -v[12:13]
	ds_load_b128 v[2:5], v1 offset:704
	scratch_load_b128 v[10:13], off, off offset:304
	v_add_f64 v[150:151], v[150:151], v[158:159]
	v_add_f64 v[152:153], v[154:155], v[152:153]
	v_fma_f64 v[158:159], v[8:9], v[14:15], v[160:161]
	v_fma_f64 v[160:161], v[6:7], v[14:15], -v[16:17]
	scratch_load_b128 v[14:17], off, off offset:320
	ds_load_b128 v[6:9], v1 offset:720
	s_waitcnt vmcnt(9) lgkmcnt(1)
	v_mul_f64 v[154:155], v[2:3], v[20:21]
	v_mul_f64 v[20:21], v[4:5], v[20:21]
	v_add_f64 v[150:151], v[150:151], v[162:163]
	v_add_f64 v[152:153], v[152:153], v[156:157]
	s_waitcnt vmcnt(8) lgkmcnt(0)
	v_mul_f64 v[156:157], v[6:7], v[24:25]
	v_mul_f64 v[24:25], v[8:9], v[24:25]
	v_fma_f64 v[154:155], v[4:5], v[18:19], v[154:155]
	v_fma_f64 v[162:163], v[2:3], v[18:19], -v[20:21]
	ds_load_b128 v[2:5], v1 offset:736
	scratch_load_b128 v[18:21], off, off offset:336
	v_add_f64 v[150:151], v[150:151], v[160:161]
	v_add_f64 v[152:153], v[152:153], v[158:159]
	v_fma_f64 v[156:157], v[8:9], v[22:23], v[156:157]
	v_fma_f64 v[160:161], v[6:7], v[22:23], -v[24:25]
	scratch_load_b128 v[22:25], off, off offset:352
	ds_load_b128 v[6:9], v1 offset:752
	s_waitcnt vmcnt(9) lgkmcnt(1)
	v_mul_f64 v[158:159], v[2:3], v[28:29]
	v_mul_f64 v[28:29], v[4:5], v[28:29]
	v_add_f64 v[150:151], v[150:151], v[162:163]
	v_add_f64 v[152:153], v[152:153], v[154:155]
	s_waitcnt vmcnt(8) lgkmcnt(0)
	v_mul_f64 v[154:155], v[6:7], v[32:33]
	v_mul_f64 v[32:33], v[8:9], v[32:33]
	;; [unrolled: 18-line block ×3, first 2 shown]
	v_fma_f64 v[156:157], v[4:5], v[34:35], v[156:157]
	v_fma_f64 v[162:163], v[2:3], v[34:35], -v[36:37]
	ds_load_b128 v[2:5], v1 offset:800
	scratch_load_b128 v[34:37], off, off offset:400
	v_add_f64 v[150:151], v[150:151], v[160:161]
	v_add_f64 v[152:153], v[152:153], v[154:155]
	v_fma_f64 v[158:159], v[8:9], v[146:147], v[158:159]
	v_fma_f64 v[160:161], v[6:7], v[146:147], -v[148:149]
	ds_load_b128 v[6:9], v1 offset:816
	scratch_load_b128 v[146:149], off, off offset:416
	s_waitcnt vmcnt(9) lgkmcnt(1)
	v_mul_f64 v[154:155], v[2:3], v[40:41]
	v_mul_f64 v[40:41], v[4:5], v[40:41]
	v_add_f64 v[150:151], v[150:151], v[162:163]
	v_add_f64 v[152:153], v[152:153], v[156:157]
	s_waitcnt vmcnt(8) lgkmcnt(0)
	v_mul_f64 v[156:157], v[6:7], v[144:145]
	v_mul_f64 v[144:145], v[8:9], v[144:145]
	v_fma_f64 v[154:155], v[4:5], v[38:39], v[154:155]
	v_fma_f64 v[162:163], v[2:3], v[38:39], -v[40:41]
	ds_load_b128 v[2:5], v1 offset:832
	scratch_load_b128 v[38:41], off, off offset:432
	v_add_f64 v[150:151], v[150:151], v[160:161]
	v_add_f64 v[152:153], v[152:153], v[158:159]
	v_fma_f64 v[156:157], v[8:9], v[142:143], v[156:157]
	v_fma_f64 v[160:161], v[6:7], v[142:143], -v[144:145]
	ds_load_b128 v[6:9], v1 offset:848
	s_waitcnt vmcnt(8) lgkmcnt(1)
	v_mul_f64 v[158:159], v[2:3], v[12:13]
	v_mul_f64 v[12:13], v[4:5], v[12:13]
	scratch_load_b128 v[142:145], off, off offset:448
	v_add_f64 v[150:151], v[150:151], v[162:163]
	v_add_f64 v[152:153], v[152:153], v[154:155]
	s_waitcnt vmcnt(8) lgkmcnt(0)
	v_mul_f64 v[154:155], v[6:7], v[16:17]
	v_mul_f64 v[16:17], v[8:9], v[16:17]
	v_fma_f64 v[158:159], v[4:5], v[10:11], v[158:159]
	v_fma_f64 v[162:163], v[2:3], v[10:11], -v[12:13]
	scratch_load_b128 v[10:13], off, off offset:464
	ds_load_b128 v[2:5], v1 offset:864
	v_add_f64 v[150:151], v[150:151], v[160:161]
	v_add_f64 v[152:153], v[152:153], v[156:157]
	v_fma_f64 v[154:155], v[8:9], v[14:15], v[154:155]
	v_fma_f64 v[160:161], v[6:7], v[14:15], -v[16:17]
	ds_load_b128 v[6:9], v1 offset:880
	s_waitcnt vmcnt(8) lgkmcnt(1)
	v_mul_f64 v[156:157], v[2:3], v[20:21]
	v_mul_f64 v[20:21], v[4:5], v[20:21]
	scratch_load_b128 v[14:17], off, off offset:480
	v_add_f64 v[150:151], v[150:151], v[162:163]
	v_add_f64 v[152:153], v[152:153], v[158:159]
	s_waitcnt vmcnt(8) lgkmcnt(0)
	v_mul_f64 v[158:159], v[6:7], v[24:25]
	v_mul_f64 v[24:25], v[8:9], v[24:25]
	v_fma_f64 v[156:157], v[4:5], v[18:19], v[156:157]
	v_fma_f64 v[162:163], v[2:3], v[18:19], -v[20:21]
	scratch_load_b128 v[18:21], off, off offset:496
	ds_load_b128 v[2:5], v1 offset:896
	v_add_f64 v[150:151], v[150:151], v[160:161]
	v_add_f64 v[152:153], v[152:153], v[154:155]
	v_fma_f64 v[158:159], v[8:9], v[22:23], v[158:159]
	v_fma_f64 v[160:161], v[6:7], v[22:23], -v[24:25]
	ds_load_b128 v[6:9], v1 offset:912
	s_waitcnt vmcnt(8) lgkmcnt(1)
	v_mul_f64 v[154:155], v[2:3], v[28:29]
	v_mul_f64 v[28:29], v[4:5], v[28:29]
	scratch_load_b128 v[22:25], off, off offset:512
	v_add_f64 v[150:151], v[150:151], v[162:163]
	v_add_f64 v[152:153], v[152:153], v[156:157]
	s_waitcnt vmcnt(8) lgkmcnt(0)
	v_mul_f64 v[156:157], v[6:7], v[32:33]
	v_mul_f64 v[32:33], v[8:9], v[32:33]
	v_fma_f64 v[154:155], v[4:5], v[26:27], v[154:155]
	v_fma_f64 v[26:27], v[2:3], v[26:27], -v[28:29]
	ds_load_b128 v[2:5], v1 offset:928
	v_add_f64 v[28:29], v[150:151], v[160:161]
	v_add_f64 v[150:151], v[152:153], v[158:159]
	v_fma_f64 v[156:157], v[8:9], v[30:31], v[156:157]
	v_fma_f64 v[30:31], v[6:7], v[30:31], -v[32:33]
	ds_load_b128 v[6:9], v1 offset:944
	s_waitcnt vmcnt(7) lgkmcnt(1)
	v_mul_f64 v[152:153], v[2:3], v[36:37]
	v_mul_f64 v[36:37], v[4:5], v[36:37]
	v_add_f64 v[26:27], v[28:29], v[26:27]
	v_add_f64 v[28:29], v[150:151], v[154:155]
	s_delay_alu instid0(VALU_DEP_4) | instskip(NEXT) | instid1(VALU_DEP_4)
	v_fma_f64 v[150:151], v[4:5], v[34:35], v[152:153]
	v_fma_f64 v[34:35], v[2:3], v[34:35], -v[36:37]
	ds_load_b128 v[2:5], v1 offset:960
	v_add_f64 v[30:31], v[26:27], v[30:31]
	v_add_f64 v[36:37], v[28:29], v[156:157]
	scratch_load_b128 v[26:29], off, off offset:96
	s_waitcnt vmcnt(7) lgkmcnt(1)
	v_mul_f64 v[32:33], v[6:7], v[148:149]
	v_mul_f64 v[148:149], v[8:9], v[148:149]
	v_add_f64 v[30:31], v[30:31], v[34:35]
	v_add_f64 v[34:35], v[36:37], v[150:151]
	s_delay_alu instid0(VALU_DEP_4) | instskip(NEXT) | instid1(VALU_DEP_4)
	v_fma_f64 v[32:33], v[8:9], v[146:147], v[32:33]
	v_fma_f64 v[146:147], v[6:7], v[146:147], -v[148:149]
	ds_load_b128 v[6:9], v1 offset:976
	s_waitcnt vmcnt(6) lgkmcnt(1)
	v_mul_f64 v[152:153], v[2:3], v[40:41]
	v_mul_f64 v[40:41], v[4:5], v[40:41]
	s_waitcnt vmcnt(5) lgkmcnt(0)
	v_mul_f64 v[36:37], v[6:7], v[144:145]
	v_mul_f64 v[144:145], v[8:9], v[144:145]
	v_add_f64 v[32:33], v[34:35], v[32:33]
	v_add_f64 v[30:31], v[30:31], v[146:147]
	v_fma_f64 v[148:149], v[4:5], v[38:39], v[152:153]
	v_fma_f64 v[38:39], v[2:3], v[38:39], -v[40:41]
	ds_load_b128 v[2:5], v1 offset:992
	v_fma_f64 v[36:37], v[8:9], v[142:143], v[36:37]
	v_fma_f64 v[40:41], v[6:7], v[142:143], -v[144:145]
	ds_load_b128 v[6:9], v1 offset:1008
	s_waitcnt vmcnt(4) lgkmcnt(1)
	v_mul_f64 v[34:35], v[2:3], v[12:13]
	v_mul_f64 v[12:13], v[4:5], v[12:13]
	v_add_f64 v[32:33], v[32:33], v[148:149]
	v_add_f64 v[30:31], v[30:31], v[38:39]
	s_waitcnt vmcnt(3) lgkmcnt(0)
	v_mul_f64 v[38:39], v[6:7], v[16:17]
	v_mul_f64 v[16:17], v[8:9], v[16:17]
	v_fma_f64 v[34:35], v[4:5], v[10:11], v[34:35]
	v_fma_f64 v[10:11], v[2:3], v[10:11], -v[12:13]
	ds_load_b128 v[2:5], v1 offset:1024
	v_add_f64 v[12:13], v[30:31], v[40:41]
	v_add_f64 v[30:31], v[32:33], v[36:37]
	v_fma_f64 v[36:37], v[8:9], v[14:15], v[38:39]
	v_fma_f64 v[14:15], v[6:7], v[14:15], -v[16:17]
	ds_load_b128 v[6:9], v1 offset:1040
	s_waitcnt vmcnt(2) lgkmcnt(1)
	v_mul_f64 v[32:33], v[2:3], v[20:21]
	v_mul_f64 v[20:21], v[4:5], v[20:21]
	s_waitcnt vmcnt(1) lgkmcnt(0)
	v_mul_f64 v[16:17], v[6:7], v[24:25]
	v_mul_f64 v[24:25], v[8:9], v[24:25]
	v_add_f64 v[10:11], v[12:13], v[10:11]
	v_add_f64 v[12:13], v[30:31], v[34:35]
	v_fma_f64 v[4:5], v[4:5], v[18:19], v[32:33]
	v_fma_f64 v[1:2], v[2:3], v[18:19], -v[20:21]
	v_fma_f64 v[8:9], v[8:9], v[22:23], v[16:17]
	v_fma_f64 v[6:7], v[6:7], v[22:23], -v[24:25]
	v_add_f64 v[10:11], v[10:11], v[14:15]
	v_add_f64 v[12:13], v[12:13], v[36:37]
	s_delay_alu instid0(VALU_DEP_2) | instskip(NEXT) | instid1(VALU_DEP_2)
	v_add_f64 v[1:2], v[10:11], v[1:2]
	v_add_f64 v[3:4], v[12:13], v[4:5]
	s_delay_alu instid0(VALU_DEP_2) | instskip(NEXT) | instid1(VALU_DEP_2)
	v_add_f64 v[1:2], v[1:2], v[6:7]
	v_add_f64 v[3:4], v[3:4], v[8:9]
	s_waitcnt vmcnt(0)
	s_delay_alu instid0(VALU_DEP_2) | instskip(NEXT) | instid1(VALU_DEP_2)
	v_add_f64 v[1:2], v[26:27], -v[1:2]
	v_add_f64 v[3:4], v[28:29], -v[3:4]
	scratch_store_b128 off, v[1:4], off offset:96
	v_cmpx_lt_u32_e32 5, v108
	s_cbranch_execz .LBB32_201
; %bb.200:
	scratch_load_b128 v[1:4], v140, off
	v_mov_b32_e32 v5, 0
	s_delay_alu instid0(VALU_DEP_1)
	v_mov_b32_e32 v6, v5
	v_mov_b32_e32 v7, v5
	;; [unrolled: 1-line block ×3, first 2 shown]
	scratch_store_b128 off, v[5:8], off offset:80
	s_waitcnt vmcnt(0)
	ds_store_b128 v141, v[1:4]
.LBB32_201:
	s_or_b32 exec_lo, exec_lo, s2
	s_waitcnt lgkmcnt(0)
	s_waitcnt_vscnt null, 0x0
	s_barrier
	buffer_gl0_inv
	s_clause 0x7
	scratch_load_b128 v[2:5], off, off offset:96
	scratch_load_b128 v[6:9], off, off offset:112
	;; [unrolled: 1-line block ×8, first 2 shown]
	v_mov_b32_e32 v1, 0
	s_clause 0x1
	scratch_load_b128 v[34:37], off, off offset:224
	scratch_load_b128 v[146:149], off, off offset:240
	s_mov_b32 s2, exec_lo
	ds_load_b128 v[38:41], v1 offset:624
	ds_load_b128 v[142:145], v1 offset:640
	s_waitcnt vmcnt(9) lgkmcnt(1)
	v_mul_f64 v[150:151], v[40:41], v[4:5]
	v_mul_f64 v[4:5], v[38:39], v[4:5]
	s_waitcnt vmcnt(8) lgkmcnt(0)
	v_mul_f64 v[152:153], v[142:143], v[8:9]
	v_mul_f64 v[8:9], v[144:145], v[8:9]
	s_delay_alu instid0(VALU_DEP_4) | instskip(NEXT) | instid1(VALU_DEP_4)
	v_fma_f64 v[150:151], v[38:39], v[2:3], -v[150:151]
	v_fma_f64 v[154:155], v[40:41], v[2:3], v[4:5]
	ds_load_b128 v[2:5], v1 offset:656
	scratch_load_b128 v[38:41], off, off offset:256
	v_fma_f64 v[152:153], v[144:145], v[6:7], v[152:153]
	v_fma_f64 v[158:159], v[142:143], v[6:7], -v[8:9]
	scratch_load_b128 v[142:145], off, off offset:272
	ds_load_b128 v[6:9], v1 offset:672
	s_waitcnt vmcnt(9) lgkmcnt(1)
	v_mul_f64 v[156:157], v[2:3], v[12:13]
	v_mul_f64 v[12:13], v[4:5], v[12:13]
	s_waitcnt vmcnt(8) lgkmcnt(0)
	v_mul_f64 v[160:161], v[6:7], v[16:17]
	v_mul_f64 v[16:17], v[8:9], v[16:17]
	v_add_f64 v[150:151], v[150:151], 0
	v_add_f64 v[154:155], v[154:155], 0
	v_fma_f64 v[156:157], v[4:5], v[10:11], v[156:157]
	v_fma_f64 v[162:163], v[2:3], v[10:11], -v[12:13]
	ds_load_b128 v[2:5], v1 offset:688
	scratch_load_b128 v[10:13], off, off offset:288
	v_add_f64 v[150:151], v[150:151], v[158:159]
	v_add_f64 v[152:153], v[154:155], v[152:153]
	v_fma_f64 v[158:159], v[8:9], v[14:15], v[160:161]
	v_fma_f64 v[160:161], v[6:7], v[14:15], -v[16:17]
	scratch_load_b128 v[14:17], off, off offset:304
	ds_load_b128 v[6:9], v1 offset:704
	s_waitcnt vmcnt(9) lgkmcnt(1)
	v_mul_f64 v[154:155], v[2:3], v[20:21]
	v_mul_f64 v[20:21], v[4:5], v[20:21]
	v_add_f64 v[150:151], v[150:151], v[162:163]
	v_add_f64 v[152:153], v[152:153], v[156:157]
	s_waitcnt vmcnt(8) lgkmcnt(0)
	v_mul_f64 v[156:157], v[6:7], v[24:25]
	v_mul_f64 v[24:25], v[8:9], v[24:25]
	v_fma_f64 v[154:155], v[4:5], v[18:19], v[154:155]
	v_fma_f64 v[162:163], v[2:3], v[18:19], -v[20:21]
	ds_load_b128 v[2:5], v1 offset:720
	scratch_load_b128 v[18:21], off, off offset:320
	v_add_f64 v[150:151], v[150:151], v[160:161]
	v_add_f64 v[152:153], v[152:153], v[158:159]
	v_fma_f64 v[156:157], v[8:9], v[22:23], v[156:157]
	v_fma_f64 v[160:161], v[6:7], v[22:23], -v[24:25]
	scratch_load_b128 v[22:25], off, off offset:336
	ds_load_b128 v[6:9], v1 offset:736
	s_waitcnt vmcnt(9) lgkmcnt(1)
	v_mul_f64 v[158:159], v[2:3], v[28:29]
	v_mul_f64 v[28:29], v[4:5], v[28:29]
	v_add_f64 v[150:151], v[150:151], v[162:163]
	v_add_f64 v[152:153], v[152:153], v[154:155]
	s_waitcnt vmcnt(8) lgkmcnt(0)
	v_mul_f64 v[154:155], v[6:7], v[32:33]
	v_mul_f64 v[32:33], v[8:9], v[32:33]
	;; [unrolled: 18-line block ×4, first 2 shown]
	v_fma_f64 v[154:155], v[4:5], v[38:39], v[154:155]
	v_fma_f64 v[162:163], v[2:3], v[38:39], -v[40:41]
	ds_load_b128 v[2:5], v1 offset:816
	scratch_load_b128 v[38:41], off, off offset:416
	v_add_f64 v[150:151], v[150:151], v[160:161]
	v_add_f64 v[152:153], v[152:153], v[158:159]
	v_fma_f64 v[156:157], v[8:9], v[142:143], v[156:157]
	v_fma_f64 v[160:161], v[6:7], v[142:143], -v[144:145]
	ds_load_b128 v[6:9], v1 offset:832
	s_waitcnt vmcnt(8) lgkmcnt(1)
	v_mul_f64 v[158:159], v[2:3], v[12:13]
	v_mul_f64 v[12:13], v[4:5], v[12:13]
	scratch_load_b128 v[142:145], off, off offset:432
	v_add_f64 v[150:151], v[150:151], v[162:163]
	v_add_f64 v[152:153], v[152:153], v[154:155]
	s_waitcnt vmcnt(8) lgkmcnt(0)
	v_mul_f64 v[154:155], v[6:7], v[16:17]
	v_mul_f64 v[16:17], v[8:9], v[16:17]
	v_fma_f64 v[158:159], v[4:5], v[10:11], v[158:159]
	v_fma_f64 v[162:163], v[2:3], v[10:11], -v[12:13]
	scratch_load_b128 v[10:13], off, off offset:448
	ds_load_b128 v[2:5], v1 offset:848
	v_add_f64 v[150:151], v[150:151], v[160:161]
	v_add_f64 v[152:153], v[152:153], v[156:157]
	v_fma_f64 v[154:155], v[8:9], v[14:15], v[154:155]
	v_fma_f64 v[160:161], v[6:7], v[14:15], -v[16:17]
	ds_load_b128 v[6:9], v1 offset:864
	s_waitcnt vmcnt(8) lgkmcnt(1)
	v_mul_f64 v[156:157], v[2:3], v[20:21]
	v_mul_f64 v[20:21], v[4:5], v[20:21]
	scratch_load_b128 v[14:17], off, off offset:464
	v_add_f64 v[150:151], v[150:151], v[162:163]
	v_add_f64 v[152:153], v[152:153], v[158:159]
	s_waitcnt vmcnt(8) lgkmcnt(0)
	v_mul_f64 v[158:159], v[6:7], v[24:25]
	v_mul_f64 v[24:25], v[8:9], v[24:25]
	v_fma_f64 v[156:157], v[4:5], v[18:19], v[156:157]
	v_fma_f64 v[162:163], v[2:3], v[18:19], -v[20:21]
	scratch_load_b128 v[18:21], off, off offset:480
	ds_load_b128 v[2:5], v1 offset:880
	;; [unrolled: 18-line block ×3, first 2 shown]
	v_add_f64 v[150:151], v[150:151], v[160:161]
	v_add_f64 v[152:153], v[152:153], v[158:159]
	v_fma_f64 v[156:157], v[8:9], v[30:31], v[156:157]
	v_fma_f64 v[30:31], v[6:7], v[30:31], -v[32:33]
	ds_load_b128 v[6:9], v1 offset:928
	s_waitcnt vmcnt(8) lgkmcnt(1)
	v_mul_f64 v[158:159], v[2:3], v[36:37]
	v_mul_f64 v[36:37], v[4:5], v[36:37]
	v_add_f64 v[32:33], v[150:151], v[162:163]
	v_add_f64 v[150:151], v[152:153], v[154:155]
	s_waitcnt vmcnt(7) lgkmcnt(0)
	v_mul_f64 v[152:153], v[6:7], v[148:149]
	v_mul_f64 v[148:149], v[8:9], v[148:149]
	v_fma_f64 v[154:155], v[4:5], v[34:35], v[158:159]
	v_fma_f64 v[34:35], v[2:3], v[34:35], -v[36:37]
	ds_load_b128 v[2:5], v1 offset:944
	v_add_f64 v[30:31], v[32:33], v[30:31]
	v_add_f64 v[32:33], v[150:151], v[156:157]
	v_fma_f64 v[150:151], v[8:9], v[146:147], v[152:153]
	v_fma_f64 v[146:147], v[6:7], v[146:147], -v[148:149]
	ds_load_b128 v[6:9], v1 offset:960
	s_waitcnt vmcnt(5) lgkmcnt(0)
	v_mul_f64 v[152:153], v[6:7], v[144:145]
	v_mul_f64 v[144:145], v[8:9], v[144:145]
	v_add_f64 v[34:35], v[30:31], v[34:35]
	v_add_f64 v[148:149], v[32:33], v[154:155]
	scratch_load_b128 v[30:33], off, off offset:80
	v_mul_f64 v[36:37], v[2:3], v[40:41]
	v_mul_f64 v[40:41], v[4:5], v[40:41]
	v_add_f64 v[34:35], v[34:35], v[146:147]
	s_delay_alu instid0(VALU_DEP_3) | instskip(NEXT) | instid1(VALU_DEP_3)
	v_fma_f64 v[36:37], v[4:5], v[38:39], v[36:37]
	v_fma_f64 v[38:39], v[2:3], v[38:39], -v[40:41]
	v_add_f64 v[40:41], v[148:149], v[150:151]
	ds_load_b128 v[2:5], v1 offset:976
	v_fma_f64 v[148:149], v[8:9], v[142:143], v[152:153]
	v_fma_f64 v[142:143], v[6:7], v[142:143], -v[144:145]
	ds_load_b128 v[6:9], v1 offset:992
	s_waitcnt vmcnt(5) lgkmcnt(1)
	v_mul_f64 v[146:147], v[2:3], v[12:13]
	v_mul_f64 v[12:13], v[4:5], v[12:13]
	v_add_f64 v[34:35], v[34:35], v[38:39]
	v_add_f64 v[36:37], v[40:41], v[36:37]
	s_waitcnt vmcnt(4) lgkmcnt(0)
	v_mul_f64 v[38:39], v[6:7], v[16:17]
	v_mul_f64 v[16:17], v[8:9], v[16:17]
	v_fma_f64 v[40:41], v[4:5], v[10:11], v[146:147]
	v_fma_f64 v[10:11], v[2:3], v[10:11], -v[12:13]
	ds_load_b128 v[2:5], v1 offset:1008
	v_add_f64 v[12:13], v[34:35], v[142:143]
	v_add_f64 v[34:35], v[36:37], v[148:149]
	v_fma_f64 v[38:39], v[8:9], v[14:15], v[38:39]
	v_fma_f64 v[14:15], v[6:7], v[14:15], -v[16:17]
	ds_load_b128 v[6:9], v1 offset:1024
	s_waitcnt vmcnt(3) lgkmcnt(1)
	v_mul_f64 v[36:37], v[2:3], v[20:21]
	v_mul_f64 v[20:21], v[4:5], v[20:21]
	s_waitcnt vmcnt(2) lgkmcnt(0)
	v_mul_f64 v[16:17], v[6:7], v[24:25]
	v_mul_f64 v[24:25], v[8:9], v[24:25]
	v_add_f64 v[10:11], v[12:13], v[10:11]
	v_add_f64 v[12:13], v[34:35], v[40:41]
	v_fma_f64 v[34:35], v[4:5], v[18:19], v[36:37]
	v_fma_f64 v[18:19], v[2:3], v[18:19], -v[20:21]
	ds_load_b128 v[2:5], v1 offset:1040
	v_fma_f64 v[8:9], v[8:9], v[22:23], v[16:17]
	v_fma_f64 v[6:7], v[6:7], v[22:23], -v[24:25]
	s_waitcnt vmcnt(1) lgkmcnt(0)
	v_mul_f64 v[20:21], v[4:5], v[28:29]
	v_add_f64 v[10:11], v[10:11], v[14:15]
	v_add_f64 v[12:13], v[12:13], v[38:39]
	v_mul_f64 v[14:15], v[2:3], v[28:29]
	s_delay_alu instid0(VALU_DEP_4) | instskip(NEXT) | instid1(VALU_DEP_4)
	v_fma_f64 v[2:3], v[2:3], v[26:27], -v[20:21]
	v_add_f64 v[10:11], v[10:11], v[18:19]
	s_delay_alu instid0(VALU_DEP_4) | instskip(NEXT) | instid1(VALU_DEP_4)
	v_add_f64 v[12:13], v[12:13], v[34:35]
	v_fma_f64 v[4:5], v[4:5], v[26:27], v[14:15]
	s_delay_alu instid0(VALU_DEP_3) | instskip(NEXT) | instid1(VALU_DEP_3)
	v_add_f64 v[6:7], v[10:11], v[6:7]
	v_add_f64 v[8:9], v[12:13], v[8:9]
	s_delay_alu instid0(VALU_DEP_2) | instskip(NEXT) | instid1(VALU_DEP_2)
	v_add_f64 v[2:3], v[6:7], v[2:3]
	v_add_f64 v[4:5], v[8:9], v[4:5]
	s_waitcnt vmcnt(0)
	s_delay_alu instid0(VALU_DEP_2) | instskip(NEXT) | instid1(VALU_DEP_2)
	v_add_f64 v[2:3], v[30:31], -v[2:3]
	v_add_f64 v[4:5], v[32:33], -v[4:5]
	scratch_store_b128 off, v[2:5], off offset:80
	v_cmpx_lt_u32_e32 4, v108
	s_cbranch_execz .LBB32_203
; %bb.202:
	scratch_load_b128 v[5:8], v109, off
	v_mov_b32_e32 v2, v1
	v_mov_b32_e32 v3, v1
	;; [unrolled: 1-line block ×3, first 2 shown]
	scratch_store_b128 off, v[1:4], off offset:64
	s_waitcnt vmcnt(0)
	ds_store_b128 v141, v[5:8]
.LBB32_203:
	s_or_b32 exec_lo, exec_lo, s2
	s_waitcnt lgkmcnt(0)
	s_waitcnt_vscnt null, 0x0
	s_barrier
	buffer_gl0_inv
	s_clause 0x7
	scratch_load_b128 v[2:5], off, off offset:80
	scratch_load_b128 v[6:9], off, off offset:96
	;; [unrolled: 1-line block ×8, first 2 shown]
	ds_load_b128 v[38:41], v1 offset:608
	ds_load_b128 v[142:145], v1 offset:624
	s_clause 0x1
	scratch_load_b128 v[34:37], off, off offset:208
	scratch_load_b128 v[146:149], off, off offset:224
	s_mov_b32 s2, exec_lo
	s_waitcnt vmcnt(9) lgkmcnt(1)
	v_mul_f64 v[150:151], v[40:41], v[4:5]
	v_mul_f64 v[4:5], v[38:39], v[4:5]
	s_waitcnt vmcnt(8) lgkmcnt(0)
	v_mul_f64 v[152:153], v[142:143], v[8:9]
	v_mul_f64 v[8:9], v[144:145], v[8:9]
	s_delay_alu instid0(VALU_DEP_4) | instskip(NEXT) | instid1(VALU_DEP_4)
	v_fma_f64 v[150:151], v[38:39], v[2:3], -v[150:151]
	v_fma_f64 v[154:155], v[40:41], v[2:3], v[4:5]
	ds_load_b128 v[2:5], v1 offset:640
	scratch_load_b128 v[38:41], off, off offset:240
	v_fma_f64 v[152:153], v[144:145], v[6:7], v[152:153]
	v_fma_f64 v[158:159], v[142:143], v[6:7], -v[8:9]
	scratch_load_b128 v[142:145], off, off offset:256
	ds_load_b128 v[6:9], v1 offset:656
	s_waitcnt vmcnt(9) lgkmcnt(1)
	v_mul_f64 v[156:157], v[2:3], v[12:13]
	v_mul_f64 v[12:13], v[4:5], v[12:13]
	s_waitcnt vmcnt(8) lgkmcnt(0)
	v_mul_f64 v[160:161], v[6:7], v[16:17]
	v_mul_f64 v[16:17], v[8:9], v[16:17]
	v_add_f64 v[150:151], v[150:151], 0
	v_add_f64 v[154:155], v[154:155], 0
	v_fma_f64 v[156:157], v[4:5], v[10:11], v[156:157]
	v_fma_f64 v[162:163], v[2:3], v[10:11], -v[12:13]
	ds_load_b128 v[2:5], v1 offset:672
	scratch_load_b128 v[10:13], off, off offset:272
	v_add_f64 v[150:151], v[150:151], v[158:159]
	v_add_f64 v[152:153], v[154:155], v[152:153]
	v_fma_f64 v[158:159], v[8:9], v[14:15], v[160:161]
	v_fma_f64 v[160:161], v[6:7], v[14:15], -v[16:17]
	scratch_load_b128 v[14:17], off, off offset:288
	ds_load_b128 v[6:9], v1 offset:688
	s_waitcnt vmcnt(9) lgkmcnt(1)
	v_mul_f64 v[154:155], v[2:3], v[20:21]
	v_mul_f64 v[20:21], v[4:5], v[20:21]
	v_add_f64 v[150:151], v[150:151], v[162:163]
	v_add_f64 v[152:153], v[152:153], v[156:157]
	s_waitcnt vmcnt(8) lgkmcnt(0)
	v_mul_f64 v[156:157], v[6:7], v[24:25]
	v_mul_f64 v[24:25], v[8:9], v[24:25]
	v_fma_f64 v[154:155], v[4:5], v[18:19], v[154:155]
	v_fma_f64 v[162:163], v[2:3], v[18:19], -v[20:21]
	ds_load_b128 v[2:5], v1 offset:704
	scratch_load_b128 v[18:21], off, off offset:304
	v_add_f64 v[150:151], v[150:151], v[160:161]
	v_add_f64 v[152:153], v[152:153], v[158:159]
	v_fma_f64 v[156:157], v[8:9], v[22:23], v[156:157]
	v_fma_f64 v[160:161], v[6:7], v[22:23], -v[24:25]
	scratch_load_b128 v[22:25], off, off offset:320
	ds_load_b128 v[6:9], v1 offset:720
	s_waitcnt vmcnt(9) lgkmcnt(1)
	v_mul_f64 v[158:159], v[2:3], v[28:29]
	v_mul_f64 v[28:29], v[4:5], v[28:29]
	v_add_f64 v[150:151], v[150:151], v[162:163]
	v_add_f64 v[152:153], v[152:153], v[154:155]
	s_waitcnt vmcnt(8) lgkmcnt(0)
	v_mul_f64 v[154:155], v[6:7], v[32:33]
	v_mul_f64 v[32:33], v[8:9], v[32:33]
	;; [unrolled: 18-line block ×4, first 2 shown]
	v_fma_f64 v[154:155], v[4:5], v[38:39], v[154:155]
	v_fma_f64 v[162:163], v[2:3], v[38:39], -v[40:41]
	ds_load_b128 v[2:5], v1 offset:800
	scratch_load_b128 v[38:41], off, off offset:400
	v_add_f64 v[150:151], v[150:151], v[160:161]
	v_add_f64 v[152:153], v[152:153], v[158:159]
	v_fma_f64 v[156:157], v[8:9], v[142:143], v[156:157]
	v_fma_f64 v[160:161], v[6:7], v[142:143], -v[144:145]
	ds_load_b128 v[6:9], v1 offset:816
	s_waitcnt vmcnt(8) lgkmcnt(1)
	v_mul_f64 v[158:159], v[2:3], v[12:13]
	v_mul_f64 v[12:13], v[4:5], v[12:13]
	scratch_load_b128 v[142:145], off, off offset:416
	v_add_f64 v[150:151], v[150:151], v[162:163]
	v_add_f64 v[152:153], v[152:153], v[154:155]
	s_waitcnt vmcnt(8) lgkmcnt(0)
	v_mul_f64 v[154:155], v[6:7], v[16:17]
	v_mul_f64 v[16:17], v[8:9], v[16:17]
	v_fma_f64 v[158:159], v[4:5], v[10:11], v[158:159]
	v_fma_f64 v[162:163], v[2:3], v[10:11], -v[12:13]
	ds_load_b128 v[2:5], v1 offset:832
	scratch_load_b128 v[10:13], off, off offset:432
	v_add_f64 v[150:151], v[150:151], v[160:161]
	v_add_f64 v[152:153], v[152:153], v[156:157]
	v_fma_f64 v[154:155], v[8:9], v[14:15], v[154:155]
	v_fma_f64 v[160:161], v[6:7], v[14:15], -v[16:17]
	ds_load_b128 v[6:9], v1 offset:848
	s_waitcnt vmcnt(8) lgkmcnt(1)
	v_mul_f64 v[156:157], v[2:3], v[20:21]
	v_mul_f64 v[20:21], v[4:5], v[20:21]
	scratch_load_b128 v[14:17], off, off offset:448
	v_add_f64 v[150:151], v[150:151], v[162:163]
	v_add_f64 v[152:153], v[152:153], v[158:159]
	s_waitcnt vmcnt(8) lgkmcnt(0)
	v_mul_f64 v[158:159], v[6:7], v[24:25]
	v_mul_f64 v[24:25], v[8:9], v[24:25]
	v_fma_f64 v[156:157], v[4:5], v[18:19], v[156:157]
	v_fma_f64 v[162:163], v[2:3], v[18:19], -v[20:21]
	scratch_load_b128 v[18:21], off, off offset:464
	ds_load_b128 v[2:5], v1 offset:864
	v_add_f64 v[150:151], v[150:151], v[160:161]
	v_add_f64 v[152:153], v[152:153], v[154:155]
	v_fma_f64 v[158:159], v[8:9], v[22:23], v[158:159]
	v_fma_f64 v[160:161], v[6:7], v[22:23], -v[24:25]
	ds_load_b128 v[6:9], v1 offset:880
	s_waitcnt vmcnt(8) lgkmcnt(1)
	v_mul_f64 v[154:155], v[2:3], v[28:29]
	v_mul_f64 v[28:29], v[4:5], v[28:29]
	scratch_load_b128 v[22:25], off, off offset:480
	v_add_f64 v[150:151], v[150:151], v[162:163]
	v_add_f64 v[152:153], v[152:153], v[156:157]
	s_waitcnt vmcnt(8) lgkmcnt(0)
	v_mul_f64 v[156:157], v[6:7], v[32:33]
	v_mul_f64 v[32:33], v[8:9], v[32:33]
	v_fma_f64 v[154:155], v[4:5], v[26:27], v[154:155]
	v_fma_f64 v[162:163], v[2:3], v[26:27], -v[28:29]
	scratch_load_b128 v[26:29], off, off offset:496
	ds_load_b128 v[2:5], v1 offset:896
	v_add_f64 v[150:151], v[150:151], v[160:161]
	v_add_f64 v[152:153], v[152:153], v[158:159]
	v_fma_f64 v[156:157], v[8:9], v[30:31], v[156:157]
	v_fma_f64 v[160:161], v[6:7], v[30:31], -v[32:33]
	ds_load_b128 v[6:9], v1 offset:912
	s_waitcnt vmcnt(8) lgkmcnt(1)
	v_mul_f64 v[158:159], v[2:3], v[36:37]
	v_mul_f64 v[36:37], v[4:5], v[36:37]
	scratch_load_b128 v[30:33], off, off offset:512
	v_add_f64 v[150:151], v[150:151], v[162:163]
	v_add_f64 v[152:153], v[152:153], v[154:155]
	s_waitcnt vmcnt(8) lgkmcnt(0)
	v_mul_f64 v[154:155], v[6:7], v[148:149]
	v_mul_f64 v[148:149], v[8:9], v[148:149]
	v_fma_f64 v[158:159], v[4:5], v[34:35], v[158:159]
	v_fma_f64 v[34:35], v[2:3], v[34:35], -v[36:37]
	ds_load_b128 v[2:5], v1 offset:928
	v_add_f64 v[36:37], v[150:151], v[160:161]
	v_add_f64 v[150:151], v[152:153], v[156:157]
	v_fma_f64 v[154:155], v[8:9], v[146:147], v[154:155]
	v_fma_f64 v[146:147], v[6:7], v[146:147], -v[148:149]
	ds_load_b128 v[6:9], v1 offset:944
	s_waitcnt vmcnt(7) lgkmcnt(1)
	v_mul_f64 v[152:153], v[2:3], v[40:41]
	v_mul_f64 v[40:41], v[4:5], v[40:41]
	v_add_f64 v[34:35], v[36:37], v[34:35]
	v_add_f64 v[36:37], v[150:151], v[158:159]
	s_delay_alu instid0(VALU_DEP_4) | instskip(NEXT) | instid1(VALU_DEP_4)
	v_fma_f64 v[150:151], v[4:5], v[38:39], v[152:153]
	v_fma_f64 v[38:39], v[2:3], v[38:39], -v[40:41]
	ds_load_b128 v[2:5], v1 offset:960
	v_add_f64 v[40:41], v[34:35], v[146:147]
	v_add_f64 v[146:147], v[36:37], v[154:155]
	scratch_load_b128 v[34:37], off, off offset:64
	s_waitcnt vmcnt(7) lgkmcnt(1)
	v_mul_f64 v[148:149], v[6:7], v[144:145]
	v_mul_f64 v[144:145], v[8:9], v[144:145]
	v_add_f64 v[38:39], v[40:41], v[38:39]
	v_add_f64 v[40:41], v[146:147], v[150:151]
	s_delay_alu instid0(VALU_DEP_4) | instskip(NEXT) | instid1(VALU_DEP_4)
	v_fma_f64 v[148:149], v[8:9], v[142:143], v[148:149]
	v_fma_f64 v[142:143], v[6:7], v[142:143], -v[144:145]
	ds_load_b128 v[6:9], v1 offset:976
	s_waitcnt vmcnt(6) lgkmcnt(1)
	v_mul_f64 v[152:153], v[2:3], v[12:13]
	v_mul_f64 v[12:13], v[4:5], v[12:13]
	s_waitcnt vmcnt(5) lgkmcnt(0)
	v_mul_f64 v[144:145], v[6:7], v[16:17]
	v_mul_f64 v[16:17], v[8:9], v[16:17]
	s_delay_alu instid0(VALU_DEP_4) | instskip(NEXT) | instid1(VALU_DEP_4)
	v_fma_f64 v[146:147], v[4:5], v[10:11], v[152:153]
	v_fma_f64 v[10:11], v[2:3], v[10:11], -v[12:13]
	v_add_f64 v[12:13], v[38:39], v[142:143]
	v_add_f64 v[38:39], v[40:41], v[148:149]
	ds_load_b128 v[2:5], v1 offset:992
	v_fma_f64 v[142:143], v[8:9], v[14:15], v[144:145]
	v_fma_f64 v[14:15], v[6:7], v[14:15], -v[16:17]
	ds_load_b128 v[6:9], v1 offset:1008
	s_waitcnt vmcnt(4) lgkmcnt(1)
	v_mul_f64 v[40:41], v[2:3], v[20:21]
	v_mul_f64 v[20:21], v[4:5], v[20:21]
	v_add_f64 v[10:11], v[12:13], v[10:11]
	v_add_f64 v[12:13], v[38:39], v[146:147]
	s_waitcnt vmcnt(3) lgkmcnt(0)
	v_mul_f64 v[16:17], v[6:7], v[24:25]
	v_mul_f64 v[24:25], v[8:9], v[24:25]
	v_fma_f64 v[38:39], v[4:5], v[18:19], v[40:41]
	v_fma_f64 v[18:19], v[2:3], v[18:19], -v[20:21]
	ds_load_b128 v[2:5], v1 offset:1024
	v_add_f64 v[10:11], v[10:11], v[14:15]
	v_add_f64 v[12:13], v[12:13], v[142:143]
	v_fma_f64 v[16:17], v[8:9], v[22:23], v[16:17]
	v_fma_f64 v[22:23], v[6:7], v[22:23], -v[24:25]
	ds_load_b128 v[6:9], v1 offset:1040
	s_waitcnt vmcnt(2) lgkmcnt(1)
	v_mul_f64 v[14:15], v[2:3], v[28:29]
	v_mul_f64 v[20:21], v[4:5], v[28:29]
	s_waitcnt vmcnt(1) lgkmcnt(0)
	v_mul_f64 v[24:25], v[8:9], v[32:33]
	v_add_f64 v[10:11], v[10:11], v[18:19]
	v_add_f64 v[12:13], v[12:13], v[38:39]
	v_mul_f64 v[18:19], v[6:7], v[32:33]
	v_fma_f64 v[4:5], v[4:5], v[26:27], v[14:15]
	v_fma_f64 v[1:2], v[2:3], v[26:27], -v[20:21]
	v_fma_f64 v[6:7], v[6:7], v[30:31], -v[24:25]
	v_add_f64 v[10:11], v[10:11], v[22:23]
	v_add_f64 v[12:13], v[12:13], v[16:17]
	v_fma_f64 v[8:9], v[8:9], v[30:31], v[18:19]
	s_delay_alu instid0(VALU_DEP_3) | instskip(NEXT) | instid1(VALU_DEP_3)
	v_add_f64 v[1:2], v[10:11], v[1:2]
	v_add_f64 v[3:4], v[12:13], v[4:5]
	s_delay_alu instid0(VALU_DEP_2) | instskip(NEXT) | instid1(VALU_DEP_2)
	v_add_f64 v[1:2], v[1:2], v[6:7]
	v_add_f64 v[3:4], v[3:4], v[8:9]
	s_waitcnt vmcnt(0)
	s_delay_alu instid0(VALU_DEP_2) | instskip(NEXT) | instid1(VALU_DEP_2)
	v_add_f64 v[1:2], v[34:35], -v[1:2]
	v_add_f64 v[3:4], v[36:37], -v[3:4]
	scratch_store_b128 off, v[1:4], off offset:64
	v_cmpx_lt_u32_e32 3, v108
	s_cbranch_execz .LBB32_205
; %bb.204:
	scratch_load_b128 v[1:4], v112, off
	v_mov_b32_e32 v5, 0
	s_delay_alu instid0(VALU_DEP_1)
	v_mov_b32_e32 v6, v5
	v_mov_b32_e32 v7, v5
	v_mov_b32_e32 v8, v5
	scratch_store_b128 off, v[5:8], off offset:48
	s_waitcnt vmcnt(0)
	ds_store_b128 v141, v[1:4]
.LBB32_205:
	s_or_b32 exec_lo, exec_lo, s2
	s_waitcnt lgkmcnt(0)
	s_waitcnt_vscnt null, 0x0
	s_barrier
	buffer_gl0_inv
	s_clause 0x7
	scratch_load_b128 v[2:5], off, off offset:64
	scratch_load_b128 v[6:9], off, off offset:80
	;; [unrolled: 1-line block ×8, first 2 shown]
	v_mov_b32_e32 v1, 0
	s_clause 0x1
	scratch_load_b128 v[34:37], off, off offset:192
	scratch_load_b128 v[146:149], off, off offset:208
	s_mov_b32 s2, exec_lo
	ds_load_b128 v[38:41], v1 offset:592
	ds_load_b128 v[142:145], v1 offset:608
	s_waitcnt vmcnt(9) lgkmcnt(1)
	v_mul_f64 v[150:151], v[40:41], v[4:5]
	v_mul_f64 v[4:5], v[38:39], v[4:5]
	s_waitcnt vmcnt(8) lgkmcnt(0)
	v_mul_f64 v[152:153], v[142:143], v[8:9]
	v_mul_f64 v[8:9], v[144:145], v[8:9]
	s_delay_alu instid0(VALU_DEP_4) | instskip(NEXT) | instid1(VALU_DEP_4)
	v_fma_f64 v[150:151], v[38:39], v[2:3], -v[150:151]
	v_fma_f64 v[154:155], v[40:41], v[2:3], v[4:5]
	ds_load_b128 v[2:5], v1 offset:624
	scratch_load_b128 v[38:41], off, off offset:224
	v_fma_f64 v[152:153], v[144:145], v[6:7], v[152:153]
	v_fma_f64 v[158:159], v[142:143], v[6:7], -v[8:9]
	scratch_load_b128 v[142:145], off, off offset:240
	ds_load_b128 v[6:9], v1 offset:640
	s_waitcnt vmcnt(9) lgkmcnt(1)
	v_mul_f64 v[156:157], v[2:3], v[12:13]
	v_mul_f64 v[12:13], v[4:5], v[12:13]
	s_waitcnt vmcnt(8) lgkmcnt(0)
	v_mul_f64 v[160:161], v[6:7], v[16:17]
	v_mul_f64 v[16:17], v[8:9], v[16:17]
	v_add_f64 v[150:151], v[150:151], 0
	v_add_f64 v[154:155], v[154:155], 0
	v_fma_f64 v[156:157], v[4:5], v[10:11], v[156:157]
	v_fma_f64 v[162:163], v[2:3], v[10:11], -v[12:13]
	ds_load_b128 v[2:5], v1 offset:656
	scratch_load_b128 v[10:13], off, off offset:256
	v_add_f64 v[150:151], v[150:151], v[158:159]
	v_add_f64 v[152:153], v[154:155], v[152:153]
	v_fma_f64 v[158:159], v[8:9], v[14:15], v[160:161]
	v_fma_f64 v[160:161], v[6:7], v[14:15], -v[16:17]
	scratch_load_b128 v[14:17], off, off offset:272
	ds_load_b128 v[6:9], v1 offset:672
	s_waitcnt vmcnt(9) lgkmcnt(1)
	v_mul_f64 v[154:155], v[2:3], v[20:21]
	v_mul_f64 v[20:21], v[4:5], v[20:21]
	v_add_f64 v[150:151], v[150:151], v[162:163]
	v_add_f64 v[152:153], v[152:153], v[156:157]
	s_waitcnt vmcnt(8) lgkmcnt(0)
	v_mul_f64 v[156:157], v[6:7], v[24:25]
	v_mul_f64 v[24:25], v[8:9], v[24:25]
	v_fma_f64 v[154:155], v[4:5], v[18:19], v[154:155]
	v_fma_f64 v[162:163], v[2:3], v[18:19], -v[20:21]
	ds_load_b128 v[2:5], v1 offset:688
	scratch_load_b128 v[18:21], off, off offset:288
	v_add_f64 v[150:151], v[150:151], v[160:161]
	v_add_f64 v[152:153], v[152:153], v[158:159]
	v_fma_f64 v[156:157], v[8:9], v[22:23], v[156:157]
	v_fma_f64 v[160:161], v[6:7], v[22:23], -v[24:25]
	scratch_load_b128 v[22:25], off, off offset:304
	ds_load_b128 v[6:9], v1 offset:704
	s_waitcnt vmcnt(9) lgkmcnt(1)
	v_mul_f64 v[158:159], v[2:3], v[28:29]
	v_mul_f64 v[28:29], v[4:5], v[28:29]
	v_add_f64 v[150:151], v[150:151], v[162:163]
	v_add_f64 v[152:153], v[152:153], v[154:155]
	s_waitcnt vmcnt(8) lgkmcnt(0)
	v_mul_f64 v[154:155], v[6:7], v[32:33]
	v_mul_f64 v[32:33], v[8:9], v[32:33]
	;; [unrolled: 18-line block ×5, first 2 shown]
	v_fma_f64 v[158:159], v[4:5], v[10:11], v[158:159]
	v_fma_f64 v[162:163], v[2:3], v[10:11], -v[12:13]
	ds_load_b128 v[2:5], v1 offset:816
	scratch_load_b128 v[10:13], off, off offset:416
	v_add_f64 v[150:151], v[150:151], v[160:161]
	v_add_f64 v[152:153], v[152:153], v[156:157]
	v_fma_f64 v[154:155], v[8:9], v[14:15], v[154:155]
	v_fma_f64 v[160:161], v[6:7], v[14:15], -v[16:17]
	ds_load_b128 v[6:9], v1 offset:832
	s_waitcnt vmcnt(8) lgkmcnt(1)
	v_mul_f64 v[156:157], v[2:3], v[20:21]
	v_mul_f64 v[20:21], v[4:5], v[20:21]
	scratch_load_b128 v[14:17], off, off offset:432
	v_add_f64 v[150:151], v[150:151], v[162:163]
	v_add_f64 v[152:153], v[152:153], v[158:159]
	s_waitcnt vmcnt(8) lgkmcnt(0)
	v_mul_f64 v[158:159], v[6:7], v[24:25]
	v_mul_f64 v[24:25], v[8:9], v[24:25]
	v_fma_f64 v[156:157], v[4:5], v[18:19], v[156:157]
	v_fma_f64 v[162:163], v[2:3], v[18:19], -v[20:21]
	scratch_load_b128 v[18:21], off, off offset:448
	ds_load_b128 v[2:5], v1 offset:848
	v_add_f64 v[150:151], v[150:151], v[160:161]
	v_add_f64 v[152:153], v[152:153], v[154:155]
	v_fma_f64 v[158:159], v[8:9], v[22:23], v[158:159]
	v_fma_f64 v[160:161], v[6:7], v[22:23], -v[24:25]
	ds_load_b128 v[6:9], v1 offset:864
	s_waitcnt vmcnt(8) lgkmcnt(1)
	v_mul_f64 v[154:155], v[2:3], v[28:29]
	v_mul_f64 v[28:29], v[4:5], v[28:29]
	scratch_load_b128 v[22:25], off, off offset:464
	v_add_f64 v[150:151], v[150:151], v[162:163]
	v_add_f64 v[152:153], v[152:153], v[156:157]
	s_waitcnt vmcnt(8) lgkmcnt(0)
	v_mul_f64 v[156:157], v[6:7], v[32:33]
	v_mul_f64 v[32:33], v[8:9], v[32:33]
	v_fma_f64 v[154:155], v[4:5], v[26:27], v[154:155]
	v_fma_f64 v[162:163], v[2:3], v[26:27], -v[28:29]
	scratch_load_b128 v[26:29], off, off offset:480
	ds_load_b128 v[2:5], v1 offset:880
	;; [unrolled: 18-line block ×3, first 2 shown]
	v_add_f64 v[150:151], v[150:151], v[160:161]
	v_add_f64 v[152:153], v[152:153], v[156:157]
	v_fma_f64 v[154:155], v[8:9], v[146:147], v[154:155]
	v_fma_f64 v[146:147], v[6:7], v[146:147], -v[148:149]
	ds_load_b128 v[6:9], v1 offset:928
	s_waitcnt vmcnt(8) lgkmcnt(1)
	v_mul_f64 v[156:157], v[2:3], v[40:41]
	v_mul_f64 v[40:41], v[4:5], v[40:41]
	v_add_f64 v[148:149], v[150:151], v[162:163]
	v_add_f64 v[150:151], v[152:153], v[158:159]
	s_waitcnt vmcnt(7) lgkmcnt(0)
	v_mul_f64 v[152:153], v[6:7], v[144:145]
	v_mul_f64 v[144:145], v[8:9], v[144:145]
	v_fma_f64 v[156:157], v[4:5], v[38:39], v[156:157]
	v_fma_f64 v[38:39], v[2:3], v[38:39], -v[40:41]
	ds_load_b128 v[2:5], v1 offset:944
	v_add_f64 v[40:41], v[148:149], v[146:147]
	v_add_f64 v[146:147], v[150:151], v[154:155]
	v_fma_f64 v[150:151], v[8:9], v[142:143], v[152:153]
	v_fma_f64 v[142:143], v[6:7], v[142:143], -v[144:145]
	ds_load_b128 v[6:9], v1 offset:960
	s_waitcnt vmcnt(5) lgkmcnt(0)
	v_mul_f64 v[152:153], v[6:7], v[16:17]
	v_mul_f64 v[16:17], v[8:9], v[16:17]
	v_add_f64 v[144:145], v[40:41], v[38:39]
	v_add_f64 v[146:147], v[146:147], v[156:157]
	scratch_load_b128 v[38:41], off, off offset:48
	v_mul_f64 v[148:149], v[2:3], v[12:13]
	v_mul_f64 v[12:13], v[4:5], v[12:13]
	s_delay_alu instid0(VALU_DEP_2) | instskip(NEXT) | instid1(VALU_DEP_2)
	v_fma_f64 v[148:149], v[4:5], v[10:11], v[148:149]
	v_fma_f64 v[10:11], v[2:3], v[10:11], -v[12:13]
	v_add_f64 v[12:13], v[144:145], v[142:143]
	v_add_f64 v[142:143], v[146:147], v[150:151]
	ds_load_b128 v[2:5], v1 offset:976
	v_fma_f64 v[146:147], v[8:9], v[14:15], v[152:153]
	v_fma_f64 v[14:15], v[6:7], v[14:15], -v[16:17]
	ds_load_b128 v[6:9], v1 offset:992
	s_waitcnt vmcnt(5) lgkmcnt(1)
	v_mul_f64 v[144:145], v[2:3], v[20:21]
	v_mul_f64 v[20:21], v[4:5], v[20:21]
	s_waitcnt vmcnt(4) lgkmcnt(0)
	v_mul_f64 v[16:17], v[6:7], v[24:25]
	v_mul_f64 v[24:25], v[8:9], v[24:25]
	v_add_f64 v[10:11], v[12:13], v[10:11]
	v_add_f64 v[12:13], v[142:143], v[148:149]
	v_fma_f64 v[142:143], v[4:5], v[18:19], v[144:145]
	v_fma_f64 v[18:19], v[2:3], v[18:19], -v[20:21]
	ds_load_b128 v[2:5], v1 offset:1008
	v_fma_f64 v[16:17], v[8:9], v[22:23], v[16:17]
	v_fma_f64 v[22:23], v[6:7], v[22:23], -v[24:25]
	ds_load_b128 v[6:9], v1 offset:1024
	v_add_f64 v[10:11], v[10:11], v[14:15]
	v_add_f64 v[12:13], v[12:13], v[146:147]
	s_waitcnt vmcnt(3) lgkmcnt(1)
	v_mul_f64 v[14:15], v[2:3], v[28:29]
	v_mul_f64 v[20:21], v[4:5], v[28:29]
	s_waitcnt vmcnt(2) lgkmcnt(0)
	v_mul_f64 v[24:25], v[8:9], v[32:33]
	v_add_f64 v[10:11], v[10:11], v[18:19]
	v_add_f64 v[12:13], v[12:13], v[142:143]
	v_mul_f64 v[18:19], v[6:7], v[32:33]
	v_fma_f64 v[14:15], v[4:5], v[26:27], v[14:15]
	v_fma_f64 v[20:21], v[2:3], v[26:27], -v[20:21]
	ds_load_b128 v[2:5], v1 offset:1040
	v_fma_f64 v[6:7], v[6:7], v[30:31], -v[24:25]
	v_add_f64 v[10:11], v[10:11], v[22:23]
	v_add_f64 v[12:13], v[12:13], v[16:17]
	s_waitcnt vmcnt(1) lgkmcnt(0)
	v_mul_f64 v[16:17], v[2:3], v[36:37]
	v_mul_f64 v[22:23], v[4:5], v[36:37]
	v_fma_f64 v[8:9], v[8:9], v[30:31], v[18:19]
	v_add_f64 v[10:11], v[10:11], v[20:21]
	v_add_f64 v[12:13], v[12:13], v[14:15]
	v_fma_f64 v[4:5], v[4:5], v[34:35], v[16:17]
	v_fma_f64 v[2:3], v[2:3], v[34:35], -v[22:23]
	s_delay_alu instid0(VALU_DEP_4) | instskip(NEXT) | instid1(VALU_DEP_4)
	v_add_f64 v[6:7], v[10:11], v[6:7]
	v_add_f64 v[8:9], v[12:13], v[8:9]
	s_delay_alu instid0(VALU_DEP_2) | instskip(NEXT) | instid1(VALU_DEP_2)
	v_add_f64 v[2:3], v[6:7], v[2:3]
	v_add_f64 v[4:5], v[8:9], v[4:5]
	s_waitcnt vmcnt(0)
	s_delay_alu instid0(VALU_DEP_2) | instskip(NEXT) | instid1(VALU_DEP_2)
	v_add_f64 v[2:3], v[38:39], -v[2:3]
	v_add_f64 v[4:5], v[40:41], -v[4:5]
	scratch_store_b128 off, v[2:5], off offset:48
	v_cmpx_lt_u32_e32 2, v108
	s_cbranch_execz .LBB32_207
; %bb.206:
	scratch_load_b128 v[5:8], v113, off
	v_mov_b32_e32 v2, v1
	v_mov_b32_e32 v3, v1
	;; [unrolled: 1-line block ×3, first 2 shown]
	scratch_store_b128 off, v[1:4], off offset:32
	s_waitcnt vmcnt(0)
	ds_store_b128 v141, v[5:8]
.LBB32_207:
	s_or_b32 exec_lo, exec_lo, s2
	s_waitcnt lgkmcnt(0)
	s_waitcnt_vscnt null, 0x0
	s_barrier
	buffer_gl0_inv
	s_clause 0x7
	scratch_load_b128 v[2:5], off, off offset:48
	scratch_load_b128 v[6:9], off, off offset:64
	;; [unrolled: 1-line block ×8, first 2 shown]
	ds_load_b128 v[38:41], v1 offset:576
	ds_load_b128 v[142:145], v1 offset:592
	s_clause 0x1
	scratch_load_b128 v[34:37], off, off offset:176
	scratch_load_b128 v[146:149], off, off offset:192
	s_mov_b32 s2, exec_lo
	s_waitcnt vmcnt(9) lgkmcnt(1)
	v_mul_f64 v[150:151], v[40:41], v[4:5]
	v_mul_f64 v[4:5], v[38:39], v[4:5]
	s_waitcnt vmcnt(8) lgkmcnt(0)
	v_mul_f64 v[152:153], v[142:143], v[8:9]
	v_mul_f64 v[8:9], v[144:145], v[8:9]
	s_delay_alu instid0(VALU_DEP_4) | instskip(NEXT) | instid1(VALU_DEP_4)
	v_fma_f64 v[150:151], v[38:39], v[2:3], -v[150:151]
	v_fma_f64 v[154:155], v[40:41], v[2:3], v[4:5]
	ds_load_b128 v[2:5], v1 offset:608
	scratch_load_b128 v[38:41], off, off offset:208
	v_fma_f64 v[152:153], v[144:145], v[6:7], v[152:153]
	v_fma_f64 v[158:159], v[142:143], v[6:7], -v[8:9]
	scratch_load_b128 v[142:145], off, off offset:224
	ds_load_b128 v[6:9], v1 offset:624
	s_waitcnt vmcnt(9) lgkmcnt(1)
	v_mul_f64 v[156:157], v[2:3], v[12:13]
	v_mul_f64 v[12:13], v[4:5], v[12:13]
	s_waitcnt vmcnt(8) lgkmcnt(0)
	v_mul_f64 v[160:161], v[6:7], v[16:17]
	v_mul_f64 v[16:17], v[8:9], v[16:17]
	v_add_f64 v[150:151], v[150:151], 0
	v_add_f64 v[154:155], v[154:155], 0
	v_fma_f64 v[156:157], v[4:5], v[10:11], v[156:157]
	v_fma_f64 v[162:163], v[2:3], v[10:11], -v[12:13]
	scratch_load_b128 v[10:13], off, off offset:240
	ds_load_b128 v[2:5], v1 offset:640
	v_add_f64 v[150:151], v[150:151], v[158:159]
	v_add_f64 v[152:153], v[154:155], v[152:153]
	v_fma_f64 v[158:159], v[8:9], v[14:15], v[160:161]
	v_fma_f64 v[160:161], v[6:7], v[14:15], -v[16:17]
	ds_load_b128 v[6:9], v1 offset:656
	scratch_load_b128 v[14:17], off, off offset:256
	s_waitcnt vmcnt(9) lgkmcnt(1)
	v_mul_f64 v[154:155], v[2:3], v[20:21]
	v_mul_f64 v[20:21], v[4:5], v[20:21]
	v_add_f64 v[150:151], v[150:151], v[162:163]
	v_add_f64 v[152:153], v[152:153], v[156:157]
	s_waitcnt vmcnt(8) lgkmcnt(0)
	v_mul_f64 v[156:157], v[6:7], v[24:25]
	v_mul_f64 v[24:25], v[8:9], v[24:25]
	v_fma_f64 v[154:155], v[4:5], v[18:19], v[154:155]
	v_fma_f64 v[162:163], v[2:3], v[18:19], -v[20:21]
	ds_load_b128 v[2:5], v1 offset:672
	scratch_load_b128 v[18:21], off, off offset:272
	v_add_f64 v[150:151], v[150:151], v[160:161]
	v_add_f64 v[152:153], v[152:153], v[158:159]
	v_fma_f64 v[156:157], v[8:9], v[22:23], v[156:157]
	v_fma_f64 v[160:161], v[6:7], v[22:23], -v[24:25]
	scratch_load_b128 v[22:25], off, off offset:288
	ds_load_b128 v[6:9], v1 offset:688
	s_waitcnt vmcnt(9) lgkmcnt(1)
	v_mul_f64 v[158:159], v[2:3], v[28:29]
	v_mul_f64 v[28:29], v[4:5], v[28:29]
	v_add_f64 v[150:151], v[150:151], v[162:163]
	v_add_f64 v[152:153], v[152:153], v[154:155]
	s_waitcnt vmcnt(8) lgkmcnt(0)
	v_mul_f64 v[154:155], v[6:7], v[32:33]
	v_mul_f64 v[32:33], v[8:9], v[32:33]
	v_fma_f64 v[158:159], v[4:5], v[26:27], v[158:159]
	v_fma_f64 v[162:163], v[2:3], v[26:27], -v[28:29]
	ds_load_b128 v[2:5], v1 offset:704
	scratch_load_b128 v[26:29], off, off offset:304
	v_add_f64 v[150:151], v[150:151], v[160:161]
	v_add_f64 v[152:153], v[152:153], v[156:157]
	v_fma_f64 v[154:155], v[8:9], v[30:31], v[154:155]
	v_fma_f64 v[160:161], v[6:7], v[30:31], -v[32:33]
	scratch_load_b128 v[30:33], off, off offset:320
	ds_load_b128 v[6:9], v1 offset:720
	;; [unrolled: 18-line block ×3, first 2 shown]
	s_waitcnt vmcnt(9) lgkmcnt(1)
	v_mul_f64 v[154:155], v[2:3], v[40:41]
	v_mul_f64 v[40:41], v[4:5], v[40:41]
	v_add_f64 v[150:151], v[150:151], v[162:163]
	v_add_f64 v[152:153], v[152:153], v[156:157]
	s_waitcnt vmcnt(8) lgkmcnt(0)
	v_mul_f64 v[156:157], v[6:7], v[144:145]
	v_mul_f64 v[144:145], v[8:9], v[144:145]
	v_fma_f64 v[154:155], v[4:5], v[38:39], v[154:155]
	v_fma_f64 v[162:163], v[2:3], v[38:39], -v[40:41]
	ds_load_b128 v[2:5], v1 offset:768
	scratch_load_b128 v[38:41], off, off offset:368
	v_add_f64 v[150:151], v[150:151], v[160:161]
	v_add_f64 v[152:153], v[152:153], v[158:159]
	v_fma_f64 v[156:157], v[8:9], v[142:143], v[156:157]
	v_fma_f64 v[160:161], v[6:7], v[142:143], -v[144:145]
	ds_load_b128 v[6:9], v1 offset:784
	s_waitcnt vmcnt(8) lgkmcnt(1)
	v_mul_f64 v[158:159], v[2:3], v[12:13]
	v_mul_f64 v[12:13], v[4:5], v[12:13]
	scratch_load_b128 v[142:145], off, off offset:384
	v_add_f64 v[150:151], v[150:151], v[162:163]
	v_add_f64 v[152:153], v[152:153], v[154:155]
	s_waitcnt vmcnt(8) lgkmcnt(0)
	v_mul_f64 v[154:155], v[6:7], v[16:17]
	v_mul_f64 v[16:17], v[8:9], v[16:17]
	v_fma_f64 v[158:159], v[4:5], v[10:11], v[158:159]
	v_fma_f64 v[162:163], v[2:3], v[10:11], -v[12:13]
	scratch_load_b128 v[10:13], off, off offset:400
	ds_load_b128 v[2:5], v1 offset:800
	v_add_f64 v[150:151], v[150:151], v[160:161]
	v_add_f64 v[152:153], v[152:153], v[156:157]
	v_fma_f64 v[154:155], v[8:9], v[14:15], v[154:155]
	v_fma_f64 v[160:161], v[6:7], v[14:15], -v[16:17]
	ds_load_b128 v[6:9], v1 offset:816
	s_waitcnt vmcnt(8) lgkmcnt(1)
	v_mul_f64 v[156:157], v[2:3], v[20:21]
	v_mul_f64 v[20:21], v[4:5], v[20:21]
	scratch_load_b128 v[14:17], off, off offset:416
	v_add_f64 v[150:151], v[150:151], v[162:163]
	v_add_f64 v[152:153], v[152:153], v[158:159]
	s_waitcnt vmcnt(8) lgkmcnt(0)
	v_mul_f64 v[158:159], v[6:7], v[24:25]
	v_mul_f64 v[24:25], v[8:9], v[24:25]
	v_fma_f64 v[156:157], v[4:5], v[18:19], v[156:157]
	v_fma_f64 v[162:163], v[2:3], v[18:19], -v[20:21]
	scratch_load_b128 v[18:21], off, off offset:432
	ds_load_b128 v[2:5], v1 offset:832
	;; [unrolled: 18-line block ×4, first 2 shown]
	v_add_f64 v[150:151], v[150:151], v[160:161]
	v_add_f64 v[152:153], v[152:153], v[156:157]
	v_fma_f64 v[154:155], v[8:9], v[146:147], v[154:155]
	v_fma_f64 v[160:161], v[6:7], v[146:147], -v[148:149]
	ds_load_b128 v[6:9], v1 offset:912
	s_waitcnt vmcnt(8) lgkmcnt(1)
	v_mul_f64 v[156:157], v[2:3], v[40:41]
	v_mul_f64 v[40:41], v[4:5], v[40:41]
	scratch_load_b128 v[146:149], off, off offset:512
	v_add_f64 v[150:151], v[150:151], v[162:163]
	v_add_f64 v[152:153], v[152:153], v[158:159]
	v_fma_f64 v[156:157], v[4:5], v[38:39], v[156:157]
	v_fma_f64 v[38:39], v[2:3], v[38:39], -v[40:41]
	ds_load_b128 v[2:5], v1 offset:928
	v_add_f64 v[40:41], v[150:151], v[160:161]
	v_add_f64 v[150:151], v[152:153], v[154:155]
	s_waitcnt vmcnt(7) lgkmcnt(0)
	v_mul_f64 v[152:153], v[2:3], v[12:13]
	v_mul_f64 v[12:13], v[4:5], v[12:13]
	s_delay_alu instid0(VALU_DEP_4) | instskip(NEXT) | instid1(VALU_DEP_4)
	v_add_f64 v[38:39], v[40:41], v[38:39]
	v_add_f64 v[40:41], v[150:151], v[156:157]
	s_delay_alu instid0(VALU_DEP_4) | instskip(NEXT) | instid1(VALU_DEP_4)
	v_fma_f64 v[150:151], v[4:5], v[10:11], v[152:153]
	v_fma_f64 v[152:153], v[2:3], v[10:11], -v[12:13]
	scratch_load_b128 v[10:13], off, off offset:32
	v_mul_f64 v[158:159], v[6:7], v[144:145]
	v_mul_f64 v[144:145], v[8:9], v[144:145]
	ds_load_b128 v[2:5], v1 offset:960
	v_fma_f64 v[154:155], v[8:9], v[142:143], v[158:159]
	v_fma_f64 v[142:143], v[6:7], v[142:143], -v[144:145]
	ds_load_b128 v[6:9], v1 offset:944
	s_waitcnt vmcnt(7) lgkmcnt(0)
	v_mul_f64 v[144:145], v[6:7], v[16:17]
	v_mul_f64 v[16:17], v[8:9], v[16:17]
	v_add_f64 v[40:41], v[40:41], v[154:155]
	v_add_f64 v[38:39], v[38:39], v[142:143]
	s_waitcnt vmcnt(6)
	v_mul_f64 v[142:143], v[2:3], v[20:21]
	v_mul_f64 v[20:21], v[4:5], v[20:21]
	v_fma_f64 v[144:145], v[8:9], v[14:15], v[144:145]
	v_fma_f64 v[14:15], v[6:7], v[14:15], -v[16:17]
	ds_load_b128 v[6:9], v1 offset:976
	v_add_f64 v[16:17], v[38:39], v[152:153]
	v_add_f64 v[38:39], v[40:41], v[150:151]
	v_fma_f64 v[142:143], v[4:5], v[18:19], v[142:143]
	v_fma_f64 v[18:19], v[2:3], v[18:19], -v[20:21]
	ds_load_b128 v[2:5], v1 offset:992
	s_waitcnt vmcnt(5) lgkmcnt(1)
	v_mul_f64 v[40:41], v[6:7], v[24:25]
	v_mul_f64 v[24:25], v[8:9], v[24:25]
	s_waitcnt vmcnt(4) lgkmcnt(0)
	v_mul_f64 v[20:21], v[2:3], v[28:29]
	v_mul_f64 v[28:29], v[4:5], v[28:29]
	v_add_f64 v[14:15], v[16:17], v[14:15]
	v_add_f64 v[16:17], v[38:39], v[144:145]
	v_fma_f64 v[38:39], v[8:9], v[22:23], v[40:41]
	v_fma_f64 v[22:23], v[6:7], v[22:23], -v[24:25]
	ds_load_b128 v[6:9], v1 offset:1008
	v_fma_f64 v[20:21], v[4:5], v[26:27], v[20:21]
	v_fma_f64 v[26:27], v[2:3], v[26:27], -v[28:29]
	ds_load_b128 v[2:5], v1 offset:1024
	s_waitcnt vmcnt(3) lgkmcnt(1)
	v_mul_f64 v[24:25], v[8:9], v[32:33]
	v_add_f64 v[14:15], v[14:15], v[18:19]
	v_add_f64 v[16:17], v[16:17], v[142:143]
	v_mul_f64 v[18:19], v[6:7], v[32:33]
	s_waitcnt vmcnt(2) lgkmcnt(0)
	v_mul_f64 v[28:29], v[4:5], v[36:37]
	v_fma_f64 v[24:25], v[6:7], v[30:31], -v[24:25]
	v_add_f64 v[14:15], v[14:15], v[22:23]
	v_add_f64 v[16:17], v[16:17], v[38:39]
	v_mul_f64 v[22:23], v[2:3], v[36:37]
	v_fma_f64 v[18:19], v[8:9], v[30:31], v[18:19]
	ds_load_b128 v[6:9], v1 offset:1040
	v_fma_f64 v[1:2], v[2:3], v[34:35], -v[28:29]
	v_add_f64 v[14:15], v[14:15], v[26:27]
	v_add_f64 v[16:17], v[16:17], v[20:21]
	s_waitcnt vmcnt(1) lgkmcnt(0)
	v_mul_f64 v[20:21], v[6:7], v[148:149]
	v_mul_f64 v[26:27], v[8:9], v[148:149]
	v_fma_f64 v[4:5], v[4:5], v[34:35], v[22:23]
	v_add_f64 v[14:15], v[14:15], v[24:25]
	v_add_f64 v[16:17], v[16:17], v[18:19]
	v_fma_f64 v[8:9], v[8:9], v[146:147], v[20:21]
	v_fma_f64 v[6:7], v[6:7], v[146:147], -v[26:27]
	s_delay_alu instid0(VALU_DEP_4) | instskip(NEXT) | instid1(VALU_DEP_4)
	v_add_f64 v[1:2], v[14:15], v[1:2]
	v_add_f64 v[3:4], v[16:17], v[4:5]
	s_delay_alu instid0(VALU_DEP_2) | instskip(NEXT) | instid1(VALU_DEP_2)
	v_add_f64 v[1:2], v[1:2], v[6:7]
	v_add_f64 v[3:4], v[3:4], v[8:9]
	s_waitcnt vmcnt(0)
	s_delay_alu instid0(VALU_DEP_2) | instskip(NEXT) | instid1(VALU_DEP_2)
	v_add_f64 v[1:2], v[10:11], -v[1:2]
	v_add_f64 v[3:4], v[12:13], -v[3:4]
	scratch_store_b128 off, v[1:4], off offset:32
	v_cmpx_lt_u32_e32 1, v108
	s_cbranch_execz .LBB32_209
; %bb.208:
	scratch_load_b128 v[1:4], v118, off
	v_mov_b32_e32 v5, 0
	s_delay_alu instid0(VALU_DEP_1)
	v_mov_b32_e32 v6, v5
	v_mov_b32_e32 v7, v5
	;; [unrolled: 1-line block ×3, first 2 shown]
	scratch_store_b128 off, v[5:8], off offset:16
	s_waitcnt vmcnt(0)
	ds_store_b128 v141, v[1:4]
.LBB32_209:
	s_or_b32 exec_lo, exec_lo, s2
	s_waitcnt lgkmcnt(0)
	s_waitcnt_vscnt null, 0x0
	s_barrier
	buffer_gl0_inv
	s_clause 0x7
	scratch_load_b128 v[2:5], off, off offset:32
	scratch_load_b128 v[6:9], off, off offset:48
	;; [unrolled: 1-line block ×8, first 2 shown]
	v_mov_b32_e32 v1, 0
	s_clause 0x1
	scratch_load_b128 v[34:37], off, off offset:160
	scratch_load_b128 v[146:149], off, off offset:176
	s_mov_b32 s2, exec_lo
	ds_load_b128 v[38:41], v1 offset:560
	ds_load_b128 v[142:145], v1 offset:576
	s_waitcnt vmcnt(9) lgkmcnt(1)
	v_mul_f64 v[150:151], v[40:41], v[4:5]
	v_mul_f64 v[4:5], v[38:39], v[4:5]
	s_waitcnt vmcnt(8) lgkmcnt(0)
	v_mul_f64 v[152:153], v[142:143], v[8:9]
	v_mul_f64 v[8:9], v[144:145], v[8:9]
	s_delay_alu instid0(VALU_DEP_4) | instskip(NEXT) | instid1(VALU_DEP_4)
	v_fma_f64 v[150:151], v[38:39], v[2:3], -v[150:151]
	v_fma_f64 v[154:155], v[40:41], v[2:3], v[4:5]
	ds_load_b128 v[2:5], v1 offset:592
	scratch_load_b128 v[38:41], off, off offset:192
	v_fma_f64 v[152:153], v[144:145], v[6:7], v[152:153]
	v_fma_f64 v[158:159], v[142:143], v[6:7], -v[8:9]
	scratch_load_b128 v[142:145], off, off offset:208
	ds_load_b128 v[6:9], v1 offset:608
	s_waitcnt vmcnt(9) lgkmcnt(1)
	v_mul_f64 v[156:157], v[2:3], v[12:13]
	v_mul_f64 v[12:13], v[4:5], v[12:13]
	s_waitcnt vmcnt(8) lgkmcnt(0)
	v_mul_f64 v[160:161], v[6:7], v[16:17]
	v_mul_f64 v[16:17], v[8:9], v[16:17]
	v_add_f64 v[150:151], v[150:151], 0
	v_add_f64 v[154:155], v[154:155], 0
	v_fma_f64 v[156:157], v[4:5], v[10:11], v[156:157]
	v_fma_f64 v[162:163], v[2:3], v[10:11], -v[12:13]
	ds_load_b128 v[2:5], v1 offset:624
	scratch_load_b128 v[10:13], off, off offset:224
	v_add_f64 v[150:151], v[150:151], v[158:159]
	v_add_f64 v[152:153], v[154:155], v[152:153]
	v_fma_f64 v[158:159], v[8:9], v[14:15], v[160:161]
	v_fma_f64 v[160:161], v[6:7], v[14:15], -v[16:17]
	scratch_load_b128 v[14:17], off, off offset:240
	ds_load_b128 v[6:9], v1 offset:640
	s_waitcnt vmcnt(9) lgkmcnt(1)
	v_mul_f64 v[154:155], v[2:3], v[20:21]
	v_mul_f64 v[20:21], v[4:5], v[20:21]
	v_add_f64 v[150:151], v[150:151], v[162:163]
	v_add_f64 v[152:153], v[152:153], v[156:157]
	s_waitcnt vmcnt(8) lgkmcnt(0)
	v_mul_f64 v[156:157], v[6:7], v[24:25]
	v_mul_f64 v[24:25], v[8:9], v[24:25]
	v_fma_f64 v[154:155], v[4:5], v[18:19], v[154:155]
	v_fma_f64 v[162:163], v[2:3], v[18:19], -v[20:21]
	ds_load_b128 v[2:5], v1 offset:656
	scratch_load_b128 v[18:21], off, off offset:256
	v_add_f64 v[150:151], v[150:151], v[160:161]
	v_add_f64 v[152:153], v[152:153], v[158:159]
	v_fma_f64 v[156:157], v[8:9], v[22:23], v[156:157]
	v_fma_f64 v[160:161], v[6:7], v[22:23], -v[24:25]
	scratch_load_b128 v[22:25], off, off offset:272
	ds_load_b128 v[6:9], v1 offset:672
	s_waitcnt vmcnt(9) lgkmcnt(1)
	v_mul_f64 v[158:159], v[2:3], v[28:29]
	v_mul_f64 v[28:29], v[4:5], v[28:29]
	v_add_f64 v[150:151], v[150:151], v[162:163]
	v_add_f64 v[152:153], v[152:153], v[154:155]
	s_waitcnt vmcnt(8) lgkmcnt(0)
	v_mul_f64 v[154:155], v[6:7], v[32:33]
	v_mul_f64 v[32:33], v[8:9], v[32:33]
	;; [unrolled: 18-line block ×6, first 2 shown]
	v_fma_f64 v[156:157], v[4:5], v[18:19], v[156:157]
	v_fma_f64 v[162:163], v[2:3], v[18:19], -v[20:21]
	ds_load_b128 v[2:5], v1 offset:816
	scratch_load_b128 v[18:21], off, off offset:416
	v_add_f64 v[150:151], v[150:151], v[160:161]
	v_add_f64 v[152:153], v[152:153], v[154:155]
	v_fma_f64 v[158:159], v[8:9], v[22:23], v[158:159]
	v_fma_f64 v[160:161], v[6:7], v[22:23], -v[24:25]
	ds_load_b128 v[6:9], v1 offset:832
	s_waitcnt vmcnt(8) lgkmcnt(1)
	v_mul_f64 v[154:155], v[2:3], v[28:29]
	v_mul_f64 v[28:29], v[4:5], v[28:29]
	scratch_load_b128 v[22:25], off, off offset:432
	v_add_f64 v[150:151], v[150:151], v[162:163]
	v_add_f64 v[152:153], v[152:153], v[156:157]
	s_waitcnt vmcnt(8) lgkmcnt(0)
	v_mul_f64 v[156:157], v[6:7], v[32:33]
	v_mul_f64 v[32:33], v[8:9], v[32:33]
	v_fma_f64 v[154:155], v[4:5], v[26:27], v[154:155]
	v_fma_f64 v[162:163], v[2:3], v[26:27], -v[28:29]
	scratch_load_b128 v[26:29], off, off offset:448
	ds_load_b128 v[2:5], v1 offset:848
	v_add_f64 v[150:151], v[150:151], v[160:161]
	v_add_f64 v[152:153], v[152:153], v[158:159]
	v_fma_f64 v[156:157], v[8:9], v[30:31], v[156:157]
	v_fma_f64 v[160:161], v[6:7], v[30:31], -v[32:33]
	ds_load_b128 v[6:9], v1 offset:864
	s_waitcnt vmcnt(8) lgkmcnt(1)
	v_mul_f64 v[158:159], v[2:3], v[36:37]
	v_mul_f64 v[36:37], v[4:5], v[36:37]
	scratch_load_b128 v[30:33], off, off offset:464
	v_add_f64 v[150:151], v[150:151], v[162:163]
	v_add_f64 v[152:153], v[152:153], v[154:155]
	s_waitcnt vmcnt(8) lgkmcnt(0)
	v_mul_f64 v[154:155], v[6:7], v[148:149]
	v_mul_f64 v[148:149], v[8:9], v[148:149]
	v_fma_f64 v[158:159], v[4:5], v[34:35], v[158:159]
	v_fma_f64 v[162:163], v[2:3], v[34:35], -v[36:37]
	scratch_load_b128 v[34:37], off, off offset:480
	ds_load_b128 v[2:5], v1 offset:880
	;; [unrolled: 18-line block ×3, first 2 shown]
	v_add_f64 v[150:151], v[150:151], v[160:161]
	v_add_f64 v[152:153], v[152:153], v[154:155]
	v_fma_f64 v[158:159], v[8:9], v[142:143], v[158:159]
	v_fma_f64 v[142:143], v[6:7], v[142:143], -v[144:145]
	ds_load_b128 v[6:9], v1 offset:928
	s_waitcnt vmcnt(8) lgkmcnt(1)
	v_mul_f64 v[154:155], v[2:3], v[12:13]
	v_mul_f64 v[12:13], v[4:5], v[12:13]
	v_add_f64 v[144:145], v[150:151], v[162:163]
	v_add_f64 v[150:151], v[152:153], v[156:157]
	s_waitcnt vmcnt(7) lgkmcnt(0)
	v_mul_f64 v[152:153], v[6:7], v[16:17]
	v_mul_f64 v[16:17], v[8:9], v[16:17]
	v_fma_f64 v[154:155], v[4:5], v[10:11], v[154:155]
	v_fma_f64 v[10:11], v[2:3], v[10:11], -v[12:13]
	ds_load_b128 v[2:5], v1 offset:944
	v_add_f64 v[12:13], v[144:145], v[142:143]
	v_add_f64 v[142:143], v[150:151], v[158:159]
	v_fma_f64 v[150:151], v[8:9], v[14:15], v[152:153]
	v_fma_f64 v[14:15], v[6:7], v[14:15], -v[16:17]
	ds_load_b128 v[6:9], v1 offset:960
	s_waitcnt vmcnt(5) lgkmcnt(0)
	v_mul_f64 v[152:153], v[6:7], v[24:25]
	v_mul_f64 v[24:25], v[8:9], v[24:25]
	v_add_f64 v[16:17], v[12:13], v[10:11]
	v_add_f64 v[142:143], v[142:143], v[154:155]
	scratch_load_b128 v[10:13], off, off offset:16
	v_mul_f64 v[144:145], v[2:3], v[20:21]
	v_mul_f64 v[20:21], v[4:5], v[20:21]
	v_add_f64 v[14:15], v[16:17], v[14:15]
	v_add_f64 v[16:17], v[142:143], v[150:151]
	v_fma_f64 v[142:143], v[8:9], v[22:23], v[152:153]
	v_fma_f64 v[144:145], v[4:5], v[18:19], v[144:145]
	v_fma_f64 v[18:19], v[2:3], v[18:19], -v[20:21]
	ds_load_b128 v[2:5], v1 offset:976
	v_fma_f64 v[22:23], v[6:7], v[22:23], -v[24:25]
	ds_load_b128 v[6:9], v1 offset:992
	s_waitcnt vmcnt(5) lgkmcnt(1)
	v_mul_f64 v[20:21], v[2:3], v[28:29]
	v_mul_f64 v[28:29], v[4:5], v[28:29]
	s_waitcnt vmcnt(4) lgkmcnt(0)
	v_mul_f64 v[24:25], v[8:9], v[32:33]
	v_add_f64 v[16:17], v[16:17], v[144:145]
	v_add_f64 v[14:15], v[14:15], v[18:19]
	v_mul_f64 v[18:19], v[6:7], v[32:33]
	v_fma_f64 v[20:21], v[4:5], v[26:27], v[20:21]
	v_fma_f64 v[26:27], v[2:3], v[26:27], -v[28:29]
	ds_load_b128 v[2:5], v1 offset:1008
	v_fma_f64 v[24:25], v[6:7], v[30:31], -v[24:25]
	v_add_f64 v[16:17], v[16:17], v[142:143]
	v_add_f64 v[14:15], v[14:15], v[22:23]
	v_fma_f64 v[18:19], v[8:9], v[30:31], v[18:19]
	ds_load_b128 v[6:9], v1 offset:1024
	s_waitcnt vmcnt(3) lgkmcnt(1)
	v_mul_f64 v[22:23], v[2:3], v[36:37]
	v_mul_f64 v[28:29], v[4:5], v[36:37]
	v_add_f64 v[16:17], v[16:17], v[20:21]
	v_add_f64 v[14:15], v[14:15], v[26:27]
	s_waitcnt vmcnt(2) lgkmcnt(0)
	v_mul_f64 v[20:21], v[6:7], v[148:149]
	v_mul_f64 v[26:27], v[8:9], v[148:149]
	v_fma_f64 v[22:23], v[4:5], v[34:35], v[22:23]
	v_fma_f64 v[28:29], v[2:3], v[34:35], -v[28:29]
	ds_load_b128 v[2:5], v1 offset:1040
	v_add_f64 v[16:17], v[16:17], v[18:19]
	v_add_f64 v[14:15], v[14:15], v[24:25]
	s_waitcnt vmcnt(1) lgkmcnt(0)
	v_mul_f64 v[18:19], v[2:3], v[40:41]
	v_mul_f64 v[24:25], v[4:5], v[40:41]
	v_fma_f64 v[8:9], v[8:9], v[146:147], v[20:21]
	v_fma_f64 v[6:7], v[6:7], v[146:147], -v[26:27]
	v_add_f64 v[16:17], v[16:17], v[22:23]
	v_add_f64 v[14:15], v[14:15], v[28:29]
	v_fma_f64 v[4:5], v[4:5], v[38:39], v[18:19]
	v_fma_f64 v[2:3], v[2:3], v[38:39], -v[24:25]
	s_delay_alu instid0(VALU_DEP_4) | instskip(NEXT) | instid1(VALU_DEP_4)
	v_add_f64 v[8:9], v[16:17], v[8:9]
	v_add_f64 v[6:7], v[14:15], v[6:7]
	s_delay_alu instid0(VALU_DEP_2) | instskip(NEXT) | instid1(VALU_DEP_2)
	v_add_f64 v[4:5], v[8:9], v[4:5]
	v_add_f64 v[2:3], v[6:7], v[2:3]
	s_waitcnt vmcnt(0)
	s_delay_alu instid0(VALU_DEP_2) | instskip(NEXT) | instid1(VALU_DEP_2)
	v_add_f64 v[4:5], v[12:13], -v[4:5]
	v_add_f64 v[2:3], v[10:11], -v[2:3]
	scratch_store_b128 off, v[2:5], off offset:16
	v_cmpx_ne_u32_e32 0, v108
	s_cbranch_execz .LBB32_211
; %bb.210:
	scratch_load_b128 v[5:8], off, off
	v_mov_b32_e32 v2, v1
	v_mov_b32_e32 v3, v1
	v_mov_b32_e32 v4, v1
	scratch_store_b128 off, v[1:4], off
	s_waitcnt vmcnt(0)
	ds_store_b128 v141, v[5:8]
.LBB32_211:
	s_or_b32 exec_lo, exec_lo, s2
	s_waitcnt lgkmcnt(0)
	s_waitcnt_vscnt null, 0x0
	s_barrier
	buffer_gl0_inv
	s_clause 0x7
	scratch_load_b128 v[2:5], off, off offset:16
	scratch_load_b128 v[6:9], off, off offset:32
	;; [unrolled: 1-line block ×8, first 2 shown]
	ds_load_b128 v[38:41], v1 offset:544
	ds_load_b128 v[141:144], v1 offset:560
	s_clause 0x1
	scratch_load_b128 v[34:37], off, off offset:144
	scratch_load_b128 v[145:148], off, off offset:160
	s_and_b32 vcc_lo, exec_lo, s20
	s_waitcnt vmcnt(9) lgkmcnt(1)
	v_mul_f64 v[149:150], v[40:41], v[4:5]
	v_mul_f64 v[4:5], v[38:39], v[4:5]
	s_waitcnt vmcnt(8) lgkmcnt(0)
	v_mul_f64 v[151:152], v[141:142], v[8:9]
	v_mul_f64 v[8:9], v[143:144], v[8:9]
	s_delay_alu instid0(VALU_DEP_4) | instskip(NEXT) | instid1(VALU_DEP_4)
	v_fma_f64 v[149:150], v[38:39], v[2:3], -v[149:150]
	v_fma_f64 v[153:154], v[40:41], v[2:3], v[4:5]
	ds_load_b128 v[2:5], v1 offset:576
	scratch_load_b128 v[38:41], off, off offset:176
	v_fma_f64 v[151:152], v[143:144], v[6:7], v[151:152]
	v_fma_f64 v[157:158], v[141:142], v[6:7], -v[8:9]
	scratch_load_b128 v[141:144], off, off offset:192
	ds_load_b128 v[6:9], v1 offset:592
	s_waitcnt vmcnt(9) lgkmcnt(1)
	v_mul_f64 v[155:156], v[2:3], v[12:13]
	v_mul_f64 v[12:13], v[4:5], v[12:13]
	s_waitcnt vmcnt(8) lgkmcnt(0)
	v_mul_f64 v[159:160], v[6:7], v[16:17]
	v_mul_f64 v[16:17], v[8:9], v[16:17]
	v_add_f64 v[149:150], v[149:150], 0
	v_add_f64 v[153:154], v[153:154], 0
	v_fma_f64 v[155:156], v[4:5], v[10:11], v[155:156]
	v_fma_f64 v[161:162], v[2:3], v[10:11], -v[12:13]
	ds_load_b128 v[2:5], v1 offset:608
	scratch_load_b128 v[10:13], off, off offset:208
	v_add_f64 v[149:150], v[149:150], v[157:158]
	v_add_f64 v[151:152], v[153:154], v[151:152]
	v_fma_f64 v[157:158], v[8:9], v[14:15], v[159:160]
	v_fma_f64 v[159:160], v[6:7], v[14:15], -v[16:17]
	scratch_load_b128 v[14:17], off, off offset:224
	ds_load_b128 v[6:9], v1 offset:624
	s_waitcnt vmcnt(9) lgkmcnt(1)
	v_mul_f64 v[153:154], v[2:3], v[20:21]
	v_mul_f64 v[20:21], v[4:5], v[20:21]
	v_add_f64 v[149:150], v[149:150], v[161:162]
	v_add_f64 v[151:152], v[151:152], v[155:156]
	s_waitcnt vmcnt(8) lgkmcnt(0)
	v_mul_f64 v[155:156], v[6:7], v[24:25]
	v_mul_f64 v[24:25], v[8:9], v[24:25]
	v_fma_f64 v[153:154], v[4:5], v[18:19], v[153:154]
	v_fma_f64 v[161:162], v[2:3], v[18:19], -v[20:21]
	ds_load_b128 v[2:5], v1 offset:640
	scratch_load_b128 v[18:21], off, off offset:240
	v_add_f64 v[149:150], v[149:150], v[159:160]
	v_add_f64 v[151:152], v[151:152], v[157:158]
	v_fma_f64 v[155:156], v[8:9], v[22:23], v[155:156]
	v_fma_f64 v[159:160], v[6:7], v[22:23], -v[24:25]
	scratch_load_b128 v[22:25], off, off offset:256
	ds_load_b128 v[6:9], v1 offset:656
	s_waitcnt vmcnt(9) lgkmcnt(1)
	v_mul_f64 v[157:158], v[2:3], v[28:29]
	v_mul_f64 v[28:29], v[4:5], v[28:29]
	v_add_f64 v[149:150], v[149:150], v[161:162]
	v_add_f64 v[151:152], v[151:152], v[153:154]
	s_waitcnt vmcnt(8) lgkmcnt(0)
	v_mul_f64 v[153:154], v[6:7], v[32:33]
	v_mul_f64 v[32:33], v[8:9], v[32:33]
	;; [unrolled: 18-line block ×6, first 2 shown]
	v_fma_f64 v[155:156], v[4:5], v[18:19], v[155:156]
	v_fma_f64 v[161:162], v[2:3], v[18:19], -v[20:21]
	ds_load_b128 v[2:5], v1 offset:800
	scratch_load_b128 v[18:21], off, off offset:400
	v_add_f64 v[149:150], v[149:150], v[159:160]
	v_add_f64 v[151:152], v[151:152], v[153:154]
	v_fma_f64 v[157:158], v[8:9], v[22:23], v[157:158]
	v_fma_f64 v[159:160], v[6:7], v[22:23], -v[24:25]
	ds_load_b128 v[6:9], v1 offset:816
	s_waitcnt vmcnt(8) lgkmcnt(1)
	v_mul_f64 v[153:154], v[2:3], v[28:29]
	v_mul_f64 v[28:29], v[4:5], v[28:29]
	scratch_load_b128 v[22:25], off, off offset:416
	v_add_f64 v[149:150], v[149:150], v[161:162]
	v_add_f64 v[151:152], v[151:152], v[155:156]
	s_waitcnt vmcnt(8) lgkmcnt(0)
	v_mul_f64 v[155:156], v[6:7], v[32:33]
	v_mul_f64 v[32:33], v[8:9], v[32:33]
	v_fma_f64 v[153:154], v[4:5], v[26:27], v[153:154]
	v_fma_f64 v[161:162], v[2:3], v[26:27], -v[28:29]
	ds_load_b128 v[2:5], v1 offset:832
	scratch_load_b128 v[26:29], off, off offset:432
	v_add_f64 v[149:150], v[149:150], v[159:160]
	v_add_f64 v[151:152], v[151:152], v[157:158]
	v_fma_f64 v[155:156], v[8:9], v[30:31], v[155:156]
	v_fma_f64 v[159:160], v[6:7], v[30:31], -v[32:33]
	ds_load_b128 v[6:9], v1 offset:848
	s_waitcnt vmcnt(8) lgkmcnt(1)
	v_mul_f64 v[157:158], v[2:3], v[36:37]
	v_mul_f64 v[36:37], v[4:5], v[36:37]
	scratch_load_b128 v[30:33], off, off offset:448
	v_add_f64 v[149:150], v[149:150], v[161:162]
	v_add_f64 v[151:152], v[151:152], v[153:154]
	s_waitcnt vmcnt(8) lgkmcnt(0)
	v_mul_f64 v[153:154], v[6:7], v[147:148]
	v_mul_f64 v[147:148], v[8:9], v[147:148]
	v_fma_f64 v[157:158], v[4:5], v[34:35], v[157:158]
	v_fma_f64 v[161:162], v[2:3], v[34:35], -v[36:37]
	scratch_load_b128 v[34:37], off, off offset:464
	ds_load_b128 v[2:5], v1 offset:864
	v_add_f64 v[149:150], v[149:150], v[159:160]
	v_add_f64 v[151:152], v[151:152], v[155:156]
	v_fma_f64 v[153:154], v[8:9], v[145:146], v[153:154]
	v_fma_f64 v[159:160], v[6:7], v[145:146], -v[147:148]
	ds_load_b128 v[6:9], v1 offset:880
	s_waitcnt vmcnt(8) lgkmcnt(1)
	v_mul_f64 v[155:156], v[2:3], v[40:41]
	v_mul_f64 v[40:41], v[4:5], v[40:41]
	scratch_load_b128 v[145:148], off, off offset:480
	v_add_f64 v[149:150], v[149:150], v[161:162]
	v_add_f64 v[151:152], v[151:152], v[157:158]
	s_waitcnt vmcnt(8) lgkmcnt(0)
	v_mul_f64 v[157:158], v[6:7], v[143:144]
	v_mul_f64 v[143:144], v[8:9], v[143:144]
	v_fma_f64 v[155:156], v[4:5], v[38:39], v[155:156]
	v_fma_f64 v[161:162], v[2:3], v[38:39], -v[40:41]
	scratch_load_b128 v[38:41], off, off offset:496
	ds_load_b128 v[2:5], v1 offset:896
	v_add_f64 v[149:150], v[149:150], v[159:160]
	v_add_f64 v[151:152], v[151:152], v[153:154]
	v_fma_f64 v[157:158], v[8:9], v[141:142], v[157:158]
	v_fma_f64 v[159:160], v[6:7], v[141:142], -v[143:144]
	ds_load_b128 v[6:9], v1 offset:912
	s_waitcnt vmcnt(8) lgkmcnt(1)
	v_mul_f64 v[153:154], v[2:3], v[12:13]
	v_mul_f64 v[12:13], v[4:5], v[12:13]
	scratch_load_b128 v[141:144], off, off offset:512
	v_add_f64 v[149:150], v[149:150], v[161:162]
	v_add_f64 v[151:152], v[151:152], v[155:156]
	s_waitcnt vmcnt(8) lgkmcnt(0)
	v_mul_f64 v[155:156], v[6:7], v[16:17]
	v_mul_f64 v[16:17], v[8:9], v[16:17]
	v_fma_f64 v[153:154], v[4:5], v[10:11], v[153:154]
	v_fma_f64 v[10:11], v[2:3], v[10:11], -v[12:13]
	ds_load_b128 v[2:5], v1 offset:928
	v_add_f64 v[12:13], v[149:150], v[159:160]
	v_add_f64 v[149:150], v[151:152], v[157:158]
	v_fma_f64 v[155:156], v[8:9], v[14:15], v[155:156]
	v_fma_f64 v[14:15], v[6:7], v[14:15], -v[16:17]
	ds_load_b128 v[6:9], v1 offset:944
	s_waitcnt vmcnt(7) lgkmcnt(1)
	v_mul_f64 v[151:152], v[2:3], v[20:21]
	v_mul_f64 v[20:21], v[4:5], v[20:21]
	v_add_f64 v[10:11], v[12:13], v[10:11]
	v_add_f64 v[12:13], v[149:150], v[153:154]
	s_delay_alu instid0(VALU_DEP_4) | instskip(NEXT) | instid1(VALU_DEP_4)
	v_fma_f64 v[149:150], v[4:5], v[18:19], v[151:152]
	v_fma_f64 v[18:19], v[2:3], v[18:19], -v[20:21]
	ds_load_b128 v[2:5], v1 offset:960
	v_add_f64 v[14:15], v[10:11], v[14:15]
	v_add_f64 v[20:21], v[12:13], v[155:156]
	scratch_load_b128 v[10:13], off, off
	s_waitcnt vmcnt(7) lgkmcnt(1)
	v_mul_f64 v[16:17], v[6:7], v[24:25]
	v_mul_f64 v[24:25], v[8:9], v[24:25]
	v_add_f64 v[14:15], v[14:15], v[18:19]
	v_add_f64 v[18:19], v[20:21], v[149:150]
	s_delay_alu instid0(VALU_DEP_4) | instskip(NEXT) | instid1(VALU_DEP_4)
	v_fma_f64 v[16:17], v[8:9], v[22:23], v[16:17]
	v_fma_f64 v[22:23], v[6:7], v[22:23], -v[24:25]
	ds_load_b128 v[6:9], v1 offset:976
	s_waitcnt vmcnt(6) lgkmcnt(1)
	v_mul_f64 v[151:152], v[2:3], v[28:29]
	v_mul_f64 v[28:29], v[4:5], v[28:29]
	s_waitcnt vmcnt(5) lgkmcnt(0)
	v_mul_f64 v[20:21], v[6:7], v[32:33]
	v_mul_f64 v[24:25], v[8:9], v[32:33]
	v_add_f64 v[16:17], v[18:19], v[16:17]
	v_add_f64 v[14:15], v[14:15], v[22:23]
	v_fma_f64 v[32:33], v[4:5], v[26:27], v[151:152]
	v_fma_f64 v[26:27], v[2:3], v[26:27], -v[28:29]
	ds_load_b128 v[2:5], v1 offset:992
	v_fma_f64 v[20:21], v[8:9], v[30:31], v[20:21]
	v_fma_f64 v[24:25], v[6:7], v[30:31], -v[24:25]
	ds_load_b128 v[6:9], v1 offset:1008
	s_waitcnt vmcnt(4) lgkmcnt(1)
	v_mul_f64 v[18:19], v[2:3], v[36:37]
	v_mul_f64 v[22:23], v[4:5], v[36:37]
	v_add_f64 v[16:17], v[16:17], v[32:33]
	v_add_f64 v[14:15], v[14:15], v[26:27]
	s_waitcnt vmcnt(3) lgkmcnt(0)
	v_mul_f64 v[26:27], v[6:7], v[147:148]
	v_mul_f64 v[28:29], v[8:9], v[147:148]
	v_fma_f64 v[18:19], v[4:5], v[34:35], v[18:19]
	v_fma_f64 v[22:23], v[2:3], v[34:35], -v[22:23]
	ds_load_b128 v[2:5], v1 offset:1024
	v_add_f64 v[16:17], v[16:17], v[20:21]
	v_add_f64 v[14:15], v[14:15], v[24:25]
	v_fma_f64 v[26:27], v[8:9], v[145:146], v[26:27]
	v_fma_f64 v[28:29], v[6:7], v[145:146], -v[28:29]
	ds_load_b128 v[6:9], v1 offset:1040
	s_waitcnt vmcnt(2) lgkmcnt(1)
	v_mul_f64 v[20:21], v[2:3], v[40:41]
	v_mul_f64 v[24:25], v[4:5], v[40:41]
	v_add_f64 v[16:17], v[16:17], v[18:19]
	v_add_f64 v[14:15], v[14:15], v[22:23]
	s_waitcnt vmcnt(1) lgkmcnt(0)
	v_mul_f64 v[18:19], v[6:7], v[143:144]
	v_mul_f64 v[22:23], v[8:9], v[143:144]
	v_fma_f64 v[4:5], v[4:5], v[38:39], v[20:21]
	v_fma_f64 v[1:2], v[2:3], v[38:39], -v[24:25]
	v_add_f64 v[16:17], v[16:17], v[26:27]
	v_add_f64 v[14:15], v[14:15], v[28:29]
	v_fma_f64 v[8:9], v[8:9], v[141:142], v[18:19]
	v_fma_f64 v[6:7], v[6:7], v[141:142], -v[22:23]
	s_delay_alu instid0(VALU_DEP_4) | instskip(NEXT) | instid1(VALU_DEP_4)
	v_add_f64 v[3:4], v[16:17], v[4:5]
	v_add_f64 v[1:2], v[14:15], v[1:2]
	s_delay_alu instid0(VALU_DEP_2) | instskip(NEXT) | instid1(VALU_DEP_2)
	v_add_f64 v[3:4], v[3:4], v[8:9]
	v_add_f64 v[1:2], v[1:2], v[6:7]
	s_waitcnt vmcnt(0)
	s_delay_alu instid0(VALU_DEP_2) | instskip(NEXT) | instid1(VALU_DEP_2)
	v_add_f64 v[3:4], v[12:13], -v[3:4]
	v_add_f64 v[1:2], v[10:11], -v[1:2]
	scratch_store_b128 off, v[1:4], off
	s_cbranch_vccz .LBB32_277
; %bb.212:
	v_dual_mov_b32 v1, s16 :: v_dual_mov_b32 v2, s17
	s_load_b64 s[0:1], s[0:1], 0x4
	flat_load_b32 v1, v[1:2] offset:124
	v_bfe_u32 v2, v0, 10, 10
	v_bfe_u32 v0, v0, 20, 10
	s_waitcnt lgkmcnt(0)
	s_lshr_b32 s0, s0, 16
	s_delay_alu instid0(VALU_DEP_2) | instskip(SKIP_1) | instid1(SALU_CYCLE_1)
	v_mul_u32_u24_e32 v2, s1, v2
	s_mul_i32 s0, s0, s1
	v_mul_u32_u24_e32 v3, s0, v108
	s_mov_b32 s0, exec_lo
	s_delay_alu instid0(VALU_DEP_1) | instskip(NEXT) | instid1(VALU_DEP_1)
	v_add3_u32 v0, v3, v2, v0
	v_lshl_add_u32 v0, v0, 4, 0x428
	s_waitcnt vmcnt(0)
	v_cmpx_ne_u32_e32 32, v1
	s_cbranch_execz .LBB32_214
; %bb.213:
	v_lshl_add_u32 v9, v1, 4, 0
	s_clause 0x1
	scratch_load_b128 v[1:4], v111, off
	scratch_load_b128 v[5:8], v9, off offset:-16
	s_waitcnt vmcnt(1)
	ds_store_2addr_b64 v0, v[1:2], v[3:4] offset1:1
	s_waitcnt vmcnt(0)
	s_clause 0x1
	scratch_store_b128 v111, v[5:8], off
	scratch_store_b128 v9, v[1:4], off offset:-16
.LBB32_214:
	s_or_b32 exec_lo, exec_lo, s0
	v_dual_mov_b32 v1, s16 :: v_dual_mov_b32 v2, s17
	s_mov_b32 s0, exec_lo
	flat_load_b32 v1, v[1:2] offset:120
	s_waitcnt vmcnt(0) lgkmcnt(0)
	v_cmpx_ne_u32_e32 31, v1
	s_cbranch_execz .LBB32_216
; %bb.215:
	v_lshl_add_u32 v9, v1, 4, 0
	s_clause 0x1
	scratch_load_b128 v[1:4], v114, off
	scratch_load_b128 v[5:8], v9, off offset:-16
	s_waitcnt vmcnt(1)
	ds_store_2addr_b64 v0, v[1:2], v[3:4] offset1:1
	s_waitcnt vmcnt(0)
	s_clause 0x1
	scratch_store_b128 v114, v[5:8], off
	scratch_store_b128 v9, v[1:4], off offset:-16
.LBB32_216:
	s_or_b32 exec_lo, exec_lo, s0
	v_dual_mov_b32 v1, s16 :: v_dual_mov_b32 v2, s17
	s_mov_b32 s0, exec_lo
	flat_load_b32 v1, v[1:2] offset:116
	s_waitcnt vmcnt(0) lgkmcnt(0)
	;; [unrolled: 19-line block ×30, first 2 shown]
	v_cmpx_ne_u32_e32 2, v1
	s_cbranch_execz .LBB32_274
; %bb.273:
	v_lshl_add_u32 v9, v1, 4, 0
	s_clause 0x1
	scratch_load_b128 v[1:4], v118, off
	scratch_load_b128 v[5:8], v9, off offset:-16
	s_waitcnt vmcnt(1)
	ds_store_2addr_b64 v0, v[1:2], v[3:4] offset1:1
	s_waitcnt vmcnt(0)
	s_clause 0x1
	scratch_store_b128 v118, v[5:8], off
	scratch_store_b128 v9, v[1:4], off offset:-16
.LBB32_274:
	s_or_b32 exec_lo, exec_lo, s0
	v_dual_mov_b32 v1, s16 :: v_dual_mov_b32 v2, s17
	s_mov_b32 s0, exec_lo
	flat_load_b32 v1, v[1:2]
	s_waitcnt vmcnt(0) lgkmcnt(0)
	v_cmpx_ne_u32_e32 1, v1
	s_cbranch_execz .LBB32_276
; %bb.275:
	v_lshl_add_u32 v9, v1, 4, 0
	scratch_load_b128 v[1:4], off, off
	scratch_load_b128 v[5:8], v9, off offset:-16
	s_waitcnt vmcnt(1)
	ds_store_2addr_b64 v0, v[1:2], v[3:4] offset1:1
	s_waitcnt vmcnt(0)
	scratch_store_b128 off, v[5:8], off
	scratch_store_b128 v9, v[1:4], off offset:-16
.LBB32_276:
	s_or_b32 exec_lo, exec_lo, s0
.LBB32_277:
	scratch_load_b128 v[0:3], off, off
	s_clause 0x13
	scratch_load_b128 v[4:7], v118, off
	scratch_load_b128 v[8:11], v113, off
	;; [unrolled: 1-line block ×20, first 2 shown]
	s_waitcnt vmcnt(20)
	global_store_b128 v[42:43], v[0:3], off
	s_clause 0x1
	scratch_load_b128 v[0:3], v126, off
	scratch_load_b128 v[40:43], v125, off
	s_waitcnt vmcnt(21)
	global_store_b128 v[46:47], v[4:7], off
	s_clause 0x1
	scratch_load_b128 v[4:7], v124, off
	scratch_load_b128 v[123:126], v123, off
	;; [unrolled: 5-line block ×6, first 2 shown]
	s_waitcnt vmcnt(26)
	global_store_b128 v[54:55], v[24:27], off
	s_waitcnt vmcnt(25)
	global_store_b128 v[56:57], v[28:31], off
	;; [unrolled: 2-line block ×27, first 2 shown]
	s_endpgm
	.section	.rodata,"a",@progbits
	.p2align	6, 0x0
	.amdhsa_kernel _ZN9rocsolver6v33100L18getri_kernel_smallILi33E19rocblas_complex_numIdEPS3_EEvT1_iilPiilS6_bb
		.amdhsa_group_segment_fixed_size 2088
		.amdhsa_private_segment_fixed_size 544
		.amdhsa_kernarg_size 60
		.amdhsa_user_sgpr_count 15
		.amdhsa_user_sgpr_dispatch_ptr 1
		.amdhsa_user_sgpr_queue_ptr 0
		.amdhsa_user_sgpr_kernarg_segment_ptr 1
		.amdhsa_user_sgpr_dispatch_id 0
		.amdhsa_user_sgpr_private_segment_size 0
		.amdhsa_wavefront_size32 1
		.amdhsa_uses_dynamic_stack 0
		.amdhsa_enable_private_segment 1
		.amdhsa_system_sgpr_workgroup_id_x 1
		.amdhsa_system_sgpr_workgroup_id_y 0
		.amdhsa_system_sgpr_workgroup_id_z 0
		.amdhsa_system_sgpr_workgroup_info 0
		.amdhsa_system_vgpr_workitem_id 2
		.amdhsa_next_free_vgpr 185
		.amdhsa_next_free_sgpr 40
		.amdhsa_reserve_vcc 1
		.amdhsa_float_round_mode_32 0
		.amdhsa_float_round_mode_16_64 0
		.amdhsa_float_denorm_mode_32 3
		.amdhsa_float_denorm_mode_16_64 3
		.amdhsa_dx10_clamp 1
		.amdhsa_ieee_mode 1
		.amdhsa_fp16_overflow 0
		.amdhsa_workgroup_processor_mode 1
		.amdhsa_memory_ordered 1
		.amdhsa_forward_progress 0
		.amdhsa_shared_vgpr_count 0
		.amdhsa_exception_fp_ieee_invalid_op 0
		.amdhsa_exception_fp_denorm_src 0
		.amdhsa_exception_fp_ieee_div_zero 0
		.amdhsa_exception_fp_ieee_overflow 0
		.amdhsa_exception_fp_ieee_underflow 0
		.amdhsa_exception_fp_ieee_inexact 0
		.amdhsa_exception_int_div_zero 0
	.end_amdhsa_kernel
	.section	.text._ZN9rocsolver6v33100L18getri_kernel_smallILi33E19rocblas_complex_numIdEPS3_EEvT1_iilPiilS6_bb,"axG",@progbits,_ZN9rocsolver6v33100L18getri_kernel_smallILi33E19rocblas_complex_numIdEPS3_EEvT1_iilPiilS6_bb,comdat
.Lfunc_end32:
	.size	_ZN9rocsolver6v33100L18getri_kernel_smallILi33E19rocblas_complex_numIdEPS3_EEvT1_iilPiilS6_bb, .Lfunc_end32-_ZN9rocsolver6v33100L18getri_kernel_smallILi33E19rocblas_complex_numIdEPS3_EEvT1_iilPiilS6_bb
                                        ; -- End function
	.section	.AMDGPU.csdata,"",@progbits
; Kernel info:
; codeLenInByte = 56632
; NumSgprs: 42
; NumVgprs: 185
; ScratchSize: 544
; MemoryBound: 0
; FloatMode: 240
; IeeeMode: 1
; LDSByteSize: 2088 bytes/workgroup (compile time only)
; SGPRBlocks: 5
; VGPRBlocks: 23
; NumSGPRsForWavesPerEU: 42
; NumVGPRsForWavesPerEU: 185
; Occupancy: 8
; WaveLimiterHint : 1
; COMPUTE_PGM_RSRC2:SCRATCH_EN: 1
; COMPUTE_PGM_RSRC2:USER_SGPR: 15
; COMPUTE_PGM_RSRC2:TRAP_HANDLER: 0
; COMPUTE_PGM_RSRC2:TGID_X_EN: 1
; COMPUTE_PGM_RSRC2:TGID_Y_EN: 0
; COMPUTE_PGM_RSRC2:TGID_Z_EN: 0
; COMPUTE_PGM_RSRC2:TIDIG_COMP_CNT: 2
	.section	.text._ZN9rocsolver6v33100L18getri_kernel_smallILi34E19rocblas_complex_numIdEPS3_EEvT1_iilPiilS6_bb,"axG",@progbits,_ZN9rocsolver6v33100L18getri_kernel_smallILi34E19rocblas_complex_numIdEPS3_EEvT1_iilPiilS6_bb,comdat
	.globl	_ZN9rocsolver6v33100L18getri_kernel_smallILi34E19rocblas_complex_numIdEPS3_EEvT1_iilPiilS6_bb ; -- Begin function _ZN9rocsolver6v33100L18getri_kernel_smallILi34E19rocblas_complex_numIdEPS3_EEvT1_iilPiilS6_bb
	.p2align	8
	.type	_ZN9rocsolver6v33100L18getri_kernel_smallILi34E19rocblas_complex_numIdEPS3_EEvT1_iilPiilS6_bb,@function
_ZN9rocsolver6v33100L18getri_kernel_smallILi34E19rocblas_complex_numIdEPS3_EEvT1_iilPiilS6_bb: ; @_ZN9rocsolver6v33100L18getri_kernel_smallILi34E19rocblas_complex_numIdEPS3_EEvT1_iilPiilS6_bb
; %bb.0:
	v_and_b32_e32 v110, 0x3ff, v0
	s_mov_b32 s4, exec_lo
	s_delay_alu instid0(VALU_DEP_1)
	v_cmpx_gt_u32_e32 34, v110
	s_cbranch_execz .LBB33_150
; %bb.1:
	s_mov_b32 s18, s15
	s_clause 0x2
	s_load_b32 s21, s[2:3], 0x38
	s_load_b128 s[12:15], s[2:3], 0x10
	s_load_b128 s[4:7], s[2:3], 0x28
                                        ; implicit-def: $sgpr16_sgpr17
	s_waitcnt lgkmcnt(0)
	s_bitcmp1_b32 s21, 8
	s_cselect_b32 s20, -1, 0
	s_bfe_u32 s8, s21, 0x10008
	s_ashr_i32 s19, s18, 31
	s_cmp_eq_u32 s8, 0
	s_cbranch_scc1 .LBB33_3
; %bb.2:
	s_load_b32 s8, s[2:3], 0x20
	s_mul_i32 s5, s18, s5
	s_mul_hi_u32 s9, s18, s4
	s_mul_i32 s10, s19, s4
	s_add_i32 s5, s9, s5
	s_mul_i32 s4, s18, s4
	s_add_i32 s5, s5, s10
	s_delay_alu instid0(SALU_CYCLE_1)
	s_lshl_b64 s[4:5], s[4:5], 2
	s_waitcnt lgkmcnt(0)
	s_ashr_i32 s9, s8, 31
	s_add_u32 s10, s14, s4
	s_addc_u32 s11, s15, s5
	s_lshl_b64 s[4:5], s[8:9], 2
	s_delay_alu instid0(SALU_CYCLE_1)
	s_add_u32 s16, s10, s4
	s_addc_u32 s17, s11, s5
.LBB33_3:
	s_load_b128 s[8:11], s[2:3], 0x0
	s_mul_i32 s2, s18, s13
	s_mul_hi_u32 s3, s18, s12
	s_mul_i32 s4, s19, s12
	s_add_i32 s3, s3, s2
	s_mul_i32 s2, s18, s12
	s_add_i32 s3, s3, s4
	v_lshlrev_b32_e32 v13, 4, v110
	s_lshl_b64 s[2:3], s[2:3], 4
	s_movk_i32 s14, 0xe0
	s_movk_i32 s15, 0xf0
	;; [unrolled: 1-line block ×11, first 2 shown]
	s_waitcnt lgkmcnt(0)
	v_add3_u32 v5, s11, s11, v110
	s_ashr_i32 s13, s10, 31
	s_mov_b32 s12, s10
	s_add_u32 s4, s8, s2
	s_addc_u32 s5, s9, s3
	v_add_nc_u32_e32 v7, s11, v5
	s_lshl_b64 s[2:3], s[12:13], 4
	v_ashrrev_i32_e32 v6, 31, v5
	s_add_u32 s2, s4, s2
	s_addc_u32 s3, s5, s3
	v_add_nc_u32_e32 v14, s11, v7
	v_add_co_u32 v42, s4, s2, v13
	v_ashrrev_i32_e32 v8, 31, v7
	s_mov_b32 s8, s11
	s_delay_alu instid0(VALU_DEP_3) | instskip(SKIP_3) | instid1(VALU_DEP_3)
	v_add_nc_u32_e32 v16, s11, v14
	s_ashr_i32 s9, s11, 31
	v_add_co_ci_u32_e64 v43, null, s3, 0, s4
	v_lshlrev_b64 v[5:6], 4, v[5:6]
	v_add_nc_u32_e32 v22, s11, v16
	s_lshl_b64 s[4:5], s[8:9], 4
	v_ashrrev_i32_e32 v15, 31, v14
	v_add_co_u32 v44, vcc_lo, v42, s4
	s_delay_alu instid0(VALU_DEP_3)
	v_add_nc_u32_e32 v24, s11, v22
	v_lshlrev_b64 v[18:19], 4, v[7:8]
	v_ashrrev_i32_e32 v17, 31, v16
	v_add_co_ci_u32_e32 v45, vcc_lo, s5, v43, vcc_lo
	v_add_co_u32 v46, vcc_lo, s2, v5
	v_lshlrev_b64 v[14:15], 4, v[14:15]
	v_add_nc_u32_e32 v30, s11, v24
	v_ashrrev_i32_e32 v23, 31, v22
	v_add_co_ci_u32_e32 v47, vcc_lo, s3, v6, vcc_lo
	v_add_co_u32 v50, vcc_lo, s2, v18
	v_lshlrev_b64 v[26:27], 4, v[16:17]
	v_ashrrev_i32_e32 v25, 31, v24
	v_add_co_ci_u32_e32 v51, vcc_lo, s3, v19, vcc_lo
	v_add_nc_u32_e32 v34, s11, v30
	v_add_co_u32 v48, vcc_lo, s2, v14
	v_lshlrev_b64 v[22:23], 4, v[22:23]
	v_ashrrev_i32_e32 v31, 31, v30
	v_add_co_ci_u32_e32 v49, vcc_lo, s3, v15, vcc_lo
	v_add_co_u32 v52, vcc_lo, s2, v26
	v_lshlrev_b64 v[24:25], 4, v[24:25]
	v_add_nc_u32_e32 v64, s11, v34
	v_add_co_ci_u32_e32 v53, vcc_lo, s3, v27, vcc_lo
	v_add_co_u32 v54, vcc_lo, s2, v22
	v_ashrrev_i32_e32 v35, 31, v34
	v_lshlrev_b64 v[36:37], 4, v[30:31]
	v_add_co_ci_u32_e32 v55, vcc_lo, s3, v23, vcc_lo
	v_add_co_u32 v56, vcc_lo, s2, v24
	v_ashrrev_i32_e32 v65, 31, v64
	v_add_co_ci_u32_e32 v57, vcc_lo, s3, v25, vcc_lo
	v_lshlrev_b64 v[34:35], 4, v[34:35]
	v_add_co_u32 v58, vcc_lo, s2, v36
	v_add_co_ci_u32_e32 v59, vcc_lo, s3, v37, vcc_lo
	v_lshlrev_b64 v[36:37], 4, v[64:65]
	s_delay_alu instid0(VALU_DEP_4)
	v_add_co_u32 v60, vcc_lo, s2, v34
	v_add_co_ci_u32_e32 v61, vcc_lo, s3, v35, vcc_lo
	global_load_b128 v[1:4], v13, s[2:3]
	v_add_co_u32 v62, vcc_lo, s2, v36
	s_clause 0x3
	global_load_b128 v[5:8], v[44:45], off
	global_load_b128 v[9:12], v[46:47], off
	;; [unrolled: 1-line block ×4, first 2 shown]
	v_add_co_ci_u32_e32 v63, vcc_lo, s3, v37, vcc_lo
	s_clause 0x5
	global_load_b128 v[22:25], v[52:53], off
	global_load_b128 v[26:29], v[54:55], off
	global_load_b128 v[30:33], v[56:57], off
	global_load_b128 v[34:37], v[58:59], off
	global_load_b128 v[38:41], v[60:61], off
	global_load_b128 v[111:114], v[62:63], off
	v_add_nc_u32_e32 v64, s11, v64
	s_movk_i32 s4, 0x60
	s_movk_i32 s5, 0x70
	;; [unrolled: 1-line block ×4, first 2 shown]
	v_add_nc_u32_e32 v66, s11, v64
	v_ashrrev_i32_e32 v65, 31, v64
	s_movk_i32 s10, 0xa0
	s_movk_i32 s12, 0xc0
	;; [unrolled: 1-line block ×3, first 2 shown]
	v_add_nc_u32_e32 v68, s11, v66
	v_ashrrev_i32_e32 v67, 31, v66
	v_lshlrev_b64 v[64:65], 4, v[64:65]
	s_movk_i32 s31, 0x190
	s_movk_i32 s33, 0x1a0
	v_add_nc_u32_e32 v70, s11, v68
	v_ashrrev_i32_e32 v69, 31, v68
	v_lshlrev_b64 v[66:67], 4, v[66:67]
	v_add_co_u32 v64, vcc_lo, s2, v64
	s_delay_alu instid0(VALU_DEP_4) | instskip(SKIP_3) | instid1(VALU_DEP_4)
	v_add_nc_u32_e32 v72, s11, v70
	v_ashrrev_i32_e32 v71, 31, v70
	v_lshlrev_b64 v[68:69], 4, v[68:69]
	v_add_co_ci_u32_e32 v65, vcc_lo, s3, v65, vcc_lo
	v_add_nc_u32_e32 v74, s11, v72
	v_ashrrev_i32_e32 v73, 31, v72
	v_add_co_u32 v66, vcc_lo, s2, v66
	v_lshlrev_b64 v[70:71], 4, v[70:71]
	s_delay_alu instid0(VALU_DEP_4) | instskip(SKIP_3) | instid1(VALU_DEP_4)
	v_add_nc_u32_e32 v76, s11, v74
	v_ashrrev_i32_e32 v75, 31, v74
	v_add_co_ci_u32_e32 v67, vcc_lo, s3, v67, vcc_lo
	v_add_co_u32 v68, vcc_lo, s2, v68
	v_add_nc_u32_e32 v78, s11, v76
	v_lshlrev_b64 v[72:73], 4, v[72:73]
	v_ashrrev_i32_e32 v77, 31, v76
	v_add_co_ci_u32_e32 v69, vcc_lo, s3, v69, vcc_lo
	s_delay_alu instid0(VALU_DEP_4) | instskip(SKIP_3) | instid1(VALU_DEP_4)
	v_add_nc_u32_e32 v80, s11, v78
	v_add_co_u32 v70, vcc_lo, s2, v70
	v_lshlrev_b64 v[74:75], 4, v[74:75]
	v_ashrrev_i32_e32 v79, 31, v78
	v_add_nc_u32_e32 v82, s11, v80
	v_add_co_ci_u32_e32 v71, vcc_lo, s3, v71, vcc_lo
	v_add_co_u32 v72, vcc_lo, s2, v72
	s_delay_alu instid0(VALU_DEP_3) | instskip(SKIP_3) | instid1(VALU_DEP_4)
	v_add_nc_u32_e32 v84, s11, v82
	v_lshlrev_b64 v[76:77], 4, v[76:77]
	v_ashrrev_i32_e32 v81, 31, v80
	v_add_co_ci_u32_e32 v73, vcc_lo, s3, v73, vcc_lo
	v_add_nc_u32_e32 v86, s11, v84
	v_add_co_u32 v74, vcc_lo, s2, v74
	v_lshlrev_b64 v[78:79], 4, v[78:79]
	v_ashrrev_i32_e32 v83, 31, v82
	s_delay_alu instid0(VALU_DEP_4) | instskip(SKIP_2) | instid1(VALU_DEP_3)
	v_add_nc_u32_e32 v88, s11, v86
	v_add_co_ci_u32_e32 v75, vcc_lo, s3, v75, vcc_lo
	v_add_co_u32 v76, vcc_lo, s2, v76
	v_add_nc_u32_e32 v90, s11, v88
	v_lshlrev_b64 v[80:81], 4, v[80:81]
	v_ashrrev_i32_e32 v85, 31, v84
	v_add_co_ci_u32_e32 v77, vcc_lo, s3, v77, vcc_lo
	s_delay_alu instid0(VALU_DEP_4) | instskip(SKIP_3) | instid1(VALU_DEP_4)
	v_add_nc_u32_e32 v92, s11, v90
	v_add_co_u32 v78, vcc_lo, s2, v78
	v_lshlrev_b64 v[82:83], 4, v[82:83]
	v_add_co_ci_u32_e32 v79, vcc_lo, s3, v79, vcc_lo
	v_add_nc_u32_e32 v94, s11, v92
	v_add_co_u32 v80, vcc_lo, s2, v80
	v_lshlrev_b64 v[84:85], 4, v[84:85]
	v_ashrrev_i32_e32 v87, 31, v86
	s_delay_alu instid0(VALU_DEP_4) | instskip(SKIP_2) | instid1(VALU_DEP_3)
	v_add_nc_u32_e32 v96, s11, v94
	v_add_co_ci_u32_e32 v81, vcc_lo, s3, v81, vcc_lo
	v_add_co_u32 v82, vcc_lo, s2, v82
	v_add_nc_u32_e32 v98, s11, v96
	v_ashrrev_i32_e32 v89, 31, v88
	v_add_co_ci_u32_e32 v83, vcc_lo, s3, v83, vcc_lo
	v_lshlrev_b64 v[119:120], 4, v[86:87]
	s_delay_alu instid0(VALU_DEP_4) | instskip(SKIP_3) | instid1(VALU_DEP_4)
	v_add_nc_u32_e32 v100, s11, v98
	v_add_co_u32 v86, vcc_lo, s2, v84
	v_ashrrev_i32_e32 v91, 31, v90
	v_add_co_ci_u32_e32 v87, vcc_lo, s3, v85, vcc_lo
	v_add_nc_u32_e32 v102, s11, v100
	v_lshlrev_b64 v[121:122], 4, v[88:89]
	v_ashrrev_i32_e32 v93, 31, v92
	v_ashrrev_i32_e32 v95, 31, v94
	;; [unrolled: 1-line block ×3, first 2 shown]
	v_add_nc_u32_e32 v104, s11, v102
	v_ashrrev_i32_e32 v99, 31, v98
	v_ashrrev_i32_e32 v101, 31, v100
	;; [unrolled: 1-line block ×3, first 2 shown]
	s_clause 0x1
	global_load_b128 v[115:118], v[64:65], off
	global_load_b128 v[123:126], v[66:67], off
	v_add_nc_u32_e32 v106, s11, v104
	v_ashrrev_i32_e32 v105, 31, v104
	s_clause 0x5
	global_load_b128 v[127:130], v[68:69], off
	global_load_b128 v[144:147], v[70:71], off
	;; [unrolled: 1-line block ×6, first 2 shown]
	v_add_nc_u32_e32 v107, s11, v106
	s_clause 0x1
	global_load_b128 v[164:167], v[80:81], off
	global_load_b128 v[168:171], v[82:83], off
	s_movk_i32 s11, 0xb0
	s_movk_i32 s34, 0x1b0
	s_movk_i32 s35, 0x1c0
	v_ashrrev_i32_e32 v108, 31, v107
	s_movk_i32 s36, 0x1d0
	s_movk_i32 s37, 0x1e0
	;; [unrolled: 1-line block ×4, first 2 shown]
	v_lshlrev_b64 v[107:108], 4, v[107:108]
	s_movk_i32 s40, 0x210
	v_add_nc_u32_e64 v141, s4, 0
	v_add_nc_u32_e64 v142, s5, 0
	;; [unrolled: 1-line block ×4, first 2 shown]
	v_add_co_u32 v84, vcc_lo, s2, v107
	v_add_co_ci_u32_e32 v85, vcc_lo, s3, v108, vcc_lo
	v_add_co_u32 v88, vcc_lo, s2, v119
	v_lshlrev_b64 v[107:108], 4, v[90:91]
	v_add_co_ci_u32_e32 v89, vcc_lo, s3, v120, vcc_lo
	v_add_co_u32 v90, vcc_lo, s2, v121
	v_add_co_ci_u32_e32 v91, vcc_lo, s3, v122, vcc_lo
	v_lshlrev_b64 v[119:120], 4, v[92:93]
	v_add_co_u32 v92, vcc_lo, s2, v107
	v_add_co_ci_u32_e32 v93, vcc_lo, s3, v108, vcc_lo
	v_lshlrev_b64 v[107:108], 4, v[94:95]
	s_delay_alu instid0(VALU_DEP_4) | instskip(SKIP_2) | instid1(VALU_DEP_4)
	v_add_co_u32 v94, vcc_lo, s2, v119
	v_add_co_ci_u32_e32 v95, vcc_lo, s3, v120, vcc_lo
	v_lshlrev_b64 v[119:120], 4, v[96:97]
	v_add_co_u32 v96, vcc_lo, s2, v107
	v_add_co_ci_u32_e32 v97, vcc_lo, s3, v108, vcc_lo
	v_lshlrev_b64 v[107:108], 4, v[98:99]
	s_delay_alu instid0(VALU_DEP_4) | instskip(SKIP_2) | instid1(VALU_DEP_4)
	v_add_co_u32 v98, vcc_lo, s2, v119
	v_add_co_ci_u32_e32 v99, vcc_lo, s3, v120, vcc_lo
	v_lshlrev_b64 v[119:120], 4, v[100:101]
	v_add_co_u32 v100, vcc_lo, s2, v107
	v_add_co_ci_u32_e32 v101, vcc_lo, s3, v108, vcc_lo
	v_lshlrev_b64 v[108:109], 4, v[102:103]
	s_delay_alu instid0(VALU_DEP_4)
	v_add_co_u32 v102, vcc_lo, s2, v119
	v_ashrrev_i32_e32 v107, 31, v106
	v_add_co_ci_u32_e32 v103, vcc_lo, s3, v120, vcc_lo
	v_lshlrev_b64 v[119:120], 4, v[104:105]
	v_add_co_u32 v104, vcc_lo, s2, v108
	v_add_co_ci_u32_e32 v105, vcc_lo, s3, v109, vcc_lo
	v_lshlrev_b64 v[108:109], 4, v[106:107]
	s_delay_alu instid0(VALU_DEP_4)
	v_add_co_u32 v106, vcc_lo, s2, v119
	v_add_co_ci_u32_e32 v107, vcc_lo, s3, v120, vcc_lo
	global_load_b128 v[172:175], v[84:85], off
	v_add_co_u32 v108, vcc_lo, s2, v108
	v_add_co_ci_u32_e32 v109, vcc_lo, s3, v109, vcc_lo
	s_movk_i32 s2, 0x50
	v_add_nc_u32_e64 v122, 0, 16
	v_add_nc_u32_e64 v120, 0, 32
	;; [unrolled: 1-line block ×13, first 2 shown]
	s_mov_b32 s3, -1
	s_bitcmp0_b32 s21, 0
	s_waitcnt vmcnt(21)
	scratch_store_b128 off, v[1:4], off
	s_clause 0x1
	global_load_b128 v[1:4], v[86:87], off
	global_load_b128 v[176:179], v[88:89], off
	s_waitcnt vmcnt(22)
	scratch_store_b128 off, v[5:8], off offset:16
	s_waitcnt vmcnt(21)
	scratch_store_b128 off, v[9:12], off offset:32
	s_clause 0x1
	global_load_b128 v[5:8], v[90:91], off
	global_load_b128 v[9:12], v[92:93], off
	s_waitcnt vmcnt(22)
	scratch_store_b128 off, v[14:17], off offset:48
	s_waitcnt vmcnt(21)
	scratch_store_b128 off, v[18:21], off offset:64
	;; [unrolled: 7-line block ×5, first 2 shown]
	s_clause 0x1
	global_load_b128 v[38:41], v[106:107], off
	global_load_b128 v[180:183], v[108:109], off
	v_add_nc_u32_e64 v114, s37, 0
	v_add_nc_u32_e64 v113, s38, 0
	;; [unrolled: 1-line block ×4, first 2 shown]
	s_waitcnt vmcnt(22)
	scratch_store_b128 off, v[115:118], off offset:176
	s_waitcnt vmcnt(21)
	scratch_store_b128 off, v[123:126], off offset:192
	v_add_nc_u32_e64 v125, s28, 0
	s_waitcnt vmcnt(20)
	scratch_store_b128 off, v[127:130], off offset:208
	s_waitcnt vmcnt(19)
	scratch_store_b128 off, v[144:147], off offset:224
	v_add_nc_u32_e64 v129, s24, 0
	v_add_nc_u32_e64 v130, s25, 0
	;; [unrolled: 1-line block ×11, first 2 shown]
	s_waitcnt vmcnt(18)
	scratch_store_b128 off, v[148:151], off offset:240
	s_waitcnt vmcnt(17)
	scratch_store_b128 off, v[152:155], off offset:256
	;; [unrolled: 2-line block ×17, first 2 shown]
	s_waitcnt vmcnt(0)
	s_clause 0x1
	scratch_store_b128 off, v[180:183], off offset:512
	scratch_store_b128 off, v[172:175], off offset:528
	s_cbranch_scc1 .LBB33_148
; %bb.4:
	v_cmp_eq_u32_e64 s2, 0, v110
	s_delay_alu instid0(VALU_DEP_1)
	s_and_saveexec_b32 s3, s2
	s_cbranch_execz .LBB33_6
; %bb.5:
	v_mov_b32_e32 v1, 0
	ds_store_b32 v1, v1 offset:1088
.LBB33_6:
	s_or_b32 exec_lo, exec_lo, s3
	s_waitcnt lgkmcnt(0)
	s_waitcnt_vscnt null, 0x0
	s_barrier
	buffer_gl0_inv
	scratch_load_b128 v[1:4], v13, off
	s_waitcnt vmcnt(0)
	v_cmp_eq_f64_e32 vcc_lo, 0, v[1:2]
	v_cmp_eq_f64_e64 s3, 0, v[3:4]
	s_delay_alu instid0(VALU_DEP_1) | instskip(NEXT) | instid1(SALU_CYCLE_1)
	s_and_b32 s3, vcc_lo, s3
	s_and_saveexec_b32 s4, s3
	s_cbranch_execz .LBB33_10
; %bb.7:
	v_mov_b32_e32 v1, 0
	s_mov_b32 s5, 0
	ds_load_b32 v2, v1 offset:1088
	s_waitcnt lgkmcnt(0)
	v_readfirstlane_b32 s3, v2
	v_add_nc_u32_e32 v2, 1, v110
	s_delay_alu instid0(VALU_DEP_2) | instskip(NEXT) | instid1(VALU_DEP_1)
	s_cmp_eq_u32 s3, 0
	v_cmp_gt_i32_e32 vcc_lo, s3, v2
	s_cselect_b32 s8, -1, 0
	s_delay_alu instid0(SALU_CYCLE_1) | instskip(NEXT) | instid1(SALU_CYCLE_1)
	s_or_b32 s8, s8, vcc_lo
	s_and_b32 exec_lo, exec_lo, s8
	s_cbranch_execz .LBB33_10
; %bb.8:
	v_mov_b32_e32 v3, s3
.LBB33_9:                               ; =>This Inner Loop Header: Depth=1
	ds_cmpstore_rtn_b32 v3, v1, v2, v3 offset:1088
	s_waitcnt lgkmcnt(0)
	v_cmp_ne_u32_e32 vcc_lo, 0, v3
	v_cmp_le_i32_e64 s3, v3, v2
	s_delay_alu instid0(VALU_DEP_1) | instskip(NEXT) | instid1(SALU_CYCLE_1)
	s_and_b32 s3, vcc_lo, s3
	s_and_b32 s3, exec_lo, s3
	s_delay_alu instid0(SALU_CYCLE_1) | instskip(NEXT) | instid1(SALU_CYCLE_1)
	s_or_b32 s5, s3, s5
	s_and_not1_b32 exec_lo, exec_lo, s5
	s_cbranch_execnz .LBB33_9
.LBB33_10:
	s_or_b32 exec_lo, exec_lo, s4
	v_mov_b32_e32 v1, 0
	s_barrier
	buffer_gl0_inv
	ds_load_b32 v2, v1 offset:1088
	s_and_saveexec_b32 s3, s2
	s_cbranch_execz .LBB33_12
; %bb.11:
	s_lshl_b64 s[4:5], s[18:19], 2
	s_delay_alu instid0(SALU_CYCLE_1)
	s_add_u32 s4, s6, s4
	s_addc_u32 s5, s7, s5
	s_waitcnt lgkmcnt(0)
	global_store_b32 v1, v2, s[4:5]
.LBB33_12:
	s_or_b32 exec_lo, exec_lo, s3
	s_waitcnt lgkmcnt(0)
	v_cmp_ne_u32_e32 vcc_lo, 0, v2
	s_mov_b32 s3, 0
	s_cbranch_vccnz .LBB33_148
; %bb.13:
	v_add_nc_u32_e32 v14, 0, v13
                                        ; implicit-def: $vgpr9_vgpr10
	scratch_load_b128 v[1:4], v14, off
	s_waitcnt vmcnt(0)
	v_mov_b32_e32 v5, v1
	v_cmp_gt_f64_e32 vcc_lo, 0, v[1:2]
	v_xor_b32_e32 v6, 0x80000000, v2
	v_xor_b32_e32 v7, 0x80000000, v4
	s_delay_alu instid0(VALU_DEP_2) | instskip(SKIP_1) | instid1(VALU_DEP_3)
	v_cndmask_b32_e32 v6, v2, v6, vcc_lo
	v_cmp_gt_f64_e32 vcc_lo, 0, v[3:4]
	v_dual_cndmask_b32 v8, v4, v7 :: v_dual_mov_b32 v7, v3
	s_delay_alu instid0(VALU_DEP_1) | instskip(SKIP_1) | instid1(SALU_CYCLE_1)
	v_cmp_ngt_f64_e32 vcc_lo, v[5:6], v[7:8]
                                        ; implicit-def: $vgpr5_vgpr6
	s_and_saveexec_b32 s3, vcc_lo
	s_xor_b32 s3, exec_lo, s3
	s_cbranch_execz .LBB33_15
; %bb.14:
	v_div_scale_f64 v[5:6], null, v[3:4], v[3:4], v[1:2]
	v_div_scale_f64 v[11:12], vcc_lo, v[1:2], v[3:4], v[1:2]
	s_delay_alu instid0(VALU_DEP_2) | instskip(SKIP_2) | instid1(VALU_DEP_1)
	v_rcp_f64_e32 v[7:8], v[5:6]
	s_waitcnt_depctr 0xfff
	v_fma_f64 v[9:10], -v[5:6], v[7:8], 1.0
	v_fma_f64 v[7:8], v[7:8], v[9:10], v[7:8]
	s_delay_alu instid0(VALU_DEP_1) | instskip(NEXT) | instid1(VALU_DEP_1)
	v_fma_f64 v[9:10], -v[5:6], v[7:8], 1.0
	v_fma_f64 v[7:8], v[7:8], v[9:10], v[7:8]
	s_delay_alu instid0(VALU_DEP_1) | instskip(NEXT) | instid1(VALU_DEP_1)
	v_mul_f64 v[9:10], v[11:12], v[7:8]
	v_fma_f64 v[5:6], -v[5:6], v[9:10], v[11:12]
	s_delay_alu instid0(VALU_DEP_1) | instskip(NEXT) | instid1(VALU_DEP_1)
	v_div_fmas_f64 v[5:6], v[5:6], v[7:8], v[9:10]
	v_div_fixup_f64 v[5:6], v[5:6], v[3:4], v[1:2]
	s_delay_alu instid0(VALU_DEP_1) | instskip(NEXT) | instid1(VALU_DEP_1)
	v_fma_f64 v[1:2], v[1:2], v[5:6], v[3:4]
	v_div_scale_f64 v[3:4], null, v[1:2], v[1:2], 1.0
	v_div_scale_f64 v[11:12], vcc_lo, 1.0, v[1:2], 1.0
	s_delay_alu instid0(VALU_DEP_2) | instskip(SKIP_2) | instid1(VALU_DEP_1)
	v_rcp_f64_e32 v[7:8], v[3:4]
	s_waitcnt_depctr 0xfff
	v_fma_f64 v[9:10], -v[3:4], v[7:8], 1.0
	v_fma_f64 v[7:8], v[7:8], v[9:10], v[7:8]
	s_delay_alu instid0(VALU_DEP_1) | instskip(NEXT) | instid1(VALU_DEP_1)
	v_fma_f64 v[9:10], -v[3:4], v[7:8], 1.0
	v_fma_f64 v[7:8], v[7:8], v[9:10], v[7:8]
	s_delay_alu instid0(VALU_DEP_1) | instskip(NEXT) | instid1(VALU_DEP_1)
	v_mul_f64 v[9:10], v[11:12], v[7:8]
	v_fma_f64 v[3:4], -v[3:4], v[9:10], v[11:12]
	s_delay_alu instid0(VALU_DEP_1) | instskip(NEXT) | instid1(VALU_DEP_1)
	v_div_fmas_f64 v[3:4], v[3:4], v[7:8], v[9:10]
	v_div_fixup_f64 v[7:8], v[3:4], v[1:2], 1.0
                                        ; implicit-def: $vgpr1_vgpr2
	s_delay_alu instid0(VALU_DEP_1) | instskip(SKIP_1) | instid1(VALU_DEP_2)
	v_mul_f64 v[5:6], v[5:6], v[7:8]
	v_xor_b32_e32 v8, 0x80000000, v8
	v_xor_b32_e32 v10, 0x80000000, v6
	s_delay_alu instid0(VALU_DEP_3)
	v_mov_b32_e32 v9, v5
.LBB33_15:
	s_and_not1_saveexec_b32 s3, s3
	s_cbranch_execz .LBB33_17
; %bb.16:
	v_div_scale_f64 v[5:6], null, v[1:2], v[1:2], v[3:4]
	v_div_scale_f64 v[11:12], vcc_lo, v[3:4], v[1:2], v[3:4]
	s_delay_alu instid0(VALU_DEP_2) | instskip(SKIP_2) | instid1(VALU_DEP_1)
	v_rcp_f64_e32 v[7:8], v[5:6]
	s_waitcnt_depctr 0xfff
	v_fma_f64 v[9:10], -v[5:6], v[7:8], 1.0
	v_fma_f64 v[7:8], v[7:8], v[9:10], v[7:8]
	s_delay_alu instid0(VALU_DEP_1) | instskip(NEXT) | instid1(VALU_DEP_1)
	v_fma_f64 v[9:10], -v[5:6], v[7:8], 1.0
	v_fma_f64 v[7:8], v[7:8], v[9:10], v[7:8]
	s_delay_alu instid0(VALU_DEP_1) | instskip(NEXT) | instid1(VALU_DEP_1)
	v_mul_f64 v[9:10], v[11:12], v[7:8]
	v_fma_f64 v[5:6], -v[5:6], v[9:10], v[11:12]
	s_delay_alu instid0(VALU_DEP_1) | instskip(NEXT) | instid1(VALU_DEP_1)
	v_div_fmas_f64 v[5:6], v[5:6], v[7:8], v[9:10]
	v_div_fixup_f64 v[7:8], v[5:6], v[1:2], v[3:4]
	s_delay_alu instid0(VALU_DEP_1) | instskip(NEXT) | instid1(VALU_DEP_1)
	v_fma_f64 v[1:2], v[3:4], v[7:8], v[1:2]
	v_div_scale_f64 v[3:4], null, v[1:2], v[1:2], 1.0
	s_delay_alu instid0(VALU_DEP_1) | instskip(SKIP_2) | instid1(VALU_DEP_1)
	v_rcp_f64_e32 v[5:6], v[3:4]
	s_waitcnt_depctr 0xfff
	v_fma_f64 v[9:10], -v[3:4], v[5:6], 1.0
	v_fma_f64 v[5:6], v[5:6], v[9:10], v[5:6]
	s_delay_alu instid0(VALU_DEP_1) | instskip(NEXT) | instid1(VALU_DEP_1)
	v_fma_f64 v[9:10], -v[3:4], v[5:6], 1.0
	v_fma_f64 v[5:6], v[5:6], v[9:10], v[5:6]
	v_div_scale_f64 v[9:10], vcc_lo, 1.0, v[1:2], 1.0
	s_delay_alu instid0(VALU_DEP_1) | instskip(NEXT) | instid1(VALU_DEP_1)
	v_mul_f64 v[11:12], v[9:10], v[5:6]
	v_fma_f64 v[3:4], -v[3:4], v[11:12], v[9:10]
	s_delay_alu instid0(VALU_DEP_1) | instskip(NEXT) | instid1(VALU_DEP_1)
	v_div_fmas_f64 v[3:4], v[3:4], v[5:6], v[11:12]
	v_div_fixup_f64 v[5:6], v[3:4], v[1:2], 1.0
	s_delay_alu instid0(VALU_DEP_1)
	v_mul_f64 v[7:8], v[7:8], -v[5:6]
	v_xor_b32_e32 v10, 0x80000000, v6
	v_mov_b32_e32 v9, v5
.LBB33_17:
	s_or_b32 exec_lo, exec_lo, s3
	scratch_store_b128 v14, v[5:8], off
	scratch_load_b128 v[1:4], v122, off
	v_xor_b32_e32 v12, 0x80000000, v8
	v_mov_b32_e32 v11, v7
	v_add_nc_u32_e32 v5, 0x220, v13
	ds_store_b128 v13, v[9:12]
	s_waitcnt vmcnt(0)
	ds_store_b128 v13, v[1:4] offset:544
	s_waitcnt lgkmcnt(0)
	s_waitcnt_vscnt null, 0x0
	s_barrier
	buffer_gl0_inv
	s_and_saveexec_b32 s3, s2
	s_cbranch_execz .LBB33_19
; %bb.18:
	scratch_load_b128 v[1:4], v14, off
	ds_load_b128 v[6:9], v5
	v_mov_b32_e32 v10, 0
	ds_load_b128 v[15:18], v10 offset:16
	s_waitcnt vmcnt(0) lgkmcnt(1)
	v_mul_f64 v[10:11], v[6:7], v[3:4]
	v_mul_f64 v[3:4], v[8:9], v[3:4]
	s_delay_alu instid0(VALU_DEP_2) | instskip(NEXT) | instid1(VALU_DEP_2)
	v_fma_f64 v[8:9], v[8:9], v[1:2], v[10:11]
	v_fma_f64 v[1:2], v[6:7], v[1:2], -v[3:4]
	s_delay_alu instid0(VALU_DEP_2) | instskip(NEXT) | instid1(VALU_DEP_2)
	v_add_f64 v[3:4], v[8:9], 0
	v_add_f64 v[1:2], v[1:2], 0
	s_waitcnt lgkmcnt(0)
	s_delay_alu instid0(VALU_DEP_2) | instskip(NEXT) | instid1(VALU_DEP_2)
	v_mul_f64 v[6:7], v[3:4], v[17:18]
	v_mul_f64 v[8:9], v[1:2], v[17:18]
	s_delay_alu instid0(VALU_DEP_2) | instskip(NEXT) | instid1(VALU_DEP_2)
	v_fma_f64 v[1:2], v[1:2], v[15:16], -v[6:7]
	v_fma_f64 v[3:4], v[3:4], v[15:16], v[8:9]
	scratch_store_b128 off, v[1:4], off offset:16
.LBB33_19:
	s_or_b32 exec_lo, exec_lo, s3
	s_waitcnt_vscnt null, 0x0
	s_barrier
	buffer_gl0_inv
	scratch_load_b128 v[1:4], v120, off
	s_mov_b32 s3, exec_lo
	s_waitcnt vmcnt(0)
	ds_store_b128 v5, v[1:4]
	s_waitcnt lgkmcnt(0)
	s_barrier
	buffer_gl0_inv
	v_cmpx_gt_u32_e32 2, v110
	s_cbranch_execz .LBB33_23
; %bb.20:
	scratch_load_b128 v[1:4], v14, off
	ds_load_b128 v[6:9], v5
	s_waitcnt vmcnt(0) lgkmcnt(0)
	v_mul_f64 v[10:11], v[8:9], v[3:4]
	v_mul_f64 v[3:4], v[6:7], v[3:4]
	s_delay_alu instid0(VALU_DEP_2) | instskip(NEXT) | instid1(VALU_DEP_2)
	v_fma_f64 v[6:7], v[6:7], v[1:2], -v[10:11]
	v_fma_f64 v[3:4], v[8:9], v[1:2], v[3:4]
	s_delay_alu instid0(VALU_DEP_2) | instskip(NEXT) | instid1(VALU_DEP_2)
	v_add_f64 v[1:2], v[6:7], 0
	v_add_f64 v[3:4], v[3:4], 0
	s_and_saveexec_b32 s4, s2
	s_cbranch_execz .LBB33_22
; %bb.21:
	scratch_load_b128 v[6:9], off, off offset:16
	v_mov_b32_e32 v10, 0
	ds_load_b128 v[15:18], v10 offset:560
	s_waitcnt vmcnt(0) lgkmcnt(0)
	v_mul_f64 v[10:11], v[15:16], v[8:9]
	v_mul_f64 v[8:9], v[17:18], v[8:9]
	s_delay_alu instid0(VALU_DEP_2) | instskip(NEXT) | instid1(VALU_DEP_2)
	v_fma_f64 v[10:11], v[17:18], v[6:7], v[10:11]
	v_fma_f64 v[6:7], v[15:16], v[6:7], -v[8:9]
	s_delay_alu instid0(VALU_DEP_2) | instskip(NEXT) | instid1(VALU_DEP_2)
	v_add_f64 v[3:4], v[3:4], v[10:11]
	v_add_f64 v[1:2], v[1:2], v[6:7]
.LBB33_22:
	s_or_b32 exec_lo, exec_lo, s4
	v_mov_b32_e32 v6, 0
	ds_load_b128 v[6:9], v6 offset:32
	s_waitcnt lgkmcnt(0)
	v_mul_f64 v[10:11], v[3:4], v[8:9]
	v_mul_f64 v[8:9], v[1:2], v[8:9]
	s_delay_alu instid0(VALU_DEP_2) | instskip(NEXT) | instid1(VALU_DEP_2)
	v_fma_f64 v[1:2], v[1:2], v[6:7], -v[10:11]
	v_fma_f64 v[3:4], v[3:4], v[6:7], v[8:9]
	scratch_store_b128 off, v[1:4], off offset:32
.LBB33_23:
	s_or_b32 exec_lo, exec_lo, s3
	s_waitcnt_vscnt null, 0x0
	s_barrier
	buffer_gl0_inv
	scratch_load_b128 v[1:4], v121, off
	v_add_nc_u32_e32 v6, -1, v110
	s_mov_b32 s2, exec_lo
	s_waitcnt vmcnt(0)
	ds_store_b128 v5, v[1:4]
	s_waitcnt lgkmcnt(0)
	s_barrier
	buffer_gl0_inv
	v_cmpx_gt_u32_e32 3, v110
	s_cbranch_execz .LBB33_27
; %bb.24:
	v_dual_mov_b32 v1, 0 :: v_dual_add_nc_u32 v8, 0x220, v13
	v_dual_mov_b32 v2, 0 :: v_dual_add_nc_u32 v7, -1, v110
	v_or_b32_e32 v9, 8, v14
	s_mov_b32 s3, 0
	s_delay_alu instid0(VALU_DEP_2)
	v_dual_mov_b32 v4, v2 :: v_dual_mov_b32 v3, v1
	.p2align	6
.LBB33_25:                              ; =>This Inner Loop Header: Depth=1
	scratch_load_b128 v[15:18], v9, off offset:-8
	ds_load_b128 v[19:22], v8
	v_add_nc_u32_e32 v7, 1, v7
	v_add_nc_u32_e32 v8, 16, v8
	;; [unrolled: 1-line block ×3, first 2 shown]
	s_delay_alu instid0(VALU_DEP_3) | instskip(SKIP_4) | instid1(VALU_DEP_2)
	v_cmp_lt_u32_e32 vcc_lo, 1, v7
	s_or_b32 s3, vcc_lo, s3
	s_waitcnt vmcnt(0) lgkmcnt(0)
	v_mul_f64 v[10:11], v[21:22], v[17:18]
	v_mul_f64 v[17:18], v[19:20], v[17:18]
	v_fma_f64 v[10:11], v[19:20], v[15:16], -v[10:11]
	s_delay_alu instid0(VALU_DEP_2) | instskip(NEXT) | instid1(VALU_DEP_2)
	v_fma_f64 v[15:16], v[21:22], v[15:16], v[17:18]
	v_add_f64 v[3:4], v[3:4], v[10:11]
	s_delay_alu instid0(VALU_DEP_2)
	v_add_f64 v[1:2], v[1:2], v[15:16]
	s_and_not1_b32 exec_lo, exec_lo, s3
	s_cbranch_execnz .LBB33_25
; %bb.26:
	s_or_b32 exec_lo, exec_lo, s3
	v_mov_b32_e32 v7, 0
	ds_load_b128 v[7:10], v7 offset:48
	s_waitcnt lgkmcnt(0)
	v_mul_f64 v[11:12], v[1:2], v[9:10]
	v_mul_f64 v[15:16], v[3:4], v[9:10]
	s_delay_alu instid0(VALU_DEP_2) | instskip(NEXT) | instid1(VALU_DEP_2)
	v_fma_f64 v[9:10], v[3:4], v[7:8], -v[11:12]
	v_fma_f64 v[11:12], v[1:2], v[7:8], v[15:16]
	scratch_store_b128 off, v[9:12], off offset:48
.LBB33_27:
	s_or_b32 exec_lo, exec_lo, s2
	s_waitcnt_vscnt null, 0x0
	s_barrier
	buffer_gl0_inv
	scratch_load_b128 v[1:4], v119, off
	s_mov_b32 s2, exec_lo
	s_waitcnt vmcnt(0)
	ds_store_b128 v5, v[1:4]
	s_waitcnt lgkmcnt(0)
	s_barrier
	buffer_gl0_inv
	v_cmpx_gt_u32_e32 4, v110
	s_cbranch_execz .LBB33_31
; %bb.28:
	v_dual_mov_b32 v1, 0 :: v_dual_add_nc_u32 v8, 0x220, v13
	v_dual_mov_b32 v2, 0 :: v_dual_add_nc_u32 v7, -1, v110
	v_or_b32_e32 v9, 8, v14
	s_mov_b32 s3, 0
	s_delay_alu instid0(VALU_DEP_2)
	v_dual_mov_b32 v4, v2 :: v_dual_mov_b32 v3, v1
	.p2align	6
.LBB33_29:                              ; =>This Inner Loop Header: Depth=1
	scratch_load_b128 v[15:18], v9, off offset:-8
	ds_load_b128 v[19:22], v8
	v_add_nc_u32_e32 v7, 1, v7
	v_add_nc_u32_e32 v8, 16, v8
	v_add_nc_u32_e32 v9, 16, v9
	s_delay_alu instid0(VALU_DEP_3) | instskip(SKIP_4) | instid1(VALU_DEP_2)
	v_cmp_lt_u32_e32 vcc_lo, 2, v7
	s_or_b32 s3, vcc_lo, s3
	s_waitcnt vmcnt(0) lgkmcnt(0)
	v_mul_f64 v[10:11], v[21:22], v[17:18]
	v_mul_f64 v[17:18], v[19:20], v[17:18]
	v_fma_f64 v[10:11], v[19:20], v[15:16], -v[10:11]
	s_delay_alu instid0(VALU_DEP_2) | instskip(NEXT) | instid1(VALU_DEP_2)
	v_fma_f64 v[15:16], v[21:22], v[15:16], v[17:18]
	v_add_f64 v[3:4], v[3:4], v[10:11]
	s_delay_alu instid0(VALU_DEP_2)
	v_add_f64 v[1:2], v[1:2], v[15:16]
	s_and_not1_b32 exec_lo, exec_lo, s3
	s_cbranch_execnz .LBB33_29
; %bb.30:
	s_or_b32 exec_lo, exec_lo, s3
	v_mov_b32_e32 v7, 0
	ds_load_b128 v[7:10], v7 offset:64
	s_waitcnt lgkmcnt(0)
	v_mul_f64 v[11:12], v[1:2], v[9:10]
	v_mul_f64 v[15:16], v[3:4], v[9:10]
	s_delay_alu instid0(VALU_DEP_2) | instskip(NEXT) | instid1(VALU_DEP_2)
	v_fma_f64 v[9:10], v[3:4], v[7:8], -v[11:12]
	v_fma_f64 v[11:12], v[1:2], v[7:8], v[15:16]
	scratch_store_b128 off, v[9:12], off offset:64
.LBB33_31:
	s_or_b32 exec_lo, exec_lo, s2
	s_waitcnt_vscnt null, 0x0
	s_barrier
	buffer_gl0_inv
	scratch_load_b128 v[1:4], v143, off
	s_mov_b32 s2, exec_lo
	s_waitcnt vmcnt(0)
	ds_store_b128 v5, v[1:4]
	s_waitcnt lgkmcnt(0)
	s_barrier
	buffer_gl0_inv
	v_cmpx_gt_u32_e32 5, v110
	s_cbranch_execz .LBB33_35
; %bb.32:
	v_dual_mov_b32 v1, 0 :: v_dual_add_nc_u32 v8, 0x220, v13
	v_dual_mov_b32 v2, 0 :: v_dual_add_nc_u32 v7, -1, v110
	v_or_b32_e32 v9, 8, v14
	s_mov_b32 s3, 0
	s_delay_alu instid0(VALU_DEP_2)
	v_dual_mov_b32 v4, v2 :: v_dual_mov_b32 v3, v1
	.p2align	6
.LBB33_33:                              ; =>This Inner Loop Header: Depth=1
	scratch_load_b128 v[15:18], v9, off offset:-8
	ds_load_b128 v[19:22], v8
	v_add_nc_u32_e32 v7, 1, v7
	v_add_nc_u32_e32 v8, 16, v8
	v_add_nc_u32_e32 v9, 16, v9
	s_delay_alu instid0(VALU_DEP_3) | instskip(SKIP_4) | instid1(VALU_DEP_2)
	v_cmp_lt_u32_e32 vcc_lo, 3, v7
	s_or_b32 s3, vcc_lo, s3
	s_waitcnt vmcnt(0) lgkmcnt(0)
	v_mul_f64 v[10:11], v[21:22], v[17:18]
	v_mul_f64 v[17:18], v[19:20], v[17:18]
	v_fma_f64 v[10:11], v[19:20], v[15:16], -v[10:11]
	s_delay_alu instid0(VALU_DEP_2) | instskip(NEXT) | instid1(VALU_DEP_2)
	v_fma_f64 v[15:16], v[21:22], v[15:16], v[17:18]
	v_add_f64 v[3:4], v[3:4], v[10:11]
	s_delay_alu instid0(VALU_DEP_2)
	v_add_f64 v[1:2], v[1:2], v[15:16]
	s_and_not1_b32 exec_lo, exec_lo, s3
	s_cbranch_execnz .LBB33_33
; %bb.34:
	s_or_b32 exec_lo, exec_lo, s3
	v_mov_b32_e32 v7, 0
	ds_load_b128 v[7:10], v7 offset:80
	s_waitcnt lgkmcnt(0)
	v_mul_f64 v[11:12], v[1:2], v[9:10]
	v_mul_f64 v[15:16], v[3:4], v[9:10]
	s_delay_alu instid0(VALU_DEP_2) | instskip(NEXT) | instid1(VALU_DEP_2)
	v_fma_f64 v[9:10], v[3:4], v[7:8], -v[11:12]
	v_fma_f64 v[11:12], v[1:2], v[7:8], v[15:16]
	scratch_store_b128 off, v[9:12], off offset:80
.LBB33_35:
	s_or_b32 exec_lo, exec_lo, s2
	s_waitcnt_vscnt null, 0x0
	s_barrier
	buffer_gl0_inv
	scratch_load_b128 v[1:4], v141, off
	s_mov_b32 s2, exec_lo
	s_waitcnt vmcnt(0)
	ds_store_b128 v5, v[1:4]
	s_waitcnt lgkmcnt(0)
	s_barrier
	buffer_gl0_inv
	v_cmpx_gt_u32_e32 6, v110
	s_cbranch_execz .LBB33_39
; %bb.36:
	v_dual_mov_b32 v1, 0 :: v_dual_add_nc_u32 v8, 0x220, v13
	v_dual_mov_b32 v2, 0 :: v_dual_add_nc_u32 v7, -1, v110
	v_or_b32_e32 v9, 8, v14
	s_mov_b32 s3, 0
	s_delay_alu instid0(VALU_DEP_2)
	v_dual_mov_b32 v4, v2 :: v_dual_mov_b32 v3, v1
	.p2align	6
.LBB33_37:                              ; =>This Inner Loop Header: Depth=1
	scratch_load_b128 v[15:18], v9, off offset:-8
	ds_load_b128 v[19:22], v8
	v_add_nc_u32_e32 v7, 1, v7
	v_add_nc_u32_e32 v8, 16, v8
	;; [unrolled: 1-line block ×3, first 2 shown]
	s_delay_alu instid0(VALU_DEP_3) | instskip(SKIP_4) | instid1(VALU_DEP_2)
	v_cmp_lt_u32_e32 vcc_lo, 4, v7
	s_or_b32 s3, vcc_lo, s3
	s_waitcnt vmcnt(0) lgkmcnt(0)
	v_mul_f64 v[10:11], v[21:22], v[17:18]
	v_mul_f64 v[17:18], v[19:20], v[17:18]
	v_fma_f64 v[10:11], v[19:20], v[15:16], -v[10:11]
	s_delay_alu instid0(VALU_DEP_2) | instskip(NEXT) | instid1(VALU_DEP_2)
	v_fma_f64 v[15:16], v[21:22], v[15:16], v[17:18]
	v_add_f64 v[3:4], v[3:4], v[10:11]
	s_delay_alu instid0(VALU_DEP_2)
	v_add_f64 v[1:2], v[1:2], v[15:16]
	s_and_not1_b32 exec_lo, exec_lo, s3
	s_cbranch_execnz .LBB33_37
; %bb.38:
	s_or_b32 exec_lo, exec_lo, s3
	v_mov_b32_e32 v7, 0
	ds_load_b128 v[7:10], v7 offset:96
	s_waitcnt lgkmcnt(0)
	v_mul_f64 v[11:12], v[1:2], v[9:10]
	v_mul_f64 v[15:16], v[3:4], v[9:10]
	s_delay_alu instid0(VALU_DEP_2) | instskip(NEXT) | instid1(VALU_DEP_2)
	v_fma_f64 v[9:10], v[3:4], v[7:8], -v[11:12]
	v_fma_f64 v[11:12], v[1:2], v[7:8], v[15:16]
	scratch_store_b128 off, v[9:12], off offset:96
.LBB33_39:
	s_or_b32 exec_lo, exec_lo, s2
	s_waitcnt_vscnt null, 0x0
	s_barrier
	buffer_gl0_inv
	scratch_load_b128 v[1:4], v142, off
	s_mov_b32 s2, exec_lo
	s_waitcnt vmcnt(0)
	ds_store_b128 v5, v[1:4]
	s_waitcnt lgkmcnt(0)
	s_barrier
	buffer_gl0_inv
	v_cmpx_gt_u32_e32 7, v110
	s_cbranch_execz .LBB33_43
; %bb.40:
	v_dual_mov_b32 v1, 0 :: v_dual_add_nc_u32 v8, 0x220, v13
	v_dual_mov_b32 v2, 0 :: v_dual_add_nc_u32 v7, -1, v110
	v_or_b32_e32 v9, 8, v14
	s_mov_b32 s3, 0
	s_delay_alu instid0(VALU_DEP_2)
	v_dual_mov_b32 v4, v2 :: v_dual_mov_b32 v3, v1
	.p2align	6
.LBB33_41:                              ; =>This Inner Loop Header: Depth=1
	scratch_load_b128 v[15:18], v9, off offset:-8
	ds_load_b128 v[19:22], v8
	v_add_nc_u32_e32 v7, 1, v7
	v_add_nc_u32_e32 v8, 16, v8
	;; [unrolled: 1-line block ×3, first 2 shown]
	s_delay_alu instid0(VALU_DEP_3) | instskip(SKIP_4) | instid1(VALU_DEP_2)
	v_cmp_lt_u32_e32 vcc_lo, 5, v7
	s_or_b32 s3, vcc_lo, s3
	s_waitcnt vmcnt(0) lgkmcnt(0)
	v_mul_f64 v[10:11], v[21:22], v[17:18]
	v_mul_f64 v[17:18], v[19:20], v[17:18]
	v_fma_f64 v[10:11], v[19:20], v[15:16], -v[10:11]
	s_delay_alu instid0(VALU_DEP_2) | instskip(NEXT) | instid1(VALU_DEP_2)
	v_fma_f64 v[15:16], v[21:22], v[15:16], v[17:18]
	v_add_f64 v[3:4], v[3:4], v[10:11]
	s_delay_alu instid0(VALU_DEP_2)
	v_add_f64 v[1:2], v[1:2], v[15:16]
	s_and_not1_b32 exec_lo, exec_lo, s3
	s_cbranch_execnz .LBB33_41
; %bb.42:
	s_or_b32 exec_lo, exec_lo, s3
	v_mov_b32_e32 v7, 0
	ds_load_b128 v[7:10], v7 offset:112
	s_waitcnt lgkmcnt(0)
	v_mul_f64 v[11:12], v[1:2], v[9:10]
	v_mul_f64 v[15:16], v[3:4], v[9:10]
	s_delay_alu instid0(VALU_DEP_2) | instskip(NEXT) | instid1(VALU_DEP_2)
	v_fma_f64 v[9:10], v[3:4], v[7:8], -v[11:12]
	v_fma_f64 v[11:12], v[1:2], v[7:8], v[15:16]
	scratch_store_b128 off, v[9:12], off offset:112
.LBB33_43:
	s_or_b32 exec_lo, exec_lo, s2
	s_waitcnt_vscnt null, 0x0
	s_barrier
	buffer_gl0_inv
	scratch_load_b128 v[1:4], v140, off
	s_mov_b32 s2, exec_lo
	s_waitcnt vmcnt(0)
	ds_store_b128 v5, v[1:4]
	s_waitcnt lgkmcnt(0)
	s_barrier
	buffer_gl0_inv
	v_cmpx_gt_u32_e32 8, v110
	s_cbranch_execz .LBB33_47
; %bb.44:
	v_dual_mov_b32 v1, 0 :: v_dual_add_nc_u32 v8, 0x220, v13
	v_dual_mov_b32 v2, 0 :: v_dual_add_nc_u32 v7, -1, v110
	v_or_b32_e32 v9, 8, v14
	s_mov_b32 s3, 0
	s_delay_alu instid0(VALU_DEP_2)
	v_dual_mov_b32 v4, v2 :: v_dual_mov_b32 v3, v1
	.p2align	6
.LBB33_45:                              ; =>This Inner Loop Header: Depth=1
	scratch_load_b128 v[15:18], v9, off offset:-8
	ds_load_b128 v[19:22], v8
	v_add_nc_u32_e32 v7, 1, v7
	v_add_nc_u32_e32 v8, 16, v8
	;; [unrolled: 1-line block ×3, first 2 shown]
	s_delay_alu instid0(VALU_DEP_3) | instskip(SKIP_4) | instid1(VALU_DEP_2)
	v_cmp_lt_u32_e32 vcc_lo, 6, v7
	s_or_b32 s3, vcc_lo, s3
	s_waitcnt vmcnt(0) lgkmcnt(0)
	v_mul_f64 v[10:11], v[21:22], v[17:18]
	v_mul_f64 v[17:18], v[19:20], v[17:18]
	v_fma_f64 v[10:11], v[19:20], v[15:16], -v[10:11]
	s_delay_alu instid0(VALU_DEP_2) | instskip(NEXT) | instid1(VALU_DEP_2)
	v_fma_f64 v[15:16], v[21:22], v[15:16], v[17:18]
	v_add_f64 v[3:4], v[3:4], v[10:11]
	s_delay_alu instid0(VALU_DEP_2)
	v_add_f64 v[1:2], v[1:2], v[15:16]
	s_and_not1_b32 exec_lo, exec_lo, s3
	s_cbranch_execnz .LBB33_45
; %bb.46:
	s_or_b32 exec_lo, exec_lo, s3
	v_mov_b32_e32 v7, 0
	ds_load_b128 v[7:10], v7 offset:128
	s_waitcnt lgkmcnt(0)
	v_mul_f64 v[11:12], v[1:2], v[9:10]
	v_mul_f64 v[15:16], v[3:4], v[9:10]
	s_delay_alu instid0(VALU_DEP_2) | instskip(NEXT) | instid1(VALU_DEP_2)
	v_fma_f64 v[9:10], v[3:4], v[7:8], -v[11:12]
	v_fma_f64 v[11:12], v[1:2], v[7:8], v[15:16]
	scratch_store_b128 off, v[9:12], off offset:128
.LBB33_47:
	s_or_b32 exec_lo, exec_lo, s2
	s_waitcnt_vscnt null, 0x0
	s_barrier
	buffer_gl0_inv
	scratch_load_b128 v[1:4], v139, off
	s_mov_b32 s2, exec_lo
	s_waitcnt vmcnt(0)
	ds_store_b128 v5, v[1:4]
	s_waitcnt lgkmcnt(0)
	s_barrier
	buffer_gl0_inv
	v_cmpx_gt_u32_e32 9, v110
	s_cbranch_execz .LBB33_51
; %bb.48:
	v_dual_mov_b32 v1, 0 :: v_dual_add_nc_u32 v8, 0x220, v13
	v_dual_mov_b32 v2, 0 :: v_dual_add_nc_u32 v7, -1, v110
	v_or_b32_e32 v9, 8, v14
	s_mov_b32 s3, 0
	s_delay_alu instid0(VALU_DEP_2)
	v_dual_mov_b32 v4, v2 :: v_dual_mov_b32 v3, v1
	.p2align	6
.LBB33_49:                              ; =>This Inner Loop Header: Depth=1
	scratch_load_b128 v[15:18], v9, off offset:-8
	ds_load_b128 v[19:22], v8
	v_add_nc_u32_e32 v7, 1, v7
	v_add_nc_u32_e32 v8, 16, v8
	;; [unrolled: 1-line block ×3, first 2 shown]
	s_delay_alu instid0(VALU_DEP_3) | instskip(SKIP_4) | instid1(VALU_DEP_2)
	v_cmp_lt_u32_e32 vcc_lo, 7, v7
	s_or_b32 s3, vcc_lo, s3
	s_waitcnt vmcnt(0) lgkmcnt(0)
	v_mul_f64 v[10:11], v[21:22], v[17:18]
	v_mul_f64 v[17:18], v[19:20], v[17:18]
	v_fma_f64 v[10:11], v[19:20], v[15:16], -v[10:11]
	s_delay_alu instid0(VALU_DEP_2) | instskip(NEXT) | instid1(VALU_DEP_2)
	v_fma_f64 v[15:16], v[21:22], v[15:16], v[17:18]
	v_add_f64 v[3:4], v[3:4], v[10:11]
	s_delay_alu instid0(VALU_DEP_2)
	v_add_f64 v[1:2], v[1:2], v[15:16]
	s_and_not1_b32 exec_lo, exec_lo, s3
	s_cbranch_execnz .LBB33_49
; %bb.50:
	s_or_b32 exec_lo, exec_lo, s3
	v_mov_b32_e32 v7, 0
	ds_load_b128 v[7:10], v7 offset:144
	s_waitcnt lgkmcnt(0)
	v_mul_f64 v[11:12], v[1:2], v[9:10]
	v_mul_f64 v[15:16], v[3:4], v[9:10]
	s_delay_alu instid0(VALU_DEP_2) | instskip(NEXT) | instid1(VALU_DEP_2)
	v_fma_f64 v[9:10], v[3:4], v[7:8], -v[11:12]
	v_fma_f64 v[11:12], v[1:2], v[7:8], v[15:16]
	scratch_store_b128 off, v[9:12], off offset:144
.LBB33_51:
	s_or_b32 exec_lo, exec_lo, s2
	s_waitcnt_vscnt null, 0x0
	s_barrier
	buffer_gl0_inv
	scratch_load_b128 v[1:4], v137, off
	s_mov_b32 s2, exec_lo
	s_waitcnt vmcnt(0)
	ds_store_b128 v5, v[1:4]
	s_waitcnt lgkmcnt(0)
	s_barrier
	buffer_gl0_inv
	v_cmpx_gt_u32_e32 10, v110
	s_cbranch_execz .LBB33_55
; %bb.52:
	v_dual_mov_b32 v1, 0 :: v_dual_add_nc_u32 v8, 0x220, v13
	v_dual_mov_b32 v2, 0 :: v_dual_add_nc_u32 v7, -1, v110
	v_or_b32_e32 v9, 8, v14
	s_mov_b32 s3, 0
	s_delay_alu instid0(VALU_DEP_2)
	v_dual_mov_b32 v4, v2 :: v_dual_mov_b32 v3, v1
	.p2align	6
.LBB33_53:                              ; =>This Inner Loop Header: Depth=1
	scratch_load_b128 v[15:18], v9, off offset:-8
	ds_load_b128 v[19:22], v8
	v_add_nc_u32_e32 v7, 1, v7
	v_add_nc_u32_e32 v8, 16, v8
	;; [unrolled: 1-line block ×3, first 2 shown]
	s_delay_alu instid0(VALU_DEP_3) | instskip(SKIP_4) | instid1(VALU_DEP_2)
	v_cmp_lt_u32_e32 vcc_lo, 8, v7
	s_or_b32 s3, vcc_lo, s3
	s_waitcnt vmcnt(0) lgkmcnt(0)
	v_mul_f64 v[10:11], v[21:22], v[17:18]
	v_mul_f64 v[17:18], v[19:20], v[17:18]
	v_fma_f64 v[10:11], v[19:20], v[15:16], -v[10:11]
	s_delay_alu instid0(VALU_DEP_2) | instskip(NEXT) | instid1(VALU_DEP_2)
	v_fma_f64 v[15:16], v[21:22], v[15:16], v[17:18]
	v_add_f64 v[3:4], v[3:4], v[10:11]
	s_delay_alu instid0(VALU_DEP_2)
	v_add_f64 v[1:2], v[1:2], v[15:16]
	s_and_not1_b32 exec_lo, exec_lo, s3
	s_cbranch_execnz .LBB33_53
; %bb.54:
	s_or_b32 exec_lo, exec_lo, s3
	v_mov_b32_e32 v7, 0
	ds_load_b128 v[7:10], v7 offset:160
	s_waitcnt lgkmcnt(0)
	v_mul_f64 v[11:12], v[1:2], v[9:10]
	v_mul_f64 v[15:16], v[3:4], v[9:10]
	s_delay_alu instid0(VALU_DEP_2) | instskip(NEXT) | instid1(VALU_DEP_2)
	v_fma_f64 v[9:10], v[3:4], v[7:8], -v[11:12]
	v_fma_f64 v[11:12], v[1:2], v[7:8], v[15:16]
	scratch_store_b128 off, v[9:12], off offset:160
.LBB33_55:
	s_or_b32 exec_lo, exec_lo, s2
	s_waitcnt_vscnt null, 0x0
	s_barrier
	buffer_gl0_inv
	scratch_load_b128 v[1:4], v138, off
	s_mov_b32 s2, exec_lo
	s_waitcnt vmcnt(0)
	ds_store_b128 v5, v[1:4]
	s_waitcnt lgkmcnt(0)
	s_barrier
	buffer_gl0_inv
	v_cmpx_gt_u32_e32 11, v110
	s_cbranch_execz .LBB33_59
; %bb.56:
	v_dual_mov_b32 v1, 0 :: v_dual_add_nc_u32 v8, 0x220, v13
	v_dual_mov_b32 v2, 0 :: v_dual_add_nc_u32 v7, -1, v110
	v_or_b32_e32 v9, 8, v14
	s_mov_b32 s3, 0
	s_delay_alu instid0(VALU_DEP_2)
	v_dual_mov_b32 v4, v2 :: v_dual_mov_b32 v3, v1
	.p2align	6
.LBB33_57:                              ; =>This Inner Loop Header: Depth=1
	scratch_load_b128 v[15:18], v9, off offset:-8
	ds_load_b128 v[19:22], v8
	v_add_nc_u32_e32 v7, 1, v7
	v_add_nc_u32_e32 v8, 16, v8
	;; [unrolled: 1-line block ×3, first 2 shown]
	s_delay_alu instid0(VALU_DEP_3) | instskip(SKIP_4) | instid1(VALU_DEP_2)
	v_cmp_lt_u32_e32 vcc_lo, 9, v7
	s_or_b32 s3, vcc_lo, s3
	s_waitcnt vmcnt(0) lgkmcnt(0)
	v_mul_f64 v[10:11], v[21:22], v[17:18]
	v_mul_f64 v[17:18], v[19:20], v[17:18]
	v_fma_f64 v[10:11], v[19:20], v[15:16], -v[10:11]
	s_delay_alu instid0(VALU_DEP_2) | instskip(NEXT) | instid1(VALU_DEP_2)
	v_fma_f64 v[15:16], v[21:22], v[15:16], v[17:18]
	v_add_f64 v[3:4], v[3:4], v[10:11]
	s_delay_alu instid0(VALU_DEP_2)
	v_add_f64 v[1:2], v[1:2], v[15:16]
	s_and_not1_b32 exec_lo, exec_lo, s3
	s_cbranch_execnz .LBB33_57
; %bb.58:
	s_or_b32 exec_lo, exec_lo, s3
	v_mov_b32_e32 v7, 0
	ds_load_b128 v[7:10], v7 offset:176
	s_waitcnt lgkmcnt(0)
	v_mul_f64 v[11:12], v[1:2], v[9:10]
	v_mul_f64 v[15:16], v[3:4], v[9:10]
	s_delay_alu instid0(VALU_DEP_2) | instskip(NEXT) | instid1(VALU_DEP_2)
	v_fma_f64 v[9:10], v[3:4], v[7:8], -v[11:12]
	v_fma_f64 v[11:12], v[1:2], v[7:8], v[15:16]
	scratch_store_b128 off, v[9:12], off offset:176
.LBB33_59:
	s_or_b32 exec_lo, exec_lo, s2
	s_waitcnt_vscnt null, 0x0
	s_barrier
	buffer_gl0_inv
	scratch_load_b128 v[1:4], v136, off
	s_mov_b32 s2, exec_lo
	s_waitcnt vmcnt(0)
	ds_store_b128 v5, v[1:4]
	s_waitcnt lgkmcnt(0)
	s_barrier
	buffer_gl0_inv
	v_cmpx_gt_u32_e32 12, v110
	s_cbranch_execz .LBB33_63
; %bb.60:
	v_dual_mov_b32 v1, 0 :: v_dual_add_nc_u32 v8, 0x220, v13
	v_dual_mov_b32 v2, 0 :: v_dual_add_nc_u32 v7, -1, v110
	v_or_b32_e32 v9, 8, v14
	s_mov_b32 s3, 0
	s_delay_alu instid0(VALU_DEP_2)
	v_dual_mov_b32 v4, v2 :: v_dual_mov_b32 v3, v1
	.p2align	6
.LBB33_61:                              ; =>This Inner Loop Header: Depth=1
	scratch_load_b128 v[15:18], v9, off offset:-8
	ds_load_b128 v[19:22], v8
	v_add_nc_u32_e32 v7, 1, v7
	v_add_nc_u32_e32 v8, 16, v8
	;; [unrolled: 1-line block ×3, first 2 shown]
	s_delay_alu instid0(VALU_DEP_3) | instskip(SKIP_4) | instid1(VALU_DEP_2)
	v_cmp_lt_u32_e32 vcc_lo, 10, v7
	s_or_b32 s3, vcc_lo, s3
	s_waitcnt vmcnt(0) lgkmcnt(0)
	v_mul_f64 v[10:11], v[21:22], v[17:18]
	v_mul_f64 v[17:18], v[19:20], v[17:18]
	v_fma_f64 v[10:11], v[19:20], v[15:16], -v[10:11]
	s_delay_alu instid0(VALU_DEP_2) | instskip(NEXT) | instid1(VALU_DEP_2)
	v_fma_f64 v[15:16], v[21:22], v[15:16], v[17:18]
	v_add_f64 v[3:4], v[3:4], v[10:11]
	s_delay_alu instid0(VALU_DEP_2)
	v_add_f64 v[1:2], v[1:2], v[15:16]
	s_and_not1_b32 exec_lo, exec_lo, s3
	s_cbranch_execnz .LBB33_61
; %bb.62:
	s_or_b32 exec_lo, exec_lo, s3
	v_mov_b32_e32 v7, 0
	ds_load_b128 v[7:10], v7 offset:192
	s_waitcnt lgkmcnt(0)
	v_mul_f64 v[11:12], v[1:2], v[9:10]
	v_mul_f64 v[15:16], v[3:4], v[9:10]
	s_delay_alu instid0(VALU_DEP_2) | instskip(NEXT) | instid1(VALU_DEP_2)
	v_fma_f64 v[9:10], v[3:4], v[7:8], -v[11:12]
	v_fma_f64 v[11:12], v[1:2], v[7:8], v[15:16]
	scratch_store_b128 off, v[9:12], off offset:192
.LBB33_63:
	s_or_b32 exec_lo, exec_lo, s2
	s_waitcnt_vscnt null, 0x0
	s_barrier
	buffer_gl0_inv
	scratch_load_b128 v[1:4], v135, off
	s_mov_b32 s2, exec_lo
	s_waitcnt vmcnt(0)
	ds_store_b128 v5, v[1:4]
	s_waitcnt lgkmcnt(0)
	s_barrier
	buffer_gl0_inv
	v_cmpx_gt_u32_e32 13, v110
	s_cbranch_execz .LBB33_67
; %bb.64:
	v_dual_mov_b32 v1, 0 :: v_dual_add_nc_u32 v8, 0x220, v13
	v_dual_mov_b32 v2, 0 :: v_dual_add_nc_u32 v7, -1, v110
	v_or_b32_e32 v9, 8, v14
	s_mov_b32 s3, 0
	s_delay_alu instid0(VALU_DEP_2)
	v_dual_mov_b32 v4, v2 :: v_dual_mov_b32 v3, v1
	.p2align	6
.LBB33_65:                              ; =>This Inner Loop Header: Depth=1
	scratch_load_b128 v[15:18], v9, off offset:-8
	ds_load_b128 v[19:22], v8
	v_add_nc_u32_e32 v7, 1, v7
	v_add_nc_u32_e32 v8, 16, v8
	;; [unrolled: 1-line block ×3, first 2 shown]
	s_delay_alu instid0(VALU_DEP_3) | instskip(SKIP_4) | instid1(VALU_DEP_2)
	v_cmp_lt_u32_e32 vcc_lo, 11, v7
	s_or_b32 s3, vcc_lo, s3
	s_waitcnt vmcnt(0) lgkmcnt(0)
	v_mul_f64 v[10:11], v[21:22], v[17:18]
	v_mul_f64 v[17:18], v[19:20], v[17:18]
	v_fma_f64 v[10:11], v[19:20], v[15:16], -v[10:11]
	s_delay_alu instid0(VALU_DEP_2) | instskip(NEXT) | instid1(VALU_DEP_2)
	v_fma_f64 v[15:16], v[21:22], v[15:16], v[17:18]
	v_add_f64 v[3:4], v[3:4], v[10:11]
	s_delay_alu instid0(VALU_DEP_2)
	v_add_f64 v[1:2], v[1:2], v[15:16]
	s_and_not1_b32 exec_lo, exec_lo, s3
	s_cbranch_execnz .LBB33_65
; %bb.66:
	s_or_b32 exec_lo, exec_lo, s3
	v_mov_b32_e32 v7, 0
	ds_load_b128 v[7:10], v7 offset:208
	s_waitcnt lgkmcnt(0)
	v_mul_f64 v[11:12], v[1:2], v[9:10]
	v_mul_f64 v[15:16], v[3:4], v[9:10]
	s_delay_alu instid0(VALU_DEP_2) | instskip(NEXT) | instid1(VALU_DEP_2)
	v_fma_f64 v[9:10], v[3:4], v[7:8], -v[11:12]
	v_fma_f64 v[11:12], v[1:2], v[7:8], v[15:16]
	scratch_store_b128 off, v[9:12], off offset:208
.LBB33_67:
	s_or_b32 exec_lo, exec_lo, s2
	s_waitcnt_vscnt null, 0x0
	s_barrier
	buffer_gl0_inv
	scratch_load_b128 v[1:4], v133, off
	s_mov_b32 s2, exec_lo
	s_waitcnt vmcnt(0)
	ds_store_b128 v5, v[1:4]
	s_waitcnt lgkmcnt(0)
	s_barrier
	buffer_gl0_inv
	v_cmpx_gt_u32_e32 14, v110
	s_cbranch_execz .LBB33_71
; %bb.68:
	v_dual_mov_b32 v1, 0 :: v_dual_add_nc_u32 v8, 0x220, v13
	v_dual_mov_b32 v2, 0 :: v_dual_add_nc_u32 v7, -1, v110
	v_or_b32_e32 v9, 8, v14
	s_mov_b32 s3, 0
	s_delay_alu instid0(VALU_DEP_2)
	v_dual_mov_b32 v4, v2 :: v_dual_mov_b32 v3, v1
	.p2align	6
.LBB33_69:                              ; =>This Inner Loop Header: Depth=1
	scratch_load_b128 v[15:18], v9, off offset:-8
	ds_load_b128 v[19:22], v8
	v_add_nc_u32_e32 v7, 1, v7
	v_add_nc_u32_e32 v8, 16, v8
	;; [unrolled: 1-line block ×3, first 2 shown]
	s_delay_alu instid0(VALU_DEP_3) | instskip(SKIP_4) | instid1(VALU_DEP_2)
	v_cmp_lt_u32_e32 vcc_lo, 12, v7
	s_or_b32 s3, vcc_lo, s3
	s_waitcnt vmcnt(0) lgkmcnt(0)
	v_mul_f64 v[10:11], v[21:22], v[17:18]
	v_mul_f64 v[17:18], v[19:20], v[17:18]
	v_fma_f64 v[10:11], v[19:20], v[15:16], -v[10:11]
	s_delay_alu instid0(VALU_DEP_2) | instskip(NEXT) | instid1(VALU_DEP_2)
	v_fma_f64 v[15:16], v[21:22], v[15:16], v[17:18]
	v_add_f64 v[3:4], v[3:4], v[10:11]
	s_delay_alu instid0(VALU_DEP_2)
	v_add_f64 v[1:2], v[1:2], v[15:16]
	s_and_not1_b32 exec_lo, exec_lo, s3
	s_cbranch_execnz .LBB33_69
; %bb.70:
	s_or_b32 exec_lo, exec_lo, s3
	v_mov_b32_e32 v7, 0
	ds_load_b128 v[7:10], v7 offset:224
	s_waitcnt lgkmcnt(0)
	v_mul_f64 v[11:12], v[1:2], v[9:10]
	v_mul_f64 v[15:16], v[3:4], v[9:10]
	s_delay_alu instid0(VALU_DEP_2) | instskip(NEXT) | instid1(VALU_DEP_2)
	v_fma_f64 v[9:10], v[3:4], v[7:8], -v[11:12]
	v_fma_f64 v[11:12], v[1:2], v[7:8], v[15:16]
	scratch_store_b128 off, v[9:12], off offset:224
.LBB33_71:
	s_or_b32 exec_lo, exec_lo, s2
	s_waitcnt_vscnt null, 0x0
	s_barrier
	buffer_gl0_inv
	scratch_load_b128 v[1:4], v134, off
	s_mov_b32 s2, exec_lo
	s_waitcnt vmcnt(0)
	ds_store_b128 v5, v[1:4]
	s_waitcnt lgkmcnt(0)
	s_barrier
	buffer_gl0_inv
	v_cmpx_gt_u32_e32 15, v110
	s_cbranch_execz .LBB33_75
; %bb.72:
	v_dual_mov_b32 v1, 0 :: v_dual_add_nc_u32 v8, 0x220, v13
	v_dual_mov_b32 v2, 0 :: v_dual_add_nc_u32 v7, -1, v110
	v_or_b32_e32 v9, 8, v14
	s_mov_b32 s3, 0
	s_delay_alu instid0(VALU_DEP_2)
	v_dual_mov_b32 v4, v2 :: v_dual_mov_b32 v3, v1
	.p2align	6
.LBB33_73:                              ; =>This Inner Loop Header: Depth=1
	scratch_load_b128 v[15:18], v9, off offset:-8
	ds_load_b128 v[19:22], v8
	v_add_nc_u32_e32 v7, 1, v7
	v_add_nc_u32_e32 v8, 16, v8
	v_add_nc_u32_e32 v9, 16, v9
	s_delay_alu instid0(VALU_DEP_3) | instskip(SKIP_4) | instid1(VALU_DEP_2)
	v_cmp_lt_u32_e32 vcc_lo, 13, v7
	s_or_b32 s3, vcc_lo, s3
	s_waitcnt vmcnt(0) lgkmcnt(0)
	v_mul_f64 v[10:11], v[21:22], v[17:18]
	v_mul_f64 v[17:18], v[19:20], v[17:18]
	v_fma_f64 v[10:11], v[19:20], v[15:16], -v[10:11]
	s_delay_alu instid0(VALU_DEP_2) | instskip(NEXT) | instid1(VALU_DEP_2)
	v_fma_f64 v[15:16], v[21:22], v[15:16], v[17:18]
	v_add_f64 v[3:4], v[3:4], v[10:11]
	s_delay_alu instid0(VALU_DEP_2)
	v_add_f64 v[1:2], v[1:2], v[15:16]
	s_and_not1_b32 exec_lo, exec_lo, s3
	s_cbranch_execnz .LBB33_73
; %bb.74:
	s_or_b32 exec_lo, exec_lo, s3
	v_mov_b32_e32 v7, 0
	ds_load_b128 v[7:10], v7 offset:240
	s_waitcnt lgkmcnt(0)
	v_mul_f64 v[11:12], v[1:2], v[9:10]
	v_mul_f64 v[15:16], v[3:4], v[9:10]
	s_delay_alu instid0(VALU_DEP_2) | instskip(NEXT) | instid1(VALU_DEP_2)
	v_fma_f64 v[9:10], v[3:4], v[7:8], -v[11:12]
	v_fma_f64 v[11:12], v[1:2], v[7:8], v[15:16]
	scratch_store_b128 off, v[9:12], off offset:240
.LBB33_75:
	s_or_b32 exec_lo, exec_lo, s2
	s_waitcnt_vscnt null, 0x0
	s_barrier
	buffer_gl0_inv
	scratch_load_b128 v[1:4], v132, off
	s_mov_b32 s2, exec_lo
	s_waitcnt vmcnt(0)
	ds_store_b128 v5, v[1:4]
	s_waitcnt lgkmcnt(0)
	s_barrier
	buffer_gl0_inv
	v_cmpx_gt_u32_e32 16, v110
	s_cbranch_execz .LBB33_79
; %bb.76:
	v_dual_mov_b32 v1, 0 :: v_dual_add_nc_u32 v8, 0x220, v13
	v_dual_mov_b32 v2, 0 :: v_dual_add_nc_u32 v7, -1, v110
	v_or_b32_e32 v9, 8, v14
	s_mov_b32 s3, 0
	s_delay_alu instid0(VALU_DEP_2)
	v_dual_mov_b32 v4, v2 :: v_dual_mov_b32 v3, v1
	.p2align	6
.LBB33_77:                              ; =>This Inner Loop Header: Depth=1
	scratch_load_b128 v[15:18], v9, off offset:-8
	ds_load_b128 v[19:22], v8
	v_add_nc_u32_e32 v7, 1, v7
	v_add_nc_u32_e32 v8, 16, v8
	;; [unrolled: 1-line block ×3, first 2 shown]
	s_delay_alu instid0(VALU_DEP_3) | instskip(SKIP_4) | instid1(VALU_DEP_2)
	v_cmp_lt_u32_e32 vcc_lo, 14, v7
	s_or_b32 s3, vcc_lo, s3
	s_waitcnt vmcnt(0) lgkmcnt(0)
	v_mul_f64 v[10:11], v[21:22], v[17:18]
	v_mul_f64 v[17:18], v[19:20], v[17:18]
	v_fma_f64 v[10:11], v[19:20], v[15:16], -v[10:11]
	s_delay_alu instid0(VALU_DEP_2) | instskip(NEXT) | instid1(VALU_DEP_2)
	v_fma_f64 v[15:16], v[21:22], v[15:16], v[17:18]
	v_add_f64 v[3:4], v[3:4], v[10:11]
	s_delay_alu instid0(VALU_DEP_2)
	v_add_f64 v[1:2], v[1:2], v[15:16]
	s_and_not1_b32 exec_lo, exec_lo, s3
	s_cbranch_execnz .LBB33_77
; %bb.78:
	s_or_b32 exec_lo, exec_lo, s3
	v_mov_b32_e32 v7, 0
	ds_load_b128 v[7:10], v7 offset:256
	s_waitcnt lgkmcnt(0)
	v_mul_f64 v[11:12], v[1:2], v[9:10]
	v_mul_f64 v[15:16], v[3:4], v[9:10]
	s_delay_alu instid0(VALU_DEP_2) | instskip(NEXT) | instid1(VALU_DEP_2)
	v_fma_f64 v[9:10], v[3:4], v[7:8], -v[11:12]
	v_fma_f64 v[11:12], v[1:2], v[7:8], v[15:16]
	scratch_store_b128 off, v[9:12], off offset:256
.LBB33_79:
	s_or_b32 exec_lo, exec_lo, s2
	s_waitcnt_vscnt null, 0x0
	s_barrier
	buffer_gl0_inv
	scratch_load_b128 v[1:4], v131, off
	s_mov_b32 s2, exec_lo
	s_waitcnt vmcnt(0)
	ds_store_b128 v5, v[1:4]
	s_waitcnt lgkmcnt(0)
	s_barrier
	buffer_gl0_inv
	v_cmpx_gt_u32_e32 17, v110
	s_cbranch_execz .LBB33_83
; %bb.80:
	v_dual_mov_b32 v1, 0 :: v_dual_add_nc_u32 v8, 0x220, v13
	v_dual_mov_b32 v2, 0 :: v_dual_add_nc_u32 v7, -1, v110
	v_or_b32_e32 v9, 8, v14
	s_mov_b32 s3, 0
	s_delay_alu instid0(VALU_DEP_2)
	v_dual_mov_b32 v4, v2 :: v_dual_mov_b32 v3, v1
	.p2align	6
.LBB33_81:                              ; =>This Inner Loop Header: Depth=1
	scratch_load_b128 v[15:18], v9, off offset:-8
	ds_load_b128 v[19:22], v8
	v_add_nc_u32_e32 v7, 1, v7
	v_add_nc_u32_e32 v8, 16, v8
	;; [unrolled: 1-line block ×3, first 2 shown]
	s_delay_alu instid0(VALU_DEP_3) | instskip(SKIP_4) | instid1(VALU_DEP_2)
	v_cmp_lt_u32_e32 vcc_lo, 15, v7
	s_or_b32 s3, vcc_lo, s3
	s_waitcnt vmcnt(0) lgkmcnt(0)
	v_mul_f64 v[10:11], v[21:22], v[17:18]
	v_mul_f64 v[17:18], v[19:20], v[17:18]
	v_fma_f64 v[10:11], v[19:20], v[15:16], -v[10:11]
	s_delay_alu instid0(VALU_DEP_2) | instskip(NEXT) | instid1(VALU_DEP_2)
	v_fma_f64 v[15:16], v[21:22], v[15:16], v[17:18]
	v_add_f64 v[3:4], v[3:4], v[10:11]
	s_delay_alu instid0(VALU_DEP_2)
	v_add_f64 v[1:2], v[1:2], v[15:16]
	s_and_not1_b32 exec_lo, exec_lo, s3
	s_cbranch_execnz .LBB33_81
; %bb.82:
	s_or_b32 exec_lo, exec_lo, s3
	v_mov_b32_e32 v7, 0
	ds_load_b128 v[7:10], v7 offset:272
	s_waitcnt lgkmcnt(0)
	v_mul_f64 v[11:12], v[1:2], v[9:10]
	v_mul_f64 v[15:16], v[3:4], v[9:10]
	s_delay_alu instid0(VALU_DEP_2) | instskip(NEXT) | instid1(VALU_DEP_2)
	v_fma_f64 v[9:10], v[3:4], v[7:8], -v[11:12]
	v_fma_f64 v[11:12], v[1:2], v[7:8], v[15:16]
	scratch_store_b128 off, v[9:12], off offset:272
.LBB33_83:
	s_or_b32 exec_lo, exec_lo, s2
	s_waitcnt_vscnt null, 0x0
	s_barrier
	buffer_gl0_inv
	scratch_load_b128 v[1:4], v129, off
	s_mov_b32 s2, exec_lo
	s_waitcnt vmcnt(0)
	ds_store_b128 v5, v[1:4]
	s_waitcnt lgkmcnt(0)
	s_barrier
	buffer_gl0_inv
	v_cmpx_gt_u32_e32 18, v110
	s_cbranch_execz .LBB33_87
; %bb.84:
	v_dual_mov_b32 v1, 0 :: v_dual_add_nc_u32 v8, 0x220, v13
	v_dual_mov_b32 v2, 0 :: v_dual_add_nc_u32 v7, -1, v110
	v_or_b32_e32 v9, 8, v14
	s_mov_b32 s3, 0
	s_delay_alu instid0(VALU_DEP_2)
	v_dual_mov_b32 v4, v2 :: v_dual_mov_b32 v3, v1
	.p2align	6
.LBB33_85:                              ; =>This Inner Loop Header: Depth=1
	scratch_load_b128 v[15:18], v9, off offset:-8
	ds_load_b128 v[19:22], v8
	v_add_nc_u32_e32 v7, 1, v7
	v_add_nc_u32_e32 v8, 16, v8
	;; [unrolled: 1-line block ×3, first 2 shown]
	s_delay_alu instid0(VALU_DEP_3) | instskip(SKIP_4) | instid1(VALU_DEP_2)
	v_cmp_lt_u32_e32 vcc_lo, 16, v7
	s_or_b32 s3, vcc_lo, s3
	s_waitcnt vmcnt(0) lgkmcnt(0)
	v_mul_f64 v[10:11], v[21:22], v[17:18]
	v_mul_f64 v[17:18], v[19:20], v[17:18]
	v_fma_f64 v[10:11], v[19:20], v[15:16], -v[10:11]
	s_delay_alu instid0(VALU_DEP_2) | instskip(NEXT) | instid1(VALU_DEP_2)
	v_fma_f64 v[15:16], v[21:22], v[15:16], v[17:18]
	v_add_f64 v[3:4], v[3:4], v[10:11]
	s_delay_alu instid0(VALU_DEP_2)
	v_add_f64 v[1:2], v[1:2], v[15:16]
	s_and_not1_b32 exec_lo, exec_lo, s3
	s_cbranch_execnz .LBB33_85
; %bb.86:
	s_or_b32 exec_lo, exec_lo, s3
	v_mov_b32_e32 v7, 0
	ds_load_b128 v[7:10], v7 offset:288
	s_waitcnt lgkmcnt(0)
	v_mul_f64 v[11:12], v[1:2], v[9:10]
	v_mul_f64 v[15:16], v[3:4], v[9:10]
	s_delay_alu instid0(VALU_DEP_2) | instskip(NEXT) | instid1(VALU_DEP_2)
	v_fma_f64 v[9:10], v[3:4], v[7:8], -v[11:12]
	v_fma_f64 v[11:12], v[1:2], v[7:8], v[15:16]
	scratch_store_b128 off, v[9:12], off offset:288
.LBB33_87:
	s_or_b32 exec_lo, exec_lo, s2
	s_waitcnt_vscnt null, 0x0
	s_barrier
	buffer_gl0_inv
	scratch_load_b128 v[1:4], v130, off
	s_mov_b32 s2, exec_lo
	s_waitcnt vmcnt(0)
	ds_store_b128 v5, v[1:4]
	s_waitcnt lgkmcnt(0)
	s_barrier
	buffer_gl0_inv
	v_cmpx_gt_u32_e32 19, v110
	s_cbranch_execz .LBB33_91
; %bb.88:
	v_dual_mov_b32 v1, 0 :: v_dual_add_nc_u32 v8, 0x220, v13
	v_dual_mov_b32 v2, 0 :: v_dual_add_nc_u32 v7, -1, v110
	v_or_b32_e32 v9, 8, v14
	s_mov_b32 s3, 0
	s_delay_alu instid0(VALU_DEP_2)
	v_dual_mov_b32 v4, v2 :: v_dual_mov_b32 v3, v1
	.p2align	6
.LBB33_89:                              ; =>This Inner Loop Header: Depth=1
	scratch_load_b128 v[15:18], v9, off offset:-8
	ds_load_b128 v[19:22], v8
	v_add_nc_u32_e32 v7, 1, v7
	v_add_nc_u32_e32 v8, 16, v8
	;; [unrolled: 1-line block ×3, first 2 shown]
	s_delay_alu instid0(VALU_DEP_3) | instskip(SKIP_4) | instid1(VALU_DEP_2)
	v_cmp_lt_u32_e32 vcc_lo, 17, v7
	s_or_b32 s3, vcc_lo, s3
	s_waitcnt vmcnt(0) lgkmcnt(0)
	v_mul_f64 v[10:11], v[21:22], v[17:18]
	v_mul_f64 v[17:18], v[19:20], v[17:18]
	v_fma_f64 v[10:11], v[19:20], v[15:16], -v[10:11]
	s_delay_alu instid0(VALU_DEP_2) | instskip(NEXT) | instid1(VALU_DEP_2)
	v_fma_f64 v[15:16], v[21:22], v[15:16], v[17:18]
	v_add_f64 v[3:4], v[3:4], v[10:11]
	s_delay_alu instid0(VALU_DEP_2)
	v_add_f64 v[1:2], v[1:2], v[15:16]
	s_and_not1_b32 exec_lo, exec_lo, s3
	s_cbranch_execnz .LBB33_89
; %bb.90:
	s_or_b32 exec_lo, exec_lo, s3
	v_mov_b32_e32 v7, 0
	ds_load_b128 v[7:10], v7 offset:304
	s_waitcnt lgkmcnt(0)
	v_mul_f64 v[11:12], v[1:2], v[9:10]
	v_mul_f64 v[15:16], v[3:4], v[9:10]
	s_delay_alu instid0(VALU_DEP_2) | instskip(NEXT) | instid1(VALU_DEP_2)
	v_fma_f64 v[9:10], v[3:4], v[7:8], -v[11:12]
	v_fma_f64 v[11:12], v[1:2], v[7:8], v[15:16]
	scratch_store_b128 off, v[9:12], off offset:304
.LBB33_91:
	s_or_b32 exec_lo, exec_lo, s2
	s_waitcnt_vscnt null, 0x0
	s_barrier
	buffer_gl0_inv
	scratch_load_b128 v[1:4], v128, off
	s_mov_b32 s2, exec_lo
	s_waitcnt vmcnt(0)
	ds_store_b128 v5, v[1:4]
	s_waitcnt lgkmcnt(0)
	s_barrier
	buffer_gl0_inv
	v_cmpx_gt_u32_e32 20, v110
	s_cbranch_execz .LBB33_95
; %bb.92:
	v_dual_mov_b32 v1, 0 :: v_dual_add_nc_u32 v8, 0x220, v13
	v_dual_mov_b32 v2, 0 :: v_dual_add_nc_u32 v7, -1, v110
	v_or_b32_e32 v9, 8, v14
	s_mov_b32 s3, 0
	s_delay_alu instid0(VALU_DEP_2)
	v_dual_mov_b32 v4, v2 :: v_dual_mov_b32 v3, v1
	.p2align	6
.LBB33_93:                              ; =>This Inner Loop Header: Depth=1
	scratch_load_b128 v[15:18], v9, off offset:-8
	ds_load_b128 v[19:22], v8
	v_add_nc_u32_e32 v7, 1, v7
	v_add_nc_u32_e32 v8, 16, v8
	;; [unrolled: 1-line block ×3, first 2 shown]
	s_delay_alu instid0(VALU_DEP_3) | instskip(SKIP_4) | instid1(VALU_DEP_2)
	v_cmp_lt_u32_e32 vcc_lo, 18, v7
	s_or_b32 s3, vcc_lo, s3
	s_waitcnt vmcnt(0) lgkmcnt(0)
	v_mul_f64 v[10:11], v[21:22], v[17:18]
	v_mul_f64 v[17:18], v[19:20], v[17:18]
	v_fma_f64 v[10:11], v[19:20], v[15:16], -v[10:11]
	s_delay_alu instid0(VALU_DEP_2) | instskip(NEXT) | instid1(VALU_DEP_2)
	v_fma_f64 v[15:16], v[21:22], v[15:16], v[17:18]
	v_add_f64 v[3:4], v[3:4], v[10:11]
	s_delay_alu instid0(VALU_DEP_2)
	v_add_f64 v[1:2], v[1:2], v[15:16]
	s_and_not1_b32 exec_lo, exec_lo, s3
	s_cbranch_execnz .LBB33_93
; %bb.94:
	s_or_b32 exec_lo, exec_lo, s3
	v_mov_b32_e32 v7, 0
	ds_load_b128 v[7:10], v7 offset:320
	s_waitcnt lgkmcnt(0)
	v_mul_f64 v[11:12], v[1:2], v[9:10]
	v_mul_f64 v[15:16], v[3:4], v[9:10]
	s_delay_alu instid0(VALU_DEP_2) | instskip(NEXT) | instid1(VALU_DEP_2)
	v_fma_f64 v[9:10], v[3:4], v[7:8], -v[11:12]
	v_fma_f64 v[11:12], v[1:2], v[7:8], v[15:16]
	scratch_store_b128 off, v[9:12], off offset:320
.LBB33_95:
	s_or_b32 exec_lo, exec_lo, s2
	s_waitcnt_vscnt null, 0x0
	s_barrier
	buffer_gl0_inv
	scratch_load_b128 v[1:4], v127, off
	s_mov_b32 s2, exec_lo
	s_waitcnt vmcnt(0)
	ds_store_b128 v5, v[1:4]
	s_waitcnt lgkmcnt(0)
	s_barrier
	buffer_gl0_inv
	v_cmpx_gt_u32_e32 21, v110
	s_cbranch_execz .LBB33_99
; %bb.96:
	v_dual_mov_b32 v1, 0 :: v_dual_add_nc_u32 v8, 0x220, v13
	v_dual_mov_b32 v2, 0 :: v_dual_add_nc_u32 v7, -1, v110
	v_or_b32_e32 v9, 8, v14
	s_mov_b32 s3, 0
	s_delay_alu instid0(VALU_DEP_2)
	v_dual_mov_b32 v4, v2 :: v_dual_mov_b32 v3, v1
	.p2align	6
.LBB33_97:                              ; =>This Inner Loop Header: Depth=1
	scratch_load_b128 v[15:18], v9, off offset:-8
	ds_load_b128 v[19:22], v8
	v_add_nc_u32_e32 v7, 1, v7
	v_add_nc_u32_e32 v8, 16, v8
	;; [unrolled: 1-line block ×3, first 2 shown]
	s_delay_alu instid0(VALU_DEP_3) | instskip(SKIP_4) | instid1(VALU_DEP_2)
	v_cmp_lt_u32_e32 vcc_lo, 19, v7
	s_or_b32 s3, vcc_lo, s3
	s_waitcnt vmcnt(0) lgkmcnt(0)
	v_mul_f64 v[10:11], v[21:22], v[17:18]
	v_mul_f64 v[17:18], v[19:20], v[17:18]
	v_fma_f64 v[10:11], v[19:20], v[15:16], -v[10:11]
	s_delay_alu instid0(VALU_DEP_2) | instskip(NEXT) | instid1(VALU_DEP_2)
	v_fma_f64 v[15:16], v[21:22], v[15:16], v[17:18]
	v_add_f64 v[3:4], v[3:4], v[10:11]
	s_delay_alu instid0(VALU_DEP_2)
	v_add_f64 v[1:2], v[1:2], v[15:16]
	s_and_not1_b32 exec_lo, exec_lo, s3
	s_cbranch_execnz .LBB33_97
; %bb.98:
	s_or_b32 exec_lo, exec_lo, s3
	v_mov_b32_e32 v7, 0
	ds_load_b128 v[7:10], v7 offset:336
	s_waitcnt lgkmcnt(0)
	v_mul_f64 v[11:12], v[1:2], v[9:10]
	v_mul_f64 v[15:16], v[3:4], v[9:10]
	s_delay_alu instid0(VALU_DEP_2) | instskip(NEXT) | instid1(VALU_DEP_2)
	v_fma_f64 v[9:10], v[3:4], v[7:8], -v[11:12]
	v_fma_f64 v[11:12], v[1:2], v[7:8], v[15:16]
	scratch_store_b128 off, v[9:12], off offset:336
.LBB33_99:
	s_or_b32 exec_lo, exec_lo, s2
	s_waitcnt_vscnt null, 0x0
	s_barrier
	buffer_gl0_inv
	scratch_load_b128 v[1:4], v125, off
	s_mov_b32 s2, exec_lo
	s_waitcnt vmcnt(0)
	ds_store_b128 v5, v[1:4]
	s_waitcnt lgkmcnt(0)
	s_barrier
	buffer_gl0_inv
	v_cmpx_gt_u32_e32 22, v110
	s_cbranch_execz .LBB33_103
; %bb.100:
	v_dual_mov_b32 v1, 0 :: v_dual_add_nc_u32 v8, 0x220, v13
	v_dual_mov_b32 v2, 0 :: v_dual_add_nc_u32 v7, -1, v110
	v_or_b32_e32 v9, 8, v14
	s_mov_b32 s3, 0
	s_delay_alu instid0(VALU_DEP_2)
	v_dual_mov_b32 v4, v2 :: v_dual_mov_b32 v3, v1
	.p2align	6
.LBB33_101:                             ; =>This Inner Loop Header: Depth=1
	scratch_load_b128 v[15:18], v9, off offset:-8
	ds_load_b128 v[19:22], v8
	v_add_nc_u32_e32 v7, 1, v7
	v_add_nc_u32_e32 v8, 16, v8
	;; [unrolled: 1-line block ×3, first 2 shown]
	s_delay_alu instid0(VALU_DEP_3) | instskip(SKIP_4) | instid1(VALU_DEP_2)
	v_cmp_lt_u32_e32 vcc_lo, 20, v7
	s_or_b32 s3, vcc_lo, s3
	s_waitcnt vmcnt(0) lgkmcnt(0)
	v_mul_f64 v[10:11], v[21:22], v[17:18]
	v_mul_f64 v[17:18], v[19:20], v[17:18]
	v_fma_f64 v[10:11], v[19:20], v[15:16], -v[10:11]
	s_delay_alu instid0(VALU_DEP_2) | instskip(NEXT) | instid1(VALU_DEP_2)
	v_fma_f64 v[15:16], v[21:22], v[15:16], v[17:18]
	v_add_f64 v[3:4], v[3:4], v[10:11]
	s_delay_alu instid0(VALU_DEP_2)
	v_add_f64 v[1:2], v[1:2], v[15:16]
	s_and_not1_b32 exec_lo, exec_lo, s3
	s_cbranch_execnz .LBB33_101
; %bb.102:
	s_or_b32 exec_lo, exec_lo, s3
	v_mov_b32_e32 v7, 0
	ds_load_b128 v[7:10], v7 offset:352
	s_waitcnt lgkmcnt(0)
	v_mul_f64 v[11:12], v[1:2], v[9:10]
	v_mul_f64 v[15:16], v[3:4], v[9:10]
	s_delay_alu instid0(VALU_DEP_2) | instskip(NEXT) | instid1(VALU_DEP_2)
	v_fma_f64 v[9:10], v[3:4], v[7:8], -v[11:12]
	v_fma_f64 v[11:12], v[1:2], v[7:8], v[15:16]
	scratch_store_b128 off, v[9:12], off offset:352
.LBB33_103:
	s_or_b32 exec_lo, exec_lo, s2
	s_waitcnt_vscnt null, 0x0
	s_barrier
	buffer_gl0_inv
	scratch_load_b128 v[1:4], v126, off
	s_mov_b32 s2, exec_lo
	s_waitcnt vmcnt(0)
	ds_store_b128 v5, v[1:4]
	s_waitcnt lgkmcnt(0)
	s_barrier
	buffer_gl0_inv
	v_cmpx_gt_u32_e32 23, v110
	s_cbranch_execz .LBB33_107
; %bb.104:
	v_dual_mov_b32 v1, 0 :: v_dual_add_nc_u32 v8, 0x220, v13
	v_dual_mov_b32 v2, 0 :: v_dual_add_nc_u32 v7, -1, v110
	v_or_b32_e32 v9, 8, v14
	s_mov_b32 s3, 0
	s_delay_alu instid0(VALU_DEP_2)
	v_dual_mov_b32 v4, v2 :: v_dual_mov_b32 v3, v1
	.p2align	6
.LBB33_105:                             ; =>This Inner Loop Header: Depth=1
	scratch_load_b128 v[15:18], v9, off offset:-8
	ds_load_b128 v[19:22], v8
	v_add_nc_u32_e32 v7, 1, v7
	v_add_nc_u32_e32 v8, 16, v8
	;; [unrolled: 1-line block ×3, first 2 shown]
	s_delay_alu instid0(VALU_DEP_3) | instskip(SKIP_4) | instid1(VALU_DEP_2)
	v_cmp_lt_u32_e32 vcc_lo, 21, v7
	s_or_b32 s3, vcc_lo, s3
	s_waitcnt vmcnt(0) lgkmcnt(0)
	v_mul_f64 v[10:11], v[21:22], v[17:18]
	v_mul_f64 v[17:18], v[19:20], v[17:18]
	v_fma_f64 v[10:11], v[19:20], v[15:16], -v[10:11]
	s_delay_alu instid0(VALU_DEP_2) | instskip(NEXT) | instid1(VALU_DEP_2)
	v_fma_f64 v[15:16], v[21:22], v[15:16], v[17:18]
	v_add_f64 v[3:4], v[3:4], v[10:11]
	s_delay_alu instid0(VALU_DEP_2)
	v_add_f64 v[1:2], v[1:2], v[15:16]
	s_and_not1_b32 exec_lo, exec_lo, s3
	s_cbranch_execnz .LBB33_105
; %bb.106:
	s_or_b32 exec_lo, exec_lo, s3
	v_mov_b32_e32 v7, 0
	ds_load_b128 v[7:10], v7 offset:368
	s_waitcnt lgkmcnt(0)
	v_mul_f64 v[11:12], v[1:2], v[9:10]
	v_mul_f64 v[15:16], v[3:4], v[9:10]
	s_delay_alu instid0(VALU_DEP_2) | instskip(NEXT) | instid1(VALU_DEP_2)
	v_fma_f64 v[9:10], v[3:4], v[7:8], -v[11:12]
	v_fma_f64 v[11:12], v[1:2], v[7:8], v[15:16]
	scratch_store_b128 off, v[9:12], off offset:368
.LBB33_107:
	s_or_b32 exec_lo, exec_lo, s2
	s_waitcnt_vscnt null, 0x0
	s_barrier
	buffer_gl0_inv
	scratch_load_b128 v[1:4], v124, off
	s_mov_b32 s2, exec_lo
	s_waitcnt vmcnt(0)
	ds_store_b128 v5, v[1:4]
	s_waitcnt lgkmcnt(0)
	s_barrier
	buffer_gl0_inv
	v_cmpx_gt_u32_e32 24, v110
	s_cbranch_execz .LBB33_111
; %bb.108:
	v_dual_mov_b32 v1, 0 :: v_dual_add_nc_u32 v8, 0x220, v13
	v_dual_mov_b32 v2, 0 :: v_dual_add_nc_u32 v7, -1, v110
	v_or_b32_e32 v9, 8, v14
	s_mov_b32 s3, 0
	s_delay_alu instid0(VALU_DEP_2)
	v_dual_mov_b32 v4, v2 :: v_dual_mov_b32 v3, v1
	.p2align	6
.LBB33_109:                             ; =>This Inner Loop Header: Depth=1
	scratch_load_b128 v[15:18], v9, off offset:-8
	ds_load_b128 v[19:22], v8
	v_add_nc_u32_e32 v7, 1, v7
	v_add_nc_u32_e32 v8, 16, v8
	;; [unrolled: 1-line block ×3, first 2 shown]
	s_delay_alu instid0(VALU_DEP_3) | instskip(SKIP_4) | instid1(VALU_DEP_2)
	v_cmp_lt_u32_e32 vcc_lo, 22, v7
	s_or_b32 s3, vcc_lo, s3
	s_waitcnt vmcnt(0) lgkmcnt(0)
	v_mul_f64 v[10:11], v[21:22], v[17:18]
	v_mul_f64 v[17:18], v[19:20], v[17:18]
	v_fma_f64 v[10:11], v[19:20], v[15:16], -v[10:11]
	s_delay_alu instid0(VALU_DEP_2) | instskip(NEXT) | instid1(VALU_DEP_2)
	v_fma_f64 v[15:16], v[21:22], v[15:16], v[17:18]
	v_add_f64 v[3:4], v[3:4], v[10:11]
	s_delay_alu instid0(VALU_DEP_2)
	v_add_f64 v[1:2], v[1:2], v[15:16]
	s_and_not1_b32 exec_lo, exec_lo, s3
	s_cbranch_execnz .LBB33_109
; %bb.110:
	s_or_b32 exec_lo, exec_lo, s3
	v_mov_b32_e32 v7, 0
	ds_load_b128 v[7:10], v7 offset:384
	s_waitcnt lgkmcnt(0)
	v_mul_f64 v[11:12], v[1:2], v[9:10]
	v_mul_f64 v[15:16], v[3:4], v[9:10]
	s_delay_alu instid0(VALU_DEP_2) | instskip(NEXT) | instid1(VALU_DEP_2)
	v_fma_f64 v[9:10], v[3:4], v[7:8], -v[11:12]
	v_fma_f64 v[11:12], v[1:2], v[7:8], v[15:16]
	scratch_store_b128 off, v[9:12], off offset:384
.LBB33_111:
	s_or_b32 exec_lo, exec_lo, s2
	s_waitcnt_vscnt null, 0x0
	s_barrier
	buffer_gl0_inv
	scratch_load_b128 v[1:4], v123, off
	s_mov_b32 s2, exec_lo
	s_waitcnt vmcnt(0)
	ds_store_b128 v5, v[1:4]
	s_waitcnt lgkmcnt(0)
	s_barrier
	buffer_gl0_inv
	v_cmpx_gt_u32_e32 25, v110
	s_cbranch_execz .LBB33_115
; %bb.112:
	v_dual_mov_b32 v1, 0 :: v_dual_add_nc_u32 v8, 0x220, v13
	v_dual_mov_b32 v2, 0 :: v_dual_add_nc_u32 v7, -1, v110
	v_or_b32_e32 v9, 8, v14
	s_mov_b32 s3, 0
	s_delay_alu instid0(VALU_DEP_2)
	v_dual_mov_b32 v4, v2 :: v_dual_mov_b32 v3, v1
	.p2align	6
.LBB33_113:                             ; =>This Inner Loop Header: Depth=1
	scratch_load_b128 v[15:18], v9, off offset:-8
	ds_load_b128 v[19:22], v8
	v_add_nc_u32_e32 v7, 1, v7
	v_add_nc_u32_e32 v8, 16, v8
	;; [unrolled: 1-line block ×3, first 2 shown]
	s_delay_alu instid0(VALU_DEP_3) | instskip(SKIP_4) | instid1(VALU_DEP_2)
	v_cmp_lt_u32_e32 vcc_lo, 23, v7
	s_or_b32 s3, vcc_lo, s3
	s_waitcnt vmcnt(0) lgkmcnt(0)
	v_mul_f64 v[10:11], v[21:22], v[17:18]
	v_mul_f64 v[17:18], v[19:20], v[17:18]
	v_fma_f64 v[10:11], v[19:20], v[15:16], -v[10:11]
	s_delay_alu instid0(VALU_DEP_2) | instskip(NEXT) | instid1(VALU_DEP_2)
	v_fma_f64 v[15:16], v[21:22], v[15:16], v[17:18]
	v_add_f64 v[3:4], v[3:4], v[10:11]
	s_delay_alu instid0(VALU_DEP_2)
	v_add_f64 v[1:2], v[1:2], v[15:16]
	s_and_not1_b32 exec_lo, exec_lo, s3
	s_cbranch_execnz .LBB33_113
; %bb.114:
	s_or_b32 exec_lo, exec_lo, s3
	v_mov_b32_e32 v7, 0
	ds_load_b128 v[7:10], v7 offset:400
	s_waitcnt lgkmcnt(0)
	v_mul_f64 v[11:12], v[1:2], v[9:10]
	v_mul_f64 v[15:16], v[3:4], v[9:10]
	s_delay_alu instid0(VALU_DEP_2) | instskip(NEXT) | instid1(VALU_DEP_2)
	v_fma_f64 v[9:10], v[3:4], v[7:8], -v[11:12]
	v_fma_f64 v[11:12], v[1:2], v[7:8], v[15:16]
	scratch_store_b128 off, v[9:12], off offset:400
.LBB33_115:
	s_or_b32 exec_lo, exec_lo, s2
	s_waitcnt_vscnt null, 0x0
	s_barrier
	buffer_gl0_inv
	scratch_load_b128 v[1:4], v118, off
	s_mov_b32 s2, exec_lo
	s_waitcnt vmcnt(0)
	ds_store_b128 v5, v[1:4]
	s_waitcnt lgkmcnt(0)
	s_barrier
	buffer_gl0_inv
	v_cmpx_gt_u32_e32 26, v110
	s_cbranch_execz .LBB33_119
; %bb.116:
	v_dual_mov_b32 v1, 0 :: v_dual_add_nc_u32 v8, 0x220, v13
	v_dual_mov_b32 v2, 0 :: v_dual_add_nc_u32 v7, -1, v110
	v_or_b32_e32 v9, 8, v14
	s_mov_b32 s3, 0
	s_delay_alu instid0(VALU_DEP_2)
	v_dual_mov_b32 v4, v2 :: v_dual_mov_b32 v3, v1
	.p2align	6
.LBB33_117:                             ; =>This Inner Loop Header: Depth=1
	scratch_load_b128 v[15:18], v9, off offset:-8
	ds_load_b128 v[19:22], v8
	v_add_nc_u32_e32 v7, 1, v7
	v_add_nc_u32_e32 v8, 16, v8
	;; [unrolled: 1-line block ×3, first 2 shown]
	s_delay_alu instid0(VALU_DEP_3) | instskip(SKIP_4) | instid1(VALU_DEP_2)
	v_cmp_lt_u32_e32 vcc_lo, 24, v7
	s_or_b32 s3, vcc_lo, s3
	s_waitcnt vmcnt(0) lgkmcnt(0)
	v_mul_f64 v[10:11], v[21:22], v[17:18]
	v_mul_f64 v[17:18], v[19:20], v[17:18]
	v_fma_f64 v[10:11], v[19:20], v[15:16], -v[10:11]
	s_delay_alu instid0(VALU_DEP_2) | instskip(NEXT) | instid1(VALU_DEP_2)
	v_fma_f64 v[15:16], v[21:22], v[15:16], v[17:18]
	v_add_f64 v[3:4], v[3:4], v[10:11]
	s_delay_alu instid0(VALU_DEP_2)
	v_add_f64 v[1:2], v[1:2], v[15:16]
	s_and_not1_b32 exec_lo, exec_lo, s3
	s_cbranch_execnz .LBB33_117
; %bb.118:
	s_or_b32 exec_lo, exec_lo, s3
	v_mov_b32_e32 v7, 0
	ds_load_b128 v[7:10], v7 offset:416
	s_waitcnt lgkmcnt(0)
	v_mul_f64 v[11:12], v[1:2], v[9:10]
	v_mul_f64 v[15:16], v[3:4], v[9:10]
	s_delay_alu instid0(VALU_DEP_2) | instskip(NEXT) | instid1(VALU_DEP_2)
	v_fma_f64 v[9:10], v[3:4], v[7:8], -v[11:12]
	v_fma_f64 v[11:12], v[1:2], v[7:8], v[15:16]
	scratch_store_b128 off, v[9:12], off offset:416
.LBB33_119:
	s_or_b32 exec_lo, exec_lo, s2
	s_waitcnt_vscnt null, 0x0
	s_barrier
	buffer_gl0_inv
	scratch_load_b128 v[1:4], v117, off
	s_mov_b32 s2, exec_lo
	s_waitcnt vmcnt(0)
	ds_store_b128 v5, v[1:4]
	s_waitcnt lgkmcnt(0)
	s_barrier
	buffer_gl0_inv
	v_cmpx_gt_u32_e32 27, v110
	s_cbranch_execz .LBB33_123
; %bb.120:
	v_dual_mov_b32 v1, 0 :: v_dual_add_nc_u32 v8, 0x220, v13
	v_dual_mov_b32 v2, 0 :: v_dual_add_nc_u32 v7, -1, v110
	v_or_b32_e32 v9, 8, v14
	s_mov_b32 s3, 0
	s_delay_alu instid0(VALU_DEP_2)
	v_dual_mov_b32 v4, v2 :: v_dual_mov_b32 v3, v1
	.p2align	6
.LBB33_121:                             ; =>This Inner Loop Header: Depth=1
	scratch_load_b128 v[15:18], v9, off offset:-8
	ds_load_b128 v[19:22], v8
	v_add_nc_u32_e32 v7, 1, v7
	v_add_nc_u32_e32 v8, 16, v8
	;; [unrolled: 1-line block ×3, first 2 shown]
	s_delay_alu instid0(VALU_DEP_3) | instskip(SKIP_4) | instid1(VALU_DEP_2)
	v_cmp_lt_u32_e32 vcc_lo, 25, v7
	s_or_b32 s3, vcc_lo, s3
	s_waitcnt vmcnt(0) lgkmcnt(0)
	v_mul_f64 v[10:11], v[21:22], v[17:18]
	v_mul_f64 v[17:18], v[19:20], v[17:18]
	v_fma_f64 v[10:11], v[19:20], v[15:16], -v[10:11]
	s_delay_alu instid0(VALU_DEP_2) | instskip(NEXT) | instid1(VALU_DEP_2)
	v_fma_f64 v[15:16], v[21:22], v[15:16], v[17:18]
	v_add_f64 v[3:4], v[3:4], v[10:11]
	s_delay_alu instid0(VALU_DEP_2)
	v_add_f64 v[1:2], v[1:2], v[15:16]
	s_and_not1_b32 exec_lo, exec_lo, s3
	s_cbranch_execnz .LBB33_121
; %bb.122:
	s_or_b32 exec_lo, exec_lo, s3
	v_mov_b32_e32 v7, 0
	ds_load_b128 v[7:10], v7 offset:432
	s_waitcnt lgkmcnt(0)
	v_mul_f64 v[11:12], v[1:2], v[9:10]
	v_mul_f64 v[15:16], v[3:4], v[9:10]
	s_delay_alu instid0(VALU_DEP_2) | instskip(NEXT) | instid1(VALU_DEP_2)
	v_fma_f64 v[9:10], v[3:4], v[7:8], -v[11:12]
	v_fma_f64 v[11:12], v[1:2], v[7:8], v[15:16]
	scratch_store_b128 off, v[9:12], off offset:432
.LBB33_123:
	s_or_b32 exec_lo, exec_lo, s2
	s_waitcnt_vscnt null, 0x0
	s_barrier
	buffer_gl0_inv
	scratch_load_b128 v[1:4], v116, off
	s_mov_b32 s2, exec_lo
	s_waitcnt vmcnt(0)
	ds_store_b128 v5, v[1:4]
	s_waitcnt lgkmcnt(0)
	s_barrier
	buffer_gl0_inv
	v_cmpx_gt_u32_e32 28, v110
	s_cbranch_execz .LBB33_127
; %bb.124:
	v_dual_mov_b32 v1, 0 :: v_dual_add_nc_u32 v8, 0x220, v13
	v_dual_mov_b32 v2, 0 :: v_dual_add_nc_u32 v7, -1, v110
	v_or_b32_e32 v9, 8, v14
	s_mov_b32 s3, 0
	s_delay_alu instid0(VALU_DEP_2)
	v_dual_mov_b32 v4, v2 :: v_dual_mov_b32 v3, v1
	.p2align	6
.LBB33_125:                             ; =>This Inner Loop Header: Depth=1
	scratch_load_b128 v[15:18], v9, off offset:-8
	ds_load_b128 v[19:22], v8
	v_add_nc_u32_e32 v7, 1, v7
	v_add_nc_u32_e32 v8, 16, v8
	;; [unrolled: 1-line block ×3, first 2 shown]
	s_delay_alu instid0(VALU_DEP_3) | instskip(SKIP_4) | instid1(VALU_DEP_2)
	v_cmp_lt_u32_e32 vcc_lo, 26, v7
	s_or_b32 s3, vcc_lo, s3
	s_waitcnt vmcnt(0) lgkmcnt(0)
	v_mul_f64 v[10:11], v[21:22], v[17:18]
	v_mul_f64 v[17:18], v[19:20], v[17:18]
	v_fma_f64 v[10:11], v[19:20], v[15:16], -v[10:11]
	s_delay_alu instid0(VALU_DEP_2) | instskip(NEXT) | instid1(VALU_DEP_2)
	v_fma_f64 v[15:16], v[21:22], v[15:16], v[17:18]
	v_add_f64 v[3:4], v[3:4], v[10:11]
	s_delay_alu instid0(VALU_DEP_2)
	v_add_f64 v[1:2], v[1:2], v[15:16]
	s_and_not1_b32 exec_lo, exec_lo, s3
	s_cbranch_execnz .LBB33_125
; %bb.126:
	s_or_b32 exec_lo, exec_lo, s3
	v_mov_b32_e32 v7, 0
	ds_load_b128 v[7:10], v7 offset:448
	s_waitcnt lgkmcnt(0)
	v_mul_f64 v[11:12], v[1:2], v[9:10]
	v_mul_f64 v[15:16], v[3:4], v[9:10]
	s_delay_alu instid0(VALU_DEP_2) | instskip(NEXT) | instid1(VALU_DEP_2)
	v_fma_f64 v[9:10], v[3:4], v[7:8], -v[11:12]
	v_fma_f64 v[11:12], v[1:2], v[7:8], v[15:16]
	scratch_store_b128 off, v[9:12], off offset:448
.LBB33_127:
	s_or_b32 exec_lo, exec_lo, s2
	s_waitcnt_vscnt null, 0x0
	s_barrier
	buffer_gl0_inv
	scratch_load_b128 v[1:4], v115, off
	s_mov_b32 s2, exec_lo
	s_waitcnt vmcnt(0)
	ds_store_b128 v5, v[1:4]
	s_waitcnt lgkmcnt(0)
	s_barrier
	buffer_gl0_inv
	v_cmpx_gt_u32_e32 29, v110
	s_cbranch_execz .LBB33_131
; %bb.128:
	v_dual_mov_b32 v1, 0 :: v_dual_add_nc_u32 v8, 0x220, v13
	v_dual_mov_b32 v2, 0 :: v_dual_add_nc_u32 v7, -1, v110
	v_or_b32_e32 v9, 8, v14
	s_mov_b32 s3, 0
	s_delay_alu instid0(VALU_DEP_2)
	v_dual_mov_b32 v4, v2 :: v_dual_mov_b32 v3, v1
	.p2align	6
.LBB33_129:                             ; =>This Inner Loop Header: Depth=1
	scratch_load_b128 v[15:18], v9, off offset:-8
	ds_load_b128 v[19:22], v8
	v_add_nc_u32_e32 v7, 1, v7
	v_add_nc_u32_e32 v8, 16, v8
	;; [unrolled: 1-line block ×3, first 2 shown]
	s_delay_alu instid0(VALU_DEP_3) | instskip(SKIP_4) | instid1(VALU_DEP_2)
	v_cmp_lt_u32_e32 vcc_lo, 27, v7
	s_or_b32 s3, vcc_lo, s3
	s_waitcnt vmcnt(0) lgkmcnt(0)
	v_mul_f64 v[10:11], v[21:22], v[17:18]
	v_mul_f64 v[17:18], v[19:20], v[17:18]
	v_fma_f64 v[10:11], v[19:20], v[15:16], -v[10:11]
	s_delay_alu instid0(VALU_DEP_2) | instskip(NEXT) | instid1(VALU_DEP_2)
	v_fma_f64 v[15:16], v[21:22], v[15:16], v[17:18]
	v_add_f64 v[3:4], v[3:4], v[10:11]
	s_delay_alu instid0(VALU_DEP_2)
	v_add_f64 v[1:2], v[1:2], v[15:16]
	s_and_not1_b32 exec_lo, exec_lo, s3
	s_cbranch_execnz .LBB33_129
; %bb.130:
	s_or_b32 exec_lo, exec_lo, s3
	v_mov_b32_e32 v7, 0
	ds_load_b128 v[7:10], v7 offset:464
	s_waitcnt lgkmcnt(0)
	v_mul_f64 v[11:12], v[1:2], v[9:10]
	v_mul_f64 v[15:16], v[3:4], v[9:10]
	s_delay_alu instid0(VALU_DEP_2) | instskip(NEXT) | instid1(VALU_DEP_2)
	v_fma_f64 v[9:10], v[3:4], v[7:8], -v[11:12]
	v_fma_f64 v[11:12], v[1:2], v[7:8], v[15:16]
	scratch_store_b128 off, v[9:12], off offset:464
.LBB33_131:
	s_or_b32 exec_lo, exec_lo, s2
	s_waitcnt_vscnt null, 0x0
	s_barrier
	buffer_gl0_inv
	scratch_load_b128 v[1:4], v114, off
	s_mov_b32 s2, exec_lo
	s_waitcnt vmcnt(0)
	ds_store_b128 v5, v[1:4]
	s_waitcnt lgkmcnt(0)
	s_barrier
	buffer_gl0_inv
	v_cmpx_gt_u32_e32 30, v110
	s_cbranch_execz .LBB33_135
; %bb.132:
	v_dual_mov_b32 v1, 0 :: v_dual_add_nc_u32 v8, 0x220, v13
	v_dual_mov_b32 v2, 0 :: v_dual_add_nc_u32 v7, -1, v110
	v_or_b32_e32 v9, 8, v14
	s_mov_b32 s3, 0
	s_delay_alu instid0(VALU_DEP_2)
	v_dual_mov_b32 v4, v2 :: v_dual_mov_b32 v3, v1
	.p2align	6
.LBB33_133:                             ; =>This Inner Loop Header: Depth=1
	scratch_load_b128 v[15:18], v9, off offset:-8
	ds_load_b128 v[19:22], v8
	v_add_nc_u32_e32 v7, 1, v7
	v_add_nc_u32_e32 v8, 16, v8
	;; [unrolled: 1-line block ×3, first 2 shown]
	s_delay_alu instid0(VALU_DEP_3) | instskip(SKIP_4) | instid1(VALU_DEP_2)
	v_cmp_lt_u32_e32 vcc_lo, 28, v7
	s_or_b32 s3, vcc_lo, s3
	s_waitcnt vmcnt(0) lgkmcnt(0)
	v_mul_f64 v[10:11], v[21:22], v[17:18]
	v_mul_f64 v[17:18], v[19:20], v[17:18]
	v_fma_f64 v[10:11], v[19:20], v[15:16], -v[10:11]
	s_delay_alu instid0(VALU_DEP_2) | instskip(NEXT) | instid1(VALU_DEP_2)
	v_fma_f64 v[15:16], v[21:22], v[15:16], v[17:18]
	v_add_f64 v[3:4], v[3:4], v[10:11]
	s_delay_alu instid0(VALU_DEP_2)
	v_add_f64 v[1:2], v[1:2], v[15:16]
	s_and_not1_b32 exec_lo, exec_lo, s3
	s_cbranch_execnz .LBB33_133
; %bb.134:
	s_or_b32 exec_lo, exec_lo, s3
	v_mov_b32_e32 v7, 0
	ds_load_b128 v[7:10], v7 offset:480
	s_waitcnt lgkmcnt(0)
	v_mul_f64 v[11:12], v[1:2], v[9:10]
	v_mul_f64 v[15:16], v[3:4], v[9:10]
	s_delay_alu instid0(VALU_DEP_2) | instskip(NEXT) | instid1(VALU_DEP_2)
	v_fma_f64 v[9:10], v[3:4], v[7:8], -v[11:12]
	v_fma_f64 v[11:12], v[1:2], v[7:8], v[15:16]
	scratch_store_b128 off, v[9:12], off offset:480
.LBB33_135:
	s_or_b32 exec_lo, exec_lo, s2
	s_waitcnt_vscnt null, 0x0
	s_barrier
	buffer_gl0_inv
	scratch_load_b128 v[1:4], v113, off
	s_mov_b32 s2, exec_lo
	s_waitcnt vmcnt(0)
	ds_store_b128 v5, v[1:4]
	s_waitcnt lgkmcnt(0)
	s_barrier
	buffer_gl0_inv
	v_cmpx_gt_u32_e32 31, v110
	s_cbranch_execz .LBB33_139
; %bb.136:
	v_dual_mov_b32 v1, 0 :: v_dual_add_nc_u32 v8, 0x220, v13
	v_dual_mov_b32 v2, 0 :: v_dual_add_nc_u32 v7, -1, v110
	v_or_b32_e32 v9, 8, v14
	s_mov_b32 s3, 0
	s_delay_alu instid0(VALU_DEP_2)
	v_dual_mov_b32 v4, v2 :: v_dual_mov_b32 v3, v1
	.p2align	6
.LBB33_137:                             ; =>This Inner Loop Header: Depth=1
	scratch_load_b128 v[15:18], v9, off offset:-8
	ds_load_b128 v[19:22], v8
	v_add_nc_u32_e32 v7, 1, v7
	v_add_nc_u32_e32 v8, 16, v8
	v_add_nc_u32_e32 v9, 16, v9
	s_delay_alu instid0(VALU_DEP_3) | instskip(SKIP_4) | instid1(VALU_DEP_2)
	v_cmp_lt_u32_e32 vcc_lo, 29, v7
	s_or_b32 s3, vcc_lo, s3
	s_waitcnt vmcnt(0) lgkmcnt(0)
	v_mul_f64 v[10:11], v[21:22], v[17:18]
	v_mul_f64 v[17:18], v[19:20], v[17:18]
	v_fma_f64 v[10:11], v[19:20], v[15:16], -v[10:11]
	s_delay_alu instid0(VALU_DEP_2) | instskip(NEXT) | instid1(VALU_DEP_2)
	v_fma_f64 v[15:16], v[21:22], v[15:16], v[17:18]
	v_add_f64 v[3:4], v[3:4], v[10:11]
	s_delay_alu instid0(VALU_DEP_2)
	v_add_f64 v[1:2], v[1:2], v[15:16]
	s_and_not1_b32 exec_lo, exec_lo, s3
	s_cbranch_execnz .LBB33_137
; %bb.138:
	s_or_b32 exec_lo, exec_lo, s3
	v_mov_b32_e32 v7, 0
	ds_load_b128 v[7:10], v7 offset:496
	s_waitcnt lgkmcnt(0)
	v_mul_f64 v[11:12], v[1:2], v[9:10]
	v_mul_f64 v[15:16], v[3:4], v[9:10]
	s_delay_alu instid0(VALU_DEP_2) | instskip(NEXT) | instid1(VALU_DEP_2)
	v_fma_f64 v[9:10], v[3:4], v[7:8], -v[11:12]
	v_fma_f64 v[11:12], v[1:2], v[7:8], v[15:16]
	scratch_store_b128 off, v[9:12], off offset:496
.LBB33_139:
	s_or_b32 exec_lo, exec_lo, s2
	s_waitcnt_vscnt null, 0x0
	s_barrier
	buffer_gl0_inv
	scratch_load_b128 v[1:4], v112, off
	s_mov_b32 s2, exec_lo
	s_waitcnt vmcnt(0)
	ds_store_b128 v5, v[1:4]
	s_waitcnt lgkmcnt(0)
	s_barrier
	buffer_gl0_inv
	v_cmpx_gt_u32_e32 32, v110
	s_cbranch_execz .LBB33_143
; %bb.140:
	v_dual_mov_b32 v1, 0 :: v_dual_add_nc_u32 v8, 0x220, v13
	v_dual_mov_b32 v2, 0 :: v_dual_add_nc_u32 v7, -1, v110
	v_or_b32_e32 v9, 8, v14
	s_mov_b32 s3, 0
	s_delay_alu instid0(VALU_DEP_2)
	v_dual_mov_b32 v4, v2 :: v_dual_mov_b32 v3, v1
	.p2align	6
.LBB33_141:                             ; =>This Inner Loop Header: Depth=1
	scratch_load_b128 v[10:13], v9, off offset:-8
	ds_load_b128 v[15:18], v8
	v_add_nc_u32_e32 v7, 1, v7
	v_add_nc_u32_e32 v8, 16, v8
	;; [unrolled: 1-line block ×3, first 2 shown]
	s_delay_alu instid0(VALU_DEP_3) | instskip(SKIP_4) | instid1(VALU_DEP_2)
	v_cmp_lt_u32_e32 vcc_lo, 30, v7
	s_or_b32 s3, vcc_lo, s3
	s_waitcnt vmcnt(0) lgkmcnt(0)
	v_mul_f64 v[19:20], v[17:18], v[12:13]
	v_mul_f64 v[12:13], v[15:16], v[12:13]
	v_fma_f64 v[15:16], v[15:16], v[10:11], -v[19:20]
	s_delay_alu instid0(VALU_DEP_2) | instskip(NEXT) | instid1(VALU_DEP_2)
	v_fma_f64 v[10:11], v[17:18], v[10:11], v[12:13]
	v_add_f64 v[3:4], v[3:4], v[15:16]
	s_delay_alu instid0(VALU_DEP_2)
	v_add_f64 v[1:2], v[1:2], v[10:11]
	s_and_not1_b32 exec_lo, exec_lo, s3
	s_cbranch_execnz .LBB33_141
; %bb.142:
	s_or_b32 exec_lo, exec_lo, s3
	v_mov_b32_e32 v7, 0
	ds_load_b128 v[7:10], v7 offset:512
	s_waitcnt lgkmcnt(0)
	v_mul_f64 v[11:12], v[1:2], v[9:10]
	v_mul_f64 v[15:16], v[3:4], v[9:10]
	s_delay_alu instid0(VALU_DEP_2) | instskip(NEXT) | instid1(VALU_DEP_2)
	v_fma_f64 v[9:10], v[3:4], v[7:8], -v[11:12]
	v_fma_f64 v[11:12], v[1:2], v[7:8], v[15:16]
	scratch_store_b128 off, v[9:12], off offset:512
.LBB33_143:
	s_or_b32 exec_lo, exec_lo, s2
	s_waitcnt_vscnt null, 0x0
	s_barrier
	buffer_gl0_inv
	scratch_load_b128 v[1:4], v111, off
	s_mov_b32 s2, exec_lo
	s_waitcnt vmcnt(0)
	ds_store_b128 v5, v[1:4]
	s_waitcnt lgkmcnt(0)
	s_barrier
	buffer_gl0_inv
	v_cmpx_ne_u32_e32 33, v110
	s_cbranch_execz .LBB33_147
; %bb.144:
	v_mov_b32_e32 v1, 0
	v_mov_b32_e32 v2, 0
	v_or_b32_e32 v7, 8, v14
	s_mov_b32 s3, 0
	s_delay_alu instid0(VALU_DEP_2)
	v_dual_mov_b32 v4, v2 :: v_dual_mov_b32 v3, v1
	.p2align	6
.LBB33_145:                             ; =>This Inner Loop Header: Depth=1
	scratch_load_b128 v[8:11], v7, off offset:-8
	ds_load_b128 v[12:15], v5
	v_add_nc_u32_e32 v6, 1, v6
	v_add_nc_u32_e32 v5, 16, v5
	;; [unrolled: 1-line block ×3, first 2 shown]
	s_delay_alu instid0(VALU_DEP_3) | instskip(SKIP_4) | instid1(VALU_DEP_2)
	v_cmp_lt_u32_e32 vcc_lo, 31, v6
	s_or_b32 s3, vcc_lo, s3
	s_waitcnt vmcnt(0) lgkmcnt(0)
	v_mul_f64 v[16:17], v[14:15], v[10:11]
	v_mul_f64 v[10:11], v[12:13], v[10:11]
	v_fma_f64 v[12:13], v[12:13], v[8:9], -v[16:17]
	s_delay_alu instid0(VALU_DEP_2) | instskip(NEXT) | instid1(VALU_DEP_2)
	v_fma_f64 v[8:9], v[14:15], v[8:9], v[10:11]
	v_add_f64 v[3:4], v[3:4], v[12:13]
	s_delay_alu instid0(VALU_DEP_2)
	v_add_f64 v[1:2], v[1:2], v[8:9]
	s_and_not1_b32 exec_lo, exec_lo, s3
	s_cbranch_execnz .LBB33_145
; %bb.146:
	s_or_b32 exec_lo, exec_lo, s3
	v_mov_b32_e32 v5, 0
	ds_load_b128 v[5:8], v5 offset:528
	s_waitcnt lgkmcnt(0)
	v_mul_f64 v[9:10], v[1:2], v[7:8]
	v_mul_f64 v[7:8], v[3:4], v[7:8]
	s_delay_alu instid0(VALU_DEP_2) | instskip(NEXT) | instid1(VALU_DEP_2)
	v_fma_f64 v[3:4], v[3:4], v[5:6], -v[9:10]
	v_fma_f64 v[5:6], v[1:2], v[5:6], v[7:8]
	scratch_store_b128 off, v[3:6], off offset:528
.LBB33_147:
	s_or_b32 exec_lo, exec_lo, s2
	s_mov_b32 s3, -1
	s_waitcnt_vscnt null, 0x0
	s_barrier
	buffer_gl0_inv
.LBB33_148:
	s_and_b32 vcc_lo, exec_lo, s3
	s_cbranch_vccz .LBB33_150
; %bb.149:
	s_lshl_b64 s[2:3], s[18:19], 2
	v_mov_b32_e32 v1, 0
	s_add_u32 s2, s6, s2
	s_addc_u32 s3, s7, s3
	global_load_b32 v1, v1, s[2:3]
	s_waitcnt vmcnt(0)
	v_cmp_ne_u32_e32 vcc_lo, 0, v1
	s_cbranch_vccz .LBB33_151
.LBB33_150:
	s_endpgm
.LBB33_151:
	v_lshl_add_u32 v144, v110, 4, 0x220
	s_mov_b32 s2, exec_lo
	v_cmpx_eq_u32_e32 33, v110
	s_cbranch_execz .LBB33_153
; %bb.152:
	scratch_load_b128 v[1:4], v112, off
	v_mov_b32_e32 v5, 0
	s_delay_alu instid0(VALU_DEP_1)
	v_mov_b32_e32 v6, v5
	v_mov_b32_e32 v7, v5
	;; [unrolled: 1-line block ×3, first 2 shown]
	scratch_store_b128 off, v[5:8], off offset:512
	s_waitcnt vmcnt(0)
	ds_store_b128 v144, v[1:4]
.LBB33_153:
	s_or_b32 exec_lo, exec_lo, s2
	s_waitcnt lgkmcnt(0)
	s_waitcnt_vscnt null, 0x0
	s_barrier
	buffer_gl0_inv
	s_clause 0x1
	scratch_load_b128 v[2:5], off, off offset:528
	scratch_load_b128 v[6:9], off, off offset:512
	v_mov_b32_e32 v1, 0
	s_mov_b32 s2, exec_lo
	ds_load_b128 v[10:13], v1 offset:1072
	s_waitcnt vmcnt(1) lgkmcnt(0)
	v_mul_f64 v[14:15], v[12:13], v[4:5]
	v_mul_f64 v[4:5], v[10:11], v[4:5]
	s_delay_alu instid0(VALU_DEP_2) | instskip(NEXT) | instid1(VALU_DEP_2)
	v_fma_f64 v[10:11], v[10:11], v[2:3], -v[14:15]
	v_fma_f64 v[2:3], v[12:13], v[2:3], v[4:5]
	s_delay_alu instid0(VALU_DEP_2) | instskip(NEXT) | instid1(VALU_DEP_2)
	v_add_f64 v[4:5], v[10:11], 0
	v_add_f64 v[10:11], v[2:3], 0
	s_waitcnt vmcnt(0)
	s_delay_alu instid0(VALU_DEP_2) | instskip(NEXT) | instid1(VALU_DEP_2)
	v_add_f64 v[2:3], v[6:7], -v[4:5]
	v_add_f64 v[4:5], v[8:9], -v[10:11]
	scratch_store_b128 off, v[2:5], off offset:512
	v_cmpx_lt_u32_e32 31, v110
	s_cbranch_execz .LBB33_155
; %bb.154:
	scratch_load_b128 v[5:8], v113, off
	v_mov_b32_e32 v2, v1
	v_mov_b32_e32 v3, v1
	;; [unrolled: 1-line block ×3, first 2 shown]
	scratch_store_b128 off, v[1:4], off offset:496
	s_waitcnt vmcnt(0)
	ds_store_b128 v144, v[5:8]
.LBB33_155:
	s_or_b32 exec_lo, exec_lo, s2
	s_waitcnt lgkmcnt(0)
	s_waitcnt_vscnt null, 0x0
	s_barrier
	buffer_gl0_inv
	s_clause 0x2
	scratch_load_b128 v[2:5], off, off offset:512
	scratch_load_b128 v[6:9], off, off offset:528
	;; [unrolled: 1-line block ×3, first 2 shown]
	ds_load_b128 v[14:17], v1 offset:1056
	ds_load_b128 v[18:21], v1 offset:1072
	s_mov_b32 s2, exec_lo
	s_waitcnt vmcnt(2) lgkmcnt(1)
	v_mul_f64 v[22:23], v[16:17], v[4:5]
	v_mul_f64 v[4:5], v[14:15], v[4:5]
	s_waitcnt vmcnt(1) lgkmcnt(0)
	v_mul_f64 v[24:25], v[18:19], v[8:9]
	v_mul_f64 v[8:9], v[20:21], v[8:9]
	s_delay_alu instid0(VALU_DEP_4) | instskip(NEXT) | instid1(VALU_DEP_4)
	v_fma_f64 v[14:15], v[14:15], v[2:3], -v[22:23]
	v_fma_f64 v[1:2], v[16:17], v[2:3], v[4:5]
	s_delay_alu instid0(VALU_DEP_4) | instskip(NEXT) | instid1(VALU_DEP_4)
	v_fma_f64 v[3:4], v[20:21], v[6:7], v[24:25]
	v_fma_f64 v[5:6], v[18:19], v[6:7], -v[8:9]
	s_delay_alu instid0(VALU_DEP_4) | instskip(NEXT) | instid1(VALU_DEP_4)
	v_add_f64 v[7:8], v[14:15], 0
	v_add_f64 v[1:2], v[1:2], 0
	s_delay_alu instid0(VALU_DEP_2) | instskip(NEXT) | instid1(VALU_DEP_2)
	v_add_f64 v[5:6], v[7:8], v[5:6]
	v_add_f64 v[3:4], v[1:2], v[3:4]
	s_waitcnt vmcnt(0)
	s_delay_alu instid0(VALU_DEP_2) | instskip(NEXT) | instid1(VALU_DEP_2)
	v_add_f64 v[1:2], v[10:11], -v[5:6]
	v_add_f64 v[3:4], v[12:13], -v[3:4]
	scratch_store_b128 off, v[1:4], off offset:496
	v_cmpx_lt_u32_e32 30, v110
	s_cbranch_execz .LBB33_157
; %bb.156:
	scratch_load_b128 v[1:4], v114, off
	v_mov_b32_e32 v5, 0
	s_delay_alu instid0(VALU_DEP_1)
	v_mov_b32_e32 v6, v5
	v_mov_b32_e32 v7, v5
	;; [unrolled: 1-line block ×3, first 2 shown]
	scratch_store_b128 off, v[5:8], off offset:480
	s_waitcnt vmcnt(0)
	ds_store_b128 v144, v[1:4]
.LBB33_157:
	s_or_b32 exec_lo, exec_lo, s2
	s_waitcnt lgkmcnt(0)
	s_waitcnt_vscnt null, 0x0
	s_barrier
	buffer_gl0_inv
	s_clause 0x3
	scratch_load_b128 v[2:5], off, off offset:496
	scratch_load_b128 v[6:9], off, off offset:512
	;; [unrolled: 1-line block ×4, first 2 shown]
	v_mov_b32_e32 v1, 0
	ds_load_b128 v[18:21], v1 offset:1040
	ds_load_b128 v[22:25], v1 offset:1056
	s_mov_b32 s2, exec_lo
	s_waitcnt vmcnt(3) lgkmcnt(1)
	v_mul_f64 v[26:27], v[20:21], v[4:5]
	v_mul_f64 v[4:5], v[18:19], v[4:5]
	s_waitcnt vmcnt(2) lgkmcnt(0)
	v_mul_f64 v[28:29], v[22:23], v[8:9]
	v_mul_f64 v[8:9], v[24:25], v[8:9]
	s_delay_alu instid0(VALU_DEP_4) | instskip(NEXT) | instid1(VALU_DEP_4)
	v_fma_f64 v[18:19], v[18:19], v[2:3], -v[26:27]
	v_fma_f64 v[20:21], v[20:21], v[2:3], v[4:5]
	ds_load_b128 v[2:5], v1 offset:1072
	v_fma_f64 v[24:25], v[24:25], v[6:7], v[28:29]
	v_fma_f64 v[6:7], v[22:23], v[6:7], -v[8:9]
	s_waitcnt vmcnt(1) lgkmcnt(0)
	v_mul_f64 v[26:27], v[2:3], v[12:13]
	v_mul_f64 v[12:13], v[4:5], v[12:13]
	v_add_f64 v[8:9], v[18:19], 0
	v_add_f64 v[18:19], v[20:21], 0
	s_delay_alu instid0(VALU_DEP_4) | instskip(NEXT) | instid1(VALU_DEP_4)
	v_fma_f64 v[4:5], v[4:5], v[10:11], v[26:27]
	v_fma_f64 v[2:3], v[2:3], v[10:11], -v[12:13]
	s_delay_alu instid0(VALU_DEP_4) | instskip(NEXT) | instid1(VALU_DEP_4)
	v_add_f64 v[6:7], v[8:9], v[6:7]
	v_add_f64 v[8:9], v[18:19], v[24:25]
	s_delay_alu instid0(VALU_DEP_2) | instskip(NEXT) | instid1(VALU_DEP_2)
	v_add_f64 v[2:3], v[6:7], v[2:3]
	v_add_f64 v[4:5], v[8:9], v[4:5]
	s_waitcnt vmcnt(0)
	s_delay_alu instid0(VALU_DEP_2) | instskip(NEXT) | instid1(VALU_DEP_2)
	v_add_f64 v[2:3], v[14:15], -v[2:3]
	v_add_f64 v[4:5], v[16:17], -v[4:5]
	scratch_store_b128 off, v[2:5], off offset:480
	v_cmpx_lt_u32_e32 29, v110
	s_cbranch_execz .LBB33_159
; %bb.158:
	scratch_load_b128 v[5:8], v115, off
	v_mov_b32_e32 v2, v1
	v_mov_b32_e32 v3, v1
	v_mov_b32_e32 v4, v1
	scratch_store_b128 off, v[1:4], off offset:464
	s_waitcnt vmcnt(0)
	ds_store_b128 v144, v[5:8]
.LBB33_159:
	s_or_b32 exec_lo, exec_lo, s2
	s_waitcnt lgkmcnt(0)
	s_waitcnt_vscnt null, 0x0
	s_barrier
	buffer_gl0_inv
	s_clause 0x4
	scratch_load_b128 v[2:5], off, off offset:480
	scratch_load_b128 v[6:9], off, off offset:496
	;; [unrolled: 1-line block ×5, first 2 shown]
	ds_load_b128 v[22:25], v1 offset:1024
	ds_load_b128 v[26:29], v1 offset:1040
	s_mov_b32 s2, exec_lo
	s_waitcnt vmcnt(4) lgkmcnt(1)
	v_mul_f64 v[30:31], v[24:25], v[4:5]
	v_mul_f64 v[4:5], v[22:23], v[4:5]
	s_waitcnt vmcnt(3) lgkmcnt(0)
	v_mul_f64 v[32:33], v[26:27], v[8:9]
	v_mul_f64 v[8:9], v[28:29], v[8:9]
	s_delay_alu instid0(VALU_DEP_4) | instskip(NEXT) | instid1(VALU_DEP_4)
	v_fma_f64 v[30:31], v[22:23], v[2:3], -v[30:31]
	v_fma_f64 v[34:35], v[24:25], v[2:3], v[4:5]
	ds_load_b128 v[2:5], v1 offset:1056
	ds_load_b128 v[22:25], v1 offset:1072
	v_fma_f64 v[28:29], v[28:29], v[6:7], v[32:33]
	v_fma_f64 v[6:7], v[26:27], v[6:7], -v[8:9]
	s_waitcnt vmcnt(2) lgkmcnt(1)
	v_mul_f64 v[36:37], v[2:3], v[12:13]
	v_mul_f64 v[12:13], v[4:5], v[12:13]
	v_add_f64 v[8:9], v[30:31], 0
	v_add_f64 v[26:27], v[34:35], 0
	s_waitcnt vmcnt(1) lgkmcnt(0)
	v_mul_f64 v[30:31], v[22:23], v[16:17]
	v_mul_f64 v[16:17], v[24:25], v[16:17]
	v_fma_f64 v[4:5], v[4:5], v[10:11], v[36:37]
	v_fma_f64 v[1:2], v[2:3], v[10:11], -v[12:13]
	v_add_f64 v[6:7], v[8:9], v[6:7]
	v_add_f64 v[8:9], v[26:27], v[28:29]
	v_fma_f64 v[10:11], v[24:25], v[14:15], v[30:31]
	v_fma_f64 v[12:13], v[22:23], v[14:15], -v[16:17]
	s_delay_alu instid0(VALU_DEP_4) | instskip(NEXT) | instid1(VALU_DEP_4)
	v_add_f64 v[1:2], v[6:7], v[1:2]
	v_add_f64 v[3:4], v[8:9], v[4:5]
	s_delay_alu instid0(VALU_DEP_2) | instskip(NEXT) | instid1(VALU_DEP_2)
	v_add_f64 v[1:2], v[1:2], v[12:13]
	v_add_f64 v[3:4], v[3:4], v[10:11]
	s_waitcnt vmcnt(0)
	s_delay_alu instid0(VALU_DEP_2) | instskip(NEXT) | instid1(VALU_DEP_2)
	v_add_f64 v[1:2], v[18:19], -v[1:2]
	v_add_f64 v[3:4], v[20:21], -v[3:4]
	scratch_store_b128 off, v[1:4], off offset:464
	v_cmpx_lt_u32_e32 28, v110
	s_cbranch_execz .LBB33_161
; %bb.160:
	scratch_load_b128 v[1:4], v116, off
	v_mov_b32_e32 v5, 0
	s_delay_alu instid0(VALU_DEP_1)
	v_mov_b32_e32 v6, v5
	v_mov_b32_e32 v7, v5
	;; [unrolled: 1-line block ×3, first 2 shown]
	scratch_store_b128 off, v[5:8], off offset:448
	s_waitcnt vmcnt(0)
	ds_store_b128 v144, v[1:4]
.LBB33_161:
	s_or_b32 exec_lo, exec_lo, s2
	s_waitcnt lgkmcnt(0)
	s_waitcnt_vscnt null, 0x0
	s_barrier
	buffer_gl0_inv
	s_clause 0x5
	scratch_load_b128 v[2:5], off, off offset:464
	scratch_load_b128 v[6:9], off, off offset:480
	scratch_load_b128 v[10:13], off, off offset:496
	scratch_load_b128 v[14:17], off, off offset:512
	scratch_load_b128 v[18:21], off, off offset:528
	scratch_load_b128 v[22:25], off, off offset:448
	v_mov_b32_e32 v1, 0
	ds_load_b128 v[26:29], v1 offset:1008
	ds_load_b128 v[30:33], v1 offset:1024
	s_mov_b32 s2, exec_lo
	s_waitcnt vmcnt(5) lgkmcnt(1)
	v_mul_f64 v[34:35], v[28:29], v[4:5]
	v_mul_f64 v[4:5], v[26:27], v[4:5]
	s_waitcnt vmcnt(4) lgkmcnt(0)
	v_mul_f64 v[36:37], v[30:31], v[8:9]
	v_mul_f64 v[8:9], v[32:33], v[8:9]
	s_delay_alu instid0(VALU_DEP_4) | instskip(NEXT) | instid1(VALU_DEP_4)
	v_fma_f64 v[34:35], v[26:27], v[2:3], -v[34:35]
	v_fma_f64 v[38:39], v[28:29], v[2:3], v[4:5]
	ds_load_b128 v[2:5], v1 offset:1040
	ds_load_b128 v[26:29], v1 offset:1056
	v_fma_f64 v[32:33], v[32:33], v[6:7], v[36:37]
	v_fma_f64 v[6:7], v[30:31], v[6:7], -v[8:9]
	s_waitcnt vmcnt(3) lgkmcnt(1)
	v_mul_f64 v[40:41], v[2:3], v[12:13]
	v_mul_f64 v[12:13], v[4:5], v[12:13]
	v_add_f64 v[8:9], v[34:35], 0
	v_add_f64 v[30:31], v[38:39], 0
	s_waitcnt vmcnt(2) lgkmcnt(0)
	v_mul_f64 v[34:35], v[26:27], v[16:17]
	v_mul_f64 v[16:17], v[28:29], v[16:17]
	v_fma_f64 v[36:37], v[4:5], v[10:11], v[40:41]
	v_fma_f64 v[10:11], v[2:3], v[10:11], -v[12:13]
	ds_load_b128 v[2:5], v1 offset:1072
	v_add_f64 v[6:7], v[8:9], v[6:7]
	v_add_f64 v[8:9], v[30:31], v[32:33]
	v_fma_f64 v[28:29], v[28:29], v[14:15], v[34:35]
	v_fma_f64 v[14:15], v[26:27], v[14:15], -v[16:17]
	s_waitcnt vmcnt(1) lgkmcnt(0)
	v_mul_f64 v[12:13], v[2:3], v[20:21]
	v_mul_f64 v[20:21], v[4:5], v[20:21]
	v_add_f64 v[6:7], v[6:7], v[10:11]
	v_add_f64 v[8:9], v[8:9], v[36:37]
	s_delay_alu instid0(VALU_DEP_4) | instskip(NEXT) | instid1(VALU_DEP_4)
	v_fma_f64 v[4:5], v[4:5], v[18:19], v[12:13]
	v_fma_f64 v[2:3], v[2:3], v[18:19], -v[20:21]
	s_delay_alu instid0(VALU_DEP_4) | instskip(NEXT) | instid1(VALU_DEP_4)
	v_add_f64 v[6:7], v[6:7], v[14:15]
	v_add_f64 v[8:9], v[8:9], v[28:29]
	s_delay_alu instid0(VALU_DEP_2) | instskip(NEXT) | instid1(VALU_DEP_2)
	v_add_f64 v[2:3], v[6:7], v[2:3]
	v_add_f64 v[4:5], v[8:9], v[4:5]
	s_waitcnt vmcnt(0)
	s_delay_alu instid0(VALU_DEP_2) | instskip(NEXT) | instid1(VALU_DEP_2)
	v_add_f64 v[2:3], v[22:23], -v[2:3]
	v_add_f64 v[4:5], v[24:25], -v[4:5]
	scratch_store_b128 off, v[2:5], off offset:448
	v_cmpx_lt_u32_e32 27, v110
	s_cbranch_execz .LBB33_163
; %bb.162:
	scratch_load_b128 v[5:8], v117, off
	v_mov_b32_e32 v2, v1
	v_mov_b32_e32 v3, v1
	v_mov_b32_e32 v4, v1
	scratch_store_b128 off, v[1:4], off offset:432
	s_waitcnt vmcnt(0)
	ds_store_b128 v144, v[5:8]
.LBB33_163:
	s_or_b32 exec_lo, exec_lo, s2
	s_waitcnt lgkmcnt(0)
	s_waitcnt_vscnt null, 0x0
	s_barrier
	buffer_gl0_inv
	s_clause 0x5
	scratch_load_b128 v[2:5], off, off offset:448
	scratch_load_b128 v[6:9], off, off offset:464
	;; [unrolled: 1-line block ×6, first 2 shown]
	ds_load_b128 v[26:29], v1 offset:992
	ds_load_b128 v[34:37], v1 offset:1008
	scratch_load_b128 v[30:33], off, off offset:432
	s_mov_b32 s2, exec_lo
	s_waitcnt vmcnt(6) lgkmcnt(1)
	v_mul_f64 v[38:39], v[28:29], v[4:5]
	v_mul_f64 v[4:5], v[26:27], v[4:5]
	s_waitcnt vmcnt(5) lgkmcnt(0)
	v_mul_f64 v[40:41], v[34:35], v[8:9]
	v_mul_f64 v[8:9], v[36:37], v[8:9]
	s_delay_alu instid0(VALU_DEP_4) | instskip(NEXT) | instid1(VALU_DEP_4)
	v_fma_f64 v[38:39], v[26:27], v[2:3], -v[38:39]
	v_fma_f64 v[145:146], v[28:29], v[2:3], v[4:5]
	ds_load_b128 v[2:5], v1 offset:1024
	ds_load_b128 v[26:29], v1 offset:1040
	v_fma_f64 v[36:37], v[36:37], v[6:7], v[40:41]
	v_fma_f64 v[6:7], v[34:35], v[6:7], -v[8:9]
	s_waitcnt vmcnt(4) lgkmcnt(1)
	v_mul_f64 v[147:148], v[2:3], v[12:13]
	v_mul_f64 v[12:13], v[4:5], v[12:13]
	v_add_f64 v[8:9], v[38:39], 0
	v_add_f64 v[34:35], v[145:146], 0
	s_waitcnt vmcnt(3) lgkmcnt(0)
	v_mul_f64 v[38:39], v[26:27], v[16:17]
	v_mul_f64 v[16:17], v[28:29], v[16:17]
	v_fma_f64 v[40:41], v[4:5], v[10:11], v[147:148]
	v_fma_f64 v[10:11], v[2:3], v[10:11], -v[12:13]
	v_add_f64 v[12:13], v[8:9], v[6:7]
	v_add_f64 v[34:35], v[34:35], v[36:37]
	ds_load_b128 v[2:5], v1 offset:1056
	ds_load_b128 v[6:9], v1 offset:1072
	v_fma_f64 v[28:29], v[28:29], v[14:15], v[38:39]
	v_fma_f64 v[14:15], v[26:27], v[14:15], -v[16:17]
	s_waitcnt vmcnt(2) lgkmcnt(1)
	v_mul_f64 v[36:37], v[2:3], v[20:21]
	v_mul_f64 v[20:21], v[4:5], v[20:21]
	s_waitcnt vmcnt(1) lgkmcnt(0)
	v_mul_f64 v[16:17], v[6:7], v[24:25]
	v_mul_f64 v[24:25], v[8:9], v[24:25]
	v_add_f64 v[10:11], v[12:13], v[10:11]
	v_add_f64 v[12:13], v[34:35], v[40:41]
	v_fma_f64 v[4:5], v[4:5], v[18:19], v[36:37]
	v_fma_f64 v[1:2], v[2:3], v[18:19], -v[20:21]
	v_fma_f64 v[8:9], v[8:9], v[22:23], v[16:17]
	v_fma_f64 v[6:7], v[6:7], v[22:23], -v[24:25]
	v_add_f64 v[10:11], v[10:11], v[14:15]
	v_add_f64 v[12:13], v[12:13], v[28:29]
	s_delay_alu instid0(VALU_DEP_2) | instskip(NEXT) | instid1(VALU_DEP_2)
	v_add_f64 v[1:2], v[10:11], v[1:2]
	v_add_f64 v[3:4], v[12:13], v[4:5]
	s_delay_alu instid0(VALU_DEP_2) | instskip(NEXT) | instid1(VALU_DEP_2)
	v_add_f64 v[1:2], v[1:2], v[6:7]
	v_add_f64 v[3:4], v[3:4], v[8:9]
	s_waitcnt vmcnt(0)
	s_delay_alu instid0(VALU_DEP_2) | instskip(NEXT) | instid1(VALU_DEP_2)
	v_add_f64 v[1:2], v[30:31], -v[1:2]
	v_add_f64 v[3:4], v[32:33], -v[3:4]
	scratch_store_b128 off, v[1:4], off offset:432
	v_cmpx_lt_u32_e32 26, v110
	s_cbranch_execz .LBB33_165
; %bb.164:
	scratch_load_b128 v[1:4], v118, off
	v_mov_b32_e32 v5, 0
	s_delay_alu instid0(VALU_DEP_1)
	v_mov_b32_e32 v6, v5
	v_mov_b32_e32 v7, v5
	;; [unrolled: 1-line block ×3, first 2 shown]
	scratch_store_b128 off, v[5:8], off offset:416
	s_waitcnt vmcnt(0)
	ds_store_b128 v144, v[1:4]
.LBB33_165:
	s_or_b32 exec_lo, exec_lo, s2
	s_waitcnt lgkmcnt(0)
	s_waitcnt_vscnt null, 0x0
	s_barrier
	buffer_gl0_inv
	s_clause 0x6
	scratch_load_b128 v[2:5], off, off offset:432
	scratch_load_b128 v[6:9], off, off offset:448
	;; [unrolled: 1-line block ×7, first 2 shown]
	v_mov_b32_e32 v1, 0
	scratch_load_b128 v[34:37], off, off offset:416
	s_mov_b32 s2, exec_lo
	ds_load_b128 v[30:33], v1 offset:976
	ds_load_b128 v[38:41], v1 offset:992
	s_waitcnt vmcnt(7) lgkmcnt(1)
	v_mul_f64 v[145:146], v[32:33], v[4:5]
	v_mul_f64 v[4:5], v[30:31], v[4:5]
	s_waitcnt vmcnt(6) lgkmcnt(0)
	v_mul_f64 v[147:148], v[38:39], v[8:9]
	v_mul_f64 v[8:9], v[40:41], v[8:9]
	s_delay_alu instid0(VALU_DEP_4) | instskip(NEXT) | instid1(VALU_DEP_4)
	v_fma_f64 v[145:146], v[30:31], v[2:3], -v[145:146]
	v_fma_f64 v[149:150], v[32:33], v[2:3], v[4:5]
	ds_load_b128 v[2:5], v1 offset:1008
	ds_load_b128 v[30:33], v1 offset:1024
	v_fma_f64 v[40:41], v[40:41], v[6:7], v[147:148]
	v_fma_f64 v[6:7], v[38:39], v[6:7], -v[8:9]
	s_waitcnt vmcnt(5) lgkmcnt(1)
	v_mul_f64 v[151:152], v[2:3], v[12:13]
	v_mul_f64 v[12:13], v[4:5], v[12:13]
	v_add_f64 v[8:9], v[145:146], 0
	v_add_f64 v[38:39], v[149:150], 0
	s_waitcnt vmcnt(4) lgkmcnt(0)
	v_mul_f64 v[145:146], v[30:31], v[16:17]
	v_mul_f64 v[16:17], v[32:33], v[16:17]
	v_fma_f64 v[147:148], v[4:5], v[10:11], v[151:152]
	v_fma_f64 v[10:11], v[2:3], v[10:11], -v[12:13]
	v_add_f64 v[12:13], v[8:9], v[6:7]
	v_add_f64 v[38:39], v[38:39], v[40:41]
	ds_load_b128 v[2:5], v1 offset:1040
	ds_load_b128 v[6:9], v1 offset:1056
	v_fma_f64 v[32:33], v[32:33], v[14:15], v[145:146]
	v_fma_f64 v[14:15], v[30:31], v[14:15], -v[16:17]
	s_waitcnt vmcnt(3) lgkmcnt(1)
	v_mul_f64 v[40:41], v[2:3], v[20:21]
	v_mul_f64 v[20:21], v[4:5], v[20:21]
	s_waitcnt vmcnt(2) lgkmcnt(0)
	v_mul_f64 v[16:17], v[6:7], v[24:25]
	v_mul_f64 v[24:25], v[8:9], v[24:25]
	v_add_f64 v[10:11], v[12:13], v[10:11]
	v_add_f64 v[12:13], v[38:39], v[147:148]
	v_fma_f64 v[30:31], v[4:5], v[18:19], v[40:41]
	v_fma_f64 v[18:19], v[2:3], v[18:19], -v[20:21]
	ds_load_b128 v[2:5], v1 offset:1072
	v_fma_f64 v[8:9], v[8:9], v[22:23], v[16:17]
	v_fma_f64 v[6:7], v[6:7], v[22:23], -v[24:25]
	v_add_f64 v[10:11], v[10:11], v[14:15]
	v_add_f64 v[12:13], v[12:13], v[32:33]
	s_waitcnt vmcnt(1) lgkmcnt(0)
	v_mul_f64 v[14:15], v[2:3], v[28:29]
	v_mul_f64 v[20:21], v[4:5], v[28:29]
	s_delay_alu instid0(VALU_DEP_4) | instskip(NEXT) | instid1(VALU_DEP_4)
	v_add_f64 v[10:11], v[10:11], v[18:19]
	v_add_f64 v[12:13], v[12:13], v[30:31]
	s_delay_alu instid0(VALU_DEP_4) | instskip(NEXT) | instid1(VALU_DEP_4)
	v_fma_f64 v[4:5], v[4:5], v[26:27], v[14:15]
	v_fma_f64 v[2:3], v[2:3], v[26:27], -v[20:21]
	s_delay_alu instid0(VALU_DEP_4) | instskip(NEXT) | instid1(VALU_DEP_4)
	v_add_f64 v[6:7], v[10:11], v[6:7]
	v_add_f64 v[8:9], v[12:13], v[8:9]
	s_delay_alu instid0(VALU_DEP_2) | instskip(NEXT) | instid1(VALU_DEP_2)
	v_add_f64 v[2:3], v[6:7], v[2:3]
	v_add_f64 v[4:5], v[8:9], v[4:5]
	s_waitcnt vmcnt(0)
	s_delay_alu instid0(VALU_DEP_2) | instskip(NEXT) | instid1(VALU_DEP_2)
	v_add_f64 v[2:3], v[34:35], -v[2:3]
	v_add_f64 v[4:5], v[36:37], -v[4:5]
	scratch_store_b128 off, v[2:5], off offset:416
	v_cmpx_lt_u32_e32 25, v110
	s_cbranch_execz .LBB33_167
; %bb.166:
	scratch_load_b128 v[5:8], v123, off
	v_mov_b32_e32 v2, v1
	v_mov_b32_e32 v3, v1
	;; [unrolled: 1-line block ×3, first 2 shown]
	scratch_store_b128 off, v[1:4], off offset:400
	s_waitcnt vmcnt(0)
	ds_store_b128 v144, v[5:8]
.LBB33_167:
	s_or_b32 exec_lo, exec_lo, s2
	s_waitcnt lgkmcnt(0)
	s_waitcnt_vscnt null, 0x0
	s_barrier
	buffer_gl0_inv
	s_clause 0x7
	scratch_load_b128 v[2:5], off, off offset:416
	scratch_load_b128 v[6:9], off, off offset:432
	;; [unrolled: 1-line block ×8, first 2 shown]
	ds_load_b128 v[34:37], v1 offset:960
	ds_load_b128 v[38:41], v1 offset:976
	scratch_load_b128 v[145:148], off, off offset:400
	s_mov_b32 s2, exec_lo
	s_waitcnt vmcnt(8) lgkmcnt(1)
	v_mul_f64 v[149:150], v[36:37], v[4:5]
	v_mul_f64 v[4:5], v[34:35], v[4:5]
	s_waitcnt vmcnt(7) lgkmcnt(0)
	v_mul_f64 v[151:152], v[38:39], v[8:9]
	v_mul_f64 v[8:9], v[40:41], v[8:9]
	s_delay_alu instid0(VALU_DEP_4) | instskip(NEXT) | instid1(VALU_DEP_4)
	v_fma_f64 v[149:150], v[34:35], v[2:3], -v[149:150]
	v_fma_f64 v[153:154], v[36:37], v[2:3], v[4:5]
	ds_load_b128 v[2:5], v1 offset:992
	ds_load_b128 v[34:37], v1 offset:1008
	v_fma_f64 v[40:41], v[40:41], v[6:7], v[151:152]
	v_fma_f64 v[6:7], v[38:39], v[6:7], -v[8:9]
	s_waitcnt vmcnt(6) lgkmcnt(1)
	v_mul_f64 v[155:156], v[2:3], v[12:13]
	v_mul_f64 v[12:13], v[4:5], v[12:13]
	v_add_f64 v[8:9], v[149:150], 0
	v_add_f64 v[38:39], v[153:154], 0
	s_waitcnt vmcnt(5) lgkmcnt(0)
	v_mul_f64 v[149:150], v[34:35], v[16:17]
	v_mul_f64 v[16:17], v[36:37], v[16:17]
	v_fma_f64 v[151:152], v[4:5], v[10:11], v[155:156]
	v_fma_f64 v[10:11], v[2:3], v[10:11], -v[12:13]
	v_add_f64 v[12:13], v[8:9], v[6:7]
	v_add_f64 v[38:39], v[38:39], v[40:41]
	ds_load_b128 v[2:5], v1 offset:1024
	ds_load_b128 v[6:9], v1 offset:1040
	v_fma_f64 v[36:37], v[36:37], v[14:15], v[149:150]
	v_fma_f64 v[14:15], v[34:35], v[14:15], -v[16:17]
	s_waitcnt vmcnt(4) lgkmcnt(1)
	v_mul_f64 v[40:41], v[2:3], v[20:21]
	v_mul_f64 v[20:21], v[4:5], v[20:21]
	s_waitcnt vmcnt(3) lgkmcnt(0)
	v_mul_f64 v[16:17], v[6:7], v[24:25]
	v_mul_f64 v[24:25], v[8:9], v[24:25]
	v_add_f64 v[10:11], v[12:13], v[10:11]
	v_add_f64 v[12:13], v[38:39], v[151:152]
	v_fma_f64 v[34:35], v[4:5], v[18:19], v[40:41]
	v_fma_f64 v[18:19], v[2:3], v[18:19], -v[20:21]
	v_fma_f64 v[8:9], v[8:9], v[22:23], v[16:17]
	v_fma_f64 v[6:7], v[6:7], v[22:23], -v[24:25]
	v_add_f64 v[14:15], v[10:11], v[14:15]
	v_add_f64 v[20:21], v[12:13], v[36:37]
	ds_load_b128 v[2:5], v1 offset:1056
	ds_load_b128 v[10:13], v1 offset:1072
	s_waitcnt vmcnt(2) lgkmcnt(1)
	v_mul_f64 v[36:37], v[2:3], v[28:29]
	v_mul_f64 v[28:29], v[4:5], v[28:29]
	v_add_f64 v[14:15], v[14:15], v[18:19]
	v_add_f64 v[16:17], v[20:21], v[34:35]
	s_waitcnt vmcnt(1) lgkmcnt(0)
	v_mul_f64 v[18:19], v[10:11], v[32:33]
	v_mul_f64 v[20:21], v[12:13], v[32:33]
	v_fma_f64 v[4:5], v[4:5], v[26:27], v[36:37]
	v_fma_f64 v[1:2], v[2:3], v[26:27], -v[28:29]
	v_add_f64 v[6:7], v[14:15], v[6:7]
	v_add_f64 v[8:9], v[16:17], v[8:9]
	v_fma_f64 v[12:13], v[12:13], v[30:31], v[18:19]
	v_fma_f64 v[10:11], v[10:11], v[30:31], -v[20:21]
	s_delay_alu instid0(VALU_DEP_4) | instskip(NEXT) | instid1(VALU_DEP_4)
	v_add_f64 v[1:2], v[6:7], v[1:2]
	v_add_f64 v[3:4], v[8:9], v[4:5]
	s_delay_alu instid0(VALU_DEP_2) | instskip(NEXT) | instid1(VALU_DEP_2)
	v_add_f64 v[1:2], v[1:2], v[10:11]
	v_add_f64 v[3:4], v[3:4], v[12:13]
	s_waitcnt vmcnt(0)
	s_delay_alu instid0(VALU_DEP_2) | instskip(NEXT) | instid1(VALU_DEP_2)
	v_add_f64 v[1:2], v[145:146], -v[1:2]
	v_add_f64 v[3:4], v[147:148], -v[3:4]
	scratch_store_b128 off, v[1:4], off offset:400
	v_cmpx_lt_u32_e32 24, v110
	s_cbranch_execz .LBB33_169
; %bb.168:
	scratch_load_b128 v[1:4], v124, off
	v_mov_b32_e32 v5, 0
	s_delay_alu instid0(VALU_DEP_1)
	v_mov_b32_e32 v6, v5
	v_mov_b32_e32 v7, v5
	;; [unrolled: 1-line block ×3, first 2 shown]
	scratch_store_b128 off, v[5:8], off offset:384
	s_waitcnt vmcnt(0)
	ds_store_b128 v144, v[1:4]
.LBB33_169:
	s_or_b32 exec_lo, exec_lo, s2
	s_waitcnt lgkmcnt(0)
	s_waitcnt_vscnt null, 0x0
	s_barrier
	buffer_gl0_inv
	s_clause 0x7
	scratch_load_b128 v[2:5], off, off offset:400
	scratch_load_b128 v[6:9], off, off offset:416
	;; [unrolled: 1-line block ×8, first 2 shown]
	v_mov_b32_e32 v1, 0
	s_mov_b32 s2, exec_lo
	ds_load_b128 v[34:37], v1 offset:944
	s_clause 0x1
	scratch_load_b128 v[38:41], off, off offset:528
	scratch_load_b128 v[145:148], off, off offset:384
	ds_load_b128 v[149:152], v1 offset:960
	s_waitcnt vmcnt(9) lgkmcnt(1)
	v_mul_f64 v[153:154], v[36:37], v[4:5]
	v_mul_f64 v[4:5], v[34:35], v[4:5]
	s_waitcnt vmcnt(8) lgkmcnt(0)
	v_mul_f64 v[155:156], v[149:150], v[8:9]
	v_mul_f64 v[8:9], v[151:152], v[8:9]
	s_delay_alu instid0(VALU_DEP_4) | instskip(NEXT) | instid1(VALU_DEP_4)
	v_fma_f64 v[153:154], v[34:35], v[2:3], -v[153:154]
	v_fma_f64 v[157:158], v[36:37], v[2:3], v[4:5]
	ds_load_b128 v[2:5], v1 offset:976
	ds_load_b128 v[34:37], v1 offset:992
	v_fma_f64 v[151:152], v[151:152], v[6:7], v[155:156]
	v_fma_f64 v[6:7], v[149:150], v[6:7], -v[8:9]
	s_waitcnt vmcnt(7) lgkmcnt(1)
	v_mul_f64 v[159:160], v[2:3], v[12:13]
	v_mul_f64 v[12:13], v[4:5], v[12:13]
	v_add_f64 v[8:9], v[153:154], 0
	v_add_f64 v[149:150], v[157:158], 0
	s_waitcnt vmcnt(6) lgkmcnt(0)
	v_mul_f64 v[153:154], v[34:35], v[16:17]
	v_mul_f64 v[16:17], v[36:37], v[16:17]
	v_fma_f64 v[155:156], v[4:5], v[10:11], v[159:160]
	v_fma_f64 v[10:11], v[2:3], v[10:11], -v[12:13]
	v_add_f64 v[12:13], v[8:9], v[6:7]
	v_add_f64 v[149:150], v[149:150], v[151:152]
	ds_load_b128 v[2:5], v1 offset:1008
	ds_load_b128 v[6:9], v1 offset:1024
	v_fma_f64 v[36:37], v[36:37], v[14:15], v[153:154]
	v_fma_f64 v[14:15], v[34:35], v[14:15], -v[16:17]
	s_waitcnt vmcnt(5) lgkmcnt(1)
	v_mul_f64 v[151:152], v[2:3], v[20:21]
	v_mul_f64 v[20:21], v[4:5], v[20:21]
	s_waitcnt vmcnt(4) lgkmcnt(0)
	v_mul_f64 v[16:17], v[6:7], v[24:25]
	v_mul_f64 v[24:25], v[8:9], v[24:25]
	v_add_f64 v[10:11], v[12:13], v[10:11]
	v_add_f64 v[12:13], v[149:150], v[155:156]
	v_fma_f64 v[34:35], v[4:5], v[18:19], v[151:152]
	v_fma_f64 v[18:19], v[2:3], v[18:19], -v[20:21]
	v_fma_f64 v[8:9], v[8:9], v[22:23], v[16:17]
	v_fma_f64 v[6:7], v[6:7], v[22:23], -v[24:25]
	v_add_f64 v[14:15], v[10:11], v[14:15]
	v_add_f64 v[20:21], v[12:13], v[36:37]
	ds_load_b128 v[2:5], v1 offset:1040
	ds_load_b128 v[10:13], v1 offset:1056
	s_waitcnt vmcnt(3) lgkmcnt(1)
	v_mul_f64 v[36:37], v[2:3], v[28:29]
	v_mul_f64 v[28:29], v[4:5], v[28:29]
	v_add_f64 v[14:15], v[14:15], v[18:19]
	v_add_f64 v[16:17], v[20:21], v[34:35]
	s_waitcnt vmcnt(2) lgkmcnt(0)
	v_mul_f64 v[18:19], v[10:11], v[32:33]
	v_mul_f64 v[20:21], v[12:13], v[32:33]
	v_fma_f64 v[22:23], v[4:5], v[26:27], v[36:37]
	v_fma_f64 v[24:25], v[2:3], v[26:27], -v[28:29]
	ds_load_b128 v[2:5], v1 offset:1072
	v_add_f64 v[6:7], v[14:15], v[6:7]
	v_add_f64 v[8:9], v[16:17], v[8:9]
	v_fma_f64 v[12:13], v[12:13], v[30:31], v[18:19]
	v_fma_f64 v[10:11], v[10:11], v[30:31], -v[20:21]
	s_waitcnt vmcnt(1) lgkmcnt(0)
	v_mul_f64 v[14:15], v[2:3], v[40:41]
	v_mul_f64 v[16:17], v[4:5], v[40:41]
	v_add_f64 v[6:7], v[6:7], v[24:25]
	v_add_f64 v[8:9], v[8:9], v[22:23]
	s_delay_alu instid0(VALU_DEP_4) | instskip(NEXT) | instid1(VALU_DEP_4)
	v_fma_f64 v[4:5], v[4:5], v[38:39], v[14:15]
	v_fma_f64 v[2:3], v[2:3], v[38:39], -v[16:17]
	s_delay_alu instid0(VALU_DEP_4) | instskip(NEXT) | instid1(VALU_DEP_4)
	v_add_f64 v[6:7], v[6:7], v[10:11]
	v_add_f64 v[8:9], v[8:9], v[12:13]
	s_delay_alu instid0(VALU_DEP_2) | instskip(NEXT) | instid1(VALU_DEP_2)
	v_add_f64 v[2:3], v[6:7], v[2:3]
	v_add_f64 v[4:5], v[8:9], v[4:5]
	s_waitcnt vmcnt(0)
	s_delay_alu instid0(VALU_DEP_2) | instskip(NEXT) | instid1(VALU_DEP_2)
	v_add_f64 v[2:3], v[145:146], -v[2:3]
	v_add_f64 v[4:5], v[147:148], -v[4:5]
	scratch_store_b128 off, v[2:5], off offset:384
	v_cmpx_lt_u32_e32 23, v110
	s_cbranch_execz .LBB33_171
; %bb.170:
	scratch_load_b128 v[5:8], v126, off
	v_mov_b32_e32 v2, v1
	v_mov_b32_e32 v3, v1
	;; [unrolled: 1-line block ×3, first 2 shown]
	scratch_store_b128 off, v[1:4], off offset:368
	s_waitcnt vmcnt(0)
	ds_store_b128 v144, v[5:8]
.LBB33_171:
	s_or_b32 exec_lo, exec_lo, s2
	s_waitcnt lgkmcnt(0)
	s_waitcnt_vscnt null, 0x0
	s_barrier
	buffer_gl0_inv
	s_clause 0x8
	scratch_load_b128 v[2:5], off, off offset:384
	scratch_load_b128 v[6:9], off, off offset:400
	;; [unrolled: 1-line block ×9, first 2 shown]
	ds_load_b128 v[38:41], v1 offset:928
	ds_load_b128 v[145:148], v1 offset:944
	s_clause 0x1
	scratch_load_b128 v[149:152], off, off offset:368
	scratch_load_b128 v[153:156], off, off offset:528
	s_mov_b32 s2, exec_lo
	s_waitcnt vmcnt(10) lgkmcnt(1)
	v_mul_f64 v[157:158], v[40:41], v[4:5]
	v_mul_f64 v[4:5], v[38:39], v[4:5]
	s_waitcnt vmcnt(9) lgkmcnt(0)
	v_mul_f64 v[159:160], v[145:146], v[8:9]
	v_mul_f64 v[8:9], v[147:148], v[8:9]
	s_delay_alu instid0(VALU_DEP_4) | instskip(NEXT) | instid1(VALU_DEP_4)
	v_fma_f64 v[157:158], v[38:39], v[2:3], -v[157:158]
	v_fma_f64 v[161:162], v[40:41], v[2:3], v[4:5]
	ds_load_b128 v[2:5], v1 offset:960
	ds_load_b128 v[38:41], v1 offset:976
	v_fma_f64 v[147:148], v[147:148], v[6:7], v[159:160]
	v_fma_f64 v[6:7], v[145:146], v[6:7], -v[8:9]
	s_waitcnt vmcnt(8) lgkmcnt(1)
	v_mul_f64 v[163:164], v[2:3], v[12:13]
	v_mul_f64 v[12:13], v[4:5], v[12:13]
	v_add_f64 v[8:9], v[157:158], 0
	v_add_f64 v[145:146], v[161:162], 0
	s_waitcnt vmcnt(7) lgkmcnt(0)
	v_mul_f64 v[157:158], v[38:39], v[16:17]
	v_mul_f64 v[16:17], v[40:41], v[16:17]
	v_fma_f64 v[159:160], v[4:5], v[10:11], v[163:164]
	v_fma_f64 v[10:11], v[2:3], v[10:11], -v[12:13]
	v_add_f64 v[12:13], v[8:9], v[6:7]
	v_add_f64 v[145:146], v[145:146], v[147:148]
	ds_load_b128 v[2:5], v1 offset:992
	ds_load_b128 v[6:9], v1 offset:1008
	v_fma_f64 v[40:41], v[40:41], v[14:15], v[157:158]
	v_fma_f64 v[14:15], v[38:39], v[14:15], -v[16:17]
	s_waitcnt vmcnt(6) lgkmcnt(1)
	v_mul_f64 v[147:148], v[2:3], v[20:21]
	v_mul_f64 v[20:21], v[4:5], v[20:21]
	s_waitcnt vmcnt(5) lgkmcnt(0)
	v_mul_f64 v[16:17], v[6:7], v[24:25]
	v_mul_f64 v[24:25], v[8:9], v[24:25]
	v_add_f64 v[10:11], v[12:13], v[10:11]
	v_add_f64 v[12:13], v[145:146], v[159:160]
	v_fma_f64 v[38:39], v[4:5], v[18:19], v[147:148]
	v_fma_f64 v[18:19], v[2:3], v[18:19], -v[20:21]
	v_fma_f64 v[8:9], v[8:9], v[22:23], v[16:17]
	v_fma_f64 v[6:7], v[6:7], v[22:23], -v[24:25]
	v_add_f64 v[14:15], v[10:11], v[14:15]
	v_add_f64 v[20:21], v[12:13], v[40:41]
	ds_load_b128 v[2:5], v1 offset:1024
	ds_load_b128 v[10:13], v1 offset:1040
	s_waitcnt vmcnt(4) lgkmcnt(1)
	v_mul_f64 v[40:41], v[2:3], v[28:29]
	v_mul_f64 v[28:29], v[4:5], v[28:29]
	v_add_f64 v[14:15], v[14:15], v[18:19]
	v_add_f64 v[16:17], v[20:21], v[38:39]
	s_waitcnt vmcnt(3) lgkmcnt(0)
	v_mul_f64 v[18:19], v[10:11], v[32:33]
	v_mul_f64 v[20:21], v[12:13], v[32:33]
	v_fma_f64 v[22:23], v[4:5], v[26:27], v[40:41]
	v_fma_f64 v[24:25], v[2:3], v[26:27], -v[28:29]
	v_add_f64 v[14:15], v[14:15], v[6:7]
	v_add_f64 v[16:17], v[16:17], v[8:9]
	ds_load_b128 v[2:5], v1 offset:1056
	ds_load_b128 v[6:9], v1 offset:1072
	v_fma_f64 v[12:13], v[12:13], v[30:31], v[18:19]
	v_fma_f64 v[10:11], v[10:11], v[30:31], -v[20:21]
	s_waitcnt vmcnt(2) lgkmcnt(1)
	v_mul_f64 v[26:27], v[2:3], v[36:37]
	v_mul_f64 v[28:29], v[4:5], v[36:37]
	s_waitcnt vmcnt(0) lgkmcnt(0)
	v_mul_f64 v[18:19], v[6:7], v[155:156]
	v_mul_f64 v[20:21], v[8:9], v[155:156]
	v_add_f64 v[14:15], v[14:15], v[24:25]
	v_add_f64 v[16:17], v[16:17], v[22:23]
	v_fma_f64 v[4:5], v[4:5], v[34:35], v[26:27]
	v_fma_f64 v[1:2], v[2:3], v[34:35], -v[28:29]
	v_fma_f64 v[8:9], v[8:9], v[153:154], v[18:19]
	v_fma_f64 v[6:7], v[6:7], v[153:154], -v[20:21]
	v_add_f64 v[10:11], v[14:15], v[10:11]
	v_add_f64 v[12:13], v[16:17], v[12:13]
	s_delay_alu instid0(VALU_DEP_2) | instskip(NEXT) | instid1(VALU_DEP_2)
	v_add_f64 v[1:2], v[10:11], v[1:2]
	v_add_f64 v[3:4], v[12:13], v[4:5]
	s_delay_alu instid0(VALU_DEP_2) | instskip(NEXT) | instid1(VALU_DEP_2)
	;; [unrolled: 3-line block ×3, first 2 shown]
	v_add_f64 v[1:2], v[149:150], -v[1:2]
	v_add_f64 v[3:4], v[151:152], -v[3:4]
	scratch_store_b128 off, v[1:4], off offset:368
	v_cmpx_lt_u32_e32 22, v110
	s_cbranch_execz .LBB33_173
; %bb.172:
	scratch_load_b128 v[1:4], v125, off
	v_mov_b32_e32 v5, 0
	s_delay_alu instid0(VALU_DEP_1)
	v_mov_b32_e32 v6, v5
	v_mov_b32_e32 v7, v5
	;; [unrolled: 1-line block ×3, first 2 shown]
	scratch_store_b128 off, v[5:8], off offset:352
	s_waitcnt vmcnt(0)
	ds_store_b128 v144, v[1:4]
.LBB33_173:
	s_or_b32 exec_lo, exec_lo, s2
	s_waitcnt lgkmcnt(0)
	s_waitcnt_vscnt null, 0x0
	s_barrier
	buffer_gl0_inv
	s_clause 0x7
	scratch_load_b128 v[2:5], off, off offset:368
	scratch_load_b128 v[6:9], off, off offset:384
	;; [unrolled: 1-line block ×8, first 2 shown]
	v_mov_b32_e32 v1, 0
	s_clause 0x1
	scratch_load_b128 v[38:41], off, off offset:496
	scratch_load_b128 v[149:152], off, off offset:512
	s_mov_b32 s2, exec_lo
	ds_load_b128 v[34:37], v1 offset:912
	ds_load_b128 v[145:148], v1 offset:928
	s_waitcnt vmcnt(9) lgkmcnt(1)
	v_mul_f64 v[153:154], v[36:37], v[4:5]
	v_mul_f64 v[4:5], v[34:35], v[4:5]
	s_waitcnt vmcnt(8) lgkmcnt(0)
	v_mul_f64 v[155:156], v[145:146], v[8:9]
	v_mul_f64 v[8:9], v[147:148], v[8:9]
	s_delay_alu instid0(VALU_DEP_4) | instskip(NEXT) | instid1(VALU_DEP_4)
	v_fma_f64 v[153:154], v[34:35], v[2:3], -v[153:154]
	v_fma_f64 v[157:158], v[36:37], v[2:3], v[4:5]
	ds_load_b128 v[2:5], v1 offset:944
	scratch_load_b128 v[34:37], off, off offset:528
	v_fma_f64 v[147:148], v[147:148], v[6:7], v[155:156]
	v_fma_f64 v[145:146], v[145:146], v[6:7], -v[8:9]
	ds_load_b128 v[6:9], v1 offset:960
	s_waitcnt vmcnt(8) lgkmcnt(1)
	v_mul_f64 v[159:160], v[2:3], v[12:13]
	v_mul_f64 v[12:13], v[4:5], v[12:13]
	v_add_f64 v[153:154], v[153:154], 0
	v_add_f64 v[155:156], v[157:158], 0
	s_waitcnt vmcnt(7) lgkmcnt(0)
	v_mul_f64 v[157:158], v[6:7], v[16:17]
	v_mul_f64 v[16:17], v[8:9], v[16:17]
	v_fma_f64 v[159:160], v[4:5], v[10:11], v[159:160]
	v_fma_f64 v[10:11], v[2:3], v[10:11], -v[12:13]
	ds_load_b128 v[2:5], v1 offset:976
	v_add_f64 v[12:13], v[153:154], v[145:146]
	v_add_f64 v[145:146], v[155:156], v[147:148]
	v_fma_f64 v[153:154], v[8:9], v[14:15], v[157:158]
	v_fma_f64 v[14:15], v[6:7], v[14:15], -v[16:17]
	ds_load_b128 v[6:9], v1 offset:992
	s_waitcnt vmcnt(6) lgkmcnt(1)
	v_mul_f64 v[147:148], v[2:3], v[20:21]
	v_mul_f64 v[20:21], v[4:5], v[20:21]
	s_waitcnt vmcnt(5) lgkmcnt(0)
	v_mul_f64 v[155:156], v[6:7], v[24:25]
	v_mul_f64 v[24:25], v[8:9], v[24:25]
	v_add_f64 v[16:17], v[12:13], v[10:11]
	v_add_f64 v[145:146], v[145:146], v[159:160]
	scratch_load_b128 v[10:13], off, off offset:352
	v_fma_f64 v[147:148], v[4:5], v[18:19], v[147:148]
	v_fma_f64 v[18:19], v[2:3], v[18:19], -v[20:21]
	ds_load_b128 v[2:5], v1 offset:1008
	v_add_f64 v[14:15], v[16:17], v[14:15]
	v_add_f64 v[16:17], v[145:146], v[153:154]
	v_fma_f64 v[145:146], v[8:9], v[22:23], v[155:156]
	v_fma_f64 v[22:23], v[6:7], v[22:23], -v[24:25]
	ds_load_b128 v[6:9], v1 offset:1024
	s_waitcnt vmcnt(5) lgkmcnt(1)
	v_mul_f64 v[20:21], v[2:3], v[28:29]
	v_mul_f64 v[28:29], v[4:5], v[28:29]
	s_waitcnt vmcnt(4) lgkmcnt(0)
	v_mul_f64 v[24:25], v[8:9], v[32:33]
	v_add_f64 v[14:15], v[14:15], v[18:19]
	v_add_f64 v[16:17], v[16:17], v[147:148]
	v_mul_f64 v[18:19], v[6:7], v[32:33]
	v_fma_f64 v[20:21], v[4:5], v[26:27], v[20:21]
	v_fma_f64 v[26:27], v[2:3], v[26:27], -v[28:29]
	ds_load_b128 v[2:5], v1 offset:1040
	v_fma_f64 v[24:25], v[6:7], v[30:31], -v[24:25]
	v_add_f64 v[14:15], v[14:15], v[22:23]
	v_add_f64 v[16:17], v[16:17], v[145:146]
	v_fma_f64 v[18:19], v[8:9], v[30:31], v[18:19]
	ds_load_b128 v[6:9], v1 offset:1056
	s_waitcnt vmcnt(3) lgkmcnt(1)
	v_mul_f64 v[22:23], v[2:3], v[40:41]
	v_mul_f64 v[28:29], v[4:5], v[40:41]
	v_add_f64 v[14:15], v[14:15], v[26:27]
	v_add_f64 v[16:17], v[16:17], v[20:21]
	s_waitcnt vmcnt(2) lgkmcnt(0)
	v_mul_f64 v[20:21], v[6:7], v[151:152]
	v_mul_f64 v[26:27], v[8:9], v[151:152]
	v_fma_f64 v[22:23], v[4:5], v[38:39], v[22:23]
	v_fma_f64 v[28:29], v[2:3], v[38:39], -v[28:29]
	ds_load_b128 v[2:5], v1 offset:1072
	v_add_f64 v[14:15], v[14:15], v[24:25]
	v_add_f64 v[16:17], v[16:17], v[18:19]
	v_fma_f64 v[8:9], v[8:9], v[149:150], v[20:21]
	v_fma_f64 v[6:7], v[6:7], v[149:150], -v[26:27]
	s_waitcnt vmcnt(1) lgkmcnt(0)
	v_mul_f64 v[18:19], v[2:3], v[36:37]
	v_mul_f64 v[24:25], v[4:5], v[36:37]
	v_add_f64 v[14:15], v[14:15], v[28:29]
	v_add_f64 v[16:17], v[16:17], v[22:23]
	s_delay_alu instid0(VALU_DEP_4) | instskip(NEXT) | instid1(VALU_DEP_4)
	v_fma_f64 v[4:5], v[4:5], v[34:35], v[18:19]
	v_fma_f64 v[2:3], v[2:3], v[34:35], -v[24:25]
	s_delay_alu instid0(VALU_DEP_4) | instskip(NEXT) | instid1(VALU_DEP_4)
	v_add_f64 v[6:7], v[14:15], v[6:7]
	v_add_f64 v[8:9], v[16:17], v[8:9]
	s_delay_alu instid0(VALU_DEP_2) | instskip(NEXT) | instid1(VALU_DEP_2)
	v_add_f64 v[2:3], v[6:7], v[2:3]
	v_add_f64 v[4:5], v[8:9], v[4:5]
	s_waitcnt vmcnt(0)
	s_delay_alu instid0(VALU_DEP_2) | instskip(NEXT) | instid1(VALU_DEP_2)
	v_add_f64 v[2:3], v[10:11], -v[2:3]
	v_add_f64 v[4:5], v[12:13], -v[4:5]
	scratch_store_b128 off, v[2:5], off offset:352
	v_cmpx_lt_u32_e32 21, v110
	s_cbranch_execz .LBB33_175
; %bb.174:
	scratch_load_b128 v[5:8], v127, off
	v_mov_b32_e32 v2, v1
	v_mov_b32_e32 v3, v1
	;; [unrolled: 1-line block ×3, first 2 shown]
	scratch_store_b128 off, v[1:4], off offset:336
	s_waitcnt vmcnt(0)
	ds_store_b128 v144, v[5:8]
.LBB33_175:
	s_or_b32 exec_lo, exec_lo, s2
	s_waitcnt lgkmcnt(0)
	s_waitcnt_vscnt null, 0x0
	s_barrier
	buffer_gl0_inv
	s_clause 0x7
	scratch_load_b128 v[2:5], off, off offset:352
	scratch_load_b128 v[6:9], off, off offset:368
	;; [unrolled: 1-line block ×8, first 2 shown]
	ds_load_b128 v[34:37], v1 offset:896
	ds_load_b128 v[145:148], v1 offset:912
	s_clause 0x1
	scratch_load_b128 v[38:41], off, off offset:480
	scratch_load_b128 v[149:152], off, off offset:496
	s_mov_b32 s2, exec_lo
	s_waitcnt vmcnt(9) lgkmcnt(1)
	v_mul_f64 v[153:154], v[36:37], v[4:5]
	v_mul_f64 v[4:5], v[34:35], v[4:5]
	s_waitcnt vmcnt(8) lgkmcnt(0)
	v_mul_f64 v[155:156], v[145:146], v[8:9]
	v_mul_f64 v[8:9], v[147:148], v[8:9]
	s_delay_alu instid0(VALU_DEP_4) | instskip(NEXT) | instid1(VALU_DEP_4)
	v_fma_f64 v[153:154], v[34:35], v[2:3], -v[153:154]
	v_fma_f64 v[157:158], v[36:37], v[2:3], v[4:5]
	scratch_load_b128 v[34:37], off, off offset:512
	ds_load_b128 v[2:5], v1 offset:928
	v_fma_f64 v[155:156], v[147:148], v[6:7], v[155:156]
	v_fma_f64 v[161:162], v[145:146], v[6:7], -v[8:9]
	ds_load_b128 v[6:9], v1 offset:944
	scratch_load_b128 v[145:148], off, off offset:528
	s_waitcnt vmcnt(9) lgkmcnt(1)
	v_mul_f64 v[159:160], v[2:3], v[12:13]
	v_mul_f64 v[12:13], v[4:5], v[12:13]
	s_waitcnt vmcnt(8) lgkmcnt(0)
	v_mul_f64 v[163:164], v[6:7], v[16:17]
	v_mul_f64 v[16:17], v[8:9], v[16:17]
	v_add_f64 v[153:154], v[153:154], 0
	v_add_f64 v[157:158], v[157:158], 0
	v_fma_f64 v[159:160], v[4:5], v[10:11], v[159:160]
	v_fma_f64 v[10:11], v[2:3], v[10:11], -v[12:13]
	ds_load_b128 v[2:5], v1 offset:960
	v_add_f64 v[12:13], v[153:154], v[161:162]
	v_add_f64 v[153:154], v[157:158], v[155:156]
	v_fma_f64 v[157:158], v[8:9], v[14:15], v[163:164]
	v_fma_f64 v[14:15], v[6:7], v[14:15], -v[16:17]
	ds_load_b128 v[6:9], v1 offset:976
	s_waitcnt vmcnt(7) lgkmcnt(1)
	v_mul_f64 v[155:156], v[2:3], v[20:21]
	v_mul_f64 v[20:21], v[4:5], v[20:21]
	s_waitcnt vmcnt(6) lgkmcnt(0)
	v_mul_f64 v[16:17], v[6:7], v[24:25]
	v_mul_f64 v[24:25], v[8:9], v[24:25]
	v_add_f64 v[10:11], v[12:13], v[10:11]
	v_add_f64 v[12:13], v[153:154], v[159:160]
	v_fma_f64 v[153:154], v[4:5], v[18:19], v[155:156]
	v_fma_f64 v[18:19], v[2:3], v[18:19], -v[20:21]
	ds_load_b128 v[2:5], v1 offset:992
	v_fma_f64 v[16:17], v[8:9], v[22:23], v[16:17]
	v_fma_f64 v[22:23], v[6:7], v[22:23], -v[24:25]
	ds_load_b128 v[6:9], v1 offset:1008
	s_waitcnt vmcnt(5) lgkmcnt(1)
	v_mul_f64 v[155:156], v[2:3], v[28:29]
	v_mul_f64 v[28:29], v[4:5], v[28:29]
	v_add_f64 v[14:15], v[10:11], v[14:15]
	v_add_f64 v[20:21], v[12:13], v[157:158]
	scratch_load_b128 v[10:13], off, off offset:336
	s_waitcnt vmcnt(5) lgkmcnt(0)
	v_mul_f64 v[24:25], v[8:9], v[32:33]
	v_add_f64 v[14:15], v[14:15], v[18:19]
	v_add_f64 v[18:19], v[20:21], v[153:154]
	v_mul_f64 v[20:21], v[6:7], v[32:33]
	v_fma_f64 v[32:33], v[4:5], v[26:27], v[155:156]
	v_fma_f64 v[26:27], v[2:3], v[26:27], -v[28:29]
	ds_load_b128 v[2:5], v1 offset:1024
	v_fma_f64 v[24:25], v[6:7], v[30:31], -v[24:25]
	v_add_f64 v[14:15], v[14:15], v[22:23]
	v_add_f64 v[16:17], v[18:19], v[16:17]
	v_fma_f64 v[20:21], v[8:9], v[30:31], v[20:21]
	ds_load_b128 v[6:9], v1 offset:1040
	s_waitcnt vmcnt(4) lgkmcnt(1)
	v_mul_f64 v[18:19], v[2:3], v[40:41]
	v_mul_f64 v[22:23], v[4:5], v[40:41]
	s_waitcnt vmcnt(3) lgkmcnt(0)
	v_mul_f64 v[28:29], v[8:9], v[151:152]
	v_add_f64 v[14:15], v[14:15], v[26:27]
	v_add_f64 v[16:17], v[16:17], v[32:33]
	v_mul_f64 v[26:27], v[6:7], v[151:152]
	v_fma_f64 v[18:19], v[4:5], v[38:39], v[18:19]
	v_fma_f64 v[22:23], v[2:3], v[38:39], -v[22:23]
	ds_load_b128 v[2:5], v1 offset:1056
	v_fma_f64 v[28:29], v[6:7], v[149:150], -v[28:29]
	v_add_f64 v[14:15], v[14:15], v[24:25]
	v_add_f64 v[16:17], v[16:17], v[20:21]
	v_fma_f64 v[26:27], v[8:9], v[149:150], v[26:27]
	ds_load_b128 v[6:9], v1 offset:1072
	s_waitcnt vmcnt(2) lgkmcnt(1)
	v_mul_f64 v[20:21], v[2:3], v[36:37]
	v_mul_f64 v[24:25], v[4:5], v[36:37]
	v_add_f64 v[14:15], v[14:15], v[22:23]
	v_add_f64 v[16:17], v[16:17], v[18:19]
	s_waitcnt vmcnt(1) lgkmcnt(0)
	v_mul_f64 v[18:19], v[6:7], v[147:148]
	v_mul_f64 v[22:23], v[8:9], v[147:148]
	v_fma_f64 v[4:5], v[4:5], v[34:35], v[20:21]
	v_fma_f64 v[1:2], v[2:3], v[34:35], -v[24:25]
	v_add_f64 v[14:15], v[14:15], v[28:29]
	v_add_f64 v[16:17], v[16:17], v[26:27]
	v_fma_f64 v[8:9], v[8:9], v[145:146], v[18:19]
	v_fma_f64 v[6:7], v[6:7], v[145:146], -v[22:23]
	s_delay_alu instid0(VALU_DEP_4) | instskip(NEXT) | instid1(VALU_DEP_4)
	v_add_f64 v[1:2], v[14:15], v[1:2]
	v_add_f64 v[3:4], v[16:17], v[4:5]
	s_delay_alu instid0(VALU_DEP_2) | instskip(NEXT) | instid1(VALU_DEP_2)
	v_add_f64 v[1:2], v[1:2], v[6:7]
	v_add_f64 v[3:4], v[3:4], v[8:9]
	s_waitcnt vmcnt(0)
	s_delay_alu instid0(VALU_DEP_2) | instskip(NEXT) | instid1(VALU_DEP_2)
	v_add_f64 v[1:2], v[10:11], -v[1:2]
	v_add_f64 v[3:4], v[12:13], -v[3:4]
	scratch_store_b128 off, v[1:4], off offset:336
	v_cmpx_lt_u32_e32 20, v110
	s_cbranch_execz .LBB33_177
; %bb.176:
	scratch_load_b128 v[1:4], v128, off
	v_mov_b32_e32 v5, 0
	s_delay_alu instid0(VALU_DEP_1)
	v_mov_b32_e32 v6, v5
	v_mov_b32_e32 v7, v5
	;; [unrolled: 1-line block ×3, first 2 shown]
	scratch_store_b128 off, v[5:8], off offset:320
	s_waitcnt vmcnt(0)
	ds_store_b128 v144, v[1:4]
.LBB33_177:
	s_or_b32 exec_lo, exec_lo, s2
	s_waitcnt lgkmcnt(0)
	s_waitcnt_vscnt null, 0x0
	s_barrier
	buffer_gl0_inv
	s_clause 0x7
	scratch_load_b128 v[2:5], off, off offset:336
	scratch_load_b128 v[6:9], off, off offset:352
	;; [unrolled: 1-line block ×8, first 2 shown]
	v_mov_b32_e32 v1, 0
	s_clause 0x1
	scratch_load_b128 v[38:41], off, off offset:464
	scratch_load_b128 v[149:152], off, off offset:480
	s_mov_b32 s2, exec_lo
	ds_load_b128 v[34:37], v1 offset:880
	ds_load_b128 v[145:148], v1 offset:896
	s_waitcnt vmcnt(9) lgkmcnt(1)
	v_mul_f64 v[153:154], v[36:37], v[4:5]
	v_mul_f64 v[4:5], v[34:35], v[4:5]
	s_waitcnt vmcnt(8) lgkmcnt(0)
	v_mul_f64 v[155:156], v[145:146], v[8:9]
	v_mul_f64 v[8:9], v[147:148], v[8:9]
	s_delay_alu instid0(VALU_DEP_4) | instskip(NEXT) | instid1(VALU_DEP_4)
	v_fma_f64 v[153:154], v[34:35], v[2:3], -v[153:154]
	v_fma_f64 v[157:158], v[36:37], v[2:3], v[4:5]
	ds_load_b128 v[2:5], v1 offset:912
	scratch_load_b128 v[34:37], off, off offset:496
	v_fma_f64 v[155:156], v[147:148], v[6:7], v[155:156]
	v_fma_f64 v[161:162], v[145:146], v[6:7], -v[8:9]
	ds_load_b128 v[6:9], v1 offset:928
	scratch_load_b128 v[145:148], off, off offset:512
	s_waitcnt vmcnt(9) lgkmcnt(1)
	v_mul_f64 v[159:160], v[2:3], v[12:13]
	v_mul_f64 v[12:13], v[4:5], v[12:13]
	s_waitcnt vmcnt(8) lgkmcnt(0)
	v_mul_f64 v[163:164], v[6:7], v[16:17]
	v_mul_f64 v[16:17], v[8:9], v[16:17]
	v_add_f64 v[153:154], v[153:154], 0
	v_add_f64 v[157:158], v[157:158], 0
	v_fma_f64 v[159:160], v[4:5], v[10:11], v[159:160]
	v_fma_f64 v[165:166], v[2:3], v[10:11], -v[12:13]
	scratch_load_b128 v[10:13], off, off offset:528
	ds_load_b128 v[2:5], v1 offset:944
	v_add_f64 v[153:154], v[153:154], v[161:162]
	v_add_f64 v[155:156], v[157:158], v[155:156]
	v_fma_f64 v[161:162], v[8:9], v[14:15], v[163:164]
	v_fma_f64 v[14:15], v[6:7], v[14:15], -v[16:17]
	ds_load_b128 v[6:9], v1 offset:960
	s_waitcnt vmcnt(8) lgkmcnt(1)
	v_mul_f64 v[157:158], v[2:3], v[20:21]
	v_mul_f64 v[20:21], v[4:5], v[20:21]
	v_add_f64 v[16:17], v[153:154], v[165:166]
	v_add_f64 v[153:154], v[155:156], v[159:160]
	s_waitcnt vmcnt(7) lgkmcnt(0)
	v_mul_f64 v[155:156], v[6:7], v[24:25]
	v_mul_f64 v[24:25], v[8:9], v[24:25]
	v_fma_f64 v[157:158], v[4:5], v[18:19], v[157:158]
	v_fma_f64 v[18:19], v[2:3], v[18:19], -v[20:21]
	ds_load_b128 v[2:5], v1 offset:976
	v_add_f64 v[14:15], v[16:17], v[14:15]
	v_add_f64 v[16:17], v[153:154], v[161:162]
	v_fma_f64 v[153:154], v[8:9], v[22:23], v[155:156]
	v_fma_f64 v[22:23], v[6:7], v[22:23], -v[24:25]
	ds_load_b128 v[6:9], v1 offset:992
	s_waitcnt vmcnt(6) lgkmcnt(1)
	v_mul_f64 v[20:21], v[2:3], v[28:29]
	v_mul_f64 v[28:29], v[4:5], v[28:29]
	s_waitcnt vmcnt(5) lgkmcnt(0)
	v_mul_f64 v[155:156], v[6:7], v[32:33]
	v_mul_f64 v[32:33], v[8:9], v[32:33]
	v_add_f64 v[18:19], v[14:15], v[18:19]
	v_add_f64 v[24:25], v[16:17], v[157:158]
	scratch_load_b128 v[14:17], off, off offset:320
	v_fma_f64 v[20:21], v[4:5], v[26:27], v[20:21]
	v_fma_f64 v[26:27], v[2:3], v[26:27], -v[28:29]
	ds_load_b128 v[2:5], v1 offset:1008
	s_waitcnt vmcnt(5) lgkmcnt(0)
	v_mul_f64 v[28:29], v[4:5], v[40:41]
	v_add_f64 v[18:19], v[18:19], v[22:23]
	v_add_f64 v[22:23], v[24:25], v[153:154]
	v_mul_f64 v[24:25], v[2:3], v[40:41]
	v_fma_f64 v[40:41], v[8:9], v[30:31], v[155:156]
	v_fma_f64 v[30:31], v[6:7], v[30:31], -v[32:33]
	ds_load_b128 v[6:9], v1 offset:1024
	v_fma_f64 v[28:29], v[2:3], v[38:39], -v[28:29]
	v_add_f64 v[18:19], v[18:19], v[26:27]
	v_add_f64 v[20:21], v[22:23], v[20:21]
	v_fma_f64 v[24:25], v[4:5], v[38:39], v[24:25]
	ds_load_b128 v[2:5], v1 offset:1040
	s_waitcnt vmcnt(4) lgkmcnt(1)
	v_mul_f64 v[22:23], v[6:7], v[151:152]
	v_mul_f64 v[26:27], v[8:9], v[151:152]
	v_add_f64 v[18:19], v[18:19], v[30:31]
	v_add_f64 v[20:21], v[20:21], v[40:41]
	s_delay_alu instid0(VALU_DEP_4) | instskip(NEXT) | instid1(VALU_DEP_4)
	v_fma_f64 v[22:23], v[8:9], v[149:150], v[22:23]
	v_fma_f64 v[26:27], v[6:7], v[149:150], -v[26:27]
	ds_load_b128 v[6:9], v1 offset:1056
	s_waitcnt vmcnt(3) lgkmcnt(1)
	v_mul_f64 v[30:31], v[2:3], v[36:37]
	v_mul_f64 v[32:33], v[4:5], v[36:37]
	v_add_f64 v[18:19], v[18:19], v[28:29]
	v_add_f64 v[20:21], v[20:21], v[24:25]
	s_delay_alu instid0(VALU_DEP_4) | instskip(NEXT) | instid1(VALU_DEP_4)
	v_fma_f64 v[30:31], v[4:5], v[34:35], v[30:31]
	v_fma_f64 v[32:33], v[2:3], v[34:35], -v[32:33]
	ds_load_b128 v[2:5], v1 offset:1072
	s_waitcnt vmcnt(2) lgkmcnt(1)
	v_mul_f64 v[24:25], v[6:7], v[147:148]
	v_mul_f64 v[28:29], v[8:9], v[147:148]
	v_add_f64 v[18:19], v[18:19], v[26:27]
	v_add_f64 v[20:21], v[20:21], v[22:23]
	s_waitcnt vmcnt(1) lgkmcnt(0)
	v_mul_f64 v[22:23], v[2:3], v[12:13]
	v_mul_f64 v[12:13], v[4:5], v[12:13]
	v_fma_f64 v[8:9], v[8:9], v[145:146], v[24:25]
	v_fma_f64 v[6:7], v[6:7], v[145:146], -v[28:29]
	v_add_f64 v[18:19], v[18:19], v[32:33]
	v_add_f64 v[20:21], v[20:21], v[30:31]
	v_fma_f64 v[4:5], v[4:5], v[10:11], v[22:23]
	v_fma_f64 v[2:3], v[2:3], v[10:11], -v[12:13]
	s_delay_alu instid0(VALU_DEP_4) | instskip(NEXT) | instid1(VALU_DEP_4)
	v_add_f64 v[6:7], v[18:19], v[6:7]
	v_add_f64 v[8:9], v[20:21], v[8:9]
	s_delay_alu instid0(VALU_DEP_2) | instskip(NEXT) | instid1(VALU_DEP_2)
	v_add_f64 v[2:3], v[6:7], v[2:3]
	v_add_f64 v[4:5], v[8:9], v[4:5]
	s_waitcnt vmcnt(0)
	s_delay_alu instid0(VALU_DEP_2) | instskip(NEXT) | instid1(VALU_DEP_2)
	v_add_f64 v[2:3], v[14:15], -v[2:3]
	v_add_f64 v[4:5], v[16:17], -v[4:5]
	scratch_store_b128 off, v[2:5], off offset:320
	v_cmpx_lt_u32_e32 19, v110
	s_cbranch_execz .LBB33_179
; %bb.178:
	scratch_load_b128 v[5:8], v130, off
	v_mov_b32_e32 v2, v1
	v_mov_b32_e32 v3, v1
	;; [unrolled: 1-line block ×3, first 2 shown]
	scratch_store_b128 off, v[1:4], off offset:304
	s_waitcnt vmcnt(0)
	ds_store_b128 v144, v[5:8]
.LBB33_179:
	s_or_b32 exec_lo, exec_lo, s2
	s_waitcnt lgkmcnt(0)
	s_waitcnt_vscnt null, 0x0
	s_barrier
	buffer_gl0_inv
	s_clause 0x7
	scratch_load_b128 v[2:5], off, off offset:320
	scratch_load_b128 v[6:9], off, off offset:336
	scratch_load_b128 v[10:13], off, off offset:352
	scratch_load_b128 v[14:17], off, off offset:368
	scratch_load_b128 v[18:21], off, off offset:384
	scratch_load_b128 v[22:25], off, off offset:400
	scratch_load_b128 v[26:29], off, off offset:416
	scratch_load_b128 v[30:33], off, off offset:432
	ds_load_b128 v[34:37], v1 offset:864
	ds_load_b128 v[145:148], v1 offset:880
	s_clause 0x1
	scratch_load_b128 v[38:41], off, off offset:448
	scratch_load_b128 v[149:152], off, off offset:464
	s_mov_b32 s2, exec_lo
	s_waitcnt vmcnt(9) lgkmcnt(1)
	v_mul_f64 v[153:154], v[36:37], v[4:5]
	v_mul_f64 v[4:5], v[34:35], v[4:5]
	s_waitcnt vmcnt(8) lgkmcnt(0)
	v_mul_f64 v[155:156], v[145:146], v[8:9]
	v_mul_f64 v[8:9], v[147:148], v[8:9]
	s_delay_alu instid0(VALU_DEP_4) | instskip(NEXT) | instid1(VALU_DEP_4)
	v_fma_f64 v[153:154], v[34:35], v[2:3], -v[153:154]
	v_fma_f64 v[157:158], v[36:37], v[2:3], v[4:5]
	scratch_load_b128 v[34:37], off, off offset:480
	ds_load_b128 v[2:5], v1 offset:896
	v_fma_f64 v[155:156], v[147:148], v[6:7], v[155:156]
	v_fma_f64 v[161:162], v[145:146], v[6:7], -v[8:9]
	ds_load_b128 v[6:9], v1 offset:912
	scratch_load_b128 v[145:148], off, off offset:496
	s_waitcnt vmcnt(9) lgkmcnt(1)
	v_mul_f64 v[159:160], v[2:3], v[12:13]
	v_mul_f64 v[12:13], v[4:5], v[12:13]
	s_waitcnt vmcnt(8) lgkmcnt(0)
	v_mul_f64 v[163:164], v[6:7], v[16:17]
	v_mul_f64 v[16:17], v[8:9], v[16:17]
	v_add_f64 v[153:154], v[153:154], 0
	v_add_f64 v[157:158], v[157:158], 0
	v_fma_f64 v[159:160], v[4:5], v[10:11], v[159:160]
	v_fma_f64 v[165:166], v[2:3], v[10:11], -v[12:13]
	scratch_load_b128 v[10:13], off, off offset:512
	ds_load_b128 v[2:5], v1 offset:928
	v_add_f64 v[153:154], v[153:154], v[161:162]
	v_add_f64 v[155:156], v[157:158], v[155:156]
	v_fma_f64 v[161:162], v[8:9], v[14:15], v[163:164]
	v_fma_f64 v[163:164], v[6:7], v[14:15], -v[16:17]
	ds_load_b128 v[6:9], v1 offset:944
	scratch_load_b128 v[14:17], off, off offset:528
	s_waitcnt vmcnt(9) lgkmcnt(1)
	v_mul_f64 v[157:158], v[2:3], v[20:21]
	v_mul_f64 v[20:21], v[4:5], v[20:21]
	v_add_f64 v[153:154], v[153:154], v[165:166]
	v_add_f64 v[155:156], v[155:156], v[159:160]
	s_waitcnt vmcnt(8) lgkmcnt(0)
	v_mul_f64 v[159:160], v[6:7], v[24:25]
	v_mul_f64 v[24:25], v[8:9], v[24:25]
	v_fma_f64 v[157:158], v[4:5], v[18:19], v[157:158]
	v_fma_f64 v[18:19], v[2:3], v[18:19], -v[20:21]
	ds_load_b128 v[2:5], v1 offset:960
	v_add_f64 v[20:21], v[153:154], v[163:164]
	v_add_f64 v[153:154], v[155:156], v[161:162]
	v_fma_f64 v[159:160], v[8:9], v[22:23], v[159:160]
	v_fma_f64 v[22:23], v[6:7], v[22:23], -v[24:25]
	ds_load_b128 v[6:9], v1 offset:976
	s_waitcnt vmcnt(7) lgkmcnt(1)
	v_mul_f64 v[155:156], v[2:3], v[28:29]
	v_mul_f64 v[28:29], v[4:5], v[28:29]
	s_waitcnt vmcnt(6) lgkmcnt(0)
	v_mul_f64 v[24:25], v[6:7], v[32:33]
	v_mul_f64 v[32:33], v[8:9], v[32:33]
	v_add_f64 v[18:19], v[20:21], v[18:19]
	v_add_f64 v[20:21], v[153:154], v[157:158]
	v_fma_f64 v[153:154], v[4:5], v[26:27], v[155:156]
	v_fma_f64 v[26:27], v[2:3], v[26:27], -v[28:29]
	ds_load_b128 v[2:5], v1 offset:992
	v_fma_f64 v[24:25], v[8:9], v[30:31], v[24:25]
	v_fma_f64 v[30:31], v[6:7], v[30:31], -v[32:33]
	ds_load_b128 v[6:9], v1 offset:1008
	v_add_f64 v[22:23], v[18:19], v[22:23]
	v_add_f64 v[28:29], v[20:21], v[159:160]
	scratch_load_b128 v[18:21], off, off offset:304
	s_waitcnt vmcnt(6) lgkmcnt(1)
	v_mul_f64 v[155:156], v[2:3], v[40:41]
	v_mul_f64 v[40:41], v[4:5], v[40:41]
	s_waitcnt vmcnt(5) lgkmcnt(0)
	v_mul_f64 v[32:33], v[8:9], v[151:152]
	v_add_f64 v[22:23], v[22:23], v[26:27]
	v_add_f64 v[26:27], v[28:29], v[153:154]
	v_mul_f64 v[28:29], v[6:7], v[151:152]
	v_fma_f64 v[151:152], v[4:5], v[38:39], v[155:156]
	v_fma_f64 v[38:39], v[2:3], v[38:39], -v[40:41]
	ds_load_b128 v[2:5], v1 offset:1024
	v_fma_f64 v[32:33], v[6:7], v[149:150], -v[32:33]
	v_add_f64 v[22:23], v[22:23], v[30:31]
	v_add_f64 v[24:25], v[26:27], v[24:25]
	v_fma_f64 v[28:29], v[8:9], v[149:150], v[28:29]
	ds_load_b128 v[6:9], v1 offset:1040
	s_waitcnt vmcnt(4) lgkmcnt(1)
	v_mul_f64 v[26:27], v[2:3], v[36:37]
	v_mul_f64 v[30:31], v[4:5], v[36:37]
	s_waitcnt vmcnt(3) lgkmcnt(0)
	v_mul_f64 v[36:37], v[6:7], v[147:148]
	v_add_f64 v[22:23], v[22:23], v[38:39]
	v_add_f64 v[24:25], v[24:25], v[151:152]
	v_mul_f64 v[38:39], v[8:9], v[147:148]
	v_fma_f64 v[26:27], v[4:5], v[34:35], v[26:27]
	v_fma_f64 v[30:31], v[2:3], v[34:35], -v[30:31]
	ds_load_b128 v[2:5], v1 offset:1056
	v_add_f64 v[22:23], v[22:23], v[32:33]
	v_add_f64 v[24:25], v[24:25], v[28:29]
	v_fma_f64 v[32:33], v[8:9], v[145:146], v[36:37]
	v_fma_f64 v[34:35], v[6:7], v[145:146], -v[38:39]
	ds_load_b128 v[6:9], v1 offset:1072
	s_waitcnt vmcnt(2) lgkmcnt(1)
	v_mul_f64 v[28:29], v[2:3], v[12:13]
	v_mul_f64 v[12:13], v[4:5], v[12:13]
	v_add_f64 v[22:23], v[22:23], v[30:31]
	v_add_f64 v[24:25], v[24:25], v[26:27]
	s_waitcnt vmcnt(1) lgkmcnt(0)
	v_mul_f64 v[26:27], v[6:7], v[16:17]
	v_mul_f64 v[16:17], v[8:9], v[16:17]
	v_fma_f64 v[4:5], v[4:5], v[10:11], v[28:29]
	v_fma_f64 v[1:2], v[2:3], v[10:11], -v[12:13]
	v_add_f64 v[10:11], v[22:23], v[34:35]
	v_add_f64 v[12:13], v[24:25], v[32:33]
	v_fma_f64 v[8:9], v[8:9], v[14:15], v[26:27]
	v_fma_f64 v[6:7], v[6:7], v[14:15], -v[16:17]
	s_delay_alu instid0(VALU_DEP_4) | instskip(NEXT) | instid1(VALU_DEP_4)
	v_add_f64 v[1:2], v[10:11], v[1:2]
	v_add_f64 v[3:4], v[12:13], v[4:5]
	s_delay_alu instid0(VALU_DEP_2) | instskip(NEXT) | instid1(VALU_DEP_2)
	v_add_f64 v[1:2], v[1:2], v[6:7]
	v_add_f64 v[3:4], v[3:4], v[8:9]
	s_waitcnt vmcnt(0)
	s_delay_alu instid0(VALU_DEP_2) | instskip(NEXT) | instid1(VALU_DEP_2)
	v_add_f64 v[1:2], v[18:19], -v[1:2]
	v_add_f64 v[3:4], v[20:21], -v[3:4]
	scratch_store_b128 off, v[1:4], off offset:304
	v_cmpx_lt_u32_e32 18, v110
	s_cbranch_execz .LBB33_181
; %bb.180:
	scratch_load_b128 v[1:4], v129, off
	v_mov_b32_e32 v5, 0
	s_delay_alu instid0(VALU_DEP_1)
	v_mov_b32_e32 v6, v5
	v_mov_b32_e32 v7, v5
	;; [unrolled: 1-line block ×3, first 2 shown]
	scratch_store_b128 off, v[5:8], off offset:288
	s_waitcnt vmcnt(0)
	ds_store_b128 v144, v[1:4]
.LBB33_181:
	s_or_b32 exec_lo, exec_lo, s2
	s_waitcnt lgkmcnt(0)
	s_waitcnt_vscnt null, 0x0
	s_barrier
	buffer_gl0_inv
	s_clause 0x7
	scratch_load_b128 v[2:5], off, off offset:304
	scratch_load_b128 v[6:9], off, off offset:320
	;; [unrolled: 1-line block ×8, first 2 shown]
	v_mov_b32_e32 v1, 0
	s_clause 0x1
	scratch_load_b128 v[38:41], off, off offset:432
	scratch_load_b128 v[149:152], off, off offset:448
	s_mov_b32 s2, exec_lo
	ds_load_b128 v[34:37], v1 offset:848
	ds_load_b128 v[145:148], v1 offset:864
	s_waitcnt vmcnt(9) lgkmcnt(1)
	v_mul_f64 v[153:154], v[36:37], v[4:5]
	v_mul_f64 v[4:5], v[34:35], v[4:5]
	s_waitcnt vmcnt(8) lgkmcnt(0)
	v_mul_f64 v[155:156], v[145:146], v[8:9]
	v_mul_f64 v[8:9], v[147:148], v[8:9]
	s_delay_alu instid0(VALU_DEP_4) | instskip(NEXT) | instid1(VALU_DEP_4)
	v_fma_f64 v[153:154], v[34:35], v[2:3], -v[153:154]
	v_fma_f64 v[157:158], v[36:37], v[2:3], v[4:5]
	ds_load_b128 v[2:5], v1 offset:880
	scratch_load_b128 v[34:37], off, off offset:464
	v_fma_f64 v[155:156], v[147:148], v[6:7], v[155:156]
	v_fma_f64 v[161:162], v[145:146], v[6:7], -v[8:9]
	ds_load_b128 v[6:9], v1 offset:896
	scratch_load_b128 v[145:148], off, off offset:480
	s_waitcnt vmcnt(9) lgkmcnt(1)
	v_mul_f64 v[159:160], v[2:3], v[12:13]
	v_mul_f64 v[12:13], v[4:5], v[12:13]
	s_waitcnt vmcnt(8) lgkmcnt(0)
	v_mul_f64 v[163:164], v[6:7], v[16:17]
	v_mul_f64 v[16:17], v[8:9], v[16:17]
	v_add_f64 v[153:154], v[153:154], 0
	v_add_f64 v[157:158], v[157:158], 0
	v_fma_f64 v[159:160], v[4:5], v[10:11], v[159:160]
	v_fma_f64 v[165:166], v[2:3], v[10:11], -v[12:13]
	scratch_load_b128 v[10:13], off, off offset:496
	ds_load_b128 v[2:5], v1 offset:912
	v_add_f64 v[153:154], v[153:154], v[161:162]
	v_add_f64 v[155:156], v[157:158], v[155:156]
	v_fma_f64 v[161:162], v[8:9], v[14:15], v[163:164]
	v_fma_f64 v[163:164], v[6:7], v[14:15], -v[16:17]
	ds_load_b128 v[6:9], v1 offset:928
	scratch_load_b128 v[14:17], off, off offset:512
	s_waitcnt vmcnt(9) lgkmcnt(1)
	v_mul_f64 v[157:158], v[2:3], v[20:21]
	v_mul_f64 v[20:21], v[4:5], v[20:21]
	v_add_f64 v[153:154], v[153:154], v[165:166]
	v_add_f64 v[155:156], v[155:156], v[159:160]
	s_waitcnt vmcnt(8) lgkmcnt(0)
	v_mul_f64 v[159:160], v[6:7], v[24:25]
	v_mul_f64 v[24:25], v[8:9], v[24:25]
	v_fma_f64 v[157:158], v[4:5], v[18:19], v[157:158]
	v_fma_f64 v[165:166], v[2:3], v[18:19], -v[20:21]
	scratch_load_b128 v[18:21], off, off offset:528
	ds_load_b128 v[2:5], v1 offset:944
	v_add_f64 v[153:154], v[153:154], v[163:164]
	v_add_f64 v[155:156], v[155:156], v[161:162]
	v_fma_f64 v[159:160], v[8:9], v[22:23], v[159:160]
	v_fma_f64 v[22:23], v[6:7], v[22:23], -v[24:25]
	ds_load_b128 v[6:9], v1 offset:960
	s_waitcnt vmcnt(8) lgkmcnt(1)
	v_mul_f64 v[161:162], v[2:3], v[28:29]
	v_mul_f64 v[28:29], v[4:5], v[28:29]
	v_add_f64 v[24:25], v[153:154], v[165:166]
	v_add_f64 v[153:154], v[155:156], v[157:158]
	s_waitcnt vmcnt(7) lgkmcnt(0)
	v_mul_f64 v[155:156], v[6:7], v[32:33]
	v_mul_f64 v[32:33], v[8:9], v[32:33]
	v_fma_f64 v[157:158], v[4:5], v[26:27], v[161:162]
	v_fma_f64 v[26:27], v[2:3], v[26:27], -v[28:29]
	ds_load_b128 v[2:5], v1 offset:976
	v_add_f64 v[22:23], v[24:25], v[22:23]
	v_add_f64 v[24:25], v[153:154], v[159:160]
	v_fma_f64 v[153:154], v[8:9], v[30:31], v[155:156]
	v_fma_f64 v[30:31], v[6:7], v[30:31], -v[32:33]
	ds_load_b128 v[6:9], v1 offset:992
	s_waitcnt vmcnt(5) lgkmcnt(0)
	v_mul_f64 v[155:156], v[6:7], v[151:152]
	v_mul_f64 v[151:152], v[8:9], v[151:152]
	v_add_f64 v[26:27], v[22:23], v[26:27]
	v_add_f64 v[32:33], v[24:25], v[157:158]
	scratch_load_b128 v[22:25], off, off offset:288
	v_mul_f64 v[28:29], v[2:3], v[40:41]
	v_mul_f64 v[40:41], v[4:5], v[40:41]
	v_add_f64 v[26:27], v[26:27], v[30:31]
	v_add_f64 v[30:31], v[32:33], v[153:154]
	s_delay_alu instid0(VALU_DEP_4) | instskip(NEXT) | instid1(VALU_DEP_4)
	v_fma_f64 v[28:29], v[4:5], v[38:39], v[28:29]
	v_fma_f64 v[38:39], v[2:3], v[38:39], -v[40:41]
	ds_load_b128 v[2:5], v1 offset:1008
	v_fma_f64 v[40:41], v[8:9], v[149:150], v[155:156]
	v_fma_f64 v[149:150], v[6:7], v[149:150], -v[151:152]
	ds_load_b128 v[6:9], v1 offset:1024
	s_waitcnt vmcnt(5) lgkmcnt(1)
	v_mul_f64 v[32:33], v[2:3], v[36:37]
	v_mul_f64 v[36:37], v[4:5], v[36:37]
	v_add_f64 v[28:29], v[30:31], v[28:29]
	v_add_f64 v[26:27], v[26:27], v[38:39]
	s_waitcnt vmcnt(4) lgkmcnt(0)
	v_mul_f64 v[30:31], v[6:7], v[147:148]
	v_mul_f64 v[38:39], v[8:9], v[147:148]
	v_fma_f64 v[32:33], v[4:5], v[34:35], v[32:33]
	v_fma_f64 v[34:35], v[2:3], v[34:35], -v[36:37]
	ds_load_b128 v[2:5], v1 offset:1040
	v_add_f64 v[28:29], v[28:29], v[40:41]
	v_add_f64 v[26:27], v[26:27], v[149:150]
	v_fma_f64 v[30:31], v[8:9], v[145:146], v[30:31]
	v_fma_f64 v[38:39], v[6:7], v[145:146], -v[38:39]
	ds_load_b128 v[6:9], v1 offset:1056
	s_waitcnt vmcnt(3) lgkmcnt(1)
	v_mul_f64 v[36:37], v[2:3], v[12:13]
	v_mul_f64 v[12:13], v[4:5], v[12:13]
	v_add_f64 v[28:29], v[28:29], v[32:33]
	v_add_f64 v[26:27], v[26:27], v[34:35]
	s_waitcnt vmcnt(2) lgkmcnt(0)
	v_mul_f64 v[32:33], v[6:7], v[16:17]
	v_mul_f64 v[16:17], v[8:9], v[16:17]
	v_fma_f64 v[34:35], v[4:5], v[10:11], v[36:37]
	v_fma_f64 v[10:11], v[2:3], v[10:11], -v[12:13]
	ds_load_b128 v[2:5], v1 offset:1072
	v_add_f64 v[12:13], v[26:27], v[38:39]
	v_add_f64 v[26:27], v[28:29], v[30:31]
	s_waitcnt vmcnt(1) lgkmcnt(0)
	v_mul_f64 v[28:29], v[2:3], v[20:21]
	v_mul_f64 v[20:21], v[4:5], v[20:21]
	v_fma_f64 v[8:9], v[8:9], v[14:15], v[32:33]
	v_fma_f64 v[6:7], v[6:7], v[14:15], -v[16:17]
	v_add_f64 v[10:11], v[12:13], v[10:11]
	v_add_f64 v[12:13], v[26:27], v[34:35]
	v_fma_f64 v[4:5], v[4:5], v[18:19], v[28:29]
	v_fma_f64 v[2:3], v[2:3], v[18:19], -v[20:21]
	s_delay_alu instid0(VALU_DEP_4) | instskip(NEXT) | instid1(VALU_DEP_4)
	v_add_f64 v[6:7], v[10:11], v[6:7]
	v_add_f64 v[8:9], v[12:13], v[8:9]
	s_delay_alu instid0(VALU_DEP_2) | instskip(NEXT) | instid1(VALU_DEP_2)
	v_add_f64 v[2:3], v[6:7], v[2:3]
	v_add_f64 v[4:5], v[8:9], v[4:5]
	s_waitcnt vmcnt(0)
	s_delay_alu instid0(VALU_DEP_2) | instskip(NEXT) | instid1(VALU_DEP_2)
	v_add_f64 v[2:3], v[22:23], -v[2:3]
	v_add_f64 v[4:5], v[24:25], -v[4:5]
	scratch_store_b128 off, v[2:5], off offset:288
	v_cmpx_lt_u32_e32 17, v110
	s_cbranch_execz .LBB33_183
; %bb.182:
	scratch_load_b128 v[5:8], v131, off
	v_mov_b32_e32 v2, v1
	v_mov_b32_e32 v3, v1
	;; [unrolled: 1-line block ×3, first 2 shown]
	scratch_store_b128 off, v[1:4], off offset:272
	s_waitcnt vmcnt(0)
	ds_store_b128 v144, v[5:8]
.LBB33_183:
	s_or_b32 exec_lo, exec_lo, s2
	s_waitcnt lgkmcnt(0)
	s_waitcnt_vscnt null, 0x0
	s_barrier
	buffer_gl0_inv
	s_clause 0x7
	scratch_load_b128 v[2:5], off, off offset:288
	scratch_load_b128 v[6:9], off, off offset:304
	;; [unrolled: 1-line block ×8, first 2 shown]
	ds_load_b128 v[34:37], v1 offset:832
	ds_load_b128 v[145:148], v1 offset:848
	s_clause 0x1
	scratch_load_b128 v[38:41], off, off offset:416
	scratch_load_b128 v[149:152], off, off offset:432
	s_mov_b32 s2, exec_lo
	s_waitcnt vmcnt(9) lgkmcnt(1)
	v_mul_f64 v[153:154], v[36:37], v[4:5]
	v_mul_f64 v[4:5], v[34:35], v[4:5]
	s_waitcnt vmcnt(8) lgkmcnt(0)
	v_mul_f64 v[155:156], v[145:146], v[8:9]
	v_mul_f64 v[8:9], v[147:148], v[8:9]
	s_delay_alu instid0(VALU_DEP_4) | instskip(NEXT) | instid1(VALU_DEP_4)
	v_fma_f64 v[153:154], v[34:35], v[2:3], -v[153:154]
	v_fma_f64 v[157:158], v[36:37], v[2:3], v[4:5]
	ds_load_b128 v[2:5], v1 offset:864
	scratch_load_b128 v[34:37], off, off offset:448
	v_fma_f64 v[155:156], v[147:148], v[6:7], v[155:156]
	v_fma_f64 v[161:162], v[145:146], v[6:7], -v[8:9]
	ds_load_b128 v[6:9], v1 offset:880
	scratch_load_b128 v[145:148], off, off offset:464
	s_waitcnt vmcnt(9) lgkmcnt(1)
	v_mul_f64 v[159:160], v[2:3], v[12:13]
	v_mul_f64 v[12:13], v[4:5], v[12:13]
	s_waitcnt vmcnt(8) lgkmcnt(0)
	v_mul_f64 v[163:164], v[6:7], v[16:17]
	v_mul_f64 v[16:17], v[8:9], v[16:17]
	v_add_f64 v[153:154], v[153:154], 0
	v_add_f64 v[157:158], v[157:158], 0
	v_fma_f64 v[159:160], v[4:5], v[10:11], v[159:160]
	v_fma_f64 v[165:166], v[2:3], v[10:11], -v[12:13]
	scratch_load_b128 v[10:13], off, off offset:480
	ds_load_b128 v[2:5], v1 offset:896
	v_add_f64 v[153:154], v[153:154], v[161:162]
	v_add_f64 v[155:156], v[157:158], v[155:156]
	v_fma_f64 v[161:162], v[8:9], v[14:15], v[163:164]
	v_fma_f64 v[163:164], v[6:7], v[14:15], -v[16:17]
	ds_load_b128 v[6:9], v1 offset:912
	scratch_load_b128 v[14:17], off, off offset:496
	s_waitcnt vmcnt(9) lgkmcnt(1)
	v_mul_f64 v[157:158], v[2:3], v[20:21]
	v_mul_f64 v[20:21], v[4:5], v[20:21]
	v_add_f64 v[153:154], v[153:154], v[165:166]
	v_add_f64 v[155:156], v[155:156], v[159:160]
	s_waitcnt vmcnt(8) lgkmcnt(0)
	v_mul_f64 v[159:160], v[6:7], v[24:25]
	v_mul_f64 v[24:25], v[8:9], v[24:25]
	v_fma_f64 v[157:158], v[4:5], v[18:19], v[157:158]
	v_fma_f64 v[165:166], v[2:3], v[18:19], -v[20:21]
	scratch_load_b128 v[18:21], off, off offset:512
	ds_load_b128 v[2:5], v1 offset:928
	v_add_f64 v[153:154], v[153:154], v[163:164]
	v_add_f64 v[155:156], v[155:156], v[161:162]
	v_fma_f64 v[159:160], v[8:9], v[22:23], v[159:160]
	v_fma_f64 v[163:164], v[6:7], v[22:23], -v[24:25]
	ds_load_b128 v[6:9], v1 offset:944
	s_waitcnt vmcnt(8) lgkmcnt(1)
	v_mul_f64 v[161:162], v[2:3], v[28:29]
	v_mul_f64 v[28:29], v[4:5], v[28:29]
	scratch_load_b128 v[22:25], off, off offset:528
	v_add_f64 v[153:154], v[153:154], v[165:166]
	v_add_f64 v[155:156], v[155:156], v[157:158]
	s_waitcnt vmcnt(8) lgkmcnt(0)
	v_mul_f64 v[157:158], v[6:7], v[32:33]
	v_mul_f64 v[32:33], v[8:9], v[32:33]
	v_fma_f64 v[161:162], v[4:5], v[26:27], v[161:162]
	v_fma_f64 v[26:27], v[2:3], v[26:27], -v[28:29]
	ds_load_b128 v[2:5], v1 offset:960
	v_add_f64 v[28:29], v[153:154], v[163:164]
	v_add_f64 v[153:154], v[155:156], v[159:160]
	v_fma_f64 v[157:158], v[8:9], v[30:31], v[157:158]
	v_fma_f64 v[30:31], v[6:7], v[30:31], -v[32:33]
	ds_load_b128 v[6:9], v1 offset:976
	s_waitcnt vmcnt(7) lgkmcnt(1)
	v_mul_f64 v[155:156], v[2:3], v[40:41]
	v_mul_f64 v[40:41], v[4:5], v[40:41]
	v_add_f64 v[26:27], v[28:29], v[26:27]
	v_add_f64 v[28:29], v[153:154], v[161:162]
	s_delay_alu instid0(VALU_DEP_4) | instskip(NEXT) | instid1(VALU_DEP_4)
	v_fma_f64 v[153:154], v[4:5], v[38:39], v[155:156]
	v_fma_f64 v[38:39], v[2:3], v[38:39], -v[40:41]
	ds_load_b128 v[2:5], v1 offset:992
	v_add_f64 v[30:31], v[26:27], v[30:31]
	v_add_f64 v[40:41], v[28:29], v[157:158]
	scratch_load_b128 v[26:29], off, off offset:272
	s_waitcnt vmcnt(7) lgkmcnt(1)
	v_mul_f64 v[32:33], v[6:7], v[151:152]
	v_mul_f64 v[151:152], v[8:9], v[151:152]
	v_add_f64 v[30:31], v[30:31], v[38:39]
	v_add_f64 v[38:39], v[40:41], v[153:154]
	s_delay_alu instid0(VALU_DEP_4) | instskip(NEXT) | instid1(VALU_DEP_4)
	v_fma_f64 v[32:33], v[8:9], v[149:150], v[32:33]
	v_fma_f64 v[149:150], v[6:7], v[149:150], -v[151:152]
	ds_load_b128 v[6:9], v1 offset:1008
	s_waitcnt vmcnt(6) lgkmcnt(1)
	v_mul_f64 v[155:156], v[2:3], v[36:37]
	v_mul_f64 v[36:37], v[4:5], v[36:37]
	s_waitcnt vmcnt(5) lgkmcnt(0)
	v_mul_f64 v[40:41], v[6:7], v[147:148]
	v_mul_f64 v[147:148], v[8:9], v[147:148]
	v_add_f64 v[32:33], v[38:39], v[32:33]
	v_add_f64 v[30:31], v[30:31], v[149:150]
	v_fma_f64 v[151:152], v[4:5], v[34:35], v[155:156]
	v_fma_f64 v[34:35], v[2:3], v[34:35], -v[36:37]
	ds_load_b128 v[2:5], v1 offset:1024
	v_fma_f64 v[38:39], v[8:9], v[145:146], v[40:41]
	v_fma_f64 v[40:41], v[6:7], v[145:146], -v[147:148]
	ds_load_b128 v[6:9], v1 offset:1040
	s_waitcnt vmcnt(4) lgkmcnt(1)
	v_mul_f64 v[36:37], v[2:3], v[12:13]
	v_mul_f64 v[12:13], v[4:5], v[12:13]
	v_add_f64 v[32:33], v[32:33], v[151:152]
	v_add_f64 v[30:31], v[30:31], v[34:35]
	s_waitcnt vmcnt(3) lgkmcnt(0)
	v_mul_f64 v[34:35], v[6:7], v[16:17]
	v_mul_f64 v[16:17], v[8:9], v[16:17]
	v_fma_f64 v[36:37], v[4:5], v[10:11], v[36:37]
	v_fma_f64 v[10:11], v[2:3], v[10:11], -v[12:13]
	ds_load_b128 v[2:5], v1 offset:1056
	v_add_f64 v[12:13], v[30:31], v[40:41]
	v_add_f64 v[30:31], v[32:33], v[38:39]
	v_fma_f64 v[34:35], v[8:9], v[14:15], v[34:35]
	v_fma_f64 v[14:15], v[6:7], v[14:15], -v[16:17]
	ds_load_b128 v[6:9], v1 offset:1072
	s_waitcnt vmcnt(2) lgkmcnt(1)
	v_mul_f64 v[32:33], v[2:3], v[20:21]
	v_mul_f64 v[20:21], v[4:5], v[20:21]
	s_waitcnt vmcnt(1) lgkmcnt(0)
	v_mul_f64 v[16:17], v[6:7], v[24:25]
	v_mul_f64 v[24:25], v[8:9], v[24:25]
	v_add_f64 v[10:11], v[12:13], v[10:11]
	v_add_f64 v[12:13], v[30:31], v[36:37]
	v_fma_f64 v[4:5], v[4:5], v[18:19], v[32:33]
	v_fma_f64 v[1:2], v[2:3], v[18:19], -v[20:21]
	v_fma_f64 v[8:9], v[8:9], v[22:23], v[16:17]
	v_fma_f64 v[6:7], v[6:7], v[22:23], -v[24:25]
	v_add_f64 v[10:11], v[10:11], v[14:15]
	v_add_f64 v[12:13], v[12:13], v[34:35]
	s_delay_alu instid0(VALU_DEP_2) | instskip(NEXT) | instid1(VALU_DEP_2)
	v_add_f64 v[1:2], v[10:11], v[1:2]
	v_add_f64 v[3:4], v[12:13], v[4:5]
	s_delay_alu instid0(VALU_DEP_2) | instskip(NEXT) | instid1(VALU_DEP_2)
	v_add_f64 v[1:2], v[1:2], v[6:7]
	v_add_f64 v[3:4], v[3:4], v[8:9]
	s_waitcnt vmcnt(0)
	s_delay_alu instid0(VALU_DEP_2) | instskip(NEXT) | instid1(VALU_DEP_2)
	v_add_f64 v[1:2], v[26:27], -v[1:2]
	v_add_f64 v[3:4], v[28:29], -v[3:4]
	scratch_store_b128 off, v[1:4], off offset:272
	v_cmpx_lt_u32_e32 16, v110
	s_cbranch_execz .LBB33_185
; %bb.184:
	scratch_load_b128 v[1:4], v132, off
	v_mov_b32_e32 v5, 0
	s_delay_alu instid0(VALU_DEP_1)
	v_mov_b32_e32 v6, v5
	v_mov_b32_e32 v7, v5
	;; [unrolled: 1-line block ×3, first 2 shown]
	scratch_store_b128 off, v[5:8], off offset:256
	s_waitcnt vmcnt(0)
	ds_store_b128 v144, v[1:4]
.LBB33_185:
	s_or_b32 exec_lo, exec_lo, s2
	s_waitcnt lgkmcnt(0)
	s_waitcnt_vscnt null, 0x0
	s_barrier
	buffer_gl0_inv
	s_clause 0x7
	scratch_load_b128 v[2:5], off, off offset:272
	scratch_load_b128 v[6:9], off, off offset:288
	;; [unrolled: 1-line block ×8, first 2 shown]
	v_mov_b32_e32 v1, 0
	s_clause 0x1
	scratch_load_b128 v[38:41], off, off offset:400
	scratch_load_b128 v[149:152], off, off offset:416
	s_mov_b32 s2, exec_lo
	ds_load_b128 v[34:37], v1 offset:816
	ds_load_b128 v[145:148], v1 offset:832
	s_waitcnt vmcnt(9) lgkmcnt(1)
	v_mul_f64 v[153:154], v[36:37], v[4:5]
	v_mul_f64 v[4:5], v[34:35], v[4:5]
	s_waitcnt vmcnt(8) lgkmcnt(0)
	v_mul_f64 v[155:156], v[145:146], v[8:9]
	v_mul_f64 v[8:9], v[147:148], v[8:9]
	s_delay_alu instid0(VALU_DEP_4) | instskip(NEXT) | instid1(VALU_DEP_4)
	v_fma_f64 v[153:154], v[34:35], v[2:3], -v[153:154]
	v_fma_f64 v[157:158], v[36:37], v[2:3], v[4:5]
	ds_load_b128 v[2:5], v1 offset:848
	scratch_load_b128 v[34:37], off, off offset:432
	v_fma_f64 v[155:156], v[147:148], v[6:7], v[155:156]
	v_fma_f64 v[161:162], v[145:146], v[6:7], -v[8:9]
	ds_load_b128 v[6:9], v1 offset:864
	scratch_load_b128 v[145:148], off, off offset:448
	s_waitcnt vmcnt(9) lgkmcnt(1)
	v_mul_f64 v[159:160], v[2:3], v[12:13]
	v_mul_f64 v[12:13], v[4:5], v[12:13]
	s_waitcnt vmcnt(8) lgkmcnt(0)
	v_mul_f64 v[163:164], v[6:7], v[16:17]
	v_mul_f64 v[16:17], v[8:9], v[16:17]
	v_add_f64 v[153:154], v[153:154], 0
	v_add_f64 v[157:158], v[157:158], 0
	v_fma_f64 v[159:160], v[4:5], v[10:11], v[159:160]
	v_fma_f64 v[165:166], v[2:3], v[10:11], -v[12:13]
	scratch_load_b128 v[10:13], off, off offset:464
	ds_load_b128 v[2:5], v1 offset:880
	v_add_f64 v[153:154], v[153:154], v[161:162]
	v_add_f64 v[155:156], v[157:158], v[155:156]
	v_fma_f64 v[161:162], v[8:9], v[14:15], v[163:164]
	v_fma_f64 v[163:164], v[6:7], v[14:15], -v[16:17]
	ds_load_b128 v[6:9], v1 offset:896
	scratch_load_b128 v[14:17], off, off offset:480
	s_waitcnt vmcnt(9) lgkmcnt(1)
	v_mul_f64 v[157:158], v[2:3], v[20:21]
	v_mul_f64 v[20:21], v[4:5], v[20:21]
	v_add_f64 v[153:154], v[153:154], v[165:166]
	v_add_f64 v[155:156], v[155:156], v[159:160]
	s_waitcnt vmcnt(8) lgkmcnt(0)
	v_mul_f64 v[159:160], v[6:7], v[24:25]
	v_mul_f64 v[24:25], v[8:9], v[24:25]
	v_fma_f64 v[157:158], v[4:5], v[18:19], v[157:158]
	v_fma_f64 v[165:166], v[2:3], v[18:19], -v[20:21]
	scratch_load_b128 v[18:21], off, off offset:496
	ds_load_b128 v[2:5], v1 offset:912
	v_add_f64 v[153:154], v[153:154], v[163:164]
	v_add_f64 v[155:156], v[155:156], v[161:162]
	v_fma_f64 v[159:160], v[8:9], v[22:23], v[159:160]
	v_fma_f64 v[163:164], v[6:7], v[22:23], -v[24:25]
	ds_load_b128 v[6:9], v1 offset:928
	s_waitcnt vmcnt(8) lgkmcnt(1)
	v_mul_f64 v[161:162], v[2:3], v[28:29]
	v_mul_f64 v[28:29], v[4:5], v[28:29]
	scratch_load_b128 v[22:25], off, off offset:512
	v_add_f64 v[153:154], v[153:154], v[165:166]
	v_add_f64 v[155:156], v[155:156], v[157:158]
	s_waitcnt vmcnt(8) lgkmcnt(0)
	v_mul_f64 v[157:158], v[6:7], v[32:33]
	v_mul_f64 v[32:33], v[8:9], v[32:33]
	v_fma_f64 v[161:162], v[4:5], v[26:27], v[161:162]
	v_fma_f64 v[165:166], v[2:3], v[26:27], -v[28:29]
	scratch_load_b128 v[26:29], off, off offset:528
	ds_load_b128 v[2:5], v1 offset:944
	v_add_f64 v[153:154], v[153:154], v[163:164]
	v_add_f64 v[155:156], v[155:156], v[159:160]
	v_fma_f64 v[157:158], v[8:9], v[30:31], v[157:158]
	v_fma_f64 v[30:31], v[6:7], v[30:31], -v[32:33]
	ds_load_b128 v[6:9], v1 offset:960
	s_waitcnt vmcnt(8) lgkmcnt(1)
	v_mul_f64 v[159:160], v[2:3], v[40:41]
	v_mul_f64 v[40:41], v[4:5], v[40:41]
	v_add_f64 v[32:33], v[153:154], v[165:166]
	v_add_f64 v[153:154], v[155:156], v[161:162]
	s_waitcnt vmcnt(7) lgkmcnt(0)
	v_mul_f64 v[155:156], v[6:7], v[151:152]
	v_mul_f64 v[151:152], v[8:9], v[151:152]
	v_fma_f64 v[159:160], v[4:5], v[38:39], v[159:160]
	v_fma_f64 v[38:39], v[2:3], v[38:39], -v[40:41]
	ds_load_b128 v[2:5], v1 offset:976
	v_add_f64 v[30:31], v[32:33], v[30:31]
	v_add_f64 v[32:33], v[153:154], v[157:158]
	v_fma_f64 v[153:154], v[8:9], v[149:150], v[155:156]
	v_fma_f64 v[149:150], v[6:7], v[149:150], -v[151:152]
	ds_load_b128 v[6:9], v1 offset:992
	s_waitcnt vmcnt(5) lgkmcnt(0)
	v_mul_f64 v[155:156], v[6:7], v[147:148]
	v_mul_f64 v[147:148], v[8:9], v[147:148]
	v_add_f64 v[38:39], v[30:31], v[38:39]
	v_add_f64 v[151:152], v[32:33], v[159:160]
	scratch_load_b128 v[30:33], off, off offset:256
	v_mul_f64 v[40:41], v[2:3], v[36:37]
	v_mul_f64 v[36:37], v[4:5], v[36:37]
	s_delay_alu instid0(VALU_DEP_2) | instskip(NEXT) | instid1(VALU_DEP_2)
	v_fma_f64 v[40:41], v[4:5], v[34:35], v[40:41]
	v_fma_f64 v[34:35], v[2:3], v[34:35], -v[36:37]
	v_add_f64 v[36:37], v[38:39], v[149:150]
	v_add_f64 v[38:39], v[151:152], v[153:154]
	ds_load_b128 v[2:5], v1 offset:1008
	v_fma_f64 v[151:152], v[8:9], v[145:146], v[155:156]
	v_fma_f64 v[145:146], v[6:7], v[145:146], -v[147:148]
	ds_load_b128 v[6:9], v1 offset:1024
	s_waitcnt vmcnt(5) lgkmcnt(1)
	v_mul_f64 v[149:150], v[2:3], v[12:13]
	v_mul_f64 v[12:13], v[4:5], v[12:13]
	v_add_f64 v[34:35], v[36:37], v[34:35]
	v_add_f64 v[36:37], v[38:39], v[40:41]
	s_waitcnt vmcnt(4) lgkmcnt(0)
	v_mul_f64 v[38:39], v[6:7], v[16:17]
	v_mul_f64 v[16:17], v[8:9], v[16:17]
	v_fma_f64 v[40:41], v[4:5], v[10:11], v[149:150]
	v_fma_f64 v[10:11], v[2:3], v[10:11], -v[12:13]
	ds_load_b128 v[2:5], v1 offset:1040
	v_add_f64 v[12:13], v[34:35], v[145:146]
	v_add_f64 v[34:35], v[36:37], v[151:152]
	v_fma_f64 v[38:39], v[8:9], v[14:15], v[38:39]
	v_fma_f64 v[14:15], v[6:7], v[14:15], -v[16:17]
	ds_load_b128 v[6:9], v1 offset:1056
	s_waitcnt vmcnt(3) lgkmcnt(1)
	v_mul_f64 v[36:37], v[2:3], v[20:21]
	v_mul_f64 v[20:21], v[4:5], v[20:21]
	s_waitcnt vmcnt(2) lgkmcnt(0)
	v_mul_f64 v[16:17], v[6:7], v[24:25]
	v_mul_f64 v[24:25], v[8:9], v[24:25]
	v_add_f64 v[10:11], v[12:13], v[10:11]
	v_add_f64 v[12:13], v[34:35], v[40:41]
	v_fma_f64 v[34:35], v[4:5], v[18:19], v[36:37]
	v_fma_f64 v[18:19], v[2:3], v[18:19], -v[20:21]
	ds_load_b128 v[2:5], v1 offset:1072
	v_fma_f64 v[8:9], v[8:9], v[22:23], v[16:17]
	v_fma_f64 v[6:7], v[6:7], v[22:23], -v[24:25]
	s_waitcnt vmcnt(1) lgkmcnt(0)
	v_mul_f64 v[20:21], v[4:5], v[28:29]
	v_add_f64 v[10:11], v[10:11], v[14:15]
	v_add_f64 v[12:13], v[12:13], v[38:39]
	v_mul_f64 v[14:15], v[2:3], v[28:29]
	s_delay_alu instid0(VALU_DEP_4) | instskip(NEXT) | instid1(VALU_DEP_4)
	v_fma_f64 v[2:3], v[2:3], v[26:27], -v[20:21]
	v_add_f64 v[10:11], v[10:11], v[18:19]
	s_delay_alu instid0(VALU_DEP_4) | instskip(NEXT) | instid1(VALU_DEP_4)
	v_add_f64 v[12:13], v[12:13], v[34:35]
	v_fma_f64 v[4:5], v[4:5], v[26:27], v[14:15]
	s_delay_alu instid0(VALU_DEP_3) | instskip(NEXT) | instid1(VALU_DEP_3)
	v_add_f64 v[6:7], v[10:11], v[6:7]
	v_add_f64 v[8:9], v[12:13], v[8:9]
	s_delay_alu instid0(VALU_DEP_2) | instskip(NEXT) | instid1(VALU_DEP_2)
	v_add_f64 v[2:3], v[6:7], v[2:3]
	v_add_f64 v[4:5], v[8:9], v[4:5]
	s_waitcnt vmcnt(0)
	s_delay_alu instid0(VALU_DEP_2) | instskip(NEXT) | instid1(VALU_DEP_2)
	v_add_f64 v[2:3], v[30:31], -v[2:3]
	v_add_f64 v[4:5], v[32:33], -v[4:5]
	scratch_store_b128 off, v[2:5], off offset:256
	v_cmpx_lt_u32_e32 15, v110
	s_cbranch_execz .LBB33_187
; %bb.186:
	scratch_load_b128 v[5:8], v134, off
	v_mov_b32_e32 v2, v1
	v_mov_b32_e32 v3, v1
	;; [unrolled: 1-line block ×3, first 2 shown]
	scratch_store_b128 off, v[1:4], off offset:240
	s_waitcnt vmcnt(0)
	ds_store_b128 v144, v[5:8]
.LBB33_187:
	s_or_b32 exec_lo, exec_lo, s2
	s_waitcnt lgkmcnt(0)
	s_waitcnt_vscnt null, 0x0
	s_barrier
	buffer_gl0_inv
	s_clause 0x7
	scratch_load_b128 v[2:5], off, off offset:256
	scratch_load_b128 v[6:9], off, off offset:272
	scratch_load_b128 v[10:13], off, off offset:288
	scratch_load_b128 v[14:17], off, off offset:304
	scratch_load_b128 v[18:21], off, off offset:320
	scratch_load_b128 v[22:25], off, off offset:336
	scratch_load_b128 v[26:29], off, off offset:352
	scratch_load_b128 v[30:33], off, off offset:368
	ds_load_b128 v[34:37], v1 offset:800
	ds_load_b128 v[145:148], v1 offset:816
	s_clause 0x1
	scratch_load_b128 v[38:41], off, off offset:384
	scratch_load_b128 v[149:152], off, off offset:400
	s_mov_b32 s2, exec_lo
	s_waitcnt vmcnt(9) lgkmcnt(1)
	v_mul_f64 v[153:154], v[36:37], v[4:5]
	v_mul_f64 v[4:5], v[34:35], v[4:5]
	s_waitcnt vmcnt(8) lgkmcnt(0)
	v_mul_f64 v[155:156], v[145:146], v[8:9]
	v_mul_f64 v[8:9], v[147:148], v[8:9]
	s_delay_alu instid0(VALU_DEP_4) | instskip(NEXT) | instid1(VALU_DEP_4)
	v_fma_f64 v[153:154], v[34:35], v[2:3], -v[153:154]
	v_fma_f64 v[157:158], v[36:37], v[2:3], v[4:5]
	scratch_load_b128 v[34:37], off, off offset:416
	ds_load_b128 v[2:5], v1 offset:832
	v_fma_f64 v[155:156], v[147:148], v[6:7], v[155:156]
	v_fma_f64 v[161:162], v[145:146], v[6:7], -v[8:9]
	ds_load_b128 v[6:9], v1 offset:848
	scratch_load_b128 v[145:148], off, off offset:432
	s_waitcnt vmcnt(9) lgkmcnt(1)
	v_mul_f64 v[159:160], v[2:3], v[12:13]
	v_mul_f64 v[12:13], v[4:5], v[12:13]
	s_waitcnt vmcnt(8) lgkmcnt(0)
	v_mul_f64 v[163:164], v[6:7], v[16:17]
	v_mul_f64 v[16:17], v[8:9], v[16:17]
	v_add_f64 v[153:154], v[153:154], 0
	v_add_f64 v[157:158], v[157:158], 0
	v_fma_f64 v[159:160], v[4:5], v[10:11], v[159:160]
	v_fma_f64 v[165:166], v[2:3], v[10:11], -v[12:13]
	scratch_load_b128 v[10:13], off, off offset:448
	ds_load_b128 v[2:5], v1 offset:864
	v_add_f64 v[153:154], v[153:154], v[161:162]
	v_add_f64 v[155:156], v[157:158], v[155:156]
	v_fma_f64 v[161:162], v[8:9], v[14:15], v[163:164]
	v_fma_f64 v[163:164], v[6:7], v[14:15], -v[16:17]
	ds_load_b128 v[6:9], v1 offset:880
	scratch_load_b128 v[14:17], off, off offset:464
	s_waitcnt vmcnt(9) lgkmcnt(1)
	v_mul_f64 v[157:158], v[2:3], v[20:21]
	v_mul_f64 v[20:21], v[4:5], v[20:21]
	v_add_f64 v[153:154], v[153:154], v[165:166]
	v_add_f64 v[155:156], v[155:156], v[159:160]
	s_waitcnt vmcnt(8) lgkmcnt(0)
	v_mul_f64 v[159:160], v[6:7], v[24:25]
	v_mul_f64 v[24:25], v[8:9], v[24:25]
	v_fma_f64 v[157:158], v[4:5], v[18:19], v[157:158]
	v_fma_f64 v[165:166], v[2:3], v[18:19], -v[20:21]
	scratch_load_b128 v[18:21], off, off offset:480
	ds_load_b128 v[2:5], v1 offset:896
	v_add_f64 v[153:154], v[153:154], v[163:164]
	v_add_f64 v[155:156], v[155:156], v[161:162]
	v_fma_f64 v[159:160], v[8:9], v[22:23], v[159:160]
	v_fma_f64 v[163:164], v[6:7], v[22:23], -v[24:25]
	ds_load_b128 v[6:9], v1 offset:912
	s_waitcnt vmcnt(8) lgkmcnt(1)
	v_mul_f64 v[161:162], v[2:3], v[28:29]
	v_mul_f64 v[28:29], v[4:5], v[28:29]
	scratch_load_b128 v[22:25], off, off offset:496
	v_add_f64 v[153:154], v[153:154], v[165:166]
	v_add_f64 v[155:156], v[155:156], v[157:158]
	s_waitcnt vmcnt(8) lgkmcnt(0)
	v_mul_f64 v[157:158], v[6:7], v[32:33]
	v_mul_f64 v[32:33], v[8:9], v[32:33]
	v_fma_f64 v[161:162], v[4:5], v[26:27], v[161:162]
	v_fma_f64 v[165:166], v[2:3], v[26:27], -v[28:29]
	scratch_load_b128 v[26:29], off, off offset:512
	ds_load_b128 v[2:5], v1 offset:928
	v_add_f64 v[153:154], v[153:154], v[163:164]
	v_add_f64 v[155:156], v[155:156], v[159:160]
	v_fma_f64 v[157:158], v[8:9], v[30:31], v[157:158]
	v_fma_f64 v[163:164], v[6:7], v[30:31], -v[32:33]
	ds_load_b128 v[6:9], v1 offset:944
	s_waitcnt vmcnt(8) lgkmcnt(1)
	v_mul_f64 v[159:160], v[2:3], v[40:41]
	v_mul_f64 v[40:41], v[4:5], v[40:41]
	scratch_load_b128 v[30:33], off, off offset:528
	v_add_f64 v[153:154], v[153:154], v[165:166]
	v_add_f64 v[155:156], v[155:156], v[161:162]
	v_fma_f64 v[159:160], v[4:5], v[38:39], v[159:160]
	v_fma_f64 v[38:39], v[2:3], v[38:39], -v[40:41]
	ds_load_b128 v[2:5], v1 offset:960
	v_add_f64 v[40:41], v[153:154], v[163:164]
	v_add_f64 v[153:154], v[155:156], v[157:158]
	s_waitcnt vmcnt(7) lgkmcnt(0)
	v_mul_f64 v[155:156], v[2:3], v[36:37]
	v_mul_f64 v[36:37], v[4:5], v[36:37]
	s_delay_alu instid0(VALU_DEP_4) | instskip(NEXT) | instid1(VALU_DEP_4)
	v_add_f64 v[38:39], v[40:41], v[38:39]
	v_add_f64 v[40:41], v[153:154], v[159:160]
	s_delay_alu instid0(VALU_DEP_4) | instskip(NEXT) | instid1(VALU_DEP_4)
	v_fma_f64 v[153:154], v[4:5], v[34:35], v[155:156]
	v_fma_f64 v[155:156], v[2:3], v[34:35], -v[36:37]
	scratch_load_b128 v[34:37], off, off offset:240
	v_mul_f64 v[161:162], v[6:7], v[151:152]
	v_mul_f64 v[151:152], v[8:9], v[151:152]
	ds_load_b128 v[2:5], v1 offset:992
	v_fma_f64 v[157:158], v[8:9], v[149:150], v[161:162]
	v_fma_f64 v[149:150], v[6:7], v[149:150], -v[151:152]
	ds_load_b128 v[6:9], v1 offset:976
	s_waitcnt vmcnt(7) lgkmcnt(0)
	v_mul_f64 v[151:152], v[6:7], v[147:148]
	v_mul_f64 v[147:148], v[8:9], v[147:148]
	v_add_f64 v[40:41], v[40:41], v[157:158]
	v_add_f64 v[38:39], v[38:39], v[149:150]
	s_waitcnt vmcnt(6)
	v_mul_f64 v[149:150], v[2:3], v[12:13]
	v_mul_f64 v[12:13], v[4:5], v[12:13]
	v_fma_f64 v[151:152], v[8:9], v[145:146], v[151:152]
	v_fma_f64 v[145:146], v[6:7], v[145:146], -v[147:148]
	ds_load_b128 v[6:9], v1 offset:1008
	v_add_f64 v[40:41], v[40:41], v[153:154]
	v_add_f64 v[38:39], v[38:39], v[155:156]
	v_fma_f64 v[149:150], v[4:5], v[10:11], v[149:150]
	v_fma_f64 v[10:11], v[2:3], v[10:11], -v[12:13]
	ds_load_b128 v[2:5], v1 offset:1024
	s_waitcnt vmcnt(5) lgkmcnt(1)
	v_mul_f64 v[147:148], v[6:7], v[16:17]
	v_mul_f64 v[16:17], v[8:9], v[16:17]
	v_add_f64 v[12:13], v[38:39], v[145:146]
	v_add_f64 v[38:39], v[40:41], v[151:152]
	s_waitcnt vmcnt(4) lgkmcnt(0)
	v_mul_f64 v[40:41], v[2:3], v[20:21]
	v_mul_f64 v[20:21], v[4:5], v[20:21]
	v_fma_f64 v[145:146], v[8:9], v[14:15], v[147:148]
	v_fma_f64 v[14:15], v[6:7], v[14:15], -v[16:17]
	ds_load_b128 v[6:9], v1 offset:1040
	v_add_f64 v[10:11], v[12:13], v[10:11]
	v_add_f64 v[12:13], v[38:39], v[149:150]
	v_fma_f64 v[38:39], v[4:5], v[18:19], v[40:41]
	v_fma_f64 v[18:19], v[2:3], v[18:19], -v[20:21]
	ds_load_b128 v[2:5], v1 offset:1056
	s_waitcnt vmcnt(3) lgkmcnt(1)
	v_mul_f64 v[16:17], v[6:7], v[24:25]
	v_mul_f64 v[24:25], v[8:9], v[24:25]
	s_waitcnt vmcnt(2) lgkmcnt(0)
	v_mul_f64 v[20:21], v[4:5], v[28:29]
	v_add_f64 v[10:11], v[10:11], v[14:15]
	v_add_f64 v[12:13], v[12:13], v[145:146]
	v_mul_f64 v[14:15], v[2:3], v[28:29]
	v_fma_f64 v[16:17], v[8:9], v[22:23], v[16:17]
	v_fma_f64 v[22:23], v[6:7], v[22:23], -v[24:25]
	ds_load_b128 v[6:9], v1 offset:1072
	v_fma_f64 v[1:2], v[2:3], v[26:27], -v[20:21]
	s_waitcnt vmcnt(1) lgkmcnt(0)
	v_mul_f64 v[24:25], v[8:9], v[32:33]
	v_add_f64 v[10:11], v[10:11], v[18:19]
	v_add_f64 v[12:13], v[12:13], v[38:39]
	v_mul_f64 v[18:19], v[6:7], v[32:33]
	v_fma_f64 v[4:5], v[4:5], v[26:27], v[14:15]
	v_fma_f64 v[6:7], v[6:7], v[30:31], -v[24:25]
	v_add_f64 v[10:11], v[10:11], v[22:23]
	v_add_f64 v[12:13], v[12:13], v[16:17]
	v_fma_f64 v[8:9], v[8:9], v[30:31], v[18:19]
	s_delay_alu instid0(VALU_DEP_3) | instskip(NEXT) | instid1(VALU_DEP_3)
	v_add_f64 v[1:2], v[10:11], v[1:2]
	v_add_f64 v[3:4], v[12:13], v[4:5]
	s_delay_alu instid0(VALU_DEP_2) | instskip(NEXT) | instid1(VALU_DEP_2)
	v_add_f64 v[1:2], v[1:2], v[6:7]
	v_add_f64 v[3:4], v[3:4], v[8:9]
	s_waitcnt vmcnt(0)
	s_delay_alu instid0(VALU_DEP_2) | instskip(NEXT) | instid1(VALU_DEP_2)
	v_add_f64 v[1:2], v[34:35], -v[1:2]
	v_add_f64 v[3:4], v[36:37], -v[3:4]
	scratch_store_b128 off, v[1:4], off offset:240
	v_cmpx_lt_u32_e32 14, v110
	s_cbranch_execz .LBB33_189
; %bb.188:
	scratch_load_b128 v[1:4], v133, off
	v_mov_b32_e32 v5, 0
	s_delay_alu instid0(VALU_DEP_1)
	v_mov_b32_e32 v6, v5
	v_mov_b32_e32 v7, v5
	;; [unrolled: 1-line block ×3, first 2 shown]
	scratch_store_b128 off, v[5:8], off offset:224
	s_waitcnt vmcnt(0)
	ds_store_b128 v144, v[1:4]
.LBB33_189:
	s_or_b32 exec_lo, exec_lo, s2
	s_waitcnt lgkmcnt(0)
	s_waitcnt_vscnt null, 0x0
	s_barrier
	buffer_gl0_inv
	s_clause 0x7
	scratch_load_b128 v[2:5], off, off offset:240
	scratch_load_b128 v[6:9], off, off offset:256
	;; [unrolled: 1-line block ×8, first 2 shown]
	v_mov_b32_e32 v1, 0
	s_clause 0x1
	scratch_load_b128 v[38:41], off, off offset:368
	scratch_load_b128 v[149:152], off, off offset:384
	s_mov_b32 s2, exec_lo
	ds_load_b128 v[34:37], v1 offset:784
	ds_load_b128 v[145:148], v1 offset:800
	s_waitcnt vmcnt(9) lgkmcnt(1)
	v_mul_f64 v[153:154], v[36:37], v[4:5]
	v_mul_f64 v[4:5], v[34:35], v[4:5]
	s_waitcnt vmcnt(8) lgkmcnt(0)
	v_mul_f64 v[155:156], v[145:146], v[8:9]
	v_mul_f64 v[8:9], v[147:148], v[8:9]
	s_delay_alu instid0(VALU_DEP_4) | instskip(NEXT) | instid1(VALU_DEP_4)
	v_fma_f64 v[153:154], v[34:35], v[2:3], -v[153:154]
	v_fma_f64 v[157:158], v[36:37], v[2:3], v[4:5]
	ds_load_b128 v[2:5], v1 offset:816
	scratch_load_b128 v[34:37], off, off offset:400
	v_fma_f64 v[155:156], v[147:148], v[6:7], v[155:156]
	v_fma_f64 v[161:162], v[145:146], v[6:7], -v[8:9]
	scratch_load_b128 v[145:148], off, off offset:416
	ds_load_b128 v[6:9], v1 offset:832
	s_waitcnt vmcnt(9) lgkmcnt(1)
	v_mul_f64 v[159:160], v[2:3], v[12:13]
	v_mul_f64 v[12:13], v[4:5], v[12:13]
	s_waitcnt vmcnt(8) lgkmcnt(0)
	v_mul_f64 v[163:164], v[6:7], v[16:17]
	v_mul_f64 v[16:17], v[8:9], v[16:17]
	v_add_f64 v[153:154], v[153:154], 0
	v_add_f64 v[157:158], v[157:158], 0
	v_fma_f64 v[159:160], v[4:5], v[10:11], v[159:160]
	v_fma_f64 v[165:166], v[2:3], v[10:11], -v[12:13]
	ds_load_b128 v[2:5], v1 offset:848
	scratch_load_b128 v[10:13], off, off offset:432
	v_add_f64 v[153:154], v[153:154], v[161:162]
	v_add_f64 v[155:156], v[157:158], v[155:156]
	v_fma_f64 v[161:162], v[8:9], v[14:15], v[163:164]
	v_fma_f64 v[163:164], v[6:7], v[14:15], -v[16:17]
	ds_load_b128 v[6:9], v1 offset:864
	scratch_load_b128 v[14:17], off, off offset:448
	s_waitcnt vmcnt(9) lgkmcnt(1)
	v_mul_f64 v[157:158], v[2:3], v[20:21]
	v_mul_f64 v[20:21], v[4:5], v[20:21]
	v_add_f64 v[153:154], v[153:154], v[165:166]
	v_add_f64 v[155:156], v[155:156], v[159:160]
	s_waitcnt vmcnt(8) lgkmcnt(0)
	v_mul_f64 v[159:160], v[6:7], v[24:25]
	v_mul_f64 v[24:25], v[8:9], v[24:25]
	v_fma_f64 v[157:158], v[4:5], v[18:19], v[157:158]
	v_fma_f64 v[165:166], v[2:3], v[18:19], -v[20:21]
	scratch_load_b128 v[18:21], off, off offset:464
	ds_load_b128 v[2:5], v1 offset:880
	v_add_f64 v[153:154], v[153:154], v[163:164]
	v_add_f64 v[155:156], v[155:156], v[161:162]
	v_fma_f64 v[159:160], v[8:9], v[22:23], v[159:160]
	v_fma_f64 v[163:164], v[6:7], v[22:23], -v[24:25]
	ds_load_b128 v[6:9], v1 offset:896
	s_waitcnt vmcnt(8) lgkmcnt(1)
	v_mul_f64 v[161:162], v[2:3], v[28:29]
	v_mul_f64 v[28:29], v[4:5], v[28:29]
	scratch_load_b128 v[22:25], off, off offset:480
	v_add_f64 v[153:154], v[153:154], v[165:166]
	v_add_f64 v[155:156], v[155:156], v[157:158]
	s_waitcnt vmcnt(8) lgkmcnt(0)
	v_mul_f64 v[157:158], v[6:7], v[32:33]
	v_mul_f64 v[32:33], v[8:9], v[32:33]
	v_fma_f64 v[161:162], v[4:5], v[26:27], v[161:162]
	v_fma_f64 v[165:166], v[2:3], v[26:27], -v[28:29]
	scratch_load_b128 v[26:29], off, off offset:496
	ds_load_b128 v[2:5], v1 offset:912
	v_add_f64 v[153:154], v[153:154], v[163:164]
	v_add_f64 v[155:156], v[155:156], v[159:160]
	v_fma_f64 v[157:158], v[8:9], v[30:31], v[157:158]
	v_fma_f64 v[163:164], v[6:7], v[30:31], -v[32:33]
	ds_load_b128 v[6:9], v1 offset:928
	s_waitcnt vmcnt(8) lgkmcnt(1)
	v_mul_f64 v[159:160], v[2:3], v[40:41]
	v_mul_f64 v[40:41], v[4:5], v[40:41]
	scratch_load_b128 v[30:33], off, off offset:512
	v_add_f64 v[153:154], v[153:154], v[165:166]
	v_add_f64 v[155:156], v[155:156], v[161:162]
	s_waitcnt vmcnt(8) lgkmcnt(0)
	v_mul_f64 v[161:162], v[6:7], v[151:152]
	v_mul_f64 v[151:152], v[8:9], v[151:152]
	v_fma_f64 v[159:160], v[4:5], v[38:39], v[159:160]
	v_fma_f64 v[165:166], v[2:3], v[38:39], -v[40:41]
	scratch_load_b128 v[38:41], off, off offset:528
	ds_load_b128 v[2:5], v1 offset:944
	v_add_f64 v[153:154], v[153:154], v[163:164]
	v_add_f64 v[155:156], v[155:156], v[157:158]
	v_fma_f64 v[161:162], v[8:9], v[149:150], v[161:162]
	v_fma_f64 v[149:150], v[6:7], v[149:150], -v[151:152]
	ds_load_b128 v[6:9], v1 offset:960
	s_waitcnt vmcnt(8) lgkmcnt(1)
	v_mul_f64 v[157:158], v[2:3], v[36:37]
	v_mul_f64 v[36:37], v[4:5], v[36:37]
	v_add_f64 v[151:152], v[153:154], v[165:166]
	v_add_f64 v[153:154], v[155:156], v[159:160]
	s_waitcnt vmcnt(7) lgkmcnt(0)
	v_mul_f64 v[155:156], v[6:7], v[147:148]
	v_mul_f64 v[147:148], v[8:9], v[147:148]
	v_fma_f64 v[157:158], v[4:5], v[34:35], v[157:158]
	v_fma_f64 v[34:35], v[2:3], v[34:35], -v[36:37]
	ds_load_b128 v[2:5], v1 offset:976
	v_add_f64 v[36:37], v[151:152], v[149:150]
	v_add_f64 v[149:150], v[153:154], v[161:162]
	v_fma_f64 v[153:154], v[8:9], v[145:146], v[155:156]
	v_fma_f64 v[145:146], v[6:7], v[145:146], -v[147:148]
	ds_load_b128 v[6:9], v1 offset:992
	s_waitcnt vmcnt(5) lgkmcnt(0)
	v_mul_f64 v[155:156], v[6:7], v[16:17]
	v_mul_f64 v[16:17], v[8:9], v[16:17]
	v_add_f64 v[147:148], v[36:37], v[34:35]
	v_add_f64 v[149:150], v[149:150], v[157:158]
	scratch_load_b128 v[34:37], off, off offset:224
	v_mul_f64 v[151:152], v[2:3], v[12:13]
	v_mul_f64 v[12:13], v[4:5], v[12:13]
	s_delay_alu instid0(VALU_DEP_2) | instskip(NEXT) | instid1(VALU_DEP_2)
	v_fma_f64 v[151:152], v[4:5], v[10:11], v[151:152]
	v_fma_f64 v[10:11], v[2:3], v[10:11], -v[12:13]
	v_add_f64 v[12:13], v[147:148], v[145:146]
	v_add_f64 v[145:146], v[149:150], v[153:154]
	ds_load_b128 v[2:5], v1 offset:1008
	v_fma_f64 v[149:150], v[8:9], v[14:15], v[155:156]
	v_fma_f64 v[14:15], v[6:7], v[14:15], -v[16:17]
	ds_load_b128 v[6:9], v1 offset:1024
	s_waitcnt vmcnt(5) lgkmcnt(1)
	v_mul_f64 v[147:148], v[2:3], v[20:21]
	v_mul_f64 v[20:21], v[4:5], v[20:21]
	s_waitcnt vmcnt(4) lgkmcnt(0)
	v_mul_f64 v[16:17], v[6:7], v[24:25]
	v_mul_f64 v[24:25], v[8:9], v[24:25]
	v_add_f64 v[10:11], v[12:13], v[10:11]
	v_add_f64 v[12:13], v[145:146], v[151:152]
	v_fma_f64 v[145:146], v[4:5], v[18:19], v[147:148]
	v_fma_f64 v[18:19], v[2:3], v[18:19], -v[20:21]
	ds_load_b128 v[2:5], v1 offset:1040
	v_fma_f64 v[16:17], v[8:9], v[22:23], v[16:17]
	v_fma_f64 v[22:23], v[6:7], v[22:23], -v[24:25]
	ds_load_b128 v[6:9], v1 offset:1056
	v_add_f64 v[10:11], v[10:11], v[14:15]
	v_add_f64 v[12:13], v[12:13], v[149:150]
	s_waitcnt vmcnt(3) lgkmcnt(1)
	v_mul_f64 v[14:15], v[2:3], v[28:29]
	v_mul_f64 v[20:21], v[4:5], v[28:29]
	s_waitcnt vmcnt(2) lgkmcnt(0)
	v_mul_f64 v[24:25], v[8:9], v[32:33]
	v_add_f64 v[10:11], v[10:11], v[18:19]
	v_add_f64 v[12:13], v[12:13], v[145:146]
	v_mul_f64 v[18:19], v[6:7], v[32:33]
	v_fma_f64 v[14:15], v[4:5], v[26:27], v[14:15]
	v_fma_f64 v[20:21], v[2:3], v[26:27], -v[20:21]
	ds_load_b128 v[2:5], v1 offset:1072
	v_fma_f64 v[6:7], v[6:7], v[30:31], -v[24:25]
	v_add_f64 v[10:11], v[10:11], v[22:23]
	v_add_f64 v[12:13], v[12:13], v[16:17]
	s_waitcnt vmcnt(1) lgkmcnt(0)
	v_mul_f64 v[16:17], v[2:3], v[40:41]
	v_mul_f64 v[22:23], v[4:5], v[40:41]
	v_fma_f64 v[8:9], v[8:9], v[30:31], v[18:19]
	v_add_f64 v[10:11], v[10:11], v[20:21]
	v_add_f64 v[12:13], v[12:13], v[14:15]
	v_fma_f64 v[4:5], v[4:5], v[38:39], v[16:17]
	v_fma_f64 v[2:3], v[2:3], v[38:39], -v[22:23]
	s_delay_alu instid0(VALU_DEP_4) | instskip(NEXT) | instid1(VALU_DEP_4)
	v_add_f64 v[6:7], v[10:11], v[6:7]
	v_add_f64 v[8:9], v[12:13], v[8:9]
	s_delay_alu instid0(VALU_DEP_2) | instskip(NEXT) | instid1(VALU_DEP_2)
	v_add_f64 v[2:3], v[6:7], v[2:3]
	v_add_f64 v[4:5], v[8:9], v[4:5]
	s_waitcnt vmcnt(0)
	s_delay_alu instid0(VALU_DEP_2) | instskip(NEXT) | instid1(VALU_DEP_2)
	v_add_f64 v[2:3], v[34:35], -v[2:3]
	v_add_f64 v[4:5], v[36:37], -v[4:5]
	scratch_store_b128 off, v[2:5], off offset:224
	v_cmpx_lt_u32_e32 13, v110
	s_cbranch_execz .LBB33_191
; %bb.190:
	scratch_load_b128 v[5:8], v135, off
	v_mov_b32_e32 v2, v1
	v_mov_b32_e32 v3, v1
	;; [unrolled: 1-line block ×3, first 2 shown]
	scratch_store_b128 off, v[1:4], off offset:208
	s_waitcnt vmcnt(0)
	ds_store_b128 v144, v[5:8]
.LBB33_191:
	s_or_b32 exec_lo, exec_lo, s2
	s_waitcnt lgkmcnt(0)
	s_waitcnt_vscnt null, 0x0
	s_barrier
	buffer_gl0_inv
	s_clause 0x7
	scratch_load_b128 v[2:5], off, off offset:224
	scratch_load_b128 v[6:9], off, off offset:240
	;; [unrolled: 1-line block ×8, first 2 shown]
	ds_load_b128 v[34:37], v1 offset:768
	ds_load_b128 v[145:148], v1 offset:784
	s_clause 0x1
	scratch_load_b128 v[38:41], off, off offset:352
	scratch_load_b128 v[149:152], off, off offset:368
	s_mov_b32 s2, exec_lo
	s_waitcnt vmcnt(9) lgkmcnt(1)
	v_mul_f64 v[153:154], v[36:37], v[4:5]
	v_mul_f64 v[4:5], v[34:35], v[4:5]
	s_waitcnt vmcnt(8) lgkmcnt(0)
	v_mul_f64 v[155:156], v[145:146], v[8:9]
	v_mul_f64 v[8:9], v[147:148], v[8:9]
	s_delay_alu instid0(VALU_DEP_4) | instskip(NEXT) | instid1(VALU_DEP_4)
	v_fma_f64 v[153:154], v[34:35], v[2:3], -v[153:154]
	v_fma_f64 v[157:158], v[36:37], v[2:3], v[4:5]
	ds_load_b128 v[2:5], v1 offset:800
	scratch_load_b128 v[34:37], off, off offset:384
	v_fma_f64 v[155:156], v[147:148], v[6:7], v[155:156]
	v_fma_f64 v[161:162], v[145:146], v[6:7], -v[8:9]
	ds_load_b128 v[6:9], v1 offset:816
	scratch_load_b128 v[145:148], off, off offset:400
	s_waitcnt vmcnt(9) lgkmcnt(1)
	v_mul_f64 v[159:160], v[2:3], v[12:13]
	v_mul_f64 v[12:13], v[4:5], v[12:13]
	s_waitcnt vmcnt(8) lgkmcnt(0)
	v_mul_f64 v[163:164], v[6:7], v[16:17]
	v_mul_f64 v[16:17], v[8:9], v[16:17]
	v_add_f64 v[153:154], v[153:154], 0
	v_add_f64 v[157:158], v[157:158], 0
	v_fma_f64 v[159:160], v[4:5], v[10:11], v[159:160]
	v_fma_f64 v[165:166], v[2:3], v[10:11], -v[12:13]
	scratch_load_b128 v[10:13], off, off offset:416
	ds_load_b128 v[2:5], v1 offset:832
	v_add_f64 v[153:154], v[153:154], v[161:162]
	v_add_f64 v[155:156], v[157:158], v[155:156]
	v_fma_f64 v[161:162], v[8:9], v[14:15], v[163:164]
	v_fma_f64 v[163:164], v[6:7], v[14:15], -v[16:17]
	ds_load_b128 v[6:9], v1 offset:848
	scratch_load_b128 v[14:17], off, off offset:432
	s_waitcnt vmcnt(9) lgkmcnt(1)
	v_mul_f64 v[157:158], v[2:3], v[20:21]
	v_mul_f64 v[20:21], v[4:5], v[20:21]
	v_add_f64 v[153:154], v[153:154], v[165:166]
	v_add_f64 v[155:156], v[155:156], v[159:160]
	s_waitcnt vmcnt(8) lgkmcnt(0)
	v_mul_f64 v[159:160], v[6:7], v[24:25]
	v_mul_f64 v[24:25], v[8:9], v[24:25]
	v_fma_f64 v[157:158], v[4:5], v[18:19], v[157:158]
	v_fma_f64 v[165:166], v[2:3], v[18:19], -v[20:21]
	scratch_load_b128 v[18:21], off, off offset:448
	ds_load_b128 v[2:5], v1 offset:864
	v_add_f64 v[153:154], v[153:154], v[163:164]
	v_add_f64 v[155:156], v[155:156], v[161:162]
	v_fma_f64 v[159:160], v[8:9], v[22:23], v[159:160]
	v_fma_f64 v[163:164], v[6:7], v[22:23], -v[24:25]
	ds_load_b128 v[6:9], v1 offset:880
	s_waitcnt vmcnt(8) lgkmcnt(1)
	v_mul_f64 v[161:162], v[2:3], v[28:29]
	v_mul_f64 v[28:29], v[4:5], v[28:29]
	scratch_load_b128 v[22:25], off, off offset:464
	v_add_f64 v[153:154], v[153:154], v[165:166]
	v_add_f64 v[155:156], v[155:156], v[157:158]
	s_waitcnt vmcnt(8) lgkmcnt(0)
	v_mul_f64 v[157:158], v[6:7], v[32:33]
	v_mul_f64 v[32:33], v[8:9], v[32:33]
	v_fma_f64 v[161:162], v[4:5], v[26:27], v[161:162]
	v_fma_f64 v[165:166], v[2:3], v[26:27], -v[28:29]
	scratch_load_b128 v[26:29], off, off offset:480
	ds_load_b128 v[2:5], v1 offset:896
	v_add_f64 v[153:154], v[153:154], v[163:164]
	v_add_f64 v[155:156], v[155:156], v[159:160]
	v_fma_f64 v[157:158], v[8:9], v[30:31], v[157:158]
	v_fma_f64 v[163:164], v[6:7], v[30:31], -v[32:33]
	ds_load_b128 v[6:9], v1 offset:912
	s_waitcnt vmcnt(8) lgkmcnt(1)
	v_mul_f64 v[159:160], v[2:3], v[40:41]
	v_mul_f64 v[40:41], v[4:5], v[40:41]
	scratch_load_b128 v[30:33], off, off offset:496
	v_add_f64 v[153:154], v[153:154], v[165:166]
	v_add_f64 v[155:156], v[155:156], v[161:162]
	s_waitcnt vmcnt(8) lgkmcnt(0)
	v_mul_f64 v[161:162], v[6:7], v[151:152]
	v_mul_f64 v[151:152], v[8:9], v[151:152]
	v_fma_f64 v[159:160], v[4:5], v[38:39], v[159:160]
	v_fma_f64 v[165:166], v[2:3], v[38:39], -v[40:41]
	scratch_load_b128 v[38:41], off, off offset:512
	ds_load_b128 v[2:5], v1 offset:928
	v_add_f64 v[153:154], v[153:154], v[163:164]
	v_add_f64 v[155:156], v[155:156], v[157:158]
	v_fma_f64 v[161:162], v[8:9], v[149:150], v[161:162]
	v_fma_f64 v[163:164], v[6:7], v[149:150], -v[151:152]
	ds_load_b128 v[6:9], v1 offset:944
	scratch_load_b128 v[149:152], off, off offset:528
	s_waitcnt vmcnt(9) lgkmcnt(1)
	v_mul_f64 v[157:158], v[2:3], v[36:37]
	v_mul_f64 v[36:37], v[4:5], v[36:37]
	v_add_f64 v[153:154], v[153:154], v[165:166]
	v_add_f64 v[155:156], v[155:156], v[159:160]
	s_delay_alu instid0(VALU_DEP_4) | instskip(NEXT) | instid1(VALU_DEP_4)
	v_fma_f64 v[157:158], v[4:5], v[34:35], v[157:158]
	v_fma_f64 v[34:35], v[2:3], v[34:35], -v[36:37]
	ds_load_b128 v[2:5], v1 offset:960
	v_add_f64 v[36:37], v[153:154], v[163:164]
	v_add_f64 v[153:154], v[155:156], v[161:162]
	s_waitcnt vmcnt(7) lgkmcnt(0)
	v_mul_f64 v[155:156], v[2:3], v[12:13]
	v_mul_f64 v[12:13], v[4:5], v[12:13]
	s_delay_alu instid0(VALU_DEP_4) | instskip(NEXT) | instid1(VALU_DEP_4)
	v_add_f64 v[34:35], v[36:37], v[34:35]
	v_add_f64 v[36:37], v[153:154], v[157:158]
	s_delay_alu instid0(VALU_DEP_4) | instskip(NEXT) | instid1(VALU_DEP_4)
	v_fma_f64 v[153:154], v[4:5], v[10:11], v[155:156]
	v_fma_f64 v[155:156], v[2:3], v[10:11], -v[12:13]
	scratch_load_b128 v[10:13], off, off offset:208
	v_mul_f64 v[159:160], v[6:7], v[147:148]
	v_mul_f64 v[147:148], v[8:9], v[147:148]
	ds_load_b128 v[2:5], v1 offset:992
	v_fma_f64 v[159:160], v[8:9], v[145:146], v[159:160]
	v_fma_f64 v[145:146], v[6:7], v[145:146], -v[147:148]
	ds_load_b128 v[6:9], v1 offset:976
	s_waitcnt vmcnt(7) lgkmcnt(0)
	v_mul_f64 v[147:148], v[6:7], v[16:17]
	v_mul_f64 v[16:17], v[8:9], v[16:17]
	v_add_f64 v[36:37], v[36:37], v[159:160]
	v_add_f64 v[34:35], v[34:35], v[145:146]
	s_waitcnt vmcnt(6)
	v_mul_f64 v[145:146], v[2:3], v[20:21]
	v_mul_f64 v[20:21], v[4:5], v[20:21]
	v_fma_f64 v[147:148], v[8:9], v[14:15], v[147:148]
	v_fma_f64 v[14:15], v[6:7], v[14:15], -v[16:17]
	ds_load_b128 v[6:9], v1 offset:1008
	v_add_f64 v[16:17], v[34:35], v[155:156]
	v_add_f64 v[34:35], v[36:37], v[153:154]
	v_fma_f64 v[145:146], v[4:5], v[18:19], v[145:146]
	v_fma_f64 v[18:19], v[2:3], v[18:19], -v[20:21]
	ds_load_b128 v[2:5], v1 offset:1024
	s_waitcnt vmcnt(5) lgkmcnt(1)
	v_mul_f64 v[36:37], v[6:7], v[24:25]
	v_mul_f64 v[24:25], v[8:9], v[24:25]
	s_waitcnt vmcnt(4) lgkmcnt(0)
	v_mul_f64 v[20:21], v[2:3], v[28:29]
	v_mul_f64 v[28:29], v[4:5], v[28:29]
	v_add_f64 v[14:15], v[16:17], v[14:15]
	v_add_f64 v[16:17], v[34:35], v[147:148]
	v_fma_f64 v[34:35], v[8:9], v[22:23], v[36:37]
	v_fma_f64 v[22:23], v[6:7], v[22:23], -v[24:25]
	ds_load_b128 v[6:9], v1 offset:1040
	v_fma_f64 v[20:21], v[4:5], v[26:27], v[20:21]
	v_fma_f64 v[26:27], v[2:3], v[26:27], -v[28:29]
	ds_load_b128 v[2:5], v1 offset:1056
	s_waitcnt vmcnt(3) lgkmcnt(1)
	v_mul_f64 v[24:25], v[8:9], v[32:33]
	v_add_f64 v[14:15], v[14:15], v[18:19]
	v_add_f64 v[16:17], v[16:17], v[145:146]
	v_mul_f64 v[18:19], v[6:7], v[32:33]
	s_waitcnt vmcnt(2) lgkmcnt(0)
	v_mul_f64 v[28:29], v[4:5], v[40:41]
	v_fma_f64 v[24:25], v[6:7], v[30:31], -v[24:25]
	v_add_f64 v[14:15], v[14:15], v[22:23]
	v_add_f64 v[16:17], v[16:17], v[34:35]
	v_mul_f64 v[22:23], v[2:3], v[40:41]
	v_fma_f64 v[18:19], v[8:9], v[30:31], v[18:19]
	ds_load_b128 v[6:9], v1 offset:1072
	v_fma_f64 v[1:2], v[2:3], v[38:39], -v[28:29]
	v_add_f64 v[14:15], v[14:15], v[26:27]
	v_add_f64 v[16:17], v[16:17], v[20:21]
	s_waitcnt vmcnt(1) lgkmcnt(0)
	v_mul_f64 v[20:21], v[6:7], v[151:152]
	v_mul_f64 v[26:27], v[8:9], v[151:152]
	v_fma_f64 v[4:5], v[4:5], v[38:39], v[22:23]
	v_add_f64 v[14:15], v[14:15], v[24:25]
	v_add_f64 v[16:17], v[16:17], v[18:19]
	v_fma_f64 v[8:9], v[8:9], v[149:150], v[20:21]
	v_fma_f64 v[6:7], v[6:7], v[149:150], -v[26:27]
	s_delay_alu instid0(VALU_DEP_4) | instskip(NEXT) | instid1(VALU_DEP_4)
	v_add_f64 v[1:2], v[14:15], v[1:2]
	v_add_f64 v[3:4], v[16:17], v[4:5]
	s_delay_alu instid0(VALU_DEP_2) | instskip(NEXT) | instid1(VALU_DEP_2)
	v_add_f64 v[1:2], v[1:2], v[6:7]
	v_add_f64 v[3:4], v[3:4], v[8:9]
	s_waitcnt vmcnt(0)
	s_delay_alu instid0(VALU_DEP_2) | instskip(NEXT) | instid1(VALU_DEP_2)
	v_add_f64 v[1:2], v[10:11], -v[1:2]
	v_add_f64 v[3:4], v[12:13], -v[3:4]
	scratch_store_b128 off, v[1:4], off offset:208
	v_cmpx_lt_u32_e32 12, v110
	s_cbranch_execz .LBB33_193
; %bb.192:
	scratch_load_b128 v[1:4], v136, off
	v_mov_b32_e32 v5, 0
	s_delay_alu instid0(VALU_DEP_1)
	v_mov_b32_e32 v6, v5
	v_mov_b32_e32 v7, v5
	;; [unrolled: 1-line block ×3, first 2 shown]
	scratch_store_b128 off, v[5:8], off offset:192
	s_waitcnt vmcnt(0)
	ds_store_b128 v144, v[1:4]
.LBB33_193:
	s_or_b32 exec_lo, exec_lo, s2
	s_waitcnt lgkmcnt(0)
	s_waitcnt_vscnt null, 0x0
	s_barrier
	buffer_gl0_inv
	s_clause 0x7
	scratch_load_b128 v[2:5], off, off offset:208
	scratch_load_b128 v[6:9], off, off offset:224
	;; [unrolled: 1-line block ×8, first 2 shown]
	v_mov_b32_e32 v1, 0
	s_clause 0x1
	scratch_load_b128 v[38:41], off, off offset:336
	scratch_load_b128 v[149:152], off, off offset:352
	s_mov_b32 s2, exec_lo
	ds_load_b128 v[34:37], v1 offset:752
	ds_load_b128 v[145:148], v1 offset:768
	s_waitcnt vmcnt(9) lgkmcnt(1)
	v_mul_f64 v[153:154], v[36:37], v[4:5]
	v_mul_f64 v[4:5], v[34:35], v[4:5]
	s_waitcnt vmcnt(8) lgkmcnt(0)
	v_mul_f64 v[155:156], v[145:146], v[8:9]
	v_mul_f64 v[8:9], v[147:148], v[8:9]
	s_delay_alu instid0(VALU_DEP_4) | instskip(NEXT) | instid1(VALU_DEP_4)
	v_fma_f64 v[153:154], v[34:35], v[2:3], -v[153:154]
	v_fma_f64 v[157:158], v[36:37], v[2:3], v[4:5]
	ds_load_b128 v[2:5], v1 offset:784
	scratch_load_b128 v[34:37], off, off offset:368
	v_fma_f64 v[155:156], v[147:148], v[6:7], v[155:156]
	v_fma_f64 v[161:162], v[145:146], v[6:7], -v[8:9]
	scratch_load_b128 v[145:148], off, off offset:384
	ds_load_b128 v[6:9], v1 offset:800
	s_waitcnt vmcnt(9) lgkmcnt(1)
	v_mul_f64 v[159:160], v[2:3], v[12:13]
	v_mul_f64 v[12:13], v[4:5], v[12:13]
	s_waitcnt vmcnt(8) lgkmcnt(0)
	v_mul_f64 v[163:164], v[6:7], v[16:17]
	v_mul_f64 v[16:17], v[8:9], v[16:17]
	v_add_f64 v[153:154], v[153:154], 0
	v_add_f64 v[157:158], v[157:158], 0
	v_fma_f64 v[159:160], v[4:5], v[10:11], v[159:160]
	v_fma_f64 v[165:166], v[2:3], v[10:11], -v[12:13]
	ds_load_b128 v[2:5], v1 offset:816
	scratch_load_b128 v[10:13], off, off offset:400
	v_add_f64 v[153:154], v[153:154], v[161:162]
	v_add_f64 v[155:156], v[157:158], v[155:156]
	v_fma_f64 v[161:162], v[8:9], v[14:15], v[163:164]
	v_fma_f64 v[163:164], v[6:7], v[14:15], -v[16:17]
	scratch_load_b128 v[14:17], off, off offset:416
	ds_load_b128 v[6:9], v1 offset:832
	s_waitcnt vmcnt(9) lgkmcnt(1)
	v_mul_f64 v[157:158], v[2:3], v[20:21]
	v_mul_f64 v[20:21], v[4:5], v[20:21]
	v_add_f64 v[153:154], v[153:154], v[165:166]
	v_add_f64 v[155:156], v[155:156], v[159:160]
	s_waitcnt vmcnt(8) lgkmcnt(0)
	v_mul_f64 v[159:160], v[6:7], v[24:25]
	v_mul_f64 v[24:25], v[8:9], v[24:25]
	v_fma_f64 v[157:158], v[4:5], v[18:19], v[157:158]
	v_fma_f64 v[165:166], v[2:3], v[18:19], -v[20:21]
	ds_load_b128 v[2:5], v1 offset:848
	scratch_load_b128 v[18:21], off, off offset:432
	v_add_f64 v[153:154], v[153:154], v[163:164]
	v_add_f64 v[155:156], v[155:156], v[161:162]
	v_fma_f64 v[159:160], v[8:9], v[22:23], v[159:160]
	v_fma_f64 v[163:164], v[6:7], v[22:23], -v[24:25]
	ds_load_b128 v[6:9], v1 offset:864
	s_waitcnt vmcnt(8) lgkmcnt(1)
	v_mul_f64 v[161:162], v[2:3], v[28:29]
	v_mul_f64 v[28:29], v[4:5], v[28:29]
	scratch_load_b128 v[22:25], off, off offset:448
	v_add_f64 v[153:154], v[153:154], v[165:166]
	v_add_f64 v[155:156], v[155:156], v[157:158]
	s_waitcnt vmcnt(8) lgkmcnt(0)
	v_mul_f64 v[157:158], v[6:7], v[32:33]
	v_mul_f64 v[32:33], v[8:9], v[32:33]
	v_fma_f64 v[161:162], v[4:5], v[26:27], v[161:162]
	v_fma_f64 v[165:166], v[2:3], v[26:27], -v[28:29]
	scratch_load_b128 v[26:29], off, off offset:464
	ds_load_b128 v[2:5], v1 offset:880
	v_add_f64 v[153:154], v[153:154], v[163:164]
	v_add_f64 v[155:156], v[155:156], v[159:160]
	v_fma_f64 v[157:158], v[8:9], v[30:31], v[157:158]
	v_fma_f64 v[163:164], v[6:7], v[30:31], -v[32:33]
	ds_load_b128 v[6:9], v1 offset:896
	s_waitcnt vmcnt(8) lgkmcnt(1)
	v_mul_f64 v[159:160], v[2:3], v[40:41]
	v_mul_f64 v[40:41], v[4:5], v[40:41]
	scratch_load_b128 v[30:33], off, off offset:480
	v_add_f64 v[153:154], v[153:154], v[165:166]
	v_add_f64 v[155:156], v[155:156], v[161:162]
	s_waitcnt vmcnt(8) lgkmcnt(0)
	v_mul_f64 v[161:162], v[6:7], v[151:152]
	v_mul_f64 v[151:152], v[8:9], v[151:152]
	v_fma_f64 v[159:160], v[4:5], v[38:39], v[159:160]
	v_fma_f64 v[165:166], v[2:3], v[38:39], -v[40:41]
	scratch_load_b128 v[38:41], off, off offset:496
	ds_load_b128 v[2:5], v1 offset:912
	v_add_f64 v[153:154], v[153:154], v[163:164]
	v_add_f64 v[155:156], v[155:156], v[157:158]
	v_fma_f64 v[161:162], v[8:9], v[149:150], v[161:162]
	v_fma_f64 v[163:164], v[6:7], v[149:150], -v[151:152]
	ds_load_b128 v[6:9], v1 offset:928
	scratch_load_b128 v[149:152], off, off offset:512
	s_waitcnt vmcnt(9) lgkmcnt(1)
	v_mul_f64 v[157:158], v[2:3], v[36:37]
	v_mul_f64 v[36:37], v[4:5], v[36:37]
	v_add_f64 v[153:154], v[153:154], v[165:166]
	v_add_f64 v[155:156], v[155:156], v[159:160]
	s_waitcnt vmcnt(8) lgkmcnt(0)
	v_mul_f64 v[159:160], v[6:7], v[147:148]
	v_mul_f64 v[147:148], v[8:9], v[147:148]
	v_fma_f64 v[157:158], v[4:5], v[34:35], v[157:158]
	v_fma_f64 v[165:166], v[2:3], v[34:35], -v[36:37]
	scratch_load_b128 v[34:37], off, off offset:528
	ds_load_b128 v[2:5], v1 offset:944
	v_add_f64 v[153:154], v[153:154], v[163:164]
	v_add_f64 v[155:156], v[155:156], v[161:162]
	v_fma_f64 v[159:160], v[8:9], v[145:146], v[159:160]
	v_fma_f64 v[145:146], v[6:7], v[145:146], -v[147:148]
	ds_load_b128 v[6:9], v1 offset:960
	s_waitcnt vmcnt(8) lgkmcnt(1)
	v_mul_f64 v[161:162], v[2:3], v[12:13]
	v_mul_f64 v[12:13], v[4:5], v[12:13]
	v_add_f64 v[147:148], v[153:154], v[165:166]
	v_add_f64 v[153:154], v[155:156], v[157:158]
	s_waitcnt vmcnt(7) lgkmcnt(0)
	v_mul_f64 v[155:156], v[6:7], v[16:17]
	v_mul_f64 v[16:17], v[8:9], v[16:17]
	v_fma_f64 v[157:158], v[4:5], v[10:11], v[161:162]
	v_fma_f64 v[10:11], v[2:3], v[10:11], -v[12:13]
	ds_load_b128 v[2:5], v1 offset:976
	v_add_f64 v[12:13], v[147:148], v[145:146]
	v_add_f64 v[145:146], v[153:154], v[159:160]
	v_fma_f64 v[153:154], v[8:9], v[14:15], v[155:156]
	v_fma_f64 v[14:15], v[6:7], v[14:15], -v[16:17]
	ds_load_b128 v[6:9], v1 offset:992
	s_waitcnt vmcnt(5) lgkmcnt(0)
	v_mul_f64 v[155:156], v[6:7], v[24:25]
	v_mul_f64 v[24:25], v[8:9], v[24:25]
	v_add_f64 v[16:17], v[12:13], v[10:11]
	v_add_f64 v[145:146], v[145:146], v[157:158]
	scratch_load_b128 v[10:13], off, off offset:192
	v_mul_f64 v[147:148], v[2:3], v[20:21]
	v_mul_f64 v[20:21], v[4:5], v[20:21]
	v_add_f64 v[14:15], v[16:17], v[14:15]
	v_add_f64 v[16:17], v[145:146], v[153:154]
	v_fma_f64 v[145:146], v[8:9], v[22:23], v[155:156]
	v_fma_f64 v[147:148], v[4:5], v[18:19], v[147:148]
	v_fma_f64 v[18:19], v[2:3], v[18:19], -v[20:21]
	ds_load_b128 v[2:5], v1 offset:1008
	v_fma_f64 v[22:23], v[6:7], v[22:23], -v[24:25]
	ds_load_b128 v[6:9], v1 offset:1024
	s_waitcnt vmcnt(5) lgkmcnt(1)
	v_mul_f64 v[20:21], v[2:3], v[28:29]
	v_mul_f64 v[28:29], v[4:5], v[28:29]
	s_waitcnt vmcnt(4) lgkmcnt(0)
	v_mul_f64 v[24:25], v[8:9], v[32:33]
	v_add_f64 v[16:17], v[16:17], v[147:148]
	v_add_f64 v[14:15], v[14:15], v[18:19]
	v_mul_f64 v[18:19], v[6:7], v[32:33]
	v_fma_f64 v[20:21], v[4:5], v[26:27], v[20:21]
	v_fma_f64 v[26:27], v[2:3], v[26:27], -v[28:29]
	ds_load_b128 v[2:5], v1 offset:1040
	v_fma_f64 v[24:25], v[6:7], v[30:31], -v[24:25]
	v_add_f64 v[16:17], v[16:17], v[145:146]
	v_add_f64 v[14:15], v[14:15], v[22:23]
	v_fma_f64 v[18:19], v[8:9], v[30:31], v[18:19]
	ds_load_b128 v[6:9], v1 offset:1056
	s_waitcnt vmcnt(3) lgkmcnt(1)
	v_mul_f64 v[22:23], v[2:3], v[40:41]
	v_mul_f64 v[28:29], v[4:5], v[40:41]
	v_add_f64 v[16:17], v[16:17], v[20:21]
	v_add_f64 v[14:15], v[14:15], v[26:27]
	s_waitcnt vmcnt(2) lgkmcnt(0)
	v_mul_f64 v[20:21], v[6:7], v[151:152]
	v_mul_f64 v[26:27], v[8:9], v[151:152]
	v_fma_f64 v[22:23], v[4:5], v[38:39], v[22:23]
	v_fma_f64 v[28:29], v[2:3], v[38:39], -v[28:29]
	ds_load_b128 v[2:5], v1 offset:1072
	v_add_f64 v[16:17], v[16:17], v[18:19]
	v_add_f64 v[14:15], v[14:15], v[24:25]
	s_waitcnt vmcnt(1) lgkmcnt(0)
	v_mul_f64 v[18:19], v[2:3], v[36:37]
	v_mul_f64 v[24:25], v[4:5], v[36:37]
	v_fma_f64 v[8:9], v[8:9], v[149:150], v[20:21]
	v_fma_f64 v[6:7], v[6:7], v[149:150], -v[26:27]
	v_add_f64 v[16:17], v[16:17], v[22:23]
	v_add_f64 v[14:15], v[14:15], v[28:29]
	v_fma_f64 v[4:5], v[4:5], v[34:35], v[18:19]
	v_fma_f64 v[2:3], v[2:3], v[34:35], -v[24:25]
	s_delay_alu instid0(VALU_DEP_4) | instskip(NEXT) | instid1(VALU_DEP_4)
	v_add_f64 v[8:9], v[16:17], v[8:9]
	v_add_f64 v[6:7], v[14:15], v[6:7]
	s_delay_alu instid0(VALU_DEP_2) | instskip(NEXT) | instid1(VALU_DEP_2)
	v_add_f64 v[4:5], v[8:9], v[4:5]
	v_add_f64 v[2:3], v[6:7], v[2:3]
	s_waitcnt vmcnt(0)
	s_delay_alu instid0(VALU_DEP_2) | instskip(NEXT) | instid1(VALU_DEP_2)
	v_add_f64 v[4:5], v[12:13], -v[4:5]
	v_add_f64 v[2:3], v[10:11], -v[2:3]
	scratch_store_b128 off, v[2:5], off offset:192
	v_cmpx_lt_u32_e32 11, v110
	s_cbranch_execz .LBB33_195
; %bb.194:
	scratch_load_b128 v[5:8], v138, off
	v_mov_b32_e32 v2, v1
	v_mov_b32_e32 v3, v1
	;; [unrolled: 1-line block ×3, first 2 shown]
	scratch_store_b128 off, v[1:4], off offset:176
	s_waitcnt vmcnt(0)
	ds_store_b128 v144, v[5:8]
.LBB33_195:
	s_or_b32 exec_lo, exec_lo, s2
	s_waitcnt lgkmcnt(0)
	s_waitcnt_vscnt null, 0x0
	s_barrier
	buffer_gl0_inv
	s_clause 0x7
	scratch_load_b128 v[2:5], off, off offset:192
	scratch_load_b128 v[6:9], off, off offset:208
	;; [unrolled: 1-line block ×8, first 2 shown]
	ds_load_b128 v[34:37], v1 offset:736
	ds_load_b128 v[145:148], v1 offset:752
	s_clause 0x1
	scratch_load_b128 v[38:41], off, off offset:320
	scratch_load_b128 v[149:152], off, off offset:336
	s_mov_b32 s2, exec_lo
	s_waitcnt vmcnt(9) lgkmcnt(1)
	v_mul_f64 v[153:154], v[36:37], v[4:5]
	v_mul_f64 v[4:5], v[34:35], v[4:5]
	s_waitcnt vmcnt(8) lgkmcnt(0)
	v_mul_f64 v[155:156], v[145:146], v[8:9]
	v_mul_f64 v[8:9], v[147:148], v[8:9]
	s_delay_alu instid0(VALU_DEP_4) | instskip(NEXT) | instid1(VALU_DEP_4)
	v_fma_f64 v[153:154], v[34:35], v[2:3], -v[153:154]
	v_fma_f64 v[157:158], v[36:37], v[2:3], v[4:5]
	ds_load_b128 v[2:5], v1 offset:768
	scratch_load_b128 v[34:37], off, off offset:352
	v_fma_f64 v[155:156], v[147:148], v[6:7], v[155:156]
	v_fma_f64 v[161:162], v[145:146], v[6:7], -v[8:9]
	scratch_load_b128 v[145:148], off, off offset:368
	ds_load_b128 v[6:9], v1 offset:784
	s_waitcnt vmcnt(9) lgkmcnt(1)
	v_mul_f64 v[159:160], v[2:3], v[12:13]
	v_mul_f64 v[12:13], v[4:5], v[12:13]
	s_waitcnt vmcnt(8) lgkmcnt(0)
	v_mul_f64 v[163:164], v[6:7], v[16:17]
	v_mul_f64 v[16:17], v[8:9], v[16:17]
	v_add_f64 v[153:154], v[153:154], 0
	v_add_f64 v[157:158], v[157:158], 0
	v_fma_f64 v[159:160], v[4:5], v[10:11], v[159:160]
	v_fma_f64 v[165:166], v[2:3], v[10:11], -v[12:13]
	ds_load_b128 v[2:5], v1 offset:800
	scratch_load_b128 v[10:13], off, off offset:384
	v_add_f64 v[153:154], v[153:154], v[161:162]
	v_add_f64 v[155:156], v[157:158], v[155:156]
	v_fma_f64 v[161:162], v[8:9], v[14:15], v[163:164]
	v_fma_f64 v[163:164], v[6:7], v[14:15], -v[16:17]
	scratch_load_b128 v[14:17], off, off offset:400
	ds_load_b128 v[6:9], v1 offset:816
	s_waitcnt vmcnt(9) lgkmcnt(1)
	v_mul_f64 v[157:158], v[2:3], v[20:21]
	v_mul_f64 v[20:21], v[4:5], v[20:21]
	v_add_f64 v[153:154], v[153:154], v[165:166]
	v_add_f64 v[155:156], v[155:156], v[159:160]
	s_waitcnt vmcnt(8) lgkmcnt(0)
	v_mul_f64 v[159:160], v[6:7], v[24:25]
	v_mul_f64 v[24:25], v[8:9], v[24:25]
	v_fma_f64 v[157:158], v[4:5], v[18:19], v[157:158]
	v_fma_f64 v[165:166], v[2:3], v[18:19], -v[20:21]
	ds_load_b128 v[2:5], v1 offset:832
	scratch_load_b128 v[18:21], off, off offset:416
	v_add_f64 v[153:154], v[153:154], v[163:164]
	v_add_f64 v[155:156], v[155:156], v[161:162]
	v_fma_f64 v[159:160], v[8:9], v[22:23], v[159:160]
	v_fma_f64 v[163:164], v[6:7], v[22:23], -v[24:25]
	ds_load_b128 v[6:9], v1 offset:848
	s_waitcnt vmcnt(8) lgkmcnt(1)
	v_mul_f64 v[161:162], v[2:3], v[28:29]
	v_mul_f64 v[28:29], v[4:5], v[28:29]
	scratch_load_b128 v[22:25], off, off offset:432
	v_add_f64 v[153:154], v[153:154], v[165:166]
	v_add_f64 v[155:156], v[155:156], v[157:158]
	s_waitcnt vmcnt(8) lgkmcnt(0)
	v_mul_f64 v[157:158], v[6:7], v[32:33]
	v_mul_f64 v[32:33], v[8:9], v[32:33]
	v_fma_f64 v[161:162], v[4:5], v[26:27], v[161:162]
	v_fma_f64 v[165:166], v[2:3], v[26:27], -v[28:29]
	ds_load_b128 v[2:5], v1 offset:864
	scratch_load_b128 v[26:29], off, off offset:448
	v_add_f64 v[153:154], v[153:154], v[163:164]
	v_add_f64 v[155:156], v[155:156], v[159:160]
	v_fma_f64 v[157:158], v[8:9], v[30:31], v[157:158]
	v_fma_f64 v[163:164], v[6:7], v[30:31], -v[32:33]
	ds_load_b128 v[6:9], v1 offset:880
	s_waitcnt vmcnt(8) lgkmcnt(1)
	v_mul_f64 v[159:160], v[2:3], v[40:41]
	v_mul_f64 v[40:41], v[4:5], v[40:41]
	scratch_load_b128 v[30:33], off, off offset:464
	v_add_f64 v[153:154], v[153:154], v[165:166]
	v_add_f64 v[155:156], v[155:156], v[161:162]
	s_waitcnt vmcnt(8) lgkmcnt(0)
	v_mul_f64 v[161:162], v[6:7], v[151:152]
	v_mul_f64 v[151:152], v[8:9], v[151:152]
	v_fma_f64 v[159:160], v[4:5], v[38:39], v[159:160]
	v_fma_f64 v[165:166], v[2:3], v[38:39], -v[40:41]
	scratch_load_b128 v[38:41], off, off offset:480
	ds_load_b128 v[2:5], v1 offset:896
	v_add_f64 v[153:154], v[153:154], v[163:164]
	v_add_f64 v[155:156], v[155:156], v[157:158]
	v_fma_f64 v[161:162], v[8:9], v[149:150], v[161:162]
	v_fma_f64 v[163:164], v[6:7], v[149:150], -v[151:152]
	ds_load_b128 v[6:9], v1 offset:912
	scratch_load_b128 v[149:152], off, off offset:496
	s_waitcnt vmcnt(9) lgkmcnt(1)
	v_mul_f64 v[157:158], v[2:3], v[36:37]
	v_mul_f64 v[36:37], v[4:5], v[36:37]
	v_add_f64 v[153:154], v[153:154], v[165:166]
	v_add_f64 v[155:156], v[155:156], v[159:160]
	s_waitcnt vmcnt(8) lgkmcnt(0)
	v_mul_f64 v[159:160], v[6:7], v[147:148]
	v_mul_f64 v[147:148], v[8:9], v[147:148]
	v_fma_f64 v[157:158], v[4:5], v[34:35], v[157:158]
	v_fma_f64 v[165:166], v[2:3], v[34:35], -v[36:37]
	scratch_load_b128 v[34:37], off, off offset:512
	ds_load_b128 v[2:5], v1 offset:928
	v_add_f64 v[153:154], v[153:154], v[163:164]
	v_add_f64 v[155:156], v[155:156], v[161:162]
	v_fma_f64 v[159:160], v[8:9], v[145:146], v[159:160]
	v_fma_f64 v[163:164], v[6:7], v[145:146], -v[147:148]
	ds_load_b128 v[6:9], v1 offset:944
	s_waitcnt vmcnt(8) lgkmcnt(1)
	v_mul_f64 v[161:162], v[2:3], v[12:13]
	v_mul_f64 v[12:13], v[4:5], v[12:13]
	scratch_load_b128 v[145:148], off, off offset:528
	v_add_f64 v[153:154], v[153:154], v[165:166]
	v_add_f64 v[155:156], v[155:156], v[157:158]
	s_waitcnt vmcnt(8) lgkmcnt(0)
	v_mul_f64 v[157:158], v[6:7], v[16:17]
	v_mul_f64 v[16:17], v[8:9], v[16:17]
	v_fma_f64 v[161:162], v[4:5], v[10:11], v[161:162]
	v_fma_f64 v[10:11], v[2:3], v[10:11], -v[12:13]
	ds_load_b128 v[2:5], v1 offset:960
	v_add_f64 v[12:13], v[153:154], v[163:164]
	v_add_f64 v[153:154], v[155:156], v[159:160]
	v_fma_f64 v[157:158], v[8:9], v[14:15], v[157:158]
	v_fma_f64 v[14:15], v[6:7], v[14:15], -v[16:17]
	ds_load_b128 v[6:9], v1 offset:976
	s_waitcnt vmcnt(7) lgkmcnt(1)
	v_mul_f64 v[155:156], v[2:3], v[20:21]
	v_mul_f64 v[20:21], v[4:5], v[20:21]
	v_add_f64 v[10:11], v[12:13], v[10:11]
	v_add_f64 v[12:13], v[153:154], v[161:162]
	s_delay_alu instid0(VALU_DEP_4) | instskip(NEXT) | instid1(VALU_DEP_4)
	v_fma_f64 v[153:154], v[4:5], v[18:19], v[155:156]
	v_fma_f64 v[18:19], v[2:3], v[18:19], -v[20:21]
	ds_load_b128 v[2:5], v1 offset:992
	v_add_f64 v[14:15], v[10:11], v[14:15]
	v_add_f64 v[20:21], v[12:13], v[157:158]
	scratch_load_b128 v[10:13], off, off offset:176
	s_waitcnt vmcnt(7) lgkmcnt(1)
	v_mul_f64 v[16:17], v[6:7], v[24:25]
	v_mul_f64 v[24:25], v[8:9], v[24:25]
	v_add_f64 v[14:15], v[14:15], v[18:19]
	v_add_f64 v[18:19], v[20:21], v[153:154]
	s_delay_alu instid0(VALU_DEP_4) | instskip(NEXT) | instid1(VALU_DEP_4)
	v_fma_f64 v[16:17], v[8:9], v[22:23], v[16:17]
	v_fma_f64 v[22:23], v[6:7], v[22:23], -v[24:25]
	ds_load_b128 v[6:9], v1 offset:1008
	s_waitcnt vmcnt(6) lgkmcnt(1)
	v_mul_f64 v[155:156], v[2:3], v[28:29]
	v_mul_f64 v[28:29], v[4:5], v[28:29]
	s_waitcnt vmcnt(5) lgkmcnt(0)
	v_mul_f64 v[20:21], v[6:7], v[32:33]
	v_mul_f64 v[24:25], v[8:9], v[32:33]
	v_add_f64 v[16:17], v[18:19], v[16:17]
	v_add_f64 v[14:15], v[14:15], v[22:23]
	v_fma_f64 v[32:33], v[4:5], v[26:27], v[155:156]
	v_fma_f64 v[26:27], v[2:3], v[26:27], -v[28:29]
	ds_load_b128 v[2:5], v1 offset:1024
	v_fma_f64 v[20:21], v[8:9], v[30:31], v[20:21]
	v_fma_f64 v[24:25], v[6:7], v[30:31], -v[24:25]
	ds_load_b128 v[6:9], v1 offset:1040
	s_waitcnt vmcnt(4) lgkmcnt(1)
	v_mul_f64 v[18:19], v[2:3], v[40:41]
	v_mul_f64 v[22:23], v[4:5], v[40:41]
	v_add_f64 v[16:17], v[16:17], v[32:33]
	v_add_f64 v[14:15], v[14:15], v[26:27]
	s_waitcnt vmcnt(3) lgkmcnt(0)
	v_mul_f64 v[26:27], v[6:7], v[151:152]
	v_mul_f64 v[28:29], v[8:9], v[151:152]
	v_fma_f64 v[18:19], v[4:5], v[38:39], v[18:19]
	v_fma_f64 v[22:23], v[2:3], v[38:39], -v[22:23]
	ds_load_b128 v[2:5], v1 offset:1056
	v_add_f64 v[16:17], v[16:17], v[20:21]
	v_add_f64 v[14:15], v[14:15], v[24:25]
	v_fma_f64 v[26:27], v[8:9], v[149:150], v[26:27]
	v_fma_f64 v[28:29], v[6:7], v[149:150], -v[28:29]
	ds_load_b128 v[6:9], v1 offset:1072
	s_waitcnt vmcnt(2) lgkmcnt(1)
	v_mul_f64 v[20:21], v[2:3], v[36:37]
	v_mul_f64 v[24:25], v[4:5], v[36:37]
	v_add_f64 v[16:17], v[16:17], v[18:19]
	v_add_f64 v[14:15], v[14:15], v[22:23]
	s_waitcnt vmcnt(1) lgkmcnt(0)
	v_mul_f64 v[18:19], v[6:7], v[147:148]
	v_mul_f64 v[22:23], v[8:9], v[147:148]
	v_fma_f64 v[4:5], v[4:5], v[34:35], v[20:21]
	v_fma_f64 v[1:2], v[2:3], v[34:35], -v[24:25]
	v_add_f64 v[16:17], v[16:17], v[26:27]
	v_add_f64 v[14:15], v[14:15], v[28:29]
	v_fma_f64 v[8:9], v[8:9], v[145:146], v[18:19]
	v_fma_f64 v[6:7], v[6:7], v[145:146], -v[22:23]
	s_delay_alu instid0(VALU_DEP_4) | instskip(NEXT) | instid1(VALU_DEP_4)
	v_add_f64 v[3:4], v[16:17], v[4:5]
	v_add_f64 v[1:2], v[14:15], v[1:2]
	s_delay_alu instid0(VALU_DEP_2) | instskip(NEXT) | instid1(VALU_DEP_2)
	v_add_f64 v[3:4], v[3:4], v[8:9]
	v_add_f64 v[1:2], v[1:2], v[6:7]
	s_waitcnt vmcnt(0)
	s_delay_alu instid0(VALU_DEP_2) | instskip(NEXT) | instid1(VALU_DEP_2)
	v_add_f64 v[3:4], v[12:13], -v[3:4]
	v_add_f64 v[1:2], v[10:11], -v[1:2]
	scratch_store_b128 off, v[1:4], off offset:176
	v_cmpx_lt_u32_e32 10, v110
	s_cbranch_execz .LBB33_197
; %bb.196:
	scratch_load_b128 v[1:4], v137, off
	v_mov_b32_e32 v5, 0
	s_delay_alu instid0(VALU_DEP_1)
	v_mov_b32_e32 v6, v5
	v_mov_b32_e32 v7, v5
	v_mov_b32_e32 v8, v5
	scratch_store_b128 off, v[5:8], off offset:160
	s_waitcnt vmcnt(0)
	ds_store_b128 v144, v[1:4]
.LBB33_197:
	s_or_b32 exec_lo, exec_lo, s2
	s_waitcnt lgkmcnt(0)
	s_waitcnt_vscnt null, 0x0
	s_barrier
	buffer_gl0_inv
	s_clause 0x7
	scratch_load_b128 v[2:5], off, off offset:176
	scratch_load_b128 v[6:9], off, off offset:192
	scratch_load_b128 v[10:13], off, off offset:208
	scratch_load_b128 v[14:17], off, off offset:224
	scratch_load_b128 v[18:21], off, off offset:240
	scratch_load_b128 v[22:25], off, off offset:256
	scratch_load_b128 v[26:29], off, off offset:272
	scratch_load_b128 v[30:33], off, off offset:288
	v_mov_b32_e32 v1, 0
	s_clause 0x1
	scratch_load_b128 v[38:41], off, off offset:304
	scratch_load_b128 v[149:152], off, off offset:320
	s_mov_b32 s2, exec_lo
	ds_load_b128 v[34:37], v1 offset:720
	ds_load_b128 v[145:148], v1 offset:736
	s_waitcnt vmcnt(9) lgkmcnt(1)
	v_mul_f64 v[153:154], v[36:37], v[4:5]
	v_mul_f64 v[4:5], v[34:35], v[4:5]
	s_waitcnt vmcnt(8) lgkmcnt(0)
	v_mul_f64 v[155:156], v[145:146], v[8:9]
	v_mul_f64 v[8:9], v[147:148], v[8:9]
	s_delay_alu instid0(VALU_DEP_4) | instskip(NEXT) | instid1(VALU_DEP_4)
	v_fma_f64 v[153:154], v[34:35], v[2:3], -v[153:154]
	v_fma_f64 v[157:158], v[36:37], v[2:3], v[4:5]
	ds_load_b128 v[2:5], v1 offset:752
	scratch_load_b128 v[34:37], off, off offset:336
	v_fma_f64 v[155:156], v[147:148], v[6:7], v[155:156]
	v_fma_f64 v[161:162], v[145:146], v[6:7], -v[8:9]
	scratch_load_b128 v[145:148], off, off offset:352
	ds_load_b128 v[6:9], v1 offset:768
	s_waitcnt vmcnt(9) lgkmcnt(1)
	v_mul_f64 v[159:160], v[2:3], v[12:13]
	v_mul_f64 v[12:13], v[4:5], v[12:13]
	s_waitcnt vmcnt(8) lgkmcnt(0)
	v_mul_f64 v[163:164], v[6:7], v[16:17]
	v_mul_f64 v[16:17], v[8:9], v[16:17]
	v_add_f64 v[153:154], v[153:154], 0
	v_add_f64 v[157:158], v[157:158], 0
	v_fma_f64 v[159:160], v[4:5], v[10:11], v[159:160]
	v_fma_f64 v[165:166], v[2:3], v[10:11], -v[12:13]
	ds_load_b128 v[2:5], v1 offset:784
	scratch_load_b128 v[10:13], off, off offset:368
	v_add_f64 v[153:154], v[153:154], v[161:162]
	v_add_f64 v[155:156], v[157:158], v[155:156]
	v_fma_f64 v[161:162], v[8:9], v[14:15], v[163:164]
	v_fma_f64 v[163:164], v[6:7], v[14:15], -v[16:17]
	scratch_load_b128 v[14:17], off, off offset:384
	ds_load_b128 v[6:9], v1 offset:800
	s_waitcnt vmcnt(9) lgkmcnt(1)
	v_mul_f64 v[157:158], v[2:3], v[20:21]
	v_mul_f64 v[20:21], v[4:5], v[20:21]
	v_add_f64 v[153:154], v[153:154], v[165:166]
	v_add_f64 v[155:156], v[155:156], v[159:160]
	s_waitcnt vmcnt(8) lgkmcnt(0)
	v_mul_f64 v[159:160], v[6:7], v[24:25]
	v_mul_f64 v[24:25], v[8:9], v[24:25]
	v_fma_f64 v[157:158], v[4:5], v[18:19], v[157:158]
	v_fma_f64 v[165:166], v[2:3], v[18:19], -v[20:21]
	ds_load_b128 v[2:5], v1 offset:816
	scratch_load_b128 v[18:21], off, off offset:400
	v_add_f64 v[153:154], v[153:154], v[163:164]
	v_add_f64 v[155:156], v[155:156], v[161:162]
	v_fma_f64 v[159:160], v[8:9], v[22:23], v[159:160]
	v_fma_f64 v[163:164], v[6:7], v[22:23], -v[24:25]
	scratch_load_b128 v[22:25], off, off offset:416
	ds_load_b128 v[6:9], v1 offset:832
	s_waitcnt vmcnt(9) lgkmcnt(1)
	v_mul_f64 v[161:162], v[2:3], v[28:29]
	v_mul_f64 v[28:29], v[4:5], v[28:29]
	v_add_f64 v[153:154], v[153:154], v[165:166]
	v_add_f64 v[155:156], v[155:156], v[157:158]
	s_waitcnt vmcnt(8) lgkmcnt(0)
	v_mul_f64 v[157:158], v[6:7], v[32:33]
	v_mul_f64 v[32:33], v[8:9], v[32:33]
	v_fma_f64 v[161:162], v[4:5], v[26:27], v[161:162]
	v_fma_f64 v[165:166], v[2:3], v[26:27], -v[28:29]
	ds_load_b128 v[2:5], v1 offset:848
	scratch_load_b128 v[26:29], off, off offset:432
	v_add_f64 v[153:154], v[153:154], v[163:164]
	v_add_f64 v[155:156], v[155:156], v[159:160]
	v_fma_f64 v[157:158], v[8:9], v[30:31], v[157:158]
	v_fma_f64 v[163:164], v[6:7], v[30:31], -v[32:33]
	ds_load_b128 v[6:9], v1 offset:864
	s_waitcnt vmcnt(8) lgkmcnt(1)
	v_mul_f64 v[159:160], v[2:3], v[40:41]
	v_mul_f64 v[40:41], v[4:5], v[40:41]
	scratch_load_b128 v[30:33], off, off offset:448
	v_add_f64 v[153:154], v[153:154], v[165:166]
	v_add_f64 v[155:156], v[155:156], v[161:162]
	s_waitcnt vmcnt(8) lgkmcnt(0)
	v_mul_f64 v[161:162], v[6:7], v[151:152]
	v_mul_f64 v[151:152], v[8:9], v[151:152]
	v_fma_f64 v[159:160], v[4:5], v[38:39], v[159:160]
	v_fma_f64 v[165:166], v[2:3], v[38:39], -v[40:41]
	scratch_load_b128 v[38:41], off, off offset:464
	ds_load_b128 v[2:5], v1 offset:880
	v_add_f64 v[153:154], v[153:154], v[163:164]
	v_add_f64 v[155:156], v[155:156], v[157:158]
	v_fma_f64 v[161:162], v[8:9], v[149:150], v[161:162]
	v_fma_f64 v[163:164], v[6:7], v[149:150], -v[151:152]
	ds_load_b128 v[6:9], v1 offset:896
	scratch_load_b128 v[149:152], off, off offset:480
	s_waitcnt vmcnt(9) lgkmcnt(1)
	v_mul_f64 v[157:158], v[2:3], v[36:37]
	v_mul_f64 v[36:37], v[4:5], v[36:37]
	v_add_f64 v[153:154], v[153:154], v[165:166]
	v_add_f64 v[155:156], v[155:156], v[159:160]
	s_waitcnt vmcnt(8) lgkmcnt(0)
	v_mul_f64 v[159:160], v[6:7], v[147:148]
	v_mul_f64 v[147:148], v[8:9], v[147:148]
	v_fma_f64 v[157:158], v[4:5], v[34:35], v[157:158]
	v_fma_f64 v[165:166], v[2:3], v[34:35], -v[36:37]
	scratch_load_b128 v[34:37], off, off offset:496
	ds_load_b128 v[2:5], v1 offset:912
	v_add_f64 v[153:154], v[153:154], v[163:164]
	v_add_f64 v[155:156], v[155:156], v[161:162]
	v_fma_f64 v[159:160], v[8:9], v[145:146], v[159:160]
	v_fma_f64 v[163:164], v[6:7], v[145:146], -v[147:148]
	ds_load_b128 v[6:9], v1 offset:928
	s_waitcnt vmcnt(8) lgkmcnt(1)
	v_mul_f64 v[161:162], v[2:3], v[12:13]
	v_mul_f64 v[12:13], v[4:5], v[12:13]
	scratch_load_b128 v[145:148], off, off offset:512
	v_add_f64 v[153:154], v[153:154], v[165:166]
	v_add_f64 v[155:156], v[155:156], v[157:158]
	s_waitcnt vmcnt(8) lgkmcnt(0)
	v_mul_f64 v[157:158], v[6:7], v[16:17]
	v_mul_f64 v[16:17], v[8:9], v[16:17]
	v_fma_f64 v[161:162], v[4:5], v[10:11], v[161:162]
	v_fma_f64 v[165:166], v[2:3], v[10:11], -v[12:13]
	scratch_load_b128 v[10:13], off, off offset:528
	ds_load_b128 v[2:5], v1 offset:944
	v_add_f64 v[153:154], v[153:154], v[163:164]
	v_add_f64 v[155:156], v[155:156], v[159:160]
	v_fma_f64 v[157:158], v[8:9], v[14:15], v[157:158]
	v_fma_f64 v[14:15], v[6:7], v[14:15], -v[16:17]
	ds_load_b128 v[6:9], v1 offset:960
	s_waitcnt vmcnt(8) lgkmcnt(1)
	v_mul_f64 v[159:160], v[2:3], v[20:21]
	v_mul_f64 v[20:21], v[4:5], v[20:21]
	v_add_f64 v[16:17], v[153:154], v[165:166]
	v_add_f64 v[153:154], v[155:156], v[161:162]
	s_waitcnt vmcnt(7) lgkmcnt(0)
	v_mul_f64 v[155:156], v[6:7], v[24:25]
	v_mul_f64 v[24:25], v[8:9], v[24:25]
	v_fma_f64 v[159:160], v[4:5], v[18:19], v[159:160]
	v_fma_f64 v[18:19], v[2:3], v[18:19], -v[20:21]
	ds_load_b128 v[2:5], v1 offset:976
	v_add_f64 v[14:15], v[16:17], v[14:15]
	v_add_f64 v[16:17], v[153:154], v[157:158]
	v_fma_f64 v[153:154], v[8:9], v[22:23], v[155:156]
	v_fma_f64 v[22:23], v[6:7], v[22:23], -v[24:25]
	ds_load_b128 v[6:9], v1 offset:992
	s_waitcnt vmcnt(5) lgkmcnt(0)
	v_mul_f64 v[155:156], v[6:7], v[32:33]
	v_mul_f64 v[32:33], v[8:9], v[32:33]
	v_add_f64 v[18:19], v[14:15], v[18:19]
	v_add_f64 v[24:25], v[16:17], v[159:160]
	scratch_load_b128 v[14:17], off, off offset:160
	v_mul_f64 v[20:21], v[2:3], v[28:29]
	v_mul_f64 v[28:29], v[4:5], v[28:29]
	v_add_f64 v[18:19], v[18:19], v[22:23]
	v_add_f64 v[22:23], v[24:25], v[153:154]
	s_delay_alu instid0(VALU_DEP_4) | instskip(NEXT) | instid1(VALU_DEP_4)
	v_fma_f64 v[20:21], v[4:5], v[26:27], v[20:21]
	v_fma_f64 v[26:27], v[2:3], v[26:27], -v[28:29]
	ds_load_b128 v[2:5], v1 offset:1008
	s_waitcnt vmcnt(5) lgkmcnt(0)
	v_mul_f64 v[24:25], v[2:3], v[40:41]
	v_mul_f64 v[28:29], v[4:5], v[40:41]
	v_fma_f64 v[40:41], v[8:9], v[30:31], v[155:156]
	v_fma_f64 v[30:31], v[6:7], v[30:31], -v[32:33]
	ds_load_b128 v[6:9], v1 offset:1024
	v_add_f64 v[20:21], v[22:23], v[20:21]
	v_add_f64 v[18:19], v[18:19], v[26:27]
	v_fma_f64 v[24:25], v[4:5], v[38:39], v[24:25]
	v_fma_f64 v[28:29], v[2:3], v[38:39], -v[28:29]
	ds_load_b128 v[2:5], v1 offset:1040
	s_waitcnt vmcnt(4) lgkmcnt(1)
	v_mul_f64 v[22:23], v[6:7], v[151:152]
	v_mul_f64 v[26:27], v[8:9], v[151:152]
	v_add_f64 v[20:21], v[20:21], v[40:41]
	v_add_f64 v[18:19], v[18:19], v[30:31]
	s_waitcnt vmcnt(3) lgkmcnt(0)
	v_mul_f64 v[30:31], v[2:3], v[36:37]
	v_mul_f64 v[32:33], v[4:5], v[36:37]
	v_fma_f64 v[22:23], v[8:9], v[149:150], v[22:23]
	v_fma_f64 v[26:27], v[6:7], v[149:150], -v[26:27]
	ds_load_b128 v[6:9], v1 offset:1056
	v_add_f64 v[20:21], v[20:21], v[24:25]
	v_add_f64 v[18:19], v[18:19], v[28:29]
	v_fma_f64 v[30:31], v[4:5], v[34:35], v[30:31]
	v_fma_f64 v[32:33], v[2:3], v[34:35], -v[32:33]
	ds_load_b128 v[2:5], v1 offset:1072
	s_waitcnt vmcnt(2) lgkmcnt(1)
	v_mul_f64 v[24:25], v[6:7], v[147:148]
	v_mul_f64 v[28:29], v[8:9], v[147:148]
	v_add_f64 v[20:21], v[20:21], v[22:23]
	v_add_f64 v[18:19], v[18:19], v[26:27]
	s_waitcnt vmcnt(1) lgkmcnt(0)
	v_mul_f64 v[22:23], v[2:3], v[12:13]
	v_mul_f64 v[12:13], v[4:5], v[12:13]
	v_fma_f64 v[8:9], v[8:9], v[145:146], v[24:25]
	v_fma_f64 v[6:7], v[6:7], v[145:146], -v[28:29]
	v_add_f64 v[20:21], v[20:21], v[30:31]
	v_add_f64 v[18:19], v[18:19], v[32:33]
	v_fma_f64 v[4:5], v[4:5], v[10:11], v[22:23]
	v_fma_f64 v[2:3], v[2:3], v[10:11], -v[12:13]
	s_delay_alu instid0(VALU_DEP_4) | instskip(NEXT) | instid1(VALU_DEP_4)
	v_add_f64 v[8:9], v[20:21], v[8:9]
	v_add_f64 v[6:7], v[18:19], v[6:7]
	s_delay_alu instid0(VALU_DEP_2) | instskip(NEXT) | instid1(VALU_DEP_2)
	v_add_f64 v[4:5], v[8:9], v[4:5]
	v_add_f64 v[2:3], v[6:7], v[2:3]
	s_waitcnt vmcnt(0)
	s_delay_alu instid0(VALU_DEP_2) | instskip(NEXT) | instid1(VALU_DEP_2)
	v_add_f64 v[4:5], v[16:17], -v[4:5]
	v_add_f64 v[2:3], v[14:15], -v[2:3]
	scratch_store_b128 off, v[2:5], off offset:160
	v_cmpx_lt_u32_e32 9, v110
	s_cbranch_execz .LBB33_199
; %bb.198:
	scratch_load_b128 v[5:8], v139, off
	v_mov_b32_e32 v2, v1
	v_mov_b32_e32 v3, v1
	;; [unrolled: 1-line block ×3, first 2 shown]
	scratch_store_b128 off, v[1:4], off offset:144
	s_waitcnt vmcnt(0)
	ds_store_b128 v144, v[5:8]
.LBB33_199:
	s_or_b32 exec_lo, exec_lo, s2
	s_waitcnt lgkmcnt(0)
	s_waitcnt_vscnt null, 0x0
	s_barrier
	buffer_gl0_inv
	s_clause 0x7
	scratch_load_b128 v[2:5], off, off offset:160
	scratch_load_b128 v[6:9], off, off offset:176
	;; [unrolled: 1-line block ×8, first 2 shown]
	ds_load_b128 v[34:37], v1 offset:704
	ds_load_b128 v[145:148], v1 offset:720
	s_clause 0x1
	scratch_load_b128 v[38:41], off, off offset:288
	scratch_load_b128 v[149:152], off, off offset:304
	s_mov_b32 s2, exec_lo
	s_waitcnt vmcnt(9) lgkmcnt(1)
	v_mul_f64 v[153:154], v[36:37], v[4:5]
	v_mul_f64 v[4:5], v[34:35], v[4:5]
	s_waitcnt vmcnt(8) lgkmcnt(0)
	v_mul_f64 v[155:156], v[145:146], v[8:9]
	v_mul_f64 v[8:9], v[147:148], v[8:9]
	s_delay_alu instid0(VALU_DEP_4) | instskip(NEXT) | instid1(VALU_DEP_4)
	v_fma_f64 v[153:154], v[34:35], v[2:3], -v[153:154]
	v_fma_f64 v[157:158], v[36:37], v[2:3], v[4:5]
	ds_load_b128 v[2:5], v1 offset:736
	scratch_load_b128 v[34:37], off, off offset:320
	v_fma_f64 v[155:156], v[147:148], v[6:7], v[155:156]
	v_fma_f64 v[161:162], v[145:146], v[6:7], -v[8:9]
	scratch_load_b128 v[145:148], off, off offset:336
	ds_load_b128 v[6:9], v1 offset:752
	s_waitcnt vmcnt(9) lgkmcnt(1)
	v_mul_f64 v[159:160], v[2:3], v[12:13]
	v_mul_f64 v[12:13], v[4:5], v[12:13]
	s_waitcnt vmcnt(8) lgkmcnt(0)
	v_mul_f64 v[163:164], v[6:7], v[16:17]
	v_mul_f64 v[16:17], v[8:9], v[16:17]
	v_add_f64 v[153:154], v[153:154], 0
	v_add_f64 v[157:158], v[157:158], 0
	v_fma_f64 v[159:160], v[4:5], v[10:11], v[159:160]
	v_fma_f64 v[165:166], v[2:3], v[10:11], -v[12:13]
	ds_load_b128 v[2:5], v1 offset:768
	scratch_load_b128 v[10:13], off, off offset:352
	v_add_f64 v[153:154], v[153:154], v[161:162]
	v_add_f64 v[155:156], v[157:158], v[155:156]
	v_fma_f64 v[161:162], v[8:9], v[14:15], v[163:164]
	v_fma_f64 v[163:164], v[6:7], v[14:15], -v[16:17]
	scratch_load_b128 v[14:17], off, off offset:368
	ds_load_b128 v[6:9], v1 offset:784
	s_waitcnt vmcnt(9) lgkmcnt(1)
	v_mul_f64 v[157:158], v[2:3], v[20:21]
	v_mul_f64 v[20:21], v[4:5], v[20:21]
	v_add_f64 v[153:154], v[153:154], v[165:166]
	v_add_f64 v[155:156], v[155:156], v[159:160]
	s_waitcnt vmcnt(8) lgkmcnt(0)
	v_mul_f64 v[159:160], v[6:7], v[24:25]
	v_mul_f64 v[24:25], v[8:9], v[24:25]
	v_fma_f64 v[157:158], v[4:5], v[18:19], v[157:158]
	v_fma_f64 v[165:166], v[2:3], v[18:19], -v[20:21]
	ds_load_b128 v[2:5], v1 offset:800
	scratch_load_b128 v[18:21], off, off offset:384
	v_add_f64 v[153:154], v[153:154], v[163:164]
	v_add_f64 v[155:156], v[155:156], v[161:162]
	v_fma_f64 v[159:160], v[8:9], v[22:23], v[159:160]
	v_fma_f64 v[163:164], v[6:7], v[22:23], -v[24:25]
	scratch_load_b128 v[22:25], off, off offset:400
	ds_load_b128 v[6:9], v1 offset:816
	s_waitcnt vmcnt(9) lgkmcnt(1)
	v_mul_f64 v[161:162], v[2:3], v[28:29]
	v_mul_f64 v[28:29], v[4:5], v[28:29]
	v_add_f64 v[153:154], v[153:154], v[165:166]
	v_add_f64 v[155:156], v[155:156], v[157:158]
	s_waitcnt vmcnt(8) lgkmcnt(0)
	v_mul_f64 v[157:158], v[6:7], v[32:33]
	v_mul_f64 v[32:33], v[8:9], v[32:33]
	v_fma_f64 v[161:162], v[4:5], v[26:27], v[161:162]
	v_fma_f64 v[165:166], v[2:3], v[26:27], -v[28:29]
	ds_load_b128 v[2:5], v1 offset:832
	scratch_load_b128 v[26:29], off, off offset:416
	v_add_f64 v[153:154], v[153:154], v[163:164]
	v_add_f64 v[155:156], v[155:156], v[159:160]
	v_fma_f64 v[157:158], v[8:9], v[30:31], v[157:158]
	v_fma_f64 v[163:164], v[6:7], v[30:31], -v[32:33]
	ds_load_b128 v[6:9], v1 offset:848
	s_waitcnt vmcnt(8) lgkmcnt(1)
	v_mul_f64 v[159:160], v[2:3], v[40:41]
	v_mul_f64 v[40:41], v[4:5], v[40:41]
	scratch_load_b128 v[30:33], off, off offset:432
	v_add_f64 v[153:154], v[153:154], v[165:166]
	v_add_f64 v[155:156], v[155:156], v[161:162]
	s_waitcnt vmcnt(8) lgkmcnt(0)
	v_mul_f64 v[161:162], v[6:7], v[151:152]
	v_mul_f64 v[151:152], v[8:9], v[151:152]
	v_fma_f64 v[159:160], v[4:5], v[38:39], v[159:160]
	v_fma_f64 v[165:166], v[2:3], v[38:39], -v[40:41]
	ds_load_b128 v[2:5], v1 offset:864
	scratch_load_b128 v[38:41], off, off offset:448
	v_add_f64 v[153:154], v[153:154], v[163:164]
	v_add_f64 v[155:156], v[155:156], v[157:158]
	v_fma_f64 v[161:162], v[8:9], v[149:150], v[161:162]
	v_fma_f64 v[163:164], v[6:7], v[149:150], -v[151:152]
	ds_load_b128 v[6:9], v1 offset:880
	scratch_load_b128 v[149:152], off, off offset:464
	s_waitcnt vmcnt(9) lgkmcnt(1)
	v_mul_f64 v[157:158], v[2:3], v[36:37]
	v_mul_f64 v[36:37], v[4:5], v[36:37]
	v_add_f64 v[153:154], v[153:154], v[165:166]
	v_add_f64 v[155:156], v[155:156], v[159:160]
	s_waitcnt vmcnt(8) lgkmcnt(0)
	v_mul_f64 v[159:160], v[6:7], v[147:148]
	v_mul_f64 v[147:148], v[8:9], v[147:148]
	v_fma_f64 v[157:158], v[4:5], v[34:35], v[157:158]
	v_fma_f64 v[165:166], v[2:3], v[34:35], -v[36:37]
	scratch_load_b128 v[34:37], off, off offset:480
	ds_load_b128 v[2:5], v1 offset:896
	v_add_f64 v[153:154], v[153:154], v[163:164]
	v_add_f64 v[155:156], v[155:156], v[161:162]
	v_fma_f64 v[159:160], v[8:9], v[145:146], v[159:160]
	v_fma_f64 v[163:164], v[6:7], v[145:146], -v[147:148]
	ds_load_b128 v[6:9], v1 offset:912
	s_waitcnt vmcnt(8) lgkmcnt(1)
	v_mul_f64 v[161:162], v[2:3], v[12:13]
	v_mul_f64 v[12:13], v[4:5], v[12:13]
	scratch_load_b128 v[145:148], off, off offset:496
	v_add_f64 v[153:154], v[153:154], v[165:166]
	v_add_f64 v[155:156], v[155:156], v[157:158]
	s_waitcnt vmcnt(8) lgkmcnt(0)
	v_mul_f64 v[157:158], v[6:7], v[16:17]
	v_mul_f64 v[16:17], v[8:9], v[16:17]
	v_fma_f64 v[161:162], v[4:5], v[10:11], v[161:162]
	v_fma_f64 v[165:166], v[2:3], v[10:11], -v[12:13]
	scratch_load_b128 v[10:13], off, off offset:512
	ds_load_b128 v[2:5], v1 offset:928
	v_add_f64 v[153:154], v[153:154], v[163:164]
	v_add_f64 v[155:156], v[155:156], v[159:160]
	v_fma_f64 v[157:158], v[8:9], v[14:15], v[157:158]
	v_fma_f64 v[163:164], v[6:7], v[14:15], -v[16:17]
	ds_load_b128 v[6:9], v1 offset:944
	s_waitcnt vmcnt(8) lgkmcnt(1)
	v_mul_f64 v[159:160], v[2:3], v[20:21]
	v_mul_f64 v[20:21], v[4:5], v[20:21]
	scratch_load_b128 v[14:17], off, off offset:528
	v_add_f64 v[153:154], v[153:154], v[165:166]
	v_add_f64 v[155:156], v[155:156], v[161:162]
	s_waitcnt vmcnt(8) lgkmcnt(0)
	v_mul_f64 v[161:162], v[6:7], v[24:25]
	v_mul_f64 v[24:25], v[8:9], v[24:25]
	v_fma_f64 v[159:160], v[4:5], v[18:19], v[159:160]
	v_fma_f64 v[18:19], v[2:3], v[18:19], -v[20:21]
	ds_load_b128 v[2:5], v1 offset:960
	v_add_f64 v[20:21], v[153:154], v[163:164]
	v_add_f64 v[153:154], v[155:156], v[157:158]
	v_fma_f64 v[157:158], v[8:9], v[22:23], v[161:162]
	v_fma_f64 v[22:23], v[6:7], v[22:23], -v[24:25]
	ds_load_b128 v[6:9], v1 offset:976
	s_waitcnt vmcnt(7) lgkmcnt(1)
	v_mul_f64 v[155:156], v[2:3], v[28:29]
	v_mul_f64 v[28:29], v[4:5], v[28:29]
	v_add_f64 v[18:19], v[20:21], v[18:19]
	v_add_f64 v[20:21], v[153:154], v[159:160]
	s_delay_alu instid0(VALU_DEP_4) | instskip(NEXT) | instid1(VALU_DEP_4)
	v_fma_f64 v[153:154], v[4:5], v[26:27], v[155:156]
	v_fma_f64 v[26:27], v[2:3], v[26:27], -v[28:29]
	ds_load_b128 v[2:5], v1 offset:992
	v_add_f64 v[22:23], v[18:19], v[22:23]
	v_add_f64 v[28:29], v[20:21], v[157:158]
	scratch_load_b128 v[18:21], off, off offset:144
	s_waitcnt vmcnt(7) lgkmcnt(1)
	v_mul_f64 v[24:25], v[6:7], v[32:33]
	v_mul_f64 v[32:33], v[8:9], v[32:33]
	v_add_f64 v[22:23], v[22:23], v[26:27]
	v_add_f64 v[26:27], v[28:29], v[153:154]
	s_delay_alu instid0(VALU_DEP_4) | instskip(NEXT) | instid1(VALU_DEP_4)
	v_fma_f64 v[24:25], v[8:9], v[30:31], v[24:25]
	v_fma_f64 v[30:31], v[6:7], v[30:31], -v[32:33]
	ds_load_b128 v[6:9], v1 offset:1008
	s_waitcnt vmcnt(6) lgkmcnt(1)
	v_mul_f64 v[155:156], v[2:3], v[40:41]
	v_mul_f64 v[40:41], v[4:5], v[40:41]
	s_waitcnt vmcnt(5) lgkmcnt(0)
	v_mul_f64 v[28:29], v[6:7], v[151:152]
	v_mul_f64 v[32:33], v[8:9], v[151:152]
	v_add_f64 v[24:25], v[26:27], v[24:25]
	v_add_f64 v[22:23], v[22:23], v[30:31]
	v_fma_f64 v[151:152], v[4:5], v[38:39], v[155:156]
	v_fma_f64 v[38:39], v[2:3], v[38:39], -v[40:41]
	ds_load_b128 v[2:5], v1 offset:1024
	v_fma_f64 v[28:29], v[8:9], v[149:150], v[28:29]
	v_fma_f64 v[32:33], v[6:7], v[149:150], -v[32:33]
	ds_load_b128 v[6:9], v1 offset:1040
	s_waitcnt vmcnt(4) lgkmcnt(1)
	v_mul_f64 v[26:27], v[2:3], v[36:37]
	v_mul_f64 v[30:31], v[4:5], v[36:37]
	v_add_f64 v[24:25], v[24:25], v[151:152]
	v_add_f64 v[22:23], v[22:23], v[38:39]
	s_waitcnt vmcnt(3) lgkmcnt(0)
	v_mul_f64 v[36:37], v[6:7], v[147:148]
	v_mul_f64 v[38:39], v[8:9], v[147:148]
	v_fma_f64 v[26:27], v[4:5], v[34:35], v[26:27]
	v_fma_f64 v[30:31], v[2:3], v[34:35], -v[30:31]
	ds_load_b128 v[2:5], v1 offset:1056
	v_add_f64 v[24:25], v[24:25], v[28:29]
	v_add_f64 v[22:23], v[22:23], v[32:33]
	v_fma_f64 v[32:33], v[8:9], v[145:146], v[36:37]
	v_fma_f64 v[34:35], v[6:7], v[145:146], -v[38:39]
	ds_load_b128 v[6:9], v1 offset:1072
	s_waitcnt vmcnt(2) lgkmcnt(1)
	v_mul_f64 v[28:29], v[2:3], v[12:13]
	v_mul_f64 v[12:13], v[4:5], v[12:13]
	v_add_f64 v[24:25], v[24:25], v[26:27]
	v_add_f64 v[22:23], v[22:23], v[30:31]
	s_waitcnt vmcnt(1) lgkmcnt(0)
	v_mul_f64 v[26:27], v[6:7], v[16:17]
	v_mul_f64 v[16:17], v[8:9], v[16:17]
	v_fma_f64 v[4:5], v[4:5], v[10:11], v[28:29]
	v_fma_f64 v[1:2], v[2:3], v[10:11], -v[12:13]
	v_add_f64 v[12:13], v[24:25], v[32:33]
	v_add_f64 v[10:11], v[22:23], v[34:35]
	v_fma_f64 v[8:9], v[8:9], v[14:15], v[26:27]
	v_fma_f64 v[6:7], v[6:7], v[14:15], -v[16:17]
	s_delay_alu instid0(VALU_DEP_4) | instskip(NEXT) | instid1(VALU_DEP_4)
	v_add_f64 v[3:4], v[12:13], v[4:5]
	v_add_f64 v[1:2], v[10:11], v[1:2]
	s_delay_alu instid0(VALU_DEP_2) | instskip(NEXT) | instid1(VALU_DEP_2)
	v_add_f64 v[3:4], v[3:4], v[8:9]
	v_add_f64 v[1:2], v[1:2], v[6:7]
	s_waitcnt vmcnt(0)
	s_delay_alu instid0(VALU_DEP_2) | instskip(NEXT) | instid1(VALU_DEP_2)
	v_add_f64 v[3:4], v[20:21], -v[3:4]
	v_add_f64 v[1:2], v[18:19], -v[1:2]
	scratch_store_b128 off, v[1:4], off offset:144
	v_cmpx_lt_u32_e32 8, v110
	s_cbranch_execz .LBB33_201
; %bb.200:
	scratch_load_b128 v[1:4], v140, off
	v_mov_b32_e32 v5, 0
	s_delay_alu instid0(VALU_DEP_1)
	v_mov_b32_e32 v6, v5
	v_mov_b32_e32 v7, v5
	v_mov_b32_e32 v8, v5
	scratch_store_b128 off, v[5:8], off offset:128
	s_waitcnt vmcnt(0)
	ds_store_b128 v144, v[1:4]
.LBB33_201:
	s_or_b32 exec_lo, exec_lo, s2
	s_waitcnt lgkmcnt(0)
	s_waitcnt_vscnt null, 0x0
	s_barrier
	buffer_gl0_inv
	s_clause 0x7
	scratch_load_b128 v[2:5], off, off offset:144
	scratch_load_b128 v[6:9], off, off offset:160
	scratch_load_b128 v[10:13], off, off offset:176
	scratch_load_b128 v[14:17], off, off offset:192
	scratch_load_b128 v[18:21], off, off offset:208
	scratch_load_b128 v[22:25], off, off offset:224
	scratch_load_b128 v[26:29], off, off offset:240
	scratch_load_b128 v[30:33], off, off offset:256
	v_mov_b32_e32 v1, 0
	s_clause 0x1
	scratch_load_b128 v[38:41], off, off offset:272
	scratch_load_b128 v[149:152], off, off offset:288
	s_mov_b32 s2, exec_lo
	ds_load_b128 v[34:37], v1 offset:688
	ds_load_b128 v[145:148], v1 offset:704
	s_waitcnt vmcnt(9) lgkmcnt(1)
	v_mul_f64 v[153:154], v[36:37], v[4:5]
	v_mul_f64 v[4:5], v[34:35], v[4:5]
	s_waitcnt vmcnt(8) lgkmcnt(0)
	v_mul_f64 v[155:156], v[145:146], v[8:9]
	v_mul_f64 v[8:9], v[147:148], v[8:9]
	s_delay_alu instid0(VALU_DEP_4) | instskip(NEXT) | instid1(VALU_DEP_4)
	v_fma_f64 v[153:154], v[34:35], v[2:3], -v[153:154]
	v_fma_f64 v[157:158], v[36:37], v[2:3], v[4:5]
	ds_load_b128 v[2:5], v1 offset:720
	scratch_load_b128 v[34:37], off, off offset:304
	v_fma_f64 v[155:156], v[147:148], v[6:7], v[155:156]
	v_fma_f64 v[161:162], v[145:146], v[6:7], -v[8:9]
	scratch_load_b128 v[145:148], off, off offset:320
	ds_load_b128 v[6:9], v1 offset:736
	s_waitcnt vmcnt(9) lgkmcnt(1)
	v_mul_f64 v[159:160], v[2:3], v[12:13]
	v_mul_f64 v[12:13], v[4:5], v[12:13]
	s_waitcnt vmcnt(8) lgkmcnt(0)
	v_mul_f64 v[163:164], v[6:7], v[16:17]
	v_mul_f64 v[16:17], v[8:9], v[16:17]
	v_add_f64 v[153:154], v[153:154], 0
	v_add_f64 v[157:158], v[157:158], 0
	v_fma_f64 v[159:160], v[4:5], v[10:11], v[159:160]
	v_fma_f64 v[165:166], v[2:3], v[10:11], -v[12:13]
	ds_load_b128 v[2:5], v1 offset:752
	scratch_load_b128 v[10:13], off, off offset:336
	v_add_f64 v[153:154], v[153:154], v[161:162]
	v_add_f64 v[155:156], v[157:158], v[155:156]
	v_fma_f64 v[161:162], v[8:9], v[14:15], v[163:164]
	v_fma_f64 v[163:164], v[6:7], v[14:15], -v[16:17]
	scratch_load_b128 v[14:17], off, off offset:352
	ds_load_b128 v[6:9], v1 offset:768
	s_waitcnt vmcnt(9) lgkmcnt(1)
	v_mul_f64 v[157:158], v[2:3], v[20:21]
	v_mul_f64 v[20:21], v[4:5], v[20:21]
	v_add_f64 v[153:154], v[153:154], v[165:166]
	v_add_f64 v[155:156], v[155:156], v[159:160]
	s_waitcnt vmcnt(8) lgkmcnt(0)
	v_mul_f64 v[159:160], v[6:7], v[24:25]
	v_mul_f64 v[24:25], v[8:9], v[24:25]
	v_fma_f64 v[157:158], v[4:5], v[18:19], v[157:158]
	v_fma_f64 v[165:166], v[2:3], v[18:19], -v[20:21]
	ds_load_b128 v[2:5], v1 offset:784
	scratch_load_b128 v[18:21], off, off offset:368
	v_add_f64 v[153:154], v[153:154], v[163:164]
	v_add_f64 v[155:156], v[155:156], v[161:162]
	v_fma_f64 v[159:160], v[8:9], v[22:23], v[159:160]
	v_fma_f64 v[163:164], v[6:7], v[22:23], -v[24:25]
	scratch_load_b128 v[22:25], off, off offset:384
	ds_load_b128 v[6:9], v1 offset:800
	s_waitcnt vmcnt(9) lgkmcnt(1)
	v_mul_f64 v[161:162], v[2:3], v[28:29]
	v_mul_f64 v[28:29], v[4:5], v[28:29]
	v_add_f64 v[153:154], v[153:154], v[165:166]
	v_add_f64 v[155:156], v[155:156], v[157:158]
	s_waitcnt vmcnt(8) lgkmcnt(0)
	v_mul_f64 v[157:158], v[6:7], v[32:33]
	v_mul_f64 v[32:33], v[8:9], v[32:33]
	v_fma_f64 v[161:162], v[4:5], v[26:27], v[161:162]
	v_fma_f64 v[165:166], v[2:3], v[26:27], -v[28:29]
	ds_load_b128 v[2:5], v1 offset:816
	scratch_load_b128 v[26:29], off, off offset:400
	v_add_f64 v[153:154], v[153:154], v[163:164]
	v_add_f64 v[155:156], v[155:156], v[159:160]
	v_fma_f64 v[157:158], v[8:9], v[30:31], v[157:158]
	v_fma_f64 v[163:164], v[6:7], v[30:31], -v[32:33]
	scratch_load_b128 v[30:33], off, off offset:416
	ds_load_b128 v[6:9], v1 offset:832
	s_waitcnt vmcnt(9) lgkmcnt(1)
	v_mul_f64 v[159:160], v[2:3], v[40:41]
	v_mul_f64 v[40:41], v[4:5], v[40:41]
	v_add_f64 v[153:154], v[153:154], v[165:166]
	v_add_f64 v[155:156], v[155:156], v[161:162]
	s_waitcnt vmcnt(8) lgkmcnt(0)
	v_mul_f64 v[161:162], v[6:7], v[151:152]
	v_mul_f64 v[151:152], v[8:9], v[151:152]
	v_fma_f64 v[159:160], v[4:5], v[38:39], v[159:160]
	v_fma_f64 v[165:166], v[2:3], v[38:39], -v[40:41]
	ds_load_b128 v[2:5], v1 offset:848
	scratch_load_b128 v[38:41], off, off offset:432
	v_add_f64 v[153:154], v[153:154], v[163:164]
	v_add_f64 v[155:156], v[155:156], v[157:158]
	v_fma_f64 v[161:162], v[8:9], v[149:150], v[161:162]
	v_fma_f64 v[163:164], v[6:7], v[149:150], -v[151:152]
	ds_load_b128 v[6:9], v1 offset:864
	scratch_load_b128 v[149:152], off, off offset:448
	s_waitcnt vmcnt(9) lgkmcnt(1)
	v_mul_f64 v[157:158], v[2:3], v[36:37]
	v_mul_f64 v[36:37], v[4:5], v[36:37]
	v_add_f64 v[153:154], v[153:154], v[165:166]
	v_add_f64 v[155:156], v[155:156], v[159:160]
	s_waitcnt vmcnt(8) lgkmcnt(0)
	v_mul_f64 v[159:160], v[6:7], v[147:148]
	v_mul_f64 v[147:148], v[8:9], v[147:148]
	v_fma_f64 v[157:158], v[4:5], v[34:35], v[157:158]
	v_fma_f64 v[165:166], v[2:3], v[34:35], -v[36:37]
	scratch_load_b128 v[34:37], off, off offset:464
	ds_load_b128 v[2:5], v1 offset:880
	v_add_f64 v[153:154], v[153:154], v[163:164]
	v_add_f64 v[155:156], v[155:156], v[161:162]
	v_fma_f64 v[159:160], v[8:9], v[145:146], v[159:160]
	v_fma_f64 v[163:164], v[6:7], v[145:146], -v[147:148]
	ds_load_b128 v[6:9], v1 offset:896
	s_waitcnt vmcnt(8) lgkmcnt(1)
	v_mul_f64 v[161:162], v[2:3], v[12:13]
	v_mul_f64 v[12:13], v[4:5], v[12:13]
	scratch_load_b128 v[145:148], off, off offset:480
	v_add_f64 v[153:154], v[153:154], v[165:166]
	v_add_f64 v[155:156], v[155:156], v[157:158]
	s_waitcnt vmcnt(8) lgkmcnt(0)
	v_mul_f64 v[157:158], v[6:7], v[16:17]
	v_mul_f64 v[16:17], v[8:9], v[16:17]
	v_fma_f64 v[161:162], v[4:5], v[10:11], v[161:162]
	v_fma_f64 v[165:166], v[2:3], v[10:11], -v[12:13]
	scratch_load_b128 v[10:13], off, off offset:496
	ds_load_b128 v[2:5], v1 offset:912
	v_add_f64 v[153:154], v[153:154], v[163:164]
	v_add_f64 v[155:156], v[155:156], v[159:160]
	v_fma_f64 v[157:158], v[8:9], v[14:15], v[157:158]
	v_fma_f64 v[163:164], v[6:7], v[14:15], -v[16:17]
	ds_load_b128 v[6:9], v1 offset:928
	s_waitcnt vmcnt(8) lgkmcnt(1)
	v_mul_f64 v[159:160], v[2:3], v[20:21]
	v_mul_f64 v[20:21], v[4:5], v[20:21]
	scratch_load_b128 v[14:17], off, off offset:512
	v_add_f64 v[153:154], v[153:154], v[165:166]
	v_add_f64 v[155:156], v[155:156], v[161:162]
	s_waitcnt vmcnt(8) lgkmcnt(0)
	v_mul_f64 v[161:162], v[6:7], v[24:25]
	v_mul_f64 v[24:25], v[8:9], v[24:25]
	v_fma_f64 v[159:160], v[4:5], v[18:19], v[159:160]
	v_fma_f64 v[165:166], v[2:3], v[18:19], -v[20:21]
	scratch_load_b128 v[18:21], off, off offset:528
	ds_load_b128 v[2:5], v1 offset:944
	v_add_f64 v[153:154], v[153:154], v[163:164]
	v_add_f64 v[155:156], v[155:156], v[157:158]
	v_fma_f64 v[161:162], v[8:9], v[22:23], v[161:162]
	v_fma_f64 v[22:23], v[6:7], v[22:23], -v[24:25]
	ds_load_b128 v[6:9], v1 offset:960
	s_waitcnt vmcnt(8) lgkmcnt(1)
	v_mul_f64 v[157:158], v[2:3], v[28:29]
	v_mul_f64 v[28:29], v[4:5], v[28:29]
	v_add_f64 v[24:25], v[153:154], v[165:166]
	v_add_f64 v[153:154], v[155:156], v[159:160]
	s_waitcnt vmcnt(7) lgkmcnt(0)
	v_mul_f64 v[155:156], v[6:7], v[32:33]
	v_mul_f64 v[32:33], v[8:9], v[32:33]
	v_fma_f64 v[157:158], v[4:5], v[26:27], v[157:158]
	v_fma_f64 v[26:27], v[2:3], v[26:27], -v[28:29]
	ds_load_b128 v[2:5], v1 offset:976
	v_add_f64 v[22:23], v[24:25], v[22:23]
	v_add_f64 v[24:25], v[153:154], v[161:162]
	v_fma_f64 v[153:154], v[8:9], v[30:31], v[155:156]
	v_fma_f64 v[30:31], v[6:7], v[30:31], -v[32:33]
	ds_load_b128 v[6:9], v1 offset:992
	s_waitcnt vmcnt(5) lgkmcnt(0)
	v_mul_f64 v[155:156], v[6:7], v[151:152]
	v_mul_f64 v[151:152], v[8:9], v[151:152]
	v_add_f64 v[26:27], v[22:23], v[26:27]
	v_add_f64 v[32:33], v[24:25], v[157:158]
	scratch_load_b128 v[22:25], off, off offset:128
	v_mul_f64 v[28:29], v[2:3], v[40:41]
	v_mul_f64 v[40:41], v[4:5], v[40:41]
	v_add_f64 v[26:27], v[26:27], v[30:31]
	v_add_f64 v[30:31], v[32:33], v[153:154]
	s_delay_alu instid0(VALU_DEP_4) | instskip(NEXT) | instid1(VALU_DEP_4)
	v_fma_f64 v[28:29], v[4:5], v[38:39], v[28:29]
	v_fma_f64 v[38:39], v[2:3], v[38:39], -v[40:41]
	ds_load_b128 v[2:5], v1 offset:1008
	v_fma_f64 v[40:41], v[8:9], v[149:150], v[155:156]
	v_fma_f64 v[149:150], v[6:7], v[149:150], -v[151:152]
	ds_load_b128 v[6:9], v1 offset:1024
	s_waitcnt vmcnt(5) lgkmcnt(1)
	v_mul_f64 v[32:33], v[2:3], v[36:37]
	v_mul_f64 v[36:37], v[4:5], v[36:37]
	v_add_f64 v[28:29], v[30:31], v[28:29]
	v_add_f64 v[26:27], v[26:27], v[38:39]
	s_waitcnt vmcnt(4) lgkmcnt(0)
	v_mul_f64 v[30:31], v[6:7], v[147:148]
	v_mul_f64 v[38:39], v[8:9], v[147:148]
	v_fma_f64 v[32:33], v[4:5], v[34:35], v[32:33]
	v_fma_f64 v[34:35], v[2:3], v[34:35], -v[36:37]
	ds_load_b128 v[2:5], v1 offset:1040
	v_add_f64 v[28:29], v[28:29], v[40:41]
	v_add_f64 v[26:27], v[26:27], v[149:150]
	v_fma_f64 v[30:31], v[8:9], v[145:146], v[30:31]
	v_fma_f64 v[38:39], v[6:7], v[145:146], -v[38:39]
	ds_load_b128 v[6:9], v1 offset:1056
	s_waitcnt vmcnt(3) lgkmcnt(1)
	v_mul_f64 v[36:37], v[2:3], v[12:13]
	v_mul_f64 v[12:13], v[4:5], v[12:13]
	v_add_f64 v[28:29], v[28:29], v[32:33]
	v_add_f64 v[26:27], v[26:27], v[34:35]
	s_waitcnt vmcnt(2) lgkmcnt(0)
	v_mul_f64 v[32:33], v[6:7], v[16:17]
	v_mul_f64 v[16:17], v[8:9], v[16:17]
	v_fma_f64 v[34:35], v[4:5], v[10:11], v[36:37]
	v_fma_f64 v[10:11], v[2:3], v[10:11], -v[12:13]
	ds_load_b128 v[2:5], v1 offset:1072
	v_add_f64 v[12:13], v[26:27], v[38:39]
	v_add_f64 v[26:27], v[28:29], v[30:31]
	s_waitcnt vmcnt(1) lgkmcnt(0)
	v_mul_f64 v[28:29], v[2:3], v[20:21]
	v_mul_f64 v[20:21], v[4:5], v[20:21]
	v_fma_f64 v[8:9], v[8:9], v[14:15], v[32:33]
	v_fma_f64 v[6:7], v[6:7], v[14:15], -v[16:17]
	v_add_f64 v[10:11], v[12:13], v[10:11]
	v_add_f64 v[12:13], v[26:27], v[34:35]
	v_fma_f64 v[4:5], v[4:5], v[18:19], v[28:29]
	v_fma_f64 v[2:3], v[2:3], v[18:19], -v[20:21]
	s_delay_alu instid0(VALU_DEP_4) | instskip(NEXT) | instid1(VALU_DEP_4)
	v_add_f64 v[6:7], v[10:11], v[6:7]
	v_add_f64 v[8:9], v[12:13], v[8:9]
	s_delay_alu instid0(VALU_DEP_2) | instskip(NEXT) | instid1(VALU_DEP_2)
	v_add_f64 v[2:3], v[6:7], v[2:3]
	v_add_f64 v[4:5], v[8:9], v[4:5]
	s_waitcnt vmcnt(0)
	s_delay_alu instid0(VALU_DEP_2) | instskip(NEXT) | instid1(VALU_DEP_2)
	v_add_f64 v[2:3], v[22:23], -v[2:3]
	v_add_f64 v[4:5], v[24:25], -v[4:5]
	scratch_store_b128 off, v[2:5], off offset:128
	v_cmpx_lt_u32_e32 7, v110
	s_cbranch_execz .LBB33_203
; %bb.202:
	scratch_load_b128 v[5:8], v142, off
	v_mov_b32_e32 v2, v1
	v_mov_b32_e32 v3, v1
	;; [unrolled: 1-line block ×3, first 2 shown]
	scratch_store_b128 off, v[1:4], off offset:112
	s_waitcnt vmcnt(0)
	ds_store_b128 v144, v[5:8]
.LBB33_203:
	s_or_b32 exec_lo, exec_lo, s2
	s_waitcnt lgkmcnt(0)
	s_waitcnt_vscnt null, 0x0
	s_barrier
	buffer_gl0_inv
	s_clause 0x7
	scratch_load_b128 v[2:5], off, off offset:128
	scratch_load_b128 v[6:9], off, off offset:144
	;; [unrolled: 1-line block ×8, first 2 shown]
	ds_load_b128 v[38:41], v1 offset:672
	ds_load_b128 v[145:148], v1 offset:688
	s_clause 0x1
	scratch_load_b128 v[34:37], off, off offset:256
	scratch_load_b128 v[149:152], off, off offset:272
	s_mov_b32 s2, exec_lo
	s_waitcnt vmcnt(9) lgkmcnt(1)
	v_mul_f64 v[153:154], v[40:41], v[4:5]
	v_mul_f64 v[4:5], v[38:39], v[4:5]
	s_waitcnt vmcnt(8) lgkmcnt(0)
	v_mul_f64 v[155:156], v[145:146], v[8:9]
	v_mul_f64 v[8:9], v[147:148], v[8:9]
	s_delay_alu instid0(VALU_DEP_4) | instskip(NEXT) | instid1(VALU_DEP_4)
	v_fma_f64 v[153:154], v[38:39], v[2:3], -v[153:154]
	v_fma_f64 v[157:158], v[40:41], v[2:3], v[4:5]
	ds_load_b128 v[2:5], v1 offset:704
	scratch_load_b128 v[38:41], off, off offset:288
	v_fma_f64 v[155:156], v[147:148], v[6:7], v[155:156]
	v_fma_f64 v[161:162], v[145:146], v[6:7], -v[8:9]
	scratch_load_b128 v[145:148], off, off offset:304
	ds_load_b128 v[6:9], v1 offset:720
	s_waitcnt vmcnt(9) lgkmcnt(1)
	v_mul_f64 v[159:160], v[2:3], v[12:13]
	v_mul_f64 v[12:13], v[4:5], v[12:13]
	s_waitcnt vmcnt(8) lgkmcnt(0)
	v_mul_f64 v[163:164], v[6:7], v[16:17]
	v_mul_f64 v[16:17], v[8:9], v[16:17]
	v_add_f64 v[153:154], v[153:154], 0
	v_add_f64 v[157:158], v[157:158], 0
	v_fma_f64 v[159:160], v[4:5], v[10:11], v[159:160]
	v_fma_f64 v[165:166], v[2:3], v[10:11], -v[12:13]
	ds_load_b128 v[2:5], v1 offset:736
	scratch_load_b128 v[10:13], off, off offset:320
	v_add_f64 v[153:154], v[153:154], v[161:162]
	v_add_f64 v[155:156], v[157:158], v[155:156]
	v_fma_f64 v[161:162], v[8:9], v[14:15], v[163:164]
	v_fma_f64 v[163:164], v[6:7], v[14:15], -v[16:17]
	scratch_load_b128 v[14:17], off, off offset:336
	ds_load_b128 v[6:9], v1 offset:752
	s_waitcnt vmcnt(9) lgkmcnt(1)
	v_mul_f64 v[157:158], v[2:3], v[20:21]
	v_mul_f64 v[20:21], v[4:5], v[20:21]
	v_add_f64 v[153:154], v[153:154], v[165:166]
	v_add_f64 v[155:156], v[155:156], v[159:160]
	s_waitcnt vmcnt(8) lgkmcnt(0)
	v_mul_f64 v[159:160], v[6:7], v[24:25]
	v_mul_f64 v[24:25], v[8:9], v[24:25]
	v_fma_f64 v[157:158], v[4:5], v[18:19], v[157:158]
	v_fma_f64 v[165:166], v[2:3], v[18:19], -v[20:21]
	ds_load_b128 v[2:5], v1 offset:768
	scratch_load_b128 v[18:21], off, off offset:352
	v_add_f64 v[153:154], v[153:154], v[163:164]
	v_add_f64 v[155:156], v[155:156], v[161:162]
	v_fma_f64 v[159:160], v[8:9], v[22:23], v[159:160]
	v_fma_f64 v[163:164], v[6:7], v[22:23], -v[24:25]
	scratch_load_b128 v[22:25], off, off offset:368
	ds_load_b128 v[6:9], v1 offset:784
	s_waitcnt vmcnt(9) lgkmcnt(1)
	v_mul_f64 v[161:162], v[2:3], v[28:29]
	v_mul_f64 v[28:29], v[4:5], v[28:29]
	v_add_f64 v[153:154], v[153:154], v[165:166]
	v_add_f64 v[155:156], v[155:156], v[157:158]
	s_waitcnt vmcnt(8) lgkmcnt(0)
	v_mul_f64 v[157:158], v[6:7], v[32:33]
	v_mul_f64 v[32:33], v[8:9], v[32:33]
	;; [unrolled: 18-line block ×3, first 2 shown]
	v_fma_f64 v[159:160], v[4:5], v[34:35], v[159:160]
	v_fma_f64 v[165:166], v[2:3], v[34:35], -v[36:37]
	ds_load_b128 v[2:5], v1 offset:832
	scratch_load_b128 v[34:37], off, off offset:416
	v_add_f64 v[153:154], v[153:154], v[163:164]
	v_add_f64 v[155:156], v[155:156], v[157:158]
	v_fma_f64 v[161:162], v[8:9], v[149:150], v[161:162]
	v_fma_f64 v[163:164], v[6:7], v[149:150], -v[151:152]
	ds_load_b128 v[6:9], v1 offset:848
	scratch_load_b128 v[149:152], off, off offset:432
	s_waitcnt vmcnt(9) lgkmcnt(1)
	v_mul_f64 v[157:158], v[2:3], v[40:41]
	v_mul_f64 v[40:41], v[4:5], v[40:41]
	v_add_f64 v[153:154], v[153:154], v[165:166]
	v_add_f64 v[155:156], v[155:156], v[159:160]
	s_waitcnt vmcnt(8) lgkmcnt(0)
	v_mul_f64 v[159:160], v[6:7], v[147:148]
	v_mul_f64 v[147:148], v[8:9], v[147:148]
	v_fma_f64 v[157:158], v[4:5], v[38:39], v[157:158]
	v_fma_f64 v[165:166], v[2:3], v[38:39], -v[40:41]
	ds_load_b128 v[2:5], v1 offset:864
	scratch_load_b128 v[38:41], off, off offset:448
	v_add_f64 v[153:154], v[153:154], v[163:164]
	v_add_f64 v[155:156], v[155:156], v[161:162]
	v_fma_f64 v[159:160], v[8:9], v[145:146], v[159:160]
	v_fma_f64 v[163:164], v[6:7], v[145:146], -v[147:148]
	ds_load_b128 v[6:9], v1 offset:880
	s_waitcnt vmcnt(8) lgkmcnt(1)
	v_mul_f64 v[161:162], v[2:3], v[12:13]
	v_mul_f64 v[12:13], v[4:5], v[12:13]
	scratch_load_b128 v[145:148], off, off offset:464
	v_add_f64 v[153:154], v[153:154], v[165:166]
	v_add_f64 v[155:156], v[155:156], v[157:158]
	s_waitcnt vmcnt(8) lgkmcnt(0)
	v_mul_f64 v[157:158], v[6:7], v[16:17]
	v_mul_f64 v[16:17], v[8:9], v[16:17]
	v_fma_f64 v[161:162], v[4:5], v[10:11], v[161:162]
	v_fma_f64 v[165:166], v[2:3], v[10:11], -v[12:13]
	scratch_load_b128 v[10:13], off, off offset:480
	ds_load_b128 v[2:5], v1 offset:896
	v_add_f64 v[153:154], v[153:154], v[163:164]
	v_add_f64 v[155:156], v[155:156], v[159:160]
	v_fma_f64 v[157:158], v[8:9], v[14:15], v[157:158]
	v_fma_f64 v[163:164], v[6:7], v[14:15], -v[16:17]
	ds_load_b128 v[6:9], v1 offset:912
	s_waitcnt vmcnt(8) lgkmcnt(1)
	v_mul_f64 v[159:160], v[2:3], v[20:21]
	v_mul_f64 v[20:21], v[4:5], v[20:21]
	scratch_load_b128 v[14:17], off, off offset:496
	v_add_f64 v[153:154], v[153:154], v[165:166]
	v_add_f64 v[155:156], v[155:156], v[161:162]
	s_waitcnt vmcnt(8) lgkmcnt(0)
	v_mul_f64 v[161:162], v[6:7], v[24:25]
	v_mul_f64 v[24:25], v[8:9], v[24:25]
	v_fma_f64 v[159:160], v[4:5], v[18:19], v[159:160]
	v_fma_f64 v[165:166], v[2:3], v[18:19], -v[20:21]
	scratch_load_b128 v[18:21], off, off offset:512
	ds_load_b128 v[2:5], v1 offset:928
	v_add_f64 v[153:154], v[153:154], v[163:164]
	v_add_f64 v[155:156], v[155:156], v[157:158]
	v_fma_f64 v[161:162], v[8:9], v[22:23], v[161:162]
	v_fma_f64 v[163:164], v[6:7], v[22:23], -v[24:25]
	ds_load_b128 v[6:9], v1 offset:944
	s_waitcnt vmcnt(8) lgkmcnt(1)
	v_mul_f64 v[157:158], v[2:3], v[28:29]
	v_mul_f64 v[28:29], v[4:5], v[28:29]
	scratch_load_b128 v[22:25], off, off offset:528
	v_add_f64 v[153:154], v[153:154], v[165:166]
	v_add_f64 v[155:156], v[155:156], v[159:160]
	s_waitcnt vmcnt(8) lgkmcnt(0)
	v_mul_f64 v[159:160], v[6:7], v[32:33]
	v_mul_f64 v[32:33], v[8:9], v[32:33]
	v_fma_f64 v[157:158], v[4:5], v[26:27], v[157:158]
	v_fma_f64 v[26:27], v[2:3], v[26:27], -v[28:29]
	ds_load_b128 v[2:5], v1 offset:960
	v_add_f64 v[28:29], v[153:154], v[163:164]
	v_add_f64 v[153:154], v[155:156], v[161:162]
	v_fma_f64 v[159:160], v[8:9], v[30:31], v[159:160]
	v_fma_f64 v[30:31], v[6:7], v[30:31], -v[32:33]
	ds_load_b128 v[6:9], v1 offset:976
	s_waitcnt vmcnt(7) lgkmcnt(1)
	v_mul_f64 v[155:156], v[2:3], v[36:37]
	v_mul_f64 v[36:37], v[4:5], v[36:37]
	v_add_f64 v[26:27], v[28:29], v[26:27]
	v_add_f64 v[28:29], v[153:154], v[157:158]
	s_delay_alu instid0(VALU_DEP_4) | instskip(NEXT) | instid1(VALU_DEP_4)
	v_fma_f64 v[153:154], v[4:5], v[34:35], v[155:156]
	v_fma_f64 v[34:35], v[2:3], v[34:35], -v[36:37]
	ds_load_b128 v[2:5], v1 offset:992
	v_add_f64 v[30:31], v[26:27], v[30:31]
	v_add_f64 v[36:37], v[28:29], v[159:160]
	scratch_load_b128 v[26:29], off, off offset:112
	s_waitcnt vmcnt(7) lgkmcnt(1)
	v_mul_f64 v[32:33], v[6:7], v[151:152]
	v_mul_f64 v[151:152], v[8:9], v[151:152]
	v_add_f64 v[30:31], v[30:31], v[34:35]
	v_add_f64 v[34:35], v[36:37], v[153:154]
	s_delay_alu instid0(VALU_DEP_4) | instskip(NEXT) | instid1(VALU_DEP_4)
	v_fma_f64 v[32:33], v[8:9], v[149:150], v[32:33]
	v_fma_f64 v[149:150], v[6:7], v[149:150], -v[151:152]
	ds_load_b128 v[6:9], v1 offset:1008
	s_waitcnt vmcnt(6) lgkmcnt(1)
	v_mul_f64 v[155:156], v[2:3], v[40:41]
	v_mul_f64 v[40:41], v[4:5], v[40:41]
	s_waitcnt vmcnt(5) lgkmcnt(0)
	v_mul_f64 v[36:37], v[6:7], v[147:148]
	v_mul_f64 v[147:148], v[8:9], v[147:148]
	v_add_f64 v[32:33], v[34:35], v[32:33]
	v_add_f64 v[30:31], v[30:31], v[149:150]
	v_fma_f64 v[151:152], v[4:5], v[38:39], v[155:156]
	v_fma_f64 v[38:39], v[2:3], v[38:39], -v[40:41]
	ds_load_b128 v[2:5], v1 offset:1024
	v_fma_f64 v[36:37], v[8:9], v[145:146], v[36:37]
	v_fma_f64 v[40:41], v[6:7], v[145:146], -v[147:148]
	ds_load_b128 v[6:9], v1 offset:1040
	s_waitcnt vmcnt(4) lgkmcnt(1)
	v_mul_f64 v[34:35], v[2:3], v[12:13]
	v_mul_f64 v[12:13], v[4:5], v[12:13]
	v_add_f64 v[32:33], v[32:33], v[151:152]
	v_add_f64 v[30:31], v[30:31], v[38:39]
	s_waitcnt vmcnt(3) lgkmcnt(0)
	v_mul_f64 v[38:39], v[6:7], v[16:17]
	v_mul_f64 v[16:17], v[8:9], v[16:17]
	v_fma_f64 v[34:35], v[4:5], v[10:11], v[34:35]
	v_fma_f64 v[10:11], v[2:3], v[10:11], -v[12:13]
	ds_load_b128 v[2:5], v1 offset:1056
	v_add_f64 v[12:13], v[30:31], v[40:41]
	v_add_f64 v[30:31], v[32:33], v[36:37]
	v_fma_f64 v[36:37], v[8:9], v[14:15], v[38:39]
	v_fma_f64 v[14:15], v[6:7], v[14:15], -v[16:17]
	ds_load_b128 v[6:9], v1 offset:1072
	s_waitcnt vmcnt(2) lgkmcnt(1)
	v_mul_f64 v[32:33], v[2:3], v[20:21]
	v_mul_f64 v[20:21], v[4:5], v[20:21]
	s_waitcnt vmcnt(1) lgkmcnt(0)
	v_mul_f64 v[16:17], v[6:7], v[24:25]
	v_mul_f64 v[24:25], v[8:9], v[24:25]
	v_add_f64 v[10:11], v[12:13], v[10:11]
	v_add_f64 v[12:13], v[30:31], v[34:35]
	v_fma_f64 v[4:5], v[4:5], v[18:19], v[32:33]
	v_fma_f64 v[1:2], v[2:3], v[18:19], -v[20:21]
	v_fma_f64 v[8:9], v[8:9], v[22:23], v[16:17]
	v_fma_f64 v[6:7], v[6:7], v[22:23], -v[24:25]
	v_add_f64 v[10:11], v[10:11], v[14:15]
	v_add_f64 v[12:13], v[12:13], v[36:37]
	s_delay_alu instid0(VALU_DEP_2) | instskip(NEXT) | instid1(VALU_DEP_2)
	v_add_f64 v[1:2], v[10:11], v[1:2]
	v_add_f64 v[3:4], v[12:13], v[4:5]
	s_delay_alu instid0(VALU_DEP_2) | instskip(NEXT) | instid1(VALU_DEP_2)
	v_add_f64 v[1:2], v[1:2], v[6:7]
	v_add_f64 v[3:4], v[3:4], v[8:9]
	s_waitcnt vmcnt(0)
	s_delay_alu instid0(VALU_DEP_2) | instskip(NEXT) | instid1(VALU_DEP_2)
	v_add_f64 v[1:2], v[26:27], -v[1:2]
	v_add_f64 v[3:4], v[28:29], -v[3:4]
	scratch_store_b128 off, v[1:4], off offset:112
	v_cmpx_lt_u32_e32 6, v110
	s_cbranch_execz .LBB33_205
; %bb.204:
	scratch_load_b128 v[1:4], v141, off
	v_mov_b32_e32 v5, 0
	s_delay_alu instid0(VALU_DEP_1)
	v_mov_b32_e32 v6, v5
	v_mov_b32_e32 v7, v5
	;; [unrolled: 1-line block ×3, first 2 shown]
	scratch_store_b128 off, v[5:8], off offset:96
	s_waitcnt vmcnt(0)
	ds_store_b128 v144, v[1:4]
.LBB33_205:
	s_or_b32 exec_lo, exec_lo, s2
	s_waitcnt lgkmcnt(0)
	s_waitcnt_vscnt null, 0x0
	s_barrier
	buffer_gl0_inv
	s_clause 0x7
	scratch_load_b128 v[2:5], off, off offset:112
	scratch_load_b128 v[6:9], off, off offset:128
	;; [unrolled: 1-line block ×8, first 2 shown]
	v_mov_b32_e32 v1, 0
	s_clause 0x1
	scratch_load_b128 v[34:37], off, off offset:240
	scratch_load_b128 v[149:152], off, off offset:256
	s_mov_b32 s2, exec_lo
	ds_load_b128 v[38:41], v1 offset:656
	ds_load_b128 v[145:148], v1 offset:672
	s_waitcnt vmcnt(9) lgkmcnt(1)
	v_mul_f64 v[153:154], v[40:41], v[4:5]
	v_mul_f64 v[4:5], v[38:39], v[4:5]
	s_waitcnt vmcnt(8) lgkmcnt(0)
	v_mul_f64 v[155:156], v[145:146], v[8:9]
	v_mul_f64 v[8:9], v[147:148], v[8:9]
	s_delay_alu instid0(VALU_DEP_4) | instskip(NEXT) | instid1(VALU_DEP_4)
	v_fma_f64 v[153:154], v[38:39], v[2:3], -v[153:154]
	v_fma_f64 v[157:158], v[40:41], v[2:3], v[4:5]
	ds_load_b128 v[2:5], v1 offset:688
	scratch_load_b128 v[38:41], off, off offset:272
	v_fma_f64 v[155:156], v[147:148], v[6:7], v[155:156]
	v_fma_f64 v[161:162], v[145:146], v[6:7], -v[8:9]
	scratch_load_b128 v[145:148], off, off offset:288
	ds_load_b128 v[6:9], v1 offset:704
	s_waitcnt vmcnt(9) lgkmcnt(1)
	v_mul_f64 v[159:160], v[2:3], v[12:13]
	v_mul_f64 v[12:13], v[4:5], v[12:13]
	s_waitcnt vmcnt(8) lgkmcnt(0)
	v_mul_f64 v[163:164], v[6:7], v[16:17]
	v_mul_f64 v[16:17], v[8:9], v[16:17]
	v_add_f64 v[153:154], v[153:154], 0
	v_add_f64 v[157:158], v[157:158], 0
	v_fma_f64 v[159:160], v[4:5], v[10:11], v[159:160]
	v_fma_f64 v[165:166], v[2:3], v[10:11], -v[12:13]
	ds_load_b128 v[2:5], v1 offset:720
	scratch_load_b128 v[10:13], off, off offset:304
	v_add_f64 v[153:154], v[153:154], v[161:162]
	v_add_f64 v[155:156], v[157:158], v[155:156]
	v_fma_f64 v[161:162], v[8:9], v[14:15], v[163:164]
	v_fma_f64 v[163:164], v[6:7], v[14:15], -v[16:17]
	scratch_load_b128 v[14:17], off, off offset:320
	ds_load_b128 v[6:9], v1 offset:736
	s_waitcnt vmcnt(9) lgkmcnt(1)
	v_mul_f64 v[157:158], v[2:3], v[20:21]
	v_mul_f64 v[20:21], v[4:5], v[20:21]
	v_add_f64 v[153:154], v[153:154], v[165:166]
	v_add_f64 v[155:156], v[155:156], v[159:160]
	s_waitcnt vmcnt(8) lgkmcnt(0)
	v_mul_f64 v[159:160], v[6:7], v[24:25]
	v_mul_f64 v[24:25], v[8:9], v[24:25]
	v_fma_f64 v[157:158], v[4:5], v[18:19], v[157:158]
	v_fma_f64 v[165:166], v[2:3], v[18:19], -v[20:21]
	ds_load_b128 v[2:5], v1 offset:752
	scratch_load_b128 v[18:21], off, off offset:336
	v_add_f64 v[153:154], v[153:154], v[163:164]
	v_add_f64 v[155:156], v[155:156], v[161:162]
	v_fma_f64 v[159:160], v[8:9], v[22:23], v[159:160]
	v_fma_f64 v[163:164], v[6:7], v[22:23], -v[24:25]
	scratch_load_b128 v[22:25], off, off offset:352
	ds_load_b128 v[6:9], v1 offset:768
	s_waitcnt vmcnt(9) lgkmcnt(1)
	v_mul_f64 v[161:162], v[2:3], v[28:29]
	v_mul_f64 v[28:29], v[4:5], v[28:29]
	v_add_f64 v[153:154], v[153:154], v[165:166]
	v_add_f64 v[155:156], v[155:156], v[157:158]
	s_waitcnt vmcnt(8) lgkmcnt(0)
	v_mul_f64 v[157:158], v[6:7], v[32:33]
	v_mul_f64 v[32:33], v[8:9], v[32:33]
	;; [unrolled: 18-line block ×4, first 2 shown]
	v_fma_f64 v[157:158], v[4:5], v[38:39], v[157:158]
	v_fma_f64 v[165:166], v[2:3], v[38:39], -v[40:41]
	ds_load_b128 v[2:5], v1 offset:848
	scratch_load_b128 v[38:41], off, off offset:432
	v_add_f64 v[153:154], v[153:154], v[163:164]
	v_add_f64 v[155:156], v[155:156], v[161:162]
	v_fma_f64 v[159:160], v[8:9], v[145:146], v[159:160]
	v_fma_f64 v[163:164], v[6:7], v[145:146], -v[147:148]
	ds_load_b128 v[6:9], v1 offset:864
	s_waitcnt vmcnt(8) lgkmcnt(1)
	v_mul_f64 v[161:162], v[2:3], v[12:13]
	v_mul_f64 v[12:13], v[4:5], v[12:13]
	scratch_load_b128 v[145:148], off, off offset:448
	v_add_f64 v[153:154], v[153:154], v[165:166]
	v_add_f64 v[155:156], v[155:156], v[157:158]
	s_waitcnt vmcnt(8) lgkmcnt(0)
	v_mul_f64 v[157:158], v[6:7], v[16:17]
	v_mul_f64 v[16:17], v[8:9], v[16:17]
	v_fma_f64 v[161:162], v[4:5], v[10:11], v[161:162]
	v_fma_f64 v[165:166], v[2:3], v[10:11], -v[12:13]
	scratch_load_b128 v[10:13], off, off offset:464
	ds_load_b128 v[2:5], v1 offset:880
	v_add_f64 v[153:154], v[153:154], v[163:164]
	v_add_f64 v[155:156], v[155:156], v[159:160]
	v_fma_f64 v[157:158], v[8:9], v[14:15], v[157:158]
	v_fma_f64 v[163:164], v[6:7], v[14:15], -v[16:17]
	ds_load_b128 v[6:9], v1 offset:896
	s_waitcnt vmcnt(8) lgkmcnt(1)
	v_mul_f64 v[159:160], v[2:3], v[20:21]
	v_mul_f64 v[20:21], v[4:5], v[20:21]
	scratch_load_b128 v[14:17], off, off offset:480
	v_add_f64 v[153:154], v[153:154], v[165:166]
	v_add_f64 v[155:156], v[155:156], v[161:162]
	s_waitcnt vmcnt(8) lgkmcnt(0)
	v_mul_f64 v[161:162], v[6:7], v[24:25]
	v_mul_f64 v[24:25], v[8:9], v[24:25]
	v_fma_f64 v[159:160], v[4:5], v[18:19], v[159:160]
	v_fma_f64 v[165:166], v[2:3], v[18:19], -v[20:21]
	scratch_load_b128 v[18:21], off, off offset:496
	ds_load_b128 v[2:5], v1 offset:912
	;; [unrolled: 18-line block ×3, first 2 shown]
	v_add_f64 v[153:154], v[153:154], v[163:164]
	v_add_f64 v[155:156], v[155:156], v[161:162]
	v_fma_f64 v[159:160], v[8:9], v[30:31], v[159:160]
	v_fma_f64 v[30:31], v[6:7], v[30:31], -v[32:33]
	ds_load_b128 v[6:9], v1 offset:960
	s_waitcnt vmcnt(8) lgkmcnt(1)
	v_mul_f64 v[161:162], v[2:3], v[36:37]
	v_mul_f64 v[36:37], v[4:5], v[36:37]
	v_add_f64 v[32:33], v[153:154], v[165:166]
	v_add_f64 v[153:154], v[155:156], v[157:158]
	s_waitcnt vmcnt(7) lgkmcnt(0)
	v_mul_f64 v[155:156], v[6:7], v[151:152]
	v_mul_f64 v[151:152], v[8:9], v[151:152]
	v_fma_f64 v[157:158], v[4:5], v[34:35], v[161:162]
	v_fma_f64 v[34:35], v[2:3], v[34:35], -v[36:37]
	ds_load_b128 v[2:5], v1 offset:976
	v_add_f64 v[30:31], v[32:33], v[30:31]
	v_add_f64 v[32:33], v[153:154], v[159:160]
	v_fma_f64 v[153:154], v[8:9], v[149:150], v[155:156]
	v_fma_f64 v[149:150], v[6:7], v[149:150], -v[151:152]
	ds_load_b128 v[6:9], v1 offset:992
	s_waitcnt vmcnt(5) lgkmcnt(0)
	v_mul_f64 v[155:156], v[6:7], v[147:148]
	v_mul_f64 v[147:148], v[8:9], v[147:148]
	v_add_f64 v[34:35], v[30:31], v[34:35]
	v_add_f64 v[151:152], v[32:33], v[157:158]
	scratch_load_b128 v[30:33], off, off offset:96
	v_mul_f64 v[36:37], v[2:3], v[40:41]
	v_mul_f64 v[40:41], v[4:5], v[40:41]
	v_add_f64 v[34:35], v[34:35], v[149:150]
	s_delay_alu instid0(VALU_DEP_3) | instskip(NEXT) | instid1(VALU_DEP_3)
	v_fma_f64 v[36:37], v[4:5], v[38:39], v[36:37]
	v_fma_f64 v[38:39], v[2:3], v[38:39], -v[40:41]
	v_add_f64 v[40:41], v[151:152], v[153:154]
	ds_load_b128 v[2:5], v1 offset:1008
	v_fma_f64 v[151:152], v[8:9], v[145:146], v[155:156]
	v_fma_f64 v[145:146], v[6:7], v[145:146], -v[147:148]
	ds_load_b128 v[6:9], v1 offset:1024
	s_waitcnt vmcnt(5) lgkmcnt(1)
	v_mul_f64 v[149:150], v[2:3], v[12:13]
	v_mul_f64 v[12:13], v[4:5], v[12:13]
	v_add_f64 v[34:35], v[34:35], v[38:39]
	v_add_f64 v[36:37], v[40:41], v[36:37]
	s_waitcnt vmcnt(4) lgkmcnt(0)
	v_mul_f64 v[38:39], v[6:7], v[16:17]
	v_mul_f64 v[16:17], v[8:9], v[16:17]
	v_fma_f64 v[40:41], v[4:5], v[10:11], v[149:150]
	v_fma_f64 v[10:11], v[2:3], v[10:11], -v[12:13]
	ds_load_b128 v[2:5], v1 offset:1040
	v_add_f64 v[12:13], v[34:35], v[145:146]
	v_add_f64 v[34:35], v[36:37], v[151:152]
	v_fma_f64 v[38:39], v[8:9], v[14:15], v[38:39]
	v_fma_f64 v[14:15], v[6:7], v[14:15], -v[16:17]
	ds_load_b128 v[6:9], v1 offset:1056
	s_waitcnt vmcnt(3) lgkmcnt(1)
	v_mul_f64 v[36:37], v[2:3], v[20:21]
	v_mul_f64 v[20:21], v[4:5], v[20:21]
	s_waitcnt vmcnt(2) lgkmcnt(0)
	v_mul_f64 v[16:17], v[6:7], v[24:25]
	v_mul_f64 v[24:25], v[8:9], v[24:25]
	v_add_f64 v[10:11], v[12:13], v[10:11]
	v_add_f64 v[12:13], v[34:35], v[40:41]
	v_fma_f64 v[34:35], v[4:5], v[18:19], v[36:37]
	v_fma_f64 v[18:19], v[2:3], v[18:19], -v[20:21]
	ds_load_b128 v[2:5], v1 offset:1072
	v_fma_f64 v[8:9], v[8:9], v[22:23], v[16:17]
	v_fma_f64 v[6:7], v[6:7], v[22:23], -v[24:25]
	s_waitcnt vmcnt(1) lgkmcnt(0)
	v_mul_f64 v[20:21], v[4:5], v[28:29]
	v_add_f64 v[10:11], v[10:11], v[14:15]
	v_add_f64 v[12:13], v[12:13], v[38:39]
	v_mul_f64 v[14:15], v[2:3], v[28:29]
	s_delay_alu instid0(VALU_DEP_4) | instskip(NEXT) | instid1(VALU_DEP_4)
	v_fma_f64 v[2:3], v[2:3], v[26:27], -v[20:21]
	v_add_f64 v[10:11], v[10:11], v[18:19]
	s_delay_alu instid0(VALU_DEP_4) | instskip(NEXT) | instid1(VALU_DEP_4)
	v_add_f64 v[12:13], v[12:13], v[34:35]
	v_fma_f64 v[4:5], v[4:5], v[26:27], v[14:15]
	s_delay_alu instid0(VALU_DEP_3) | instskip(NEXT) | instid1(VALU_DEP_3)
	v_add_f64 v[6:7], v[10:11], v[6:7]
	v_add_f64 v[8:9], v[12:13], v[8:9]
	s_delay_alu instid0(VALU_DEP_2) | instskip(NEXT) | instid1(VALU_DEP_2)
	v_add_f64 v[2:3], v[6:7], v[2:3]
	v_add_f64 v[4:5], v[8:9], v[4:5]
	s_waitcnt vmcnt(0)
	s_delay_alu instid0(VALU_DEP_2) | instskip(NEXT) | instid1(VALU_DEP_2)
	v_add_f64 v[2:3], v[30:31], -v[2:3]
	v_add_f64 v[4:5], v[32:33], -v[4:5]
	scratch_store_b128 off, v[2:5], off offset:96
	v_cmpx_lt_u32_e32 5, v110
	s_cbranch_execz .LBB33_207
; %bb.206:
	scratch_load_b128 v[5:8], v143, off
	v_mov_b32_e32 v2, v1
	v_mov_b32_e32 v3, v1
	;; [unrolled: 1-line block ×3, first 2 shown]
	scratch_store_b128 off, v[1:4], off offset:80
	s_waitcnt vmcnt(0)
	ds_store_b128 v144, v[5:8]
.LBB33_207:
	s_or_b32 exec_lo, exec_lo, s2
	s_waitcnt lgkmcnt(0)
	s_waitcnt_vscnt null, 0x0
	s_barrier
	buffer_gl0_inv
	s_clause 0x7
	scratch_load_b128 v[2:5], off, off offset:96
	scratch_load_b128 v[6:9], off, off offset:112
	;; [unrolled: 1-line block ×8, first 2 shown]
	ds_load_b128 v[38:41], v1 offset:640
	ds_load_b128 v[145:148], v1 offset:656
	s_clause 0x1
	scratch_load_b128 v[34:37], off, off offset:224
	scratch_load_b128 v[149:152], off, off offset:240
	s_mov_b32 s2, exec_lo
	s_waitcnt vmcnt(9) lgkmcnt(1)
	v_mul_f64 v[153:154], v[40:41], v[4:5]
	v_mul_f64 v[4:5], v[38:39], v[4:5]
	s_waitcnt vmcnt(8) lgkmcnt(0)
	v_mul_f64 v[155:156], v[145:146], v[8:9]
	v_mul_f64 v[8:9], v[147:148], v[8:9]
	s_delay_alu instid0(VALU_DEP_4) | instskip(NEXT) | instid1(VALU_DEP_4)
	v_fma_f64 v[153:154], v[38:39], v[2:3], -v[153:154]
	v_fma_f64 v[157:158], v[40:41], v[2:3], v[4:5]
	ds_load_b128 v[2:5], v1 offset:672
	scratch_load_b128 v[38:41], off, off offset:256
	v_fma_f64 v[155:156], v[147:148], v[6:7], v[155:156]
	v_fma_f64 v[161:162], v[145:146], v[6:7], -v[8:9]
	scratch_load_b128 v[145:148], off, off offset:272
	ds_load_b128 v[6:9], v1 offset:688
	s_waitcnt vmcnt(9) lgkmcnt(1)
	v_mul_f64 v[159:160], v[2:3], v[12:13]
	v_mul_f64 v[12:13], v[4:5], v[12:13]
	s_waitcnt vmcnt(8) lgkmcnt(0)
	v_mul_f64 v[163:164], v[6:7], v[16:17]
	v_mul_f64 v[16:17], v[8:9], v[16:17]
	v_add_f64 v[153:154], v[153:154], 0
	v_add_f64 v[157:158], v[157:158], 0
	v_fma_f64 v[159:160], v[4:5], v[10:11], v[159:160]
	v_fma_f64 v[165:166], v[2:3], v[10:11], -v[12:13]
	ds_load_b128 v[2:5], v1 offset:704
	scratch_load_b128 v[10:13], off, off offset:288
	v_add_f64 v[153:154], v[153:154], v[161:162]
	v_add_f64 v[155:156], v[157:158], v[155:156]
	v_fma_f64 v[161:162], v[8:9], v[14:15], v[163:164]
	v_fma_f64 v[163:164], v[6:7], v[14:15], -v[16:17]
	scratch_load_b128 v[14:17], off, off offset:304
	ds_load_b128 v[6:9], v1 offset:720
	s_waitcnt vmcnt(9) lgkmcnt(1)
	v_mul_f64 v[157:158], v[2:3], v[20:21]
	v_mul_f64 v[20:21], v[4:5], v[20:21]
	v_add_f64 v[153:154], v[153:154], v[165:166]
	v_add_f64 v[155:156], v[155:156], v[159:160]
	s_waitcnt vmcnt(8) lgkmcnt(0)
	v_mul_f64 v[159:160], v[6:7], v[24:25]
	v_mul_f64 v[24:25], v[8:9], v[24:25]
	v_fma_f64 v[157:158], v[4:5], v[18:19], v[157:158]
	v_fma_f64 v[165:166], v[2:3], v[18:19], -v[20:21]
	ds_load_b128 v[2:5], v1 offset:736
	scratch_load_b128 v[18:21], off, off offset:320
	v_add_f64 v[153:154], v[153:154], v[163:164]
	v_add_f64 v[155:156], v[155:156], v[161:162]
	v_fma_f64 v[159:160], v[8:9], v[22:23], v[159:160]
	v_fma_f64 v[163:164], v[6:7], v[22:23], -v[24:25]
	scratch_load_b128 v[22:25], off, off offset:336
	ds_load_b128 v[6:9], v1 offset:752
	s_waitcnt vmcnt(9) lgkmcnt(1)
	v_mul_f64 v[161:162], v[2:3], v[28:29]
	v_mul_f64 v[28:29], v[4:5], v[28:29]
	v_add_f64 v[153:154], v[153:154], v[165:166]
	v_add_f64 v[155:156], v[155:156], v[157:158]
	s_waitcnt vmcnt(8) lgkmcnt(0)
	v_mul_f64 v[157:158], v[6:7], v[32:33]
	v_mul_f64 v[32:33], v[8:9], v[32:33]
	;; [unrolled: 18-line block ×4, first 2 shown]
	v_fma_f64 v[157:158], v[4:5], v[38:39], v[157:158]
	v_fma_f64 v[165:166], v[2:3], v[38:39], -v[40:41]
	ds_load_b128 v[2:5], v1 offset:832
	scratch_load_b128 v[38:41], off, off offset:416
	v_add_f64 v[153:154], v[153:154], v[163:164]
	v_add_f64 v[155:156], v[155:156], v[161:162]
	v_fma_f64 v[159:160], v[8:9], v[145:146], v[159:160]
	v_fma_f64 v[163:164], v[6:7], v[145:146], -v[147:148]
	ds_load_b128 v[6:9], v1 offset:848
	s_waitcnt vmcnt(8) lgkmcnt(1)
	v_mul_f64 v[161:162], v[2:3], v[12:13]
	v_mul_f64 v[12:13], v[4:5], v[12:13]
	scratch_load_b128 v[145:148], off, off offset:432
	v_add_f64 v[153:154], v[153:154], v[165:166]
	v_add_f64 v[155:156], v[155:156], v[157:158]
	s_waitcnt vmcnt(8) lgkmcnt(0)
	v_mul_f64 v[157:158], v[6:7], v[16:17]
	v_mul_f64 v[16:17], v[8:9], v[16:17]
	v_fma_f64 v[161:162], v[4:5], v[10:11], v[161:162]
	v_fma_f64 v[165:166], v[2:3], v[10:11], -v[12:13]
	ds_load_b128 v[2:5], v1 offset:864
	scratch_load_b128 v[10:13], off, off offset:448
	v_add_f64 v[153:154], v[153:154], v[163:164]
	v_add_f64 v[155:156], v[155:156], v[159:160]
	v_fma_f64 v[157:158], v[8:9], v[14:15], v[157:158]
	v_fma_f64 v[163:164], v[6:7], v[14:15], -v[16:17]
	ds_load_b128 v[6:9], v1 offset:880
	s_waitcnt vmcnt(8) lgkmcnt(1)
	v_mul_f64 v[159:160], v[2:3], v[20:21]
	v_mul_f64 v[20:21], v[4:5], v[20:21]
	scratch_load_b128 v[14:17], off, off offset:464
	v_add_f64 v[153:154], v[153:154], v[165:166]
	v_add_f64 v[155:156], v[155:156], v[161:162]
	s_waitcnt vmcnt(8) lgkmcnt(0)
	v_mul_f64 v[161:162], v[6:7], v[24:25]
	v_mul_f64 v[24:25], v[8:9], v[24:25]
	v_fma_f64 v[159:160], v[4:5], v[18:19], v[159:160]
	v_fma_f64 v[165:166], v[2:3], v[18:19], -v[20:21]
	scratch_load_b128 v[18:21], off, off offset:480
	ds_load_b128 v[2:5], v1 offset:896
	v_add_f64 v[153:154], v[153:154], v[163:164]
	v_add_f64 v[155:156], v[155:156], v[157:158]
	v_fma_f64 v[161:162], v[8:9], v[22:23], v[161:162]
	v_fma_f64 v[163:164], v[6:7], v[22:23], -v[24:25]
	ds_load_b128 v[6:9], v1 offset:912
	s_waitcnt vmcnt(8) lgkmcnt(1)
	v_mul_f64 v[157:158], v[2:3], v[28:29]
	v_mul_f64 v[28:29], v[4:5], v[28:29]
	scratch_load_b128 v[22:25], off, off offset:496
	v_add_f64 v[153:154], v[153:154], v[165:166]
	v_add_f64 v[155:156], v[155:156], v[159:160]
	s_waitcnt vmcnt(8) lgkmcnt(0)
	v_mul_f64 v[159:160], v[6:7], v[32:33]
	v_mul_f64 v[32:33], v[8:9], v[32:33]
	v_fma_f64 v[157:158], v[4:5], v[26:27], v[157:158]
	v_fma_f64 v[165:166], v[2:3], v[26:27], -v[28:29]
	scratch_load_b128 v[26:29], off, off offset:512
	ds_load_b128 v[2:5], v1 offset:928
	v_add_f64 v[153:154], v[153:154], v[163:164]
	v_add_f64 v[155:156], v[155:156], v[161:162]
	v_fma_f64 v[159:160], v[8:9], v[30:31], v[159:160]
	v_fma_f64 v[163:164], v[6:7], v[30:31], -v[32:33]
	ds_load_b128 v[6:9], v1 offset:944
	s_waitcnt vmcnt(8) lgkmcnt(1)
	v_mul_f64 v[161:162], v[2:3], v[36:37]
	v_mul_f64 v[36:37], v[4:5], v[36:37]
	scratch_load_b128 v[30:33], off, off offset:528
	v_add_f64 v[153:154], v[153:154], v[165:166]
	v_add_f64 v[155:156], v[155:156], v[157:158]
	s_waitcnt vmcnt(8) lgkmcnt(0)
	v_mul_f64 v[157:158], v[6:7], v[151:152]
	v_mul_f64 v[151:152], v[8:9], v[151:152]
	v_fma_f64 v[161:162], v[4:5], v[34:35], v[161:162]
	v_fma_f64 v[34:35], v[2:3], v[34:35], -v[36:37]
	ds_load_b128 v[2:5], v1 offset:960
	v_add_f64 v[36:37], v[153:154], v[163:164]
	v_add_f64 v[153:154], v[155:156], v[159:160]
	v_fma_f64 v[157:158], v[8:9], v[149:150], v[157:158]
	v_fma_f64 v[149:150], v[6:7], v[149:150], -v[151:152]
	ds_load_b128 v[6:9], v1 offset:976
	s_waitcnt vmcnt(7) lgkmcnt(1)
	v_mul_f64 v[155:156], v[2:3], v[40:41]
	v_mul_f64 v[40:41], v[4:5], v[40:41]
	v_add_f64 v[34:35], v[36:37], v[34:35]
	v_add_f64 v[36:37], v[153:154], v[161:162]
	s_delay_alu instid0(VALU_DEP_4) | instskip(NEXT) | instid1(VALU_DEP_4)
	v_fma_f64 v[153:154], v[4:5], v[38:39], v[155:156]
	v_fma_f64 v[38:39], v[2:3], v[38:39], -v[40:41]
	ds_load_b128 v[2:5], v1 offset:992
	v_add_f64 v[40:41], v[34:35], v[149:150]
	v_add_f64 v[149:150], v[36:37], v[157:158]
	scratch_load_b128 v[34:37], off, off offset:80
	s_waitcnt vmcnt(7) lgkmcnt(1)
	v_mul_f64 v[151:152], v[6:7], v[147:148]
	v_mul_f64 v[147:148], v[8:9], v[147:148]
	v_add_f64 v[38:39], v[40:41], v[38:39]
	v_add_f64 v[40:41], v[149:150], v[153:154]
	s_delay_alu instid0(VALU_DEP_4) | instskip(NEXT) | instid1(VALU_DEP_4)
	v_fma_f64 v[151:152], v[8:9], v[145:146], v[151:152]
	v_fma_f64 v[145:146], v[6:7], v[145:146], -v[147:148]
	ds_load_b128 v[6:9], v1 offset:1008
	s_waitcnt vmcnt(6) lgkmcnt(1)
	v_mul_f64 v[155:156], v[2:3], v[12:13]
	v_mul_f64 v[12:13], v[4:5], v[12:13]
	s_waitcnt vmcnt(5) lgkmcnt(0)
	v_mul_f64 v[147:148], v[6:7], v[16:17]
	v_mul_f64 v[16:17], v[8:9], v[16:17]
	s_delay_alu instid0(VALU_DEP_4) | instskip(NEXT) | instid1(VALU_DEP_4)
	v_fma_f64 v[149:150], v[4:5], v[10:11], v[155:156]
	v_fma_f64 v[10:11], v[2:3], v[10:11], -v[12:13]
	v_add_f64 v[12:13], v[38:39], v[145:146]
	v_add_f64 v[38:39], v[40:41], v[151:152]
	ds_load_b128 v[2:5], v1 offset:1024
	v_fma_f64 v[145:146], v[8:9], v[14:15], v[147:148]
	v_fma_f64 v[14:15], v[6:7], v[14:15], -v[16:17]
	ds_load_b128 v[6:9], v1 offset:1040
	s_waitcnt vmcnt(4) lgkmcnt(1)
	v_mul_f64 v[40:41], v[2:3], v[20:21]
	v_mul_f64 v[20:21], v[4:5], v[20:21]
	v_add_f64 v[10:11], v[12:13], v[10:11]
	v_add_f64 v[12:13], v[38:39], v[149:150]
	s_waitcnt vmcnt(3) lgkmcnt(0)
	v_mul_f64 v[16:17], v[6:7], v[24:25]
	v_mul_f64 v[24:25], v[8:9], v[24:25]
	v_fma_f64 v[38:39], v[4:5], v[18:19], v[40:41]
	v_fma_f64 v[18:19], v[2:3], v[18:19], -v[20:21]
	ds_load_b128 v[2:5], v1 offset:1056
	v_add_f64 v[10:11], v[10:11], v[14:15]
	v_add_f64 v[12:13], v[12:13], v[145:146]
	v_fma_f64 v[16:17], v[8:9], v[22:23], v[16:17]
	v_fma_f64 v[22:23], v[6:7], v[22:23], -v[24:25]
	ds_load_b128 v[6:9], v1 offset:1072
	s_waitcnt vmcnt(2) lgkmcnt(1)
	v_mul_f64 v[14:15], v[2:3], v[28:29]
	v_mul_f64 v[20:21], v[4:5], v[28:29]
	s_waitcnt vmcnt(1) lgkmcnt(0)
	v_mul_f64 v[24:25], v[8:9], v[32:33]
	v_add_f64 v[10:11], v[10:11], v[18:19]
	v_add_f64 v[12:13], v[12:13], v[38:39]
	v_mul_f64 v[18:19], v[6:7], v[32:33]
	v_fma_f64 v[4:5], v[4:5], v[26:27], v[14:15]
	v_fma_f64 v[1:2], v[2:3], v[26:27], -v[20:21]
	v_fma_f64 v[6:7], v[6:7], v[30:31], -v[24:25]
	v_add_f64 v[10:11], v[10:11], v[22:23]
	v_add_f64 v[12:13], v[12:13], v[16:17]
	v_fma_f64 v[8:9], v[8:9], v[30:31], v[18:19]
	s_delay_alu instid0(VALU_DEP_3) | instskip(NEXT) | instid1(VALU_DEP_3)
	v_add_f64 v[1:2], v[10:11], v[1:2]
	v_add_f64 v[3:4], v[12:13], v[4:5]
	s_delay_alu instid0(VALU_DEP_2) | instskip(NEXT) | instid1(VALU_DEP_2)
	v_add_f64 v[1:2], v[1:2], v[6:7]
	v_add_f64 v[3:4], v[3:4], v[8:9]
	s_waitcnt vmcnt(0)
	s_delay_alu instid0(VALU_DEP_2) | instskip(NEXT) | instid1(VALU_DEP_2)
	v_add_f64 v[1:2], v[34:35], -v[1:2]
	v_add_f64 v[3:4], v[36:37], -v[3:4]
	scratch_store_b128 off, v[1:4], off offset:80
	v_cmpx_lt_u32_e32 4, v110
	s_cbranch_execz .LBB33_209
; %bb.208:
	scratch_load_b128 v[1:4], v119, off
	v_mov_b32_e32 v5, 0
	s_delay_alu instid0(VALU_DEP_1)
	v_mov_b32_e32 v6, v5
	v_mov_b32_e32 v7, v5
	;; [unrolled: 1-line block ×3, first 2 shown]
	scratch_store_b128 off, v[5:8], off offset:64
	s_waitcnt vmcnt(0)
	ds_store_b128 v144, v[1:4]
.LBB33_209:
	s_or_b32 exec_lo, exec_lo, s2
	s_waitcnt lgkmcnt(0)
	s_waitcnt_vscnt null, 0x0
	s_barrier
	buffer_gl0_inv
	s_clause 0x7
	scratch_load_b128 v[2:5], off, off offset:80
	scratch_load_b128 v[6:9], off, off offset:96
	;; [unrolled: 1-line block ×8, first 2 shown]
	v_mov_b32_e32 v1, 0
	s_clause 0x1
	scratch_load_b128 v[34:37], off, off offset:208
	scratch_load_b128 v[149:152], off, off offset:224
	s_mov_b32 s2, exec_lo
	ds_load_b128 v[38:41], v1 offset:624
	ds_load_b128 v[145:148], v1 offset:640
	s_waitcnt vmcnt(9) lgkmcnt(1)
	v_mul_f64 v[153:154], v[40:41], v[4:5]
	v_mul_f64 v[4:5], v[38:39], v[4:5]
	s_waitcnt vmcnt(8) lgkmcnt(0)
	v_mul_f64 v[155:156], v[145:146], v[8:9]
	v_mul_f64 v[8:9], v[147:148], v[8:9]
	s_delay_alu instid0(VALU_DEP_4) | instskip(NEXT) | instid1(VALU_DEP_4)
	v_fma_f64 v[153:154], v[38:39], v[2:3], -v[153:154]
	v_fma_f64 v[157:158], v[40:41], v[2:3], v[4:5]
	ds_load_b128 v[2:5], v1 offset:656
	scratch_load_b128 v[38:41], off, off offset:240
	v_fma_f64 v[155:156], v[147:148], v[6:7], v[155:156]
	v_fma_f64 v[161:162], v[145:146], v[6:7], -v[8:9]
	scratch_load_b128 v[145:148], off, off offset:256
	ds_load_b128 v[6:9], v1 offset:672
	s_waitcnt vmcnt(9) lgkmcnt(1)
	v_mul_f64 v[159:160], v[2:3], v[12:13]
	v_mul_f64 v[12:13], v[4:5], v[12:13]
	s_waitcnt vmcnt(8) lgkmcnt(0)
	v_mul_f64 v[163:164], v[6:7], v[16:17]
	v_mul_f64 v[16:17], v[8:9], v[16:17]
	v_add_f64 v[153:154], v[153:154], 0
	v_add_f64 v[157:158], v[157:158], 0
	v_fma_f64 v[159:160], v[4:5], v[10:11], v[159:160]
	v_fma_f64 v[165:166], v[2:3], v[10:11], -v[12:13]
	ds_load_b128 v[2:5], v1 offset:688
	scratch_load_b128 v[10:13], off, off offset:272
	v_add_f64 v[153:154], v[153:154], v[161:162]
	v_add_f64 v[155:156], v[157:158], v[155:156]
	v_fma_f64 v[161:162], v[8:9], v[14:15], v[163:164]
	v_fma_f64 v[163:164], v[6:7], v[14:15], -v[16:17]
	scratch_load_b128 v[14:17], off, off offset:288
	ds_load_b128 v[6:9], v1 offset:704
	s_waitcnt vmcnt(9) lgkmcnt(1)
	v_mul_f64 v[157:158], v[2:3], v[20:21]
	v_mul_f64 v[20:21], v[4:5], v[20:21]
	v_add_f64 v[153:154], v[153:154], v[165:166]
	v_add_f64 v[155:156], v[155:156], v[159:160]
	s_waitcnt vmcnt(8) lgkmcnt(0)
	v_mul_f64 v[159:160], v[6:7], v[24:25]
	v_mul_f64 v[24:25], v[8:9], v[24:25]
	v_fma_f64 v[157:158], v[4:5], v[18:19], v[157:158]
	v_fma_f64 v[165:166], v[2:3], v[18:19], -v[20:21]
	ds_load_b128 v[2:5], v1 offset:720
	scratch_load_b128 v[18:21], off, off offset:304
	v_add_f64 v[153:154], v[153:154], v[163:164]
	v_add_f64 v[155:156], v[155:156], v[161:162]
	v_fma_f64 v[159:160], v[8:9], v[22:23], v[159:160]
	v_fma_f64 v[163:164], v[6:7], v[22:23], -v[24:25]
	scratch_load_b128 v[22:25], off, off offset:320
	ds_load_b128 v[6:9], v1 offset:736
	s_waitcnt vmcnt(9) lgkmcnt(1)
	v_mul_f64 v[161:162], v[2:3], v[28:29]
	v_mul_f64 v[28:29], v[4:5], v[28:29]
	v_add_f64 v[153:154], v[153:154], v[165:166]
	v_add_f64 v[155:156], v[155:156], v[157:158]
	s_waitcnt vmcnt(8) lgkmcnt(0)
	v_mul_f64 v[157:158], v[6:7], v[32:33]
	v_mul_f64 v[32:33], v[8:9], v[32:33]
	;; [unrolled: 18-line block ×5, first 2 shown]
	v_fma_f64 v[161:162], v[4:5], v[10:11], v[161:162]
	v_fma_f64 v[165:166], v[2:3], v[10:11], -v[12:13]
	ds_load_b128 v[2:5], v1 offset:848
	scratch_load_b128 v[10:13], off, off offset:432
	v_add_f64 v[153:154], v[153:154], v[163:164]
	v_add_f64 v[155:156], v[155:156], v[159:160]
	v_fma_f64 v[157:158], v[8:9], v[14:15], v[157:158]
	v_fma_f64 v[163:164], v[6:7], v[14:15], -v[16:17]
	ds_load_b128 v[6:9], v1 offset:864
	s_waitcnt vmcnt(8) lgkmcnt(1)
	v_mul_f64 v[159:160], v[2:3], v[20:21]
	v_mul_f64 v[20:21], v[4:5], v[20:21]
	scratch_load_b128 v[14:17], off, off offset:448
	v_add_f64 v[153:154], v[153:154], v[165:166]
	v_add_f64 v[155:156], v[155:156], v[161:162]
	s_waitcnt vmcnt(8) lgkmcnt(0)
	v_mul_f64 v[161:162], v[6:7], v[24:25]
	v_mul_f64 v[24:25], v[8:9], v[24:25]
	v_fma_f64 v[159:160], v[4:5], v[18:19], v[159:160]
	v_fma_f64 v[165:166], v[2:3], v[18:19], -v[20:21]
	scratch_load_b128 v[18:21], off, off offset:464
	ds_load_b128 v[2:5], v1 offset:880
	v_add_f64 v[153:154], v[153:154], v[163:164]
	v_add_f64 v[155:156], v[155:156], v[157:158]
	v_fma_f64 v[161:162], v[8:9], v[22:23], v[161:162]
	v_fma_f64 v[163:164], v[6:7], v[22:23], -v[24:25]
	ds_load_b128 v[6:9], v1 offset:896
	s_waitcnt vmcnt(8) lgkmcnt(1)
	v_mul_f64 v[157:158], v[2:3], v[28:29]
	v_mul_f64 v[28:29], v[4:5], v[28:29]
	scratch_load_b128 v[22:25], off, off offset:480
	v_add_f64 v[153:154], v[153:154], v[165:166]
	v_add_f64 v[155:156], v[155:156], v[159:160]
	s_waitcnt vmcnt(8) lgkmcnt(0)
	v_mul_f64 v[159:160], v[6:7], v[32:33]
	v_mul_f64 v[32:33], v[8:9], v[32:33]
	v_fma_f64 v[157:158], v[4:5], v[26:27], v[157:158]
	v_fma_f64 v[165:166], v[2:3], v[26:27], -v[28:29]
	scratch_load_b128 v[26:29], off, off offset:496
	ds_load_b128 v[2:5], v1 offset:912
	;; [unrolled: 18-line block ×3, first 2 shown]
	v_add_f64 v[153:154], v[153:154], v[163:164]
	v_add_f64 v[155:156], v[155:156], v[159:160]
	v_fma_f64 v[157:158], v[8:9], v[149:150], v[157:158]
	v_fma_f64 v[149:150], v[6:7], v[149:150], -v[151:152]
	ds_load_b128 v[6:9], v1 offset:960
	s_waitcnt vmcnt(8) lgkmcnt(1)
	v_mul_f64 v[159:160], v[2:3], v[40:41]
	v_mul_f64 v[40:41], v[4:5], v[40:41]
	v_add_f64 v[151:152], v[153:154], v[165:166]
	v_add_f64 v[153:154], v[155:156], v[161:162]
	s_waitcnt vmcnt(7) lgkmcnt(0)
	v_mul_f64 v[155:156], v[6:7], v[147:148]
	v_mul_f64 v[147:148], v[8:9], v[147:148]
	v_fma_f64 v[159:160], v[4:5], v[38:39], v[159:160]
	v_fma_f64 v[38:39], v[2:3], v[38:39], -v[40:41]
	ds_load_b128 v[2:5], v1 offset:976
	v_add_f64 v[40:41], v[151:152], v[149:150]
	v_add_f64 v[149:150], v[153:154], v[157:158]
	v_fma_f64 v[153:154], v[8:9], v[145:146], v[155:156]
	v_fma_f64 v[145:146], v[6:7], v[145:146], -v[147:148]
	ds_load_b128 v[6:9], v1 offset:992
	s_waitcnt vmcnt(5) lgkmcnt(0)
	v_mul_f64 v[155:156], v[6:7], v[16:17]
	v_mul_f64 v[16:17], v[8:9], v[16:17]
	v_add_f64 v[147:148], v[40:41], v[38:39]
	v_add_f64 v[149:150], v[149:150], v[159:160]
	scratch_load_b128 v[38:41], off, off offset:64
	v_mul_f64 v[151:152], v[2:3], v[12:13]
	v_mul_f64 v[12:13], v[4:5], v[12:13]
	s_delay_alu instid0(VALU_DEP_2) | instskip(NEXT) | instid1(VALU_DEP_2)
	v_fma_f64 v[151:152], v[4:5], v[10:11], v[151:152]
	v_fma_f64 v[10:11], v[2:3], v[10:11], -v[12:13]
	v_add_f64 v[12:13], v[147:148], v[145:146]
	v_add_f64 v[145:146], v[149:150], v[153:154]
	ds_load_b128 v[2:5], v1 offset:1008
	v_fma_f64 v[149:150], v[8:9], v[14:15], v[155:156]
	v_fma_f64 v[14:15], v[6:7], v[14:15], -v[16:17]
	ds_load_b128 v[6:9], v1 offset:1024
	s_waitcnt vmcnt(5) lgkmcnt(1)
	v_mul_f64 v[147:148], v[2:3], v[20:21]
	v_mul_f64 v[20:21], v[4:5], v[20:21]
	s_waitcnt vmcnt(4) lgkmcnt(0)
	v_mul_f64 v[16:17], v[6:7], v[24:25]
	v_mul_f64 v[24:25], v[8:9], v[24:25]
	v_add_f64 v[10:11], v[12:13], v[10:11]
	v_add_f64 v[12:13], v[145:146], v[151:152]
	v_fma_f64 v[145:146], v[4:5], v[18:19], v[147:148]
	v_fma_f64 v[18:19], v[2:3], v[18:19], -v[20:21]
	ds_load_b128 v[2:5], v1 offset:1040
	v_fma_f64 v[16:17], v[8:9], v[22:23], v[16:17]
	v_fma_f64 v[22:23], v[6:7], v[22:23], -v[24:25]
	ds_load_b128 v[6:9], v1 offset:1056
	v_add_f64 v[10:11], v[10:11], v[14:15]
	v_add_f64 v[12:13], v[12:13], v[149:150]
	s_waitcnt vmcnt(3) lgkmcnt(1)
	v_mul_f64 v[14:15], v[2:3], v[28:29]
	v_mul_f64 v[20:21], v[4:5], v[28:29]
	s_waitcnt vmcnt(2) lgkmcnt(0)
	v_mul_f64 v[24:25], v[8:9], v[32:33]
	v_add_f64 v[10:11], v[10:11], v[18:19]
	v_add_f64 v[12:13], v[12:13], v[145:146]
	v_mul_f64 v[18:19], v[6:7], v[32:33]
	v_fma_f64 v[14:15], v[4:5], v[26:27], v[14:15]
	v_fma_f64 v[20:21], v[2:3], v[26:27], -v[20:21]
	ds_load_b128 v[2:5], v1 offset:1072
	v_fma_f64 v[6:7], v[6:7], v[30:31], -v[24:25]
	v_add_f64 v[10:11], v[10:11], v[22:23]
	v_add_f64 v[12:13], v[12:13], v[16:17]
	s_waitcnt vmcnt(1) lgkmcnt(0)
	v_mul_f64 v[16:17], v[2:3], v[36:37]
	v_mul_f64 v[22:23], v[4:5], v[36:37]
	v_fma_f64 v[8:9], v[8:9], v[30:31], v[18:19]
	v_add_f64 v[10:11], v[10:11], v[20:21]
	v_add_f64 v[12:13], v[12:13], v[14:15]
	v_fma_f64 v[4:5], v[4:5], v[34:35], v[16:17]
	v_fma_f64 v[2:3], v[2:3], v[34:35], -v[22:23]
	s_delay_alu instid0(VALU_DEP_4) | instskip(NEXT) | instid1(VALU_DEP_4)
	v_add_f64 v[6:7], v[10:11], v[6:7]
	v_add_f64 v[8:9], v[12:13], v[8:9]
	s_delay_alu instid0(VALU_DEP_2) | instskip(NEXT) | instid1(VALU_DEP_2)
	v_add_f64 v[2:3], v[6:7], v[2:3]
	v_add_f64 v[4:5], v[8:9], v[4:5]
	s_waitcnt vmcnt(0)
	s_delay_alu instid0(VALU_DEP_2) | instskip(NEXT) | instid1(VALU_DEP_2)
	v_add_f64 v[2:3], v[38:39], -v[2:3]
	v_add_f64 v[4:5], v[40:41], -v[4:5]
	scratch_store_b128 off, v[2:5], off offset:64
	v_cmpx_lt_u32_e32 3, v110
	s_cbranch_execz .LBB33_211
; %bb.210:
	scratch_load_b128 v[5:8], v121, off
	v_mov_b32_e32 v2, v1
	v_mov_b32_e32 v3, v1
	;; [unrolled: 1-line block ×3, first 2 shown]
	scratch_store_b128 off, v[1:4], off offset:48
	s_waitcnt vmcnt(0)
	ds_store_b128 v144, v[5:8]
.LBB33_211:
	s_or_b32 exec_lo, exec_lo, s2
	s_waitcnt lgkmcnt(0)
	s_waitcnt_vscnt null, 0x0
	s_barrier
	buffer_gl0_inv
	s_clause 0x7
	scratch_load_b128 v[2:5], off, off offset:64
	scratch_load_b128 v[6:9], off, off offset:80
	;; [unrolled: 1-line block ×8, first 2 shown]
	ds_load_b128 v[38:41], v1 offset:608
	ds_load_b128 v[145:148], v1 offset:624
	s_clause 0x1
	scratch_load_b128 v[34:37], off, off offset:192
	scratch_load_b128 v[149:152], off, off offset:208
	s_mov_b32 s2, exec_lo
	s_waitcnt vmcnt(9) lgkmcnt(1)
	v_mul_f64 v[153:154], v[40:41], v[4:5]
	v_mul_f64 v[4:5], v[38:39], v[4:5]
	s_waitcnt vmcnt(8) lgkmcnt(0)
	v_mul_f64 v[155:156], v[145:146], v[8:9]
	v_mul_f64 v[8:9], v[147:148], v[8:9]
	s_delay_alu instid0(VALU_DEP_4) | instskip(NEXT) | instid1(VALU_DEP_4)
	v_fma_f64 v[153:154], v[38:39], v[2:3], -v[153:154]
	v_fma_f64 v[157:158], v[40:41], v[2:3], v[4:5]
	ds_load_b128 v[2:5], v1 offset:640
	scratch_load_b128 v[38:41], off, off offset:224
	v_fma_f64 v[155:156], v[147:148], v[6:7], v[155:156]
	v_fma_f64 v[161:162], v[145:146], v[6:7], -v[8:9]
	scratch_load_b128 v[145:148], off, off offset:240
	ds_load_b128 v[6:9], v1 offset:656
	s_waitcnt vmcnt(9) lgkmcnt(1)
	v_mul_f64 v[159:160], v[2:3], v[12:13]
	v_mul_f64 v[12:13], v[4:5], v[12:13]
	s_waitcnt vmcnt(8) lgkmcnt(0)
	v_mul_f64 v[163:164], v[6:7], v[16:17]
	v_mul_f64 v[16:17], v[8:9], v[16:17]
	v_add_f64 v[153:154], v[153:154], 0
	v_add_f64 v[157:158], v[157:158], 0
	v_fma_f64 v[159:160], v[4:5], v[10:11], v[159:160]
	v_fma_f64 v[165:166], v[2:3], v[10:11], -v[12:13]
	scratch_load_b128 v[10:13], off, off offset:256
	ds_load_b128 v[2:5], v1 offset:672
	v_add_f64 v[153:154], v[153:154], v[161:162]
	v_add_f64 v[155:156], v[157:158], v[155:156]
	v_fma_f64 v[161:162], v[8:9], v[14:15], v[163:164]
	v_fma_f64 v[163:164], v[6:7], v[14:15], -v[16:17]
	ds_load_b128 v[6:9], v1 offset:688
	scratch_load_b128 v[14:17], off, off offset:272
	s_waitcnt vmcnt(9) lgkmcnt(1)
	v_mul_f64 v[157:158], v[2:3], v[20:21]
	v_mul_f64 v[20:21], v[4:5], v[20:21]
	v_add_f64 v[153:154], v[153:154], v[165:166]
	v_add_f64 v[155:156], v[155:156], v[159:160]
	s_waitcnt vmcnt(8) lgkmcnt(0)
	v_mul_f64 v[159:160], v[6:7], v[24:25]
	v_mul_f64 v[24:25], v[8:9], v[24:25]
	v_fma_f64 v[157:158], v[4:5], v[18:19], v[157:158]
	v_fma_f64 v[165:166], v[2:3], v[18:19], -v[20:21]
	ds_load_b128 v[2:5], v1 offset:704
	scratch_load_b128 v[18:21], off, off offset:288
	v_add_f64 v[153:154], v[153:154], v[163:164]
	v_add_f64 v[155:156], v[155:156], v[161:162]
	v_fma_f64 v[159:160], v[8:9], v[22:23], v[159:160]
	v_fma_f64 v[163:164], v[6:7], v[22:23], -v[24:25]
	scratch_load_b128 v[22:25], off, off offset:304
	ds_load_b128 v[6:9], v1 offset:720
	s_waitcnt vmcnt(9) lgkmcnt(1)
	v_mul_f64 v[161:162], v[2:3], v[28:29]
	v_mul_f64 v[28:29], v[4:5], v[28:29]
	v_add_f64 v[153:154], v[153:154], v[165:166]
	v_add_f64 v[155:156], v[155:156], v[157:158]
	s_waitcnt vmcnt(8) lgkmcnt(0)
	v_mul_f64 v[157:158], v[6:7], v[32:33]
	v_mul_f64 v[32:33], v[8:9], v[32:33]
	v_fma_f64 v[161:162], v[4:5], v[26:27], v[161:162]
	v_fma_f64 v[165:166], v[2:3], v[26:27], -v[28:29]
	ds_load_b128 v[2:5], v1 offset:736
	scratch_load_b128 v[26:29], off, off offset:320
	v_add_f64 v[153:154], v[153:154], v[163:164]
	v_add_f64 v[155:156], v[155:156], v[159:160]
	v_fma_f64 v[157:158], v[8:9], v[30:31], v[157:158]
	v_fma_f64 v[163:164], v[6:7], v[30:31], -v[32:33]
	scratch_load_b128 v[30:33], off, off offset:336
	ds_load_b128 v[6:9], v1 offset:752
	;; [unrolled: 18-line block ×3, first 2 shown]
	s_waitcnt vmcnt(9) lgkmcnt(1)
	v_mul_f64 v[157:158], v[2:3], v[40:41]
	v_mul_f64 v[40:41], v[4:5], v[40:41]
	v_add_f64 v[153:154], v[153:154], v[165:166]
	v_add_f64 v[155:156], v[155:156], v[159:160]
	s_waitcnt vmcnt(8) lgkmcnt(0)
	v_mul_f64 v[159:160], v[6:7], v[147:148]
	v_mul_f64 v[147:148], v[8:9], v[147:148]
	v_fma_f64 v[157:158], v[4:5], v[38:39], v[157:158]
	v_fma_f64 v[165:166], v[2:3], v[38:39], -v[40:41]
	ds_load_b128 v[2:5], v1 offset:800
	scratch_load_b128 v[38:41], off, off offset:384
	v_add_f64 v[153:154], v[153:154], v[163:164]
	v_add_f64 v[155:156], v[155:156], v[161:162]
	v_fma_f64 v[159:160], v[8:9], v[145:146], v[159:160]
	v_fma_f64 v[163:164], v[6:7], v[145:146], -v[147:148]
	ds_load_b128 v[6:9], v1 offset:816
	s_waitcnt vmcnt(8) lgkmcnt(1)
	v_mul_f64 v[161:162], v[2:3], v[12:13]
	v_mul_f64 v[12:13], v[4:5], v[12:13]
	scratch_load_b128 v[145:148], off, off offset:400
	v_add_f64 v[153:154], v[153:154], v[165:166]
	v_add_f64 v[155:156], v[155:156], v[157:158]
	s_waitcnt vmcnt(8) lgkmcnt(0)
	v_mul_f64 v[157:158], v[6:7], v[16:17]
	v_mul_f64 v[16:17], v[8:9], v[16:17]
	v_fma_f64 v[161:162], v[4:5], v[10:11], v[161:162]
	v_fma_f64 v[165:166], v[2:3], v[10:11], -v[12:13]
	scratch_load_b128 v[10:13], off, off offset:416
	ds_load_b128 v[2:5], v1 offset:832
	v_add_f64 v[153:154], v[153:154], v[163:164]
	v_add_f64 v[155:156], v[155:156], v[159:160]
	v_fma_f64 v[157:158], v[8:9], v[14:15], v[157:158]
	v_fma_f64 v[163:164], v[6:7], v[14:15], -v[16:17]
	ds_load_b128 v[6:9], v1 offset:848
	s_waitcnt vmcnt(8) lgkmcnt(1)
	v_mul_f64 v[159:160], v[2:3], v[20:21]
	v_mul_f64 v[20:21], v[4:5], v[20:21]
	scratch_load_b128 v[14:17], off, off offset:432
	v_add_f64 v[153:154], v[153:154], v[165:166]
	v_add_f64 v[155:156], v[155:156], v[161:162]
	s_waitcnt vmcnt(8) lgkmcnt(0)
	v_mul_f64 v[161:162], v[6:7], v[24:25]
	v_mul_f64 v[24:25], v[8:9], v[24:25]
	v_fma_f64 v[159:160], v[4:5], v[18:19], v[159:160]
	v_fma_f64 v[165:166], v[2:3], v[18:19], -v[20:21]
	scratch_load_b128 v[18:21], off, off offset:448
	ds_load_b128 v[2:5], v1 offset:864
	;; [unrolled: 18-line block ×4, first 2 shown]
	v_add_f64 v[153:154], v[153:154], v[163:164]
	v_add_f64 v[155:156], v[155:156], v[159:160]
	v_fma_f64 v[157:158], v[8:9], v[149:150], v[157:158]
	v_fma_f64 v[163:164], v[6:7], v[149:150], -v[151:152]
	ds_load_b128 v[6:9], v1 offset:944
	s_waitcnt vmcnt(8) lgkmcnt(1)
	v_mul_f64 v[159:160], v[2:3], v[40:41]
	v_mul_f64 v[40:41], v[4:5], v[40:41]
	scratch_load_b128 v[149:152], off, off offset:528
	v_add_f64 v[153:154], v[153:154], v[165:166]
	v_add_f64 v[155:156], v[155:156], v[161:162]
	v_fma_f64 v[159:160], v[4:5], v[38:39], v[159:160]
	v_fma_f64 v[38:39], v[2:3], v[38:39], -v[40:41]
	ds_load_b128 v[2:5], v1 offset:960
	v_add_f64 v[40:41], v[153:154], v[163:164]
	v_add_f64 v[153:154], v[155:156], v[157:158]
	s_waitcnt vmcnt(7) lgkmcnt(0)
	v_mul_f64 v[155:156], v[2:3], v[12:13]
	v_mul_f64 v[12:13], v[4:5], v[12:13]
	s_delay_alu instid0(VALU_DEP_4) | instskip(NEXT) | instid1(VALU_DEP_4)
	v_add_f64 v[38:39], v[40:41], v[38:39]
	v_add_f64 v[40:41], v[153:154], v[159:160]
	s_delay_alu instid0(VALU_DEP_4) | instskip(NEXT) | instid1(VALU_DEP_4)
	v_fma_f64 v[153:154], v[4:5], v[10:11], v[155:156]
	v_fma_f64 v[155:156], v[2:3], v[10:11], -v[12:13]
	scratch_load_b128 v[10:13], off, off offset:48
	v_mul_f64 v[161:162], v[6:7], v[147:148]
	v_mul_f64 v[147:148], v[8:9], v[147:148]
	ds_load_b128 v[2:5], v1 offset:992
	v_fma_f64 v[157:158], v[8:9], v[145:146], v[161:162]
	v_fma_f64 v[145:146], v[6:7], v[145:146], -v[147:148]
	ds_load_b128 v[6:9], v1 offset:976
	s_waitcnt vmcnt(7) lgkmcnt(0)
	v_mul_f64 v[147:148], v[6:7], v[16:17]
	v_mul_f64 v[16:17], v[8:9], v[16:17]
	v_add_f64 v[40:41], v[40:41], v[157:158]
	v_add_f64 v[38:39], v[38:39], v[145:146]
	s_waitcnt vmcnt(6)
	v_mul_f64 v[145:146], v[2:3], v[20:21]
	v_mul_f64 v[20:21], v[4:5], v[20:21]
	v_fma_f64 v[147:148], v[8:9], v[14:15], v[147:148]
	v_fma_f64 v[14:15], v[6:7], v[14:15], -v[16:17]
	ds_load_b128 v[6:9], v1 offset:1008
	v_add_f64 v[16:17], v[38:39], v[155:156]
	v_add_f64 v[38:39], v[40:41], v[153:154]
	v_fma_f64 v[145:146], v[4:5], v[18:19], v[145:146]
	v_fma_f64 v[18:19], v[2:3], v[18:19], -v[20:21]
	ds_load_b128 v[2:5], v1 offset:1024
	s_waitcnt vmcnt(5) lgkmcnt(1)
	v_mul_f64 v[40:41], v[6:7], v[24:25]
	v_mul_f64 v[24:25], v[8:9], v[24:25]
	s_waitcnt vmcnt(4) lgkmcnt(0)
	v_mul_f64 v[20:21], v[2:3], v[28:29]
	v_mul_f64 v[28:29], v[4:5], v[28:29]
	v_add_f64 v[14:15], v[16:17], v[14:15]
	v_add_f64 v[16:17], v[38:39], v[147:148]
	v_fma_f64 v[38:39], v[8:9], v[22:23], v[40:41]
	v_fma_f64 v[22:23], v[6:7], v[22:23], -v[24:25]
	ds_load_b128 v[6:9], v1 offset:1040
	v_fma_f64 v[20:21], v[4:5], v[26:27], v[20:21]
	v_fma_f64 v[26:27], v[2:3], v[26:27], -v[28:29]
	ds_load_b128 v[2:5], v1 offset:1056
	s_waitcnt vmcnt(3) lgkmcnt(1)
	v_mul_f64 v[24:25], v[8:9], v[32:33]
	v_add_f64 v[14:15], v[14:15], v[18:19]
	v_add_f64 v[16:17], v[16:17], v[145:146]
	v_mul_f64 v[18:19], v[6:7], v[32:33]
	s_waitcnt vmcnt(2) lgkmcnt(0)
	v_mul_f64 v[28:29], v[4:5], v[36:37]
	v_fma_f64 v[24:25], v[6:7], v[30:31], -v[24:25]
	v_add_f64 v[14:15], v[14:15], v[22:23]
	v_add_f64 v[16:17], v[16:17], v[38:39]
	v_mul_f64 v[22:23], v[2:3], v[36:37]
	v_fma_f64 v[18:19], v[8:9], v[30:31], v[18:19]
	ds_load_b128 v[6:9], v1 offset:1072
	v_fma_f64 v[1:2], v[2:3], v[34:35], -v[28:29]
	v_add_f64 v[14:15], v[14:15], v[26:27]
	v_add_f64 v[16:17], v[16:17], v[20:21]
	s_waitcnt vmcnt(1) lgkmcnt(0)
	v_mul_f64 v[20:21], v[6:7], v[151:152]
	v_mul_f64 v[26:27], v[8:9], v[151:152]
	v_fma_f64 v[4:5], v[4:5], v[34:35], v[22:23]
	v_add_f64 v[14:15], v[14:15], v[24:25]
	v_add_f64 v[16:17], v[16:17], v[18:19]
	v_fma_f64 v[8:9], v[8:9], v[149:150], v[20:21]
	v_fma_f64 v[6:7], v[6:7], v[149:150], -v[26:27]
	s_delay_alu instid0(VALU_DEP_4) | instskip(NEXT) | instid1(VALU_DEP_4)
	v_add_f64 v[1:2], v[14:15], v[1:2]
	v_add_f64 v[3:4], v[16:17], v[4:5]
	s_delay_alu instid0(VALU_DEP_2) | instskip(NEXT) | instid1(VALU_DEP_2)
	v_add_f64 v[1:2], v[1:2], v[6:7]
	v_add_f64 v[3:4], v[3:4], v[8:9]
	s_waitcnt vmcnt(0)
	s_delay_alu instid0(VALU_DEP_2) | instskip(NEXT) | instid1(VALU_DEP_2)
	v_add_f64 v[1:2], v[10:11], -v[1:2]
	v_add_f64 v[3:4], v[12:13], -v[3:4]
	scratch_store_b128 off, v[1:4], off offset:48
	v_cmpx_lt_u32_e32 2, v110
	s_cbranch_execz .LBB33_213
; %bb.212:
	scratch_load_b128 v[1:4], v120, off
	v_mov_b32_e32 v5, 0
	s_delay_alu instid0(VALU_DEP_1)
	v_mov_b32_e32 v6, v5
	v_mov_b32_e32 v7, v5
	v_mov_b32_e32 v8, v5
	scratch_store_b128 off, v[5:8], off offset:32
	s_waitcnt vmcnt(0)
	ds_store_b128 v144, v[1:4]
.LBB33_213:
	s_or_b32 exec_lo, exec_lo, s2
	s_waitcnt lgkmcnt(0)
	s_waitcnt_vscnt null, 0x0
	s_barrier
	buffer_gl0_inv
	s_clause 0x7
	scratch_load_b128 v[2:5], off, off offset:48
	scratch_load_b128 v[6:9], off, off offset:64
	;; [unrolled: 1-line block ×8, first 2 shown]
	v_mov_b32_e32 v1, 0
	s_clause 0x1
	scratch_load_b128 v[34:37], off, off offset:176
	scratch_load_b128 v[149:152], off, off offset:192
	s_mov_b32 s2, exec_lo
	ds_load_b128 v[38:41], v1 offset:592
	ds_load_b128 v[145:148], v1 offset:608
	s_waitcnt vmcnt(9) lgkmcnt(1)
	v_mul_f64 v[153:154], v[40:41], v[4:5]
	v_mul_f64 v[4:5], v[38:39], v[4:5]
	s_waitcnt vmcnt(8) lgkmcnt(0)
	v_mul_f64 v[155:156], v[145:146], v[8:9]
	v_mul_f64 v[8:9], v[147:148], v[8:9]
	s_delay_alu instid0(VALU_DEP_4) | instskip(NEXT) | instid1(VALU_DEP_4)
	v_fma_f64 v[153:154], v[38:39], v[2:3], -v[153:154]
	v_fma_f64 v[157:158], v[40:41], v[2:3], v[4:5]
	ds_load_b128 v[2:5], v1 offset:624
	scratch_load_b128 v[38:41], off, off offset:208
	v_fma_f64 v[155:156], v[147:148], v[6:7], v[155:156]
	v_fma_f64 v[161:162], v[145:146], v[6:7], -v[8:9]
	scratch_load_b128 v[145:148], off, off offset:224
	ds_load_b128 v[6:9], v1 offset:640
	s_waitcnt vmcnt(9) lgkmcnt(1)
	v_mul_f64 v[159:160], v[2:3], v[12:13]
	v_mul_f64 v[12:13], v[4:5], v[12:13]
	s_waitcnt vmcnt(8) lgkmcnt(0)
	v_mul_f64 v[163:164], v[6:7], v[16:17]
	v_mul_f64 v[16:17], v[8:9], v[16:17]
	v_add_f64 v[153:154], v[153:154], 0
	v_add_f64 v[157:158], v[157:158], 0
	v_fma_f64 v[159:160], v[4:5], v[10:11], v[159:160]
	v_fma_f64 v[165:166], v[2:3], v[10:11], -v[12:13]
	ds_load_b128 v[2:5], v1 offset:656
	scratch_load_b128 v[10:13], off, off offset:240
	v_add_f64 v[153:154], v[153:154], v[161:162]
	v_add_f64 v[155:156], v[157:158], v[155:156]
	v_fma_f64 v[161:162], v[8:9], v[14:15], v[163:164]
	v_fma_f64 v[163:164], v[6:7], v[14:15], -v[16:17]
	scratch_load_b128 v[14:17], off, off offset:256
	ds_load_b128 v[6:9], v1 offset:672
	s_waitcnt vmcnt(9) lgkmcnt(1)
	v_mul_f64 v[157:158], v[2:3], v[20:21]
	v_mul_f64 v[20:21], v[4:5], v[20:21]
	v_add_f64 v[153:154], v[153:154], v[165:166]
	v_add_f64 v[155:156], v[155:156], v[159:160]
	s_waitcnt vmcnt(8) lgkmcnt(0)
	v_mul_f64 v[159:160], v[6:7], v[24:25]
	v_mul_f64 v[24:25], v[8:9], v[24:25]
	v_fma_f64 v[157:158], v[4:5], v[18:19], v[157:158]
	v_fma_f64 v[165:166], v[2:3], v[18:19], -v[20:21]
	ds_load_b128 v[2:5], v1 offset:688
	scratch_load_b128 v[18:21], off, off offset:272
	v_add_f64 v[153:154], v[153:154], v[163:164]
	v_add_f64 v[155:156], v[155:156], v[161:162]
	v_fma_f64 v[159:160], v[8:9], v[22:23], v[159:160]
	v_fma_f64 v[163:164], v[6:7], v[22:23], -v[24:25]
	scratch_load_b128 v[22:25], off, off offset:288
	ds_load_b128 v[6:9], v1 offset:704
	s_waitcnt vmcnt(9) lgkmcnt(1)
	v_mul_f64 v[161:162], v[2:3], v[28:29]
	v_mul_f64 v[28:29], v[4:5], v[28:29]
	v_add_f64 v[153:154], v[153:154], v[165:166]
	v_add_f64 v[155:156], v[155:156], v[157:158]
	s_waitcnt vmcnt(8) lgkmcnt(0)
	v_mul_f64 v[157:158], v[6:7], v[32:33]
	v_mul_f64 v[32:33], v[8:9], v[32:33]
	;; [unrolled: 18-line block ×6, first 2 shown]
	v_fma_f64 v[159:160], v[4:5], v[18:19], v[159:160]
	v_fma_f64 v[165:166], v[2:3], v[18:19], -v[20:21]
	ds_load_b128 v[2:5], v1 offset:848
	scratch_load_b128 v[18:21], off, off offset:432
	v_add_f64 v[153:154], v[153:154], v[163:164]
	v_add_f64 v[155:156], v[155:156], v[157:158]
	v_fma_f64 v[161:162], v[8:9], v[22:23], v[161:162]
	v_fma_f64 v[163:164], v[6:7], v[22:23], -v[24:25]
	ds_load_b128 v[6:9], v1 offset:864
	s_waitcnt vmcnt(8) lgkmcnt(1)
	v_mul_f64 v[157:158], v[2:3], v[28:29]
	v_mul_f64 v[28:29], v[4:5], v[28:29]
	scratch_load_b128 v[22:25], off, off offset:448
	v_add_f64 v[153:154], v[153:154], v[165:166]
	v_add_f64 v[155:156], v[155:156], v[159:160]
	s_waitcnt vmcnt(8) lgkmcnt(0)
	v_mul_f64 v[159:160], v[6:7], v[32:33]
	v_mul_f64 v[32:33], v[8:9], v[32:33]
	v_fma_f64 v[157:158], v[4:5], v[26:27], v[157:158]
	v_fma_f64 v[165:166], v[2:3], v[26:27], -v[28:29]
	scratch_load_b128 v[26:29], off, off offset:464
	ds_load_b128 v[2:5], v1 offset:880
	v_add_f64 v[153:154], v[153:154], v[163:164]
	v_add_f64 v[155:156], v[155:156], v[161:162]
	v_fma_f64 v[159:160], v[8:9], v[30:31], v[159:160]
	v_fma_f64 v[163:164], v[6:7], v[30:31], -v[32:33]
	ds_load_b128 v[6:9], v1 offset:896
	s_waitcnt vmcnt(8) lgkmcnt(1)
	v_mul_f64 v[161:162], v[2:3], v[36:37]
	v_mul_f64 v[36:37], v[4:5], v[36:37]
	scratch_load_b128 v[30:33], off, off offset:480
	v_add_f64 v[153:154], v[153:154], v[165:166]
	v_add_f64 v[155:156], v[155:156], v[157:158]
	s_waitcnt vmcnt(8) lgkmcnt(0)
	v_mul_f64 v[157:158], v[6:7], v[151:152]
	v_mul_f64 v[151:152], v[8:9], v[151:152]
	v_fma_f64 v[161:162], v[4:5], v[34:35], v[161:162]
	v_fma_f64 v[165:166], v[2:3], v[34:35], -v[36:37]
	scratch_load_b128 v[34:37], off, off offset:496
	ds_load_b128 v[2:5], v1 offset:912
	;; [unrolled: 18-line block ×3, first 2 shown]
	v_add_f64 v[153:154], v[153:154], v[163:164]
	v_add_f64 v[155:156], v[155:156], v[157:158]
	v_fma_f64 v[161:162], v[8:9], v[145:146], v[161:162]
	v_fma_f64 v[145:146], v[6:7], v[145:146], -v[147:148]
	ds_load_b128 v[6:9], v1 offset:960
	s_waitcnt vmcnt(8) lgkmcnt(1)
	v_mul_f64 v[157:158], v[2:3], v[12:13]
	v_mul_f64 v[12:13], v[4:5], v[12:13]
	v_add_f64 v[147:148], v[153:154], v[165:166]
	v_add_f64 v[153:154], v[155:156], v[159:160]
	s_waitcnt vmcnt(7) lgkmcnt(0)
	v_mul_f64 v[155:156], v[6:7], v[16:17]
	v_mul_f64 v[16:17], v[8:9], v[16:17]
	v_fma_f64 v[157:158], v[4:5], v[10:11], v[157:158]
	v_fma_f64 v[10:11], v[2:3], v[10:11], -v[12:13]
	ds_load_b128 v[2:5], v1 offset:976
	v_add_f64 v[12:13], v[147:148], v[145:146]
	v_add_f64 v[145:146], v[153:154], v[161:162]
	v_fma_f64 v[153:154], v[8:9], v[14:15], v[155:156]
	v_fma_f64 v[14:15], v[6:7], v[14:15], -v[16:17]
	ds_load_b128 v[6:9], v1 offset:992
	s_waitcnt vmcnt(5) lgkmcnt(0)
	v_mul_f64 v[155:156], v[6:7], v[24:25]
	v_mul_f64 v[24:25], v[8:9], v[24:25]
	v_add_f64 v[16:17], v[12:13], v[10:11]
	v_add_f64 v[145:146], v[145:146], v[157:158]
	scratch_load_b128 v[10:13], off, off offset:32
	v_mul_f64 v[147:148], v[2:3], v[20:21]
	v_mul_f64 v[20:21], v[4:5], v[20:21]
	v_add_f64 v[14:15], v[16:17], v[14:15]
	v_add_f64 v[16:17], v[145:146], v[153:154]
	v_fma_f64 v[145:146], v[8:9], v[22:23], v[155:156]
	v_fma_f64 v[147:148], v[4:5], v[18:19], v[147:148]
	v_fma_f64 v[18:19], v[2:3], v[18:19], -v[20:21]
	ds_load_b128 v[2:5], v1 offset:1008
	v_fma_f64 v[22:23], v[6:7], v[22:23], -v[24:25]
	ds_load_b128 v[6:9], v1 offset:1024
	s_waitcnt vmcnt(5) lgkmcnt(1)
	v_mul_f64 v[20:21], v[2:3], v[28:29]
	v_mul_f64 v[28:29], v[4:5], v[28:29]
	s_waitcnt vmcnt(4) lgkmcnt(0)
	v_mul_f64 v[24:25], v[8:9], v[32:33]
	v_add_f64 v[16:17], v[16:17], v[147:148]
	v_add_f64 v[14:15], v[14:15], v[18:19]
	v_mul_f64 v[18:19], v[6:7], v[32:33]
	v_fma_f64 v[20:21], v[4:5], v[26:27], v[20:21]
	v_fma_f64 v[26:27], v[2:3], v[26:27], -v[28:29]
	ds_load_b128 v[2:5], v1 offset:1040
	v_fma_f64 v[24:25], v[6:7], v[30:31], -v[24:25]
	v_add_f64 v[16:17], v[16:17], v[145:146]
	v_add_f64 v[14:15], v[14:15], v[22:23]
	v_fma_f64 v[18:19], v[8:9], v[30:31], v[18:19]
	ds_load_b128 v[6:9], v1 offset:1056
	s_waitcnt vmcnt(3) lgkmcnt(1)
	v_mul_f64 v[22:23], v[2:3], v[36:37]
	v_mul_f64 v[28:29], v[4:5], v[36:37]
	v_add_f64 v[16:17], v[16:17], v[20:21]
	v_add_f64 v[14:15], v[14:15], v[26:27]
	s_waitcnt vmcnt(2) lgkmcnt(0)
	v_mul_f64 v[20:21], v[6:7], v[151:152]
	v_mul_f64 v[26:27], v[8:9], v[151:152]
	v_fma_f64 v[22:23], v[4:5], v[34:35], v[22:23]
	v_fma_f64 v[28:29], v[2:3], v[34:35], -v[28:29]
	ds_load_b128 v[2:5], v1 offset:1072
	v_add_f64 v[16:17], v[16:17], v[18:19]
	v_add_f64 v[14:15], v[14:15], v[24:25]
	s_waitcnt vmcnt(1) lgkmcnt(0)
	v_mul_f64 v[18:19], v[2:3], v[40:41]
	v_mul_f64 v[24:25], v[4:5], v[40:41]
	v_fma_f64 v[8:9], v[8:9], v[149:150], v[20:21]
	v_fma_f64 v[6:7], v[6:7], v[149:150], -v[26:27]
	v_add_f64 v[16:17], v[16:17], v[22:23]
	v_add_f64 v[14:15], v[14:15], v[28:29]
	v_fma_f64 v[4:5], v[4:5], v[38:39], v[18:19]
	v_fma_f64 v[2:3], v[2:3], v[38:39], -v[24:25]
	s_delay_alu instid0(VALU_DEP_4) | instskip(NEXT) | instid1(VALU_DEP_4)
	v_add_f64 v[8:9], v[16:17], v[8:9]
	v_add_f64 v[6:7], v[14:15], v[6:7]
	s_delay_alu instid0(VALU_DEP_2) | instskip(NEXT) | instid1(VALU_DEP_2)
	v_add_f64 v[4:5], v[8:9], v[4:5]
	v_add_f64 v[2:3], v[6:7], v[2:3]
	s_waitcnt vmcnt(0)
	s_delay_alu instid0(VALU_DEP_2) | instskip(NEXT) | instid1(VALU_DEP_2)
	v_add_f64 v[4:5], v[12:13], -v[4:5]
	v_add_f64 v[2:3], v[10:11], -v[2:3]
	scratch_store_b128 off, v[2:5], off offset:32
	v_cmpx_lt_u32_e32 1, v110
	s_cbranch_execz .LBB33_215
; %bb.214:
	scratch_load_b128 v[5:8], v122, off
	v_mov_b32_e32 v2, v1
	v_mov_b32_e32 v3, v1
	;; [unrolled: 1-line block ×3, first 2 shown]
	scratch_store_b128 off, v[1:4], off offset:16
	s_waitcnt vmcnt(0)
	ds_store_b128 v144, v[5:8]
.LBB33_215:
	s_or_b32 exec_lo, exec_lo, s2
	s_waitcnt lgkmcnt(0)
	s_waitcnt_vscnt null, 0x0
	s_barrier
	buffer_gl0_inv
	s_clause 0x7
	scratch_load_b128 v[2:5], off, off offset:32
	scratch_load_b128 v[6:9], off, off offset:48
	scratch_load_b128 v[10:13], off, off offset:64
	scratch_load_b128 v[14:17], off, off offset:80
	scratch_load_b128 v[18:21], off, off offset:96
	scratch_load_b128 v[22:25], off, off offset:112
	scratch_load_b128 v[26:29], off, off offset:128
	scratch_load_b128 v[30:33], off, off offset:144
	ds_load_b128 v[38:41], v1 offset:576
	ds_load_b128 v[145:148], v1 offset:592
	s_clause 0x1
	scratch_load_b128 v[34:37], off, off offset:160
	scratch_load_b128 v[149:152], off, off offset:176
	s_mov_b32 s2, exec_lo
	s_waitcnt vmcnt(9) lgkmcnt(1)
	v_mul_f64 v[153:154], v[40:41], v[4:5]
	v_mul_f64 v[4:5], v[38:39], v[4:5]
	s_waitcnt vmcnt(8) lgkmcnt(0)
	v_mul_f64 v[155:156], v[145:146], v[8:9]
	v_mul_f64 v[8:9], v[147:148], v[8:9]
	s_delay_alu instid0(VALU_DEP_4) | instskip(NEXT) | instid1(VALU_DEP_4)
	v_fma_f64 v[153:154], v[38:39], v[2:3], -v[153:154]
	v_fma_f64 v[157:158], v[40:41], v[2:3], v[4:5]
	ds_load_b128 v[2:5], v1 offset:608
	scratch_load_b128 v[38:41], off, off offset:192
	v_fma_f64 v[155:156], v[147:148], v[6:7], v[155:156]
	v_fma_f64 v[161:162], v[145:146], v[6:7], -v[8:9]
	scratch_load_b128 v[145:148], off, off offset:208
	ds_load_b128 v[6:9], v1 offset:624
	s_waitcnt vmcnt(9) lgkmcnt(1)
	v_mul_f64 v[159:160], v[2:3], v[12:13]
	v_mul_f64 v[12:13], v[4:5], v[12:13]
	s_waitcnt vmcnt(8) lgkmcnt(0)
	v_mul_f64 v[163:164], v[6:7], v[16:17]
	v_mul_f64 v[16:17], v[8:9], v[16:17]
	v_add_f64 v[153:154], v[153:154], 0
	v_add_f64 v[157:158], v[157:158], 0
	v_fma_f64 v[159:160], v[4:5], v[10:11], v[159:160]
	v_fma_f64 v[165:166], v[2:3], v[10:11], -v[12:13]
	ds_load_b128 v[2:5], v1 offset:640
	scratch_load_b128 v[10:13], off, off offset:224
	v_add_f64 v[153:154], v[153:154], v[161:162]
	v_add_f64 v[155:156], v[157:158], v[155:156]
	v_fma_f64 v[161:162], v[8:9], v[14:15], v[163:164]
	v_fma_f64 v[163:164], v[6:7], v[14:15], -v[16:17]
	scratch_load_b128 v[14:17], off, off offset:240
	ds_load_b128 v[6:9], v1 offset:656
	s_waitcnt vmcnt(9) lgkmcnt(1)
	v_mul_f64 v[157:158], v[2:3], v[20:21]
	v_mul_f64 v[20:21], v[4:5], v[20:21]
	v_add_f64 v[153:154], v[153:154], v[165:166]
	v_add_f64 v[155:156], v[155:156], v[159:160]
	s_waitcnt vmcnt(8) lgkmcnt(0)
	v_mul_f64 v[159:160], v[6:7], v[24:25]
	v_mul_f64 v[24:25], v[8:9], v[24:25]
	v_fma_f64 v[157:158], v[4:5], v[18:19], v[157:158]
	v_fma_f64 v[165:166], v[2:3], v[18:19], -v[20:21]
	ds_load_b128 v[2:5], v1 offset:672
	scratch_load_b128 v[18:21], off, off offset:256
	v_add_f64 v[153:154], v[153:154], v[163:164]
	v_add_f64 v[155:156], v[155:156], v[161:162]
	v_fma_f64 v[159:160], v[8:9], v[22:23], v[159:160]
	v_fma_f64 v[163:164], v[6:7], v[22:23], -v[24:25]
	scratch_load_b128 v[22:25], off, off offset:272
	ds_load_b128 v[6:9], v1 offset:688
	s_waitcnt vmcnt(9) lgkmcnt(1)
	v_mul_f64 v[161:162], v[2:3], v[28:29]
	v_mul_f64 v[28:29], v[4:5], v[28:29]
	v_add_f64 v[153:154], v[153:154], v[165:166]
	v_add_f64 v[155:156], v[155:156], v[157:158]
	s_waitcnt vmcnt(8) lgkmcnt(0)
	v_mul_f64 v[157:158], v[6:7], v[32:33]
	v_mul_f64 v[32:33], v[8:9], v[32:33]
	;; [unrolled: 18-line block ×6, first 2 shown]
	v_fma_f64 v[159:160], v[4:5], v[18:19], v[159:160]
	v_fma_f64 v[165:166], v[2:3], v[18:19], -v[20:21]
	ds_load_b128 v[2:5], v1 offset:832
	scratch_load_b128 v[18:21], off, off offset:416
	v_add_f64 v[153:154], v[153:154], v[163:164]
	v_add_f64 v[155:156], v[155:156], v[157:158]
	v_fma_f64 v[161:162], v[8:9], v[22:23], v[161:162]
	v_fma_f64 v[163:164], v[6:7], v[22:23], -v[24:25]
	ds_load_b128 v[6:9], v1 offset:848
	s_waitcnt vmcnt(8) lgkmcnt(1)
	v_mul_f64 v[157:158], v[2:3], v[28:29]
	v_mul_f64 v[28:29], v[4:5], v[28:29]
	scratch_load_b128 v[22:25], off, off offset:432
	v_add_f64 v[153:154], v[153:154], v[165:166]
	v_add_f64 v[155:156], v[155:156], v[159:160]
	s_waitcnt vmcnt(8) lgkmcnt(0)
	v_mul_f64 v[159:160], v[6:7], v[32:33]
	v_mul_f64 v[32:33], v[8:9], v[32:33]
	v_fma_f64 v[157:158], v[4:5], v[26:27], v[157:158]
	v_fma_f64 v[165:166], v[2:3], v[26:27], -v[28:29]
	ds_load_b128 v[2:5], v1 offset:864
	scratch_load_b128 v[26:29], off, off offset:448
	v_add_f64 v[153:154], v[153:154], v[163:164]
	v_add_f64 v[155:156], v[155:156], v[161:162]
	v_fma_f64 v[159:160], v[8:9], v[30:31], v[159:160]
	v_fma_f64 v[163:164], v[6:7], v[30:31], -v[32:33]
	ds_load_b128 v[6:9], v1 offset:880
	s_waitcnt vmcnt(8) lgkmcnt(1)
	v_mul_f64 v[161:162], v[2:3], v[36:37]
	v_mul_f64 v[36:37], v[4:5], v[36:37]
	scratch_load_b128 v[30:33], off, off offset:464
	v_add_f64 v[153:154], v[153:154], v[165:166]
	v_add_f64 v[155:156], v[155:156], v[157:158]
	s_waitcnt vmcnt(8) lgkmcnt(0)
	v_mul_f64 v[157:158], v[6:7], v[151:152]
	v_mul_f64 v[151:152], v[8:9], v[151:152]
	v_fma_f64 v[161:162], v[4:5], v[34:35], v[161:162]
	v_fma_f64 v[165:166], v[2:3], v[34:35], -v[36:37]
	scratch_load_b128 v[34:37], off, off offset:480
	ds_load_b128 v[2:5], v1 offset:896
	v_add_f64 v[153:154], v[153:154], v[163:164]
	v_add_f64 v[155:156], v[155:156], v[159:160]
	v_fma_f64 v[157:158], v[8:9], v[149:150], v[157:158]
	v_fma_f64 v[163:164], v[6:7], v[149:150], -v[151:152]
	ds_load_b128 v[6:9], v1 offset:912
	s_waitcnt vmcnt(8) lgkmcnt(1)
	v_mul_f64 v[159:160], v[2:3], v[40:41]
	v_mul_f64 v[40:41], v[4:5], v[40:41]
	scratch_load_b128 v[149:152], off, off offset:496
	v_add_f64 v[153:154], v[153:154], v[165:166]
	v_add_f64 v[155:156], v[155:156], v[161:162]
	s_waitcnt vmcnt(8) lgkmcnt(0)
	v_mul_f64 v[161:162], v[6:7], v[147:148]
	v_mul_f64 v[147:148], v[8:9], v[147:148]
	v_fma_f64 v[159:160], v[4:5], v[38:39], v[159:160]
	v_fma_f64 v[165:166], v[2:3], v[38:39], -v[40:41]
	scratch_load_b128 v[38:41], off, off offset:512
	ds_load_b128 v[2:5], v1 offset:928
	v_add_f64 v[153:154], v[153:154], v[163:164]
	v_add_f64 v[155:156], v[155:156], v[157:158]
	v_fma_f64 v[161:162], v[8:9], v[145:146], v[161:162]
	v_fma_f64 v[163:164], v[6:7], v[145:146], -v[147:148]
	ds_load_b128 v[6:9], v1 offset:944
	s_waitcnt vmcnt(8) lgkmcnt(1)
	v_mul_f64 v[157:158], v[2:3], v[12:13]
	v_mul_f64 v[12:13], v[4:5], v[12:13]
	scratch_load_b128 v[145:148], off, off offset:528
	v_add_f64 v[153:154], v[153:154], v[165:166]
	v_add_f64 v[155:156], v[155:156], v[159:160]
	s_waitcnt vmcnt(8) lgkmcnt(0)
	v_mul_f64 v[159:160], v[6:7], v[16:17]
	v_mul_f64 v[16:17], v[8:9], v[16:17]
	v_fma_f64 v[157:158], v[4:5], v[10:11], v[157:158]
	v_fma_f64 v[10:11], v[2:3], v[10:11], -v[12:13]
	ds_load_b128 v[2:5], v1 offset:960
	v_add_f64 v[12:13], v[153:154], v[163:164]
	v_add_f64 v[153:154], v[155:156], v[161:162]
	v_fma_f64 v[159:160], v[8:9], v[14:15], v[159:160]
	v_fma_f64 v[14:15], v[6:7], v[14:15], -v[16:17]
	ds_load_b128 v[6:9], v1 offset:976
	s_waitcnt vmcnt(7) lgkmcnt(1)
	v_mul_f64 v[155:156], v[2:3], v[20:21]
	v_mul_f64 v[20:21], v[4:5], v[20:21]
	v_add_f64 v[10:11], v[12:13], v[10:11]
	v_add_f64 v[12:13], v[153:154], v[157:158]
	s_delay_alu instid0(VALU_DEP_4) | instskip(NEXT) | instid1(VALU_DEP_4)
	v_fma_f64 v[153:154], v[4:5], v[18:19], v[155:156]
	v_fma_f64 v[18:19], v[2:3], v[18:19], -v[20:21]
	ds_load_b128 v[2:5], v1 offset:992
	v_add_f64 v[14:15], v[10:11], v[14:15]
	v_add_f64 v[20:21], v[12:13], v[159:160]
	scratch_load_b128 v[10:13], off, off offset:16
	s_waitcnt vmcnt(7) lgkmcnt(1)
	v_mul_f64 v[16:17], v[6:7], v[24:25]
	v_mul_f64 v[24:25], v[8:9], v[24:25]
	v_add_f64 v[14:15], v[14:15], v[18:19]
	v_add_f64 v[18:19], v[20:21], v[153:154]
	s_delay_alu instid0(VALU_DEP_4) | instskip(NEXT) | instid1(VALU_DEP_4)
	v_fma_f64 v[16:17], v[8:9], v[22:23], v[16:17]
	v_fma_f64 v[22:23], v[6:7], v[22:23], -v[24:25]
	ds_load_b128 v[6:9], v1 offset:1008
	s_waitcnt vmcnt(6) lgkmcnt(1)
	v_mul_f64 v[155:156], v[2:3], v[28:29]
	v_mul_f64 v[28:29], v[4:5], v[28:29]
	s_waitcnt vmcnt(5) lgkmcnt(0)
	v_mul_f64 v[20:21], v[6:7], v[32:33]
	v_mul_f64 v[24:25], v[8:9], v[32:33]
	v_add_f64 v[16:17], v[18:19], v[16:17]
	v_add_f64 v[14:15], v[14:15], v[22:23]
	v_fma_f64 v[32:33], v[4:5], v[26:27], v[155:156]
	v_fma_f64 v[26:27], v[2:3], v[26:27], -v[28:29]
	ds_load_b128 v[2:5], v1 offset:1024
	v_fma_f64 v[20:21], v[8:9], v[30:31], v[20:21]
	v_fma_f64 v[24:25], v[6:7], v[30:31], -v[24:25]
	ds_load_b128 v[6:9], v1 offset:1040
	s_waitcnt vmcnt(4) lgkmcnt(1)
	v_mul_f64 v[18:19], v[2:3], v[36:37]
	v_mul_f64 v[22:23], v[4:5], v[36:37]
	v_add_f64 v[16:17], v[16:17], v[32:33]
	v_add_f64 v[14:15], v[14:15], v[26:27]
	s_waitcnt vmcnt(3) lgkmcnt(0)
	v_mul_f64 v[26:27], v[6:7], v[151:152]
	v_mul_f64 v[28:29], v[8:9], v[151:152]
	v_fma_f64 v[18:19], v[4:5], v[34:35], v[18:19]
	v_fma_f64 v[22:23], v[2:3], v[34:35], -v[22:23]
	ds_load_b128 v[2:5], v1 offset:1056
	v_add_f64 v[16:17], v[16:17], v[20:21]
	v_add_f64 v[14:15], v[14:15], v[24:25]
	v_fma_f64 v[26:27], v[8:9], v[149:150], v[26:27]
	v_fma_f64 v[28:29], v[6:7], v[149:150], -v[28:29]
	ds_load_b128 v[6:9], v1 offset:1072
	s_waitcnt vmcnt(2) lgkmcnt(1)
	v_mul_f64 v[20:21], v[2:3], v[40:41]
	v_mul_f64 v[24:25], v[4:5], v[40:41]
	v_add_f64 v[16:17], v[16:17], v[18:19]
	v_add_f64 v[14:15], v[14:15], v[22:23]
	s_waitcnt vmcnt(1) lgkmcnt(0)
	v_mul_f64 v[18:19], v[6:7], v[147:148]
	v_mul_f64 v[22:23], v[8:9], v[147:148]
	v_fma_f64 v[4:5], v[4:5], v[38:39], v[20:21]
	v_fma_f64 v[1:2], v[2:3], v[38:39], -v[24:25]
	v_add_f64 v[16:17], v[16:17], v[26:27]
	v_add_f64 v[14:15], v[14:15], v[28:29]
	v_fma_f64 v[8:9], v[8:9], v[145:146], v[18:19]
	v_fma_f64 v[6:7], v[6:7], v[145:146], -v[22:23]
	s_delay_alu instid0(VALU_DEP_4) | instskip(NEXT) | instid1(VALU_DEP_4)
	v_add_f64 v[3:4], v[16:17], v[4:5]
	v_add_f64 v[1:2], v[14:15], v[1:2]
	s_delay_alu instid0(VALU_DEP_2) | instskip(NEXT) | instid1(VALU_DEP_2)
	v_add_f64 v[3:4], v[3:4], v[8:9]
	v_add_f64 v[1:2], v[1:2], v[6:7]
	s_waitcnt vmcnt(0)
	s_delay_alu instid0(VALU_DEP_2) | instskip(NEXT) | instid1(VALU_DEP_2)
	v_add_f64 v[3:4], v[12:13], -v[3:4]
	v_add_f64 v[1:2], v[10:11], -v[1:2]
	scratch_store_b128 off, v[1:4], off offset:16
	v_cmpx_ne_u32_e32 0, v110
	s_cbranch_execz .LBB33_217
; %bb.216:
	scratch_load_b128 v[1:4], off, off
	v_mov_b32_e32 v5, 0
	s_delay_alu instid0(VALU_DEP_1)
	v_mov_b32_e32 v6, v5
	v_mov_b32_e32 v7, v5
	;; [unrolled: 1-line block ×3, first 2 shown]
	scratch_store_b128 off, v[5:8], off
	s_waitcnt vmcnt(0)
	ds_store_b128 v144, v[1:4]
.LBB33_217:
	s_or_b32 exec_lo, exec_lo, s2
	s_waitcnt lgkmcnt(0)
	s_waitcnt_vscnt null, 0x0
	s_barrier
	buffer_gl0_inv
	s_clause 0x7
	scratch_load_b128 v[1:4], off, off offset:16
	scratch_load_b128 v[5:8], off, off offset:32
	;; [unrolled: 1-line block ×8, first 2 shown]
	v_mov_b32_e32 v41, 0
	s_clause 0x1
	scratch_load_b128 v[33:36], off, off offset:144
	scratch_load_b128 v[148:151], off, off offset:160
	s_and_b32 vcc_lo, exec_lo, s20
	ds_load_b128 v[37:40], v41 offset:560
	ds_load_b128 v[144:147], v41 offset:576
	s_waitcnt vmcnt(9) lgkmcnt(1)
	v_mul_f64 v[152:153], v[39:40], v[3:4]
	v_mul_f64 v[3:4], v[37:38], v[3:4]
	s_waitcnt vmcnt(8) lgkmcnt(0)
	v_mul_f64 v[154:155], v[144:145], v[7:8]
	v_mul_f64 v[7:8], v[146:147], v[7:8]
	s_delay_alu instid0(VALU_DEP_4) | instskip(NEXT) | instid1(VALU_DEP_4)
	v_fma_f64 v[152:153], v[37:38], v[1:2], -v[152:153]
	v_fma_f64 v[156:157], v[39:40], v[1:2], v[3:4]
	ds_load_b128 v[1:4], v41 offset:592
	scratch_load_b128 v[37:40], off, off offset:176
	v_fma_f64 v[154:155], v[146:147], v[5:6], v[154:155]
	v_fma_f64 v[160:161], v[144:145], v[5:6], -v[7:8]
	scratch_load_b128 v[144:147], off, off offset:192
	ds_load_b128 v[5:8], v41 offset:608
	s_waitcnt vmcnt(9) lgkmcnt(1)
	v_mul_f64 v[158:159], v[1:2], v[11:12]
	v_mul_f64 v[11:12], v[3:4], v[11:12]
	s_waitcnt vmcnt(8) lgkmcnt(0)
	v_mul_f64 v[162:163], v[5:6], v[15:16]
	v_mul_f64 v[15:16], v[7:8], v[15:16]
	v_add_f64 v[152:153], v[152:153], 0
	v_add_f64 v[156:157], v[156:157], 0
	v_fma_f64 v[158:159], v[3:4], v[9:10], v[158:159]
	v_fma_f64 v[164:165], v[1:2], v[9:10], -v[11:12]
	ds_load_b128 v[1:4], v41 offset:624
	scratch_load_b128 v[9:12], off, off offset:208
	v_add_f64 v[152:153], v[152:153], v[160:161]
	v_add_f64 v[154:155], v[156:157], v[154:155]
	v_fma_f64 v[160:161], v[7:8], v[13:14], v[162:163]
	v_fma_f64 v[162:163], v[5:6], v[13:14], -v[15:16]
	scratch_load_b128 v[13:16], off, off offset:224
	ds_load_b128 v[5:8], v41 offset:640
	s_waitcnt vmcnt(9) lgkmcnt(1)
	v_mul_f64 v[156:157], v[1:2], v[19:20]
	v_mul_f64 v[19:20], v[3:4], v[19:20]
	v_add_f64 v[152:153], v[152:153], v[164:165]
	v_add_f64 v[154:155], v[154:155], v[158:159]
	s_waitcnt vmcnt(8) lgkmcnt(0)
	v_mul_f64 v[158:159], v[5:6], v[23:24]
	v_mul_f64 v[23:24], v[7:8], v[23:24]
	v_fma_f64 v[156:157], v[3:4], v[17:18], v[156:157]
	v_fma_f64 v[164:165], v[1:2], v[17:18], -v[19:20]
	ds_load_b128 v[1:4], v41 offset:656
	scratch_load_b128 v[17:20], off, off offset:240
	v_add_f64 v[152:153], v[152:153], v[162:163]
	v_add_f64 v[154:155], v[154:155], v[160:161]
	v_fma_f64 v[158:159], v[7:8], v[21:22], v[158:159]
	v_fma_f64 v[162:163], v[5:6], v[21:22], -v[23:24]
	scratch_load_b128 v[21:24], off, off offset:256
	ds_load_b128 v[5:8], v41 offset:672
	s_waitcnt vmcnt(9) lgkmcnt(1)
	v_mul_f64 v[160:161], v[1:2], v[27:28]
	v_mul_f64 v[27:28], v[3:4], v[27:28]
	v_add_f64 v[152:153], v[152:153], v[164:165]
	v_add_f64 v[154:155], v[154:155], v[156:157]
	s_waitcnt vmcnt(8) lgkmcnt(0)
	v_mul_f64 v[156:157], v[5:6], v[31:32]
	v_mul_f64 v[31:32], v[7:8], v[31:32]
	;; [unrolled: 18-line block ×7, first 2 shown]
	v_fma_f64 v[156:157], v[3:4], v[25:26], v[156:157]
	v_fma_f64 v[164:165], v[1:2], v[25:26], -v[27:28]
	ds_load_b128 v[1:4], v41 offset:848
	scratch_load_b128 v[25:28], off, off offset:432
	v_add_f64 v[152:153], v[152:153], v[162:163]
	v_add_f64 v[154:155], v[154:155], v[160:161]
	v_fma_f64 v[158:159], v[7:8], v[29:30], v[158:159]
	v_fma_f64 v[162:163], v[5:6], v[29:30], -v[31:32]
	ds_load_b128 v[5:8], v41 offset:864
	s_waitcnt vmcnt(8) lgkmcnt(1)
	v_mul_f64 v[160:161], v[1:2], v[35:36]
	v_mul_f64 v[35:36], v[3:4], v[35:36]
	scratch_load_b128 v[29:32], off, off offset:448
	v_add_f64 v[152:153], v[152:153], v[164:165]
	v_add_f64 v[154:155], v[154:155], v[156:157]
	s_waitcnt vmcnt(8) lgkmcnt(0)
	v_mul_f64 v[156:157], v[5:6], v[150:151]
	v_mul_f64 v[150:151], v[7:8], v[150:151]
	v_fma_f64 v[160:161], v[3:4], v[33:34], v[160:161]
	v_fma_f64 v[164:165], v[1:2], v[33:34], -v[35:36]
	scratch_load_b128 v[33:36], off, off offset:464
	ds_load_b128 v[1:4], v41 offset:880
	v_add_f64 v[152:153], v[152:153], v[162:163]
	v_add_f64 v[154:155], v[154:155], v[158:159]
	v_fma_f64 v[156:157], v[7:8], v[148:149], v[156:157]
	v_fma_f64 v[162:163], v[5:6], v[148:149], -v[150:151]
	ds_load_b128 v[5:8], v41 offset:896
	s_waitcnt vmcnt(8) lgkmcnt(1)
	v_mul_f64 v[158:159], v[1:2], v[39:40]
	v_mul_f64 v[39:40], v[3:4], v[39:40]
	scratch_load_b128 v[148:151], off, off offset:480
	v_add_f64 v[152:153], v[152:153], v[164:165]
	v_add_f64 v[154:155], v[154:155], v[160:161]
	s_waitcnt vmcnt(8) lgkmcnt(0)
	v_mul_f64 v[160:161], v[5:6], v[146:147]
	v_mul_f64 v[146:147], v[7:8], v[146:147]
	v_fma_f64 v[158:159], v[3:4], v[37:38], v[158:159]
	v_fma_f64 v[164:165], v[1:2], v[37:38], -v[39:40]
	scratch_load_b128 v[37:40], off, off offset:496
	ds_load_b128 v[1:4], v41 offset:912
	;; [unrolled: 18-line block ×3, first 2 shown]
	v_add_f64 v[152:153], v[152:153], v[162:163]
	v_add_f64 v[154:155], v[154:155], v[160:161]
	v_fma_f64 v[158:159], v[7:8], v[13:14], v[158:159]
	v_fma_f64 v[13:14], v[5:6], v[13:14], -v[15:16]
	ds_load_b128 v[5:8], v41 offset:960
	s_waitcnt vmcnt(8) lgkmcnt(1)
	v_mul_f64 v[160:161], v[1:2], v[19:20]
	v_mul_f64 v[19:20], v[3:4], v[19:20]
	v_add_f64 v[15:16], v[152:153], v[164:165]
	v_add_f64 v[152:153], v[154:155], v[156:157]
	s_waitcnt vmcnt(7) lgkmcnt(0)
	v_mul_f64 v[154:155], v[5:6], v[23:24]
	v_mul_f64 v[23:24], v[7:8], v[23:24]
	v_fma_f64 v[156:157], v[3:4], v[17:18], v[160:161]
	v_fma_f64 v[17:18], v[1:2], v[17:18], -v[19:20]
	ds_load_b128 v[1:4], v41 offset:976
	v_add_f64 v[13:14], v[15:16], v[13:14]
	v_add_f64 v[15:16], v[152:153], v[158:159]
	v_fma_f64 v[152:153], v[7:8], v[21:22], v[154:155]
	v_fma_f64 v[21:22], v[5:6], v[21:22], -v[23:24]
	ds_load_b128 v[5:8], v41 offset:992
	s_waitcnt vmcnt(5) lgkmcnt(0)
	v_mul_f64 v[154:155], v[5:6], v[31:32]
	v_mul_f64 v[31:32], v[7:8], v[31:32]
	v_add_f64 v[17:18], v[13:14], v[17:18]
	v_add_f64 v[23:24], v[15:16], v[156:157]
	scratch_load_b128 v[13:16], off, off
	v_mul_f64 v[19:20], v[1:2], v[27:28]
	v_mul_f64 v[27:28], v[3:4], v[27:28]
	v_add_f64 v[17:18], v[17:18], v[21:22]
	v_add_f64 v[21:22], v[23:24], v[152:153]
	s_delay_alu instid0(VALU_DEP_4) | instskip(NEXT) | instid1(VALU_DEP_4)
	v_fma_f64 v[19:20], v[3:4], v[25:26], v[19:20]
	v_fma_f64 v[25:26], v[1:2], v[25:26], -v[27:28]
	ds_load_b128 v[1:4], v41 offset:1008
	s_waitcnt vmcnt(5) lgkmcnt(0)
	v_mul_f64 v[23:24], v[1:2], v[35:36]
	v_mul_f64 v[27:28], v[3:4], v[35:36]
	v_fma_f64 v[35:36], v[7:8], v[29:30], v[154:155]
	v_fma_f64 v[29:30], v[5:6], v[29:30], -v[31:32]
	ds_load_b128 v[5:8], v41 offset:1024
	v_add_f64 v[19:20], v[21:22], v[19:20]
	v_add_f64 v[17:18], v[17:18], v[25:26]
	v_fma_f64 v[23:24], v[3:4], v[33:34], v[23:24]
	v_fma_f64 v[27:28], v[1:2], v[33:34], -v[27:28]
	ds_load_b128 v[1:4], v41 offset:1040
	s_waitcnt vmcnt(4) lgkmcnt(1)
	v_mul_f64 v[21:22], v[5:6], v[150:151]
	v_mul_f64 v[25:26], v[7:8], v[150:151]
	v_add_f64 v[19:20], v[19:20], v[35:36]
	v_add_f64 v[17:18], v[17:18], v[29:30]
	s_waitcnt vmcnt(3) lgkmcnt(0)
	v_mul_f64 v[29:30], v[1:2], v[39:40]
	v_mul_f64 v[31:32], v[3:4], v[39:40]
	v_fma_f64 v[21:22], v[7:8], v[148:149], v[21:22]
	v_fma_f64 v[25:26], v[5:6], v[148:149], -v[25:26]
	ds_load_b128 v[5:8], v41 offset:1056
	v_add_f64 v[19:20], v[19:20], v[23:24]
	v_add_f64 v[17:18], v[17:18], v[27:28]
	v_fma_f64 v[29:30], v[3:4], v[37:38], v[29:30]
	v_fma_f64 v[31:32], v[1:2], v[37:38], -v[31:32]
	ds_load_b128 v[1:4], v41 offset:1072
	s_waitcnt vmcnt(2) lgkmcnt(1)
	v_mul_f64 v[23:24], v[5:6], v[146:147]
	v_mul_f64 v[27:28], v[7:8], v[146:147]
	v_add_f64 v[19:20], v[19:20], v[21:22]
	v_add_f64 v[17:18], v[17:18], v[25:26]
	s_waitcnt vmcnt(1) lgkmcnt(0)
	v_mul_f64 v[21:22], v[1:2], v[11:12]
	v_mul_f64 v[11:12], v[3:4], v[11:12]
	v_fma_f64 v[7:8], v[7:8], v[144:145], v[23:24]
	v_fma_f64 v[5:6], v[5:6], v[144:145], -v[27:28]
	v_add_f64 v[19:20], v[19:20], v[29:30]
	v_add_f64 v[17:18], v[17:18], v[31:32]
	v_fma_f64 v[3:4], v[3:4], v[9:10], v[21:22]
	v_fma_f64 v[1:2], v[1:2], v[9:10], -v[11:12]
	s_delay_alu instid0(VALU_DEP_4) | instskip(NEXT) | instid1(VALU_DEP_4)
	v_add_f64 v[7:8], v[19:20], v[7:8]
	v_add_f64 v[5:6], v[17:18], v[5:6]
	s_delay_alu instid0(VALU_DEP_2) | instskip(NEXT) | instid1(VALU_DEP_2)
	v_add_f64 v[3:4], v[7:8], v[3:4]
	v_add_f64 v[1:2], v[5:6], v[1:2]
	s_waitcnt vmcnt(0)
	s_delay_alu instid0(VALU_DEP_2) | instskip(NEXT) | instid1(VALU_DEP_2)
	v_add_f64 v[3:4], v[15:16], -v[3:4]
	v_add_f64 v[1:2], v[13:14], -v[1:2]
	scratch_store_b128 off, v[1:4], off
	s_cbranch_vccz .LBB33_285
; %bb.218:
	v_dual_mov_b32 v1, s16 :: v_dual_mov_b32 v2, s17
	s_load_b64 s[0:1], s[0:1], 0x4
	flat_load_b32 v1, v[1:2] offset:128
	v_bfe_u32 v2, v0, 10, 10
	v_bfe_u32 v0, v0, 20, 10
	s_waitcnt lgkmcnt(0)
	s_lshr_b32 s0, s0, 16
	s_delay_alu instid0(VALU_DEP_2) | instskip(SKIP_1) | instid1(SALU_CYCLE_1)
	v_mul_u32_u24_e32 v2, s1, v2
	s_mul_i32 s0, s0, s1
	v_mul_u32_u24_e32 v3, s0, v110
	s_mov_b32 s0, exec_lo
	s_delay_alu instid0(VALU_DEP_1) | instskip(NEXT) | instid1(VALU_DEP_1)
	v_add3_u32 v0, v3, v2, v0
	v_lshl_add_u32 v0, v0, 4, 0x448
	s_waitcnt vmcnt(0)
	v_cmpx_ne_u32_e32 33, v1
	s_cbranch_execz .LBB33_220
; %bb.219:
	v_lshl_add_u32 v9, v1, 4, 0
	s_clause 0x1
	scratch_load_b128 v[1:4], v112, off
	scratch_load_b128 v[5:8], v9, off offset:-16
	s_waitcnt vmcnt(1)
	ds_store_2addr_b64 v0, v[1:2], v[3:4] offset1:1
	s_waitcnt vmcnt(0)
	s_clause 0x1
	scratch_store_b128 v112, v[5:8], off
	scratch_store_b128 v9, v[1:4], off offset:-16
.LBB33_220:
	s_or_b32 exec_lo, exec_lo, s0
	v_dual_mov_b32 v1, s16 :: v_dual_mov_b32 v2, s17
	s_mov_b32 s0, exec_lo
	flat_load_b32 v1, v[1:2] offset:124
	s_waitcnt vmcnt(0) lgkmcnt(0)
	v_cmpx_ne_u32_e32 32, v1
	s_cbranch_execz .LBB33_222
; %bb.221:
	v_lshl_add_u32 v9, v1, 4, 0
	s_clause 0x1
	scratch_load_b128 v[1:4], v113, off
	scratch_load_b128 v[5:8], v9, off offset:-16
	s_waitcnt vmcnt(1)
	ds_store_2addr_b64 v0, v[1:2], v[3:4] offset1:1
	s_waitcnt vmcnt(0)
	s_clause 0x1
	scratch_store_b128 v113, v[5:8], off
	scratch_store_b128 v9, v[1:4], off offset:-16
.LBB33_222:
	s_or_b32 exec_lo, exec_lo, s0
	v_dual_mov_b32 v1, s16 :: v_dual_mov_b32 v2, s17
	s_mov_b32 s0, exec_lo
	flat_load_b32 v1, v[1:2] offset:120
	s_waitcnt vmcnt(0) lgkmcnt(0)
	;; [unrolled: 19-line block ×31, first 2 shown]
	v_cmpx_ne_u32_e32 2, v1
	s_cbranch_execz .LBB33_282
; %bb.281:
	v_lshl_add_u32 v9, v1, 4, 0
	s_clause 0x1
	scratch_load_b128 v[1:4], v122, off
	scratch_load_b128 v[5:8], v9, off offset:-16
	s_waitcnt vmcnt(1)
	ds_store_2addr_b64 v0, v[1:2], v[3:4] offset1:1
	s_waitcnt vmcnt(0)
	s_clause 0x1
	scratch_store_b128 v122, v[5:8], off
	scratch_store_b128 v9, v[1:4], off offset:-16
.LBB33_282:
	s_or_b32 exec_lo, exec_lo, s0
	v_dual_mov_b32 v1, s16 :: v_dual_mov_b32 v2, s17
	s_mov_b32 s0, exec_lo
	flat_load_b32 v1, v[1:2]
	s_waitcnt vmcnt(0) lgkmcnt(0)
	v_cmpx_ne_u32_e32 1, v1
	s_cbranch_execz .LBB33_284
; %bb.283:
	v_lshl_add_u32 v9, v1, 4, 0
	scratch_load_b128 v[1:4], off, off
	scratch_load_b128 v[5:8], v9, off offset:-16
	s_waitcnt vmcnt(1)
	ds_store_2addr_b64 v0, v[1:2], v[3:4] offset1:1
	s_waitcnt vmcnt(0)
	scratch_store_b128 off, v[5:8], off
	scratch_store_b128 v9, v[1:4], off offset:-16
.LBB33_284:
	s_or_b32 exec_lo, exec_lo, s0
.LBB33_285:
	scratch_load_b128 v[0:3], off, off
	s_clause 0x12
	scratch_load_b128 v[4:7], v122, off
	scratch_load_b128 v[8:11], v120, off
	;; [unrolled: 1-line block ×19, first 2 shown]
	s_waitcnt vmcnt(19)
	global_store_b128 v[42:43], v[0:3], off
	s_clause 0x1
	scratch_load_b128 v[0:3], v128, off
	scratch_load_b128 v[40:43], v127, off
	s_waitcnt vmcnt(20)
	global_store_b128 v[44:45], v[4:7], off
	s_clause 0x1
	scratch_load_b128 v[4:7], v125, off
	scratch_load_b128 v[125:128], v126, off
	;; [unrolled: 5-line block ×7, first 2 shown]
	s_waitcnt vmcnt(26)
	global_store_b128 v[56:57], v[28:31], off
	s_waitcnt vmcnt(25)
	global_store_b128 v[58:59], v[32:35], off
	s_waitcnt vmcnt(24)
	global_store_b128 v[60:61], v[36:39], off
	s_waitcnt vmcnt(23)
	global_store_b128 v[62:63], v[119:122], off
	s_waitcnt vmcnt(22)
	global_store_b128 v[64:65], v[137:140], off
	s_waitcnt vmcnt(21)
	global_store_b128 v[66:67], v[141:144], off
	s_waitcnt vmcnt(20)
	global_store_b128 v[68:69], v[145:148], off
	s_waitcnt vmcnt(19)
	global_store_b128 v[70:71], v[149:152], off
	s_waitcnt vmcnt(18)
	global_store_b128 v[72:73], v[133:136], off
	s_waitcnt vmcnt(17)
	global_store_b128 v[74:75], v[153:156], off
	s_waitcnt vmcnt(16)
	global_store_b128 v[76:77], v[157:160], off
	s_waitcnt vmcnt(15)
	global_store_b128 v[78:79], v[161:164], off
	s_waitcnt vmcnt(14)
	global_store_b128 v[80:81], v[129:132], off
	s_waitcnt vmcnt(13)
	global_store_b128 v[82:83], v[0:3], off
	s_waitcnt vmcnt(12)
	global_store_b128 v[86:87], v[40:43], off
	s_waitcnt vmcnt(11)
	global_store_b128 v[88:89], v[4:7], off
	s_waitcnt vmcnt(10)
	global_store_b128 v[90:91], v[125:128], off
	s_waitcnt vmcnt(9)
	global_store_b128 v[92:93], v[8:11], off
	s_waitcnt vmcnt(8)
	global_store_b128 v[94:95], v[44:47], off
	s_waitcnt vmcnt(7)
	global_store_b128 v[96:97], v[12:15], off
	s_waitcnt vmcnt(6)
	global_store_b128 v[98:99], v[165:168], off
	s_waitcnt vmcnt(5)
	global_store_b128 v[100:101], v[16:19], off
	s_waitcnt vmcnt(4)
	global_store_b128 v[102:103], v[48:51], off
	s_waitcnt vmcnt(3)
	global_store_b128 v[104:105], v[20:23], off
	s_waitcnt vmcnt(2)
	global_store_b128 v[106:107], v[113:116], off
	s_waitcnt vmcnt(1)
	global_store_b128 v[108:109], v[24:27], off
	s_waitcnt vmcnt(0)
	global_store_b128 v[84:85], v[52:55], off
	s_endpgm
	.section	.rodata,"a",@progbits
	.p2align	6, 0x0
	.amdhsa_kernel _ZN9rocsolver6v33100L18getri_kernel_smallILi34E19rocblas_complex_numIdEPS3_EEvT1_iilPiilS6_bb
		.amdhsa_group_segment_fixed_size 2120
		.amdhsa_private_segment_fixed_size 560
		.amdhsa_kernarg_size 60
		.amdhsa_user_sgpr_count 15
		.amdhsa_user_sgpr_dispatch_ptr 1
		.amdhsa_user_sgpr_queue_ptr 0
		.amdhsa_user_sgpr_kernarg_segment_ptr 1
		.amdhsa_user_sgpr_dispatch_id 0
		.amdhsa_user_sgpr_private_segment_size 0
		.amdhsa_wavefront_size32 1
		.amdhsa_uses_dynamic_stack 0
		.amdhsa_enable_private_segment 1
		.amdhsa_system_sgpr_workgroup_id_x 1
		.amdhsa_system_sgpr_workgroup_id_y 0
		.amdhsa_system_sgpr_workgroup_id_z 0
		.amdhsa_system_sgpr_workgroup_info 0
		.amdhsa_system_vgpr_workitem_id 2
		.amdhsa_next_free_vgpr 184
		.amdhsa_next_free_sgpr 41
		.amdhsa_reserve_vcc 1
		.amdhsa_float_round_mode_32 0
		.amdhsa_float_round_mode_16_64 0
		.amdhsa_float_denorm_mode_32 3
		.amdhsa_float_denorm_mode_16_64 3
		.amdhsa_dx10_clamp 1
		.amdhsa_ieee_mode 1
		.amdhsa_fp16_overflow 0
		.amdhsa_workgroup_processor_mode 1
		.amdhsa_memory_ordered 1
		.amdhsa_forward_progress 0
		.amdhsa_shared_vgpr_count 0
		.amdhsa_exception_fp_ieee_invalid_op 0
		.amdhsa_exception_fp_denorm_src 0
		.amdhsa_exception_fp_ieee_div_zero 0
		.amdhsa_exception_fp_ieee_overflow 0
		.amdhsa_exception_fp_ieee_underflow 0
		.amdhsa_exception_fp_ieee_inexact 0
		.amdhsa_exception_int_div_zero 0
	.end_amdhsa_kernel
	.section	.text._ZN9rocsolver6v33100L18getri_kernel_smallILi34E19rocblas_complex_numIdEPS3_EEvT1_iilPiilS6_bb,"axG",@progbits,_ZN9rocsolver6v33100L18getri_kernel_smallILi34E19rocblas_complex_numIdEPS3_EEvT1_iilPiilS6_bb,comdat
.Lfunc_end33:
	.size	_ZN9rocsolver6v33100L18getri_kernel_smallILi34E19rocblas_complex_numIdEPS3_EEvT1_iilPiilS6_bb, .Lfunc_end33-_ZN9rocsolver6v33100L18getri_kernel_smallILi34E19rocblas_complex_numIdEPS3_EEvT1_iilPiilS6_bb
                                        ; -- End function
	.section	.AMDGPU.csdata,"",@progbits
; Kernel info:
; codeLenInByte = 59512
; NumSgprs: 43
; NumVgprs: 184
; ScratchSize: 560
; MemoryBound: 0
; FloatMode: 240
; IeeeMode: 1
; LDSByteSize: 2120 bytes/workgroup (compile time only)
; SGPRBlocks: 5
; VGPRBlocks: 22
; NumSGPRsForWavesPerEU: 43
; NumVGPRsForWavesPerEU: 184
; Occupancy: 8
; WaveLimiterHint : 1
; COMPUTE_PGM_RSRC2:SCRATCH_EN: 1
; COMPUTE_PGM_RSRC2:USER_SGPR: 15
; COMPUTE_PGM_RSRC2:TRAP_HANDLER: 0
; COMPUTE_PGM_RSRC2:TGID_X_EN: 1
; COMPUTE_PGM_RSRC2:TGID_Y_EN: 0
; COMPUTE_PGM_RSRC2:TGID_Z_EN: 0
; COMPUTE_PGM_RSRC2:TIDIG_COMP_CNT: 2
	.section	.text._ZN9rocsolver6v33100L18getri_kernel_smallILi35E19rocblas_complex_numIdEPS3_EEvT1_iilPiilS6_bb,"axG",@progbits,_ZN9rocsolver6v33100L18getri_kernel_smallILi35E19rocblas_complex_numIdEPS3_EEvT1_iilPiilS6_bb,comdat
	.globl	_ZN9rocsolver6v33100L18getri_kernel_smallILi35E19rocblas_complex_numIdEPS3_EEvT1_iilPiilS6_bb ; -- Begin function _ZN9rocsolver6v33100L18getri_kernel_smallILi35E19rocblas_complex_numIdEPS3_EEvT1_iilPiilS6_bb
	.p2align	8
	.type	_ZN9rocsolver6v33100L18getri_kernel_smallILi35E19rocblas_complex_numIdEPS3_EEvT1_iilPiilS6_bb,@function
_ZN9rocsolver6v33100L18getri_kernel_smallILi35E19rocblas_complex_numIdEPS3_EEvT1_iilPiilS6_bb: ; @_ZN9rocsolver6v33100L18getri_kernel_smallILi35E19rocblas_complex_numIdEPS3_EEvT1_iilPiilS6_bb
; %bb.0:
	v_and_b32_e32 v116, 0x3ff, v0
	s_mov_b32 s4, exec_lo
	s_delay_alu instid0(VALU_DEP_1)
	v_cmpx_gt_u32_e32 35, v116
	s_cbranch_execz .LBB34_154
; %bb.1:
	s_mov_b32 s18, s15
	s_clause 0x2
	s_load_b32 s21, s[2:3], 0x38
	s_load_b128 s[12:15], s[2:3], 0x10
	s_load_b128 s[4:7], s[2:3], 0x28
                                        ; implicit-def: $sgpr16_sgpr17
	s_waitcnt lgkmcnt(0)
	s_bitcmp1_b32 s21, 8
	s_cselect_b32 s20, -1, 0
	s_bfe_u32 s8, s21, 0x10008
	s_ashr_i32 s19, s18, 31
	s_cmp_eq_u32 s8, 0
	s_cbranch_scc1 .LBB34_3
; %bb.2:
	s_load_b32 s8, s[2:3], 0x20
	s_mul_i32 s5, s18, s5
	s_mul_hi_u32 s9, s18, s4
	s_mul_i32 s10, s19, s4
	s_add_i32 s5, s9, s5
	s_mul_i32 s4, s18, s4
	s_add_i32 s5, s5, s10
	s_delay_alu instid0(SALU_CYCLE_1)
	s_lshl_b64 s[4:5], s[4:5], 2
	s_waitcnt lgkmcnt(0)
	s_ashr_i32 s9, s8, 31
	s_add_u32 s10, s14, s4
	s_addc_u32 s11, s15, s5
	s_lshl_b64 s[4:5], s[8:9], 2
	s_delay_alu instid0(SALU_CYCLE_1)
	s_add_u32 s16, s10, s4
	s_addc_u32 s17, s11, s5
.LBB34_3:
	s_load_b128 s[8:11], s[2:3], 0x0
	s_mul_i32 s2, s18, s13
	s_mul_hi_u32 s3, s18, s12
	s_mul_i32 s4, s19, s12
	s_add_i32 s3, s3, s2
	s_mul_i32 s2, s18, s12
	s_add_i32 s3, s3, s4
	v_lshlrev_b32_e32 v17, 4, v116
	s_lshl_b64 s[2:3], s[2:3], 4
	s_movk_i32 s12, 0xc0
	s_movk_i32 s13, 0xd0
	;; [unrolled: 1-line block ×11, first 2 shown]
	s_waitcnt lgkmcnt(0)
	v_add3_u32 v5, s11, s11, v116
	s_ashr_i32 s5, s10, 31
	s_mov_b32 s4, s10
	s_add_u32 s8, s8, s2
	s_addc_u32 s9, s9, s3
	v_add_nc_u32_e32 v7, s11, v5
	s_lshl_b64 s[2:3], s[4:5], 4
	v_ashrrev_i32_e32 v6, 31, v5
	s_add_u32 s2, s8, s2
	s_addc_u32 s3, s9, s3
	v_add_nc_u32_e32 v13, s11, v7
	v_add_co_u32 v46, s8, s2, v17
	v_ashrrev_i32_e32 v8, 31, v7
	s_mov_b32 s4, s11
	s_ashr_i32 s5, s11, 31
	v_add_co_ci_u32_e64 v47, null, s3, 0, s8
	v_lshlrev_b64 v[5:6], 4, v[5:6]
	s_lshl_b64 s[4:5], s[4:5], 4
	v_add_nc_u32_e32 v26, s11, v13
	v_add_co_u32 v48, vcc_lo, v46, s4
	v_ashrrev_i32_e32 v14, 31, v13
	v_lshlrev_b64 v[15:16], 4, v[7:8]
	v_add_co_ci_u32_e32 v49, vcc_lo, s5, v47, vcc_lo
	v_add_co_u32 v50, vcc_lo, s2, v5
	v_ashrrev_i32_e32 v27, 31, v26
	v_add_co_ci_u32_e32 v51, vcc_lo, s3, v6, vcc_lo
	v_lshlrev_b64 v[13:14], 4, v[13:14]
	v_add_co_u32 v52, vcc_lo, s2, v15
	v_add_co_ci_u32_e32 v53, vcc_lo, s3, v16, vcc_lo
	v_lshlrev_b64 v[15:16], 4, v[26:27]
	s_delay_alu instid0(VALU_DEP_4)
	v_add_co_u32 v54, vcc_lo, s2, v13
	v_add_co_ci_u32_e32 v55, vcc_lo, s3, v14, vcc_lo
	global_load_b128 v[1:4], v17, s[2:3]
	v_add_co_u32 v56, vcc_lo, s2, v15
	s_clause 0x1
	global_load_b128 v[9:12], v[48:49], off
	global_load_b128 v[5:8], v[50:51], off
	v_add_co_ci_u32_e32 v57, vcc_lo, s3, v16, vcc_lo
	s_clause 0x2
	global_load_b128 v[13:16], v[52:53], off
	global_load_b128 v[18:21], v[54:55], off
	;; [unrolled: 1-line block ×3, first 2 shown]
	v_add_nc_u32_e32 v26, s11, v26
	s_movk_i32 s4, 0x60
	s_movk_i32 s5, 0x70
	;; [unrolled: 1-line block ×4, first 2 shown]
	v_add_nc_u32_e32 v28, s11, v26
	v_ashrrev_i32_e32 v27, 31, v26
	s_movk_i32 s10, 0xa0
	s_movk_i32 s29, 0x170
	s_movk_i32 s30, 0x180
	v_add_nc_u32_e32 v30, s11, v28
	v_ashrrev_i32_e32 v29, 31, v28
	v_lshlrev_b64 v[26:27], 4, v[26:27]
	s_movk_i32 s31, 0x190
	s_movk_i32 s33, 0x1a0
	v_add_nc_u32_e32 v32, s11, v30
	v_ashrrev_i32_e32 v31, 31, v30
	v_lshlrev_b64 v[28:29], 4, v[28:29]
	v_add_co_u32 v58, vcc_lo, s2, v26
	s_delay_alu instid0(VALU_DEP_4) | instskip(SKIP_3) | instid1(VALU_DEP_4)
	v_add_nc_u32_e32 v34, s11, v32
	v_ashrrev_i32_e32 v33, 31, v32
	v_lshlrev_b64 v[30:31], 4, v[30:31]
	v_add_co_ci_u32_e32 v59, vcc_lo, s3, v27, vcc_lo
	v_add_nc_u32_e32 v38, s11, v34
	v_ashrrev_i32_e32 v35, 31, v34
	v_add_co_u32 v60, vcc_lo, s2, v28
	v_lshlrev_b64 v[32:33], 4, v[32:33]
	s_delay_alu instid0(VALU_DEP_4) | instskip(SKIP_3) | instid1(VALU_DEP_4)
	v_add_nc_u32_e32 v42, s11, v38
	v_ashrrev_i32_e32 v39, 31, v38
	v_add_co_ci_u32_e32 v61, vcc_lo, s3, v29, vcc_lo
	v_add_co_u32 v62, vcc_lo, s2, v30
	v_add_nc_u32_e32 v70, s11, v42
	v_lshlrev_b64 v[40:41], 4, v[34:35]
	v_ashrrev_i32_e32 v43, 31, v42
	v_add_co_ci_u32_e32 v63, vcc_lo, s3, v31, vcc_lo
	s_delay_alu instid0(VALU_DEP_4)
	v_add_nc_u32_e32 v74, s11, v70
	v_add_co_u32 v64, vcc_lo, s2, v32
	v_lshlrev_b64 v[38:39], 4, v[38:39]
	v_ashrrev_i32_e32 v71, 31, v70
	v_add_co_ci_u32_e32 v65, vcc_lo, s3, v33, vcc_lo
	v_add_co_u32 v66, vcc_lo, s2, v40
	v_lshlrev_b64 v[72:73], 4, v[42:43]
	v_add_nc_u32_e32 v78, s11, v74
	v_add_co_ci_u32_e32 v67, vcc_lo, s3, v41, vcc_lo
	v_add_co_u32 v68, vcc_lo, s2, v38
	v_lshlrev_b64 v[76:77], 4, v[70:71]
	v_add_co_ci_u32_e32 v69, vcc_lo, s3, v39, vcc_lo
	v_add_co_u32 v70, vcc_lo, s2, v72
	v_ashrrev_i32_e32 v79, 31, v78
	v_add_nc_u32_e32 v80, s11, v78
	v_add_co_ci_u32_e32 v71, vcc_lo, s3, v73, vcc_lo
	v_ashrrev_i32_e32 v75, 31, v74
	v_add_co_u32 v72, vcc_lo, s2, v76
	v_add_co_ci_u32_e32 v73, vcc_lo, s3, v77, vcc_lo
	v_lshlrev_b64 v[76:77], 4, v[78:79]
	v_add_nc_u32_e32 v78, s11, v80
	v_lshlrev_b64 v[74:75], 4, v[74:75]
	v_ashrrev_i32_e32 v81, 31, v80
	s_clause 0x2
	global_load_b128 v[26:29], v[58:59], off
	global_load_b128 v[30:33], v[60:61], off
	global_load_b128 v[34:37], v[62:63], off
	v_add_nc_u32_e32 v82, s11, v78
	v_ashrrev_i32_e32 v79, 31, v78
	v_add_co_u32 v74, vcc_lo, s2, v74
	v_lshlrev_b64 v[80:81], 4, v[80:81]
	s_delay_alu instid0(VALU_DEP_4)
	v_add_nc_u32_e32 v86, s11, v82
	v_add_co_ci_u32_e32 v75, vcc_lo, s3, v75, vcc_lo
	v_add_co_u32 v76, vcc_lo, s2, v76
	v_lshlrev_b64 v[84:85], 4, v[78:79]
	v_add_co_ci_u32_e32 v77, vcc_lo, s3, v77, vcc_lo
	v_add_co_u32 v78, vcc_lo, s2, v80
	v_ashrrev_i32_e32 v87, 31, v86
	v_add_nc_u32_e32 v88, s11, v86
	v_add_co_ci_u32_e32 v79, vcc_lo, s3, v81, vcc_lo
	v_ashrrev_i32_e32 v83, 31, v82
	v_add_co_u32 v80, vcc_lo, s2, v84
	v_add_co_ci_u32_e32 v81, vcc_lo, s3, v85, vcc_lo
	v_lshlrev_b64 v[84:85], 4, v[86:87]
	v_add_nc_u32_e32 v86, s11, v88
	v_lshlrev_b64 v[82:83], 4, v[82:83]
	v_ashrrev_i32_e32 v89, 31, v88
	s_clause 0x3
	global_load_b128 v[38:41], v[64:65], off
	global_load_b128 v[42:45], v[66:67], off
	global_load_b128 v[143:146], v[68:69], off
	global_load_b128 v[147:150], v[70:71], off
	v_add_nc_u32_e32 v90, s11, v86
	v_ashrrev_i32_e32 v87, 31, v86
	v_add_co_u32 v82, vcc_lo, s2, v82
	v_lshlrev_b64 v[88:89], 4, v[88:89]
	s_delay_alu instid0(VALU_DEP_4)
	v_add_nc_u32_e32 v94, s11, v90
	v_add_co_ci_u32_e32 v83, vcc_lo, s3, v83, vcc_lo
	v_add_co_u32 v84, vcc_lo, s2, v84
	v_lshlrev_b64 v[92:93], 4, v[86:87]
	v_add_co_ci_u32_e32 v85, vcc_lo, s3, v85, vcc_lo
	v_add_co_u32 v86, vcc_lo, s2, v88
	v_ashrrev_i32_e32 v95, 31, v94
	v_add_nc_u32_e32 v96, s11, v94
	v_add_co_ci_u32_e32 v87, vcc_lo, s3, v89, vcc_lo
	v_ashrrev_i32_e32 v91, 31, v90
	v_add_co_u32 v88, vcc_lo, s2, v92
	v_add_co_ci_u32_e32 v89, vcc_lo, s3, v93, vcc_lo
	v_lshlrev_b64 v[92:93], 4, v[94:95]
	v_add_nc_u32_e32 v94, s11, v96
	v_lshlrev_b64 v[90:91], 4, v[90:91]
	v_ashrrev_i32_e32 v97, 31, v96
	s_clause 0x3
	global_load_b128 v[151:154], v[72:73], off
	;; [unrolled: 26-line block ×4, first 2 shown]
	global_load_b128 v[187:190], v[90:91], off
	global_load_b128 v[191:194], v[92:93], off
	;; [unrolled: 1-line block ×3, first 2 shown]
	v_add_nc_u32_e32 v114, s11, v110
	v_ashrrev_i32_e32 v111, 31, v110
	v_add_co_u32 v106, vcc_lo, s2, v106
	v_lshlrev_b64 v[112:113], 4, v[112:113]
	s_delay_alu instid0(VALU_DEP_4)
	v_ashrrev_i32_e32 v115, 31, v114
	v_add_co_ci_u32_e32 v107, vcc_lo, s3, v107, vcc_lo
	v_add_co_u32 v108, vcc_lo, s2, v108
	v_lshlrev_b64 v[117:118], 4, v[110:111]
	v_add_co_ci_u32_e32 v109, vcc_lo, s3, v109, vcc_lo
	v_add_co_u32 v110, vcc_lo, s2, v112
	v_lshlrev_b64 v[114:115], 4, v[114:115]
	v_add_co_ci_u32_e32 v111, vcc_lo, s3, v113, vcc_lo
	v_add_co_u32 v112, vcc_lo, s2, v117
	v_add_co_ci_u32_e32 v113, vcc_lo, s3, v118, vcc_lo
	s_clause 0x1
	global_load_b128 v[199:202], v[96:97], off
	global_load_b128 v[203:206], v[98:99], off
	v_add_co_u32 v114, vcc_lo, s2, v114
	s_clause 0x1
	global_load_b128 v[207:210], v[100:101], off
	global_load_b128 v[211:214], v[102:103], off
	v_add_co_ci_u32_e32 v115, vcc_lo, s3, v115, vcc_lo
	s_movk_i32 s2, 0x50
	s_movk_i32 s11, 0xb0
	;; [unrolled: 1-line block ×10, first 2 shown]
	v_add_nc_u32_e64 v120, 0, 16
	v_add_nc_u32_e64 v119, 0, 32
	;; [unrolled: 1-line block ×26, first 2 shown]
	s_mov_b32 s3, -1
	s_bitcmp0_b32 s21, 0
	s_waitcnt vmcnt(28)
	scratch_store_b128 off, v[1:4], off
	s_waitcnt vmcnt(27)
	scratch_store_b128 off, v[9:12], off offset:16
	s_clause 0x1
	global_load_b128 v[1:4], v[104:105], off
	global_load_b128 v[9:12], v[106:107], off
	s_waitcnt vmcnt(28)
	scratch_store_b128 off, v[5:8], off offset:32
	s_waitcnt vmcnt(27)
	scratch_store_b128 off, v[13:16], off offset:48
	s_clause 0x1
	global_load_b128 v[5:8], v[108:109], off
	global_load_b128 v[13:16], v[110:111], off
	s_waitcnt vmcnt(28)
	scratch_store_b128 off, v[18:21], off offset:64
	;; [unrolled: 7-line block ×3, first 2 shown]
	s_waitcnt vmcnt(27)
	scratch_store_b128 off, v[30:33], off offset:112
	s_waitcnt vmcnt(26)
	scratch_store_b128 off, v[34:37], off offset:128
	;; [unrolled: 2-line block ×5, first 2 shown]
	v_add_nc_u32_e64 v146, s34, 0
	v_add_nc_u32_e64 v145, s35, 0
	;; [unrolled: 1-line block ×4, first 2 shown]
	s_waitcnt vmcnt(22)
	scratch_store_b128 off, v[147:150], off offset:192
	s_waitcnt vmcnt(21)
	scratch_store_b128 off, v[151:154], off offset:208
	;; [unrolled: 2-line block ×20, first 2 shown]
	v_add_nc_u32_e64 v150, s29, 0
	v_add_nc_u32_e64 v149, s30, 0
	;; [unrolled: 1-line block ×4, first 2 shown]
	s_waitcnt vmcnt(2)
	scratch_store_b128 off, v[13:16], off offset:512
	s_waitcnt vmcnt(1)
	scratch_store_b128 off, v[18:21], off offset:528
	;; [unrolled: 2-line block ×3, first 2 shown]
	s_cbranch_scc1 .LBB34_152
; %bb.4:
	v_cmp_eq_u32_e64 s2, 0, v116
	s_delay_alu instid0(VALU_DEP_1)
	s_and_saveexec_b32 s3, s2
	s_cbranch_execz .LBB34_6
; %bb.5:
	v_mov_b32_e32 v1, 0
	ds_store_b32 v1, v1 offset:1120
.LBB34_6:
	s_or_b32 exec_lo, exec_lo, s3
	s_waitcnt lgkmcnt(0)
	s_waitcnt_vscnt null, 0x0
	s_barrier
	buffer_gl0_inv
	scratch_load_b128 v[1:4], v17, off
	s_waitcnt vmcnt(0)
	v_cmp_eq_f64_e32 vcc_lo, 0, v[1:2]
	v_cmp_eq_f64_e64 s3, 0, v[3:4]
	s_delay_alu instid0(VALU_DEP_1) | instskip(NEXT) | instid1(SALU_CYCLE_1)
	s_and_b32 s3, vcc_lo, s3
	s_and_saveexec_b32 s4, s3
	s_cbranch_execz .LBB34_10
; %bb.7:
	v_mov_b32_e32 v1, 0
	s_mov_b32 s5, 0
	ds_load_b32 v2, v1 offset:1120
	s_waitcnt lgkmcnt(0)
	v_readfirstlane_b32 s3, v2
	v_add_nc_u32_e32 v2, 1, v116
	s_delay_alu instid0(VALU_DEP_2) | instskip(NEXT) | instid1(VALU_DEP_1)
	s_cmp_eq_u32 s3, 0
	v_cmp_gt_i32_e32 vcc_lo, s3, v2
	s_cselect_b32 s8, -1, 0
	s_delay_alu instid0(SALU_CYCLE_1) | instskip(NEXT) | instid1(SALU_CYCLE_1)
	s_or_b32 s8, s8, vcc_lo
	s_and_b32 exec_lo, exec_lo, s8
	s_cbranch_execz .LBB34_10
; %bb.8:
	v_mov_b32_e32 v3, s3
.LBB34_9:                               ; =>This Inner Loop Header: Depth=1
	ds_cmpstore_rtn_b32 v3, v1, v2, v3 offset:1120
	s_waitcnt lgkmcnt(0)
	v_cmp_ne_u32_e32 vcc_lo, 0, v3
	v_cmp_le_i32_e64 s3, v3, v2
	s_delay_alu instid0(VALU_DEP_1) | instskip(NEXT) | instid1(SALU_CYCLE_1)
	s_and_b32 s3, vcc_lo, s3
	s_and_b32 s3, exec_lo, s3
	s_delay_alu instid0(SALU_CYCLE_1) | instskip(NEXT) | instid1(SALU_CYCLE_1)
	s_or_b32 s5, s3, s5
	s_and_not1_b32 exec_lo, exec_lo, s5
	s_cbranch_execnz .LBB34_9
.LBB34_10:
	s_or_b32 exec_lo, exec_lo, s4
	v_mov_b32_e32 v1, 0
	s_barrier
	buffer_gl0_inv
	ds_load_b32 v2, v1 offset:1120
	s_and_saveexec_b32 s3, s2
	s_cbranch_execz .LBB34_12
; %bb.11:
	s_lshl_b64 s[4:5], s[18:19], 2
	s_delay_alu instid0(SALU_CYCLE_1)
	s_add_u32 s4, s6, s4
	s_addc_u32 s5, s7, s5
	s_waitcnt lgkmcnt(0)
	global_store_b32 v1, v2, s[4:5]
.LBB34_12:
	s_or_b32 exec_lo, exec_lo, s3
	s_waitcnt lgkmcnt(0)
	v_cmp_ne_u32_e32 vcc_lo, 0, v2
	s_mov_b32 s3, 0
	s_cbranch_vccnz .LBB34_152
; %bb.13:
	v_add_nc_u32_e32 v13, 0, v17
                                        ; implicit-def: $vgpr9_vgpr10
	scratch_load_b128 v[1:4], v13, off
	s_waitcnt vmcnt(0)
	v_cmp_gt_f64_e32 vcc_lo, 0, v[1:2]
	v_xor_b32_e32 v6, 0x80000000, v2
	v_xor_b32_e32 v7, 0x80000000, v4
	s_delay_alu instid0(VALU_DEP_2) | instskip(SKIP_1) | instid1(VALU_DEP_3)
	v_cndmask_b32_e32 v6, v2, v6, vcc_lo
	v_cmp_gt_f64_e32 vcc_lo, 0, v[3:4]
	v_dual_mov_b32 v5, v1 :: v_dual_cndmask_b32 v8, v4, v7
	v_mov_b32_e32 v7, v3
	s_delay_alu instid0(VALU_DEP_1) | instskip(SKIP_1) | instid1(SALU_CYCLE_1)
	v_cmp_ngt_f64_e32 vcc_lo, v[5:6], v[7:8]
                                        ; implicit-def: $vgpr5_vgpr6
	s_and_saveexec_b32 s3, vcc_lo
	s_xor_b32 s3, exec_lo, s3
	s_cbranch_execz .LBB34_15
; %bb.14:
	v_div_scale_f64 v[5:6], null, v[3:4], v[3:4], v[1:2]
	v_div_scale_f64 v[11:12], vcc_lo, v[1:2], v[3:4], v[1:2]
	s_delay_alu instid0(VALU_DEP_2) | instskip(SKIP_2) | instid1(VALU_DEP_1)
	v_rcp_f64_e32 v[7:8], v[5:6]
	s_waitcnt_depctr 0xfff
	v_fma_f64 v[9:10], -v[5:6], v[7:8], 1.0
	v_fma_f64 v[7:8], v[7:8], v[9:10], v[7:8]
	s_delay_alu instid0(VALU_DEP_1) | instskip(NEXT) | instid1(VALU_DEP_1)
	v_fma_f64 v[9:10], -v[5:6], v[7:8], 1.0
	v_fma_f64 v[7:8], v[7:8], v[9:10], v[7:8]
	s_delay_alu instid0(VALU_DEP_1) | instskip(NEXT) | instid1(VALU_DEP_1)
	v_mul_f64 v[9:10], v[11:12], v[7:8]
	v_fma_f64 v[5:6], -v[5:6], v[9:10], v[11:12]
	s_delay_alu instid0(VALU_DEP_1) | instskip(NEXT) | instid1(VALU_DEP_1)
	v_div_fmas_f64 v[5:6], v[5:6], v[7:8], v[9:10]
	v_div_fixup_f64 v[5:6], v[5:6], v[3:4], v[1:2]
	s_delay_alu instid0(VALU_DEP_1) | instskip(NEXT) | instid1(VALU_DEP_1)
	v_fma_f64 v[1:2], v[1:2], v[5:6], v[3:4]
	v_div_scale_f64 v[3:4], null, v[1:2], v[1:2], 1.0
	v_div_scale_f64 v[11:12], vcc_lo, 1.0, v[1:2], 1.0
	s_delay_alu instid0(VALU_DEP_2) | instskip(SKIP_2) | instid1(VALU_DEP_1)
	v_rcp_f64_e32 v[7:8], v[3:4]
	s_waitcnt_depctr 0xfff
	v_fma_f64 v[9:10], -v[3:4], v[7:8], 1.0
	v_fma_f64 v[7:8], v[7:8], v[9:10], v[7:8]
	s_delay_alu instid0(VALU_DEP_1) | instskip(NEXT) | instid1(VALU_DEP_1)
	v_fma_f64 v[9:10], -v[3:4], v[7:8], 1.0
	v_fma_f64 v[7:8], v[7:8], v[9:10], v[7:8]
	s_delay_alu instid0(VALU_DEP_1) | instskip(NEXT) | instid1(VALU_DEP_1)
	v_mul_f64 v[9:10], v[11:12], v[7:8]
	v_fma_f64 v[3:4], -v[3:4], v[9:10], v[11:12]
	s_delay_alu instid0(VALU_DEP_1) | instskip(NEXT) | instid1(VALU_DEP_1)
	v_div_fmas_f64 v[3:4], v[3:4], v[7:8], v[9:10]
	v_div_fixup_f64 v[7:8], v[3:4], v[1:2], 1.0
                                        ; implicit-def: $vgpr1_vgpr2
	s_delay_alu instid0(VALU_DEP_1) | instskip(SKIP_1) | instid1(VALU_DEP_2)
	v_mul_f64 v[5:6], v[5:6], v[7:8]
	v_xor_b32_e32 v8, 0x80000000, v8
	v_xor_b32_e32 v10, 0x80000000, v6
	s_delay_alu instid0(VALU_DEP_3)
	v_mov_b32_e32 v9, v5
.LBB34_15:
	s_and_not1_saveexec_b32 s3, s3
	s_cbranch_execz .LBB34_17
; %bb.16:
	v_div_scale_f64 v[5:6], null, v[1:2], v[1:2], v[3:4]
	v_div_scale_f64 v[11:12], vcc_lo, v[3:4], v[1:2], v[3:4]
	s_delay_alu instid0(VALU_DEP_2) | instskip(SKIP_2) | instid1(VALU_DEP_1)
	v_rcp_f64_e32 v[7:8], v[5:6]
	s_waitcnt_depctr 0xfff
	v_fma_f64 v[9:10], -v[5:6], v[7:8], 1.0
	v_fma_f64 v[7:8], v[7:8], v[9:10], v[7:8]
	s_delay_alu instid0(VALU_DEP_1) | instskip(NEXT) | instid1(VALU_DEP_1)
	v_fma_f64 v[9:10], -v[5:6], v[7:8], 1.0
	v_fma_f64 v[7:8], v[7:8], v[9:10], v[7:8]
	s_delay_alu instid0(VALU_DEP_1) | instskip(NEXT) | instid1(VALU_DEP_1)
	v_mul_f64 v[9:10], v[11:12], v[7:8]
	v_fma_f64 v[5:6], -v[5:6], v[9:10], v[11:12]
	s_delay_alu instid0(VALU_DEP_1) | instskip(NEXT) | instid1(VALU_DEP_1)
	v_div_fmas_f64 v[5:6], v[5:6], v[7:8], v[9:10]
	v_div_fixup_f64 v[7:8], v[5:6], v[1:2], v[3:4]
	s_delay_alu instid0(VALU_DEP_1) | instskip(NEXT) | instid1(VALU_DEP_1)
	v_fma_f64 v[1:2], v[3:4], v[7:8], v[1:2]
	v_div_scale_f64 v[3:4], null, v[1:2], v[1:2], 1.0
	s_delay_alu instid0(VALU_DEP_1) | instskip(SKIP_2) | instid1(VALU_DEP_1)
	v_rcp_f64_e32 v[5:6], v[3:4]
	s_waitcnt_depctr 0xfff
	v_fma_f64 v[9:10], -v[3:4], v[5:6], 1.0
	v_fma_f64 v[5:6], v[5:6], v[9:10], v[5:6]
	s_delay_alu instid0(VALU_DEP_1) | instskip(NEXT) | instid1(VALU_DEP_1)
	v_fma_f64 v[9:10], -v[3:4], v[5:6], 1.0
	v_fma_f64 v[5:6], v[5:6], v[9:10], v[5:6]
	v_div_scale_f64 v[9:10], vcc_lo, 1.0, v[1:2], 1.0
	s_delay_alu instid0(VALU_DEP_1) | instskip(NEXT) | instid1(VALU_DEP_1)
	v_mul_f64 v[11:12], v[9:10], v[5:6]
	v_fma_f64 v[3:4], -v[3:4], v[11:12], v[9:10]
	s_delay_alu instid0(VALU_DEP_1) | instskip(NEXT) | instid1(VALU_DEP_1)
	v_div_fmas_f64 v[3:4], v[3:4], v[5:6], v[11:12]
	v_div_fixup_f64 v[5:6], v[3:4], v[1:2], 1.0
	s_delay_alu instid0(VALU_DEP_1)
	v_mul_f64 v[7:8], v[7:8], -v[5:6]
	v_xor_b32_e32 v10, 0x80000000, v6
	v_mov_b32_e32 v9, v5
.LBB34_17:
	s_or_b32 exec_lo, exec_lo, s3
	scratch_store_b128 v13, v[5:8], off
	scratch_load_b128 v[1:4], v120, off
	v_xor_b32_e32 v12, 0x80000000, v8
	v_mov_b32_e32 v11, v7
	v_add_nc_u32_e32 v5, 0x230, v17
	ds_store_b128 v17, v[9:12]
	s_waitcnt vmcnt(0)
	ds_store_b128 v17, v[1:4] offset:560
	s_waitcnt lgkmcnt(0)
	s_waitcnt_vscnt null, 0x0
	s_barrier
	buffer_gl0_inv
	s_and_saveexec_b32 s3, s2
	s_cbranch_execz .LBB34_19
; %bb.18:
	scratch_load_b128 v[1:4], v13, off
	ds_load_b128 v[6:9], v5
	v_mov_b32_e32 v10, 0
	ds_load_b128 v[18:21], v10 offset:16
	s_waitcnt vmcnt(0) lgkmcnt(1)
	v_mul_f64 v[10:11], v[6:7], v[3:4]
	v_mul_f64 v[3:4], v[8:9], v[3:4]
	s_delay_alu instid0(VALU_DEP_2) | instskip(NEXT) | instid1(VALU_DEP_2)
	v_fma_f64 v[8:9], v[8:9], v[1:2], v[10:11]
	v_fma_f64 v[1:2], v[6:7], v[1:2], -v[3:4]
	s_delay_alu instid0(VALU_DEP_2) | instskip(NEXT) | instid1(VALU_DEP_2)
	v_add_f64 v[3:4], v[8:9], 0
	v_add_f64 v[1:2], v[1:2], 0
	s_waitcnt lgkmcnt(0)
	s_delay_alu instid0(VALU_DEP_2) | instskip(NEXT) | instid1(VALU_DEP_2)
	v_mul_f64 v[6:7], v[3:4], v[20:21]
	v_mul_f64 v[8:9], v[1:2], v[20:21]
	s_delay_alu instid0(VALU_DEP_2) | instskip(NEXT) | instid1(VALU_DEP_2)
	v_fma_f64 v[1:2], v[1:2], v[18:19], -v[6:7]
	v_fma_f64 v[3:4], v[3:4], v[18:19], v[8:9]
	scratch_store_b128 off, v[1:4], off offset:16
.LBB34_19:
	s_or_b32 exec_lo, exec_lo, s3
	s_waitcnt_vscnt null, 0x0
	s_barrier
	buffer_gl0_inv
	scratch_load_b128 v[1:4], v119, off
	s_mov_b32 s3, exec_lo
	s_waitcnt vmcnt(0)
	ds_store_b128 v5, v[1:4]
	s_waitcnt lgkmcnt(0)
	s_barrier
	buffer_gl0_inv
	v_cmpx_gt_u32_e32 2, v116
	s_cbranch_execz .LBB34_23
; %bb.20:
	scratch_load_b128 v[1:4], v13, off
	ds_load_b128 v[6:9], v5
	s_waitcnt vmcnt(0) lgkmcnt(0)
	v_mul_f64 v[10:11], v[8:9], v[3:4]
	v_mul_f64 v[3:4], v[6:7], v[3:4]
	s_delay_alu instid0(VALU_DEP_2) | instskip(NEXT) | instid1(VALU_DEP_2)
	v_fma_f64 v[6:7], v[6:7], v[1:2], -v[10:11]
	v_fma_f64 v[3:4], v[8:9], v[1:2], v[3:4]
	s_delay_alu instid0(VALU_DEP_2) | instskip(NEXT) | instid1(VALU_DEP_2)
	v_add_f64 v[1:2], v[6:7], 0
	v_add_f64 v[3:4], v[3:4], 0
	s_and_saveexec_b32 s4, s2
	s_cbranch_execz .LBB34_22
; %bb.21:
	scratch_load_b128 v[6:9], off, off offset:16
	v_mov_b32_e32 v10, 0
	ds_load_b128 v[18:21], v10 offset:576
	s_waitcnt vmcnt(0) lgkmcnt(0)
	v_mul_f64 v[10:11], v[18:19], v[8:9]
	v_mul_f64 v[8:9], v[20:21], v[8:9]
	s_delay_alu instid0(VALU_DEP_2) | instskip(NEXT) | instid1(VALU_DEP_2)
	v_fma_f64 v[10:11], v[20:21], v[6:7], v[10:11]
	v_fma_f64 v[6:7], v[18:19], v[6:7], -v[8:9]
	s_delay_alu instid0(VALU_DEP_2) | instskip(NEXT) | instid1(VALU_DEP_2)
	v_add_f64 v[3:4], v[3:4], v[10:11]
	v_add_f64 v[1:2], v[1:2], v[6:7]
.LBB34_22:
	s_or_b32 exec_lo, exec_lo, s4
	v_mov_b32_e32 v6, 0
	ds_load_b128 v[6:9], v6 offset:32
	s_waitcnt lgkmcnt(0)
	v_mul_f64 v[10:11], v[3:4], v[8:9]
	v_mul_f64 v[8:9], v[1:2], v[8:9]
	s_delay_alu instid0(VALU_DEP_2) | instskip(NEXT) | instid1(VALU_DEP_2)
	v_fma_f64 v[1:2], v[1:2], v[6:7], -v[10:11]
	v_fma_f64 v[3:4], v[3:4], v[6:7], v[8:9]
	scratch_store_b128 off, v[1:4], off offset:32
.LBB34_23:
	s_or_b32 exec_lo, exec_lo, s3
	s_waitcnt_vscnt null, 0x0
	s_barrier
	buffer_gl0_inv
	scratch_load_b128 v[1:4], v118, off
	v_add_nc_u32_e32 v6, -1, v116
	s_mov_b32 s2, exec_lo
	s_waitcnt vmcnt(0)
	ds_store_b128 v5, v[1:4]
	s_waitcnt lgkmcnt(0)
	s_barrier
	buffer_gl0_inv
	v_cmpx_gt_u32_e32 3, v116
	s_cbranch_execz .LBB34_27
; %bb.24:
	v_dual_mov_b32 v1, 0 :: v_dual_add_nc_u32 v8, 0x230, v17
	v_dual_mov_b32 v2, 0 :: v_dual_add_nc_u32 v7, -1, v116
	v_or_b32_e32 v9, 8, v13
	s_mov_b32 s3, 0
	s_delay_alu instid0(VALU_DEP_2)
	v_dual_mov_b32 v4, v2 :: v_dual_mov_b32 v3, v1
	.p2align	6
.LBB34_25:                              ; =>This Inner Loop Header: Depth=1
	scratch_load_b128 v[18:21], v9, off offset:-8
	ds_load_b128 v[22:25], v8
	v_add_nc_u32_e32 v7, 1, v7
	v_add_nc_u32_e32 v8, 16, v8
	;; [unrolled: 1-line block ×3, first 2 shown]
	s_delay_alu instid0(VALU_DEP_3) | instskip(SKIP_4) | instid1(VALU_DEP_2)
	v_cmp_lt_u32_e32 vcc_lo, 1, v7
	s_or_b32 s3, vcc_lo, s3
	s_waitcnt vmcnt(0) lgkmcnt(0)
	v_mul_f64 v[10:11], v[24:25], v[20:21]
	v_mul_f64 v[14:15], v[22:23], v[20:21]
	v_fma_f64 v[10:11], v[22:23], v[18:19], -v[10:11]
	s_delay_alu instid0(VALU_DEP_2) | instskip(NEXT) | instid1(VALU_DEP_2)
	v_fma_f64 v[14:15], v[24:25], v[18:19], v[14:15]
	v_add_f64 v[3:4], v[3:4], v[10:11]
	s_delay_alu instid0(VALU_DEP_2)
	v_add_f64 v[1:2], v[1:2], v[14:15]
	s_and_not1_b32 exec_lo, exec_lo, s3
	s_cbranch_execnz .LBB34_25
; %bb.26:
	s_or_b32 exec_lo, exec_lo, s3
	v_mov_b32_e32 v7, 0
	ds_load_b128 v[7:10], v7 offset:48
	s_waitcnt lgkmcnt(0)
	v_mul_f64 v[11:12], v[1:2], v[9:10]
	v_mul_f64 v[14:15], v[3:4], v[9:10]
	s_delay_alu instid0(VALU_DEP_2) | instskip(NEXT) | instid1(VALU_DEP_2)
	v_fma_f64 v[9:10], v[3:4], v[7:8], -v[11:12]
	v_fma_f64 v[11:12], v[1:2], v[7:8], v[14:15]
	scratch_store_b128 off, v[9:12], off offset:48
.LBB34_27:
	s_or_b32 exec_lo, exec_lo, s2
	s_waitcnt_vscnt null, 0x0
	s_barrier
	buffer_gl0_inv
	scratch_load_b128 v[1:4], v117, off
	s_mov_b32 s2, exec_lo
	s_waitcnt vmcnt(0)
	ds_store_b128 v5, v[1:4]
	s_waitcnt lgkmcnt(0)
	s_barrier
	buffer_gl0_inv
	v_cmpx_gt_u32_e32 4, v116
	s_cbranch_execz .LBB34_31
; %bb.28:
	v_dual_mov_b32 v1, 0 :: v_dual_add_nc_u32 v8, 0x230, v17
	v_dual_mov_b32 v2, 0 :: v_dual_add_nc_u32 v7, -1, v116
	v_or_b32_e32 v9, 8, v13
	s_mov_b32 s3, 0
	s_delay_alu instid0(VALU_DEP_2)
	v_dual_mov_b32 v4, v2 :: v_dual_mov_b32 v3, v1
	.p2align	6
.LBB34_29:                              ; =>This Inner Loop Header: Depth=1
	scratch_load_b128 v[18:21], v9, off offset:-8
	ds_load_b128 v[22:25], v8
	v_add_nc_u32_e32 v7, 1, v7
	v_add_nc_u32_e32 v8, 16, v8
	v_add_nc_u32_e32 v9, 16, v9
	s_delay_alu instid0(VALU_DEP_3) | instskip(SKIP_4) | instid1(VALU_DEP_2)
	v_cmp_lt_u32_e32 vcc_lo, 2, v7
	s_or_b32 s3, vcc_lo, s3
	s_waitcnt vmcnt(0) lgkmcnt(0)
	v_mul_f64 v[10:11], v[24:25], v[20:21]
	v_mul_f64 v[14:15], v[22:23], v[20:21]
	v_fma_f64 v[10:11], v[22:23], v[18:19], -v[10:11]
	s_delay_alu instid0(VALU_DEP_2) | instskip(NEXT) | instid1(VALU_DEP_2)
	v_fma_f64 v[14:15], v[24:25], v[18:19], v[14:15]
	v_add_f64 v[3:4], v[3:4], v[10:11]
	s_delay_alu instid0(VALU_DEP_2)
	v_add_f64 v[1:2], v[1:2], v[14:15]
	s_and_not1_b32 exec_lo, exec_lo, s3
	s_cbranch_execnz .LBB34_29
; %bb.30:
	s_or_b32 exec_lo, exec_lo, s3
	v_mov_b32_e32 v7, 0
	ds_load_b128 v[7:10], v7 offset:64
	s_waitcnt lgkmcnt(0)
	v_mul_f64 v[11:12], v[1:2], v[9:10]
	v_mul_f64 v[14:15], v[3:4], v[9:10]
	s_delay_alu instid0(VALU_DEP_2) | instskip(NEXT) | instid1(VALU_DEP_2)
	v_fma_f64 v[9:10], v[3:4], v[7:8], -v[11:12]
	v_fma_f64 v[11:12], v[1:2], v[7:8], v[14:15]
	scratch_store_b128 off, v[9:12], off offset:64
.LBB34_31:
	s_or_b32 exec_lo, exec_lo, s2
	s_waitcnt_vscnt null, 0x0
	s_barrier
	buffer_gl0_inv
	scratch_load_b128 v[1:4], v142, off
	s_mov_b32 s2, exec_lo
	s_waitcnt vmcnt(0)
	ds_store_b128 v5, v[1:4]
	s_waitcnt lgkmcnt(0)
	s_barrier
	buffer_gl0_inv
	v_cmpx_gt_u32_e32 5, v116
	s_cbranch_execz .LBB34_35
; %bb.32:
	v_dual_mov_b32 v1, 0 :: v_dual_add_nc_u32 v8, 0x230, v17
	v_dual_mov_b32 v2, 0 :: v_dual_add_nc_u32 v7, -1, v116
	v_or_b32_e32 v9, 8, v13
	s_mov_b32 s3, 0
	s_delay_alu instid0(VALU_DEP_2)
	v_dual_mov_b32 v4, v2 :: v_dual_mov_b32 v3, v1
	.p2align	6
.LBB34_33:                              ; =>This Inner Loop Header: Depth=1
	scratch_load_b128 v[18:21], v9, off offset:-8
	ds_load_b128 v[22:25], v8
	v_add_nc_u32_e32 v7, 1, v7
	v_add_nc_u32_e32 v8, 16, v8
	;; [unrolled: 1-line block ×3, first 2 shown]
	s_delay_alu instid0(VALU_DEP_3) | instskip(SKIP_4) | instid1(VALU_DEP_2)
	v_cmp_lt_u32_e32 vcc_lo, 3, v7
	s_or_b32 s3, vcc_lo, s3
	s_waitcnt vmcnt(0) lgkmcnt(0)
	v_mul_f64 v[10:11], v[24:25], v[20:21]
	v_mul_f64 v[14:15], v[22:23], v[20:21]
	v_fma_f64 v[10:11], v[22:23], v[18:19], -v[10:11]
	s_delay_alu instid0(VALU_DEP_2) | instskip(NEXT) | instid1(VALU_DEP_2)
	v_fma_f64 v[14:15], v[24:25], v[18:19], v[14:15]
	v_add_f64 v[3:4], v[3:4], v[10:11]
	s_delay_alu instid0(VALU_DEP_2)
	v_add_f64 v[1:2], v[1:2], v[14:15]
	s_and_not1_b32 exec_lo, exec_lo, s3
	s_cbranch_execnz .LBB34_33
; %bb.34:
	s_or_b32 exec_lo, exec_lo, s3
	v_mov_b32_e32 v7, 0
	ds_load_b128 v[7:10], v7 offset:80
	s_waitcnt lgkmcnt(0)
	v_mul_f64 v[11:12], v[1:2], v[9:10]
	v_mul_f64 v[14:15], v[3:4], v[9:10]
	s_delay_alu instid0(VALU_DEP_2) | instskip(NEXT) | instid1(VALU_DEP_2)
	v_fma_f64 v[9:10], v[3:4], v[7:8], -v[11:12]
	v_fma_f64 v[11:12], v[1:2], v[7:8], v[14:15]
	scratch_store_b128 off, v[9:12], off offset:80
.LBB34_35:
	s_or_b32 exec_lo, exec_lo, s2
	s_waitcnt_vscnt null, 0x0
	s_barrier
	buffer_gl0_inv
	scratch_load_b128 v[1:4], v141, off
	s_mov_b32 s2, exec_lo
	s_waitcnt vmcnt(0)
	ds_store_b128 v5, v[1:4]
	s_waitcnt lgkmcnt(0)
	s_barrier
	buffer_gl0_inv
	v_cmpx_gt_u32_e32 6, v116
	s_cbranch_execz .LBB34_39
; %bb.36:
	v_dual_mov_b32 v1, 0 :: v_dual_add_nc_u32 v8, 0x230, v17
	v_dual_mov_b32 v2, 0 :: v_dual_add_nc_u32 v7, -1, v116
	v_or_b32_e32 v9, 8, v13
	s_mov_b32 s3, 0
	s_delay_alu instid0(VALU_DEP_2)
	v_dual_mov_b32 v4, v2 :: v_dual_mov_b32 v3, v1
	.p2align	6
.LBB34_37:                              ; =>This Inner Loop Header: Depth=1
	scratch_load_b128 v[18:21], v9, off offset:-8
	ds_load_b128 v[22:25], v8
	v_add_nc_u32_e32 v7, 1, v7
	v_add_nc_u32_e32 v8, 16, v8
	;; [unrolled: 1-line block ×3, first 2 shown]
	s_delay_alu instid0(VALU_DEP_3) | instskip(SKIP_4) | instid1(VALU_DEP_2)
	v_cmp_lt_u32_e32 vcc_lo, 4, v7
	s_or_b32 s3, vcc_lo, s3
	s_waitcnt vmcnt(0) lgkmcnt(0)
	v_mul_f64 v[10:11], v[24:25], v[20:21]
	v_mul_f64 v[14:15], v[22:23], v[20:21]
	v_fma_f64 v[10:11], v[22:23], v[18:19], -v[10:11]
	s_delay_alu instid0(VALU_DEP_2) | instskip(NEXT) | instid1(VALU_DEP_2)
	v_fma_f64 v[14:15], v[24:25], v[18:19], v[14:15]
	v_add_f64 v[3:4], v[3:4], v[10:11]
	s_delay_alu instid0(VALU_DEP_2)
	v_add_f64 v[1:2], v[1:2], v[14:15]
	s_and_not1_b32 exec_lo, exec_lo, s3
	s_cbranch_execnz .LBB34_37
; %bb.38:
	s_or_b32 exec_lo, exec_lo, s3
	v_mov_b32_e32 v7, 0
	ds_load_b128 v[7:10], v7 offset:96
	s_waitcnt lgkmcnt(0)
	v_mul_f64 v[11:12], v[1:2], v[9:10]
	v_mul_f64 v[14:15], v[3:4], v[9:10]
	s_delay_alu instid0(VALU_DEP_2) | instskip(NEXT) | instid1(VALU_DEP_2)
	v_fma_f64 v[9:10], v[3:4], v[7:8], -v[11:12]
	v_fma_f64 v[11:12], v[1:2], v[7:8], v[14:15]
	scratch_store_b128 off, v[9:12], off offset:96
.LBB34_39:
	s_or_b32 exec_lo, exec_lo, s2
	s_waitcnt_vscnt null, 0x0
	s_barrier
	buffer_gl0_inv
	scratch_load_b128 v[1:4], v139, off
	s_mov_b32 s2, exec_lo
	s_waitcnt vmcnt(0)
	ds_store_b128 v5, v[1:4]
	s_waitcnt lgkmcnt(0)
	s_barrier
	buffer_gl0_inv
	v_cmpx_gt_u32_e32 7, v116
	s_cbranch_execz .LBB34_43
; %bb.40:
	v_dual_mov_b32 v1, 0 :: v_dual_add_nc_u32 v8, 0x230, v17
	v_dual_mov_b32 v2, 0 :: v_dual_add_nc_u32 v7, -1, v116
	v_or_b32_e32 v9, 8, v13
	s_mov_b32 s3, 0
	s_delay_alu instid0(VALU_DEP_2)
	v_dual_mov_b32 v4, v2 :: v_dual_mov_b32 v3, v1
	.p2align	6
.LBB34_41:                              ; =>This Inner Loop Header: Depth=1
	scratch_load_b128 v[18:21], v9, off offset:-8
	ds_load_b128 v[22:25], v8
	v_add_nc_u32_e32 v7, 1, v7
	v_add_nc_u32_e32 v8, 16, v8
	;; [unrolled: 1-line block ×3, first 2 shown]
	s_delay_alu instid0(VALU_DEP_3) | instskip(SKIP_4) | instid1(VALU_DEP_2)
	v_cmp_lt_u32_e32 vcc_lo, 5, v7
	s_or_b32 s3, vcc_lo, s3
	s_waitcnt vmcnt(0) lgkmcnt(0)
	v_mul_f64 v[10:11], v[24:25], v[20:21]
	v_mul_f64 v[14:15], v[22:23], v[20:21]
	v_fma_f64 v[10:11], v[22:23], v[18:19], -v[10:11]
	s_delay_alu instid0(VALU_DEP_2) | instskip(NEXT) | instid1(VALU_DEP_2)
	v_fma_f64 v[14:15], v[24:25], v[18:19], v[14:15]
	v_add_f64 v[3:4], v[3:4], v[10:11]
	s_delay_alu instid0(VALU_DEP_2)
	v_add_f64 v[1:2], v[1:2], v[14:15]
	s_and_not1_b32 exec_lo, exec_lo, s3
	s_cbranch_execnz .LBB34_41
; %bb.42:
	s_or_b32 exec_lo, exec_lo, s3
	v_mov_b32_e32 v7, 0
	ds_load_b128 v[7:10], v7 offset:112
	s_waitcnt lgkmcnt(0)
	v_mul_f64 v[11:12], v[1:2], v[9:10]
	v_mul_f64 v[14:15], v[3:4], v[9:10]
	s_delay_alu instid0(VALU_DEP_2) | instskip(NEXT) | instid1(VALU_DEP_2)
	v_fma_f64 v[9:10], v[3:4], v[7:8], -v[11:12]
	v_fma_f64 v[11:12], v[1:2], v[7:8], v[14:15]
	scratch_store_b128 off, v[9:12], off offset:112
.LBB34_43:
	s_or_b32 exec_lo, exec_lo, s2
	s_waitcnt_vscnt null, 0x0
	s_barrier
	buffer_gl0_inv
	scratch_load_b128 v[1:4], v136, off
	s_mov_b32 s2, exec_lo
	s_waitcnt vmcnt(0)
	ds_store_b128 v5, v[1:4]
	s_waitcnt lgkmcnt(0)
	s_barrier
	buffer_gl0_inv
	v_cmpx_gt_u32_e32 8, v116
	s_cbranch_execz .LBB34_47
; %bb.44:
	v_dual_mov_b32 v1, 0 :: v_dual_add_nc_u32 v8, 0x230, v17
	v_dual_mov_b32 v2, 0 :: v_dual_add_nc_u32 v7, -1, v116
	v_or_b32_e32 v9, 8, v13
	s_mov_b32 s3, 0
	s_delay_alu instid0(VALU_DEP_2)
	v_dual_mov_b32 v4, v2 :: v_dual_mov_b32 v3, v1
	.p2align	6
.LBB34_45:                              ; =>This Inner Loop Header: Depth=1
	scratch_load_b128 v[18:21], v9, off offset:-8
	ds_load_b128 v[22:25], v8
	v_add_nc_u32_e32 v7, 1, v7
	v_add_nc_u32_e32 v8, 16, v8
	;; [unrolled: 1-line block ×3, first 2 shown]
	s_delay_alu instid0(VALU_DEP_3) | instskip(SKIP_4) | instid1(VALU_DEP_2)
	v_cmp_lt_u32_e32 vcc_lo, 6, v7
	s_or_b32 s3, vcc_lo, s3
	s_waitcnt vmcnt(0) lgkmcnt(0)
	v_mul_f64 v[10:11], v[24:25], v[20:21]
	v_mul_f64 v[14:15], v[22:23], v[20:21]
	v_fma_f64 v[10:11], v[22:23], v[18:19], -v[10:11]
	s_delay_alu instid0(VALU_DEP_2) | instskip(NEXT) | instid1(VALU_DEP_2)
	v_fma_f64 v[14:15], v[24:25], v[18:19], v[14:15]
	v_add_f64 v[3:4], v[3:4], v[10:11]
	s_delay_alu instid0(VALU_DEP_2)
	v_add_f64 v[1:2], v[1:2], v[14:15]
	s_and_not1_b32 exec_lo, exec_lo, s3
	s_cbranch_execnz .LBB34_45
; %bb.46:
	s_or_b32 exec_lo, exec_lo, s3
	v_mov_b32_e32 v7, 0
	ds_load_b128 v[7:10], v7 offset:128
	s_waitcnt lgkmcnt(0)
	v_mul_f64 v[11:12], v[1:2], v[9:10]
	v_mul_f64 v[14:15], v[3:4], v[9:10]
	s_delay_alu instid0(VALU_DEP_2) | instskip(NEXT) | instid1(VALU_DEP_2)
	v_fma_f64 v[9:10], v[3:4], v[7:8], -v[11:12]
	v_fma_f64 v[11:12], v[1:2], v[7:8], v[14:15]
	scratch_store_b128 off, v[9:12], off offset:128
.LBB34_47:
	s_or_b32 exec_lo, exec_lo, s2
	s_waitcnt_vscnt null, 0x0
	s_barrier
	buffer_gl0_inv
	scratch_load_b128 v[1:4], v138, off
	s_mov_b32 s2, exec_lo
	s_waitcnt vmcnt(0)
	ds_store_b128 v5, v[1:4]
	s_waitcnt lgkmcnt(0)
	s_barrier
	buffer_gl0_inv
	v_cmpx_gt_u32_e32 9, v116
	s_cbranch_execz .LBB34_51
; %bb.48:
	v_dual_mov_b32 v1, 0 :: v_dual_add_nc_u32 v8, 0x230, v17
	v_dual_mov_b32 v2, 0 :: v_dual_add_nc_u32 v7, -1, v116
	v_or_b32_e32 v9, 8, v13
	s_mov_b32 s3, 0
	s_delay_alu instid0(VALU_DEP_2)
	v_dual_mov_b32 v4, v2 :: v_dual_mov_b32 v3, v1
	.p2align	6
.LBB34_49:                              ; =>This Inner Loop Header: Depth=1
	scratch_load_b128 v[18:21], v9, off offset:-8
	ds_load_b128 v[22:25], v8
	v_add_nc_u32_e32 v7, 1, v7
	v_add_nc_u32_e32 v8, 16, v8
	;; [unrolled: 1-line block ×3, first 2 shown]
	s_delay_alu instid0(VALU_DEP_3) | instskip(SKIP_4) | instid1(VALU_DEP_2)
	v_cmp_lt_u32_e32 vcc_lo, 7, v7
	s_or_b32 s3, vcc_lo, s3
	s_waitcnt vmcnt(0) lgkmcnt(0)
	v_mul_f64 v[10:11], v[24:25], v[20:21]
	v_mul_f64 v[14:15], v[22:23], v[20:21]
	v_fma_f64 v[10:11], v[22:23], v[18:19], -v[10:11]
	s_delay_alu instid0(VALU_DEP_2) | instskip(NEXT) | instid1(VALU_DEP_2)
	v_fma_f64 v[14:15], v[24:25], v[18:19], v[14:15]
	v_add_f64 v[3:4], v[3:4], v[10:11]
	s_delay_alu instid0(VALU_DEP_2)
	v_add_f64 v[1:2], v[1:2], v[14:15]
	s_and_not1_b32 exec_lo, exec_lo, s3
	s_cbranch_execnz .LBB34_49
; %bb.50:
	s_or_b32 exec_lo, exec_lo, s3
	v_mov_b32_e32 v7, 0
	ds_load_b128 v[7:10], v7 offset:144
	s_waitcnt lgkmcnt(0)
	v_mul_f64 v[11:12], v[1:2], v[9:10]
	v_mul_f64 v[14:15], v[3:4], v[9:10]
	s_delay_alu instid0(VALU_DEP_2) | instskip(NEXT) | instid1(VALU_DEP_2)
	v_fma_f64 v[9:10], v[3:4], v[7:8], -v[11:12]
	v_fma_f64 v[11:12], v[1:2], v[7:8], v[14:15]
	scratch_store_b128 off, v[9:12], off offset:144
.LBB34_51:
	s_or_b32 exec_lo, exec_lo, s2
	s_waitcnt_vscnt null, 0x0
	s_barrier
	buffer_gl0_inv
	scratch_load_b128 v[1:4], v135, off
	s_mov_b32 s2, exec_lo
	s_waitcnt vmcnt(0)
	ds_store_b128 v5, v[1:4]
	s_waitcnt lgkmcnt(0)
	s_barrier
	buffer_gl0_inv
	v_cmpx_gt_u32_e32 10, v116
	s_cbranch_execz .LBB34_55
; %bb.52:
	v_dual_mov_b32 v1, 0 :: v_dual_add_nc_u32 v8, 0x230, v17
	v_dual_mov_b32 v2, 0 :: v_dual_add_nc_u32 v7, -1, v116
	v_or_b32_e32 v9, 8, v13
	s_mov_b32 s3, 0
	s_delay_alu instid0(VALU_DEP_2)
	v_dual_mov_b32 v4, v2 :: v_dual_mov_b32 v3, v1
	.p2align	6
.LBB34_53:                              ; =>This Inner Loop Header: Depth=1
	scratch_load_b128 v[18:21], v9, off offset:-8
	ds_load_b128 v[22:25], v8
	v_add_nc_u32_e32 v7, 1, v7
	v_add_nc_u32_e32 v8, 16, v8
	;; [unrolled: 1-line block ×3, first 2 shown]
	s_delay_alu instid0(VALU_DEP_3) | instskip(SKIP_4) | instid1(VALU_DEP_2)
	v_cmp_lt_u32_e32 vcc_lo, 8, v7
	s_or_b32 s3, vcc_lo, s3
	s_waitcnt vmcnt(0) lgkmcnt(0)
	v_mul_f64 v[10:11], v[24:25], v[20:21]
	v_mul_f64 v[14:15], v[22:23], v[20:21]
	v_fma_f64 v[10:11], v[22:23], v[18:19], -v[10:11]
	s_delay_alu instid0(VALU_DEP_2) | instskip(NEXT) | instid1(VALU_DEP_2)
	v_fma_f64 v[14:15], v[24:25], v[18:19], v[14:15]
	v_add_f64 v[3:4], v[3:4], v[10:11]
	s_delay_alu instid0(VALU_DEP_2)
	v_add_f64 v[1:2], v[1:2], v[14:15]
	s_and_not1_b32 exec_lo, exec_lo, s3
	s_cbranch_execnz .LBB34_53
; %bb.54:
	s_or_b32 exec_lo, exec_lo, s3
	v_mov_b32_e32 v7, 0
	ds_load_b128 v[7:10], v7 offset:160
	s_waitcnt lgkmcnt(0)
	v_mul_f64 v[11:12], v[1:2], v[9:10]
	v_mul_f64 v[14:15], v[3:4], v[9:10]
	s_delay_alu instid0(VALU_DEP_2) | instskip(NEXT) | instid1(VALU_DEP_2)
	v_fma_f64 v[9:10], v[3:4], v[7:8], -v[11:12]
	v_fma_f64 v[11:12], v[1:2], v[7:8], v[14:15]
	scratch_store_b128 off, v[9:12], off offset:160
.LBB34_55:
	s_or_b32 exec_lo, exec_lo, s2
	s_waitcnt_vscnt null, 0x0
	s_barrier
	buffer_gl0_inv
	scratch_load_b128 v[1:4], v134, off
	s_mov_b32 s2, exec_lo
	s_waitcnt vmcnt(0)
	ds_store_b128 v5, v[1:4]
	s_waitcnt lgkmcnt(0)
	s_barrier
	buffer_gl0_inv
	v_cmpx_gt_u32_e32 11, v116
	s_cbranch_execz .LBB34_59
; %bb.56:
	v_dual_mov_b32 v1, 0 :: v_dual_add_nc_u32 v8, 0x230, v17
	v_dual_mov_b32 v2, 0 :: v_dual_add_nc_u32 v7, -1, v116
	v_or_b32_e32 v9, 8, v13
	s_mov_b32 s3, 0
	s_delay_alu instid0(VALU_DEP_2)
	v_dual_mov_b32 v4, v2 :: v_dual_mov_b32 v3, v1
	.p2align	6
.LBB34_57:                              ; =>This Inner Loop Header: Depth=1
	scratch_load_b128 v[18:21], v9, off offset:-8
	ds_load_b128 v[22:25], v8
	v_add_nc_u32_e32 v7, 1, v7
	v_add_nc_u32_e32 v8, 16, v8
	;; [unrolled: 1-line block ×3, first 2 shown]
	s_delay_alu instid0(VALU_DEP_3) | instskip(SKIP_4) | instid1(VALU_DEP_2)
	v_cmp_lt_u32_e32 vcc_lo, 9, v7
	s_or_b32 s3, vcc_lo, s3
	s_waitcnt vmcnt(0) lgkmcnt(0)
	v_mul_f64 v[10:11], v[24:25], v[20:21]
	v_mul_f64 v[14:15], v[22:23], v[20:21]
	v_fma_f64 v[10:11], v[22:23], v[18:19], -v[10:11]
	s_delay_alu instid0(VALU_DEP_2) | instskip(NEXT) | instid1(VALU_DEP_2)
	v_fma_f64 v[14:15], v[24:25], v[18:19], v[14:15]
	v_add_f64 v[3:4], v[3:4], v[10:11]
	s_delay_alu instid0(VALU_DEP_2)
	v_add_f64 v[1:2], v[1:2], v[14:15]
	s_and_not1_b32 exec_lo, exec_lo, s3
	s_cbranch_execnz .LBB34_57
; %bb.58:
	s_or_b32 exec_lo, exec_lo, s3
	v_mov_b32_e32 v7, 0
	ds_load_b128 v[7:10], v7 offset:176
	s_waitcnt lgkmcnt(0)
	v_mul_f64 v[11:12], v[1:2], v[9:10]
	v_mul_f64 v[14:15], v[3:4], v[9:10]
	s_delay_alu instid0(VALU_DEP_2) | instskip(NEXT) | instid1(VALU_DEP_2)
	v_fma_f64 v[9:10], v[3:4], v[7:8], -v[11:12]
	v_fma_f64 v[11:12], v[1:2], v[7:8], v[14:15]
	scratch_store_b128 off, v[9:12], off offset:176
.LBB34_59:
	s_or_b32 exec_lo, exec_lo, s2
	s_waitcnt_vscnt null, 0x0
	s_barrier
	buffer_gl0_inv
	scratch_load_b128 v[1:4], v131, off
	s_mov_b32 s2, exec_lo
	s_waitcnt vmcnt(0)
	ds_store_b128 v5, v[1:4]
	s_waitcnt lgkmcnt(0)
	s_barrier
	buffer_gl0_inv
	v_cmpx_gt_u32_e32 12, v116
	s_cbranch_execz .LBB34_63
; %bb.60:
	v_dual_mov_b32 v1, 0 :: v_dual_add_nc_u32 v8, 0x230, v17
	v_dual_mov_b32 v2, 0 :: v_dual_add_nc_u32 v7, -1, v116
	v_or_b32_e32 v9, 8, v13
	s_mov_b32 s3, 0
	s_delay_alu instid0(VALU_DEP_2)
	v_dual_mov_b32 v4, v2 :: v_dual_mov_b32 v3, v1
	.p2align	6
.LBB34_61:                              ; =>This Inner Loop Header: Depth=1
	scratch_load_b128 v[18:21], v9, off offset:-8
	ds_load_b128 v[22:25], v8
	v_add_nc_u32_e32 v7, 1, v7
	v_add_nc_u32_e32 v8, 16, v8
	v_add_nc_u32_e32 v9, 16, v9
	s_delay_alu instid0(VALU_DEP_3) | instskip(SKIP_4) | instid1(VALU_DEP_2)
	v_cmp_lt_u32_e32 vcc_lo, 10, v7
	s_or_b32 s3, vcc_lo, s3
	s_waitcnt vmcnt(0) lgkmcnt(0)
	v_mul_f64 v[10:11], v[24:25], v[20:21]
	v_mul_f64 v[14:15], v[22:23], v[20:21]
	v_fma_f64 v[10:11], v[22:23], v[18:19], -v[10:11]
	s_delay_alu instid0(VALU_DEP_2) | instskip(NEXT) | instid1(VALU_DEP_2)
	v_fma_f64 v[14:15], v[24:25], v[18:19], v[14:15]
	v_add_f64 v[3:4], v[3:4], v[10:11]
	s_delay_alu instid0(VALU_DEP_2)
	v_add_f64 v[1:2], v[1:2], v[14:15]
	s_and_not1_b32 exec_lo, exec_lo, s3
	s_cbranch_execnz .LBB34_61
; %bb.62:
	s_or_b32 exec_lo, exec_lo, s3
	v_mov_b32_e32 v7, 0
	ds_load_b128 v[7:10], v7 offset:192
	s_waitcnt lgkmcnt(0)
	v_mul_f64 v[11:12], v[1:2], v[9:10]
	v_mul_f64 v[14:15], v[3:4], v[9:10]
	s_delay_alu instid0(VALU_DEP_2) | instskip(NEXT) | instid1(VALU_DEP_2)
	v_fma_f64 v[9:10], v[3:4], v[7:8], -v[11:12]
	v_fma_f64 v[11:12], v[1:2], v[7:8], v[14:15]
	scratch_store_b128 off, v[9:12], off offset:192
.LBB34_63:
	s_or_b32 exec_lo, exec_lo, s2
	s_waitcnt_vscnt null, 0x0
	s_barrier
	buffer_gl0_inv
	scratch_load_b128 v[1:4], v133, off
	s_mov_b32 s2, exec_lo
	s_waitcnt vmcnt(0)
	ds_store_b128 v5, v[1:4]
	s_waitcnt lgkmcnt(0)
	s_barrier
	buffer_gl0_inv
	v_cmpx_gt_u32_e32 13, v116
	s_cbranch_execz .LBB34_67
; %bb.64:
	v_dual_mov_b32 v1, 0 :: v_dual_add_nc_u32 v8, 0x230, v17
	v_dual_mov_b32 v2, 0 :: v_dual_add_nc_u32 v7, -1, v116
	v_or_b32_e32 v9, 8, v13
	s_mov_b32 s3, 0
	s_delay_alu instid0(VALU_DEP_2)
	v_dual_mov_b32 v4, v2 :: v_dual_mov_b32 v3, v1
	.p2align	6
.LBB34_65:                              ; =>This Inner Loop Header: Depth=1
	scratch_load_b128 v[18:21], v9, off offset:-8
	ds_load_b128 v[22:25], v8
	v_add_nc_u32_e32 v7, 1, v7
	v_add_nc_u32_e32 v8, 16, v8
	;; [unrolled: 1-line block ×3, first 2 shown]
	s_delay_alu instid0(VALU_DEP_3) | instskip(SKIP_4) | instid1(VALU_DEP_2)
	v_cmp_lt_u32_e32 vcc_lo, 11, v7
	s_or_b32 s3, vcc_lo, s3
	s_waitcnt vmcnt(0) lgkmcnt(0)
	v_mul_f64 v[10:11], v[24:25], v[20:21]
	v_mul_f64 v[14:15], v[22:23], v[20:21]
	v_fma_f64 v[10:11], v[22:23], v[18:19], -v[10:11]
	s_delay_alu instid0(VALU_DEP_2) | instskip(NEXT) | instid1(VALU_DEP_2)
	v_fma_f64 v[14:15], v[24:25], v[18:19], v[14:15]
	v_add_f64 v[3:4], v[3:4], v[10:11]
	s_delay_alu instid0(VALU_DEP_2)
	v_add_f64 v[1:2], v[1:2], v[14:15]
	s_and_not1_b32 exec_lo, exec_lo, s3
	s_cbranch_execnz .LBB34_65
; %bb.66:
	s_or_b32 exec_lo, exec_lo, s3
	v_mov_b32_e32 v7, 0
	ds_load_b128 v[7:10], v7 offset:208
	s_waitcnt lgkmcnt(0)
	v_mul_f64 v[11:12], v[1:2], v[9:10]
	v_mul_f64 v[14:15], v[3:4], v[9:10]
	s_delay_alu instid0(VALU_DEP_2) | instskip(NEXT) | instid1(VALU_DEP_2)
	v_fma_f64 v[9:10], v[3:4], v[7:8], -v[11:12]
	v_fma_f64 v[11:12], v[1:2], v[7:8], v[14:15]
	scratch_store_b128 off, v[9:12], off offset:208
.LBB34_67:
	s_or_b32 exec_lo, exec_lo, s2
	s_waitcnt_vscnt null, 0x0
	s_barrier
	buffer_gl0_inv
	scratch_load_b128 v[1:4], v130, off
	s_mov_b32 s2, exec_lo
	s_waitcnt vmcnt(0)
	ds_store_b128 v5, v[1:4]
	s_waitcnt lgkmcnt(0)
	s_barrier
	buffer_gl0_inv
	v_cmpx_gt_u32_e32 14, v116
	s_cbranch_execz .LBB34_71
; %bb.68:
	v_dual_mov_b32 v1, 0 :: v_dual_add_nc_u32 v8, 0x230, v17
	v_dual_mov_b32 v2, 0 :: v_dual_add_nc_u32 v7, -1, v116
	v_or_b32_e32 v9, 8, v13
	s_mov_b32 s3, 0
	s_delay_alu instid0(VALU_DEP_2)
	v_dual_mov_b32 v4, v2 :: v_dual_mov_b32 v3, v1
	.p2align	6
.LBB34_69:                              ; =>This Inner Loop Header: Depth=1
	scratch_load_b128 v[18:21], v9, off offset:-8
	ds_load_b128 v[22:25], v8
	v_add_nc_u32_e32 v7, 1, v7
	v_add_nc_u32_e32 v8, 16, v8
	;; [unrolled: 1-line block ×3, first 2 shown]
	s_delay_alu instid0(VALU_DEP_3) | instskip(SKIP_4) | instid1(VALU_DEP_2)
	v_cmp_lt_u32_e32 vcc_lo, 12, v7
	s_or_b32 s3, vcc_lo, s3
	s_waitcnt vmcnt(0) lgkmcnt(0)
	v_mul_f64 v[10:11], v[24:25], v[20:21]
	v_mul_f64 v[14:15], v[22:23], v[20:21]
	v_fma_f64 v[10:11], v[22:23], v[18:19], -v[10:11]
	s_delay_alu instid0(VALU_DEP_2) | instskip(NEXT) | instid1(VALU_DEP_2)
	v_fma_f64 v[14:15], v[24:25], v[18:19], v[14:15]
	v_add_f64 v[3:4], v[3:4], v[10:11]
	s_delay_alu instid0(VALU_DEP_2)
	v_add_f64 v[1:2], v[1:2], v[14:15]
	s_and_not1_b32 exec_lo, exec_lo, s3
	s_cbranch_execnz .LBB34_69
; %bb.70:
	s_or_b32 exec_lo, exec_lo, s3
	v_mov_b32_e32 v7, 0
	ds_load_b128 v[7:10], v7 offset:224
	s_waitcnt lgkmcnt(0)
	v_mul_f64 v[11:12], v[1:2], v[9:10]
	v_mul_f64 v[14:15], v[3:4], v[9:10]
	s_delay_alu instid0(VALU_DEP_2) | instskip(NEXT) | instid1(VALU_DEP_2)
	v_fma_f64 v[9:10], v[3:4], v[7:8], -v[11:12]
	v_fma_f64 v[11:12], v[1:2], v[7:8], v[14:15]
	scratch_store_b128 off, v[9:12], off offset:224
.LBB34_71:
	s_or_b32 exec_lo, exec_lo, s2
	s_waitcnt_vscnt null, 0x0
	s_barrier
	buffer_gl0_inv
	scratch_load_b128 v[1:4], v128, off
	s_mov_b32 s2, exec_lo
	s_waitcnt vmcnt(0)
	ds_store_b128 v5, v[1:4]
	s_waitcnt lgkmcnt(0)
	s_barrier
	buffer_gl0_inv
	v_cmpx_gt_u32_e32 15, v116
	s_cbranch_execz .LBB34_75
; %bb.72:
	v_dual_mov_b32 v1, 0 :: v_dual_add_nc_u32 v8, 0x230, v17
	v_dual_mov_b32 v2, 0 :: v_dual_add_nc_u32 v7, -1, v116
	v_or_b32_e32 v9, 8, v13
	s_mov_b32 s3, 0
	s_delay_alu instid0(VALU_DEP_2)
	v_dual_mov_b32 v4, v2 :: v_dual_mov_b32 v3, v1
	.p2align	6
.LBB34_73:                              ; =>This Inner Loop Header: Depth=1
	scratch_load_b128 v[18:21], v9, off offset:-8
	ds_load_b128 v[22:25], v8
	v_add_nc_u32_e32 v7, 1, v7
	v_add_nc_u32_e32 v8, 16, v8
	;; [unrolled: 1-line block ×3, first 2 shown]
	s_delay_alu instid0(VALU_DEP_3) | instskip(SKIP_4) | instid1(VALU_DEP_2)
	v_cmp_lt_u32_e32 vcc_lo, 13, v7
	s_or_b32 s3, vcc_lo, s3
	s_waitcnt vmcnt(0) lgkmcnt(0)
	v_mul_f64 v[10:11], v[24:25], v[20:21]
	v_mul_f64 v[14:15], v[22:23], v[20:21]
	v_fma_f64 v[10:11], v[22:23], v[18:19], -v[10:11]
	s_delay_alu instid0(VALU_DEP_2) | instskip(NEXT) | instid1(VALU_DEP_2)
	v_fma_f64 v[14:15], v[24:25], v[18:19], v[14:15]
	v_add_f64 v[3:4], v[3:4], v[10:11]
	s_delay_alu instid0(VALU_DEP_2)
	v_add_f64 v[1:2], v[1:2], v[14:15]
	s_and_not1_b32 exec_lo, exec_lo, s3
	s_cbranch_execnz .LBB34_73
; %bb.74:
	s_or_b32 exec_lo, exec_lo, s3
	v_mov_b32_e32 v7, 0
	ds_load_b128 v[7:10], v7 offset:240
	s_waitcnt lgkmcnt(0)
	v_mul_f64 v[11:12], v[1:2], v[9:10]
	v_mul_f64 v[14:15], v[3:4], v[9:10]
	s_delay_alu instid0(VALU_DEP_2) | instskip(NEXT) | instid1(VALU_DEP_2)
	v_fma_f64 v[9:10], v[3:4], v[7:8], -v[11:12]
	v_fma_f64 v[11:12], v[1:2], v[7:8], v[14:15]
	scratch_store_b128 off, v[9:12], off offset:240
.LBB34_75:
	s_or_b32 exec_lo, exec_lo, s2
	s_waitcnt_vscnt null, 0x0
	s_barrier
	buffer_gl0_inv
	scratch_load_b128 v[1:4], v126, off
	s_mov_b32 s2, exec_lo
	s_waitcnt vmcnt(0)
	ds_store_b128 v5, v[1:4]
	s_waitcnt lgkmcnt(0)
	s_barrier
	buffer_gl0_inv
	v_cmpx_gt_u32_e32 16, v116
	s_cbranch_execz .LBB34_79
; %bb.76:
	v_dual_mov_b32 v1, 0 :: v_dual_add_nc_u32 v8, 0x230, v17
	v_dual_mov_b32 v2, 0 :: v_dual_add_nc_u32 v7, -1, v116
	v_or_b32_e32 v9, 8, v13
	s_mov_b32 s3, 0
	s_delay_alu instid0(VALU_DEP_2)
	v_dual_mov_b32 v4, v2 :: v_dual_mov_b32 v3, v1
	.p2align	6
.LBB34_77:                              ; =>This Inner Loop Header: Depth=1
	scratch_load_b128 v[18:21], v9, off offset:-8
	ds_load_b128 v[22:25], v8
	v_add_nc_u32_e32 v7, 1, v7
	v_add_nc_u32_e32 v8, 16, v8
	v_add_nc_u32_e32 v9, 16, v9
	s_delay_alu instid0(VALU_DEP_3) | instskip(SKIP_4) | instid1(VALU_DEP_2)
	v_cmp_lt_u32_e32 vcc_lo, 14, v7
	s_or_b32 s3, vcc_lo, s3
	s_waitcnt vmcnt(0) lgkmcnt(0)
	v_mul_f64 v[10:11], v[24:25], v[20:21]
	v_mul_f64 v[14:15], v[22:23], v[20:21]
	v_fma_f64 v[10:11], v[22:23], v[18:19], -v[10:11]
	s_delay_alu instid0(VALU_DEP_2) | instskip(NEXT) | instid1(VALU_DEP_2)
	v_fma_f64 v[14:15], v[24:25], v[18:19], v[14:15]
	v_add_f64 v[3:4], v[3:4], v[10:11]
	s_delay_alu instid0(VALU_DEP_2)
	v_add_f64 v[1:2], v[1:2], v[14:15]
	s_and_not1_b32 exec_lo, exec_lo, s3
	s_cbranch_execnz .LBB34_77
; %bb.78:
	s_or_b32 exec_lo, exec_lo, s3
	v_mov_b32_e32 v7, 0
	ds_load_b128 v[7:10], v7 offset:256
	s_waitcnt lgkmcnt(0)
	v_mul_f64 v[11:12], v[1:2], v[9:10]
	v_mul_f64 v[14:15], v[3:4], v[9:10]
	s_delay_alu instid0(VALU_DEP_2) | instskip(NEXT) | instid1(VALU_DEP_2)
	v_fma_f64 v[9:10], v[3:4], v[7:8], -v[11:12]
	v_fma_f64 v[11:12], v[1:2], v[7:8], v[14:15]
	scratch_store_b128 off, v[9:12], off offset:256
.LBB34_79:
	s_or_b32 exec_lo, exec_lo, s2
	s_waitcnt_vscnt null, 0x0
	s_barrier
	buffer_gl0_inv
	scratch_load_b128 v[1:4], v127, off
	s_mov_b32 s2, exec_lo
	s_waitcnt vmcnt(0)
	ds_store_b128 v5, v[1:4]
	s_waitcnt lgkmcnt(0)
	s_barrier
	buffer_gl0_inv
	v_cmpx_gt_u32_e32 17, v116
	s_cbranch_execz .LBB34_83
; %bb.80:
	v_dual_mov_b32 v1, 0 :: v_dual_add_nc_u32 v8, 0x230, v17
	v_dual_mov_b32 v2, 0 :: v_dual_add_nc_u32 v7, -1, v116
	v_or_b32_e32 v9, 8, v13
	s_mov_b32 s3, 0
	s_delay_alu instid0(VALU_DEP_2)
	v_dual_mov_b32 v4, v2 :: v_dual_mov_b32 v3, v1
	.p2align	6
.LBB34_81:                              ; =>This Inner Loop Header: Depth=1
	scratch_load_b128 v[18:21], v9, off offset:-8
	ds_load_b128 v[22:25], v8
	v_add_nc_u32_e32 v7, 1, v7
	v_add_nc_u32_e32 v8, 16, v8
	;; [unrolled: 1-line block ×3, first 2 shown]
	s_delay_alu instid0(VALU_DEP_3) | instskip(SKIP_4) | instid1(VALU_DEP_2)
	v_cmp_lt_u32_e32 vcc_lo, 15, v7
	s_or_b32 s3, vcc_lo, s3
	s_waitcnt vmcnt(0) lgkmcnt(0)
	v_mul_f64 v[10:11], v[24:25], v[20:21]
	v_mul_f64 v[14:15], v[22:23], v[20:21]
	v_fma_f64 v[10:11], v[22:23], v[18:19], -v[10:11]
	s_delay_alu instid0(VALU_DEP_2) | instskip(NEXT) | instid1(VALU_DEP_2)
	v_fma_f64 v[14:15], v[24:25], v[18:19], v[14:15]
	v_add_f64 v[3:4], v[3:4], v[10:11]
	s_delay_alu instid0(VALU_DEP_2)
	v_add_f64 v[1:2], v[1:2], v[14:15]
	s_and_not1_b32 exec_lo, exec_lo, s3
	s_cbranch_execnz .LBB34_81
; %bb.82:
	s_or_b32 exec_lo, exec_lo, s3
	v_mov_b32_e32 v7, 0
	ds_load_b128 v[7:10], v7 offset:272
	s_waitcnt lgkmcnt(0)
	v_mul_f64 v[11:12], v[1:2], v[9:10]
	v_mul_f64 v[14:15], v[3:4], v[9:10]
	s_delay_alu instid0(VALU_DEP_2) | instskip(NEXT) | instid1(VALU_DEP_2)
	v_fma_f64 v[9:10], v[3:4], v[7:8], -v[11:12]
	v_fma_f64 v[11:12], v[1:2], v[7:8], v[14:15]
	scratch_store_b128 off, v[9:12], off offset:272
.LBB34_83:
	s_or_b32 exec_lo, exec_lo, s2
	s_waitcnt_vscnt null, 0x0
	s_barrier
	buffer_gl0_inv
	scratch_load_b128 v[1:4], v125, off
	s_mov_b32 s2, exec_lo
	s_waitcnt vmcnt(0)
	ds_store_b128 v5, v[1:4]
	s_waitcnt lgkmcnt(0)
	s_barrier
	buffer_gl0_inv
	v_cmpx_gt_u32_e32 18, v116
	s_cbranch_execz .LBB34_87
; %bb.84:
	v_dual_mov_b32 v1, 0 :: v_dual_add_nc_u32 v8, 0x230, v17
	v_dual_mov_b32 v2, 0 :: v_dual_add_nc_u32 v7, -1, v116
	v_or_b32_e32 v9, 8, v13
	s_mov_b32 s3, 0
	s_delay_alu instid0(VALU_DEP_2)
	v_dual_mov_b32 v4, v2 :: v_dual_mov_b32 v3, v1
	.p2align	6
.LBB34_85:                              ; =>This Inner Loop Header: Depth=1
	scratch_load_b128 v[18:21], v9, off offset:-8
	ds_load_b128 v[22:25], v8
	v_add_nc_u32_e32 v7, 1, v7
	v_add_nc_u32_e32 v8, 16, v8
	;; [unrolled: 1-line block ×3, first 2 shown]
	s_delay_alu instid0(VALU_DEP_3) | instskip(SKIP_4) | instid1(VALU_DEP_2)
	v_cmp_lt_u32_e32 vcc_lo, 16, v7
	s_or_b32 s3, vcc_lo, s3
	s_waitcnt vmcnt(0) lgkmcnt(0)
	v_mul_f64 v[10:11], v[24:25], v[20:21]
	v_mul_f64 v[14:15], v[22:23], v[20:21]
	v_fma_f64 v[10:11], v[22:23], v[18:19], -v[10:11]
	s_delay_alu instid0(VALU_DEP_2) | instskip(NEXT) | instid1(VALU_DEP_2)
	v_fma_f64 v[14:15], v[24:25], v[18:19], v[14:15]
	v_add_f64 v[3:4], v[3:4], v[10:11]
	s_delay_alu instid0(VALU_DEP_2)
	v_add_f64 v[1:2], v[1:2], v[14:15]
	s_and_not1_b32 exec_lo, exec_lo, s3
	s_cbranch_execnz .LBB34_85
; %bb.86:
	s_or_b32 exec_lo, exec_lo, s3
	v_mov_b32_e32 v7, 0
	ds_load_b128 v[7:10], v7 offset:288
	s_waitcnt lgkmcnt(0)
	v_mul_f64 v[11:12], v[1:2], v[9:10]
	v_mul_f64 v[14:15], v[3:4], v[9:10]
	s_delay_alu instid0(VALU_DEP_2) | instskip(NEXT) | instid1(VALU_DEP_2)
	v_fma_f64 v[9:10], v[3:4], v[7:8], -v[11:12]
	v_fma_f64 v[11:12], v[1:2], v[7:8], v[14:15]
	scratch_store_b128 off, v[9:12], off offset:288
.LBB34_87:
	s_or_b32 exec_lo, exec_lo, s2
	s_waitcnt_vscnt null, 0x0
	s_barrier
	buffer_gl0_inv
	scratch_load_b128 v[1:4], v124, off
	s_mov_b32 s2, exec_lo
	s_waitcnt vmcnt(0)
	ds_store_b128 v5, v[1:4]
	s_waitcnt lgkmcnt(0)
	s_barrier
	buffer_gl0_inv
	v_cmpx_gt_u32_e32 19, v116
	s_cbranch_execz .LBB34_91
; %bb.88:
	v_dual_mov_b32 v1, 0 :: v_dual_add_nc_u32 v8, 0x230, v17
	v_dual_mov_b32 v2, 0 :: v_dual_add_nc_u32 v7, -1, v116
	v_or_b32_e32 v9, 8, v13
	s_mov_b32 s3, 0
	s_delay_alu instid0(VALU_DEP_2)
	v_dual_mov_b32 v4, v2 :: v_dual_mov_b32 v3, v1
	.p2align	6
.LBB34_89:                              ; =>This Inner Loop Header: Depth=1
	scratch_load_b128 v[18:21], v9, off offset:-8
	ds_load_b128 v[22:25], v8
	v_add_nc_u32_e32 v7, 1, v7
	v_add_nc_u32_e32 v8, 16, v8
	;; [unrolled: 1-line block ×3, first 2 shown]
	s_delay_alu instid0(VALU_DEP_3) | instskip(SKIP_4) | instid1(VALU_DEP_2)
	v_cmp_lt_u32_e32 vcc_lo, 17, v7
	s_or_b32 s3, vcc_lo, s3
	s_waitcnt vmcnt(0) lgkmcnt(0)
	v_mul_f64 v[10:11], v[24:25], v[20:21]
	v_mul_f64 v[14:15], v[22:23], v[20:21]
	v_fma_f64 v[10:11], v[22:23], v[18:19], -v[10:11]
	s_delay_alu instid0(VALU_DEP_2) | instskip(NEXT) | instid1(VALU_DEP_2)
	v_fma_f64 v[14:15], v[24:25], v[18:19], v[14:15]
	v_add_f64 v[3:4], v[3:4], v[10:11]
	s_delay_alu instid0(VALU_DEP_2)
	v_add_f64 v[1:2], v[1:2], v[14:15]
	s_and_not1_b32 exec_lo, exec_lo, s3
	s_cbranch_execnz .LBB34_89
; %bb.90:
	s_or_b32 exec_lo, exec_lo, s3
	v_mov_b32_e32 v7, 0
	ds_load_b128 v[7:10], v7 offset:304
	s_waitcnt lgkmcnt(0)
	v_mul_f64 v[11:12], v[1:2], v[9:10]
	v_mul_f64 v[14:15], v[3:4], v[9:10]
	s_delay_alu instid0(VALU_DEP_2) | instskip(NEXT) | instid1(VALU_DEP_2)
	v_fma_f64 v[9:10], v[3:4], v[7:8], -v[11:12]
	v_fma_f64 v[11:12], v[1:2], v[7:8], v[14:15]
	scratch_store_b128 off, v[9:12], off offset:304
.LBB34_91:
	s_or_b32 exec_lo, exec_lo, s2
	s_waitcnt_vscnt null, 0x0
	s_barrier
	buffer_gl0_inv
	scratch_load_b128 v[1:4], v122, off
	s_mov_b32 s2, exec_lo
	s_waitcnt vmcnt(0)
	ds_store_b128 v5, v[1:4]
	s_waitcnt lgkmcnt(0)
	s_barrier
	buffer_gl0_inv
	v_cmpx_gt_u32_e32 20, v116
	s_cbranch_execz .LBB34_95
; %bb.92:
	v_dual_mov_b32 v1, 0 :: v_dual_add_nc_u32 v8, 0x230, v17
	v_dual_mov_b32 v2, 0 :: v_dual_add_nc_u32 v7, -1, v116
	v_or_b32_e32 v9, 8, v13
	s_mov_b32 s3, 0
	s_delay_alu instid0(VALU_DEP_2)
	v_dual_mov_b32 v4, v2 :: v_dual_mov_b32 v3, v1
	.p2align	6
.LBB34_93:                              ; =>This Inner Loop Header: Depth=1
	scratch_load_b128 v[18:21], v9, off offset:-8
	ds_load_b128 v[22:25], v8
	v_add_nc_u32_e32 v7, 1, v7
	v_add_nc_u32_e32 v8, 16, v8
	;; [unrolled: 1-line block ×3, first 2 shown]
	s_delay_alu instid0(VALU_DEP_3) | instskip(SKIP_4) | instid1(VALU_DEP_2)
	v_cmp_lt_u32_e32 vcc_lo, 18, v7
	s_or_b32 s3, vcc_lo, s3
	s_waitcnt vmcnt(0) lgkmcnt(0)
	v_mul_f64 v[10:11], v[24:25], v[20:21]
	v_mul_f64 v[14:15], v[22:23], v[20:21]
	v_fma_f64 v[10:11], v[22:23], v[18:19], -v[10:11]
	s_delay_alu instid0(VALU_DEP_2) | instskip(NEXT) | instid1(VALU_DEP_2)
	v_fma_f64 v[14:15], v[24:25], v[18:19], v[14:15]
	v_add_f64 v[3:4], v[3:4], v[10:11]
	s_delay_alu instid0(VALU_DEP_2)
	v_add_f64 v[1:2], v[1:2], v[14:15]
	s_and_not1_b32 exec_lo, exec_lo, s3
	s_cbranch_execnz .LBB34_93
; %bb.94:
	s_or_b32 exec_lo, exec_lo, s3
	v_mov_b32_e32 v7, 0
	ds_load_b128 v[7:10], v7 offset:320
	s_waitcnt lgkmcnt(0)
	v_mul_f64 v[11:12], v[1:2], v[9:10]
	v_mul_f64 v[14:15], v[3:4], v[9:10]
	s_delay_alu instid0(VALU_DEP_2) | instskip(NEXT) | instid1(VALU_DEP_2)
	v_fma_f64 v[9:10], v[3:4], v[7:8], -v[11:12]
	v_fma_f64 v[11:12], v[1:2], v[7:8], v[14:15]
	scratch_store_b128 off, v[9:12], off offset:320
.LBB34_95:
	s_or_b32 exec_lo, exec_lo, s2
	s_waitcnt_vscnt null, 0x0
	s_barrier
	buffer_gl0_inv
	scratch_load_b128 v[1:4], v123, off
	s_mov_b32 s2, exec_lo
	s_waitcnt vmcnt(0)
	ds_store_b128 v5, v[1:4]
	s_waitcnt lgkmcnt(0)
	s_barrier
	buffer_gl0_inv
	v_cmpx_gt_u32_e32 21, v116
	s_cbranch_execz .LBB34_99
; %bb.96:
	v_dual_mov_b32 v1, 0 :: v_dual_add_nc_u32 v8, 0x230, v17
	v_dual_mov_b32 v2, 0 :: v_dual_add_nc_u32 v7, -1, v116
	v_or_b32_e32 v9, 8, v13
	s_mov_b32 s3, 0
	s_delay_alu instid0(VALU_DEP_2)
	v_dual_mov_b32 v4, v2 :: v_dual_mov_b32 v3, v1
	.p2align	6
.LBB34_97:                              ; =>This Inner Loop Header: Depth=1
	scratch_load_b128 v[18:21], v9, off offset:-8
	ds_load_b128 v[22:25], v8
	v_add_nc_u32_e32 v7, 1, v7
	v_add_nc_u32_e32 v8, 16, v8
	v_add_nc_u32_e32 v9, 16, v9
	s_delay_alu instid0(VALU_DEP_3) | instskip(SKIP_4) | instid1(VALU_DEP_2)
	v_cmp_lt_u32_e32 vcc_lo, 19, v7
	s_or_b32 s3, vcc_lo, s3
	s_waitcnt vmcnt(0) lgkmcnt(0)
	v_mul_f64 v[10:11], v[24:25], v[20:21]
	v_mul_f64 v[14:15], v[22:23], v[20:21]
	v_fma_f64 v[10:11], v[22:23], v[18:19], -v[10:11]
	s_delay_alu instid0(VALU_DEP_2) | instskip(NEXT) | instid1(VALU_DEP_2)
	v_fma_f64 v[14:15], v[24:25], v[18:19], v[14:15]
	v_add_f64 v[3:4], v[3:4], v[10:11]
	s_delay_alu instid0(VALU_DEP_2)
	v_add_f64 v[1:2], v[1:2], v[14:15]
	s_and_not1_b32 exec_lo, exec_lo, s3
	s_cbranch_execnz .LBB34_97
; %bb.98:
	s_or_b32 exec_lo, exec_lo, s3
	v_mov_b32_e32 v7, 0
	ds_load_b128 v[7:10], v7 offset:336
	s_waitcnt lgkmcnt(0)
	v_mul_f64 v[11:12], v[1:2], v[9:10]
	v_mul_f64 v[14:15], v[3:4], v[9:10]
	s_delay_alu instid0(VALU_DEP_2) | instskip(NEXT) | instid1(VALU_DEP_2)
	v_fma_f64 v[9:10], v[3:4], v[7:8], -v[11:12]
	v_fma_f64 v[11:12], v[1:2], v[7:8], v[14:15]
	scratch_store_b128 off, v[9:12], off offset:336
.LBB34_99:
	s_or_b32 exec_lo, exec_lo, s2
	s_waitcnt_vscnt null, 0x0
	s_barrier
	buffer_gl0_inv
	scratch_load_b128 v[1:4], v121, off
	s_mov_b32 s2, exec_lo
	s_waitcnt vmcnt(0)
	ds_store_b128 v5, v[1:4]
	s_waitcnt lgkmcnt(0)
	s_barrier
	buffer_gl0_inv
	v_cmpx_gt_u32_e32 22, v116
	s_cbranch_execz .LBB34_103
; %bb.100:
	v_dual_mov_b32 v1, 0 :: v_dual_add_nc_u32 v8, 0x230, v17
	v_dual_mov_b32 v2, 0 :: v_dual_add_nc_u32 v7, -1, v116
	v_or_b32_e32 v9, 8, v13
	s_mov_b32 s3, 0
	s_delay_alu instid0(VALU_DEP_2)
	v_dual_mov_b32 v4, v2 :: v_dual_mov_b32 v3, v1
	.p2align	6
.LBB34_101:                             ; =>This Inner Loop Header: Depth=1
	scratch_load_b128 v[18:21], v9, off offset:-8
	ds_load_b128 v[22:25], v8
	v_add_nc_u32_e32 v7, 1, v7
	v_add_nc_u32_e32 v8, 16, v8
	;; [unrolled: 1-line block ×3, first 2 shown]
	s_delay_alu instid0(VALU_DEP_3) | instskip(SKIP_4) | instid1(VALU_DEP_2)
	v_cmp_lt_u32_e32 vcc_lo, 20, v7
	s_or_b32 s3, vcc_lo, s3
	s_waitcnt vmcnt(0) lgkmcnt(0)
	v_mul_f64 v[10:11], v[24:25], v[20:21]
	v_mul_f64 v[14:15], v[22:23], v[20:21]
	v_fma_f64 v[10:11], v[22:23], v[18:19], -v[10:11]
	s_delay_alu instid0(VALU_DEP_2) | instskip(NEXT) | instid1(VALU_DEP_2)
	v_fma_f64 v[14:15], v[24:25], v[18:19], v[14:15]
	v_add_f64 v[3:4], v[3:4], v[10:11]
	s_delay_alu instid0(VALU_DEP_2)
	v_add_f64 v[1:2], v[1:2], v[14:15]
	s_and_not1_b32 exec_lo, exec_lo, s3
	s_cbranch_execnz .LBB34_101
; %bb.102:
	s_or_b32 exec_lo, exec_lo, s3
	v_mov_b32_e32 v7, 0
	ds_load_b128 v[7:10], v7 offset:352
	s_waitcnt lgkmcnt(0)
	v_mul_f64 v[11:12], v[1:2], v[9:10]
	v_mul_f64 v[14:15], v[3:4], v[9:10]
	s_delay_alu instid0(VALU_DEP_2) | instskip(NEXT) | instid1(VALU_DEP_2)
	v_fma_f64 v[9:10], v[3:4], v[7:8], -v[11:12]
	v_fma_f64 v[11:12], v[1:2], v[7:8], v[14:15]
	scratch_store_b128 off, v[9:12], off offset:352
.LBB34_103:
	s_or_b32 exec_lo, exec_lo, s2
	s_waitcnt_vscnt null, 0x0
	s_barrier
	buffer_gl0_inv
	scratch_load_b128 v[1:4], v150, off
	s_mov_b32 s2, exec_lo
	s_waitcnt vmcnt(0)
	ds_store_b128 v5, v[1:4]
	s_waitcnt lgkmcnt(0)
	s_barrier
	buffer_gl0_inv
	v_cmpx_gt_u32_e32 23, v116
	s_cbranch_execz .LBB34_107
; %bb.104:
	v_dual_mov_b32 v1, 0 :: v_dual_add_nc_u32 v8, 0x230, v17
	v_dual_mov_b32 v2, 0 :: v_dual_add_nc_u32 v7, -1, v116
	v_or_b32_e32 v9, 8, v13
	s_mov_b32 s3, 0
	s_delay_alu instid0(VALU_DEP_2)
	v_dual_mov_b32 v4, v2 :: v_dual_mov_b32 v3, v1
	.p2align	6
.LBB34_105:                             ; =>This Inner Loop Header: Depth=1
	scratch_load_b128 v[18:21], v9, off offset:-8
	ds_load_b128 v[22:25], v8
	v_add_nc_u32_e32 v7, 1, v7
	v_add_nc_u32_e32 v8, 16, v8
	;; [unrolled: 1-line block ×3, first 2 shown]
	s_delay_alu instid0(VALU_DEP_3) | instskip(SKIP_4) | instid1(VALU_DEP_2)
	v_cmp_lt_u32_e32 vcc_lo, 21, v7
	s_or_b32 s3, vcc_lo, s3
	s_waitcnt vmcnt(0) lgkmcnt(0)
	v_mul_f64 v[10:11], v[24:25], v[20:21]
	v_mul_f64 v[14:15], v[22:23], v[20:21]
	v_fma_f64 v[10:11], v[22:23], v[18:19], -v[10:11]
	s_delay_alu instid0(VALU_DEP_2) | instskip(NEXT) | instid1(VALU_DEP_2)
	v_fma_f64 v[14:15], v[24:25], v[18:19], v[14:15]
	v_add_f64 v[3:4], v[3:4], v[10:11]
	s_delay_alu instid0(VALU_DEP_2)
	v_add_f64 v[1:2], v[1:2], v[14:15]
	s_and_not1_b32 exec_lo, exec_lo, s3
	s_cbranch_execnz .LBB34_105
; %bb.106:
	s_or_b32 exec_lo, exec_lo, s3
	v_mov_b32_e32 v7, 0
	ds_load_b128 v[7:10], v7 offset:368
	s_waitcnt lgkmcnt(0)
	v_mul_f64 v[11:12], v[1:2], v[9:10]
	v_mul_f64 v[14:15], v[3:4], v[9:10]
	s_delay_alu instid0(VALU_DEP_2) | instskip(NEXT) | instid1(VALU_DEP_2)
	v_fma_f64 v[9:10], v[3:4], v[7:8], -v[11:12]
	v_fma_f64 v[11:12], v[1:2], v[7:8], v[14:15]
	scratch_store_b128 off, v[9:12], off offset:368
.LBB34_107:
	s_or_b32 exec_lo, exec_lo, s2
	s_waitcnt_vscnt null, 0x0
	s_barrier
	buffer_gl0_inv
	scratch_load_b128 v[1:4], v149, off
	s_mov_b32 s2, exec_lo
	s_waitcnt vmcnt(0)
	ds_store_b128 v5, v[1:4]
	s_waitcnt lgkmcnt(0)
	s_barrier
	buffer_gl0_inv
	v_cmpx_gt_u32_e32 24, v116
	s_cbranch_execz .LBB34_111
; %bb.108:
	v_dual_mov_b32 v1, 0 :: v_dual_add_nc_u32 v8, 0x230, v17
	v_dual_mov_b32 v2, 0 :: v_dual_add_nc_u32 v7, -1, v116
	v_or_b32_e32 v9, 8, v13
	s_mov_b32 s3, 0
	s_delay_alu instid0(VALU_DEP_2)
	v_dual_mov_b32 v4, v2 :: v_dual_mov_b32 v3, v1
	.p2align	6
.LBB34_109:                             ; =>This Inner Loop Header: Depth=1
	scratch_load_b128 v[18:21], v9, off offset:-8
	ds_load_b128 v[22:25], v8
	v_add_nc_u32_e32 v7, 1, v7
	v_add_nc_u32_e32 v8, 16, v8
	;; [unrolled: 1-line block ×3, first 2 shown]
	s_delay_alu instid0(VALU_DEP_3) | instskip(SKIP_4) | instid1(VALU_DEP_2)
	v_cmp_lt_u32_e32 vcc_lo, 22, v7
	s_or_b32 s3, vcc_lo, s3
	s_waitcnt vmcnt(0) lgkmcnt(0)
	v_mul_f64 v[10:11], v[24:25], v[20:21]
	v_mul_f64 v[14:15], v[22:23], v[20:21]
	v_fma_f64 v[10:11], v[22:23], v[18:19], -v[10:11]
	s_delay_alu instid0(VALU_DEP_2) | instskip(NEXT) | instid1(VALU_DEP_2)
	v_fma_f64 v[14:15], v[24:25], v[18:19], v[14:15]
	v_add_f64 v[3:4], v[3:4], v[10:11]
	s_delay_alu instid0(VALU_DEP_2)
	v_add_f64 v[1:2], v[1:2], v[14:15]
	s_and_not1_b32 exec_lo, exec_lo, s3
	s_cbranch_execnz .LBB34_109
; %bb.110:
	s_or_b32 exec_lo, exec_lo, s3
	v_mov_b32_e32 v7, 0
	ds_load_b128 v[7:10], v7 offset:384
	s_waitcnt lgkmcnt(0)
	v_mul_f64 v[11:12], v[1:2], v[9:10]
	v_mul_f64 v[14:15], v[3:4], v[9:10]
	s_delay_alu instid0(VALU_DEP_2) | instskip(NEXT) | instid1(VALU_DEP_2)
	v_fma_f64 v[9:10], v[3:4], v[7:8], -v[11:12]
	v_fma_f64 v[11:12], v[1:2], v[7:8], v[14:15]
	scratch_store_b128 off, v[9:12], off offset:384
.LBB34_111:
	s_or_b32 exec_lo, exec_lo, s2
	s_waitcnt_vscnt null, 0x0
	s_barrier
	buffer_gl0_inv
	scratch_load_b128 v[1:4], v148, off
	s_mov_b32 s2, exec_lo
	s_waitcnt vmcnt(0)
	ds_store_b128 v5, v[1:4]
	s_waitcnt lgkmcnt(0)
	s_barrier
	buffer_gl0_inv
	v_cmpx_gt_u32_e32 25, v116
	s_cbranch_execz .LBB34_115
; %bb.112:
	v_dual_mov_b32 v1, 0 :: v_dual_add_nc_u32 v8, 0x230, v17
	v_dual_mov_b32 v2, 0 :: v_dual_add_nc_u32 v7, -1, v116
	v_or_b32_e32 v9, 8, v13
	s_mov_b32 s3, 0
	s_delay_alu instid0(VALU_DEP_2)
	v_dual_mov_b32 v4, v2 :: v_dual_mov_b32 v3, v1
	.p2align	6
.LBB34_113:                             ; =>This Inner Loop Header: Depth=1
	scratch_load_b128 v[18:21], v9, off offset:-8
	ds_load_b128 v[22:25], v8
	v_add_nc_u32_e32 v7, 1, v7
	v_add_nc_u32_e32 v8, 16, v8
	;; [unrolled: 1-line block ×3, first 2 shown]
	s_delay_alu instid0(VALU_DEP_3) | instskip(SKIP_4) | instid1(VALU_DEP_2)
	v_cmp_lt_u32_e32 vcc_lo, 23, v7
	s_or_b32 s3, vcc_lo, s3
	s_waitcnt vmcnt(0) lgkmcnt(0)
	v_mul_f64 v[10:11], v[24:25], v[20:21]
	v_mul_f64 v[14:15], v[22:23], v[20:21]
	v_fma_f64 v[10:11], v[22:23], v[18:19], -v[10:11]
	s_delay_alu instid0(VALU_DEP_2) | instskip(NEXT) | instid1(VALU_DEP_2)
	v_fma_f64 v[14:15], v[24:25], v[18:19], v[14:15]
	v_add_f64 v[3:4], v[3:4], v[10:11]
	s_delay_alu instid0(VALU_DEP_2)
	v_add_f64 v[1:2], v[1:2], v[14:15]
	s_and_not1_b32 exec_lo, exec_lo, s3
	s_cbranch_execnz .LBB34_113
; %bb.114:
	s_or_b32 exec_lo, exec_lo, s3
	v_mov_b32_e32 v7, 0
	ds_load_b128 v[7:10], v7 offset:400
	s_waitcnt lgkmcnt(0)
	v_mul_f64 v[11:12], v[1:2], v[9:10]
	v_mul_f64 v[14:15], v[3:4], v[9:10]
	s_delay_alu instid0(VALU_DEP_2) | instskip(NEXT) | instid1(VALU_DEP_2)
	v_fma_f64 v[9:10], v[3:4], v[7:8], -v[11:12]
	v_fma_f64 v[11:12], v[1:2], v[7:8], v[14:15]
	scratch_store_b128 off, v[9:12], off offset:400
.LBB34_115:
	s_or_b32 exec_lo, exec_lo, s2
	s_waitcnt_vscnt null, 0x0
	s_barrier
	buffer_gl0_inv
	scratch_load_b128 v[1:4], v147, off
	s_mov_b32 s2, exec_lo
	s_waitcnt vmcnt(0)
	ds_store_b128 v5, v[1:4]
	s_waitcnt lgkmcnt(0)
	s_barrier
	buffer_gl0_inv
	v_cmpx_gt_u32_e32 26, v116
	s_cbranch_execz .LBB34_119
; %bb.116:
	v_dual_mov_b32 v1, 0 :: v_dual_add_nc_u32 v8, 0x230, v17
	v_dual_mov_b32 v2, 0 :: v_dual_add_nc_u32 v7, -1, v116
	v_or_b32_e32 v9, 8, v13
	s_mov_b32 s3, 0
	s_delay_alu instid0(VALU_DEP_2)
	v_dual_mov_b32 v4, v2 :: v_dual_mov_b32 v3, v1
	.p2align	6
.LBB34_117:                             ; =>This Inner Loop Header: Depth=1
	scratch_load_b128 v[18:21], v9, off offset:-8
	ds_load_b128 v[22:25], v8
	v_add_nc_u32_e32 v7, 1, v7
	v_add_nc_u32_e32 v8, 16, v8
	;; [unrolled: 1-line block ×3, first 2 shown]
	s_delay_alu instid0(VALU_DEP_3) | instskip(SKIP_4) | instid1(VALU_DEP_2)
	v_cmp_lt_u32_e32 vcc_lo, 24, v7
	s_or_b32 s3, vcc_lo, s3
	s_waitcnt vmcnt(0) lgkmcnt(0)
	v_mul_f64 v[10:11], v[24:25], v[20:21]
	v_mul_f64 v[14:15], v[22:23], v[20:21]
	v_fma_f64 v[10:11], v[22:23], v[18:19], -v[10:11]
	s_delay_alu instid0(VALU_DEP_2) | instskip(NEXT) | instid1(VALU_DEP_2)
	v_fma_f64 v[14:15], v[24:25], v[18:19], v[14:15]
	v_add_f64 v[3:4], v[3:4], v[10:11]
	s_delay_alu instid0(VALU_DEP_2)
	v_add_f64 v[1:2], v[1:2], v[14:15]
	s_and_not1_b32 exec_lo, exec_lo, s3
	s_cbranch_execnz .LBB34_117
; %bb.118:
	s_or_b32 exec_lo, exec_lo, s3
	v_mov_b32_e32 v7, 0
	ds_load_b128 v[7:10], v7 offset:416
	s_waitcnt lgkmcnt(0)
	v_mul_f64 v[11:12], v[1:2], v[9:10]
	v_mul_f64 v[14:15], v[3:4], v[9:10]
	s_delay_alu instid0(VALU_DEP_2) | instskip(NEXT) | instid1(VALU_DEP_2)
	v_fma_f64 v[9:10], v[3:4], v[7:8], -v[11:12]
	v_fma_f64 v[11:12], v[1:2], v[7:8], v[14:15]
	scratch_store_b128 off, v[9:12], off offset:416
.LBB34_119:
	s_or_b32 exec_lo, exec_lo, s2
	s_waitcnt_vscnt null, 0x0
	s_barrier
	buffer_gl0_inv
	scratch_load_b128 v[1:4], v146, off
	s_mov_b32 s2, exec_lo
	s_waitcnt vmcnt(0)
	ds_store_b128 v5, v[1:4]
	s_waitcnt lgkmcnt(0)
	s_barrier
	buffer_gl0_inv
	v_cmpx_gt_u32_e32 27, v116
	s_cbranch_execz .LBB34_123
; %bb.120:
	v_dual_mov_b32 v1, 0 :: v_dual_add_nc_u32 v8, 0x230, v17
	v_dual_mov_b32 v2, 0 :: v_dual_add_nc_u32 v7, -1, v116
	v_or_b32_e32 v9, 8, v13
	s_mov_b32 s3, 0
	s_delay_alu instid0(VALU_DEP_2)
	v_dual_mov_b32 v4, v2 :: v_dual_mov_b32 v3, v1
	.p2align	6
.LBB34_121:                             ; =>This Inner Loop Header: Depth=1
	scratch_load_b128 v[18:21], v9, off offset:-8
	ds_load_b128 v[22:25], v8
	v_add_nc_u32_e32 v7, 1, v7
	v_add_nc_u32_e32 v8, 16, v8
	;; [unrolled: 1-line block ×3, first 2 shown]
	s_delay_alu instid0(VALU_DEP_3) | instskip(SKIP_4) | instid1(VALU_DEP_2)
	v_cmp_lt_u32_e32 vcc_lo, 25, v7
	s_or_b32 s3, vcc_lo, s3
	s_waitcnt vmcnt(0) lgkmcnt(0)
	v_mul_f64 v[10:11], v[24:25], v[20:21]
	v_mul_f64 v[14:15], v[22:23], v[20:21]
	v_fma_f64 v[10:11], v[22:23], v[18:19], -v[10:11]
	s_delay_alu instid0(VALU_DEP_2) | instskip(NEXT) | instid1(VALU_DEP_2)
	v_fma_f64 v[14:15], v[24:25], v[18:19], v[14:15]
	v_add_f64 v[3:4], v[3:4], v[10:11]
	s_delay_alu instid0(VALU_DEP_2)
	v_add_f64 v[1:2], v[1:2], v[14:15]
	s_and_not1_b32 exec_lo, exec_lo, s3
	s_cbranch_execnz .LBB34_121
; %bb.122:
	s_or_b32 exec_lo, exec_lo, s3
	v_mov_b32_e32 v7, 0
	ds_load_b128 v[7:10], v7 offset:432
	s_waitcnt lgkmcnt(0)
	v_mul_f64 v[11:12], v[1:2], v[9:10]
	v_mul_f64 v[14:15], v[3:4], v[9:10]
	s_delay_alu instid0(VALU_DEP_2) | instskip(NEXT) | instid1(VALU_DEP_2)
	v_fma_f64 v[9:10], v[3:4], v[7:8], -v[11:12]
	v_fma_f64 v[11:12], v[1:2], v[7:8], v[14:15]
	scratch_store_b128 off, v[9:12], off offset:432
.LBB34_123:
	s_or_b32 exec_lo, exec_lo, s2
	s_waitcnt_vscnt null, 0x0
	s_barrier
	buffer_gl0_inv
	scratch_load_b128 v[1:4], v145, off
	s_mov_b32 s2, exec_lo
	s_waitcnt vmcnt(0)
	ds_store_b128 v5, v[1:4]
	s_waitcnt lgkmcnt(0)
	s_barrier
	buffer_gl0_inv
	v_cmpx_gt_u32_e32 28, v116
	s_cbranch_execz .LBB34_127
; %bb.124:
	v_dual_mov_b32 v1, 0 :: v_dual_add_nc_u32 v8, 0x230, v17
	v_dual_mov_b32 v2, 0 :: v_dual_add_nc_u32 v7, -1, v116
	v_or_b32_e32 v9, 8, v13
	s_mov_b32 s3, 0
	s_delay_alu instid0(VALU_DEP_2)
	v_dual_mov_b32 v4, v2 :: v_dual_mov_b32 v3, v1
	.p2align	6
.LBB34_125:                             ; =>This Inner Loop Header: Depth=1
	scratch_load_b128 v[18:21], v9, off offset:-8
	ds_load_b128 v[22:25], v8
	v_add_nc_u32_e32 v7, 1, v7
	v_add_nc_u32_e32 v8, 16, v8
	;; [unrolled: 1-line block ×3, first 2 shown]
	s_delay_alu instid0(VALU_DEP_3) | instskip(SKIP_4) | instid1(VALU_DEP_2)
	v_cmp_lt_u32_e32 vcc_lo, 26, v7
	s_or_b32 s3, vcc_lo, s3
	s_waitcnt vmcnt(0) lgkmcnt(0)
	v_mul_f64 v[10:11], v[24:25], v[20:21]
	v_mul_f64 v[14:15], v[22:23], v[20:21]
	v_fma_f64 v[10:11], v[22:23], v[18:19], -v[10:11]
	s_delay_alu instid0(VALU_DEP_2) | instskip(NEXT) | instid1(VALU_DEP_2)
	v_fma_f64 v[14:15], v[24:25], v[18:19], v[14:15]
	v_add_f64 v[3:4], v[3:4], v[10:11]
	s_delay_alu instid0(VALU_DEP_2)
	v_add_f64 v[1:2], v[1:2], v[14:15]
	s_and_not1_b32 exec_lo, exec_lo, s3
	s_cbranch_execnz .LBB34_125
; %bb.126:
	s_or_b32 exec_lo, exec_lo, s3
	v_mov_b32_e32 v7, 0
	ds_load_b128 v[7:10], v7 offset:448
	s_waitcnt lgkmcnt(0)
	v_mul_f64 v[11:12], v[1:2], v[9:10]
	v_mul_f64 v[14:15], v[3:4], v[9:10]
	s_delay_alu instid0(VALU_DEP_2) | instskip(NEXT) | instid1(VALU_DEP_2)
	v_fma_f64 v[9:10], v[3:4], v[7:8], -v[11:12]
	v_fma_f64 v[11:12], v[1:2], v[7:8], v[14:15]
	scratch_store_b128 off, v[9:12], off offset:448
.LBB34_127:
	s_or_b32 exec_lo, exec_lo, s2
	s_waitcnt_vscnt null, 0x0
	s_barrier
	buffer_gl0_inv
	scratch_load_b128 v[1:4], v144, off
	s_mov_b32 s2, exec_lo
	s_waitcnt vmcnt(0)
	ds_store_b128 v5, v[1:4]
	s_waitcnt lgkmcnt(0)
	s_barrier
	buffer_gl0_inv
	v_cmpx_gt_u32_e32 29, v116
	s_cbranch_execz .LBB34_131
; %bb.128:
	v_dual_mov_b32 v1, 0 :: v_dual_add_nc_u32 v8, 0x230, v17
	v_dual_mov_b32 v2, 0 :: v_dual_add_nc_u32 v7, -1, v116
	v_or_b32_e32 v9, 8, v13
	s_mov_b32 s3, 0
	s_delay_alu instid0(VALU_DEP_2)
	v_dual_mov_b32 v4, v2 :: v_dual_mov_b32 v3, v1
	.p2align	6
.LBB34_129:                             ; =>This Inner Loop Header: Depth=1
	scratch_load_b128 v[18:21], v9, off offset:-8
	ds_load_b128 v[22:25], v8
	v_add_nc_u32_e32 v7, 1, v7
	v_add_nc_u32_e32 v8, 16, v8
	;; [unrolled: 1-line block ×3, first 2 shown]
	s_delay_alu instid0(VALU_DEP_3) | instskip(SKIP_4) | instid1(VALU_DEP_2)
	v_cmp_lt_u32_e32 vcc_lo, 27, v7
	s_or_b32 s3, vcc_lo, s3
	s_waitcnt vmcnt(0) lgkmcnt(0)
	v_mul_f64 v[10:11], v[24:25], v[20:21]
	v_mul_f64 v[14:15], v[22:23], v[20:21]
	v_fma_f64 v[10:11], v[22:23], v[18:19], -v[10:11]
	s_delay_alu instid0(VALU_DEP_2) | instskip(NEXT) | instid1(VALU_DEP_2)
	v_fma_f64 v[14:15], v[24:25], v[18:19], v[14:15]
	v_add_f64 v[3:4], v[3:4], v[10:11]
	s_delay_alu instid0(VALU_DEP_2)
	v_add_f64 v[1:2], v[1:2], v[14:15]
	s_and_not1_b32 exec_lo, exec_lo, s3
	s_cbranch_execnz .LBB34_129
; %bb.130:
	s_or_b32 exec_lo, exec_lo, s3
	v_mov_b32_e32 v7, 0
	ds_load_b128 v[7:10], v7 offset:464
	s_waitcnt lgkmcnt(0)
	v_mul_f64 v[11:12], v[1:2], v[9:10]
	v_mul_f64 v[14:15], v[3:4], v[9:10]
	s_delay_alu instid0(VALU_DEP_2) | instskip(NEXT) | instid1(VALU_DEP_2)
	v_fma_f64 v[9:10], v[3:4], v[7:8], -v[11:12]
	v_fma_f64 v[11:12], v[1:2], v[7:8], v[14:15]
	scratch_store_b128 off, v[9:12], off offset:464
.LBB34_131:
	s_or_b32 exec_lo, exec_lo, s2
	s_waitcnt_vscnt null, 0x0
	s_barrier
	buffer_gl0_inv
	scratch_load_b128 v[1:4], v143, off
	s_mov_b32 s2, exec_lo
	s_waitcnt vmcnt(0)
	ds_store_b128 v5, v[1:4]
	s_waitcnt lgkmcnt(0)
	s_barrier
	buffer_gl0_inv
	v_cmpx_gt_u32_e32 30, v116
	s_cbranch_execz .LBB34_135
; %bb.132:
	v_dual_mov_b32 v1, 0 :: v_dual_add_nc_u32 v8, 0x230, v17
	v_dual_mov_b32 v2, 0 :: v_dual_add_nc_u32 v7, -1, v116
	v_or_b32_e32 v9, 8, v13
	s_mov_b32 s3, 0
	s_delay_alu instid0(VALU_DEP_2)
	v_dual_mov_b32 v4, v2 :: v_dual_mov_b32 v3, v1
	.p2align	6
.LBB34_133:                             ; =>This Inner Loop Header: Depth=1
	scratch_load_b128 v[18:21], v9, off offset:-8
	ds_load_b128 v[22:25], v8
	v_add_nc_u32_e32 v7, 1, v7
	v_add_nc_u32_e32 v8, 16, v8
	;; [unrolled: 1-line block ×3, first 2 shown]
	s_delay_alu instid0(VALU_DEP_3) | instskip(SKIP_4) | instid1(VALU_DEP_2)
	v_cmp_lt_u32_e32 vcc_lo, 28, v7
	s_or_b32 s3, vcc_lo, s3
	s_waitcnt vmcnt(0) lgkmcnt(0)
	v_mul_f64 v[10:11], v[24:25], v[20:21]
	v_mul_f64 v[14:15], v[22:23], v[20:21]
	v_fma_f64 v[10:11], v[22:23], v[18:19], -v[10:11]
	s_delay_alu instid0(VALU_DEP_2) | instskip(NEXT) | instid1(VALU_DEP_2)
	v_fma_f64 v[14:15], v[24:25], v[18:19], v[14:15]
	v_add_f64 v[3:4], v[3:4], v[10:11]
	s_delay_alu instid0(VALU_DEP_2)
	v_add_f64 v[1:2], v[1:2], v[14:15]
	s_and_not1_b32 exec_lo, exec_lo, s3
	s_cbranch_execnz .LBB34_133
; %bb.134:
	s_or_b32 exec_lo, exec_lo, s3
	v_mov_b32_e32 v7, 0
	ds_load_b128 v[7:10], v7 offset:480
	s_waitcnt lgkmcnt(0)
	v_mul_f64 v[11:12], v[1:2], v[9:10]
	v_mul_f64 v[14:15], v[3:4], v[9:10]
	s_delay_alu instid0(VALU_DEP_2) | instskip(NEXT) | instid1(VALU_DEP_2)
	v_fma_f64 v[9:10], v[3:4], v[7:8], -v[11:12]
	v_fma_f64 v[11:12], v[1:2], v[7:8], v[14:15]
	scratch_store_b128 off, v[9:12], off offset:480
.LBB34_135:
	s_or_b32 exec_lo, exec_lo, s2
	s_waitcnt_vscnt null, 0x0
	s_barrier
	buffer_gl0_inv
	scratch_load_b128 v[1:4], v140, off
	s_mov_b32 s2, exec_lo
	s_waitcnt vmcnt(0)
	ds_store_b128 v5, v[1:4]
	s_waitcnt lgkmcnt(0)
	s_barrier
	buffer_gl0_inv
	v_cmpx_gt_u32_e32 31, v116
	s_cbranch_execz .LBB34_139
; %bb.136:
	v_dual_mov_b32 v1, 0 :: v_dual_add_nc_u32 v8, 0x230, v17
	v_dual_mov_b32 v2, 0 :: v_dual_add_nc_u32 v7, -1, v116
	v_or_b32_e32 v9, 8, v13
	s_mov_b32 s3, 0
	s_delay_alu instid0(VALU_DEP_2)
	v_dual_mov_b32 v4, v2 :: v_dual_mov_b32 v3, v1
	.p2align	6
.LBB34_137:                             ; =>This Inner Loop Header: Depth=1
	scratch_load_b128 v[18:21], v9, off offset:-8
	ds_load_b128 v[22:25], v8
	v_add_nc_u32_e32 v7, 1, v7
	v_add_nc_u32_e32 v8, 16, v8
	;; [unrolled: 1-line block ×3, first 2 shown]
	s_delay_alu instid0(VALU_DEP_3) | instskip(SKIP_4) | instid1(VALU_DEP_2)
	v_cmp_lt_u32_e32 vcc_lo, 29, v7
	s_or_b32 s3, vcc_lo, s3
	s_waitcnt vmcnt(0) lgkmcnt(0)
	v_mul_f64 v[10:11], v[24:25], v[20:21]
	v_mul_f64 v[14:15], v[22:23], v[20:21]
	v_fma_f64 v[10:11], v[22:23], v[18:19], -v[10:11]
	s_delay_alu instid0(VALU_DEP_2) | instskip(NEXT) | instid1(VALU_DEP_2)
	v_fma_f64 v[14:15], v[24:25], v[18:19], v[14:15]
	v_add_f64 v[3:4], v[3:4], v[10:11]
	s_delay_alu instid0(VALU_DEP_2)
	v_add_f64 v[1:2], v[1:2], v[14:15]
	s_and_not1_b32 exec_lo, exec_lo, s3
	s_cbranch_execnz .LBB34_137
; %bb.138:
	s_or_b32 exec_lo, exec_lo, s3
	v_mov_b32_e32 v7, 0
	ds_load_b128 v[7:10], v7 offset:496
	s_waitcnt lgkmcnt(0)
	v_mul_f64 v[11:12], v[1:2], v[9:10]
	v_mul_f64 v[14:15], v[3:4], v[9:10]
	s_delay_alu instid0(VALU_DEP_2) | instskip(NEXT) | instid1(VALU_DEP_2)
	v_fma_f64 v[9:10], v[3:4], v[7:8], -v[11:12]
	v_fma_f64 v[11:12], v[1:2], v[7:8], v[14:15]
	scratch_store_b128 off, v[9:12], off offset:496
.LBB34_139:
	s_or_b32 exec_lo, exec_lo, s2
	s_waitcnt_vscnt null, 0x0
	s_barrier
	buffer_gl0_inv
	scratch_load_b128 v[1:4], v137, off
	s_mov_b32 s2, exec_lo
	s_waitcnt vmcnt(0)
	ds_store_b128 v5, v[1:4]
	s_waitcnt lgkmcnt(0)
	s_barrier
	buffer_gl0_inv
	v_cmpx_gt_u32_e32 32, v116
	s_cbranch_execz .LBB34_143
; %bb.140:
	v_dual_mov_b32 v1, 0 :: v_dual_add_nc_u32 v8, 0x230, v17
	v_dual_mov_b32 v2, 0 :: v_dual_add_nc_u32 v7, -1, v116
	v_or_b32_e32 v9, 8, v13
	s_mov_b32 s3, 0
	s_delay_alu instid0(VALU_DEP_2)
	v_dual_mov_b32 v4, v2 :: v_dual_mov_b32 v3, v1
	.p2align	6
.LBB34_141:                             ; =>This Inner Loop Header: Depth=1
	scratch_load_b128 v[18:21], v9, off offset:-8
	ds_load_b128 v[22:25], v8
	v_add_nc_u32_e32 v7, 1, v7
	v_add_nc_u32_e32 v8, 16, v8
	;; [unrolled: 1-line block ×3, first 2 shown]
	s_delay_alu instid0(VALU_DEP_3) | instskip(SKIP_4) | instid1(VALU_DEP_2)
	v_cmp_lt_u32_e32 vcc_lo, 30, v7
	s_or_b32 s3, vcc_lo, s3
	s_waitcnt vmcnt(0) lgkmcnt(0)
	v_mul_f64 v[10:11], v[24:25], v[20:21]
	v_mul_f64 v[14:15], v[22:23], v[20:21]
	v_fma_f64 v[10:11], v[22:23], v[18:19], -v[10:11]
	s_delay_alu instid0(VALU_DEP_2) | instskip(NEXT) | instid1(VALU_DEP_2)
	v_fma_f64 v[14:15], v[24:25], v[18:19], v[14:15]
	v_add_f64 v[3:4], v[3:4], v[10:11]
	s_delay_alu instid0(VALU_DEP_2)
	v_add_f64 v[1:2], v[1:2], v[14:15]
	s_and_not1_b32 exec_lo, exec_lo, s3
	s_cbranch_execnz .LBB34_141
; %bb.142:
	s_or_b32 exec_lo, exec_lo, s3
	v_mov_b32_e32 v7, 0
	ds_load_b128 v[7:10], v7 offset:512
	s_waitcnt lgkmcnt(0)
	v_mul_f64 v[11:12], v[1:2], v[9:10]
	v_mul_f64 v[14:15], v[3:4], v[9:10]
	s_delay_alu instid0(VALU_DEP_2) | instskip(NEXT) | instid1(VALU_DEP_2)
	v_fma_f64 v[9:10], v[3:4], v[7:8], -v[11:12]
	v_fma_f64 v[11:12], v[1:2], v[7:8], v[14:15]
	scratch_store_b128 off, v[9:12], off offset:512
.LBB34_143:
	s_or_b32 exec_lo, exec_lo, s2
	s_waitcnt_vscnt null, 0x0
	s_barrier
	buffer_gl0_inv
	scratch_load_b128 v[1:4], v132, off
	s_mov_b32 s2, exec_lo
	s_waitcnt vmcnt(0)
	ds_store_b128 v5, v[1:4]
	s_waitcnt lgkmcnt(0)
	s_barrier
	buffer_gl0_inv
	v_cmpx_gt_u32_e32 33, v116
	s_cbranch_execz .LBB34_147
; %bb.144:
	v_dual_mov_b32 v1, 0 :: v_dual_add_nc_u32 v8, 0x230, v17
	v_dual_mov_b32 v2, 0 :: v_dual_add_nc_u32 v7, -1, v116
	v_or_b32_e32 v9, 8, v13
	s_mov_b32 s3, 0
	s_delay_alu instid0(VALU_DEP_2)
	v_dual_mov_b32 v4, v2 :: v_dual_mov_b32 v3, v1
	.p2align	6
.LBB34_145:                             ; =>This Inner Loop Header: Depth=1
	scratch_load_b128 v[14:17], v9, off offset:-8
	ds_load_b128 v[18:21], v8
	v_add_nc_u32_e32 v7, 1, v7
	v_add_nc_u32_e32 v8, 16, v8
	;; [unrolled: 1-line block ×3, first 2 shown]
	s_delay_alu instid0(VALU_DEP_3) | instskip(SKIP_4) | instid1(VALU_DEP_2)
	v_cmp_lt_u32_e32 vcc_lo, 31, v7
	s_or_b32 s3, vcc_lo, s3
	s_waitcnt vmcnt(0) lgkmcnt(0)
	v_mul_f64 v[10:11], v[20:21], v[16:17]
	v_mul_f64 v[16:17], v[18:19], v[16:17]
	v_fma_f64 v[10:11], v[18:19], v[14:15], -v[10:11]
	s_delay_alu instid0(VALU_DEP_2) | instskip(NEXT) | instid1(VALU_DEP_2)
	v_fma_f64 v[14:15], v[20:21], v[14:15], v[16:17]
	v_add_f64 v[3:4], v[3:4], v[10:11]
	s_delay_alu instid0(VALU_DEP_2)
	v_add_f64 v[1:2], v[1:2], v[14:15]
	s_and_not1_b32 exec_lo, exec_lo, s3
	s_cbranch_execnz .LBB34_145
; %bb.146:
	s_or_b32 exec_lo, exec_lo, s3
	v_mov_b32_e32 v7, 0
	ds_load_b128 v[7:10], v7 offset:528
	s_waitcnt lgkmcnt(0)
	v_mul_f64 v[11:12], v[1:2], v[9:10]
	v_mul_f64 v[14:15], v[3:4], v[9:10]
	s_delay_alu instid0(VALU_DEP_2) | instskip(NEXT) | instid1(VALU_DEP_2)
	v_fma_f64 v[9:10], v[3:4], v[7:8], -v[11:12]
	v_fma_f64 v[11:12], v[1:2], v[7:8], v[14:15]
	scratch_store_b128 off, v[9:12], off offset:528
.LBB34_147:
	s_or_b32 exec_lo, exec_lo, s2
	s_waitcnt_vscnt null, 0x0
	s_barrier
	buffer_gl0_inv
	scratch_load_b128 v[1:4], v129, off
	s_mov_b32 s2, exec_lo
	s_waitcnt vmcnt(0)
	ds_store_b128 v5, v[1:4]
	s_waitcnt lgkmcnt(0)
	s_barrier
	buffer_gl0_inv
	v_cmpx_ne_u32_e32 34, v116
	s_cbranch_execz .LBB34_151
; %bb.148:
	v_mov_b32_e32 v1, 0
	v_mov_b32_e32 v2, 0
	v_or_b32_e32 v7, 8, v13
	s_mov_b32 s3, 0
	s_delay_alu instid0(VALU_DEP_2)
	v_dual_mov_b32 v4, v2 :: v_dual_mov_b32 v3, v1
	.p2align	6
.LBB34_149:                             ; =>This Inner Loop Header: Depth=1
	scratch_load_b128 v[8:11], v7, off offset:-8
	ds_load_b128 v[12:15], v5
	v_add_nc_u32_e32 v6, 1, v6
	v_add_nc_u32_e32 v5, 16, v5
	;; [unrolled: 1-line block ×3, first 2 shown]
	s_delay_alu instid0(VALU_DEP_3) | instskip(SKIP_4) | instid1(VALU_DEP_2)
	v_cmp_lt_u32_e32 vcc_lo, 32, v6
	s_or_b32 s3, vcc_lo, s3
	s_waitcnt vmcnt(0) lgkmcnt(0)
	v_mul_f64 v[16:17], v[14:15], v[10:11]
	v_mul_f64 v[10:11], v[12:13], v[10:11]
	v_fma_f64 v[12:13], v[12:13], v[8:9], -v[16:17]
	s_delay_alu instid0(VALU_DEP_2) | instskip(NEXT) | instid1(VALU_DEP_2)
	v_fma_f64 v[8:9], v[14:15], v[8:9], v[10:11]
	v_add_f64 v[3:4], v[3:4], v[12:13]
	s_delay_alu instid0(VALU_DEP_2)
	v_add_f64 v[1:2], v[1:2], v[8:9]
	s_and_not1_b32 exec_lo, exec_lo, s3
	s_cbranch_execnz .LBB34_149
; %bb.150:
	s_or_b32 exec_lo, exec_lo, s3
	v_mov_b32_e32 v5, 0
	ds_load_b128 v[5:8], v5 offset:544
	s_waitcnt lgkmcnt(0)
	v_mul_f64 v[9:10], v[1:2], v[7:8]
	v_mul_f64 v[7:8], v[3:4], v[7:8]
	s_delay_alu instid0(VALU_DEP_2) | instskip(NEXT) | instid1(VALU_DEP_2)
	v_fma_f64 v[3:4], v[3:4], v[5:6], -v[9:10]
	v_fma_f64 v[5:6], v[1:2], v[5:6], v[7:8]
	scratch_store_b128 off, v[3:6], off offset:544
.LBB34_151:
	s_or_b32 exec_lo, exec_lo, s2
	s_mov_b32 s3, -1
	s_waitcnt_vscnt null, 0x0
	s_barrier
	buffer_gl0_inv
.LBB34_152:
	s_and_b32 vcc_lo, exec_lo, s3
	s_cbranch_vccz .LBB34_154
; %bb.153:
	s_lshl_b64 s[2:3], s[18:19], 2
	v_mov_b32_e32 v1, 0
	s_add_u32 s2, s6, s2
	s_addc_u32 s3, s7, s3
	global_load_b32 v1, v1, s[2:3]
	s_waitcnt vmcnt(0)
	v_cmp_ne_u32_e32 vcc_lo, 0, v1
	s_cbranch_vccz .LBB34_155
.LBB34_154:
	s_endpgm
.LBB34_155:
	v_lshl_add_u32 v151, v116, 4, 0x230
	s_mov_b32 s2, exec_lo
	v_cmpx_eq_u32_e32 34, v116
	s_cbranch_execz .LBB34_157
; %bb.156:
	scratch_load_b128 v[1:4], v132, off
	v_mov_b32_e32 v5, 0
	s_delay_alu instid0(VALU_DEP_1)
	v_mov_b32_e32 v6, v5
	v_mov_b32_e32 v7, v5
	;; [unrolled: 1-line block ×3, first 2 shown]
	scratch_store_b128 off, v[5:8], off offset:528
	s_waitcnt vmcnt(0)
	ds_store_b128 v151, v[1:4]
.LBB34_157:
	s_or_b32 exec_lo, exec_lo, s2
	s_waitcnt lgkmcnt(0)
	s_waitcnt_vscnt null, 0x0
	s_barrier
	buffer_gl0_inv
	s_clause 0x1
	scratch_load_b128 v[2:5], off, off offset:544
	scratch_load_b128 v[6:9], off, off offset:528
	v_mov_b32_e32 v1, 0
	s_mov_b32 s2, exec_lo
	ds_load_b128 v[10:13], v1 offset:1104
	s_waitcnt vmcnt(1) lgkmcnt(0)
	v_mul_f64 v[14:15], v[12:13], v[4:5]
	v_mul_f64 v[4:5], v[10:11], v[4:5]
	s_delay_alu instid0(VALU_DEP_2) | instskip(NEXT) | instid1(VALU_DEP_2)
	v_fma_f64 v[10:11], v[10:11], v[2:3], -v[14:15]
	v_fma_f64 v[2:3], v[12:13], v[2:3], v[4:5]
	s_delay_alu instid0(VALU_DEP_2) | instskip(NEXT) | instid1(VALU_DEP_2)
	v_add_f64 v[4:5], v[10:11], 0
	v_add_f64 v[10:11], v[2:3], 0
	s_waitcnt vmcnt(0)
	s_delay_alu instid0(VALU_DEP_2) | instskip(NEXT) | instid1(VALU_DEP_2)
	v_add_f64 v[2:3], v[6:7], -v[4:5]
	v_add_f64 v[4:5], v[8:9], -v[10:11]
	scratch_store_b128 off, v[2:5], off offset:528
	v_cmpx_lt_u32_e32 32, v116
	s_cbranch_execz .LBB34_159
; %bb.158:
	scratch_load_b128 v[5:8], v137, off
	v_mov_b32_e32 v2, v1
	v_mov_b32_e32 v3, v1
	;; [unrolled: 1-line block ×3, first 2 shown]
	scratch_store_b128 off, v[1:4], off offset:512
	s_waitcnt vmcnt(0)
	ds_store_b128 v151, v[5:8]
.LBB34_159:
	s_or_b32 exec_lo, exec_lo, s2
	s_waitcnt lgkmcnt(0)
	s_waitcnt_vscnt null, 0x0
	s_barrier
	buffer_gl0_inv
	s_clause 0x2
	scratch_load_b128 v[2:5], off, off offset:528
	scratch_load_b128 v[6:9], off, off offset:544
	;; [unrolled: 1-line block ×3, first 2 shown]
	ds_load_b128 v[14:17], v1 offset:1088
	ds_load_b128 v[18:21], v1 offset:1104
	s_mov_b32 s2, exec_lo
	s_waitcnt vmcnt(2) lgkmcnt(1)
	v_mul_f64 v[22:23], v[16:17], v[4:5]
	v_mul_f64 v[4:5], v[14:15], v[4:5]
	s_waitcnt vmcnt(1) lgkmcnt(0)
	v_mul_f64 v[24:25], v[18:19], v[8:9]
	v_mul_f64 v[8:9], v[20:21], v[8:9]
	s_delay_alu instid0(VALU_DEP_4) | instskip(NEXT) | instid1(VALU_DEP_4)
	v_fma_f64 v[14:15], v[14:15], v[2:3], -v[22:23]
	v_fma_f64 v[1:2], v[16:17], v[2:3], v[4:5]
	s_delay_alu instid0(VALU_DEP_4) | instskip(NEXT) | instid1(VALU_DEP_4)
	v_fma_f64 v[3:4], v[20:21], v[6:7], v[24:25]
	v_fma_f64 v[5:6], v[18:19], v[6:7], -v[8:9]
	s_delay_alu instid0(VALU_DEP_4) | instskip(NEXT) | instid1(VALU_DEP_4)
	v_add_f64 v[7:8], v[14:15], 0
	v_add_f64 v[1:2], v[1:2], 0
	s_delay_alu instid0(VALU_DEP_2) | instskip(NEXT) | instid1(VALU_DEP_2)
	v_add_f64 v[5:6], v[7:8], v[5:6]
	v_add_f64 v[3:4], v[1:2], v[3:4]
	s_waitcnt vmcnt(0)
	s_delay_alu instid0(VALU_DEP_2) | instskip(NEXT) | instid1(VALU_DEP_2)
	v_add_f64 v[1:2], v[10:11], -v[5:6]
	v_add_f64 v[3:4], v[12:13], -v[3:4]
	scratch_store_b128 off, v[1:4], off offset:512
	v_cmpx_lt_u32_e32 31, v116
	s_cbranch_execz .LBB34_161
; %bb.160:
	scratch_load_b128 v[1:4], v140, off
	v_mov_b32_e32 v5, 0
	s_delay_alu instid0(VALU_DEP_1)
	v_mov_b32_e32 v6, v5
	v_mov_b32_e32 v7, v5
	;; [unrolled: 1-line block ×3, first 2 shown]
	scratch_store_b128 off, v[5:8], off offset:496
	s_waitcnt vmcnt(0)
	ds_store_b128 v151, v[1:4]
.LBB34_161:
	s_or_b32 exec_lo, exec_lo, s2
	s_waitcnt lgkmcnt(0)
	s_waitcnt_vscnt null, 0x0
	s_barrier
	buffer_gl0_inv
	s_clause 0x3
	scratch_load_b128 v[2:5], off, off offset:512
	scratch_load_b128 v[6:9], off, off offset:528
	;; [unrolled: 1-line block ×4, first 2 shown]
	v_mov_b32_e32 v1, 0
	ds_load_b128 v[18:21], v1 offset:1072
	ds_load_b128 v[22:25], v1 offset:1088
	s_mov_b32 s2, exec_lo
	s_waitcnt vmcnt(3) lgkmcnt(1)
	v_mul_f64 v[26:27], v[20:21], v[4:5]
	v_mul_f64 v[4:5], v[18:19], v[4:5]
	s_waitcnt vmcnt(2) lgkmcnt(0)
	v_mul_f64 v[28:29], v[22:23], v[8:9]
	v_mul_f64 v[8:9], v[24:25], v[8:9]
	s_delay_alu instid0(VALU_DEP_4) | instskip(NEXT) | instid1(VALU_DEP_4)
	v_fma_f64 v[18:19], v[18:19], v[2:3], -v[26:27]
	v_fma_f64 v[20:21], v[20:21], v[2:3], v[4:5]
	ds_load_b128 v[2:5], v1 offset:1104
	v_fma_f64 v[24:25], v[24:25], v[6:7], v[28:29]
	v_fma_f64 v[6:7], v[22:23], v[6:7], -v[8:9]
	s_waitcnt vmcnt(1) lgkmcnt(0)
	v_mul_f64 v[26:27], v[2:3], v[12:13]
	v_mul_f64 v[12:13], v[4:5], v[12:13]
	v_add_f64 v[8:9], v[18:19], 0
	v_add_f64 v[18:19], v[20:21], 0
	s_delay_alu instid0(VALU_DEP_4) | instskip(NEXT) | instid1(VALU_DEP_4)
	v_fma_f64 v[4:5], v[4:5], v[10:11], v[26:27]
	v_fma_f64 v[2:3], v[2:3], v[10:11], -v[12:13]
	s_delay_alu instid0(VALU_DEP_4) | instskip(NEXT) | instid1(VALU_DEP_4)
	v_add_f64 v[6:7], v[8:9], v[6:7]
	v_add_f64 v[8:9], v[18:19], v[24:25]
	s_delay_alu instid0(VALU_DEP_2) | instskip(NEXT) | instid1(VALU_DEP_2)
	v_add_f64 v[2:3], v[6:7], v[2:3]
	v_add_f64 v[4:5], v[8:9], v[4:5]
	s_waitcnt vmcnt(0)
	s_delay_alu instid0(VALU_DEP_2) | instskip(NEXT) | instid1(VALU_DEP_2)
	v_add_f64 v[2:3], v[14:15], -v[2:3]
	v_add_f64 v[4:5], v[16:17], -v[4:5]
	scratch_store_b128 off, v[2:5], off offset:496
	v_cmpx_lt_u32_e32 30, v116
	s_cbranch_execz .LBB34_163
; %bb.162:
	scratch_load_b128 v[5:8], v143, off
	v_mov_b32_e32 v2, v1
	v_mov_b32_e32 v3, v1
	;; [unrolled: 1-line block ×3, first 2 shown]
	scratch_store_b128 off, v[1:4], off offset:480
	s_waitcnt vmcnt(0)
	ds_store_b128 v151, v[5:8]
.LBB34_163:
	s_or_b32 exec_lo, exec_lo, s2
	s_waitcnt lgkmcnt(0)
	s_waitcnt_vscnt null, 0x0
	s_barrier
	buffer_gl0_inv
	s_clause 0x4
	scratch_load_b128 v[2:5], off, off offset:496
	scratch_load_b128 v[6:9], off, off offset:512
	;; [unrolled: 1-line block ×5, first 2 shown]
	ds_load_b128 v[22:25], v1 offset:1056
	ds_load_b128 v[26:29], v1 offset:1072
	s_mov_b32 s2, exec_lo
	s_waitcnt vmcnt(4) lgkmcnt(1)
	v_mul_f64 v[30:31], v[24:25], v[4:5]
	v_mul_f64 v[4:5], v[22:23], v[4:5]
	s_waitcnt vmcnt(3) lgkmcnt(0)
	v_mul_f64 v[32:33], v[26:27], v[8:9]
	v_mul_f64 v[8:9], v[28:29], v[8:9]
	s_delay_alu instid0(VALU_DEP_4) | instskip(NEXT) | instid1(VALU_DEP_4)
	v_fma_f64 v[30:31], v[22:23], v[2:3], -v[30:31]
	v_fma_f64 v[34:35], v[24:25], v[2:3], v[4:5]
	ds_load_b128 v[2:5], v1 offset:1088
	ds_load_b128 v[22:25], v1 offset:1104
	v_fma_f64 v[28:29], v[28:29], v[6:7], v[32:33]
	v_fma_f64 v[6:7], v[26:27], v[6:7], -v[8:9]
	s_waitcnt vmcnt(2) lgkmcnt(1)
	v_mul_f64 v[36:37], v[2:3], v[12:13]
	v_mul_f64 v[12:13], v[4:5], v[12:13]
	v_add_f64 v[8:9], v[30:31], 0
	v_add_f64 v[26:27], v[34:35], 0
	s_waitcnt vmcnt(1) lgkmcnt(0)
	v_mul_f64 v[30:31], v[22:23], v[16:17]
	v_mul_f64 v[16:17], v[24:25], v[16:17]
	v_fma_f64 v[4:5], v[4:5], v[10:11], v[36:37]
	v_fma_f64 v[1:2], v[2:3], v[10:11], -v[12:13]
	v_add_f64 v[6:7], v[8:9], v[6:7]
	v_add_f64 v[8:9], v[26:27], v[28:29]
	v_fma_f64 v[10:11], v[24:25], v[14:15], v[30:31]
	v_fma_f64 v[12:13], v[22:23], v[14:15], -v[16:17]
	s_delay_alu instid0(VALU_DEP_4) | instskip(NEXT) | instid1(VALU_DEP_4)
	v_add_f64 v[1:2], v[6:7], v[1:2]
	v_add_f64 v[3:4], v[8:9], v[4:5]
	s_delay_alu instid0(VALU_DEP_2) | instskip(NEXT) | instid1(VALU_DEP_2)
	v_add_f64 v[1:2], v[1:2], v[12:13]
	v_add_f64 v[3:4], v[3:4], v[10:11]
	s_waitcnt vmcnt(0)
	s_delay_alu instid0(VALU_DEP_2) | instskip(NEXT) | instid1(VALU_DEP_2)
	v_add_f64 v[1:2], v[18:19], -v[1:2]
	v_add_f64 v[3:4], v[20:21], -v[3:4]
	scratch_store_b128 off, v[1:4], off offset:480
	v_cmpx_lt_u32_e32 29, v116
	s_cbranch_execz .LBB34_165
; %bb.164:
	scratch_load_b128 v[1:4], v144, off
	v_mov_b32_e32 v5, 0
	s_delay_alu instid0(VALU_DEP_1)
	v_mov_b32_e32 v6, v5
	v_mov_b32_e32 v7, v5
	;; [unrolled: 1-line block ×3, first 2 shown]
	scratch_store_b128 off, v[5:8], off offset:464
	s_waitcnt vmcnt(0)
	ds_store_b128 v151, v[1:4]
.LBB34_165:
	s_or_b32 exec_lo, exec_lo, s2
	s_waitcnt lgkmcnt(0)
	s_waitcnt_vscnt null, 0x0
	s_barrier
	buffer_gl0_inv
	s_clause 0x5
	scratch_load_b128 v[2:5], off, off offset:480
	scratch_load_b128 v[6:9], off, off offset:496
	scratch_load_b128 v[10:13], off, off offset:512
	scratch_load_b128 v[14:17], off, off offset:528
	scratch_load_b128 v[18:21], off, off offset:544
	scratch_load_b128 v[22:25], off, off offset:464
	v_mov_b32_e32 v1, 0
	ds_load_b128 v[26:29], v1 offset:1040
	ds_load_b128 v[30:33], v1 offset:1056
	s_mov_b32 s2, exec_lo
	s_waitcnt vmcnt(5) lgkmcnt(1)
	v_mul_f64 v[34:35], v[28:29], v[4:5]
	v_mul_f64 v[4:5], v[26:27], v[4:5]
	s_waitcnt vmcnt(4) lgkmcnt(0)
	v_mul_f64 v[36:37], v[30:31], v[8:9]
	v_mul_f64 v[8:9], v[32:33], v[8:9]
	s_delay_alu instid0(VALU_DEP_4) | instskip(NEXT) | instid1(VALU_DEP_4)
	v_fma_f64 v[34:35], v[26:27], v[2:3], -v[34:35]
	v_fma_f64 v[38:39], v[28:29], v[2:3], v[4:5]
	ds_load_b128 v[2:5], v1 offset:1072
	ds_load_b128 v[26:29], v1 offset:1088
	v_fma_f64 v[32:33], v[32:33], v[6:7], v[36:37]
	v_fma_f64 v[6:7], v[30:31], v[6:7], -v[8:9]
	s_waitcnt vmcnt(3) lgkmcnt(1)
	v_mul_f64 v[40:41], v[2:3], v[12:13]
	v_mul_f64 v[12:13], v[4:5], v[12:13]
	v_add_f64 v[8:9], v[34:35], 0
	v_add_f64 v[30:31], v[38:39], 0
	s_waitcnt vmcnt(2) lgkmcnt(0)
	v_mul_f64 v[34:35], v[26:27], v[16:17]
	v_mul_f64 v[16:17], v[28:29], v[16:17]
	v_fma_f64 v[36:37], v[4:5], v[10:11], v[40:41]
	v_fma_f64 v[10:11], v[2:3], v[10:11], -v[12:13]
	ds_load_b128 v[2:5], v1 offset:1104
	v_add_f64 v[6:7], v[8:9], v[6:7]
	v_add_f64 v[8:9], v[30:31], v[32:33]
	v_fma_f64 v[28:29], v[28:29], v[14:15], v[34:35]
	v_fma_f64 v[14:15], v[26:27], v[14:15], -v[16:17]
	s_waitcnt vmcnt(1) lgkmcnt(0)
	v_mul_f64 v[12:13], v[2:3], v[20:21]
	v_mul_f64 v[20:21], v[4:5], v[20:21]
	v_add_f64 v[6:7], v[6:7], v[10:11]
	v_add_f64 v[8:9], v[8:9], v[36:37]
	s_delay_alu instid0(VALU_DEP_4) | instskip(NEXT) | instid1(VALU_DEP_4)
	v_fma_f64 v[4:5], v[4:5], v[18:19], v[12:13]
	v_fma_f64 v[2:3], v[2:3], v[18:19], -v[20:21]
	s_delay_alu instid0(VALU_DEP_4) | instskip(NEXT) | instid1(VALU_DEP_4)
	v_add_f64 v[6:7], v[6:7], v[14:15]
	v_add_f64 v[8:9], v[8:9], v[28:29]
	s_delay_alu instid0(VALU_DEP_2) | instskip(NEXT) | instid1(VALU_DEP_2)
	v_add_f64 v[2:3], v[6:7], v[2:3]
	v_add_f64 v[4:5], v[8:9], v[4:5]
	s_waitcnt vmcnt(0)
	s_delay_alu instid0(VALU_DEP_2) | instskip(NEXT) | instid1(VALU_DEP_2)
	v_add_f64 v[2:3], v[22:23], -v[2:3]
	v_add_f64 v[4:5], v[24:25], -v[4:5]
	scratch_store_b128 off, v[2:5], off offset:464
	v_cmpx_lt_u32_e32 28, v116
	s_cbranch_execz .LBB34_167
; %bb.166:
	scratch_load_b128 v[5:8], v145, off
	v_mov_b32_e32 v2, v1
	v_mov_b32_e32 v3, v1
	;; [unrolled: 1-line block ×3, first 2 shown]
	scratch_store_b128 off, v[1:4], off offset:448
	s_waitcnt vmcnt(0)
	ds_store_b128 v151, v[5:8]
.LBB34_167:
	s_or_b32 exec_lo, exec_lo, s2
	s_waitcnt lgkmcnt(0)
	s_waitcnt_vscnt null, 0x0
	s_barrier
	buffer_gl0_inv
	s_clause 0x5
	scratch_load_b128 v[2:5], off, off offset:464
	scratch_load_b128 v[6:9], off, off offset:480
	;; [unrolled: 1-line block ×6, first 2 shown]
	ds_load_b128 v[26:29], v1 offset:1024
	ds_load_b128 v[34:37], v1 offset:1040
	scratch_load_b128 v[30:33], off, off offset:448
	s_mov_b32 s2, exec_lo
	s_waitcnt vmcnt(6) lgkmcnt(1)
	v_mul_f64 v[38:39], v[28:29], v[4:5]
	v_mul_f64 v[4:5], v[26:27], v[4:5]
	s_waitcnt vmcnt(5) lgkmcnt(0)
	v_mul_f64 v[40:41], v[34:35], v[8:9]
	v_mul_f64 v[8:9], v[36:37], v[8:9]
	s_delay_alu instid0(VALU_DEP_4) | instskip(NEXT) | instid1(VALU_DEP_4)
	v_fma_f64 v[38:39], v[26:27], v[2:3], -v[38:39]
	v_fma_f64 v[42:43], v[28:29], v[2:3], v[4:5]
	ds_load_b128 v[2:5], v1 offset:1056
	ds_load_b128 v[26:29], v1 offset:1072
	v_fma_f64 v[36:37], v[36:37], v[6:7], v[40:41]
	v_fma_f64 v[6:7], v[34:35], v[6:7], -v[8:9]
	s_waitcnt vmcnt(4) lgkmcnt(1)
	v_mul_f64 v[44:45], v[2:3], v[12:13]
	v_mul_f64 v[12:13], v[4:5], v[12:13]
	v_add_f64 v[8:9], v[38:39], 0
	v_add_f64 v[34:35], v[42:43], 0
	s_waitcnt vmcnt(3) lgkmcnt(0)
	v_mul_f64 v[38:39], v[26:27], v[16:17]
	v_mul_f64 v[16:17], v[28:29], v[16:17]
	v_fma_f64 v[40:41], v[4:5], v[10:11], v[44:45]
	v_fma_f64 v[10:11], v[2:3], v[10:11], -v[12:13]
	v_add_f64 v[12:13], v[8:9], v[6:7]
	v_add_f64 v[34:35], v[34:35], v[36:37]
	ds_load_b128 v[2:5], v1 offset:1088
	ds_load_b128 v[6:9], v1 offset:1104
	v_fma_f64 v[28:29], v[28:29], v[14:15], v[38:39]
	v_fma_f64 v[14:15], v[26:27], v[14:15], -v[16:17]
	s_waitcnt vmcnt(2) lgkmcnt(1)
	v_mul_f64 v[36:37], v[2:3], v[20:21]
	v_mul_f64 v[20:21], v[4:5], v[20:21]
	s_waitcnt vmcnt(1) lgkmcnt(0)
	v_mul_f64 v[16:17], v[6:7], v[24:25]
	v_mul_f64 v[24:25], v[8:9], v[24:25]
	v_add_f64 v[10:11], v[12:13], v[10:11]
	v_add_f64 v[12:13], v[34:35], v[40:41]
	v_fma_f64 v[4:5], v[4:5], v[18:19], v[36:37]
	v_fma_f64 v[1:2], v[2:3], v[18:19], -v[20:21]
	v_fma_f64 v[8:9], v[8:9], v[22:23], v[16:17]
	v_fma_f64 v[6:7], v[6:7], v[22:23], -v[24:25]
	v_add_f64 v[10:11], v[10:11], v[14:15]
	v_add_f64 v[12:13], v[12:13], v[28:29]
	s_delay_alu instid0(VALU_DEP_2) | instskip(NEXT) | instid1(VALU_DEP_2)
	v_add_f64 v[1:2], v[10:11], v[1:2]
	v_add_f64 v[3:4], v[12:13], v[4:5]
	s_delay_alu instid0(VALU_DEP_2) | instskip(NEXT) | instid1(VALU_DEP_2)
	v_add_f64 v[1:2], v[1:2], v[6:7]
	v_add_f64 v[3:4], v[3:4], v[8:9]
	s_waitcnt vmcnt(0)
	s_delay_alu instid0(VALU_DEP_2) | instskip(NEXT) | instid1(VALU_DEP_2)
	v_add_f64 v[1:2], v[30:31], -v[1:2]
	v_add_f64 v[3:4], v[32:33], -v[3:4]
	scratch_store_b128 off, v[1:4], off offset:448
	v_cmpx_lt_u32_e32 27, v116
	s_cbranch_execz .LBB34_169
; %bb.168:
	scratch_load_b128 v[1:4], v146, off
	v_mov_b32_e32 v5, 0
	s_delay_alu instid0(VALU_DEP_1)
	v_mov_b32_e32 v6, v5
	v_mov_b32_e32 v7, v5
	;; [unrolled: 1-line block ×3, first 2 shown]
	scratch_store_b128 off, v[5:8], off offset:432
	s_waitcnt vmcnt(0)
	ds_store_b128 v151, v[1:4]
.LBB34_169:
	s_or_b32 exec_lo, exec_lo, s2
	s_waitcnt lgkmcnt(0)
	s_waitcnt_vscnt null, 0x0
	s_barrier
	buffer_gl0_inv
	s_clause 0x6
	scratch_load_b128 v[2:5], off, off offset:448
	scratch_load_b128 v[6:9], off, off offset:464
	;; [unrolled: 1-line block ×7, first 2 shown]
	v_mov_b32_e32 v1, 0
	scratch_load_b128 v[34:37], off, off offset:432
	s_mov_b32 s2, exec_lo
	ds_load_b128 v[30:33], v1 offset:1008
	ds_load_b128 v[38:41], v1 offset:1024
	s_waitcnt vmcnt(7) lgkmcnt(1)
	v_mul_f64 v[42:43], v[32:33], v[4:5]
	v_mul_f64 v[4:5], v[30:31], v[4:5]
	s_waitcnt vmcnt(6) lgkmcnt(0)
	v_mul_f64 v[44:45], v[38:39], v[8:9]
	v_mul_f64 v[8:9], v[40:41], v[8:9]
	s_delay_alu instid0(VALU_DEP_4) | instskip(NEXT) | instid1(VALU_DEP_4)
	v_fma_f64 v[42:43], v[30:31], v[2:3], -v[42:43]
	v_fma_f64 v[152:153], v[32:33], v[2:3], v[4:5]
	ds_load_b128 v[2:5], v1 offset:1040
	ds_load_b128 v[30:33], v1 offset:1056
	v_fma_f64 v[40:41], v[40:41], v[6:7], v[44:45]
	v_fma_f64 v[6:7], v[38:39], v[6:7], -v[8:9]
	s_waitcnt vmcnt(5) lgkmcnt(1)
	v_mul_f64 v[154:155], v[2:3], v[12:13]
	v_mul_f64 v[12:13], v[4:5], v[12:13]
	v_add_f64 v[8:9], v[42:43], 0
	v_add_f64 v[38:39], v[152:153], 0
	s_waitcnt vmcnt(4) lgkmcnt(0)
	v_mul_f64 v[42:43], v[30:31], v[16:17]
	v_mul_f64 v[16:17], v[32:33], v[16:17]
	v_fma_f64 v[44:45], v[4:5], v[10:11], v[154:155]
	v_fma_f64 v[10:11], v[2:3], v[10:11], -v[12:13]
	v_add_f64 v[12:13], v[8:9], v[6:7]
	v_add_f64 v[38:39], v[38:39], v[40:41]
	ds_load_b128 v[2:5], v1 offset:1072
	ds_load_b128 v[6:9], v1 offset:1088
	v_fma_f64 v[32:33], v[32:33], v[14:15], v[42:43]
	v_fma_f64 v[14:15], v[30:31], v[14:15], -v[16:17]
	s_waitcnt vmcnt(3) lgkmcnt(1)
	v_mul_f64 v[40:41], v[2:3], v[20:21]
	v_mul_f64 v[20:21], v[4:5], v[20:21]
	s_waitcnt vmcnt(2) lgkmcnt(0)
	v_mul_f64 v[16:17], v[6:7], v[24:25]
	v_mul_f64 v[24:25], v[8:9], v[24:25]
	v_add_f64 v[10:11], v[12:13], v[10:11]
	v_add_f64 v[12:13], v[38:39], v[44:45]
	v_fma_f64 v[30:31], v[4:5], v[18:19], v[40:41]
	v_fma_f64 v[18:19], v[2:3], v[18:19], -v[20:21]
	ds_load_b128 v[2:5], v1 offset:1104
	v_fma_f64 v[8:9], v[8:9], v[22:23], v[16:17]
	v_fma_f64 v[6:7], v[6:7], v[22:23], -v[24:25]
	v_add_f64 v[10:11], v[10:11], v[14:15]
	v_add_f64 v[12:13], v[12:13], v[32:33]
	s_waitcnt vmcnt(1) lgkmcnt(0)
	v_mul_f64 v[14:15], v[2:3], v[28:29]
	v_mul_f64 v[20:21], v[4:5], v[28:29]
	s_delay_alu instid0(VALU_DEP_4) | instskip(NEXT) | instid1(VALU_DEP_4)
	v_add_f64 v[10:11], v[10:11], v[18:19]
	v_add_f64 v[12:13], v[12:13], v[30:31]
	s_delay_alu instid0(VALU_DEP_4) | instskip(NEXT) | instid1(VALU_DEP_4)
	v_fma_f64 v[4:5], v[4:5], v[26:27], v[14:15]
	v_fma_f64 v[2:3], v[2:3], v[26:27], -v[20:21]
	s_delay_alu instid0(VALU_DEP_4) | instskip(NEXT) | instid1(VALU_DEP_4)
	v_add_f64 v[6:7], v[10:11], v[6:7]
	v_add_f64 v[8:9], v[12:13], v[8:9]
	s_delay_alu instid0(VALU_DEP_2) | instskip(NEXT) | instid1(VALU_DEP_2)
	v_add_f64 v[2:3], v[6:7], v[2:3]
	v_add_f64 v[4:5], v[8:9], v[4:5]
	s_waitcnt vmcnt(0)
	s_delay_alu instid0(VALU_DEP_2) | instskip(NEXT) | instid1(VALU_DEP_2)
	v_add_f64 v[2:3], v[34:35], -v[2:3]
	v_add_f64 v[4:5], v[36:37], -v[4:5]
	scratch_store_b128 off, v[2:5], off offset:432
	v_cmpx_lt_u32_e32 26, v116
	s_cbranch_execz .LBB34_171
; %bb.170:
	scratch_load_b128 v[5:8], v147, off
	v_mov_b32_e32 v2, v1
	v_mov_b32_e32 v3, v1
	;; [unrolled: 1-line block ×3, first 2 shown]
	scratch_store_b128 off, v[1:4], off offset:416
	s_waitcnt vmcnt(0)
	ds_store_b128 v151, v[5:8]
.LBB34_171:
	s_or_b32 exec_lo, exec_lo, s2
	s_waitcnt lgkmcnt(0)
	s_waitcnt_vscnt null, 0x0
	s_barrier
	buffer_gl0_inv
	s_clause 0x7
	scratch_load_b128 v[2:5], off, off offset:432
	scratch_load_b128 v[6:9], off, off offset:448
	;; [unrolled: 1-line block ×8, first 2 shown]
	ds_load_b128 v[34:37], v1 offset:992
	ds_load_b128 v[38:41], v1 offset:1008
	scratch_load_b128 v[42:45], off, off offset:416
	s_mov_b32 s2, exec_lo
	s_waitcnt vmcnt(8) lgkmcnt(1)
	v_mul_f64 v[152:153], v[36:37], v[4:5]
	v_mul_f64 v[4:5], v[34:35], v[4:5]
	s_waitcnt vmcnt(7) lgkmcnt(0)
	v_mul_f64 v[154:155], v[38:39], v[8:9]
	v_mul_f64 v[8:9], v[40:41], v[8:9]
	s_delay_alu instid0(VALU_DEP_4) | instskip(NEXT) | instid1(VALU_DEP_4)
	v_fma_f64 v[152:153], v[34:35], v[2:3], -v[152:153]
	v_fma_f64 v[156:157], v[36:37], v[2:3], v[4:5]
	ds_load_b128 v[2:5], v1 offset:1024
	ds_load_b128 v[34:37], v1 offset:1040
	v_fma_f64 v[40:41], v[40:41], v[6:7], v[154:155]
	v_fma_f64 v[6:7], v[38:39], v[6:7], -v[8:9]
	s_waitcnt vmcnt(6) lgkmcnt(1)
	v_mul_f64 v[158:159], v[2:3], v[12:13]
	v_mul_f64 v[12:13], v[4:5], v[12:13]
	v_add_f64 v[8:9], v[152:153], 0
	v_add_f64 v[38:39], v[156:157], 0
	s_waitcnt vmcnt(5) lgkmcnt(0)
	v_mul_f64 v[152:153], v[34:35], v[16:17]
	v_mul_f64 v[16:17], v[36:37], v[16:17]
	v_fma_f64 v[154:155], v[4:5], v[10:11], v[158:159]
	v_fma_f64 v[10:11], v[2:3], v[10:11], -v[12:13]
	v_add_f64 v[12:13], v[8:9], v[6:7]
	v_add_f64 v[38:39], v[38:39], v[40:41]
	ds_load_b128 v[2:5], v1 offset:1056
	ds_load_b128 v[6:9], v1 offset:1072
	v_fma_f64 v[36:37], v[36:37], v[14:15], v[152:153]
	v_fma_f64 v[14:15], v[34:35], v[14:15], -v[16:17]
	s_waitcnt vmcnt(4) lgkmcnt(1)
	v_mul_f64 v[40:41], v[2:3], v[20:21]
	v_mul_f64 v[20:21], v[4:5], v[20:21]
	s_waitcnt vmcnt(3) lgkmcnt(0)
	v_mul_f64 v[16:17], v[6:7], v[24:25]
	v_mul_f64 v[24:25], v[8:9], v[24:25]
	v_add_f64 v[10:11], v[12:13], v[10:11]
	v_add_f64 v[12:13], v[38:39], v[154:155]
	v_fma_f64 v[34:35], v[4:5], v[18:19], v[40:41]
	v_fma_f64 v[18:19], v[2:3], v[18:19], -v[20:21]
	v_fma_f64 v[8:9], v[8:9], v[22:23], v[16:17]
	v_fma_f64 v[6:7], v[6:7], v[22:23], -v[24:25]
	v_add_f64 v[14:15], v[10:11], v[14:15]
	v_add_f64 v[20:21], v[12:13], v[36:37]
	ds_load_b128 v[2:5], v1 offset:1088
	ds_load_b128 v[10:13], v1 offset:1104
	s_waitcnt vmcnt(2) lgkmcnt(1)
	v_mul_f64 v[36:37], v[2:3], v[28:29]
	v_mul_f64 v[28:29], v[4:5], v[28:29]
	v_add_f64 v[14:15], v[14:15], v[18:19]
	v_add_f64 v[16:17], v[20:21], v[34:35]
	s_waitcnt vmcnt(1) lgkmcnt(0)
	v_mul_f64 v[18:19], v[10:11], v[32:33]
	v_mul_f64 v[20:21], v[12:13], v[32:33]
	v_fma_f64 v[4:5], v[4:5], v[26:27], v[36:37]
	v_fma_f64 v[1:2], v[2:3], v[26:27], -v[28:29]
	v_add_f64 v[6:7], v[14:15], v[6:7]
	v_add_f64 v[8:9], v[16:17], v[8:9]
	v_fma_f64 v[12:13], v[12:13], v[30:31], v[18:19]
	v_fma_f64 v[10:11], v[10:11], v[30:31], -v[20:21]
	s_delay_alu instid0(VALU_DEP_4) | instskip(NEXT) | instid1(VALU_DEP_4)
	v_add_f64 v[1:2], v[6:7], v[1:2]
	v_add_f64 v[3:4], v[8:9], v[4:5]
	s_delay_alu instid0(VALU_DEP_2) | instskip(NEXT) | instid1(VALU_DEP_2)
	v_add_f64 v[1:2], v[1:2], v[10:11]
	v_add_f64 v[3:4], v[3:4], v[12:13]
	s_waitcnt vmcnt(0)
	s_delay_alu instid0(VALU_DEP_2) | instskip(NEXT) | instid1(VALU_DEP_2)
	v_add_f64 v[1:2], v[42:43], -v[1:2]
	v_add_f64 v[3:4], v[44:45], -v[3:4]
	scratch_store_b128 off, v[1:4], off offset:416
	v_cmpx_lt_u32_e32 25, v116
	s_cbranch_execz .LBB34_173
; %bb.172:
	scratch_load_b128 v[1:4], v148, off
	v_mov_b32_e32 v5, 0
	s_delay_alu instid0(VALU_DEP_1)
	v_mov_b32_e32 v6, v5
	v_mov_b32_e32 v7, v5
	;; [unrolled: 1-line block ×3, first 2 shown]
	scratch_store_b128 off, v[5:8], off offset:400
	s_waitcnt vmcnt(0)
	ds_store_b128 v151, v[1:4]
.LBB34_173:
	s_or_b32 exec_lo, exec_lo, s2
	s_waitcnt lgkmcnt(0)
	s_waitcnt_vscnt null, 0x0
	s_barrier
	buffer_gl0_inv
	s_clause 0x7
	scratch_load_b128 v[2:5], off, off offset:416
	scratch_load_b128 v[6:9], off, off offset:432
	;; [unrolled: 1-line block ×8, first 2 shown]
	v_mov_b32_e32 v1, 0
	s_mov_b32 s2, exec_lo
	ds_load_b128 v[34:37], v1 offset:976
	s_clause 0x1
	scratch_load_b128 v[38:41], off, off offset:544
	scratch_load_b128 v[42:45], off, off offset:400
	ds_load_b128 v[152:155], v1 offset:992
	s_waitcnt vmcnt(9) lgkmcnt(1)
	v_mul_f64 v[156:157], v[36:37], v[4:5]
	v_mul_f64 v[4:5], v[34:35], v[4:5]
	s_waitcnt vmcnt(8) lgkmcnt(0)
	v_mul_f64 v[158:159], v[152:153], v[8:9]
	v_mul_f64 v[8:9], v[154:155], v[8:9]
	s_delay_alu instid0(VALU_DEP_4) | instskip(NEXT) | instid1(VALU_DEP_4)
	v_fma_f64 v[156:157], v[34:35], v[2:3], -v[156:157]
	v_fma_f64 v[160:161], v[36:37], v[2:3], v[4:5]
	ds_load_b128 v[2:5], v1 offset:1008
	ds_load_b128 v[34:37], v1 offset:1024
	v_fma_f64 v[154:155], v[154:155], v[6:7], v[158:159]
	v_fma_f64 v[6:7], v[152:153], v[6:7], -v[8:9]
	s_waitcnt vmcnt(7) lgkmcnt(1)
	v_mul_f64 v[162:163], v[2:3], v[12:13]
	v_mul_f64 v[12:13], v[4:5], v[12:13]
	v_add_f64 v[8:9], v[156:157], 0
	v_add_f64 v[152:153], v[160:161], 0
	s_waitcnt vmcnt(6) lgkmcnt(0)
	v_mul_f64 v[156:157], v[34:35], v[16:17]
	v_mul_f64 v[16:17], v[36:37], v[16:17]
	v_fma_f64 v[158:159], v[4:5], v[10:11], v[162:163]
	v_fma_f64 v[10:11], v[2:3], v[10:11], -v[12:13]
	v_add_f64 v[12:13], v[8:9], v[6:7]
	v_add_f64 v[152:153], v[152:153], v[154:155]
	ds_load_b128 v[2:5], v1 offset:1040
	ds_load_b128 v[6:9], v1 offset:1056
	v_fma_f64 v[36:37], v[36:37], v[14:15], v[156:157]
	v_fma_f64 v[14:15], v[34:35], v[14:15], -v[16:17]
	s_waitcnt vmcnt(5) lgkmcnt(1)
	v_mul_f64 v[154:155], v[2:3], v[20:21]
	v_mul_f64 v[20:21], v[4:5], v[20:21]
	s_waitcnt vmcnt(4) lgkmcnt(0)
	v_mul_f64 v[16:17], v[6:7], v[24:25]
	v_mul_f64 v[24:25], v[8:9], v[24:25]
	v_add_f64 v[10:11], v[12:13], v[10:11]
	v_add_f64 v[12:13], v[152:153], v[158:159]
	v_fma_f64 v[34:35], v[4:5], v[18:19], v[154:155]
	v_fma_f64 v[18:19], v[2:3], v[18:19], -v[20:21]
	v_fma_f64 v[8:9], v[8:9], v[22:23], v[16:17]
	v_fma_f64 v[6:7], v[6:7], v[22:23], -v[24:25]
	v_add_f64 v[14:15], v[10:11], v[14:15]
	v_add_f64 v[20:21], v[12:13], v[36:37]
	ds_load_b128 v[2:5], v1 offset:1072
	ds_load_b128 v[10:13], v1 offset:1088
	s_waitcnt vmcnt(3) lgkmcnt(1)
	v_mul_f64 v[36:37], v[2:3], v[28:29]
	v_mul_f64 v[28:29], v[4:5], v[28:29]
	v_add_f64 v[14:15], v[14:15], v[18:19]
	v_add_f64 v[16:17], v[20:21], v[34:35]
	s_waitcnt vmcnt(2) lgkmcnt(0)
	v_mul_f64 v[18:19], v[10:11], v[32:33]
	v_mul_f64 v[20:21], v[12:13], v[32:33]
	v_fma_f64 v[22:23], v[4:5], v[26:27], v[36:37]
	v_fma_f64 v[24:25], v[2:3], v[26:27], -v[28:29]
	ds_load_b128 v[2:5], v1 offset:1104
	v_add_f64 v[6:7], v[14:15], v[6:7]
	v_add_f64 v[8:9], v[16:17], v[8:9]
	v_fma_f64 v[12:13], v[12:13], v[30:31], v[18:19]
	v_fma_f64 v[10:11], v[10:11], v[30:31], -v[20:21]
	s_waitcnt vmcnt(1) lgkmcnt(0)
	v_mul_f64 v[14:15], v[2:3], v[40:41]
	v_mul_f64 v[16:17], v[4:5], v[40:41]
	v_add_f64 v[6:7], v[6:7], v[24:25]
	v_add_f64 v[8:9], v[8:9], v[22:23]
	s_delay_alu instid0(VALU_DEP_4) | instskip(NEXT) | instid1(VALU_DEP_4)
	v_fma_f64 v[4:5], v[4:5], v[38:39], v[14:15]
	v_fma_f64 v[2:3], v[2:3], v[38:39], -v[16:17]
	s_delay_alu instid0(VALU_DEP_4) | instskip(NEXT) | instid1(VALU_DEP_4)
	v_add_f64 v[6:7], v[6:7], v[10:11]
	v_add_f64 v[8:9], v[8:9], v[12:13]
	s_delay_alu instid0(VALU_DEP_2) | instskip(NEXT) | instid1(VALU_DEP_2)
	v_add_f64 v[2:3], v[6:7], v[2:3]
	v_add_f64 v[4:5], v[8:9], v[4:5]
	s_waitcnt vmcnt(0)
	s_delay_alu instid0(VALU_DEP_2) | instskip(NEXT) | instid1(VALU_DEP_2)
	v_add_f64 v[2:3], v[42:43], -v[2:3]
	v_add_f64 v[4:5], v[44:45], -v[4:5]
	scratch_store_b128 off, v[2:5], off offset:400
	v_cmpx_lt_u32_e32 24, v116
	s_cbranch_execz .LBB34_175
; %bb.174:
	scratch_load_b128 v[5:8], v149, off
	v_mov_b32_e32 v2, v1
	v_mov_b32_e32 v3, v1
	;; [unrolled: 1-line block ×3, first 2 shown]
	scratch_store_b128 off, v[1:4], off offset:384
	s_waitcnt vmcnt(0)
	ds_store_b128 v151, v[5:8]
.LBB34_175:
	s_or_b32 exec_lo, exec_lo, s2
	s_waitcnt lgkmcnt(0)
	s_waitcnt_vscnt null, 0x0
	s_barrier
	buffer_gl0_inv
	s_clause 0x7
	scratch_load_b128 v[2:5], off, off offset:400
	scratch_load_b128 v[6:9], off, off offset:416
	;; [unrolled: 1-line block ×8, first 2 shown]
	ds_load_b128 v[34:37], v1 offset:960
	ds_load_b128 v[42:45], v1 offset:976
	s_clause 0x1
	scratch_load_b128 v[38:41], off, off offset:528
	scratch_load_b128 v[152:155], off, off offset:544
	s_mov_b32 s2, exec_lo
	s_waitcnt vmcnt(9) lgkmcnt(1)
	v_mul_f64 v[156:157], v[36:37], v[4:5]
	v_mul_f64 v[4:5], v[34:35], v[4:5]
	s_waitcnt vmcnt(8) lgkmcnt(0)
	v_mul_f64 v[158:159], v[42:43], v[8:9]
	v_mul_f64 v[8:9], v[44:45], v[8:9]
	s_delay_alu instid0(VALU_DEP_4) | instskip(NEXT) | instid1(VALU_DEP_4)
	v_fma_f64 v[34:35], v[34:35], v[2:3], -v[156:157]
	v_fma_f64 v[36:37], v[36:37], v[2:3], v[4:5]
	ds_load_b128 v[2:5], v1 offset:992
	v_fma_f64 v[44:45], v[44:45], v[6:7], v[158:159]
	v_fma_f64 v[42:43], v[42:43], v[6:7], -v[8:9]
	ds_load_b128 v[6:9], v1 offset:1008
	s_waitcnt vmcnt(7) lgkmcnt(1)
	v_mul_f64 v[156:157], v[2:3], v[12:13]
	v_mul_f64 v[12:13], v[4:5], v[12:13]
	s_waitcnt vmcnt(6) lgkmcnt(0)
	v_mul_f64 v[158:159], v[6:7], v[16:17]
	v_mul_f64 v[16:17], v[8:9], v[16:17]
	v_add_f64 v[34:35], v[34:35], 0
	v_add_f64 v[36:37], v[36:37], 0
	v_fma_f64 v[156:157], v[4:5], v[10:11], v[156:157]
	v_fma_f64 v[160:161], v[2:3], v[10:11], -v[12:13]
	ds_load_b128 v[2:5], v1 offset:1024
	scratch_load_b128 v[10:13], off, off offset:384
	v_add_f64 v[34:35], v[34:35], v[42:43]
	v_add_f64 v[36:37], v[36:37], v[44:45]
	v_fma_f64 v[44:45], v[8:9], v[14:15], v[158:159]
	v_fma_f64 v[14:15], v[6:7], v[14:15], -v[16:17]
	ds_load_b128 v[6:9], v1 offset:1040
	s_waitcnt vmcnt(6) lgkmcnt(1)
	v_mul_f64 v[42:43], v[2:3], v[20:21]
	v_mul_f64 v[20:21], v[4:5], v[20:21]
	v_add_f64 v[16:17], v[34:35], v[160:161]
	v_add_f64 v[34:35], v[36:37], v[156:157]
	s_waitcnt vmcnt(5) lgkmcnt(0)
	v_mul_f64 v[36:37], v[6:7], v[24:25]
	v_mul_f64 v[24:25], v[8:9], v[24:25]
	v_fma_f64 v[42:43], v[4:5], v[18:19], v[42:43]
	v_fma_f64 v[18:19], v[2:3], v[18:19], -v[20:21]
	ds_load_b128 v[2:5], v1 offset:1056
	v_add_f64 v[14:15], v[16:17], v[14:15]
	v_add_f64 v[16:17], v[34:35], v[44:45]
	v_fma_f64 v[34:35], v[8:9], v[22:23], v[36:37]
	v_fma_f64 v[22:23], v[6:7], v[22:23], -v[24:25]
	ds_load_b128 v[6:9], v1 offset:1072
	s_waitcnt vmcnt(4) lgkmcnt(1)
	v_mul_f64 v[20:21], v[2:3], v[28:29]
	v_mul_f64 v[28:29], v[4:5], v[28:29]
	s_waitcnt vmcnt(3) lgkmcnt(0)
	v_mul_f64 v[24:25], v[8:9], v[32:33]
	v_add_f64 v[14:15], v[14:15], v[18:19]
	v_add_f64 v[16:17], v[16:17], v[42:43]
	v_mul_f64 v[18:19], v[6:7], v[32:33]
	v_fma_f64 v[20:21], v[4:5], v[26:27], v[20:21]
	v_fma_f64 v[26:27], v[2:3], v[26:27], -v[28:29]
	ds_load_b128 v[2:5], v1 offset:1088
	v_fma_f64 v[24:25], v[6:7], v[30:31], -v[24:25]
	v_add_f64 v[14:15], v[14:15], v[22:23]
	v_add_f64 v[16:17], v[16:17], v[34:35]
	v_fma_f64 v[18:19], v[8:9], v[30:31], v[18:19]
	ds_load_b128 v[6:9], v1 offset:1104
	s_waitcnt vmcnt(2) lgkmcnt(1)
	v_mul_f64 v[22:23], v[2:3], v[40:41]
	v_mul_f64 v[28:29], v[4:5], v[40:41]
	v_add_f64 v[14:15], v[14:15], v[26:27]
	v_add_f64 v[16:17], v[16:17], v[20:21]
	s_waitcnt vmcnt(1) lgkmcnt(0)
	v_mul_f64 v[20:21], v[6:7], v[154:155]
	v_mul_f64 v[26:27], v[8:9], v[154:155]
	v_fma_f64 v[4:5], v[4:5], v[38:39], v[22:23]
	v_fma_f64 v[1:2], v[2:3], v[38:39], -v[28:29]
	v_add_f64 v[14:15], v[14:15], v[24:25]
	v_add_f64 v[16:17], v[16:17], v[18:19]
	v_fma_f64 v[8:9], v[8:9], v[152:153], v[20:21]
	v_fma_f64 v[6:7], v[6:7], v[152:153], -v[26:27]
	s_delay_alu instid0(VALU_DEP_4) | instskip(NEXT) | instid1(VALU_DEP_4)
	v_add_f64 v[1:2], v[14:15], v[1:2]
	v_add_f64 v[3:4], v[16:17], v[4:5]
	s_delay_alu instid0(VALU_DEP_2) | instskip(NEXT) | instid1(VALU_DEP_2)
	v_add_f64 v[1:2], v[1:2], v[6:7]
	v_add_f64 v[3:4], v[3:4], v[8:9]
	s_waitcnt vmcnt(0)
	s_delay_alu instid0(VALU_DEP_2) | instskip(NEXT) | instid1(VALU_DEP_2)
	v_add_f64 v[1:2], v[10:11], -v[1:2]
	v_add_f64 v[3:4], v[12:13], -v[3:4]
	scratch_store_b128 off, v[1:4], off offset:384
	v_cmpx_lt_u32_e32 23, v116
	s_cbranch_execz .LBB34_177
; %bb.176:
	scratch_load_b128 v[1:4], v150, off
	v_mov_b32_e32 v5, 0
	s_delay_alu instid0(VALU_DEP_1)
	v_mov_b32_e32 v6, v5
	v_mov_b32_e32 v7, v5
	;; [unrolled: 1-line block ×3, first 2 shown]
	scratch_store_b128 off, v[5:8], off offset:368
	s_waitcnt vmcnt(0)
	ds_store_b128 v151, v[1:4]
.LBB34_177:
	s_or_b32 exec_lo, exec_lo, s2
	s_waitcnt lgkmcnt(0)
	s_waitcnt_vscnt null, 0x0
	s_barrier
	buffer_gl0_inv
	s_clause 0x7
	scratch_load_b128 v[2:5], off, off offset:384
	scratch_load_b128 v[6:9], off, off offset:400
	;; [unrolled: 1-line block ×8, first 2 shown]
	v_mov_b32_e32 v1, 0
	s_clause 0x1
	scratch_load_b128 v[38:41], off, off offset:512
	scratch_load_b128 v[152:155], off, off offset:528
	s_mov_b32 s2, exec_lo
	ds_load_b128 v[34:37], v1 offset:944
	ds_load_b128 v[42:45], v1 offset:960
	s_waitcnt vmcnt(9) lgkmcnt(1)
	v_mul_f64 v[156:157], v[36:37], v[4:5]
	v_mul_f64 v[4:5], v[34:35], v[4:5]
	s_waitcnt vmcnt(8) lgkmcnt(0)
	v_mul_f64 v[158:159], v[42:43], v[8:9]
	v_mul_f64 v[8:9], v[44:45], v[8:9]
	s_delay_alu instid0(VALU_DEP_4) | instskip(NEXT) | instid1(VALU_DEP_4)
	v_fma_f64 v[156:157], v[34:35], v[2:3], -v[156:157]
	v_fma_f64 v[160:161], v[36:37], v[2:3], v[4:5]
	ds_load_b128 v[2:5], v1 offset:976
	scratch_load_b128 v[34:37], off, off offset:544
	v_fma_f64 v[44:45], v[44:45], v[6:7], v[158:159]
	v_fma_f64 v[42:43], v[42:43], v[6:7], -v[8:9]
	ds_load_b128 v[6:9], v1 offset:992
	s_waitcnt vmcnt(8) lgkmcnt(1)
	v_mul_f64 v[162:163], v[2:3], v[12:13]
	v_mul_f64 v[12:13], v[4:5], v[12:13]
	v_add_f64 v[156:157], v[156:157], 0
	v_add_f64 v[158:159], v[160:161], 0
	s_waitcnt vmcnt(7) lgkmcnt(0)
	v_mul_f64 v[160:161], v[6:7], v[16:17]
	v_mul_f64 v[16:17], v[8:9], v[16:17]
	v_fma_f64 v[162:163], v[4:5], v[10:11], v[162:163]
	v_fma_f64 v[10:11], v[2:3], v[10:11], -v[12:13]
	ds_load_b128 v[2:5], v1 offset:1008
	v_add_f64 v[12:13], v[156:157], v[42:43]
	v_add_f64 v[42:43], v[158:159], v[44:45]
	v_fma_f64 v[156:157], v[8:9], v[14:15], v[160:161]
	v_fma_f64 v[14:15], v[6:7], v[14:15], -v[16:17]
	ds_load_b128 v[6:9], v1 offset:1024
	s_waitcnt vmcnt(6) lgkmcnt(1)
	v_mul_f64 v[44:45], v[2:3], v[20:21]
	v_mul_f64 v[20:21], v[4:5], v[20:21]
	s_waitcnt vmcnt(5) lgkmcnt(0)
	v_mul_f64 v[158:159], v[6:7], v[24:25]
	v_mul_f64 v[24:25], v[8:9], v[24:25]
	v_add_f64 v[16:17], v[12:13], v[10:11]
	v_add_f64 v[42:43], v[42:43], v[162:163]
	scratch_load_b128 v[10:13], off, off offset:368
	v_fma_f64 v[44:45], v[4:5], v[18:19], v[44:45]
	v_fma_f64 v[18:19], v[2:3], v[18:19], -v[20:21]
	ds_load_b128 v[2:5], v1 offset:1040
	v_add_f64 v[14:15], v[16:17], v[14:15]
	v_add_f64 v[16:17], v[42:43], v[156:157]
	v_fma_f64 v[42:43], v[8:9], v[22:23], v[158:159]
	v_fma_f64 v[22:23], v[6:7], v[22:23], -v[24:25]
	ds_load_b128 v[6:9], v1 offset:1056
	s_waitcnt vmcnt(5) lgkmcnt(1)
	v_mul_f64 v[20:21], v[2:3], v[28:29]
	v_mul_f64 v[28:29], v[4:5], v[28:29]
	s_waitcnt vmcnt(4) lgkmcnt(0)
	v_mul_f64 v[24:25], v[8:9], v[32:33]
	v_add_f64 v[14:15], v[14:15], v[18:19]
	v_add_f64 v[16:17], v[16:17], v[44:45]
	v_mul_f64 v[18:19], v[6:7], v[32:33]
	v_fma_f64 v[20:21], v[4:5], v[26:27], v[20:21]
	v_fma_f64 v[26:27], v[2:3], v[26:27], -v[28:29]
	ds_load_b128 v[2:5], v1 offset:1072
	v_fma_f64 v[24:25], v[6:7], v[30:31], -v[24:25]
	v_add_f64 v[14:15], v[14:15], v[22:23]
	v_add_f64 v[16:17], v[16:17], v[42:43]
	v_fma_f64 v[18:19], v[8:9], v[30:31], v[18:19]
	ds_load_b128 v[6:9], v1 offset:1088
	s_waitcnt vmcnt(3) lgkmcnt(1)
	v_mul_f64 v[22:23], v[2:3], v[40:41]
	v_mul_f64 v[28:29], v[4:5], v[40:41]
	v_add_f64 v[14:15], v[14:15], v[26:27]
	v_add_f64 v[16:17], v[16:17], v[20:21]
	s_waitcnt vmcnt(2) lgkmcnt(0)
	v_mul_f64 v[20:21], v[6:7], v[154:155]
	v_mul_f64 v[26:27], v[8:9], v[154:155]
	v_fma_f64 v[22:23], v[4:5], v[38:39], v[22:23]
	v_fma_f64 v[28:29], v[2:3], v[38:39], -v[28:29]
	ds_load_b128 v[2:5], v1 offset:1104
	v_add_f64 v[14:15], v[14:15], v[24:25]
	v_add_f64 v[16:17], v[16:17], v[18:19]
	v_fma_f64 v[8:9], v[8:9], v[152:153], v[20:21]
	v_fma_f64 v[6:7], v[6:7], v[152:153], -v[26:27]
	s_waitcnt vmcnt(1) lgkmcnt(0)
	v_mul_f64 v[18:19], v[2:3], v[36:37]
	v_mul_f64 v[24:25], v[4:5], v[36:37]
	v_add_f64 v[14:15], v[14:15], v[28:29]
	v_add_f64 v[16:17], v[16:17], v[22:23]
	s_delay_alu instid0(VALU_DEP_4) | instskip(NEXT) | instid1(VALU_DEP_4)
	v_fma_f64 v[4:5], v[4:5], v[34:35], v[18:19]
	v_fma_f64 v[2:3], v[2:3], v[34:35], -v[24:25]
	s_delay_alu instid0(VALU_DEP_4) | instskip(NEXT) | instid1(VALU_DEP_4)
	v_add_f64 v[6:7], v[14:15], v[6:7]
	v_add_f64 v[8:9], v[16:17], v[8:9]
	s_delay_alu instid0(VALU_DEP_2) | instskip(NEXT) | instid1(VALU_DEP_2)
	v_add_f64 v[2:3], v[6:7], v[2:3]
	v_add_f64 v[4:5], v[8:9], v[4:5]
	s_waitcnt vmcnt(0)
	s_delay_alu instid0(VALU_DEP_2) | instskip(NEXT) | instid1(VALU_DEP_2)
	v_add_f64 v[2:3], v[10:11], -v[2:3]
	v_add_f64 v[4:5], v[12:13], -v[4:5]
	scratch_store_b128 off, v[2:5], off offset:368
	v_cmpx_lt_u32_e32 22, v116
	s_cbranch_execz .LBB34_179
; %bb.178:
	scratch_load_b128 v[5:8], v121, off
	v_mov_b32_e32 v2, v1
	v_mov_b32_e32 v3, v1
	;; [unrolled: 1-line block ×3, first 2 shown]
	scratch_store_b128 off, v[1:4], off offset:352
	s_waitcnt vmcnt(0)
	ds_store_b128 v151, v[5:8]
.LBB34_179:
	s_or_b32 exec_lo, exec_lo, s2
	s_waitcnt lgkmcnt(0)
	s_waitcnt_vscnt null, 0x0
	s_barrier
	buffer_gl0_inv
	s_clause 0x7
	scratch_load_b128 v[2:5], off, off offset:368
	scratch_load_b128 v[6:9], off, off offset:384
	;; [unrolled: 1-line block ×8, first 2 shown]
	ds_load_b128 v[34:37], v1 offset:928
	ds_load_b128 v[42:45], v1 offset:944
	s_clause 0x1
	scratch_load_b128 v[38:41], off, off offset:496
	scratch_load_b128 v[152:155], off, off offset:512
	s_mov_b32 s2, exec_lo
	s_waitcnt vmcnt(9) lgkmcnt(1)
	v_mul_f64 v[156:157], v[36:37], v[4:5]
	v_mul_f64 v[4:5], v[34:35], v[4:5]
	s_waitcnt vmcnt(8) lgkmcnt(0)
	v_mul_f64 v[158:159], v[42:43], v[8:9]
	v_mul_f64 v[8:9], v[44:45], v[8:9]
	s_delay_alu instid0(VALU_DEP_4) | instskip(NEXT) | instid1(VALU_DEP_4)
	v_fma_f64 v[156:157], v[34:35], v[2:3], -v[156:157]
	v_fma_f64 v[160:161], v[36:37], v[2:3], v[4:5]
	scratch_load_b128 v[34:37], off, off offset:528
	ds_load_b128 v[2:5], v1 offset:960
	v_fma_f64 v[158:159], v[44:45], v[6:7], v[158:159]
	v_fma_f64 v[164:165], v[42:43], v[6:7], -v[8:9]
	ds_load_b128 v[6:9], v1 offset:976
	scratch_load_b128 v[42:45], off, off offset:544
	s_waitcnt vmcnt(9) lgkmcnt(1)
	v_mul_f64 v[162:163], v[2:3], v[12:13]
	v_mul_f64 v[12:13], v[4:5], v[12:13]
	s_waitcnt vmcnt(8) lgkmcnt(0)
	v_mul_f64 v[166:167], v[6:7], v[16:17]
	v_mul_f64 v[16:17], v[8:9], v[16:17]
	v_add_f64 v[156:157], v[156:157], 0
	v_add_f64 v[160:161], v[160:161], 0
	v_fma_f64 v[162:163], v[4:5], v[10:11], v[162:163]
	v_fma_f64 v[10:11], v[2:3], v[10:11], -v[12:13]
	ds_load_b128 v[2:5], v1 offset:992
	v_add_f64 v[12:13], v[156:157], v[164:165]
	v_add_f64 v[156:157], v[160:161], v[158:159]
	v_fma_f64 v[160:161], v[8:9], v[14:15], v[166:167]
	v_fma_f64 v[14:15], v[6:7], v[14:15], -v[16:17]
	ds_load_b128 v[6:9], v1 offset:1008
	s_waitcnt vmcnt(7) lgkmcnt(1)
	v_mul_f64 v[158:159], v[2:3], v[20:21]
	v_mul_f64 v[20:21], v[4:5], v[20:21]
	s_waitcnt vmcnt(6) lgkmcnt(0)
	v_mul_f64 v[16:17], v[6:7], v[24:25]
	v_mul_f64 v[24:25], v[8:9], v[24:25]
	v_add_f64 v[10:11], v[12:13], v[10:11]
	v_add_f64 v[12:13], v[156:157], v[162:163]
	v_fma_f64 v[156:157], v[4:5], v[18:19], v[158:159]
	v_fma_f64 v[18:19], v[2:3], v[18:19], -v[20:21]
	ds_load_b128 v[2:5], v1 offset:1024
	v_fma_f64 v[16:17], v[8:9], v[22:23], v[16:17]
	v_fma_f64 v[22:23], v[6:7], v[22:23], -v[24:25]
	ds_load_b128 v[6:9], v1 offset:1040
	s_waitcnt vmcnt(5) lgkmcnt(1)
	v_mul_f64 v[158:159], v[2:3], v[28:29]
	v_mul_f64 v[28:29], v[4:5], v[28:29]
	v_add_f64 v[14:15], v[10:11], v[14:15]
	v_add_f64 v[20:21], v[12:13], v[160:161]
	scratch_load_b128 v[10:13], off, off offset:352
	s_waitcnt vmcnt(5) lgkmcnt(0)
	v_mul_f64 v[24:25], v[8:9], v[32:33]
	v_add_f64 v[14:15], v[14:15], v[18:19]
	v_add_f64 v[18:19], v[20:21], v[156:157]
	v_mul_f64 v[20:21], v[6:7], v[32:33]
	v_fma_f64 v[32:33], v[4:5], v[26:27], v[158:159]
	v_fma_f64 v[26:27], v[2:3], v[26:27], -v[28:29]
	ds_load_b128 v[2:5], v1 offset:1056
	v_fma_f64 v[24:25], v[6:7], v[30:31], -v[24:25]
	v_add_f64 v[14:15], v[14:15], v[22:23]
	v_add_f64 v[16:17], v[18:19], v[16:17]
	v_fma_f64 v[20:21], v[8:9], v[30:31], v[20:21]
	ds_load_b128 v[6:9], v1 offset:1072
	s_waitcnt vmcnt(4) lgkmcnt(1)
	v_mul_f64 v[18:19], v[2:3], v[40:41]
	v_mul_f64 v[22:23], v[4:5], v[40:41]
	s_waitcnt vmcnt(3) lgkmcnt(0)
	v_mul_f64 v[28:29], v[8:9], v[154:155]
	v_add_f64 v[14:15], v[14:15], v[26:27]
	v_add_f64 v[16:17], v[16:17], v[32:33]
	v_mul_f64 v[26:27], v[6:7], v[154:155]
	v_fma_f64 v[18:19], v[4:5], v[38:39], v[18:19]
	v_fma_f64 v[22:23], v[2:3], v[38:39], -v[22:23]
	ds_load_b128 v[2:5], v1 offset:1088
	v_fma_f64 v[28:29], v[6:7], v[152:153], -v[28:29]
	v_add_f64 v[14:15], v[14:15], v[24:25]
	v_add_f64 v[16:17], v[16:17], v[20:21]
	v_fma_f64 v[26:27], v[8:9], v[152:153], v[26:27]
	ds_load_b128 v[6:9], v1 offset:1104
	s_waitcnt vmcnt(2) lgkmcnt(1)
	v_mul_f64 v[20:21], v[2:3], v[36:37]
	v_mul_f64 v[24:25], v[4:5], v[36:37]
	v_add_f64 v[14:15], v[14:15], v[22:23]
	v_add_f64 v[16:17], v[16:17], v[18:19]
	s_waitcnt vmcnt(1) lgkmcnt(0)
	v_mul_f64 v[18:19], v[6:7], v[44:45]
	v_mul_f64 v[22:23], v[8:9], v[44:45]
	v_fma_f64 v[4:5], v[4:5], v[34:35], v[20:21]
	v_fma_f64 v[1:2], v[2:3], v[34:35], -v[24:25]
	v_add_f64 v[14:15], v[14:15], v[28:29]
	v_add_f64 v[16:17], v[16:17], v[26:27]
	v_fma_f64 v[8:9], v[8:9], v[42:43], v[18:19]
	v_fma_f64 v[6:7], v[6:7], v[42:43], -v[22:23]
	s_delay_alu instid0(VALU_DEP_4) | instskip(NEXT) | instid1(VALU_DEP_4)
	v_add_f64 v[1:2], v[14:15], v[1:2]
	v_add_f64 v[3:4], v[16:17], v[4:5]
	s_delay_alu instid0(VALU_DEP_2) | instskip(NEXT) | instid1(VALU_DEP_2)
	v_add_f64 v[1:2], v[1:2], v[6:7]
	v_add_f64 v[3:4], v[3:4], v[8:9]
	s_waitcnt vmcnt(0)
	s_delay_alu instid0(VALU_DEP_2) | instskip(NEXT) | instid1(VALU_DEP_2)
	v_add_f64 v[1:2], v[10:11], -v[1:2]
	v_add_f64 v[3:4], v[12:13], -v[3:4]
	scratch_store_b128 off, v[1:4], off offset:352
	v_cmpx_lt_u32_e32 21, v116
	s_cbranch_execz .LBB34_181
; %bb.180:
	scratch_load_b128 v[1:4], v123, off
	v_mov_b32_e32 v5, 0
	s_delay_alu instid0(VALU_DEP_1)
	v_mov_b32_e32 v6, v5
	v_mov_b32_e32 v7, v5
	;; [unrolled: 1-line block ×3, first 2 shown]
	scratch_store_b128 off, v[5:8], off offset:336
	s_waitcnt vmcnt(0)
	ds_store_b128 v151, v[1:4]
.LBB34_181:
	s_or_b32 exec_lo, exec_lo, s2
	s_waitcnt lgkmcnt(0)
	s_waitcnt_vscnt null, 0x0
	s_barrier
	buffer_gl0_inv
	s_clause 0x7
	scratch_load_b128 v[2:5], off, off offset:352
	scratch_load_b128 v[6:9], off, off offset:368
	;; [unrolled: 1-line block ×8, first 2 shown]
	v_mov_b32_e32 v1, 0
	s_mov_b32 s2, exec_lo
	ds_load_b128 v[34:37], v1 offset:912
	s_clause 0x1
	scratch_load_b128 v[38:41], off, off offset:480
	scratch_load_b128 v[42:45], off, off offset:336
	ds_load_b128 v[152:155], v1 offset:928
	scratch_load_b128 v[156:159], off, off offset:496
	s_waitcnt vmcnt(10) lgkmcnt(1)
	v_mul_f64 v[160:161], v[36:37], v[4:5]
	v_mul_f64 v[4:5], v[34:35], v[4:5]
	s_delay_alu instid0(VALU_DEP_2) | instskip(NEXT) | instid1(VALU_DEP_2)
	v_fma_f64 v[166:167], v[34:35], v[2:3], -v[160:161]
	v_fma_f64 v[168:169], v[36:37], v[2:3], v[4:5]
	scratch_load_b128 v[34:37], off, off offset:512
	ds_load_b128 v[2:5], v1 offset:944
	s_waitcnt vmcnt(10) lgkmcnt(1)
	v_mul_f64 v[164:165], v[152:153], v[8:9]
	v_mul_f64 v[8:9], v[154:155], v[8:9]
	ds_load_b128 v[160:163], v1 offset:960
	s_waitcnt vmcnt(9) lgkmcnt(1)
	v_mul_f64 v[170:171], v[2:3], v[12:13]
	v_mul_f64 v[12:13], v[4:5], v[12:13]
	v_fma_f64 v[154:155], v[154:155], v[6:7], v[164:165]
	v_fma_f64 v[152:153], v[152:153], v[6:7], -v[8:9]
	v_add_f64 v[164:165], v[166:167], 0
	v_add_f64 v[166:167], v[168:169], 0
	scratch_load_b128 v[6:9], off, off offset:528
	v_fma_f64 v[170:171], v[4:5], v[10:11], v[170:171]
	v_fma_f64 v[172:173], v[2:3], v[10:11], -v[12:13]
	scratch_load_b128 v[10:13], off, off offset:544
	ds_load_b128 v[2:5], v1 offset:976
	s_waitcnt vmcnt(10) lgkmcnt(1)
	v_mul_f64 v[168:169], v[160:161], v[16:17]
	v_mul_f64 v[16:17], v[162:163], v[16:17]
	v_add_f64 v[164:165], v[164:165], v[152:153]
	v_add_f64 v[166:167], v[166:167], v[154:155]
	s_waitcnt vmcnt(9) lgkmcnt(0)
	v_mul_f64 v[174:175], v[2:3], v[20:21]
	v_mul_f64 v[20:21], v[4:5], v[20:21]
	ds_load_b128 v[152:155], v1 offset:992
	v_fma_f64 v[162:163], v[162:163], v[14:15], v[168:169]
	v_fma_f64 v[14:15], v[160:161], v[14:15], -v[16:17]
	v_add_f64 v[16:17], v[164:165], v[172:173]
	v_add_f64 v[160:161], v[166:167], v[170:171]
	s_waitcnt vmcnt(8) lgkmcnt(0)
	v_mul_f64 v[164:165], v[152:153], v[24:25]
	v_mul_f64 v[24:25], v[154:155], v[24:25]
	v_fma_f64 v[166:167], v[4:5], v[18:19], v[174:175]
	v_fma_f64 v[18:19], v[2:3], v[18:19], -v[20:21]
	v_add_f64 v[20:21], v[16:17], v[14:15]
	v_add_f64 v[160:161], v[160:161], v[162:163]
	ds_load_b128 v[2:5], v1 offset:1008
	ds_load_b128 v[14:17], v1 offset:1024
	v_fma_f64 v[154:155], v[154:155], v[22:23], v[164:165]
	v_fma_f64 v[22:23], v[152:153], v[22:23], -v[24:25]
	s_waitcnt vmcnt(7) lgkmcnt(1)
	v_mul_f64 v[162:163], v[2:3], v[28:29]
	v_mul_f64 v[28:29], v[4:5], v[28:29]
	s_waitcnt vmcnt(6) lgkmcnt(0)
	v_mul_f64 v[24:25], v[14:15], v[32:33]
	v_mul_f64 v[32:33], v[16:17], v[32:33]
	v_add_f64 v[18:19], v[20:21], v[18:19]
	v_add_f64 v[20:21], v[160:161], v[166:167]
	v_fma_f64 v[152:153], v[4:5], v[26:27], v[162:163]
	v_fma_f64 v[26:27], v[2:3], v[26:27], -v[28:29]
	v_fma_f64 v[16:17], v[16:17], v[30:31], v[24:25]
	v_fma_f64 v[14:15], v[14:15], v[30:31], -v[32:33]
	v_add_f64 v[22:23], v[18:19], v[22:23]
	v_add_f64 v[28:29], v[20:21], v[154:155]
	ds_load_b128 v[2:5], v1 offset:1040
	ds_load_b128 v[18:21], v1 offset:1056
	s_waitcnt vmcnt(5) lgkmcnt(1)
	v_mul_f64 v[154:155], v[2:3], v[40:41]
	v_mul_f64 v[40:41], v[4:5], v[40:41]
	v_add_f64 v[22:23], v[22:23], v[26:27]
	v_add_f64 v[24:25], v[28:29], v[152:153]
	s_waitcnt vmcnt(3) lgkmcnt(0)
	v_mul_f64 v[26:27], v[18:19], v[158:159]
	v_mul_f64 v[28:29], v[20:21], v[158:159]
	v_fma_f64 v[30:31], v[4:5], v[38:39], v[154:155]
	v_fma_f64 v[32:33], v[2:3], v[38:39], -v[40:41]
	v_add_f64 v[22:23], v[22:23], v[14:15]
	v_add_f64 v[24:25], v[24:25], v[16:17]
	ds_load_b128 v[2:5], v1 offset:1072
	ds_load_b128 v[14:17], v1 offset:1088
	v_fma_f64 v[20:21], v[20:21], v[156:157], v[26:27]
	v_fma_f64 v[18:19], v[18:19], v[156:157], -v[28:29]
	s_waitcnt vmcnt(2) lgkmcnt(1)
	v_mul_f64 v[38:39], v[2:3], v[36:37]
	v_mul_f64 v[36:37], v[4:5], v[36:37]
	v_add_f64 v[22:23], v[22:23], v[32:33]
	v_add_f64 v[24:25], v[24:25], v[30:31]
	s_waitcnt vmcnt(1) lgkmcnt(0)
	v_mul_f64 v[26:27], v[14:15], v[8:9]
	v_mul_f64 v[8:9], v[16:17], v[8:9]
	v_fma_f64 v[28:29], v[4:5], v[34:35], v[38:39]
	v_fma_f64 v[30:31], v[2:3], v[34:35], -v[36:37]
	ds_load_b128 v[2:5], v1 offset:1104
	v_add_f64 v[18:19], v[22:23], v[18:19]
	v_add_f64 v[20:21], v[24:25], v[20:21]
	s_waitcnt vmcnt(0) lgkmcnt(0)
	v_mul_f64 v[22:23], v[2:3], v[12:13]
	v_mul_f64 v[12:13], v[4:5], v[12:13]
	v_fma_f64 v[16:17], v[16:17], v[6:7], v[26:27]
	v_fma_f64 v[6:7], v[14:15], v[6:7], -v[8:9]
	v_add_f64 v[8:9], v[18:19], v[30:31]
	v_add_f64 v[14:15], v[20:21], v[28:29]
	v_fma_f64 v[4:5], v[4:5], v[10:11], v[22:23]
	v_fma_f64 v[2:3], v[2:3], v[10:11], -v[12:13]
	s_delay_alu instid0(VALU_DEP_4) | instskip(NEXT) | instid1(VALU_DEP_4)
	v_add_f64 v[6:7], v[8:9], v[6:7]
	v_add_f64 v[8:9], v[14:15], v[16:17]
	s_delay_alu instid0(VALU_DEP_2) | instskip(NEXT) | instid1(VALU_DEP_2)
	v_add_f64 v[2:3], v[6:7], v[2:3]
	v_add_f64 v[4:5], v[8:9], v[4:5]
	s_delay_alu instid0(VALU_DEP_2) | instskip(NEXT) | instid1(VALU_DEP_2)
	v_add_f64 v[2:3], v[42:43], -v[2:3]
	v_add_f64 v[4:5], v[44:45], -v[4:5]
	scratch_store_b128 off, v[2:5], off offset:336
	v_cmpx_lt_u32_e32 20, v116
	s_cbranch_execz .LBB34_183
; %bb.182:
	scratch_load_b128 v[5:8], v122, off
	v_mov_b32_e32 v2, v1
	v_mov_b32_e32 v3, v1
	;; [unrolled: 1-line block ×3, first 2 shown]
	scratch_store_b128 off, v[1:4], off offset:320
	s_waitcnt vmcnt(0)
	ds_store_b128 v151, v[5:8]
.LBB34_183:
	s_or_b32 exec_lo, exec_lo, s2
	s_waitcnt lgkmcnt(0)
	s_waitcnt_vscnt null, 0x0
	s_barrier
	buffer_gl0_inv
	s_clause 0x8
	scratch_load_b128 v[2:5], off, off offset:336
	scratch_load_b128 v[6:9], off, off offset:352
	scratch_load_b128 v[10:13], off, off offset:368
	scratch_load_b128 v[14:17], off, off offset:384
	scratch_load_b128 v[18:21], off, off offset:400
	scratch_load_b128 v[22:25], off, off offset:416
	scratch_load_b128 v[26:29], off, off offset:432
	scratch_load_b128 v[30:33], off, off offset:448
	scratch_load_b128 v[34:37], off, off offset:464
	ds_load_b128 v[38:41], v1 offset:896
	ds_load_b128 v[42:45], v1 offset:912
	s_clause 0x1
	scratch_load_b128 v[152:155], off, off offset:320
	scratch_load_b128 v[156:159], off, off offset:480
	s_mov_b32 s2, exec_lo
	s_waitcnt vmcnt(10) lgkmcnt(1)
	v_mul_f64 v[160:161], v[40:41], v[4:5]
	v_mul_f64 v[4:5], v[38:39], v[4:5]
	s_waitcnt vmcnt(9) lgkmcnt(0)
	v_mul_f64 v[164:165], v[42:43], v[8:9]
	v_mul_f64 v[8:9], v[44:45], v[8:9]
	s_delay_alu instid0(VALU_DEP_4) | instskip(NEXT) | instid1(VALU_DEP_4)
	v_fma_f64 v[166:167], v[38:39], v[2:3], -v[160:161]
	v_fma_f64 v[168:169], v[40:41], v[2:3], v[4:5]
	ds_load_b128 v[2:5], v1 offset:928
	ds_load_b128 v[160:163], v1 offset:944
	scratch_load_b128 v[38:41], off, off offset:496
	v_fma_f64 v[44:45], v[44:45], v[6:7], v[164:165]
	v_fma_f64 v[42:43], v[42:43], v[6:7], -v[8:9]
	scratch_load_b128 v[6:9], off, off offset:512
	s_waitcnt vmcnt(10) lgkmcnt(1)
	v_mul_f64 v[170:171], v[2:3], v[12:13]
	v_mul_f64 v[12:13], v[4:5], v[12:13]
	v_add_f64 v[164:165], v[166:167], 0
	v_add_f64 v[166:167], v[168:169], 0
	s_waitcnt vmcnt(9) lgkmcnt(0)
	v_mul_f64 v[168:169], v[160:161], v[16:17]
	v_mul_f64 v[16:17], v[162:163], v[16:17]
	v_fma_f64 v[170:171], v[4:5], v[10:11], v[170:171]
	v_fma_f64 v[172:173], v[2:3], v[10:11], -v[12:13]
	ds_load_b128 v[2:5], v1 offset:960
	scratch_load_b128 v[10:13], off, off offset:528
	v_add_f64 v[164:165], v[164:165], v[42:43]
	v_add_f64 v[166:167], v[166:167], v[44:45]
	ds_load_b128 v[42:45], v1 offset:976
	v_fma_f64 v[162:163], v[162:163], v[14:15], v[168:169]
	v_fma_f64 v[160:161], v[160:161], v[14:15], -v[16:17]
	scratch_load_b128 v[14:17], off, off offset:544
	s_waitcnt vmcnt(10) lgkmcnt(1)
	v_mul_f64 v[174:175], v[2:3], v[20:21]
	v_mul_f64 v[20:21], v[4:5], v[20:21]
	s_waitcnt vmcnt(9) lgkmcnt(0)
	v_mul_f64 v[168:169], v[42:43], v[24:25]
	v_mul_f64 v[24:25], v[44:45], v[24:25]
	v_add_f64 v[164:165], v[164:165], v[172:173]
	v_add_f64 v[166:167], v[166:167], v[170:171]
	v_fma_f64 v[170:171], v[4:5], v[18:19], v[174:175]
	v_fma_f64 v[172:173], v[2:3], v[18:19], -v[20:21]
	ds_load_b128 v[2:5], v1 offset:992
	ds_load_b128 v[18:21], v1 offset:1008
	v_fma_f64 v[44:45], v[44:45], v[22:23], v[168:169]
	v_fma_f64 v[22:23], v[42:43], v[22:23], -v[24:25]
	v_add_f64 v[160:161], v[164:165], v[160:161]
	v_add_f64 v[162:163], v[166:167], v[162:163]
	s_waitcnt vmcnt(8) lgkmcnt(1)
	v_mul_f64 v[164:165], v[2:3], v[28:29]
	v_mul_f64 v[28:29], v[4:5], v[28:29]
	s_delay_alu instid0(VALU_DEP_4) | instskip(NEXT) | instid1(VALU_DEP_4)
	v_add_f64 v[24:25], v[160:161], v[172:173]
	v_add_f64 v[42:43], v[162:163], v[170:171]
	s_waitcnt vmcnt(7) lgkmcnt(0)
	v_mul_f64 v[160:161], v[18:19], v[32:33]
	v_mul_f64 v[32:33], v[20:21], v[32:33]
	v_fma_f64 v[162:163], v[4:5], v[26:27], v[164:165]
	v_fma_f64 v[26:27], v[2:3], v[26:27], -v[28:29]
	v_add_f64 v[28:29], v[24:25], v[22:23]
	v_add_f64 v[42:43], v[42:43], v[44:45]
	ds_load_b128 v[2:5], v1 offset:1024
	ds_load_b128 v[22:25], v1 offset:1040
	v_fma_f64 v[20:21], v[20:21], v[30:31], v[160:161]
	v_fma_f64 v[18:19], v[18:19], v[30:31], -v[32:33]
	s_waitcnt vmcnt(6) lgkmcnt(1)
	v_mul_f64 v[44:45], v[2:3], v[36:37]
	v_mul_f64 v[36:37], v[4:5], v[36:37]
	s_waitcnt vmcnt(4) lgkmcnt(0)
	v_mul_f64 v[30:31], v[22:23], v[158:159]
	v_mul_f64 v[32:33], v[24:25], v[158:159]
	v_add_f64 v[26:27], v[28:29], v[26:27]
	v_add_f64 v[28:29], v[42:43], v[162:163]
	v_fma_f64 v[42:43], v[4:5], v[34:35], v[44:45]
	v_fma_f64 v[34:35], v[2:3], v[34:35], -v[36:37]
	v_fma_f64 v[24:25], v[24:25], v[156:157], v[30:31]
	v_fma_f64 v[22:23], v[22:23], v[156:157], -v[32:33]
	v_add_f64 v[26:27], v[26:27], v[18:19]
	v_add_f64 v[28:29], v[28:29], v[20:21]
	ds_load_b128 v[2:5], v1 offset:1056
	ds_load_b128 v[18:21], v1 offset:1072
	s_waitcnt vmcnt(3) lgkmcnt(1)
	v_mul_f64 v[36:37], v[2:3], v[40:41]
	v_mul_f64 v[40:41], v[4:5], v[40:41]
	s_waitcnt vmcnt(2) lgkmcnt(0)
	v_mul_f64 v[30:31], v[18:19], v[8:9]
	v_mul_f64 v[8:9], v[20:21], v[8:9]
	v_add_f64 v[26:27], v[26:27], v[34:35]
	v_add_f64 v[28:29], v[28:29], v[42:43]
	v_fma_f64 v[32:33], v[4:5], v[38:39], v[36:37]
	v_fma_f64 v[34:35], v[2:3], v[38:39], -v[40:41]
	v_fma_f64 v[20:21], v[20:21], v[6:7], v[30:31]
	v_fma_f64 v[6:7], v[18:19], v[6:7], -v[8:9]
	v_add_f64 v[26:27], v[26:27], v[22:23]
	v_add_f64 v[28:29], v[28:29], v[24:25]
	ds_load_b128 v[2:5], v1 offset:1088
	ds_load_b128 v[22:25], v1 offset:1104
	s_waitcnt vmcnt(1) lgkmcnt(1)
	v_mul_f64 v[36:37], v[2:3], v[12:13]
	v_mul_f64 v[12:13], v[4:5], v[12:13]
	v_add_f64 v[8:9], v[26:27], v[34:35]
	v_add_f64 v[18:19], v[28:29], v[32:33]
	s_waitcnt vmcnt(0) lgkmcnt(0)
	v_mul_f64 v[26:27], v[22:23], v[16:17]
	v_mul_f64 v[16:17], v[24:25], v[16:17]
	v_fma_f64 v[4:5], v[4:5], v[10:11], v[36:37]
	v_fma_f64 v[1:2], v[2:3], v[10:11], -v[12:13]
	v_add_f64 v[6:7], v[8:9], v[6:7]
	v_add_f64 v[8:9], v[18:19], v[20:21]
	v_fma_f64 v[10:11], v[24:25], v[14:15], v[26:27]
	v_fma_f64 v[12:13], v[22:23], v[14:15], -v[16:17]
	s_delay_alu instid0(VALU_DEP_4) | instskip(NEXT) | instid1(VALU_DEP_4)
	v_add_f64 v[1:2], v[6:7], v[1:2]
	v_add_f64 v[3:4], v[8:9], v[4:5]
	s_delay_alu instid0(VALU_DEP_2) | instskip(NEXT) | instid1(VALU_DEP_2)
	v_add_f64 v[1:2], v[1:2], v[12:13]
	v_add_f64 v[3:4], v[3:4], v[10:11]
	s_delay_alu instid0(VALU_DEP_2) | instskip(NEXT) | instid1(VALU_DEP_2)
	v_add_f64 v[1:2], v[152:153], -v[1:2]
	v_add_f64 v[3:4], v[154:155], -v[3:4]
	scratch_store_b128 off, v[1:4], off offset:320
	v_cmpx_lt_u32_e32 19, v116
	s_cbranch_execz .LBB34_185
; %bb.184:
	scratch_load_b128 v[1:4], v124, off
	v_mov_b32_e32 v5, 0
	s_delay_alu instid0(VALU_DEP_1)
	v_mov_b32_e32 v6, v5
	v_mov_b32_e32 v7, v5
	v_mov_b32_e32 v8, v5
	scratch_store_b128 off, v[5:8], off offset:304
	s_waitcnt vmcnt(0)
	ds_store_b128 v151, v[1:4]
.LBB34_185:
	s_or_b32 exec_lo, exec_lo, s2
	s_waitcnt lgkmcnt(0)
	s_waitcnt_vscnt null, 0x0
	s_barrier
	buffer_gl0_inv
	s_clause 0x7
	scratch_load_b128 v[2:5], off, off offset:320
	scratch_load_b128 v[6:9], off, off offset:336
	scratch_load_b128 v[10:13], off, off offset:352
	scratch_load_b128 v[14:17], off, off offset:368
	scratch_load_b128 v[18:21], off, off offset:384
	scratch_load_b128 v[22:25], off, off offset:400
	scratch_load_b128 v[26:29], off, off offset:416
	scratch_load_b128 v[30:33], off, off offset:432
	v_mov_b32_e32 v1, 0
	s_mov_b32 s2, exec_lo
	ds_load_b128 v[34:37], v1 offset:880
	s_clause 0x1
	scratch_load_b128 v[38:41], off, off offset:448
	scratch_load_b128 v[42:45], off, off offset:304
	ds_load_b128 v[152:155], v1 offset:896
	scratch_load_b128 v[156:159], off, off offset:464
	s_waitcnt vmcnt(10) lgkmcnt(1)
	v_mul_f64 v[160:161], v[36:37], v[4:5]
	v_mul_f64 v[4:5], v[34:35], v[4:5]
	s_delay_alu instid0(VALU_DEP_2) | instskip(NEXT) | instid1(VALU_DEP_2)
	v_fma_f64 v[166:167], v[34:35], v[2:3], -v[160:161]
	v_fma_f64 v[168:169], v[36:37], v[2:3], v[4:5]
	scratch_load_b128 v[34:37], off, off offset:480
	ds_load_b128 v[2:5], v1 offset:912
	s_waitcnt vmcnt(10) lgkmcnt(1)
	v_mul_f64 v[164:165], v[152:153], v[8:9]
	v_mul_f64 v[8:9], v[154:155], v[8:9]
	ds_load_b128 v[160:163], v1 offset:928
	s_waitcnt vmcnt(9) lgkmcnt(1)
	v_mul_f64 v[170:171], v[2:3], v[12:13]
	v_mul_f64 v[12:13], v[4:5], v[12:13]
	v_fma_f64 v[154:155], v[154:155], v[6:7], v[164:165]
	v_fma_f64 v[152:153], v[152:153], v[6:7], -v[8:9]
	v_add_f64 v[164:165], v[166:167], 0
	v_add_f64 v[166:167], v[168:169], 0
	scratch_load_b128 v[6:9], off, off offset:496
	v_fma_f64 v[170:171], v[4:5], v[10:11], v[170:171]
	v_fma_f64 v[172:173], v[2:3], v[10:11], -v[12:13]
	scratch_load_b128 v[10:13], off, off offset:512
	ds_load_b128 v[2:5], v1 offset:944
	s_waitcnt vmcnt(10) lgkmcnt(1)
	v_mul_f64 v[168:169], v[160:161], v[16:17]
	v_mul_f64 v[16:17], v[162:163], v[16:17]
	v_add_f64 v[164:165], v[164:165], v[152:153]
	v_add_f64 v[166:167], v[166:167], v[154:155]
	s_waitcnt vmcnt(9) lgkmcnt(0)
	v_mul_f64 v[174:175], v[2:3], v[20:21]
	v_mul_f64 v[20:21], v[4:5], v[20:21]
	ds_load_b128 v[152:155], v1 offset:960
	v_fma_f64 v[162:163], v[162:163], v[14:15], v[168:169]
	v_fma_f64 v[160:161], v[160:161], v[14:15], -v[16:17]
	scratch_load_b128 v[14:17], off, off offset:528
	v_add_f64 v[164:165], v[164:165], v[172:173]
	v_add_f64 v[166:167], v[166:167], v[170:171]
	v_fma_f64 v[170:171], v[4:5], v[18:19], v[174:175]
	v_fma_f64 v[172:173], v[2:3], v[18:19], -v[20:21]
	scratch_load_b128 v[18:21], off, off offset:544
	ds_load_b128 v[2:5], v1 offset:976
	s_waitcnt vmcnt(10) lgkmcnt(1)
	v_mul_f64 v[168:169], v[152:153], v[24:25]
	v_mul_f64 v[24:25], v[154:155], v[24:25]
	s_waitcnt vmcnt(9) lgkmcnt(0)
	v_mul_f64 v[174:175], v[2:3], v[28:29]
	v_mul_f64 v[28:29], v[4:5], v[28:29]
	v_add_f64 v[164:165], v[164:165], v[160:161]
	v_add_f64 v[166:167], v[166:167], v[162:163]
	ds_load_b128 v[160:163], v1 offset:992
	v_fma_f64 v[154:155], v[154:155], v[22:23], v[168:169]
	v_fma_f64 v[22:23], v[152:153], v[22:23], -v[24:25]
	v_add_f64 v[24:25], v[164:165], v[172:173]
	v_add_f64 v[152:153], v[166:167], v[170:171]
	s_waitcnt vmcnt(8) lgkmcnt(0)
	v_mul_f64 v[164:165], v[160:161], v[32:33]
	v_mul_f64 v[32:33], v[162:163], v[32:33]
	v_fma_f64 v[166:167], v[4:5], v[26:27], v[174:175]
	v_fma_f64 v[26:27], v[2:3], v[26:27], -v[28:29]
	v_add_f64 v[28:29], v[24:25], v[22:23]
	v_add_f64 v[152:153], v[152:153], v[154:155]
	ds_load_b128 v[2:5], v1 offset:1008
	ds_load_b128 v[22:25], v1 offset:1024
	v_fma_f64 v[162:163], v[162:163], v[30:31], v[164:165]
	v_fma_f64 v[30:31], v[160:161], v[30:31], -v[32:33]
	s_waitcnt vmcnt(7) lgkmcnt(1)
	v_mul_f64 v[154:155], v[2:3], v[40:41]
	v_mul_f64 v[40:41], v[4:5], v[40:41]
	s_waitcnt vmcnt(5) lgkmcnt(0)
	v_mul_f64 v[32:33], v[22:23], v[158:159]
	v_add_f64 v[26:27], v[28:29], v[26:27]
	v_add_f64 v[28:29], v[152:153], v[166:167]
	v_mul_f64 v[152:153], v[24:25], v[158:159]
	v_fma_f64 v[154:155], v[4:5], v[38:39], v[154:155]
	v_fma_f64 v[38:39], v[2:3], v[38:39], -v[40:41]
	v_fma_f64 v[24:25], v[24:25], v[156:157], v[32:33]
	v_add_f64 v[30:31], v[26:27], v[30:31]
	v_add_f64 v[40:41], v[28:29], v[162:163]
	ds_load_b128 v[2:5], v1 offset:1040
	ds_load_b128 v[26:29], v1 offset:1056
	v_fma_f64 v[22:23], v[22:23], v[156:157], -v[152:153]
	s_waitcnt vmcnt(4) lgkmcnt(1)
	v_mul_f64 v[158:159], v[2:3], v[36:37]
	v_mul_f64 v[36:37], v[4:5], v[36:37]
	v_add_f64 v[30:31], v[30:31], v[38:39]
	v_add_f64 v[32:33], v[40:41], v[154:155]
	s_waitcnt vmcnt(3) lgkmcnt(0)
	v_mul_f64 v[38:39], v[26:27], v[8:9]
	v_mul_f64 v[8:9], v[28:29], v[8:9]
	v_fma_f64 v[40:41], v[4:5], v[34:35], v[158:159]
	v_fma_f64 v[34:35], v[2:3], v[34:35], -v[36:37]
	v_add_f64 v[30:31], v[30:31], v[22:23]
	v_add_f64 v[32:33], v[32:33], v[24:25]
	ds_load_b128 v[2:5], v1 offset:1072
	ds_load_b128 v[22:25], v1 offset:1088
	v_fma_f64 v[28:29], v[28:29], v[6:7], v[38:39]
	v_fma_f64 v[6:7], v[26:27], v[6:7], -v[8:9]
	s_waitcnt vmcnt(2) lgkmcnt(1)
	v_mul_f64 v[36:37], v[2:3], v[12:13]
	v_mul_f64 v[12:13], v[4:5], v[12:13]
	v_add_f64 v[8:9], v[30:31], v[34:35]
	v_add_f64 v[26:27], v[32:33], v[40:41]
	s_waitcnt vmcnt(1) lgkmcnt(0)
	v_mul_f64 v[30:31], v[22:23], v[16:17]
	v_mul_f64 v[16:17], v[24:25], v[16:17]
	v_fma_f64 v[32:33], v[4:5], v[10:11], v[36:37]
	v_fma_f64 v[10:11], v[2:3], v[10:11], -v[12:13]
	ds_load_b128 v[2:5], v1 offset:1104
	v_add_f64 v[6:7], v[8:9], v[6:7]
	v_add_f64 v[8:9], v[26:27], v[28:29]
	v_fma_f64 v[24:25], v[24:25], v[14:15], v[30:31]
	v_fma_f64 v[14:15], v[22:23], v[14:15], -v[16:17]
	s_waitcnt vmcnt(0) lgkmcnt(0)
	v_mul_f64 v[12:13], v[2:3], v[20:21]
	v_mul_f64 v[20:21], v[4:5], v[20:21]
	v_add_f64 v[6:7], v[6:7], v[10:11]
	v_add_f64 v[8:9], v[8:9], v[32:33]
	s_delay_alu instid0(VALU_DEP_4) | instskip(NEXT) | instid1(VALU_DEP_4)
	v_fma_f64 v[4:5], v[4:5], v[18:19], v[12:13]
	v_fma_f64 v[2:3], v[2:3], v[18:19], -v[20:21]
	s_delay_alu instid0(VALU_DEP_4) | instskip(NEXT) | instid1(VALU_DEP_4)
	v_add_f64 v[6:7], v[6:7], v[14:15]
	v_add_f64 v[8:9], v[8:9], v[24:25]
	s_delay_alu instid0(VALU_DEP_2) | instskip(NEXT) | instid1(VALU_DEP_2)
	v_add_f64 v[2:3], v[6:7], v[2:3]
	v_add_f64 v[4:5], v[8:9], v[4:5]
	s_delay_alu instid0(VALU_DEP_2) | instskip(NEXT) | instid1(VALU_DEP_2)
	v_add_f64 v[2:3], v[42:43], -v[2:3]
	v_add_f64 v[4:5], v[44:45], -v[4:5]
	scratch_store_b128 off, v[2:5], off offset:304
	v_cmpx_lt_u32_e32 18, v116
	s_cbranch_execz .LBB34_187
; %bb.186:
	scratch_load_b128 v[5:8], v125, off
	v_mov_b32_e32 v2, v1
	v_mov_b32_e32 v3, v1
	;; [unrolled: 1-line block ×3, first 2 shown]
	scratch_store_b128 off, v[1:4], off offset:288
	s_waitcnt vmcnt(0)
	ds_store_b128 v151, v[5:8]
.LBB34_187:
	s_or_b32 exec_lo, exec_lo, s2
	s_waitcnt lgkmcnt(0)
	s_waitcnt_vscnt null, 0x0
	s_barrier
	buffer_gl0_inv
	s_clause 0x8
	scratch_load_b128 v[2:5], off, off offset:304
	scratch_load_b128 v[6:9], off, off offset:320
	;; [unrolled: 1-line block ×9, first 2 shown]
	ds_load_b128 v[38:41], v1 offset:864
	ds_load_b128 v[42:45], v1 offset:880
	s_clause 0x1
	scratch_load_b128 v[152:155], off, off offset:288
	scratch_load_b128 v[156:159], off, off offset:448
	s_mov_b32 s2, exec_lo
	s_waitcnt vmcnt(10) lgkmcnt(1)
	v_mul_f64 v[160:161], v[40:41], v[4:5]
	v_mul_f64 v[4:5], v[38:39], v[4:5]
	s_waitcnt vmcnt(9) lgkmcnt(0)
	v_mul_f64 v[164:165], v[42:43], v[8:9]
	v_mul_f64 v[8:9], v[44:45], v[8:9]
	s_delay_alu instid0(VALU_DEP_4) | instskip(NEXT) | instid1(VALU_DEP_4)
	v_fma_f64 v[166:167], v[38:39], v[2:3], -v[160:161]
	v_fma_f64 v[168:169], v[40:41], v[2:3], v[4:5]
	ds_load_b128 v[2:5], v1 offset:896
	ds_load_b128 v[160:163], v1 offset:912
	scratch_load_b128 v[38:41], off, off offset:464
	v_fma_f64 v[44:45], v[44:45], v[6:7], v[164:165]
	v_fma_f64 v[42:43], v[42:43], v[6:7], -v[8:9]
	scratch_load_b128 v[6:9], off, off offset:480
	s_waitcnt vmcnt(10) lgkmcnt(1)
	v_mul_f64 v[170:171], v[2:3], v[12:13]
	v_mul_f64 v[12:13], v[4:5], v[12:13]
	v_add_f64 v[164:165], v[166:167], 0
	v_add_f64 v[166:167], v[168:169], 0
	s_waitcnt vmcnt(9) lgkmcnt(0)
	v_mul_f64 v[168:169], v[160:161], v[16:17]
	v_mul_f64 v[16:17], v[162:163], v[16:17]
	v_fma_f64 v[170:171], v[4:5], v[10:11], v[170:171]
	v_fma_f64 v[172:173], v[2:3], v[10:11], -v[12:13]
	ds_load_b128 v[2:5], v1 offset:928
	scratch_load_b128 v[10:13], off, off offset:496
	v_add_f64 v[164:165], v[164:165], v[42:43]
	v_add_f64 v[166:167], v[166:167], v[44:45]
	ds_load_b128 v[42:45], v1 offset:944
	v_fma_f64 v[162:163], v[162:163], v[14:15], v[168:169]
	v_fma_f64 v[160:161], v[160:161], v[14:15], -v[16:17]
	scratch_load_b128 v[14:17], off, off offset:512
	s_waitcnt vmcnt(10) lgkmcnt(1)
	v_mul_f64 v[174:175], v[2:3], v[20:21]
	v_mul_f64 v[20:21], v[4:5], v[20:21]
	s_waitcnt vmcnt(9) lgkmcnt(0)
	v_mul_f64 v[168:169], v[42:43], v[24:25]
	v_mul_f64 v[24:25], v[44:45], v[24:25]
	v_add_f64 v[164:165], v[164:165], v[172:173]
	v_add_f64 v[166:167], v[166:167], v[170:171]
	v_fma_f64 v[170:171], v[4:5], v[18:19], v[174:175]
	v_fma_f64 v[172:173], v[2:3], v[18:19], -v[20:21]
	ds_load_b128 v[2:5], v1 offset:960
	scratch_load_b128 v[18:21], off, off offset:528
	v_fma_f64 v[44:45], v[44:45], v[22:23], v[168:169]
	v_fma_f64 v[42:43], v[42:43], v[22:23], -v[24:25]
	scratch_load_b128 v[22:25], off, off offset:544
	v_add_f64 v[164:165], v[164:165], v[160:161]
	v_add_f64 v[166:167], v[166:167], v[162:163]
	ds_load_b128 v[160:163], v1 offset:976
	s_waitcnt vmcnt(10) lgkmcnt(1)
	v_mul_f64 v[174:175], v[2:3], v[28:29]
	v_mul_f64 v[28:29], v[4:5], v[28:29]
	s_waitcnt vmcnt(9) lgkmcnt(0)
	v_mul_f64 v[168:169], v[160:161], v[32:33]
	v_mul_f64 v[32:33], v[162:163], v[32:33]
	v_add_f64 v[164:165], v[164:165], v[172:173]
	v_add_f64 v[166:167], v[166:167], v[170:171]
	v_fma_f64 v[170:171], v[4:5], v[26:27], v[174:175]
	v_fma_f64 v[172:173], v[2:3], v[26:27], -v[28:29]
	ds_load_b128 v[2:5], v1 offset:992
	ds_load_b128 v[26:29], v1 offset:1008
	v_fma_f64 v[162:163], v[162:163], v[30:31], v[168:169]
	v_fma_f64 v[30:31], v[160:161], v[30:31], -v[32:33]
	v_add_f64 v[42:43], v[164:165], v[42:43]
	v_add_f64 v[44:45], v[166:167], v[44:45]
	s_waitcnt vmcnt(8) lgkmcnt(1)
	v_mul_f64 v[164:165], v[2:3], v[36:37]
	v_mul_f64 v[36:37], v[4:5], v[36:37]
	s_delay_alu instid0(VALU_DEP_4) | instskip(NEXT) | instid1(VALU_DEP_4)
	v_add_f64 v[32:33], v[42:43], v[172:173]
	v_add_f64 v[42:43], v[44:45], v[170:171]
	s_waitcnt vmcnt(6) lgkmcnt(0)
	v_mul_f64 v[44:45], v[26:27], v[158:159]
	v_mul_f64 v[158:159], v[28:29], v[158:159]
	v_fma_f64 v[160:161], v[4:5], v[34:35], v[164:165]
	v_fma_f64 v[34:35], v[2:3], v[34:35], -v[36:37]
	v_add_f64 v[36:37], v[32:33], v[30:31]
	v_add_f64 v[42:43], v[42:43], v[162:163]
	ds_load_b128 v[2:5], v1 offset:1024
	ds_load_b128 v[30:33], v1 offset:1040
	v_fma_f64 v[28:29], v[28:29], v[156:157], v[44:45]
	v_fma_f64 v[26:27], v[26:27], v[156:157], -v[158:159]
	s_waitcnt vmcnt(5) lgkmcnt(1)
	v_mul_f64 v[162:163], v[2:3], v[40:41]
	v_mul_f64 v[40:41], v[4:5], v[40:41]
	v_add_f64 v[34:35], v[36:37], v[34:35]
	v_add_f64 v[36:37], v[42:43], v[160:161]
	s_waitcnt vmcnt(4) lgkmcnt(0)
	v_mul_f64 v[42:43], v[30:31], v[8:9]
	v_mul_f64 v[8:9], v[32:33], v[8:9]
	v_fma_f64 v[44:45], v[4:5], v[38:39], v[162:163]
	v_fma_f64 v[38:39], v[2:3], v[38:39], -v[40:41]
	v_add_f64 v[34:35], v[34:35], v[26:27]
	v_add_f64 v[36:37], v[36:37], v[28:29]
	ds_load_b128 v[2:5], v1 offset:1056
	ds_load_b128 v[26:29], v1 offset:1072
	v_fma_f64 v[32:33], v[32:33], v[6:7], v[42:43]
	v_fma_f64 v[6:7], v[30:31], v[6:7], -v[8:9]
	s_waitcnt vmcnt(3) lgkmcnt(1)
	v_mul_f64 v[40:41], v[2:3], v[12:13]
	v_mul_f64 v[12:13], v[4:5], v[12:13]
	;; [unrolled: 16-line block ×3, first 2 shown]
	s_waitcnt vmcnt(0) lgkmcnt(0)
	v_mul_f64 v[16:17], v[6:7], v[24:25]
	v_mul_f64 v[24:25], v[8:9], v[24:25]
	v_add_f64 v[10:11], v[12:13], v[10:11]
	v_add_f64 v[12:13], v[30:31], v[36:37]
	v_fma_f64 v[4:5], v[4:5], v[18:19], v[32:33]
	v_fma_f64 v[1:2], v[2:3], v[18:19], -v[20:21]
	v_fma_f64 v[8:9], v[8:9], v[22:23], v[16:17]
	v_fma_f64 v[6:7], v[6:7], v[22:23], -v[24:25]
	v_add_f64 v[10:11], v[10:11], v[14:15]
	v_add_f64 v[12:13], v[12:13], v[28:29]
	s_delay_alu instid0(VALU_DEP_2) | instskip(NEXT) | instid1(VALU_DEP_2)
	v_add_f64 v[1:2], v[10:11], v[1:2]
	v_add_f64 v[3:4], v[12:13], v[4:5]
	s_delay_alu instid0(VALU_DEP_2) | instskip(NEXT) | instid1(VALU_DEP_2)
	;; [unrolled: 3-line block ×3, first 2 shown]
	v_add_f64 v[1:2], v[152:153], -v[1:2]
	v_add_f64 v[3:4], v[154:155], -v[3:4]
	scratch_store_b128 off, v[1:4], off offset:288
	v_cmpx_lt_u32_e32 17, v116
	s_cbranch_execz .LBB34_189
; %bb.188:
	scratch_load_b128 v[1:4], v127, off
	v_mov_b32_e32 v5, 0
	s_delay_alu instid0(VALU_DEP_1)
	v_mov_b32_e32 v6, v5
	v_mov_b32_e32 v7, v5
	;; [unrolled: 1-line block ×3, first 2 shown]
	scratch_store_b128 off, v[5:8], off offset:272
	s_waitcnt vmcnt(0)
	ds_store_b128 v151, v[1:4]
.LBB34_189:
	s_or_b32 exec_lo, exec_lo, s2
	s_waitcnt lgkmcnt(0)
	s_waitcnt_vscnt null, 0x0
	s_barrier
	buffer_gl0_inv
	s_clause 0x7
	scratch_load_b128 v[2:5], off, off offset:288
	scratch_load_b128 v[6:9], off, off offset:304
	;; [unrolled: 1-line block ×8, first 2 shown]
	v_mov_b32_e32 v1, 0
	s_mov_b32 s2, exec_lo
	ds_load_b128 v[34:37], v1 offset:848
	s_clause 0x1
	scratch_load_b128 v[38:41], off, off offset:416
	scratch_load_b128 v[42:45], off, off offset:272
	ds_load_b128 v[152:155], v1 offset:864
	scratch_load_b128 v[156:159], off, off offset:432
	s_waitcnt vmcnt(10) lgkmcnt(1)
	v_mul_f64 v[160:161], v[36:37], v[4:5]
	v_mul_f64 v[4:5], v[34:35], v[4:5]
	s_delay_alu instid0(VALU_DEP_2) | instskip(NEXT) | instid1(VALU_DEP_2)
	v_fma_f64 v[166:167], v[34:35], v[2:3], -v[160:161]
	v_fma_f64 v[168:169], v[36:37], v[2:3], v[4:5]
	scratch_load_b128 v[34:37], off, off offset:448
	ds_load_b128 v[2:5], v1 offset:880
	s_waitcnt vmcnt(10) lgkmcnt(1)
	v_mul_f64 v[164:165], v[152:153], v[8:9]
	v_mul_f64 v[8:9], v[154:155], v[8:9]
	ds_load_b128 v[160:163], v1 offset:896
	s_waitcnt vmcnt(9) lgkmcnt(1)
	v_mul_f64 v[170:171], v[2:3], v[12:13]
	v_mul_f64 v[12:13], v[4:5], v[12:13]
	v_fma_f64 v[154:155], v[154:155], v[6:7], v[164:165]
	v_fma_f64 v[152:153], v[152:153], v[6:7], -v[8:9]
	v_add_f64 v[164:165], v[166:167], 0
	v_add_f64 v[166:167], v[168:169], 0
	scratch_load_b128 v[6:9], off, off offset:464
	v_fma_f64 v[170:171], v[4:5], v[10:11], v[170:171]
	v_fma_f64 v[172:173], v[2:3], v[10:11], -v[12:13]
	scratch_load_b128 v[10:13], off, off offset:480
	ds_load_b128 v[2:5], v1 offset:912
	s_waitcnt vmcnt(10) lgkmcnt(1)
	v_mul_f64 v[168:169], v[160:161], v[16:17]
	v_mul_f64 v[16:17], v[162:163], v[16:17]
	v_add_f64 v[164:165], v[164:165], v[152:153]
	v_add_f64 v[166:167], v[166:167], v[154:155]
	s_waitcnt vmcnt(9) lgkmcnt(0)
	v_mul_f64 v[174:175], v[2:3], v[20:21]
	v_mul_f64 v[20:21], v[4:5], v[20:21]
	ds_load_b128 v[152:155], v1 offset:928
	v_fma_f64 v[162:163], v[162:163], v[14:15], v[168:169]
	v_fma_f64 v[160:161], v[160:161], v[14:15], -v[16:17]
	scratch_load_b128 v[14:17], off, off offset:496
	v_add_f64 v[164:165], v[164:165], v[172:173]
	v_add_f64 v[166:167], v[166:167], v[170:171]
	v_fma_f64 v[170:171], v[4:5], v[18:19], v[174:175]
	v_fma_f64 v[172:173], v[2:3], v[18:19], -v[20:21]
	scratch_load_b128 v[18:21], off, off offset:512
	ds_load_b128 v[2:5], v1 offset:944
	s_waitcnt vmcnt(10) lgkmcnt(1)
	v_mul_f64 v[168:169], v[152:153], v[24:25]
	v_mul_f64 v[24:25], v[154:155], v[24:25]
	s_waitcnt vmcnt(9) lgkmcnt(0)
	v_mul_f64 v[174:175], v[2:3], v[28:29]
	v_mul_f64 v[28:29], v[4:5], v[28:29]
	v_add_f64 v[164:165], v[164:165], v[160:161]
	v_add_f64 v[166:167], v[166:167], v[162:163]
	ds_load_b128 v[160:163], v1 offset:960
	v_fma_f64 v[154:155], v[154:155], v[22:23], v[168:169]
	v_fma_f64 v[152:153], v[152:153], v[22:23], -v[24:25]
	scratch_load_b128 v[22:25], off, off offset:528
	v_add_f64 v[164:165], v[164:165], v[172:173]
	v_add_f64 v[166:167], v[166:167], v[170:171]
	v_fma_f64 v[170:171], v[4:5], v[26:27], v[174:175]
	v_fma_f64 v[172:173], v[2:3], v[26:27], -v[28:29]
	scratch_load_b128 v[26:29], off, off offset:544
	ds_load_b128 v[2:5], v1 offset:976
	s_waitcnt vmcnt(10) lgkmcnt(1)
	v_mul_f64 v[168:169], v[160:161], v[32:33]
	v_mul_f64 v[32:33], v[162:163], v[32:33]
	s_waitcnt vmcnt(9) lgkmcnt(0)
	v_mul_f64 v[174:175], v[2:3], v[40:41]
	v_mul_f64 v[40:41], v[4:5], v[40:41]
	v_add_f64 v[164:165], v[164:165], v[152:153]
	v_add_f64 v[166:167], v[166:167], v[154:155]
	ds_load_b128 v[152:155], v1 offset:992
	v_fma_f64 v[162:163], v[162:163], v[30:31], v[168:169]
	v_fma_f64 v[30:31], v[160:161], v[30:31], -v[32:33]
	v_add_f64 v[32:33], v[164:165], v[172:173]
	v_add_f64 v[160:161], v[166:167], v[170:171]
	s_waitcnt vmcnt(7) lgkmcnt(0)
	v_mul_f64 v[164:165], v[152:153], v[158:159]
	v_mul_f64 v[158:159], v[154:155], v[158:159]
	v_fma_f64 v[166:167], v[4:5], v[38:39], v[174:175]
	v_fma_f64 v[38:39], v[2:3], v[38:39], -v[40:41]
	v_add_f64 v[40:41], v[32:33], v[30:31]
	v_add_f64 v[160:161], v[160:161], v[162:163]
	ds_load_b128 v[2:5], v1 offset:1008
	ds_load_b128 v[30:33], v1 offset:1024
	v_fma_f64 v[154:155], v[154:155], v[156:157], v[164:165]
	v_fma_f64 v[152:153], v[152:153], v[156:157], -v[158:159]
	s_waitcnt vmcnt(6) lgkmcnt(1)
	v_mul_f64 v[162:163], v[2:3], v[36:37]
	v_mul_f64 v[36:37], v[4:5], v[36:37]
	v_add_f64 v[38:39], v[40:41], v[38:39]
	v_add_f64 v[40:41], v[160:161], v[166:167]
	s_waitcnt vmcnt(5) lgkmcnt(0)
	v_mul_f64 v[156:157], v[30:31], v[8:9]
	v_mul_f64 v[8:9], v[32:33], v[8:9]
	v_fma_f64 v[158:159], v[4:5], v[34:35], v[162:163]
	v_fma_f64 v[160:161], v[2:3], v[34:35], -v[36:37]
	ds_load_b128 v[2:5], v1 offset:1040
	ds_load_b128 v[34:37], v1 offset:1056
	v_add_f64 v[38:39], v[38:39], v[152:153]
	v_add_f64 v[40:41], v[40:41], v[154:155]
	s_waitcnt vmcnt(4) lgkmcnt(1)
	v_mul_f64 v[152:153], v[2:3], v[12:13]
	v_mul_f64 v[12:13], v[4:5], v[12:13]
	v_fma_f64 v[32:33], v[32:33], v[6:7], v[156:157]
	v_fma_f64 v[6:7], v[30:31], v[6:7], -v[8:9]
	v_add_f64 v[8:9], v[38:39], v[160:161]
	v_add_f64 v[30:31], v[40:41], v[158:159]
	s_waitcnt vmcnt(3) lgkmcnt(0)
	v_mul_f64 v[38:39], v[34:35], v[16:17]
	v_mul_f64 v[16:17], v[36:37], v[16:17]
	v_fma_f64 v[40:41], v[4:5], v[10:11], v[152:153]
	v_fma_f64 v[10:11], v[2:3], v[10:11], -v[12:13]
	v_add_f64 v[12:13], v[8:9], v[6:7]
	v_add_f64 v[30:31], v[30:31], v[32:33]
	ds_load_b128 v[2:5], v1 offset:1072
	ds_load_b128 v[6:9], v1 offset:1088
	v_fma_f64 v[36:37], v[36:37], v[14:15], v[38:39]
	v_fma_f64 v[14:15], v[34:35], v[14:15], -v[16:17]
	s_waitcnt vmcnt(2) lgkmcnt(1)
	v_mul_f64 v[32:33], v[2:3], v[20:21]
	v_mul_f64 v[20:21], v[4:5], v[20:21]
	s_waitcnt vmcnt(1) lgkmcnt(0)
	v_mul_f64 v[16:17], v[6:7], v[24:25]
	v_mul_f64 v[24:25], v[8:9], v[24:25]
	v_add_f64 v[10:11], v[12:13], v[10:11]
	v_add_f64 v[12:13], v[30:31], v[40:41]
	v_fma_f64 v[30:31], v[4:5], v[18:19], v[32:33]
	v_fma_f64 v[18:19], v[2:3], v[18:19], -v[20:21]
	ds_load_b128 v[2:5], v1 offset:1104
	v_fma_f64 v[8:9], v[8:9], v[22:23], v[16:17]
	v_fma_f64 v[6:7], v[6:7], v[22:23], -v[24:25]
	v_add_f64 v[10:11], v[10:11], v[14:15]
	v_add_f64 v[12:13], v[12:13], v[36:37]
	s_waitcnt vmcnt(0) lgkmcnt(0)
	v_mul_f64 v[14:15], v[2:3], v[28:29]
	v_mul_f64 v[20:21], v[4:5], v[28:29]
	s_delay_alu instid0(VALU_DEP_4) | instskip(NEXT) | instid1(VALU_DEP_4)
	v_add_f64 v[10:11], v[10:11], v[18:19]
	v_add_f64 v[12:13], v[12:13], v[30:31]
	s_delay_alu instid0(VALU_DEP_4) | instskip(NEXT) | instid1(VALU_DEP_4)
	v_fma_f64 v[4:5], v[4:5], v[26:27], v[14:15]
	v_fma_f64 v[2:3], v[2:3], v[26:27], -v[20:21]
	s_delay_alu instid0(VALU_DEP_4) | instskip(NEXT) | instid1(VALU_DEP_4)
	v_add_f64 v[6:7], v[10:11], v[6:7]
	v_add_f64 v[8:9], v[12:13], v[8:9]
	s_delay_alu instid0(VALU_DEP_2) | instskip(NEXT) | instid1(VALU_DEP_2)
	v_add_f64 v[2:3], v[6:7], v[2:3]
	v_add_f64 v[4:5], v[8:9], v[4:5]
	s_delay_alu instid0(VALU_DEP_2) | instskip(NEXT) | instid1(VALU_DEP_2)
	v_add_f64 v[2:3], v[42:43], -v[2:3]
	v_add_f64 v[4:5], v[44:45], -v[4:5]
	scratch_store_b128 off, v[2:5], off offset:272
	v_cmpx_lt_u32_e32 16, v116
	s_cbranch_execz .LBB34_191
; %bb.190:
	scratch_load_b128 v[5:8], v126, off
	v_mov_b32_e32 v2, v1
	v_mov_b32_e32 v3, v1
	;; [unrolled: 1-line block ×3, first 2 shown]
	scratch_store_b128 off, v[1:4], off offset:256
	s_waitcnt vmcnt(0)
	ds_store_b128 v151, v[5:8]
.LBB34_191:
	s_or_b32 exec_lo, exec_lo, s2
	s_waitcnt lgkmcnt(0)
	s_waitcnt_vscnt null, 0x0
	s_barrier
	buffer_gl0_inv
	s_clause 0x8
	scratch_load_b128 v[2:5], off, off offset:272
	scratch_load_b128 v[6:9], off, off offset:288
	;; [unrolled: 1-line block ×9, first 2 shown]
	ds_load_b128 v[38:41], v1 offset:832
	ds_load_b128 v[42:45], v1 offset:848
	s_clause 0x1
	scratch_load_b128 v[152:155], off, off offset:256
	scratch_load_b128 v[156:159], off, off offset:416
	s_mov_b32 s2, exec_lo
	s_waitcnt vmcnt(10) lgkmcnt(1)
	v_mul_f64 v[160:161], v[40:41], v[4:5]
	v_mul_f64 v[4:5], v[38:39], v[4:5]
	s_waitcnt vmcnt(9) lgkmcnt(0)
	v_mul_f64 v[164:165], v[42:43], v[8:9]
	v_mul_f64 v[8:9], v[44:45], v[8:9]
	s_delay_alu instid0(VALU_DEP_4) | instskip(NEXT) | instid1(VALU_DEP_4)
	v_fma_f64 v[166:167], v[38:39], v[2:3], -v[160:161]
	v_fma_f64 v[168:169], v[40:41], v[2:3], v[4:5]
	ds_load_b128 v[2:5], v1 offset:864
	ds_load_b128 v[160:163], v1 offset:880
	scratch_load_b128 v[38:41], off, off offset:432
	v_fma_f64 v[44:45], v[44:45], v[6:7], v[164:165]
	v_fma_f64 v[42:43], v[42:43], v[6:7], -v[8:9]
	scratch_load_b128 v[6:9], off, off offset:448
	s_waitcnt vmcnt(10) lgkmcnt(1)
	v_mul_f64 v[170:171], v[2:3], v[12:13]
	v_mul_f64 v[12:13], v[4:5], v[12:13]
	v_add_f64 v[164:165], v[166:167], 0
	v_add_f64 v[166:167], v[168:169], 0
	s_waitcnt vmcnt(9) lgkmcnt(0)
	v_mul_f64 v[168:169], v[160:161], v[16:17]
	v_mul_f64 v[16:17], v[162:163], v[16:17]
	v_fma_f64 v[170:171], v[4:5], v[10:11], v[170:171]
	v_fma_f64 v[172:173], v[2:3], v[10:11], -v[12:13]
	ds_load_b128 v[2:5], v1 offset:896
	scratch_load_b128 v[10:13], off, off offset:464
	v_add_f64 v[164:165], v[164:165], v[42:43]
	v_add_f64 v[166:167], v[166:167], v[44:45]
	ds_load_b128 v[42:45], v1 offset:912
	v_fma_f64 v[162:163], v[162:163], v[14:15], v[168:169]
	v_fma_f64 v[160:161], v[160:161], v[14:15], -v[16:17]
	scratch_load_b128 v[14:17], off, off offset:480
	s_waitcnt vmcnt(10) lgkmcnt(1)
	v_mul_f64 v[174:175], v[2:3], v[20:21]
	v_mul_f64 v[20:21], v[4:5], v[20:21]
	s_waitcnt vmcnt(9) lgkmcnt(0)
	v_mul_f64 v[168:169], v[42:43], v[24:25]
	v_mul_f64 v[24:25], v[44:45], v[24:25]
	v_add_f64 v[164:165], v[164:165], v[172:173]
	v_add_f64 v[166:167], v[166:167], v[170:171]
	v_fma_f64 v[170:171], v[4:5], v[18:19], v[174:175]
	v_fma_f64 v[172:173], v[2:3], v[18:19], -v[20:21]
	ds_load_b128 v[2:5], v1 offset:928
	scratch_load_b128 v[18:21], off, off offset:496
	v_fma_f64 v[44:45], v[44:45], v[22:23], v[168:169]
	v_fma_f64 v[42:43], v[42:43], v[22:23], -v[24:25]
	scratch_load_b128 v[22:25], off, off offset:512
	v_add_f64 v[164:165], v[164:165], v[160:161]
	v_add_f64 v[166:167], v[166:167], v[162:163]
	ds_load_b128 v[160:163], v1 offset:944
	s_waitcnt vmcnt(10) lgkmcnt(1)
	v_mul_f64 v[174:175], v[2:3], v[28:29]
	v_mul_f64 v[28:29], v[4:5], v[28:29]
	s_waitcnt vmcnt(9) lgkmcnt(0)
	v_mul_f64 v[168:169], v[160:161], v[32:33]
	v_mul_f64 v[32:33], v[162:163], v[32:33]
	v_add_f64 v[164:165], v[164:165], v[172:173]
	v_add_f64 v[166:167], v[166:167], v[170:171]
	v_fma_f64 v[170:171], v[4:5], v[26:27], v[174:175]
	v_fma_f64 v[172:173], v[2:3], v[26:27], -v[28:29]
	ds_load_b128 v[2:5], v1 offset:960
	scratch_load_b128 v[26:29], off, off offset:528
	v_fma_f64 v[162:163], v[162:163], v[30:31], v[168:169]
	v_fma_f64 v[160:161], v[160:161], v[30:31], -v[32:33]
	scratch_load_b128 v[30:33], off, off offset:544
	v_add_f64 v[164:165], v[164:165], v[42:43]
	v_add_f64 v[166:167], v[166:167], v[44:45]
	ds_load_b128 v[42:45], v1 offset:976
	s_waitcnt vmcnt(10) lgkmcnt(1)
	v_mul_f64 v[174:175], v[2:3], v[36:37]
	v_mul_f64 v[36:37], v[4:5], v[36:37]
	s_waitcnt vmcnt(8) lgkmcnt(0)
	v_mul_f64 v[168:169], v[42:43], v[158:159]
	v_mul_f64 v[158:159], v[44:45], v[158:159]
	v_add_f64 v[164:165], v[164:165], v[172:173]
	v_add_f64 v[166:167], v[166:167], v[170:171]
	v_fma_f64 v[170:171], v[4:5], v[34:35], v[174:175]
	v_fma_f64 v[172:173], v[2:3], v[34:35], -v[36:37]
	ds_load_b128 v[2:5], v1 offset:992
	ds_load_b128 v[34:37], v1 offset:1008
	v_fma_f64 v[44:45], v[44:45], v[156:157], v[168:169]
	v_fma_f64 v[42:43], v[42:43], v[156:157], -v[158:159]
	v_add_f64 v[160:161], v[164:165], v[160:161]
	v_add_f64 v[162:163], v[166:167], v[162:163]
	s_waitcnt vmcnt(7) lgkmcnt(1)
	v_mul_f64 v[164:165], v[2:3], v[40:41]
	v_mul_f64 v[40:41], v[4:5], v[40:41]
	s_delay_alu instid0(VALU_DEP_4) | instskip(NEXT) | instid1(VALU_DEP_4)
	v_add_f64 v[156:157], v[160:161], v[172:173]
	v_add_f64 v[158:159], v[162:163], v[170:171]
	s_waitcnt vmcnt(6) lgkmcnt(0)
	v_mul_f64 v[160:161], v[34:35], v[8:9]
	v_mul_f64 v[8:9], v[36:37], v[8:9]
	v_fma_f64 v[162:163], v[4:5], v[38:39], v[164:165]
	v_fma_f64 v[164:165], v[2:3], v[38:39], -v[40:41]
	ds_load_b128 v[2:5], v1 offset:1024
	ds_load_b128 v[38:41], v1 offset:1040
	v_add_f64 v[42:43], v[156:157], v[42:43]
	v_add_f64 v[44:45], v[158:159], v[44:45]
	v_fma_f64 v[36:37], v[36:37], v[6:7], v[160:161]
	s_waitcnt vmcnt(5) lgkmcnt(1)
	v_mul_f64 v[156:157], v[2:3], v[12:13]
	v_mul_f64 v[12:13], v[4:5], v[12:13]
	v_fma_f64 v[6:7], v[34:35], v[6:7], -v[8:9]
	v_add_f64 v[8:9], v[42:43], v[164:165]
	v_add_f64 v[34:35], v[44:45], v[162:163]
	s_waitcnt vmcnt(4) lgkmcnt(0)
	v_mul_f64 v[42:43], v[38:39], v[16:17]
	v_mul_f64 v[16:17], v[40:41], v[16:17]
	v_fma_f64 v[44:45], v[4:5], v[10:11], v[156:157]
	v_fma_f64 v[10:11], v[2:3], v[10:11], -v[12:13]
	v_add_f64 v[12:13], v[8:9], v[6:7]
	v_add_f64 v[34:35], v[34:35], v[36:37]
	ds_load_b128 v[2:5], v1 offset:1056
	ds_load_b128 v[6:9], v1 offset:1072
	v_fma_f64 v[40:41], v[40:41], v[14:15], v[42:43]
	v_fma_f64 v[14:15], v[38:39], v[14:15], -v[16:17]
	s_waitcnt vmcnt(3) lgkmcnt(1)
	v_mul_f64 v[36:37], v[2:3], v[20:21]
	v_mul_f64 v[20:21], v[4:5], v[20:21]
	s_waitcnt vmcnt(2) lgkmcnt(0)
	v_mul_f64 v[16:17], v[6:7], v[24:25]
	v_mul_f64 v[24:25], v[8:9], v[24:25]
	v_add_f64 v[10:11], v[12:13], v[10:11]
	v_add_f64 v[12:13], v[34:35], v[44:45]
	v_fma_f64 v[34:35], v[4:5], v[18:19], v[36:37]
	v_fma_f64 v[18:19], v[2:3], v[18:19], -v[20:21]
	v_fma_f64 v[8:9], v[8:9], v[22:23], v[16:17]
	v_fma_f64 v[6:7], v[6:7], v[22:23], -v[24:25]
	v_add_f64 v[14:15], v[10:11], v[14:15]
	v_add_f64 v[20:21], v[12:13], v[40:41]
	ds_load_b128 v[2:5], v1 offset:1088
	ds_load_b128 v[10:13], v1 offset:1104
	s_waitcnt vmcnt(1) lgkmcnt(1)
	v_mul_f64 v[36:37], v[2:3], v[28:29]
	v_mul_f64 v[28:29], v[4:5], v[28:29]
	v_add_f64 v[14:15], v[14:15], v[18:19]
	v_add_f64 v[16:17], v[20:21], v[34:35]
	s_waitcnt vmcnt(0) lgkmcnt(0)
	v_mul_f64 v[18:19], v[10:11], v[32:33]
	v_mul_f64 v[20:21], v[12:13], v[32:33]
	v_fma_f64 v[4:5], v[4:5], v[26:27], v[36:37]
	v_fma_f64 v[1:2], v[2:3], v[26:27], -v[28:29]
	v_add_f64 v[6:7], v[14:15], v[6:7]
	v_add_f64 v[8:9], v[16:17], v[8:9]
	v_fma_f64 v[12:13], v[12:13], v[30:31], v[18:19]
	v_fma_f64 v[10:11], v[10:11], v[30:31], -v[20:21]
	s_delay_alu instid0(VALU_DEP_4) | instskip(NEXT) | instid1(VALU_DEP_4)
	v_add_f64 v[1:2], v[6:7], v[1:2]
	v_add_f64 v[3:4], v[8:9], v[4:5]
	s_delay_alu instid0(VALU_DEP_2) | instskip(NEXT) | instid1(VALU_DEP_2)
	v_add_f64 v[1:2], v[1:2], v[10:11]
	v_add_f64 v[3:4], v[3:4], v[12:13]
	s_delay_alu instid0(VALU_DEP_2) | instskip(NEXT) | instid1(VALU_DEP_2)
	v_add_f64 v[1:2], v[152:153], -v[1:2]
	v_add_f64 v[3:4], v[154:155], -v[3:4]
	scratch_store_b128 off, v[1:4], off offset:256
	v_cmpx_lt_u32_e32 15, v116
	s_cbranch_execz .LBB34_193
; %bb.192:
	scratch_load_b128 v[1:4], v128, off
	v_mov_b32_e32 v5, 0
	s_delay_alu instid0(VALU_DEP_1)
	v_mov_b32_e32 v6, v5
	v_mov_b32_e32 v7, v5
	;; [unrolled: 1-line block ×3, first 2 shown]
	scratch_store_b128 off, v[5:8], off offset:240
	s_waitcnt vmcnt(0)
	ds_store_b128 v151, v[1:4]
.LBB34_193:
	s_or_b32 exec_lo, exec_lo, s2
	s_waitcnt lgkmcnt(0)
	s_waitcnt_vscnt null, 0x0
	s_barrier
	buffer_gl0_inv
	s_clause 0x7
	scratch_load_b128 v[2:5], off, off offset:256
	scratch_load_b128 v[6:9], off, off offset:272
	;; [unrolled: 1-line block ×8, first 2 shown]
	v_mov_b32_e32 v1, 0
	s_mov_b32 s2, exec_lo
	ds_load_b128 v[34:37], v1 offset:816
	s_clause 0x1
	scratch_load_b128 v[38:41], off, off offset:384
	scratch_load_b128 v[42:45], off, off offset:240
	ds_load_b128 v[152:155], v1 offset:832
	scratch_load_b128 v[156:159], off, off offset:400
	s_waitcnt vmcnt(10) lgkmcnt(1)
	v_mul_f64 v[160:161], v[36:37], v[4:5]
	v_mul_f64 v[4:5], v[34:35], v[4:5]
	s_delay_alu instid0(VALU_DEP_2) | instskip(NEXT) | instid1(VALU_DEP_2)
	v_fma_f64 v[166:167], v[34:35], v[2:3], -v[160:161]
	v_fma_f64 v[168:169], v[36:37], v[2:3], v[4:5]
	scratch_load_b128 v[34:37], off, off offset:416
	ds_load_b128 v[2:5], v1 offset:848
	s_waitcnt vmcnt(10) lgkmcnt(1)
	v_mul_f64 v[164:165], v[152:153], v[8:9]
	v_mul_f64 v[8:9], v[154:155], v[8:9]
	ds_load_b128 v[160:163], v1 offset:864
	s_waitcnt vmcnt(9) lgkmcnt(1)
	v_mul_f64 v[170:171], v[2:3], v[12:13]
	v_mul_f64 v[12:13], v[4:5], v[12:13]
	v_fma_f64 v[154:155], v[154:155], v[6:7], v[164:165]
	v_fma_f64 v[152:153], v[152:153], v[6:7], -v[8:9]
	v_add_f64 v[164:165], v[166:167], 0
	v_add_f64 v[166:167], v[168:169], 0
	scratch_load_b128 v[6:9], off, off offset:432
	v_fma_f64 v[170:171], v[4:5], v[10:11], v[170:171]
	v_fma_f64 v[172:173], v[2:3], v[10:11], -v[12:13]
	scratch_load_b128 v[10:13], off, off offset:448
	ds_load_b128 v[2:5], v1 offset:880
	s_waitcnt vmcnt(10) lgkmcnt(1)
	v_mul_f64 v[168:169], v[160:161], v[16:17]
	v_mul_f64 v[16:17], v[162:163], v[16:17]
	v_add_f64 v[164:165], v[164:165], v[152:153]
	v_add_f64 v[166:167], v[166:167], v[154:155]
	s_waitcnt vmcnt(9) lgkmcnt(0)
	v_mul_f64 v[174:175], v[2:3], v[20:21]
	v_mul_f64 v[20:21], v[4:5], v[20:21]
	ds_load_b128 v[152:155], v1 offset:896
	v_fma_f64 v[162:163], v[162:163], v[14:15], v[168:169]
	v_fma_f64 v[160:161], v[160:161], v[14:15], -v[16:17]
	scratch_load_b128 v[14:17], off, off offset:464
	v_add_f64 v[164:165], v[164:165], v[172:173]
	v_add_f64 v[166:167], v[166:167], v[170:171]
	v_fma_f64 v[170:171], v[4:5], v[18:19], v[174:175]
	v_fma_f64 v[172:173], v[2:3], v[18:19], -v[20:21]
	scratch_load_b128 v[18:21], off, off offset:480
	ds_load_b128 v[2:5], v1 offset:912
	s_waitcnt vmcnt(10) lgkmcnt(1)
	v_mul_f64 v[168:169], v[152:153], v[24:25]
	v_mul_f64 v[24:25], v[154:155], v[24:25]
	s_waitcnt vmcnt(9) lgkmcnt(0)
	v_mul_f64 v[174:175], v[2:3], v[28:29]
	v_mul_f64 v[28:29], v[4:5], v[28:29]
	v_add_f64 v[164:165], v[164:165], v[160:161]
	v_add_f64 v[166:167], v[166:167], v[162:163]
	ds_load_b128 v[160:163], v1 offset:928
	v_fma_f64 v[154:155], v[154:155], v[22:23], v[168:169]
	v_fma_f64 v[152:153], v[152:153], v[22:23], -v[24:25]
	scratch_load_b128 v[22:25], off, off offset:496
	v_add_f64 v[164:165], v[164:165], v[172:173]
	v_add_f64 v[166:167], v[166:167], v[170:171]
	v_fma_f64 v[170:171], v[4:5], v[26:27], v[174:175]
	v_fma_f64 v[172:173], v[2:3], v[26:27], -v[28:29]
	scratch_load_b128 v[26:29], off, off offset:512
	ds_load_b128 v[2:5], v1 offset:944
	s_waitcnt vmcnt(10) lgkmcnt(1)
	v_mul_f64 v[168:169], v[160:161], v[32:33]
	v_mul_f64 v[32:33], v[162:163], v[32:33]
	s_waitcnt vmcnt(9) lgkmcnt(0)
	v_mul_f64 v[174:175], v[2:3], v[40:41]
	v_mul_f64 v[40:41], v[4:5], v[40:41]
	v_add_f64 v[164:165], v[164:165], v[152:153]
	v_add_f64 v[166:167], v[166:167], v[154:155]
	ds_load_b128 v[152:155], v1 offset:960
	v_fma_f64 v[162:163], v[162:163], v[30:31], v[168:169]
	v_fma_f64 v[160:161], v[160:161], v[30:31], -v[32:33]
	scratch_load_b128 v[30:33], off, off offset:528
	v_add_f64 v[164:165], v[164:165], v[172:173]
	v_add_f64 v[166:167], v[166:167], v[170:171]
	v_fma_f64 v[172:173], v[4:5], v[38:39], v[174:175]
	v_fma_f64 v[174:175], v[2:3], v[38:39], -v[40:41]
	scratch_load_b128 v[38:41], off, off offset:544
	ds_load_b128 v[2:5], v1 offset:976
	s_waitcnt vmcnt(9) lgkmcnt(1)
	v_mul_f64 v[168:169], v[152:153], v[158:159]
	v_mul_f64 v[170:171], v[154:155], v[158:159]
	v_add_f64 v[164:165], v[164:165], v[160:161]
	v_add_f64 v[162:163], v[166:167], v[162:163]
	ds_load_b128 v[158:161], v1 offset:992
	v_fma_f64 v[154:155], v[154:155], v[156:157], v[168:169]
	v_fma_f64 v[152:153], v[152:153], v[156:157], -v[170:171]
	s_waitcnt vmcnt(8) lgkmcnt(1)
	v_mul_f64 v[166:167], v[2:3], v[36:37]
	v_mul_f64 v[36:37], v[4:5], v[36:37]
	v_add_f64 v[156:157], v[164:165], v[174:175]
	v_add_f64 v[162:163], v[162:163], v[172:173]
	s_delay_alu instid0(VALU_DEP_4) | instskip(NEXT) | instid1(VALU_DEP_4)
	v_fma_f64 v[166:167], v[4:5], v[34:35], v[166:167]
	v_fma_f64 v[168:169], v[2:3], v[34:35], -v[36:37]
	ds_load_b128 v[2:5], v1 offset:1008
	ds_load_b128 v[34:37], v1 offset:1024
	s_waitcnt vmcnt(7) lgkmcnt(2)
	v_mul_f64 v[164:165], v[158:159], v[8:9]
	v_mul_f64 v[8:9], v[160:161], v[8:9]
	v_add_f64 v[152:153], v[156:157], v[152:153]
	v_add_f64 v[154:155], v[162:163], v[154:155]
	s_waitcnt vmcnt(6) lgkmcnt(1)
	v_mul_f64 v[156:157], v[2:3], v[12:13]
	v_mul_f64 v[12:13], v[4:5], v[12:13]
	v_fma_f64 v[160:161], v[160:161], v[6:7], v[164:165]
	v_fma_f64 v[6:7], v[158:159], v[6:7], -v[8:9]
	v_add_f64 v[8:9], v[152:153], v[168:169]
	v_add_f64 v[152:153], v[154:155], v[166:167]
	s_waitcnt vmcnt(5) lgkmcnt(0)
	v_mul_f64 v[154:155], v[34:35], v[16:17]
	v_mul_f64 v[16:17], v[36:37], v[16:17]
	v_fma_f64 v[156:157], v[4:5], v[10:11], v[156:157]
	v_fma_f64 v[10:11], v[2:3], v[10:11], -v[12:13]
	v_add_f64 v[12:13], v[8:9], v[6:7]
	v_add_f64 v[152:153], v[152:153], v[160:161]
	ds_load_b128 v[2:5], v1 offset:1040
	ds_load_b128 v[6:9], v1 offset:1056
	v_fma_f64 v[36:37], v[36:37], v[14:15], v[154:155]
	v_fma_f64 v[14:15], v[34:35], v[14:15], -v[16:17]
	s_waitcnt vmcnt(4) lgkmcnt(1)
	v_mul_f64 v[158:159], v[2:3], v[20:21]
	v_mul_f64 v[20:21], v[4:5], v[20:21]
	s_waitcnt vmcnt(3) lgkmcnt(0)
	v_mul_f64 v[16:17], v[6:7], v[24:25]
	v_mul_f64 v[24:25], v[8:9], v[24:25]
	v_add_f64 v[10:11], v[12:13], v[10:11]
	v_add_f64 v[12:13], v[152:153], v[156:157]
	v_fma_f64 v[34:35], v[4:5], v[18:19], v[158:159]
	v_fma_f64 v[18:19], v[2:3], v[18:19], -v[20:21]
	v_fma_f64 v[8:9], v[8:9], v[22:23], v[16:17]
	v_fma_f64 v[6:7], v[6:7], v[22:23], -v[24:25]
	v_add_f64 v[14:15], v[10:11], v[14:15]
	v_add_f64 v[20:21], v[12:13], v[36:37]
	ds_load_b128 v[2:5], v1 offset:1072
	ds_load_b128 v[10:13], v1 offset:1088
	s_waitcnt vmcnt(2) lgkmcnt(1)
	v_mul_f64 v[36:37], v[2:3], v[28:29]
	v_mul_f64 v[28:29], v[4:5], v[28:29]
	v_add_f64 v[14:15], v[14:15], v[18:19]
	v_add_f64 v[16:17], v[20:21], v[34:35]
	s_waitcnt vmcnt(1) lgkmcnt(0)
	v_mul_f64 v[18:19], v[10:11], v[32:33]
	v_mul_f64 v[20:21], v[12:13], v[32:33]
	v_fma_f64 v[22:23], v[4:5], v[26:27], v[36:37]
	v_fma_f64 v[24:25], v[2:3], v[26:27], -v[28:29]
	ds_load_b128 v[2:5], v1 offset:1104
	v_add_f64 v[6:7], v[14:15], v[6:7]
	v_add_f64 v[8:9], v[16:17], v[8:9]
	v_fma_f64 v[12:13], v[12:13], v[30:31], v[18:19]
	v_fma_f64 v[10:11], v[10:11], v[30:31], -v[20:21]
	s_waitcnt vmcnt(0) lgkmcnt(0)
	v_mul_f64 v[14:15], v[2:3], v[40:41]
	v_mul_f64 v[16:17], v[4:5], v[40:41]
	v_add_f64 v[6:7], v[6:7], v[24:25]
	v_add_f64 v[8:9], v[8:9], v[22:23]
	s_delay_alu instid0(VALU_DEP_4) | instskip(NEXT) | instid1(VALU_DEP_4)
	v_fma_f64 v[4:5], v[4:5], v[38:39], v[14:15]
	v_fma_f64 v[2:3], v[2:3], v[38:39], -v[16:17]
	s_delay_alu instid0(VALU_DEP_4) | instskip(NEXT) | instid1(VALU_DEP_4)
	v_add_f64 v[6:7], v[6:7], v[10:11]
	v_add_f64 v[8:9], v[8:9], v[12:13]
	s_delay_alu instid0(VALU_DEP_2) | instskip(NEXT) | instid1(VALU_DEP_2)
	v_add_f64 v[2:3], v[6:7], v[2:3]
	v_add_f64 v[4:5], v[8:9], v[4:5]
	s_delay_alu instid0(VALU_DEP_2) | instskip(NEXT) | instid1(VALU_DEP_2)
	v_add_f64 v[2:3], v[42:43], -v[2:3]
	v_add_f64 v[4:5], v[44:45], -v[4:5]
	scratch_store_b128 off, v[2:5], off offset:240
	v_cmpx_lt_u32_e32 14, v116
	s_cbranch_execz .LBB34_195
; %bb.194:
	scratch_load_b128 v[5:8], v130, off
	v_mov_b32_e32 v2, v1
	v_mov_b32_e32 v3, v1
	;; [unrolled: 1-line block ×3, first 2 shown]
	scratch_store_b128 off, v[1:4], off offset:224
	s_waitcnt vmcnt(0)
	ds_store_b128 v151, v[5:8]
.LBB34_195:
	s_or_b32 exec_lo, exec_lo, s2
	s_waitcnt lgkmcnt(0)
	s_waitcnt_vscnt null, 0x0
	s_barrier
	buffer_gl0_inv
	s_clause 0x8
	scratch_load_b128 v[2:5], off, off offset:240
	scratch_load_b128 v[6:9], off, off offset:256
	;; [unrolled: 1-line block ×9, first 2 shown]
	ds_load_b128 v[38:41], v1 offset:800
	ds_load_b128 v[42:45], v1 offset:816
	s_clause 0x1
	scratch_load_b128 v[152:155], off, off offset:224
	scratch_load_b128 v[156:159], off, off offset:384
	s_mov_b32 s2, exec_lo
	s_waitcnt vmcnt(10) lgkmcnt(1)
	v_mul_f64 v[160:161], v[40:41], v[4:5]
	v_mul_f64 v[4:5], v[38:39], v[4:5]
	s_waitcnt vmcnt(9) lgkmcnt(0)
	v_mul_f64 v[164:165], v[42:43], v[8:9]
	v_mul_f64 v[8:9], v[44:45], v[8:9]
	s_delay_alu instid0(VALU_DEP_4) | instskip(NEXT) | instid1(VALU_DEP_4)
	v_fma_f64 v[166:167], v[38:39], v[2:3], -v[160:161]
	v_fma_f64 v[168:169], v[40:41], v[2:3], v[4:5]
	ds_load_b128 v[2:5], v1 offset:832
	ds_load_b128 v[160:163], v1 offset:848
	scratch_load_b128 v[38:41], off, off offset:400
	v_fma_f64 v[44:45], v[44:45], v[6:7], v[164:165]
	v_fma_f64 v[42:43], v[42:43], v[6:7], -v[8:9]
	scratch_load_b128 v[6:9], off, off offset:416
	s_waitcnt vmcnt(10) lgkmcnt(1)
	v_mul_f64 v[170:171], v[2:3], v[12:13]
	v_mul_f64 v[12:13], v[4:5], v[12:13]
	v_add_f64 v[164:165], v[166:167], 0
	v_add_f64 v[166:167], v[168:169], 0
	s_waitcnt vmcnt(9) lgkmcnt(0)
	v_mul_f64 v[168:169], v[160:161], v[16:17]
	v_mul_f64 v[16:17], v[162:163], v[16:17]
	v_fma_f64 v[170:171], v[4:5], v[10:11], v[170:171]
	v_fma_f64 v[172:173], v[2:3], v[10:11], -v[12:13]
	ds_load_b128 v[2:5], v1 offset:864
	scratch_load_b128 v[10:13], off, off offset:432
	v_add_f64 v[164:165], v[164:165], v[42:43]
	v_add_f64 v[166:167], v[166:167], v[44:45]
	ds_load_b128 v[42:45], v1 offset:880
	v_fma_f64 v[162:163], v[162:163], v[14:15], v[168:169]
	v_fma_f64 v[160:161], v[160:161], v[14:15], -v[16:17]
	scratch_load_b128 v[14:17], off, off offset:448
	s_waitcnt vmcnt(10) lgkmcnt(1)
	v_mul_f64 v[174:175], v[2:3], v[20:21]
	v_mul_f64 v[20:21], v[4:5], v[20:21]
	s_waitcnt vmcnt(9) lgkmcnt(0)
	v_mul_f64 v[168:169], v[42:43], v[24:25]
	v_mul_f64 v[24:25], v[44:45], v[24:25]
	v_add_f64 v[164:165], v[164:165], v[172:173]
	v_add_f64 v[166:167], v[166:167], v[170:171]
	v_fma_f64 v[170:171], v[4:5], v[18:19], v[174:175]
	v_fma_f64 v[172:173], v[2:3], v[18:19], -v[20:21]
	ds_load_b128 v[2:5], v1 offset:896
	scratch_load_b128 v[18:21], off, off offset:464
	v_fma_f64 v[44:45], v[44:45], v[22:23], v[168:169]
	v_fma_f64 v[42:43], v[42:43], v[22:23], -v[24:25]
	scratch_load_b128 v[22:25], off, off offset:480
	v_add_f64 v[164:165], v[164:165], v[160:161]
	v_add_f64 v[166:167], v[166:167], v[162:163]
	ds_load_b128 v[160:163], v1 offset:912
	s_waitcnt vmcnt(10) lgkmcnt(1)
	v_mul_f64 v[174:175], v[2:3], v[28:29]
	v_mul_f64 v[28:29], v[4:5], v[28:29]
	s_waitcnt vmcnt(9) lgkmcnt(0)
	v_mul_f64 v[168:169], v[160:161], v[32:33]
	v_mul_f64 v[32:33], v[162:163], v[32:33]
	v_add_f64 v[164:165], v[164:165], v[172:173]
	v_add_f64 v[166:167], v[166:167], v[170:171]
	v_fma_f64 v[170:171], v[4:5], v[26:27], v[174:175]
	v_fma_f64 v[172:173], v[2:3], v[26:27], -v[28:29]
	ds_load_b128 v[2:5], v1 offset:928
	scratch_load_b128 v[26:29], off, off offset:496
	v_fma_f64 v[162:163], v[162:163], v[30:31], v[168:169]
	v_fma_f64 v[160:161], v[160:161], v[30:31], -v[32:33]
	scratch_load_b128 v[30:33], off, off offset:512
	v_add_f64 v[164:165], v[164:165], v[42:43]
	v_add_f64 v[166:167], v[166:167], v[44:45]
	ds_load_b128 v[42:45], v1 offset:944
	s_waitcnt vmcnt(10) lgkmcnt(1)
	v_mul_f64 v[174:175], v[2:3], v[36:37]
	v_mul_f64 v[36:37], v[4:5], v[36:37]
	s_waitcnt vmcnt(8) lgkmcnt(0)
	v_mul_f64 v[168:169], v[42:43], v[158:159]
	v_add_f64 v[164:165], v[164:165], v[172:173]
	v_add_f64 v[166:167], v[166:167], v[170:171]
	v_mul_f64 v[170:171], v[44:45], v[158:159]
	v_fma_f64 v[172:173], v[4:5], v[34:35], v[174:175]
	v_fma_f64 v[174:175], v[2:3], v[34:35], -v[36:37]
	ds_load_b128 v[2:5], v1 offset:960
	scratch_load_b128 v[34:37], off, off offset:528
	v_fma_f64 v[44:45], v[44:45], v[156:157], v[168:169]
	v_add_f64 v[164:165], v[164:165], v[160:161]
	v_add_f64 v[162:163], v[166:167], v[162:163]
	ds_load_b128 v[158:161], v1 offset:976
	v_fma_f64 v[156:157], v[42:43], v[156:157], -v[170:171]
	s_waitcnt vmcnt(8) lgkmcnt(1)
	v_mul_f64 v[166:167], v[2:3], v[40:41]
	v_mul_f64 v[176:177], v[4:5], v[40:41]
	scratch_load_b128 v[40:43], off, off offset:544
	s_waitcnt vmcnt(8) lgkmcnt(0)
	v_mul_f64 v[168:169], v[158:159], v[8:9]
	v_mul_f64 v[8:9], v[160:161], v[8:9]
	v_add_f64 v[164:165], v[164:165], v[174:175]
	v_add_f64 v[162:163], v[162:163], v[172:173]
	v_fma_f64 v[166:167], v[4:5], v[38:39], v[166:167]
	v_fma_f64 v[38:39], v[2:3], v[38:39], -v[176:177]
	v_fma_f64 v[160:161], v[160:161], v[6:7], v[168:169]
	v_fma_f64 v[6:7], v[158:159], v[6:7], -v[8:9]
	v_add_f64 v[156:157], v[164:165], v[156:157]
	v_add_f64 v[44:45], v[162:163], v[44:45]
	ds_load_b128 v[2:5], v1 offset:992
	ds_load_b128 v[162:165], v1 offset:1008
	s_waitcnt vmcnt(7) lgkmcnt(1)
	v_mul_f64 v[170:171], v[2:3], v[12:13]
	v_mul_f64 v[12:13], v[4:5], v[12:13]
	v_add_f64 v[8:9], v[156:157], v[38:39]
	v_add_f64 v[38:39], v[44:45], v[166:167]
	s_waitcnt vmcnt(6) lgkmcnt(0)
	v_mul_f64 v[44:45], v[162:163], v[16:17]
	v_mul_f64 v[16:17], v[164:165], v[16:17]
	v_fma_f64 v[156:157], v[4:5], v[10:11], v[170:171]
	v_fma_f64 v[10:11], v[2:3], v[10:11], -v[12:13]
	v_add_f64 v[12:13], v[8:9], v[6:7]
	v_add_f64 v[38:39], v[38:39], v[160:161]
	ds_load_b128 v[2:5], v1 offset:1024
	ds_load_b128 v[6:9], v1 offset:1040
	v_fma_f64 v[44:45], v[164:165], v[14:15], v[44:45]
	v_fma_f64 v[14:15], v[162:163], v[14:15], -v[16:17]
	s_waitcnt vmcnt(5) lgkmcnt(1)
	v_mul_f64 v[158:159], v[2:3], v[20:21]
	v_mul_f64 v[20:21], v[4:5], v[20:21]
	s_waitcnt vmcnt(4) lgkmcnt(0)
	v_mul_f64 v[16:17], v[6:7], v[24:25]
	v_mul_f64 v[24:25], v[8:9], v[24:25]
	v_add_f64 v[10:11], v[12:13], v[10:11]
	v_add_f64 v[12:13], v[38:39], v[156:157]
	v_fma_f64 v[38:39], v[4:5], v[18:19], v[158:159]
	v_fma_f64 v[18:19], v[2:3], v[18:19], -v[20:21]
	v_fma_f64 v[8:9], v[8:9], v[22:23], v[16:17]
	v_fma_f64 v[6:7], v[6:7], v[22:23], -v[24:25]
	v_add_f64 v[14:15], v[10:11], v[14:15]
	v_add_f64 v[20:21], v[12:13], v[44:45]
	ds_load_b128 v[2:5], v1 offset:1056
	ds_load_b128 v[10:13], v1 offset:1072
	s_waitcnt vmcnt(3) lgkmcnt(1)
	v_mul_f64 v[44:45], v[2:3], v[28:29]
	v_mul_f64 v[28:29], v[4:5], v[28:29]
	v_add_f64 v[14:15], v[14:15], v[18:19]
	v_add_f64 v[16:17], v[20:21], v[38:39]
	s_waitcnt vmcnt(2) lgkmcnt(0)
	v_mul_f64 v[18:19], v[10:11], v[32:33]
	v_mul_f64 v[20:21], v[12:13], v[32:33]
	v_fma_f64 v[22:23], v[4:5], v[26:27], v[44:45]
	v_fma_f64 v[24:25], v[2:3], v[26:27], -v[28:29]
	v_add_f64 v[14:15], v[14:15], v[6:7]
	v_add_f64 v[16:17], v[16:17], v[8:9]
	ds_load_b128 v[2:5], v1 offset:1088
	ds_load_b128 v[6:9], v1 offset:1104
	v_fma_f64 v[12:13], v[12:13], v[30:31], v[18:19]
	v_fma_f64 v[10:11], v[10:11], v[30:31], -v[20:21]
	s_waitcnt vmcnt(1) lgkmcnt(1)
	v_mul_f64 v[26:27], v[2:3], v[36:37]
	v_mul_f64 v[28:29], v[4:5], v[36:37]
	s_waitcnt vmcnt(0) lgkmcnt(0)
	v_mul_f64 v[18:19], v[6:7], v[42:43]
	v_add_f64 v[14:15], v[14:15], v[24:25]
	v_add_f64 v[16:17], v[16:17], v[22:23]
	v_mul_f64 v[20:21], v[8:9], v[42:43]
	v_fma_f64 v[4:5], v[4:5], v[34:35], v[26:27]
	v_fma_f64 v[1:2], v[2:3], v[34:35], -v[28:29]
	v_fma_f64 v[8:9], v[8:9], v[40:41], v[18:19]
	v_add_f64 v[10:11], v[14:15], v[10:11]
	v_add_f64 v[12:13], v[16:17], v[12:13]
	v_fma_f64 v[6:7], v[6:7], v[40:41], -v[20:21]
	s_delay_alu instid0(VALU_DEP_3) | instskip(NEXT) | instid1(VALU_DEP_3)
	v_add_f64 v[1:2], v[10:11], v[1:2]
	v_add_f64 v[3:4], v[12:13], v[4:5]
	s_delay_alu instid0(VALU_DEP_2) | instskip(NEXT) | instid1(VALU_DEP_2)
	v_add_f64 v[1:2], v[1:2], v[6:7]
	v_add_f64 v[3:4], v[3:4], v[8:9]
	s_delay_alu instid0(VALU_DEP_2) | instskip(NEXT) | instid1(VALU_DEP_2)
	v_add_f64 v[1:2], v[152:153], -v[1:2]
	v_add_f64 v[3:4], v[154:155], -v[3:4]
	scratch_store_b128 off, v[1:4], off offset:224
	v_cmpx_lt_u32_e32 13, v116
	s_cbranch_execz .LBB34_197
; %bb.196:
	scratch_load_b128 v[1:4], v133, off
	v_mov_b32_e32 v5, 0
	s_delay_alu instid0(VALU_DEP_1)
	v_mov_b32_e32 v6, v5
	v_mov_b32_e32 v7, v5
	;; [unrolled: 1-line block ×3, first 2 shown]
	scratch_store_b128 off, v[5:8], off offset:208
	s_waitcnt vmcnt(0)
	ds_store_b128 v151, v[1:4]
.LBB34_197:
	s_or_b32 exec_lo, exec_lo, s2
	s_waitcnt lgkmcnt(0)
	s_waitcnt_vscnt null, 0x0
	s_barrier
	buffer_gl0_inv
	s_clause 0x7
	scratch_load_b128 v[2:5], off, off offset:224
	scratch_load_b128 v[6:9], off, off offset:240
	;; [unrolled: 1-line block ×8, first 2 shown]
	v_mov_b32_e32 v1, 0
	s_mov_b32 s2, exec_lo
	ds_load_b128 v[34:37], v1 offset:784
	s_clause 0x1
	scratch_load_b128 v[38:41], off, off offset:352
	scratch_load_b128 v[42:45], off, off offset:208
	ds_load_b128 v[152:155], v1 offset:800
	scratch_load_b128 v[156:159], off, off offset:368
	s_waitcnt vmcnt(10) lgkmcnt(1)
	v_mul_f64 v[160:161], v[36:37], v[4:5]
	v_mul_f64 v[4:5], v[34:35], v[4:5]
	s_delay_alu instid0(VALU_DEP_2) | instskip(NEXT) | instid1(VALU_DEP_2)
	v_fma_f64 v[166:167], v[34:35], v[2:3], -v[160:161]
	v_fma_f64 v[168:169], v[36:37], v[2:3], v[4:5]
	scratch_load_b128 v[34:37], off, off offset:384
	ds_load_b128 v[2:5], v1 offset:816
	s_waitcnt vmcnt(10) lgkmcnt(1)
	v_mul_f64 v[164:165], v[152:153], v[8:9]
	v_mul_f64 v[8:9], v[154:155], v[8:9]
	ds_load_b128 v[160:163], v1 offset:832
	s_waitcnt vmcnt(9) lgkmcnt(1)
	v_mul_f64 v[170:171], v[2:3], v[12:13]
	v_mul_f64 v[12:13], v[4:5], v[12:13]
	v_fma_f64 v[154:155], v[154:155], v[6:7], v[164:165]
	v_fma_f64 v[152:153], v[152:153], v[6:7], -v[8:9]
	v_add_f64 v[164:165], v[166:167], 0
	v_add_f64 v[166:167], v[168:169], 0
	scratch_load_b128 v[6:9], off, off offset:400
	v_fma_f64 v[170:171], v[4:5], v[10:11], v[170:171]
	v_fma_f64 v[172:173], v[2:3], v[10:11], -v[12:13]
	scratch_load_b128 v[10:13], off, off offset:416
	ds_load_b128 v[2:5], v1 offset:848
	s_waitcnt vmcnt(10) lgkmcnt(1)
	v_mul_f64 v[168:169], v[160:161], v[16:17]
	v_mul_f64 v[16:17], v[162:163], v[16:17]
	v_add_f64 v[164:165], v[164:165], v[152:153]
	v_add_f64 v[166:167], v[166:167], v[154:155]
	s_waitcnt vmcnt(9) lgkmcnt(0)
	v_mul_f64 v[174:175], v[2:3], v[20:21]
	v_mul_f64 v[20:21], v[4:5], v[20:21]
	ds_load_b128 v[152:155], v1 offset:864
	v_fma_f64 v[162:163], v[162:163], v[14:15], v[168:169]
	v_fma_f64 v[160:161], v[160:161], v[14:15], -v[16:17]
	scratch_load_b128 v[14:17], off, off offset:432
	v_add_f64 v[164:165], v[164:165], v[172:173]
	v_add_f64 v[166:167], v[166:167], v[170:171]
	v_fma_f64 v[170:171], v[4:5], v[18:19], v[174:175]
	v_fma_f64 v[172:173], v[2:3], v[18:19], -v[20:21]
	scratch_load_b128 v[18:21], off, off offset:448
	ds_load_b128 v[2:5], v1 offset:880
	s_waitcnt vmcnt(10) lgkmcnt(1)
	v_mul_f64 v[168:169], v[152:153], v[24:25]
	v_mul_f64 v[24:25], v[154:155], v[24:25]
	s_waitcnt vmcnt(9) lgkmcnt(0)
	v_mul_f64 v[174:175], v[2:3], v[28:29]
	v_mul_f64 v[28:29], v[4:5], v[28:29]
	v_add_f64 v[164:165], v[164:165], v[160:161]
	v_add_f64 v[166:167], v[166:167], v[162:163]
	ds_load_b128 v[160:163], v1 offset:896
	v_fma_f64 v[154:155], v[154:155], v[22:23], v[168:169]
	v_fma_f64 v[152:153], v[152:153], v[22:23], -v[24:25]
	scratch_load_b128 v[22:25], off, off offset:464
	v_add_f64 v[164:165], v[164:165], v[172:173]
	v_add_f64 v[166:167], v[166:167], v[170:171]
	v_fma_f64 v[170:171], v[4:5], v[26:27], v[174:175]
	v_fma_f64 v[172:173], v[2:3], v[26:27], -v[28:29]
	scratch_load_b128 v[26:29], off, off offset:480
	ds_load_b128 v[2:5], v1 offset:912
	s_waitcnt vmcnt(10) lgkmcnt(1)
	v_mul_f64 v[168:169], v[160:161], v[32:33]
	v_mul_f64 v[32:33], v[162:163], v[32:33]
	s_waitcnt vmcnt(9) lgkmcnt(0)
	v_mul_f64 v[174:175], v[2:3], v[40:41]
	v_mul_f64 v[40:41], v[4:5], v[40:41]
	v_add_f64 v[164:165], v[164:165], v[152:153]
	v_add_f64 v[166:167], v[166:167], v[154:155]
	ds_load_b128 v[152:155], v1 offset:928
	v_fma_f64 v[162:163], v[162:163], v[30:31], v[168:169]
	v_fma_f64 v[160:161], v[160:161], v[30:31], -v[32:33]
	scratch_load_b128 v[30:33], off, off offset:496
	v_add_f64 v[164:165], v[164:165], v[172:173]
	v_add_f64 v[166:167], v[166:167], v[170:171]
	v_fma_f64 v[172:173], v[4:5], v[38:39], v[174:175]
	v_fma_f64 v[174:175], v[2:3], v[38:39], -v[40:41]
	scratch_load_b128 v[38:41], off, off offset:512
	ds_load_b128 v[2:5], v1 offset:944
	s_waitcnt vmcnt(9) lgkmcnt(1)
	v_mul_f64 v[168:169], v[152:153], v[158:159]
	v_mul_f64 v[170:171], v[154:155], v[158:159]
	v_add_f64 v[164:165], v[164:165], v[160:161]
	v_add_f64 v[162:163], v[166:167], v[162:163]
	ds_load_b128 v[158:161], v1 offset:960
	v_fma_f64 v[168:169], v[154:155], v[156:157], v[168:169]
	v_fma_f64 v[156:157], v[152:153], v[156:157], -v[170:171]
	scratch_load_b128 v[152:155], off, off offset:528
	s_waitcnt vmcnt(9) lgkmcnt(1)
	v_mul_f64 v[166:167], v[2:3], v[36:37]
	v_mul_f64 v[36:37], v[4:5], v[36:37]
	v_add_f64 v[164:165], v[164:165], v[174:175]
	v_add_f64 v[162:163], v[162:163], v[172:173]
	s_delay_alu instid0(VALU_DEP_4) | instskip(NEXT) | instid1(VALU_DEP_4)
	v_fma_f64 v[166:167], v[4:5], v[34:35], v[166:167]
	v_fma_f64 v[172:173], v[2:3], v[34:35], -v[36:37]
	scratch_load_b128 v[34:37], off, off offset:544
	ds_load_b128 v[2:5], v1 offset:976
	s_waitcnt vmcnt(9) lgkmcnt(1)
	v_mul_f64 v[170:171], v[158:159], v[8:9]
	v_mul_f64 v[8:9], v[160:161], v[8:9]
	s_waitcnt vmcnt(8) lgkmcnt(0)
	v_mul_f64 v[174:175], v[2:3], v[12:13]
	v_mul_f64 v[12:13], v[4:5], v[12:13]
	v_add_f64 v[156:157], v[164:165], v[156:157]
	v_add_f64 v[168:169], v[162:163], v[168:169]
	ds_load_b128 v[162:165], v1 offset:992
	v_fma_f64 v[160:161], v[160:161], v[6:7], v[170:171]
	v_fma_f64 v[6:7], v[158:159], v[6:7], -v[8:9]
	v_add_f64 v[8:9], v[156:157], v[172:173]
	v_add_f64 v[156:157], v[168:169], v[166:167]
	s_waitcnt vmcnt(7) lgkmcnt(0)
	v_mul_f64 v[158:159], v[162:163], v[16:17]
	v_mul_f64 v[16:17], v[164:165], v[16:17]
	v_fma_f64 v[166:167], v[4:5], v[10:11], v[174:175]
	v_fma_f64 v[10:11], v[2:3], v[10:11], -v[12:13]
	v_add_f64 v[12:13], v[8:9], v[6:7]
	v_add_f64 v[156:157], v[156:157], v[160:161]
	ds_load_b128 v[2:5], v1 offset:1008
	ds_load_b128 v[6:9], v1 offset:1024
	v_fma_f64 v[158:159], v[164:165], v[14:15], v[158:159]
	v_fma_f64 v[14:15], v[162:163], v[14:15], -v[16:17]
	s_waitcnt vmcnt(6) lgkmcnt(1)
	v_mul_f64 v[160:161], v[2:3], v[20:21]
	v_mul_f64 v[20:21], v[4:5], v[20:21]
	s_waitcnt vmcnt(5) lgkmcnt(0)
	v_mul_f64 v[16:17], v[6:7], v[24:25]
	v_mul_f64 v[24:25], v[8:9], v[24:25]
	v_add_f64 v[10:11], v[12:13], v[10:11]
	v_add_f64 v[12:13], v[156:157], v[166:167]
	v_fma_f64 v[156:157], v[4:5], v[18:19], v[160:161]
	v_fma_f64 v[18:19], v[2:3], v[18:19], -v[20:21]
	v_fma_f64 v[8:9], v[8:9], v[22:23], v[16:17]
	v_fma_f64 v[6:7], v[6:7], v[22:23], -v[24:25]
	v_add_f64 v[14:15], v[10:11], v[14:15]
	v_add_f64 v[20:21], v[12:13], v[158:159]
	ds_load_b128 v[2:5], v1 offset:1040
	ds_load_b128 v[10:13], v1 offset:1056
	s_waitcnt vmcnt(4) lgkmcnt(1)
	v_mul_f64 v[158:159], v[2:3], v[28:29]
	v_mul_f64 v[28:29], v[4:5], v[28:29]
	v_add_f64 v[14:15], v[14:15], v[18:19]
	v_add_f64 v[16:17], v[20:21], v[156:157]
	s_waitcnt vmcnt(3) lgkmcnt(0)
	v_mul_f64 v[18:19], v[10:11], v[32:33]
	v_mul_f64 v[20:21], v[12:13], v[32:33]
	v_fma_f64 v[22:23], v[4:5], v[26:27], v[158:159]
	v_fma_f64 v[24:25], v[2:3], v[26:27], -v[28:29]
	v_add_f64 v[14:15], v[14:15], v[6:7]
	v_add_f64 v[16:17], v[16:17], v[8:9]
	ds_load_b128 v[2:5], v1 offset:1072
	ds_load_b128 v[6:9], v1 offset:1088
	v_fma_f64 v[12:13], v[12:13], v[30:31], v[18:19]
	v_fma_f64 v[10:11], v[10:11], v[30:31], -v[20:21]
	s_waitcnt vmcnt(2) lgkmcnt(1)
	v_mul_f64 v[26:27], v[2:3], v[40:41]
	v_mul_f64 v[28:29], v[4:5], v[40:41]
	s_waitcnt vmcnt(1) lgkmcnt(0)
	v_mul_f64 v[18:19], v[6:7], v[154:155]
	v_mul_f64 v[20:21], v[8:9], v[154:155]
	v_add_f64 v[14:15], v[14:15], v[24:25]
	v_add_f64 v[16:17], v[16:17], v[22:23]
	v_fma_f64 v[22:23], v[4:5], v[38:39], v[26:27]
	v_fma_f64 v[24:25], v[2:3], v[38:39], -v[28:29]
	ds_load_b128 v[2:5], v1 offset:1104
	v_fma_f64 v[8:9], v[8:9], v[152:153], v[18:19]
	v_fma_f64 v[6:7], v[6:7], v[152:153], -v[20:21]
	v_add_f64 v[10:11], v[14:15], v[10:11]
	v_add_f64 v[12:13], v[16:17], v[12:13]
	s_waitcnt vmcnt(0) lgkmcnt(0)
	v_mul_f64 v[14:15], v[2:3], v[36:37]
	v_mul_f64 v[16:17], v[4:5], v[36:37]
	s_delay_alu instid0(VALU_DEP_4) | instskip(NEXT) | instid1(VALU_DEP_4)
	v_add_f64 v[10:11], v[10:11], v[24:25]
	v_add_f64 v[12:13], v[12:13], v[22:23]
	s_delay_alu instid0(VALU_DEP_4) | instskip(NEXT) | instid1(VALU_DEP_4)
	v_fma_f64 v[4:5], v[4:5], v[34:35], v[14:15]
	v_fma_f64 v[2:3], v[2:3], v[34:35], -v[16:17]
	s_delay_alu instid0(VALU_DEP_4) | instskip(NEXT) | instid1(VALU_DEP_4)
	v_add_f64 v[6:7], v[10:11], v[6:7]
	v_add_f64 v[8:9], v[12:13], v[8:9]
	s_delay_alu instid0(VALU_DEP_2) | instskip(NEXT) | instid1(VALU_DEP_2)
	v_add_f64 v[2:3], v[6:7], v[2:3]
	v_add_f64 v[4:5], v[8:9], v[4:5]
	s_delay_alu instid0(VALU_DEP_2) | instskip(NEXT) | instid1(VALU_DEP_2)
	v_add_f64 v[2:3], v[42:43], -v[2:3]
	v_add_f64 v[4:5], v[44:45], -v[4:5]
	scratch_store_b128 off, v[2:5], off offset:208
	v_cmpx_lt_u32_e32 12, v116
	s_cbranch_execz .LBB34_199
; %bb.198:
	scratch_load_b128 v[5:8], v131, off
	v_mov_b32_e32 v2, v1
	v_mov_b32_e32 v3, v1
	;; [unrolled: 1-line block ×3, first 2 shown]
	scratch_store_b128 off, v[1:4], off offset:192
	s_waitcnt vmcnt(0)
	ds_store_b128 v151, v[5:8]
.LBB34_199:
	s_or_b32 exec_lo, exec_lo, s2
	s_waitcnt lgkmcnt(0)
	s_waitcnt_vscnt null, 0x0
	s_barrier
	buffer_gl0_inv
	s_clause 0x8
	scratch_load_b128 v[2:5], off, off offset:208
	scratch_load_b128 v[6:9], off, off offset:224
	;; [unrolled: 1-line block ×9, first 2 shown]
	ds_load_b128 v[38:41], v1 offset:768
	ds_load_b128 v[42:45], v1 offset:784
	s_clause 0x1
	scratch_load_b128 v[152:155], off, off offset:192
	scratch_load_b128 v[156:159], off, off offset:352
	s_mov_b32 s2, exec_lo
	s_waitcnt vmcnt(10) lgkmcnt(1)
	v_mul_f64 v[160:161], v[40:41], v[4:5]
	v_mul_f64 v[4:5], v[38:39], v[4:5]
	s_waitcnt vmcnt(9) lgkmcnt(0)
	v_mul_f64 v[164:165], v[42:43], v[8:9]
	v_mul_f64 v[8:9], v[44:45], v[8:9]
	s_delay_alu instid0(VALU_DEP_4) | instskip(NEXT) | instid1(VALU_DEP_4)
	v_fma_f64 v[166:167], v[38:39], v[2:3], -v[160:161]
	v_fma_f64 v[168:169], v[40:41], v[2:3], v[4:5]
	ds_load_b128 v[2:5], v1 offset:800
	ds_load_b128 v[160:163], v1 offset:816
	scratch_load_b128 v[38:41], off, off offset:368
	v_fma_f64 v[44:45], v[44:45], v[6:7], v[164:165]
	v_fma_f64 v[42:43], v[42:43], v[6:7], -v[8:9]
	scratch_load_b128 v[6:9], off, off offset:384
	s_waitcnt vmcnt(10) lgkmcnt(1)
	v_mul_f64 v[170:171], v[2:3], v[12:13]
	v_mul_f64 v[12:13], v[4:5], v[12:13]
	v_add_f64 v[164:165], v[166:167], 0
	v_add_f64 v[166:167], v[168:169], 0
	s_waitcnt vmcnt(9) lgkmcnt(0)
	v_mul_f64 v[168:169], v[160:161], v[16:17]
	v_mul_f64 v[16:17], v[162:163], v[16:17]
	v_fma_f64 v[170:171], v[4:5], v[10:11], v[170:171]
	v_fma_f64 v[172:173], v[2:3], v[10:11], -v[12:13]
	ds_load_b128 v[2:5], v1 offset:832
	scratch_load_b128 v[10:13], off, off offset:400
	v_add_f64 v[164:165], v[164:165], v[42:43]
	v_add_f64 v[166:167], v[166:167], v[44:45]
	ds_load_b128 v[42:45], v1 offset:848
	v_fma_f64 v[162:163], v[162:163], v[14:15], v[168:169]
	v_fma_f64 v[160:161], v[160:161], v[14:15], -v[16:17]
	scratch_load_b128 v[14:17], off, off offset:416
	s_waitcnt vmcnt(10) lgkmcnt(1)
	v_mul_f64 v[174:175], v[2:3], v[20:21]
	v_mul_f64 v[20:21], v[4:5], v[20:21]
	s_waitcnt vmcnt(9) lgkmcnt(0)
	v_mul_f64 v[168:169], v[42:43], v[24:25]
	v_mul_f64 v[24:25], v[44:45], v[24:25]
	v_add_f64 v[164:165], v[164:165], v[172:173]
	v_add_f64 v[166:167], v[166:167], v[170:171]
	v_fma_f64 v[170:171], v[4:5], v[18:19], v[174:175]
	v_fma_f64 v[172:173], v[2:3], v[18:19], -v[20:21]
	ds_load_b128 v[2:5], v1 offset:864
	scratch_load_b128 v[18:21], off, off offset:432
	v_fma_f64 v[44:45], v[44:45], v[22:23], v[168:169]
	v_fma_f64 v[42:43], v[42:43], v[22:23], -v[24:25]
	scratch_load_b128 v[22:25], off, off offset:448
	v_add_f64 v[164:165], v[164:165], v[160:161]
	v_add_f64 v[166:167], v[166:167], v[162:163]
	ds_load_b128 v[160:163], v1 offset:880
	s_waitcnt vmcnt(10) lgkmcnt(1)
	v_mul_f64 v[174:175], v[2:3], v[28:29]
	v_mul_f64 v[28:29], v[4:5], v[28:29]
	s_waitcnt vmcnt(9) lgkmcnt(0)
	v_mul_f64 v[168:169], v[160:161], v[32:33]
	v_mul_f64 v[32:33], v[162:163], v[32:33]
	v_add_f64 v[164:165], v[164:165], v[172:173]
	v_add_f64 v[166:167], v[166:167], v[170:171]
	v_fma_f64 v[170:171], v[4:5], v[26:27], v[174:175]
	v_fma_f64 v[172:173], v[2:3], v[26:27], -v[28:29]
	ds_load_b128 v[2:5], v1 offset:896
	scratch_load_b128 v[26:29], off, off offset:464
	v_fma_f64 v[162:163], v[162:163], v[30:31], v[168:169]
	v_fma_f64 v[160:161], v[160:161], v[30:31], -v[32:33]
	scratch_load_b128 v[30:33], off, off offset:480
	v_add_f64 v[164:165], v[164:165], v[42:43]
	v_add_f64 v[166:167], v[166:167], v[44:45]
	ds_load_b128 v[42:45], v1 offset:912
	s_waitcnt vmcnt(10) lgkmcnt(1)
	v_mul_f64 v[174:175], v[2:3], v[36:37]
	v_mul_f64 v[36:37], v[4:5], v[36:37]
	s_waitcnt vmcnt(8) lgkmcnt(0)
	v_mul_f64 v[168:169], v[42:43], v[158:159]
	v_add_f64 v[164:165], v[164:165], v[172:173]
	v_add_f64 v[166:167], v[166:167], v[170:171]
	v_mul_f64 v[170:171], v[44:45], v[158:159]
	v_fma_f64 v[172:173], v[4:5], v[34:35], v[174:175]
	v_fma_f64 v[174:175], v[2:3], v[34:35], -v[36:37]
	ds_load_b128 v[2:5], v1 offset:928
	scratch_load_b128 v[34:37], off, off offset:496
	v_fma_f64 v[44:45], v[44:45], v[156:157], v[168:169]
	v_add_f64 v[164:165], v[164:165], v[160:161]
	v_add_f64 v[162:163], v[166:167], v[162:163]
	ds_load_b128 v[158:161], v1 offset:944
	v_fma_f64 v[156:157], v[42:43], v[156:157], -v[170:171]
	s_waitcnt vmcnt(8) lgkmcnt(1)
	v_mul_f64 v[166:167], v[2:3], v[40:41]
	v_mul_f64 v[176:177], v[4:5], v[40:41]
	scratch_load_b128 v[40:43], off, off offset:512
	s_waitcnt vmcnt(8) lgkmcnt(0)
	v_mul_f64 v[170:171], v[158:159], v[8:9]
	v_mul_f64 v[8:9], v[160:161], v[8:9]
	v_add_f64 v[164:165], v[164:165], v[174:175]
	v_add_f64 v[162:163], v[162:163], v[172:173]
	v_fma_f64 v[172:173], v[4:5], v[38:39], v[166:167]
	v_fma_f64 v[38:39], v[2:3], v[38:39], -v[176:177]
	ds_load_b128 v[2:5], v1 offset:960
	ds_load_b128 v[166:169], v1 offset:976
	v_fma_f64 v[160:161], v[160:161], v[6:7], v[170:171]
	v_fma_f64 v[158:159], v[158:159], v[6:7], -v[8:9]
	scratch_load_b128 v[6:9], off, off offset:544
	v_add_f64 v[156:157], v[164:165], v[156:157]
	v_add_f64 v[44:45], v[162:163], v[44:45]
	scratch_load_b128 v[162:165], off, off offset:528
	s_waitcnt vmcnt(9) lgkmcnt(1)
	v_mul_f64 v[174:175], v[2:3], v[12:13]
	v_mul_f64 v[12:13], v[4:5], v[12:13]
	v_add_f64 v[38:39], v[156:157], v[38:39]
	v_add_f64 v[44:45], v[44:45], v[172:173]
	s_waitcnt vmcnt(8) lgkmcnt(0)
	v_mul_f64 v[156:157], v[166:167], v[16:17]
	v_mul_f64 v[16:17], v[168:169], v[16:17]
	v_fma_f64 v[170:171], v[4:5], v[10:11], v[174:175]
	v_fma_f64 v[172:173], v[2:3], v[10:11], -v[12:13]
	ds_load_b128 v[2:5], v1 offset:992
	ds_load_b128 v[10:13], v1 offset:1008
	v_add_f64 v[38:39], v[38:39], v[158:159]
	v_add_f64 v[44:45], v[44:45], v[160:161]
	s_waitcnt vmcnt(7) lgkmcnt(1)
	v_mul_f64 v[158:159], v[2:3], v[20:21]
	v_mul_f64 v[20:21], v[4:5], v[20:21]
	v_fma_f64 v[156:157], v[168:169], v[14:15], v[156:157]
	v_fma_f64 v[14:15], v[166:167], v[14:15], -v[16:17]
	v_add_f64 v[16:17], v[38:39], v[172:173]
	v_add_f64 v[38:39], v[44:45], v[170:171]
	s_waitcnt vmcnt(6) lgkmcnt(0)
	v_mul_f64 v[44:45], v[10:11], v[24:25]
	v_mul_f64 v[24:25], v[12:13], v[24:25]
	v_fma_f64 v[158:159], v[4:5], v[18:19], v[158:159]
	v_fma_f64 v[18:19], v[2:3], v[18:19], -v[20:21]
	v_add_f64 v[20:21], v[16:17], v[14:15]
	v_add_f64 v[38:39], v[38:39], v[156:157]
	ds_load_b128 v[2:5], v1 offset:1024
	ds_load_b128 v[14:17], v1 offset:1040
	v_fma_f64 v[12:13], v[12:13], v[22:23], v[44:45]
	v_fma_f64 v[10:11], v[10:11], v[22:23], -v[24:25]
	s_waitcnt vmcnt(5) lgkmcnt(1)
	v_mul_f64 v[156:157], v[2:3], v[28:29]
	v_mul_f64 v[28:29], v[4:5], v[28:29]
	s_waitcnt vmcnt(4) lgkmcnt(0)
	v_mul_f64 v[22:23], v[14:15], v[32:33]
	v_mul_f64 v[24:25], v[16:17], v[32:33]
	v_add_f64 v[18:19], v[20:21], v[18:19]
	v_add_f64 v[20:21], v[38:39], v[158:159]
	v_fma_f64 v[32:33], v[4:5], v[26:27], v[156:157]
	v_fma_f64 v[26:27], v[2:3], v[26:27], -v[28:29]
	v_fma_f64 v[16:17], v[16:17], v[30:31], v[22:23]
	v_fma_f64 v[14:15], v[14:15], v[30:31], -v[24:25]
	v_add_f64 v[18:19], v[18:19], v[10:11]
	v_add_f64 v[20:21], v[20:21], v[12:13]
	ds_load_b128 v[2:5], v1 offset:1056
	ds_load_b128 v[10:13], v1 offset:1072
	s_waitcnt vmcnt(3) lgkmcnt(1)
	v_mul_f64 v[28:29], v[2:3], v[36:37]
	v_mul_f64 v[36:37], v[4:5], v[36:37]
	s_waitcnt vmcnt(2) lgkmcnt(0)
	v_mul_f64 v[22:23], v[10:11], v[42:43]
	v_add_f64 v[18:19], v[18:19], v[26:27]
	v_add_f64 v[20:21], v[20:21], v[32:33]
	v_mul_f64 v[24:25], v[12:13], v[42:43]
	v_fma_f64 v[26:27], v[4:5], v[34:35], v[28:29]
	v_fma_f64 v[28:29], v[2:3], v[34:35], -v[36:37]
	v_fma_f64 v[12:13], v[12:13], v[40:41], v[22:23]
	v_add_f64 v[18:19], v[18:19], v[14:15]
	v_add_f64 v[20:21], v[20:21], v[16:17]
	ds_load_b128 v[2:5], v1 offset:1088
	ds_load_b128 v[14:17], v1 offset:1104
	v_fma_f64 v[10:11], v[10:11], v[40:41], -v[24:25]
	s_waitcnt vmcnt(0) lgkmcnt(1)
	v_mul_f64 v[30:31], v[2:3], v[164:165]
	v_mul_f64 v[32:33], v[4:5], v[164:165]
	s_waitcnt lgkmcnt(0)
	v_mul_f64 v[22:23], v[14:15], v[8:9]
	v_mul_f64 v[8:9], v[16:17], v[8:9]
	v_add_f64 v[18:19], v[18:19], v[28:29]
	v_add_f64 v[20:21], v[20:21], v[26:27]
	v_fma_f64 v[4:5], v[4:5], v[162:163], v[30:31]
	v_fma_f64 v[1:2], v[2:3], v[162:163], -v[32:33]
	v_fma_f64 v[16:17], v[16:17], v[6:7], v[22:23]
	v_fma_f64 v[6:7], v[14:15], v[6:7], -v[8:9]
	v_add_f64 v[10:11], v[18:19], v[10:11]
	v_add_f64 v[12:13], v[20:21], v[12:13]
	s_delay_alu instid0(VALU_DEP_2) | instskip(NEXT) | instid1(VALU_DEP_2)
	v_add_f64 v[1:2], v[10:11], v[1:2]
	v_add_f64 v[3:4], v[12:13], v[4:5]
	s_delay_alu instid0(VALU_DEP_2) | instskip(NEXT) | instid1(VALU_DEP_2)
	;; [unrolled: 3-line block ×3, first 2 shown]
	v_add_f64 v[1:2], v[152:153], -v[1:2]
	v_add_f64 v[3:4], v[154:155], -v[3:4]
	scratch_store_b128 off, v[1:4], off offset:192
	v_cmpx_lt_u32_e32 11, v116
	s_cbranch_execz .LBB34_201
; %bb.200:
	scratch_load_b128 v[1:4], v134, off
	v_mov_b32_e32 v5, 0
	s_delay_alu instid0(VALU_DEP_1)
	v_mov_b32_e32 v6, v5
	v_mov_b32_e32 v7, v5
	;; [unrolled: 1-line block ×3, first 2 shown]
	scratch_store_b128 off, v[5:8], off offset:176
	s_waitcnt vmcnt(0)
	ds_store_b128 v151, v[1:4]
.LBB34_201:
	s_or_b32 exec_lo, exec_lo, s2
	s_waitcnt lgkmcnt(0)
	s_waitcnt_vscnt null, 0x0
	s_barrier
	buffer_gl0_inv
	s_clause 0x7
	scratch_load_b128 v[2:5], off, off offset:192
	scratch_load_b128 v[6:9], off, off offset:208
	;; [unrolled: 1-line block ×8, first 2 shown]
	v_mov_b32_e32 v1, 0
	s_mov_b32 s2, exec_lo
	ds_load_b128 v[34:37], v1 offset:752
	s_clause 0x1
	scratch_load_b128 v[38:41], off, off offset:320
	scratch_load_b128 v[42:45], off, off offset:176
	ds_load_b128 v[152:155], v1 offset:768
	scratch_load_b128 v[156:159], off, off offset:336
	s_waitcnt vmcnt(10) lgkmcnt(1)
	v_mul_f64 v[160:161], v[36:37], v[4:5]
	v_mul_f64 v[4:5], v[34:35], v[4:5]
	s_delay_alu instid0(VALU_DEP_2) | instskip(NEXT) | instid1(VALU_DEP_2)
	v_fma_f64 v[166:167], v[34:35], v[2:3], -v[160:161]
	v_fma_f64 v[168:169], v[36:37], v[2:3], v[4:5]
	scratch_load_b128 v[34:37], off, off offset:352
	ds_load_b128 v[2:5], v1 offset:784
	s_waitcnt vmcnt(10) lgkmcnt(1)
	v_mul_f64 v[164:165], v[152:153], v[8:9]
	v_mul_f64 v[8:9], v[154:155], v[8:9]
	ds_load_b128 v[160:163], v1 offset:800
	s_waitcnt vmcnt(9) lgkmcnt(1)
	v_mul_f64 v[170:171], v[2:3], v[12:13]
	v_mul_f64 v[12:13], v[4:5], v[12:13]
	v_fma_f64 v[154:155], v[154:155], v[6:7], v[164:165]
	v_fma_f64 v[152:153], v[152:153], v[6:7], -v[8:9]
	v_add_f64 v[164:165], v[166:167], 0
	v_add_f64 v[166:167], v[168:169], 0
	scratch_load_b128 v[6:9], off, off offset:368
	v_fma_f64 v[170:171], v[4:5], v[10:11], v[170:171]
	v_fma_f64 v[172:173], v[2:3], v[10:11], -v[12:13]
	scratch_load_b128 v[10:13], off, off offset:384
	ds_load_b128 v[2:5], v1 offset:816
	s_waitcnt vmcnt(10) lgkmcnt(1)
	v_mul_f64 v[168:169], v[160:161], v[16:17]
	v_mul_f64 v[16:17], v[162:163], v[16:17]
	v_add_f64 v[164:165], v[164:165], v[152:153]
	v_add_f64 v[166:167], v[166:167], v[154:155]
	s_waitcnt vmcnt(9) lgkmcnt(0)
	v_mul_f64 v[174:175], v[2:3], v[20:21]
	v_mul_f64 v[20:21], v[4:5], v[20:21]
	ds_load_b128 v[152:155], v1 offset:832
	v_fma_f64 v[162:163], v[162:163], v[14:15], v[168:169]
	v_fma_f64 v[160:161], v[160:161], v[14:15], -v[16:17]
	scratch_load_b128 v[14:17], off, off offset:400
	v_add_f64 v[164:165], v[164:165], v[172:173]
	v_add_f64 v[166:167], v[166:167], v[170:171]
	v_fma_f64 v[170:171], v[4:5], v[18:19], v[174:175]
	v_fma_f64 v[172:173], v[2:3], v[18:19], -v[20:21]
	scratch_load_b128 v[18:21], off, off offset:416
	ds_load_b128 v[2:5], v1 offset:848
	s_waitcnt vmcnt(10) lgkmcnt(1)
	v_mul_f64 v[168:169], v[152:153], v[24:25]
	v_mul_f64 v[24:25], v[154:155], v[24:25]
	s_waitcnt vmcnt(9) lgkmcnt(0)
	v_mul_f64 v[174:175], v[2:3], v[28:29]
	v_mul_f64 v[28:29], v[4:5], v[28:29]
	v_add_f64 v[164:165], v[164:165], v[160:161]
	v_add_f64 v[166:167], v[166:167], v[162:163]
	ds_load_b128 v[160:163], v1 offset:864
	v_fma_f64 v[154:155], v[154:155], v[22:23], v[168:169]
	v_fma_f64 v[152:153], v[152:153], v[22:23], -v[24:25]
	scratch_load_b128 v[22:25], off, off offset:432
	v_add_f64 v[164:165], v[164:165], v[172:173]
	v_add_f64 v[166:167], v[166:167], v[170:171]
	v_fma_f64 v[170:171], v[4:5], v[26:27], v[174:175]
	v_fma_f64 v[172:173], v[2:3], v[26:27], -v[28:29]
	scratch_load_b128 v[26:29], off, off offset:448
	ds_load_b128 v[2:5], v1 offset:880
	s_waitcnt vmcnt(10) lgkmcnt(1)
	v_mul_f64 v[168:169], v[160:161], v[32:33]
	v_mul_f64 v[32:33], v[162:163], v[32:33]
	s_waitcnt vmcnt(9) lgkmcnt(0)
	v_mul_f64 v[174:175], v[2:3], v[40:41]
	v_mul_f64 v[40:41], v[4:5], v[40:41]
	v_add_f64 v[164:165], v[164:165], v[152:153]
	v_add_f64 v[166:167], v[166:167], v[154:155]
	ds_load_b128 v[152:155], v1 offset:896
	v_fma_f64 v[162:163], v[162:163], v[30:31], v[168:169]
	v_fma_f64 v[160:161], v[160:161], v[30:31], -v[32:33]
	scratch_load_b128 v[30:33], off, off offset:464
	v_add_f64 v[164:165], v[164:165], v[172:173]
	v_add_f64 v[166:167], v[166:167], v[170:171]
	v_fma_f64 v[172:173], v[4:5], v[38:39], v[174:175]
	v_fma_f64 v[174:175], v[2:3], v[38:39], -v[40:41]
	scratch_load_b128 v[38:41], off, off offset:480
	ds_load_b128 v[2:5], v1 offset:912
	s_waitcnt vmcnt(9) lgkmcnt(1)
	v_mul_f64 v[168:169], v[152:153], v[158:159]
	v_mul_f64 v[170:171], v[154:155], v[158:159]
	v_add_f64 v[164:165], v[164:165], v[160:161]
	v_add_f64 v[162:163], v[166:167], v[162:163]
	ds_load_b128 v[158:161], v1 offset:928
	v_fma_f64 v[168:169], v[154:155], v[156:157], v[168:169]
	v_fma_f64 v[156:157], v[152:153], v[156:157], -v[170:171]
	scratch_load_b128 v[152:155], off, off offset:496
	s_waitcnt vmcnt(9) lgkmcnt(1)
	v_mul_f64 v[166:167], v[2:3], v[36:37]
	v_mul_f64 v[36:37], v[4:5], v[36:37]
	v_add_f64 v[164:165], v[164:165], v[174:175]
	v_add_f64 v[162:163], v[162:163], v[172:173]
	s_delay_alu instid0(VALU_DEP_4) | instskip(NEXT) | instid1(VALU_DEP_4)
	v_fma_f64 v[166:167], v[4:5], v[34:35], v[166:167]
	v_fma_f64 v[172:173], v[2:3], v[34:35], -v[36:37]
	scratch_load_b128 v[34:37], off, off offset:512
	ds_load_b128 v[2:5], v1 offset:944
	s_waitcnt vmcnt(9) lgkmcnt(1)
	v_mul_f64 v[170:171], v[158:159], v[8:9]
	v_mul_f64 v[8:9], v[160:161], v[8:9]
	s_waitcnt vmcnt(8) lgkmcnt(0)
	v_mul_f64 v[174:175], v[2:3], v[12:13]
	v_mul_f64 v[12:13], v[4:5], v[12:13]
	v_add_f64 v[156:157], v[164:165], v[156:157]
	v_add_f64 v[168:169], v[162:163], v[168:169]
	ds_load_b128 v[162:165], v1 offset:960
	v_fma_f64 v[160:161], v[160:161], v[6:7], v[170:171]
	v_fma_f64 v[158:159], v[158:159], v[6:7], -v[8:9]
	scratch_load_b128 v[6:9], off, off offset:528
	v_fma_f64 v[170:171], v[4:5], v[10:11], v[174:175]
	v_add_f64 v[156:157], v[156:157], v[172:173]
	v_add_f64 v[166:167], v[168:169], v[166:167]
	v_fma_f64 v[172:173], v[2:3], v[10:11], -v[12:13]
	scratch_load_b128 v[10:13], off, off offset:544
	ds_load_b128 v[2:5], v1 offset:976
	s_waitcnt vmcnt(9) lgkmcnt(1)
	v_mul_f64 v[168:169], v[162:163], v[16:17]
	v_mul_f64 v[16:17], v[164:165], v[16:17]
	v_add_f64 v[174:175], v[156:157], v[158:159]
	v_add_f64 v[160:161], v[166:167], v[160:161]
	s_waitcnt vmcnt(8) lgkmcnt(0)
	v_mul_f64 v[166:167], v[2:3], v[20:21]
	v_mul_f64 v[20:21], v[4:5], v[20:21]
	ds_load_b128 v[156:159], v1 offset:992
	v_fma_f64 v[164:165], v[164:165], v[14:15], v[168:169]
	v_fma_f64 v[14:15], v[162:163], v[14:15], -v[16:17]
	s_waitcnt vmcnt(7) lgkmcnt(0)
	v_mul_f64 v[162:163], v[156:157], v[24:25]
	v_mul_f64 v[24:25], v[158:159], v[24:25]
	v_add_f64 v[16:17], v[174:175], v[172:173]
	v_add_f64 v[160:161], v[160:161], v[170:171]
	v_fma_f64 v[166:167], v[4:5], v[18:19], v[166:167]
	v_fma_f64 v[18:19], v[2:3], v[18:19], -v[20:21]
	v_fma_f64 v[158:159], v[158:159], v[22:23], v[162:163]
	v_fma_f64 v[22:23], v[156:157], v[22:23], -v[24:25]
	v_add_f64 v[20:21], v[16:17], v[14:15]
	v_add_f64 v[160:161], v[160:161], v[164:165]
	ds_load_b128 v[2:5], v1 offset:1008
	ds_load_b128 v[14:17], v1 offset:1024
	s_waitcnt vmcnt(6) lgkmcnt(1)
	v_mul_f64 v[164:165], v[2:3], v[28:29]
	v_mul_f64 v[28:29], v[4:5], v[28:29]
	s_waitcnt vmcnt(5) lgkmcnt(0)
	v_mul_f64 v[24:25], v[14:15], v[32:33]
	v_mul_f64 v[32:33], v[16:17], v[32:33]
	v_add_f64 v[18:19], v[20:21], v[18:19]
	v_add_f64 v[20:21], v[160:161], v[166:167]
	v_fma_f64 v[156:157], v[4:5], v[26:27], v[164:165]
	v_fma_f64 v[26:27], v[2:3], v[26:27], -v[28:29]
	v_fma_f64 v[16:17], v[16:17], v[30:31], v[24:25]
	v_fma_f64 v[14:15], v[14:15], v[30:31], -v[32:33]
	v_add_f64 v[22:23], v[18:19], v[22:23]
	v_add_f64 v[28:29], v[20:21], v[158:159]
	ds_load_b128 v[2:5], v1 offset:1040
	ds_load_b128 v[18:21], v1 offset:1056
	s_waitcnt vmcnt(4) lgkmcnt(1)
	v_mul_f64 v[158:159], v[2:3], v[40:41]
	v_mul_f64 v[40:41], v[4:5], v[40:41]
	v_add_f64 v[22:23], v[22:23], v[26:27]
	v_add_f64 v[24:25], v[28:29], v[156:157]
	s_waitcnt vmcnt(3) lgkmcnt(0)
	v_mul_f64 v[26:27], v[18:19], v[154:155]
	v_mul_f64 v[28:29], v[20:21], v[154:155]
	v_fma_f64 v[30:31], v[4:5], v[38:39], v[158:159]
	v_fma_f64 v[32:33], v[2:3], v[38:39], -v[40:41]
	v_add_f64 v[22:23], v[22:23], v[14:15]
	v_add_f64 v[24:25], v[24:25], v[16:17]
	ds_load_b128 v[2:5], v1 offset:1072
	ds_load_b128 v[14:17], v1 offset:1088
	v_fma_f64 v[20:21], v[20:21], v[152:153], v[26:27]
	v_fma_f64 v[18:19], v[18:19], v[152:153], -v[28:29]
	s_waitcnt vmcnt(2) lgkmcnt(1)
	v_mul_f64 v[38:39], v[2:3], v[36:37]
	v_mul_f64 v[36:37], v[4:5], v[36:37]
	s_waitcnt vmcnt(1) lgkmcnt(0)
	v_mul_f64 v[26:27], v[14:15], v[8:9]
	v_mul_f64 v[8:9], v[16:17], v[8:9]
	v_add_f64 v[22:23], v[22:23], v[32:33]
	v_add_f64 v[24:25], v[24:25], v[30:31]
	v_fma_f64 v[28:29], v[4:5], v[34:35], v[38:39]
	v_fma_f64 v[30:31], v[2:3], v[34:35], -v[36:37]
	ds_load_b128 v[2:5], v1 offset:1104
	v_fma_f64 v[16:17], v[16:17], v[6:7], v[26:27]
	v_fma_f64 v[6:7], v[14:15], v[6:7], -v[8:9]
	v_add_f64 v[18:19], v[22:23], v[18:19]
	v_add_f64 v[20:21], v[24:25], v[20:21]
	s_waitcnt vmcnt(0) lgkmcnt(0)
	v_mul_f64 v[22:23], v[2:3], v[12:13]
	v_mul_f64 v[12:13], v[4:5], v[12:13]
	s_delay_alu instid0(VALU_DEP_4) | instskip(NEXT) | instid1(VALU_DEP_4)
	v_add_f64 v[8:9], v[18:19], v[30:31]
	v_add_f64 v[14:15], v[20:21], v[28:29]
	s_delay_alu instid0(VALU_DEP_4) | instskip(NEXT) | instid1(VALU_DEP_4)
	v_fma_f64 v[4:5], v[4:5], v[10:11], v[22:23]
	v_fma_f64 v[2:3], v[2:3], v[10:11], -v[12:13]
	s_delay_alu instid0(VALU_DEP_4) | instskip(NEXT) | instid1(VALU_DEP_4)
	v_add_f64 v[6:7], v[8:9], v[6:7]
	v_add_f64 v[8:9], v[14:15], v[16:17]
	s_delay_alu instid0(VALU_DEP_2) | instskip(NEXT) | instid1(VALU_DEP_2)
	v_add_f64 v[2:3], v[6:7], v[2:3]
	v_add_f64 v[4:5], v[8:9], v[4:5]
	s_delay_alu instid0(VALU_DEP_2) | instskip(NEXT) | instid1(VALU_DEP_2)
	v_add_f64 v[2:3], v[42:43], -v[2:3]
	v_add_f64 v[4:5], v[44:45], -v[4:5]
	scratch_store_b128 off, v[2:5], off offset:176
	v_cmpx_lt_u32_e32 10, v116
	s_cbranch_execz .LBB34_203
; %bb.202:
	scratch_load_b128 v[5:8], v135, off
	v_mov_b32_e32 v2, v1
	v_mov_b32_e32 v3, v1
	;; [unrolled: 1-line block ×3, first 2 shown]
	scratch_store_b128 off, v[1:4], off offset:160
	s_waitcnt vmcnt(0)
	ds_store_b128 v151, v[5:8]
.LBB34_203:
	s_or_b32 exec_lo, exec_lo, s2
	s_waitcnt lgkmcnt(0)
	s_waitcnt_vscnt null, 0x0
	s_barrier
	buffer_gl0_inv
	s_clause 0x8
	scratch_load_b128 v[2:5], off, off offset:176
	scratch_load_b128 v[6:9], off, off offset:192
	;; [unrolled: 1-line block ×9, first 2 shown]
	ds_load_b128 v[38:41], v1 offset:736
	ds_load_b128 v[42:45], v1 offset:752
	s_clause 0x1
	scratch_load_b128 v[152:155], off, off offset:160
	scratch_load_b128 v[156:159], off, off offset:320
	s_mov_b32 s2, exec_lo
	s_waitcnt vmcnt(10) lgkmcnt(1)
	v_mul_f64 v[160:161], v[40:41], v[4:5]
	v_mul_f64 v[4:5], v[38:39], v[4:5]
	s_waitcnt vmcnt(9) lgkmcnt(0)
	v_mul_f64 v[164:165], v[42:43], v[8:9]
	v_mul_f64 v[8:9], v[44:45], v[8:9]
	s_delay_alu instid0(VALU_DEP_4) | instskip(NEXT) | instid1(VALU_DEP_4)
	v_fma_f64 v[166:167], v[38:39], v[2:3], -v[160:161]
	v_fma_f64 v[168:169], v[40:41], v[2:3], v[4:5]
	ds_load_b128 v[2:5], v1 offset:768
	ds_load_b128 v[160:163], v1 offset:784
	scratch_load_b128 v[38:41], off, off offset:336
	v_fma_f64 v[44:45], v[44:45], v[6:7], v[164:165]
	v_fma_f64 v[42:43], v[42:43], v[6:7], -v[8:9]
	scratch_load_b128 v[6:9], off, off offset:352
	s_waitcnt vmcnt(10) lgkmcnt(1)
	v_mul_f64 v[170:171], v[2:3], v[12:13]
	v_mul_f64 v[12:13], v[4:5], v[12:13]
	v_add_f64 v[164:165], v[166:167], 0
	v_add_f64 v[166:167], v[168:169], 0
	s_waitcnt vmcnt(9) lgkmcnt(0)
	v_mul_f64 v[168:169], v[160:161], v[16:17]
	v_mul_f64 v[16:17], v[162:163], v[16:17]
	v_fma_f64 v[170:171], v[4:5], v[10:11], v[170:171]
	v_fma_f64 v[172:173], v[2:3], v[10:11], -v[12:13]
	ds_load_b128 v[2:5], v1 offset:800
	scratch_load_b128 v[10:13], off, off offset:368
	v_add_f64 v[164:165], v[164:165], v[42:43]
	v_add_f64 v[166:167], v[166:167], v[44:45]
	ds_load_b128 v[42:45], v1 offset:816
	v_fma_f64 v[162:163], v[162:163], v[14:15], v[168:169]
	v_fma_f64 v[160:161], v[160:161], v[14:15], -v[16:17]
	scratch_load_b128 v[14:17], off, off offset:384
	s_waitcnt vmcnt(10) lgkmcnt(1)
	v_mul_f64 v[174:175], v[2:3], v[20:21]
	v_mul_f64 v[20:21], v[4:5], v[20:21]
	s_waitcnt vmcnt(9) lgkmcnt(0)
	v_mul_f64 v[168:169], v[42:43], v[24:25]
	v_mul_f64 v[24:25], v[44:45], v[24:25]
	v_add_f64 v[164:165], v[164:165], v[172:173]
	v_add_f64 v[166:167], v[166:167], v[170:171]
	v_fma_f64 v[170:171], v[4:5], v[18:19], v[174:175]
	v_fma_f64 v[172:173], v[2:3], v[18:19], -v[20:21]
	ds_load_b128 v[2:5], v1 offset:832
	scratch_load_b128 v[18:21], off, off offset:400
	v_fma_f64 v[44:45], v[44:45], v[22:23], v[168:169]
	v_fma_f64 v[42:43], v[42:43], v[22:23], -v[24:25]
	scratch_load_b128 v[22:25], off, off offset:416
	v_add_f64 v[164:165], v[164:165], v[160:161]
	v_add_f64 v[166:167], v[166:167], v[162:163]
	ds_load_b128 v[160:163], v1 offset:848
	s_waitcnt vmcnt(10) lgkmcnt(1)
	v_mul_f64 v[174:175], v[2:3], v[28:29]
	v_mul_f64 v[28:29], v[4:5], v[28:29]
	s_waitcnt vmcnt(9) lgkmcnt(0)
	v_mul_f64 v[168:169], v[160:161], v[32:33]
	v_mul_f64 v[32:33], v[162:163], v[32:33]
	v_add_f64 v[164:165], v[164:165], v[172:173]
	v_add_f64 v[166:167], v[166:167], v[170:171]
	v_fma_f64 v[170:171], v[4:5], v[26:27], v[174:175]
	v_fma_f64 v[172:173], v[2:3], v[26:27], -v[28:29]
	ds_load_b128 v[2:5], v1 offset:864
	scratch_load_b128 v[26:29], off, off offset:432
	v_fma_f64 v[162:163], v[162:163], v[30:31], v[168:169]
	v_fma_f64 v[160:161], v[160:161], v[30:31], -v[32:33]
	scratch_load_b128 v[30:33], off, off offset:448
	v_add_f64 v[164:165], v[164:165], v[42:43]
	v_add_f64 v[166:167], v[166:167], v[44:45]
	ds_load_b128 v[42:45], v1 offset:880
	s_waitcnt vmcnt(10) lgkmcnt(1)
	v_mul_f64 v[174:175], v[2:3], v[36:37]
	v_mul_f64 v[36:37], v[4:5], v[36:37]
	s_waitcnt vmcnt(8) lgkmcnt(0)
	v_mul_f64 v[168:169], v[42:43], v[158:159]
	v_add_f64 v[164:165], v[164:165], v[172:173]
	v_add_f64 v[166:167], v[166:167], v[170:171]
	v_mul_f64 v[170:171], v[44:45], v[158:159]
	v_fma_f64 v[172:173], v[4:5], v[34:35], v[174:175]
	v_fma_f64 v[174:175], v[2:3], v[34:35], -v[36:37]
	ds_load_b128 v[2:5], v1 offset:896
	scratch_load_b128 v[34:37], off, off offset:464
	v_fma_f64 v[44:45], v[44:45], v[156:157], v[168:169]
	v_add_f64 v[164:165], v[164:165], v[160:161]
	v_add_f64 v[162:163], v[166:167], v[162:163]
	ds_load_b128 v[158:161], v1 offset:912
	v_fma_f64 v[156:157], v[42:43], v[156:157], -v[170:171]
	s_waitcnt vmcnt(8) lgkmcnt(1)
	v_mul_f64 v[166:167], v[2:3], v[40:41]
	v_mul_f64 v[176:177], v[4:5], v[40:41]
	scratch_load_b128 v[40:43], off, off offset:480
	s_waitcnt vmcnt(8) lgkmcnt(0)
	v_mul_f64 v[170:171], v[158:159], v[8:9]
	v_mul_f64 v[8:9], v[160:161], v[8:9]
	v_add_f64 v[164:165], v[164:165], v[174:175]
	v_add_f64 v[162:163], v[162:163], v[172:173]
	v_fma_f64 v[172:173], v[4:5], v[38:39], v[166:167]
	v_fma_f64 v[38:39], v[2:3], v[38:39], -v[176:177]
	ds_load_b128 v[2:5], v1 offset:928
	ds_load_b128 v[166:169], v1 offset:944
	v_fma_f64 v[160:161], v[160:161], v[6:7], v[170:171]
	v_fma_f64 v[158:159], v[158:159], v[6:7], -v[8:9]
	scratch_load_b128 v[6:9], off, off offset:512
	v_add_f64 v[156:157], v[164:165], v[156:157]
	v_add_f64 v[44:45], v[162:163], v[44:45]
	scratch_load_b128 v[162:165], off, off offset:496
	s_waitcnt vmcnt(9) lgkmcnt(1)
	v_mul_f64 v[174:175], v[2:3], v[12:13]
	v_mul_f64 v[12:13], v[4:5], v[12:13]
	s_waitcnt vmcnt(8) lgkmcnt(0)
	v_mul_f64 v[170:171], v[166:167], v[16:17]
	v_mul_f64 v[16:17], v[168:169], v[16:17]
	v_add_f64 v[38:39], v[156:157], v[38:39]
	v_add_f64 v[44:45], v[44:45], v[172:173]
	v_fma_f64 v[172:173], v[4:5], v[10:11], v[174:175]
	v_fma_f64 v[174:175], v[2:3], v[10:11], -v[12:13]
	ds_load_b128 v[2:5], v1 offset:960
	scratch_load_b128 v[10:13], off, off offset:528
	v_fma_f64 v[168:169], v[168:169], v[14:15], v[170:171]
	v_fma_f64 v[166:167], v[166:167], v[14:15], -v[16:17]
	scratch_load_b128 v[14:17], off, off offset:544
	v_add_f64 v[38:39], v[38:39], v[158:159]
	v_add_f64 v[44:45], v[44:45], v[160:161]
	ds_load_b128 v[156:159], v1 offset:976
	s_waitcnt vmcnt(9) lgkmcnt(1)
	v_mul_f64 v[160:161], v[2:3], v[20:21]
	v_mul_f64 v[20:21], v[4:5], v[20:21]
	s_waitcnt vmcnt(8) lgkmcnt(0)
	v_mul_f64 v[170:171], v[156:157], v[24:25]
	v_mul_f64 v[24:25], v[158:159], v[24:25]
	v_add_f64 v[38:39], v[38:39], v[174:175]
	v_add_f64 v[44:45], v[44:45], v[172:173]
	v_fma_f64 v[160:161], v[4:5], v[18:19], v[160:161]
	v_fma_f64 v[172:173], v[2:3], v[18:19], -v[20:21]
	ds_load_b128 v[2:5], v1 offset:992
	ds_load_b128 v[18:21], v1 offset:1008
	v_fma_f64 v[158:159], v[158:159], v[22:23], v[170:171]
	v_fma_f64 v[22:23], v[156:157], v[22:23], -v[24:25]
	v_add_f64 v[38:39], v[38:39], v[166:167]
	v_add_f64 v[44:45], v[44:45], v[168:169]
	s_waitcnt vmcnt(7) lgkmcnt(1)
	v_mul_f64 v[166:167], v[2:3], v[28:29]
	v_mul_f64 v[28:29], v[4:5], v[28:29]
	s_delay_alu instid0(VALU_DEP_4) | instskip(NEXT) | instid1(VALU_DEP_4)
	v_add_f64 v[24:25], v[38:39], v[172:173]
	v_add_f64 v[38:39], v[44:45], v[160:161]
	s_waitcnt vmcnt(6) lgkmcnt(0)
	v_mul_f64 v[44:45], v[18:19], v[32:33]
	v_mul_f64 v[32:33], v[20:21], v[32:33]
	v_fma_f64 v[156:157], v[4:5], v[26:27], v[166:167]
	v_fma_f64 v[26:27], v[2:3], v[26:27], -v[28:29]
	v_add_f64 v[28:29], v[24:25], v[22:23]
	v_add_f64 v[38:39], v[38:39], v[158:159]
	ds_load_b128 v[2:5], v1 offset:1024
	ds_load_b128 v[22:25], v1 offset:1040
	v_fma_f64 v[20:21], v[20:21], v[30:31], v[44:45]
	v_fma_f64 v[18:19], v[18:19], v[30:31], -v[32:33]
	s_waitcnt vmcnt(5) lgkmcnt(1)
	v_mul_f64 v[158:159], v[2:3], v[36:37]
	v_mul_f64 v[36:37], v[4:5], v[36:37]
	s_waitcnt vmcnt(4) lgkmcnt(0)
	v_mul_f64 v[30:31], v[22:23], v[42:43]
	v_add_f64 v[26:27], v[28:29], v[26:27]
	v_add_f64 v[28:29], v[38:39], v[156:157]
	v_mul_f64 v[32:33], v[24:25], v[42:43]
	v_fma_f64 v[38:39], v[4:5], v[34:35], v[158:159]
	v_fma_f64 v[34:35], v[2:3], v[34:35], -v[36:37]
	v_fma_f64 v[24:25], v[24:25], v[40:41], v[30:31]
	v_add_f64 v[26:27], v[26:27], v[18:19]
	v_add_f64 v[28:29], v[28:29], v[20:21]
	ds_load_b128 v[2:5], v1 offset:1056
	ds_load_b128 v[18:21], v1 offset:1072
	v_fma_f64 v[22:23], v[22:23], v[40:41], -v[32:33]
	s_waitcnt vmcnt(2) lgkmcnt(1)
	v_mul_f64 v[36:37], v[2:3], v[164:165]
	v_mul_f64 v[42:43], v[4:5], v[164:165]
	s_waitcnt lgkmcnt(0)
	v_mul_f64 v[30:31], v[18:19], v[8:9]
	v_mul_f64 v[8:9], v[20:21], v[8:9]
	v_add_f64 v[26:27], v[26:27], v[34:35]
	v_add_f64 v[28:29], v[28:29], v[38:39]
	v_fma_f64 v[32:33], v[4:5], v[162:163], v[36:37]
	v_fma_f64 v[34:35], v[2:3], v[162:163], -v[42:43]
	v_fma_f64 v[20:21], v[20:21], v[6:7], v[30:31]
	v_fma_f64 v[6:7], v[18:19], v[6:7], -v[8:9]
	v_add_f64 v[26:27], v[26:27], v[22:23]
	v_add_f64 v[28:29], v[28:29], v[24:25]
	ds_load_b128 v[2:5], v1 offset:1088
	ds_load_b128 v[22:25], v1 offset:1104
	s_waitcnt vmcnt(1) lgkmcnt(1)
	v_mul_f64 v[36:37], v[2:3], v[12:13]
	v_mul_f64 v[12:13], v[4:5], v[12:13]
	v_add_f64 v[8:9], v[26:27], v[34:35]
	v_add_f64 v[18:19], v[28:29], v[32:33]
	s_waitcnt vmcnt(0) lgkmcnt(0)
	v_mul_f64 v[26:27], v[22:23], v[16:17]
	v_mul_f64 v[16:17], v[24:25], v[16:17]
	v_fma_f64 v[4:5], v[4:5], v[10:11], v[36:37]
	v_fma_f64 v[1:2], v[2:3], v[10:11], -v[12:13]
	v_add_f64 v[6:7], v[8:9], v[6:7]
	v_add_f64 v[8:9], v[18:19], v[20:21]
	v_fma_f64 v[10:11], v[24:25], v[14:15], v[26:27]
	v_fma_f64 v[12:13], v[22:23], v[14:15], -v[16:17]
	s_delay_alu instid0(VALU_DEP_4) | instskip(NEXT) | instid1(VALU_DEP_4)
	v_add_f64 v[1:2], v[6:7], v[1:2]
	v_add_f64 v[3:4], v[8:9], v[4:5]
	s_delay_alu instid0(VALU_DEP_2) | instskip(NEXT) | instid1(VALU_DEP_2)
	v_add_f64 v[1:2], v[1:2], v[12:13]
	v_add_f64 v[3:4], v[3:4], v[10:11]
	s_delay_alu instid0(VALU_DEP_2) | instskip(NEXT) | instid1(VALU_DEP_2)
	v_add_f64 v[1:2], v[152:153], -v[1:2]
	v_add_f64 v[3:4], v[154:155], -v[3:4]
	scratch_store_b128 off, v[1:4], off offset:160
	v_cmpx_lt_u32_e32 9, v116
	s_cbranch_execz .LBB34_205
; %bb.204:
	scratch_load_b128 v[1:4], v138, off
	v_mov_b32_e32 v5, 0
	s_delay_alu instid0(VALU_DEP_1)
	v_mov_b32_e32 v6, v5
	v_mov_b32_e32 v7, v5
	;; [unrolled: 1-line block ×3, first 2 shown]
	scratch_store_b128 off, v[5:8], off offset:144
	s_waitcnt vmcnt(0)
	ds_store_b128 v151, v[1:4]
.LBB34_205:
	s_or_b32 exec_lo, exec_lo, s2
	s_waitcnt lgkmcnt(0)
	s_waitcnt_vscnt null, 0x0
	s_barrier
	buffer_gl0_inv
	s_clause 0x7
	scratch_load_b128 v[2:5], off, off offset:160
	scratch_load_b128 v[6:9], off, off offset:176
	;; [unrolled: 1-line block ×8, first 2 shown]
	v_mov_b32_e32 v1, 0
	s_mov_b32 s2, exec_lo
	ds_load_b128 v[34:37], v1 offset:720
	s_clause 0x1
	scratch_load_b128 v[38:41], off, off offset:288
	scratch_load_b128 v[42:45], off, off offset:144
	ds_load_b128 v[152:155], v1 offset:736
	scratch_load_b128 v[156:159], off, off offset:304
	s_waitcnt vmcnt(10) lgkmcnt(1)
	v_mul_f64 v[160:161], v[36:37], v[4:5]
	v_mul_f64 v[4:5], v[34:35], v[4:5]
	s_delay_alu instid0(VALU_DEP_2) | instskip(NEXT) | instid1(VALU_DEP_2)
	v_fma_f64 v[166:167], v[34:35], v[2:3], -v[160:161]
	v_fma_f64 v[168:169], v[36:37], v[2:3], v[4:5]
	scratch_load_b128 v[34:37], off, off offset:320
	ds_load_b128 v[2:5], v1 offset:752
	s_waitcnt vmcnt(10) lgkmcnt(1)
	v_mul_f64 v[164:165], v[152:153], v[8:9]
	v_mul_f64 v[8:9], v[154:155], v[8:9]
	ds_load_b128 v[160:163], v1 offset:768
	s_waitcnt vmcnt(9) lgkmcnt(1)
	v_mul_f64 v[170:171], v[2:3], v[12:13]
	v_mul_f64 v[12:13], v[4:5], v[12:13]
	v_fma_f64 v[154:155], v[154:155], v[6:7], v[164:165]
	v_fma_f64 v[152:153], v[152:153], v[6:7], -v[8:9]
	v_add_f64 v[164:165], v[166:167], 0
	v_add_f64 v[166:167], v[168:169], 0
	scratch_load_b128 v[6:9], off, off offset:336
	v_fma_f64 v[170:171], v[4:5], v[10:11], v[170:171]
	v_fma_f64 v[172:173], v[2:3], v[10:11], -v[12:13]
	scratch_load_b128 v[10:13], off, off offset:352
	ds_load_b128 v[2:5], v1 offset:784
	s_waitcnt vmcnt(10) lgkmcnt(1)
	v_mul_f64 v[168:169], v[160:161], v[16:17]
	v_mul_f64 v[16:17], v[162:163], v[16:17]
	v_add_f64 v[164:165], v[164:165], v[152:153]
	v_add_f64 v[166:167], v[166:167], v[154:155]
	s_waitcnt vmcnt(9) lgkmcnt(0)
	v_mul_f64 v[174:175], v[2:3], v[20:21]
	v_mul_f64 v[20:21], v[4:5], v[20:21]
	ds_load_b128 v[152:155], v1 offset:800
	v_fma_f64 v[162:163], v[162:163], v[14:15], v[168:169]
	v_fma_f64 v[160:161], v[160:161], v[14:15], -v[16:17]
	scratch_load_b128 v[14:17], off, off offset:368
	v_add_f64 v[164:165], v[164:165], v[172:173]
	v_add_f64 v[166:167], v[166:167], v[170:171]
	v_fma_f64 v[170:171], v[4:5], v[18:19], v[174:175]
	v_fma_f64 v[172:173], v[2:3], v[18:19], -v[20:21]
	scratch_load_b128 v[18:21], off, off offset:384
	ds_load_b128 v[2:5], v1 offset:816
	s_waitcnt vmcnt(10) lgkmcnt(1)
	v_mul_f64 v[168:169], v[152:153], v[24:25]
	v_mul_f64 v[24:25], v[154:155], v[24:25]
	s_waitcnt vmcnt(9) lgkmcnt(0)
	v_mul_f64 v[174:175], v[2:3], v[28:29]
	v_mul_f64 v[28:29], v[4:5], v[28:29]
	v_add_f64 v[164:165], v[164:165], v[160:161]
	v_add_f64 v[166:167], v[166:167], v[162:163]
	ds_load_b128 v[160:163], v1 offset:832
	v_fma_f64 v[154:155], v[154:155], v[22:23], v[168:169]
	v_fma_f64 v[152:153], v[152:153], v[22:23], -v[24:25]
	scratch_load_b128 v[22:25], off, off offset:400
	v_add_f64 v[164:165], v[164:165], v[172:173]
	v_add_f64 v[166:167], v[166:167], v[170:171]
	v_fma_f64 v[170:171], v[4:5], v[26:27], v[174:175]
	v_fma_f64 v[172:173], v[2:3], v[26:27], -v[28:29]
	scratch_load_b128 v[26:29], off, off offset:416
	ds_load_b128 v[2:5], v1 offset:848
	s_waitcnt vmcnt(10) lgkmcnt(1)
	v_mul_f64 v[168:169], v[160:161], v[32:33]
	v_mul_f64 v[32:33], v[162:163], v[32:33]
	s_waitcnt vmcnt(9) lgkmcnt(0)
	v_mul_f64 v[174:175], v[2:3], v[40:41]
	v_mul_f64 v[40:41], v[4:5], v[40:41]
	v_add_f64 v[164:165], v[164:165], v[152:153]
	v_add_f64 v[166:167], v[166:167], v[154:155]
	ds_load_b128 v[152:155], v1 offset:864
	v_fma_f64 v[162:163], v[162:163], v[30:31], v[168:169]
	v_fma_f64 v[160:161], v[160:161], v[30:31], -v[32:33]
	scratch_load_b128 v[30:33], off, off offset:432
	v_add_f64 v[164:165], v[164:165], v[172:173]
	v_add_f64 v[166:167], v[166:167], v[170:171]
	v_fma_f64 v[172:173], v[4:5], v[38:39], v[174:175]
	v_fma_f64 v[174:175], v[2:3], v[38:39], -v[40:41]
	scratch_load_b128 v[38:41], off, off offset:448
	ds_load_b128 v[2:5], v1 offset:880
	s_waitcnt vmcnt(9) lgkmcnt(1)
	v_mul_f64 v[168:169], v[152:153], v[158:159]
	v_mul_f64 v[170:171], v[154:155], v[158:159]
	v_add_f64 v[164:165], v[164:165], v[160:161]
	v_add_f64 v[162:163], v[166:167], v[162:163]
	ds_load_b128 v[158:161], v1 offset:896
	v_fma_f64 v[168:169], v[154:155], v[156:157], v[168:169]
	v_fma_f64 v[156:157], v[152:153], v[156:157], -v[170:171]
	scratch_load_b128 v[152:155], off, off offset:464
	s_waitcnt vmcnt(9) lgkmcnt(1)
	v_mul_f64 v[166:167], v[2:3], v[36:37]
	v_mul_f64 v[36:37], v[4:5], v[36:37]
	v_add_f64 v[164:165], v[164:165], v[174:175]
	v_add_f64 v[162:163], v[162:163], v[172:173]
	s_delay_alu instid0(VALU_DEP_4) | instskip(NEXT) | instid1(VALU_DEP_4)
	v_fma_f64 v[166:167], v[4:5], v[34:35], v[166:167]
	v_fma_f64 v[172:173], v[2:3], v[34:35], -v[36:37]
	scratch_load_b128 v[34:37], off, off offset:480
	ds_load_b128 v[2:5], v1 offset:912
	s_waitcnt vmcnt(9) lgkmcnt(1)
	v_mul_f64 v[170:171], v[158:159], v[8:9]
	v_mul_f64 v[8:9], v[160:161], v[8:9]
	s_waitcnt vmcnt(8) lgkmcnt(0)
	v_mul_f64 v[174:175], v[2:3], v[12:13]
	v_mul_f64 v[12:13], v[4:5], v[12:13]
	v_add_f64 v[156:157], v[164:165], v[156:157]
	v_add_f64 v[168:169], v[162:163], v[168:169]
	ds_load_b128 v[162:165], v1 offset:928
	v_fma_f64 v[160:161], v[160:161], v[6:7], v[170:171]
	v_fma_f64 v[158:159], v[158:159], v[6:7], -v[8:9]
	scratch_load_b128 v[6:9], off, off offset:496
	v_fma_f64 v[170:171], v[4:5], v[10:11], v[174:175]
	v_add_f64 v[156:157], v[156:157], v[172:173]
	v_add_f64 v[166:167], v[168:169], v[166:167]
	v_fma_f64 v[172:173], v[2:3], v[10:11], -v[12:13]
	scratch_load_b128 v[10:13], off, off offset:512
	ds_load_b128 v[2:5], v1 offset:944
	s_waitcnt vmcnt(9) lgkmcnt(1)
	v_mul_f64 v[168:169], v[162:163], v[16:17]
	v_mul_f64 v[16:17], v[164:165], v[16:17]
	v_add_f64 v[174:175], v[156:157], v[158:159]
	v_add_f64 v[160:161], v[166:167], v[160:161]
	s_waitcnt vmcnt(8) lgkmcnt(0)
	v_mul_f64 v[166:167], v[2:3], v[20:21]
	v_mul_f64 v[20:21], v[4:5], v[20:21]
	ds_load_b128 v[156:159], v1 offset:960
	v_fma_f64 v[164:165], v[164:165], v[14:15], v[168:169]
	v_fma_f64 v[162:163], v[162:163], v[14:15], -v[16:17]
	scratch_load_b128 v[14:17], off, off offset:528
	v_add_f64 v[168:169], v[174:175], v[172:173]
	v_add_f64 v[160:161], v[160:161], v[170:171]
	v_fma_f64 v[166:167], v[4:5], v[18:19], v[166:167]
	v_fma_f64 v[172:173], v[2:3], v[18:19], -v[20:21]
	scratch_load_b128 v[18:21], off, off offset:544
	ds_load_b128 v[2:5], v1 offset:976
	s_waitcnt vmcnt(9) lgkmcnt(1)
	v_mul_f64 v[170:171], v[156:157], v[24:25]
	v_mul_f64 v[24:25], v[158:159], v[24:25]
	s_waitcnt vmcnt(8) lgkmcnt(0)
	v_mul_f64 v[174:175], v[2:3], v[28:29]
	v_mul_f64 v[28:29], v[4:5], v[28:29]
	v_add_f64 v[168:169], v[168:169], v[162:163]
	v_add_f64 v[164:165], v[160:161], v[164:165]
	ds_load_b128 v[160:163], v1 offset:992
	v_fma_f64 v[158:159], v[158:159], v[22:23], v[170:171]
	v_fma_f64 v[22:23], v[156:157], v[22:23], -v[24:25]
	v_add_f64 v[24:25], v[168:169], v[172:173]
	v_add_f64 v[156:157], v[164:165], v[166:167]
	s_waitcnt vmcnt(7) lgkmcnt(0)
	v_mul_f64 v[164:165], v[160:161], v[32:33]
	v_mul_f64 v[32:33], v[162:163], v[32:33]
	v_fma_f64 v[166:167], v[4:5], v[26:27], v[174:175]
	v_fma_f64 v[26:27], v[2:3], v[26:27], -v[28:29]
	v_add_f64 v[28:29], v[24:25], v[22:23]
	v_add_f64 v[156:157], v[156:157], v[158:159]
	ds_load_b128 v[2:5], v1 offset:1008
	ds_load_b128 v[22:25], v1 offset:1024
	v_fma_f64 v[162:163], v[162:163], v[30:31], v[164:165]
	v_fma_f64 v[30:31], v[160:161], v[30:31], -v[32:33]
	s_waitcnt vmcnt(6) lgkmcnt(1)
	v_mul_f64 v[158:159], v[2:3], v[40:41]
	v_mul_f64 v[40:41], v[4:5], v[40:41]
	s_waitcnt vmcnt(5) lgkmcnt(0)
	v_mul_f64 v[32:33], v[22:23], v[154:155]
	v_mul_f64 v[154:155], v[24:25], v[154:155]
	v_add_f64 v[26:27], v[28:29], v[26:27]
	v_add_f64 v[28:29], v[156:157], v[166:167]
	v_fma_f64 v[156:157], v[4:5], v[38:39], v[158:159]
	v_fma_f64 v[38:39], v[2:3], v[38:39], -v[40:41]
	v_fma_f64 v[24:25], v[24:25], v[152:153], v[32:33]
	v_fma_f64 v[22:23], v[22:23], v[152:153], -v[154:155]
	v_add_f64 v[30:31], v[26:27], v[30:31]
	v_add_f64 v[40:41], v[28:29], v[162:163]
	ds_load_b128 v[2:5], v1 offset:1040
	ds_load_b128 v[26:29], v1 offset:1056
	s_waitcnt vmcnt(4) lgkmcnt(1)
	v_mul_f64 v[158:159], v[2:3], v[36:37]
	v_mul_f64 v[36:37], v[4:5], v[36:37]
	v_add_f64 v[30:31], v[30:31], v[38:39]
	v_add_f64 v[32:33], v[40:41], v[156:157]
	s_waitcnt vmcnt(3) lgkmcnt(0)
	v_mul_f64 v[38:39], v[26:27], v[8:9]
	v_mul_f64 v[8:9], v[28:29], v[8:9]
	v_fma_f64 v[40:41], v[4:5], v[34:35], v[158:159]
	v_fma_f64 v[34:35], v[2:3], v[34:35], -v[36:37]
	v_add_f64 v[30:31], v[30:31], v[22:23]
	v_add_f64 v[32:33], v[32:33], v[24:25]
	ds_load_b128 v[2:5], v1 offset:1072
	ds_load_b128 v[22:25], v1 offset:1088
	v_fma_f64 v[28:29], v[28:29], v[6:7], v[38:39]
	v_fma_f64 v[6:7], v[26:27], v[6:7], -v[8:9]
	s_waitcnt vmcnt(2) lgkmcnt(1)
	v_mul_f64 v[36:37], v[2:3], v[12:13]
	v_mul_f64 v[12:13], v[4:5], v[12:13]
	v_add_f64 v[8:9], v[30:31], v[34:35]
	v_add_f64 v[26:27], v[32:33], v[40:41]
	s_waitcnt vmcnt(1) lgkmcnt(0)
	v_mul_f64 v[30:31], v[22:23], v[16:17]
	v_mul_f64 v[16:17], v[24:25], v[16:17]
	v_fma_f64 v[32:33], v[4:5], v[10:11], v[36:37]
	v_fma_f64 v[10:11], v[2:3], v[10:11], -v[12:13]
	ds_load_b128 v[2:5], v1 offset:1104
	v_add_f64 v[6:7], v[8:9], v[6:7]
	v_add_f64 v[8:9], v[26:27], v[28:29]
	v_fma_f64 v[24:25], v[24:25], v[14:15], v[30:31]
	v_fma_f64 v[14:15], v[22:23], v[14:15], -v[16:17]
	s_waitcnt vmcnt(0) lgkmcnt(0)
	v_mul_f64 v[12:13], v[2:3], v[20:21]
	v_mul_f64 v[20:21], v[4:5], v[20:21]
	v_add_f64 v[6:7], v[6:7], v[10:11]
	v_add_f64 v[8:9], v[8:9], v[32:33]
	s_delay_alu instid0(VALU_DEP_4) | instskip(NEXT) | instid1(VALU_DEP_4)
	v_fma_f64 v[4:5], v[4:5], v[18:19], v[12:13]
	v_fma_f64 v[2:3], v[2:3], v[18:19], -v[20:21]
	s_delay_alu instid0(VALU_DEP_4) | instskip(NEXT) | instid1(VALU_DEP_4)
	v_add_f64 v[6:7], v[6:7], v[14:15]
	v_add_f64 v[8:9], v[8:9], v[24:25]
	s_delay_alu instid0(VALU_DEP_2) | instskip(NEXT) | instid1(VALU_DEP_2)
	v_add_f64 v[2:3], v[6:7], v[2:3]
	v_add_f64 v[4:5], v[8:9], v[4:5]
	s_delay_alu instid0(VALU_DEP_2) | instskip(NEXT) | instid1(VALU_DEP_2)
	v_add_f64 v[2:3], v[42:43], -v[2:3]
	v_add_f64 v[4:5], v[44:45], -v[4:5]
	scratch_store_b128 off, v[2:5], off offset:144
	v_cmpx_lt_u32_e32 8, v116
	s_cbranch_execz .LBB34_207
; %bb.206:
	scratch_load_b128 v[5:8], v136, off
	v_mov_b32_e32 v2, v1
	v_mov_b32_e32 v3, v1
	;; [unrolled: 1-line block ×3, first 2 shown]
	scratch_store_b128 off, v[1:4], off offset:128
	s_waitcnt vmcnt(0)
	ds_store_b128 v151, v[5:8]
.LBB34_207:
	s_or_b32 exec_lo, exec_lo, s2
	s_waitcnt lgkmcnt(0)
	s_waitcnt_vscnt null, 0x0
	s_barrier
	buffer_gl0_inv
	s_clause 0x8
	scratch_load_b128 v[2:5], off, off offset:144
	scratch_load_b128 v[6:9], off, off offset:160
	;; [unrolled: 1-line block ×9, first 2 shown]
	ds_load_b128 v[38:41], v1 offset:704
	ds_load_b128 v[42:45], v1 offset:720
	s_clause 0x1
	scratch_load_b128 v[152:155], off, off offset:128
	scratch_load_b128 v[156:159], off, off offset:288
	s_mov_b32 s2, exec_lo
	s_waitcnt vmcnt(10) lgkmcnt(1)
	v_mul_f64 v[160:161], v[40:41], v[4:5]
	v_mul_f64 v[4:5], v[38:39], v[4:5]
	s_waitcnt vmcnt(9) lgkmcnt(0)
	v_mul_f64 v[164:165], v[42:43], v[8:9]
	v_mul_f64 v[8:9], v[44:45], v[8:9]
	s_delay_alu instid0(VALU_DEP_4) | instskip(NEXT) | instid1(VALU_DEP_4)
	v_fma_f64 v[166:167], v[38:39], v[2:3], -v[160:161]
	v_fma_f64 v[168:169], v[40:41], v[2:3], v[4:5]
	ds_load_b128 v[2:5], v1 offset:736
	ds_load_b128 v[160:163], v1 offset:752
	scratch_load_b128 v[38:41], off, off offset:304
	v_fma_f64 v[44:45], v[44:45], v[6:7], v[164:165]
	v_fma_f64 v[42:43], v[42:43], v[6:7], -v[8:9]
	scratch_load_b128 v[6:9], off, off offset:320
	s_waitcnt vmcnt(10) lgkmcnt(1)
	v_mul_f64 v[170:171], v[2:3], v[12:13]
	v_mul_f64 v[12:13], v[4:5], v[12:13]
	v_add_f64 v[164:165], v[166:167], 0
	v_add_f64 v[166:167], v[168:169], 0
	s_waitcnt vmcnt(9) lgkmcnt(0)
	v_mul_f64 v[168:169], v[160:161], v[16:17]
	v_mul_f64 v[16:17], v[162:163], v[16:17]
	v_fma_f64 v[170:171], v[4:5], v[10:11], v[170:171]
	v_fma_f64 v[172:173], v[2:3], v[10:11], -v[12:13]
	ds_load_b128 v[2:5], v1 offset:768
	scratch_load_b128 v[10:13], off, off offset:336
	v_add_f64 v[164:165], v[164:165], v[42:43]
	v_add_f64 v[166:167], v[166:167], v[44:45]
	ds_load_b128 v[42:45], v1 offset:784
	v_fma_f64 v[162:163], v[162:163], v[14:15], v[168:169]
	v_fma_f64 v[160:161], v[160:161], v[14:15], -v[16:17]
	scratch_load_b128 v[14:17], off, off offset:352
	s_waitcnt vmcnt(10) lgkmcnt(1)
	v_mul_f64 v[174:175], v[2:3], v[20:21]
	v_mul_f64 v[20:21], v[4:5], v[20:21]
	s_waitcnt vmcnt(9) lgkmcnt(0)
	v_mul_f64 v[168:169], v[42:43], v[24:25]
	v_mul_f64 v[24:25], v[44:45], v[24:25]
	v_add_f64 v[164:165], v[164:165], v[172:173]
	v_add_f64 v[166:167], v[166:167], v[170:171]
	v_fma_f64 v[170:171], v[4:5], v[18:19], v[174:175]
	v_fma_f64 v[172:173], v[2:3], v[18:19], -v[20:21]
	ds_load_b128 v[2:5], v1 offset:800
	scratch_load_b128 v[18:21], off, off offset:368
	v_fma_f64 v[44:45], v[44:45], v[22:23], v[168:169]
	v_fma_f64 v[42:43], v[42:43], v[22:23], -v[24:25]
	scratch_load_b128 v[22:25], off, off offset:384
	v_add_f64 v[164:165], v[164:165], v[160:161]
	v_add_f64 v[166:167], v[166:167], v[162:163]
	ds_load_b128 v[160:163], v1 offset:816
	s_waitcnt vmcnt(10) lgkmcnt(1)
	v_mul_f64 v[174:175], v[2:3], v[28:29]
	v_mul_f64 v[28:29], v[4:5], v[28:29]
	s_waitcnt vmcnt(9) lgkmcnt(0)
	v_mul_f64 v[168:169], v[160:161], v[32:33]
	v_mul_f64 v[32:33], v[162:163], v[32:33]
	v_add_f64 v[164:165], v[164:165], v[172:173]
	v_add_f64 v[166:167], v[166:167], v[170:171]
	v_fma_f64 v[170:171], v[4:5], v[26:27], v[174:175]
	v_fma_f64 v[172:173], v[2:3], v[26:27], -v[28:29]
	ds_load_b128 v[2:5], v1 offset:832
	scratch_load_b128 v[26:29], off, off offset:400
	v_fma_f64 v[162:163], v[162:163], v[30:31], v[168:169]
	v_fma_f64 v[160:161], v[160:161], v[30:31], -v[32:33]
	scratch_load_b128 v[30:33], off, off offset:416
	v_add_f64 v[164:165], v[164:165], v[42:43]
	v_add_f64 v[166:167], v[166:167], v[44:45]
	ds_load_b128 v[42:45], v1 offset:848
	s_waitcnt vmcnt(10) lgkmcnt(1)
	v_mul_f64 v[174:175], v[2:3], v[36:37]
	v_mul_f64 v[36:37], v[4:5], v[36:37]
	s_waitcnt vmcnt(8) lgkmcnt(0)
	v_mul_f64 v[168:169], v[42:43], v[158:159]
	v_add_f64 v[164:165], v[164:165], v[172:173]
	v_add_f64 v[166:167], v[166:167], v[170:171]
	v_mul_f64 v[170:171], v[44:45], v[158:159]
	v_fma_f64 v[172:173], v[4:5], v[34:35], v[174:175]
	v_fma_f64 v[174:175], v[2:3], v[34:35], -v[36:37]
	ds_load_b128 v[2:5], v1 offset:864
	scratch_load_b128 v[34:37], off, off offset:432
	v_fma_f64 v[44:45], v[44:45], v[156:157], v[168:169]
	v_add_f64 v[164:165], v[164:165], v[160:161]
	v_add_f64 v[162:163], v[166:167], v[162:163]
	ds_load_b128 v[158:161], v1 offset:880
	v_fma_f64 v[156:157], v[42:43], v[156:157], -v[170:171]
	s_waitcnt vmcnt(8) lgkmcnt(1)
	v_mul_f64 v[166:167], v[2:3], v[40:41]
	v_mul_f64 v[176:177], v[4:5], v[40:41]
	scratch_load_b128 v[40:43], off, off offset:448
	s_waitcnt vmcnt(8) lgkmcnt(0)
	v_mul_f64 v[170:171], v[158:159], v[8:9]
	v_mul_f64 v[8:9], v[160:161], v[8:9]
	v_add_f64 v[164:165], v[164:165], v[174:175]
	v_add_f64 v[162:163], v[162:163], v[172:173]
	v_fma_f64 v[172:173], v[4:5], v[38:39], v[166:167]
	v_fma_f64 v[38:39], v[2:3], v[38:39], -v[176:177]
	ds_load_b128 v[2:5], v1 offset:896
	ds_load_b128 v[166:169], v1 offset:912
	v_fma_f64 v[160:161], v[160:161], v[6:7], v[170:171]
	v_fma_f64 v[158:159], v[158:159], v[6:7], -v[8:9]
	scratch_load_b128 v[6:9], off, off offset:480
	v_add_f64 v[156:157], v[164:165], v[156:157]
	v_add_f64 v[44:45], v[162:163], v[44:45]
	scratch_load_b128 v[162:165], off, off offset:464
	s_waitcnt vmcnt(9) lgkmcnt(1)
	v_mul_f64 v[174:175], v[2:3], v[12:13]
	v_mul_f64 v[12:13], v[4:5], v[12:13]
	s_waitcnt vmcnt(8) lgkmcnt(0)
	v_mul_f64 v[170:171], v[166:167], v[16:17]
	v_mul_f64 v[16:17], v[168:169], v[16:17]
	v_add_f64 v[38:39], v[156:157], v[38:39]
	v_add_f64 v[44:45], v[44:45], v[172:173]
	v_fma_f64 v[172:173], v[4:5], v[10:11], v[174:175]
	v_fma_f64 v[174:175], v[2:3], v[10:11], -v[12:13]
	ds_load_b128 v[2:5], v1 offset:928
	scratch_load_b128 v[10:13], off, off offset:496
	v_fma_f64 v[168:169], v[168:169], v[14:15], v[170:171]
	v_fma_f64 v[166:167], v[166:167], v[14:15], -v[16:17]
	scratch_load_b128 v[14:17], off, off offset:512
	v_add_f64 v[38:39], v[38:39], v[158:159]
	v_add_f64 v[44:45], v[44:45], v[160:161]
	ds_load_b128 v[156:159], v1 offset:944
	s_waitcnt vmcnt(9) lgkmcnt(1)
	v_mul_f64 v[160:161], v[2:3], v[20:21]
	v_mul_f64 v[20:21], v[4:5], v[20:21]
	s_waitcnt vmcnt(8) lgkmcnt(0)
	v_mul_f64 v[170:171], v[156:157], v[24:25]
	v_mul_f64 v[24:25], v[158:159], v[24:25]
	v_add_f64 v[38:39], v[38:39], v[174:175]
	v_add_f64 v[44:45], v[44:45], v[172:173]
	v_fma_f64 v[160:161], v[4:5], v[18:19], v[160:161]
	v_fma_f64 v[172:173], v[2:3], v[18:19], -v[20:21]
	ds_load_b128 v[2:5], v1 offset:960
	scratch_load_b128 v[18:21], off, off offset:528
	v_fma_f64 v[158:159], v[158:159], v[22:23], v[170:171]
	v_fma_f64 v[156:157], v[156:157], v[22:23], -v[24:25]
	scratch_load_b128 v[22:25], off, off offset:544
	v_add_f64 v[38:39], v[38:39], v[166:167]
	v_add_f64 v[44:45], v[44:45], v[168:169]
	ds_load_b128 v[166:169], v1 offset:976
	s_waitcnt vmcnt(9) lgkmcnt(1)
	v_mul_f64 v[174:175], v[2:3], v[28:29]
	v_mul_f64 v[28:29], v[4:5], v[28:29]
	v_add_f64 v[38:39], v[38:39], v[172:173]
	v_add_f64 v[44:45], v[44:45], v[160:161]
	s_waitcnt vmcnt(8) lgkmcnt(0)
	v_mul_f64 v[160:161], v[166:167], v[32:33]
	v_mul_f64 v[32:33], v[168:169], v[32:33]
	v_fma_f64 v[170:171], v[4:5], v[26:27], v[174:175]
	v_fma_f64 v[172:173], v[2:3], v[26:27], -v[28:29]
	ds_load_b128 v[2:5], v1 offset:992
	ds_load_b128 v[26:29], v1 offset:1008
	v_add_f64 v[38:39], v[38:39], v[156:157]
	v_add_f64 v[44:45], v[44:45], v[158:159]
	s_waitcnt vmcnt(7) lgkmcnt(1)
	v_mul_f64 v[156:157], v[2:3], v[36:37]
	v_mul_f64 v[36:37], v[4:5], v[36:37]
	v_fma_f64 v[158:159], v[168:169], v[30:31], v[160:161]
	v_fma_f64 v[30:31], v[166:167], v[30:31], -v[32:33]
	v_add_f64 v[32:33], v[38:39], v[172:173]
	v_add_f64 v[38:39], v[44:45], v[170:171]
	s_waitcnt vmcnt(6) lgkmcnt(0)
	v_mul_f64 v[44:45], v[26:27], v[42:43]
	v_mul_f64 v[42:43], v[28:29], v[42:43]
	v_fma_f64 v[156:157], v[4:5], v[34:35], v[156:157]
	v_fma_f64 v[34:35], v[2:3], v[34:35], -v[36:37]
	v_add_f64 v[36:37], v[32:33], v[30:31]
	v_add_f64 v[38:39], v[38:39], v[158:159]
	ds_load_b128 v[2:5], v1 offset:1024
	ds_load_b128 v[30:33], v1 offset:1040
	v_fma_f64 v[28:29], v[28:29], v[40:41], v[44:45]
	v_fma_f64 v[26:27], v[26:27], v[40:41], -v[42:43]
	s_waitcnt vmcnt(4) lgkmcnt(1)
	v_mul_f64 v[158:159], v[2:3], v[164:165]
	v_mul_f64 v[160:161], v[4:5], v[164:165]
	v_add_f64 v[34:35], v[36:37], v[34:35]
	v_add_f64 v[36:37], v[38:39], v[156:157]
	s_waitcnt lgkmcnt(0)
	v_mul_f64 v[38:39], v[30:31], v[8:9]
	v_mul_f64 v[8:9], v[32:33], v[8:9]
	v_fma_f64 v[40:41], v[4:5], v[162:163], v[158:159]
	v_fma_f64 v[42:43], v[2:3], v[162:163], -v[160:161]
	v_add_f64 v[34:35], v[34:35], v[26:27]
	v_add_f64 v[36:37], v[36:37], v[28:29]
	ds_load_b128 v[2:5], v1 offset:1056
	ds_load_b128 v[26:29], v1 offset:1072
	v_fma_f64 v[32:33], v[32:33], v[6:7], v[38:39]
	v_fma_f64 v[6:7], v[30:31], v[6:7], -v[8:9]
	s_waitcnt vmcnt(3) lgkmcnt(1)
	v_mul_f64 v[44:45], v[2:3], v[12:13]
	v_mul_f64 v[12:13], v[4:5], v[12:13]
	v_add_f64 v[8:9], v[34:35], v[42:43]
	v_add_f64 v[30:31], v[36:37], v[40:41]
	s_waitcnt vmcnt(2) lgkmcnt(0)
	v_mul_f64 v[34:35], v[26:27], v[16:17]
	v_mul_f64 v[16:17], v[28:29], v[16:17]
	v_fma_f64 v[36:37], v[4:5], v[10:11], v[44:45]
	v_fma_f64 v[10:11], v[2:3], v[10:11], -v[12:13]
	v_add_f64 v[12:13], v[8:9], v[6:7]
	v_add_f64 v[30:31], v[30:31], v[32:33]
	ds_load_b128 v[2:5], v1 offset:1088
	ds_load_b128 v[6:9], v1 offset:1104
	v_fma_f64 v[28:29], v[28:29], v[14:15], v[34:35]
	v_fma_f64 v[14:15], v[26:27], v[14:15], -v[16:17]
	s_waitcnt vmcnt(1) lgkmcnt(1)
	v_mul_f64 v[32:33], v[2:3], v[20:21]
	v_mul_f64 v[20:21], v[4:5], v[20:21]
	s_waitcnt vmcnt(0) lgkmcnt(0)
	v_mul_f64 v[16:17], v[6:7], v[24:25]
	v_mul_f64 v[24:25], v[8:9], v[24:25]
	v_add_f64 v[10:11], v[12:13], v[10:11]
	v_add_f64 v[12:13], v[30:31], v[36:37]
	v_fma_f64 v[4:5], v[4:5], v[18:19], v[32:33]
	v_fma_f64 v[1:2], v[2:3], v[18:19], -v[20:21]
	v_fma_f64 v[8:9], v[8:9], v[22:23], v[16:17]
	v_fma_f64 v[6:7], v[6:7], v[22:23], -v[24:25]
	v_add_f64 v[10:11], v[10:11], v[14:15]
	v_add_f64 v[12:13], v[12:13], v[28:29]
	s_delay_alu instid0(VALU_DEP_2) | instskip(NEXT) | instid1(VALU_DEP_2)
	v_add_f64 v[1:2], v[10:11], v[1:2]
	v_add_f64 v[3:4], v[12:13], v[4:5]
	s_delay_alu instid0(VALU_DEP_2) | instskip(NEXT) | instid1(VALU_DEP_2)
	;; [unrolled: 3-line block ×3, first 2 shown]
	v_add_f64 v[1:2], v[152:153], -v[1:2]
	v_add_f64 v[3:4], v[154:155], -v[3:4]
	scratch_store_b128 off, v[1:4], off offset:128
	v_cmpx_lt_u32_e32 7, v116
	s_cbranch_execz .LBB34_209
; %bb.208:
	scratch_load_b128 v[1:4], v139, off
	v_mov_b32_e32 v5, 0
	s_delay_alu instid0(VALU_DEP_1)
	v_mov_b32_e32 v6, v5
	v_mov_b32_e32 v7, v5
	;; [unrolled: 1-line block ×3, first 2 shown]
	scratch_store_b128 off, v[5:8], off offset:112
	s_waitcnt vmcnt(0)
	ds_store_b128 v151, v[1:4]
.LBB34_209:
	s_or_b32 exec_lo, exec_lo, s2
	s_waitcnt lgkmcnt(0)
	s_waitcnt_vscnt null, 0x0
	s_barrier
	buffer_gl0_inv
	s_clause 0x7
	scratch_load_b128 v[2:5], off, off offset:128
	scratch_load_b128 v[6:9], off, off offset:144
	;; [unrolled: 1-line block ×8, first 2 shown]
	v_mov_b32_e32 v1, 0
	s_mov_b32 s2, exec_lo
	ds_load_b128 v[38:41], v1 offset:688
	s_clause 0x1
	scratch_load_b128 v[34:37], off, off offset:256
	scratch_load_b128 v[42:45], off, off offset:112
	ds_load_b128 v[152:155], v1 offset:704
	scratch_load_b128 v[156:159], off, off offset:272
	s_waitcnt vmcnt(10) lgkmcnt(1)
	v_mul_f64 v[160:161], v[40:41], v[4:5]
	v_mul_f64 v[4:5], v[38:39], v[4:5]
	s_delay_alu instid0(VALU_DEP_2) | instskip(NEXT) | instid1(VALU_DEP_2)
	v_fma_f64 v[166:167], v[38:39], v[2:3], -v[160:161]
	v_fma_f64 v[168:169], v[40:41], v[2:3], v[4:5]
	scratch_load_b128 v[38:41], off, off offset:288
	ds_load_b128 v[2:5], v1 offset:720
	s_waitcnt vmcnt(10) lgkmcnt(1)
	v_mul_f64 v[164:165], v[152:153], v[8:9]
	v_mul_f64 v[8:9], v[154:155], v[8:9]
	ds_load_b128 v[160:163], v1 offset:736
	s_waitcnt vmcnt(9) lgkmcnt(1)
	v_mul_f64 v[170:171], v[2:3], v[12:13]
	v_mul_f64 v[12:13], v[4:5], v[12:13]
	v_fma_f64 v[154:155], v[154:155], v[6:7], v[164:165]
	v_fma_f64 v[152:153], v[152:153], v[6:7], -v[8:9]
	v_add_f64 v[164:165], v[166:167], 0
	v_add_f64 v[166:167], v[168:169], 0
	scratch_load_b128 v[6:9], off, off offset:304
	v_fma_f64 v[170:171], v[4:5], v[10:11], v[170:171]
	v_fma_f64 v[172:173], v[2:3], v[10:11], -v[12:13]
	scratch_load_b128 v[10:13], off, off offset:320
	ds_load_b128 v[2:5], v1 offset:752
	s_waitcnt vmcnt(10) lgkmcnt(1)
	v_mul_f64 v[168:169], v[160:161], v[16:17]
	v_mul_f64 v[16:17], v[162:163], v[16:17]
	v_add_f64 v[164:165], v[164:165], v[152:153]
	v_add_f64 v[166:167], v[166:167], v[154:155]
	s_waitcnt vmcnt(9) lgkmcnt(0)
	v_mul_f64 v[174:175], v[2:3], v[20:21]
	v_mul_f64 v[20:21], v[4:5], v[20:21]
	ds_load_b128 v[152:155], v1 offset:768
	v_fma_f64 v[162:163], v[162:163], v[14:15], v[168:169]
	v_fma_f64 v[160:161], v[160:161], v[14:15], -v[16:17]
	scratch_load_b128 v[14:17], off, off offset:336
	v_add_f64 v[164:165], v[164:165], v[172:173]
	v_add_f64 v[166:167], v[166:167], v[170:171]
	v_fma_f64 v[170:171], v[4:5], v[18:19], v[174:175]
	v_fma_f64 v[172:173], v[2:3], v[18:19], -v[20:21]
	scratch_load_b128 v[18:21], off, off offset:352
	ds_load_b128 v[2:5], v1 offset:784
	s_waitcnt vmcnt(10) lgkmcnt(1)
	v_mul_f64 v[168:169], v[152:153], v[24:25]
	v_mul_f64 v[24:25], v[154:155], v[24:25]
	s_waitcnt vmcnt(9) lgkmcnt(0)
	v_mul_f64 v[174:175], v[2:3], v[28:29]
	v_mul_f64 v[28:29], v[4:5], v[28:29]
	v_add_f64 v[164:165], v[164:165], v[160:161]
	v_add_f64 v[166:167], v[166:167], v[162:163]
	ds_load_b128 v[160:163], v1 offset:800
	v_fma_f64 v[154:155], v[154:155], v[22:23], v[168:169]
	v_fma_f64 v[152:153], v[152:153], v[22:23], -v[24:25]
	scratch_load_b128 v[22:25], off, off offset:368
	v_add_f64 v[164:165], v[164:165], v[172:173]
	v_add_f64 v[166:167], v[166:167], v[170:171]
	v_fma_f64 v[170:171], v[4:5], v[26:27], v[174:175]
	v_fma_f64 v[172:173], v[2:3], v[26:27], -v[28:29]
	scratch_load_b128 v[26:29], off, off offset:384
	ds_load_b128 v[2:5], v1 offset:816
	s_waitcnt vmcnt(10) lgkmcnt(1)
	v_mul_f64 v[168:169], v[160:161], v[32:33]
	v_mul_f64 v[32:33], v[162:163], v[32:33]
	s_waitcnt vmcnt(9) lgkmcnt(0)
	v_mul_f64 v[174:175], v[2:3], v[36:37]
	v_mul_f64 v[36:37], v[4:5], v[36:37]
	v_add_f64 v[164:165], v[164:165], v[152:153]
	v_add_f64 v[166:167], v[166:167], v[154:155]
	ds_load_b128 v[152:155], v1 offset:832
	v_fma_f64 v[162:163], v[162:163], v[30:31], v[168:169]
	v_fma_f64 v[160:161], v[160:161], v[30:31], -v[32:33]
	scratch_load_b128 v[30:33], off, off offset:400
	v_add_f64 v[164:165], v[164:165], v[172:173]
	v_add_f64 v[166:167], v[166:167], v[170:171]
	v_fma_f64 v[172:173], v[4:5], v[34:35], v[174:175]
	v_fma_f64 v[174:175], v[2:3], v[34:35], -v[36:37]
	scratch_load_b128 v[34:37], off, off offset:416
	ds_load_b128 v[2:5], v1 offset:848
	s_waitcnt vmcnt(9) lgkmcnt(1)
	v_mul_f64 v[168:169], v[152:153], v[158:159]
	v_mul_f64 v[170:171], v[154:155], v[158:159]
	v_add_f64 v[164:165], v[164:165], v[160:161]
	v_add_f64 v[162:163], v[166:167], v[162:163]
	ds_load_b128 v[158:161], v1 offset:864
	v_fma_f64 v[168:169], v[154:155], v[156:157], v[168:169]
	v_fma_f64 v[156:157], v[152:153], v[156:157], -v[170:171]
	scratch_load_b128 v[152:155], off, off offset:432
	s_waitcnt vmcnt(9) lgkmcnt(1)
	v_mul_f64 v[166:167], v[2:3], v[40:41]
	v_mul_f64 v[40:41], v[4:5], v[40:41]
	v_add_f64 v[164:165], v[164:165], v[174:175]
	v_add_f64 v[162:163], v[162:163], v[172:173]
	s_delay_alu instid0(VALU_DEP_4) | instskip(NEXT) | instid1(VALU_DEP_4)
	v_fma_f64 v[166:167], v[4:5], v[38:39], v[166:167]
	v_fma_f64 v[172:173], v[2:3], v[38:39], -v[40:41]
	scratch_load_b128 v[38:41], off, off offset:448
	ds_load_b128 v[2:5], v1 offset:880
	s_waitcnt vmcnt(9) lgkmcnt(1)
	v_mul_f64 v[170:171], v[158:159], v[8:9]
	v_mul_f64 v[8:9], v[160:161], v[8:9]
	s_waitcnt vmcnt(8) lgkmcnt(0)
	v_mul_f64 v[174:175], v[2:3], v[12:13]
	v_mul_f64 v[12:13], v[4:5], v[12:13]
	v_add_f64 v[156:157], v[164:165], v[156:157]
	v_add_f64 v[168:169], v[162:163], v[168:169]
	ds_load_b128 v[162:165], v1 offset:896
	v_fma_f64 v[160:161], v[160:161], v[6:7], v[170:171]
	v_fma_f64 v[158:159], v[158:159], v[6:7], -v[8:9]
	scratch_load_b128 v[6:9], off, off offset:464
	v_fma_f64 v[170:171], v[4:5], v[10:11], v[174:175]
	v_add_f64 v[156:157], v[156:157], v[172:173]
	v_add_f64 v[166:167], v[168:169], v[166:167]
	v_fma_f64 v[172:173], v[2:3], v[10:11], -v[12:13]
	scratch_load_b128 v[10:13], off, off offset:480
	ds_load_b128 v[2:5], v1 offset:912
	s_waitcnt vmcnt(9) lgkmcnt(1)
	v_mul_f64 v[168:169], v[162:163], v[16:17]
	v_mul_f64 v[16:17], v[164:165], v[16:17]
	v_add_f64 v[174:175], v[156:157], v[158:159]
	v_add_f64 v[160:161], v[166:167], v[160:161]
	s_waitcnt vmcnt(8) lgkmcnt(0)
	v_mul_f64 v[166:167], v[2:3], v[20:21]
	v_mul_f64 v[20:21], v[4:5], v[20:21]
	ds_load_b128 v[156:159], v1 offset:928
	v_fma_f64 v[164:165], v[164:165], v[14:15], v[168:169]
	v_fma_f64 v[162:163], v[162:163], v[14:15], -v[16:17]
	scratch_load_b128 v[14:17], off, off offset:496
	v_add_f64 v[168:169], v[174:175], v[172:173]
	v_add_f64 v[160:161], v[160:161], v[170:171]
	v_fma_f64 v[166:167], v[4:5], v[18:19], v[166:167]
	v_fma_f64 v[172:173], v[2:3], v[18:19], -v[20:21]
	scratch_load_b128 v[18:21], off, off offset:512
	ds_load_b128 v[2:5], v1 offset:944
	s_waitcnt vmcnt(9) lgkmcnt(1)
	v_mul_f64 v[170:171], v[156:157], v[24:25]
	v_mul_f64 v[24:25], v[158:159], v[24:25]
	s_waitcnt vmcnt(8) lgkmcnt(0)
	v_mul_f64 v[174:175], v[2:3], v[28:29]
	v_mul_f64 v[28:29], v[4:5], v[28:29]
	v_add_f64 v[168:169], v[168:169], v[162:163]
	v_add_f64 v[164:165], v[160:161], v[164:165]
	ds_load_b128 v[160:163], v1 offset:960
	v_fma_f64 v[158:159], v[158:159], v[22:23], v[170:171]
	v_fma_f64 v[156:157], v[156:157], v[22:23], -v[24:25]
	scratch_load_b128 v[22:25], off, off offset:528
	v_fma_f64 v[170:171], v[4:5], v[26:27], v[174:175]
	v_add_f64 v[168:169], v[168:169], v[172:173]
	v_add_f64 v[164:165], v[164:165], v[166:167]
	v_fma_f64 v[172:173], v[2:3], v[26:27], -v[28:29]
	scratch_load_b128 v[26:29], off, off offset:544
	ds_load_b128 v[2:5], v1 offset:976
	s_waitcnt vmcnt(9) lgkmcnt(1)
	v_mul_f64 v[166:167], v[160:161], v[32:33]
	v_mul_f64 v[32:33], v[162:163], v[32:33]
	s_waitcnt vmcnt(8) lgkmcnt(0)
	v_mul_f64 v[174:175], v[2:3], v[36:37]
	v_mul_f64 v[36:37], v[4:5], v[36:37]
	v_add_f64 v[168:169], v[168:169], v[156:157]
	v_add_f64 v[164:165], v[164:165], v[158:159]
	ds_load_b128 v[156:159], v1 offset:992
	v_fma_f64 v[162:163], v[162:163], v[30:31], v[166:167]
	v_fma_f64 v[30:31], v[160:161], v[30:31], -v[32:33]
	v_fma_f64 v[166:167], v[4:5], v[34:35], v[174:175]
	v_fma_f64 v[34:35], v[2:3], v[34:35], -v[36:37]
	v_add_f64 v[32:33], v[168:169], v[172:173]
	v_add_f64 v[160:161], v[164:165], v[170:171]
	s_waitcnt vmcnt(7) lgkmcnt(0)
	v_mul_f64 v[164:165], v[156:157], v[154:155]
	v_mul_f64 v[154:155], v[158:159], v[154:155]
	s_delay_alu instid0(VALU_DEP_4) | instskip(NEXT) | instid1(VALU_DEP_4)
	v_add_f64 v[36:37], v[32:33], v[30:31]
	v_add_f64 v[160:161], v[160:161], v[162:163]
	ds_load_b128 v[2:5], v1 offset:1008
	ds_load_b128 v[30:33], v1 offset:1024
	v_fma_f64 v[158:159], v[158:159], v[152:153], v[164:165]
	v_fma_f64 v[152:153], v[156:157], v[152:153], -v[154:155]
	s_waitcnt vmcnt(6) lgkmcnt(1)
	v_mul_f64 v[162:163], v[2:3], v[40:41]
	v_mul_f64 v[40:41], v[4:5], v[40:41]
	s_waitcnt vmcnt(5) lgkmcnt(0)
	v_mul_f64 v[154:155], v[30:31], v[8:9]
	v_mul_f64 v[8:9], v[32:33], v[8:9]
	v_add_f64 v[34:35], v[36:37], v[34:35]
	v_add_f64 v[36:37], v[160:161], v[166:167]
	v_fma_f64 v[156:157], v[4:5], v[38:39], v[162:163]
	v_fma_f64 v[38:39], v[2:3], v[38:39], -v[40:41]
	v_fma_f64 v[32:33], v[32:33], v[6:7], v[154:155]
	v_fma_f64 v[6:7], v[30:31], v[6:7], -v[8:9]
	v_add_f64 v[40:41], v[34:35], v[152:153]
	v_add_f64 v[152:153], v[36:37], v[158:159]
	ds_load_b128 v[2:5], v1 offset:1040
	ds_load_b128 v[34:37], v1 offset:1056
	s_waitcnt vmcnt(4) lgkmcnt(1)
	v_mul_f64 v[158:159], v[2:3], v[12:13]
	v_mul_f64 v[12:13], v[4:5], v[12:13]
	v_add_f64 v[8:9], v[40:41], v[38:39]
	v_add_f64 v[30:31], v[152:153], v[156:157]
	s_waitcnt vmcnt(3) lgkmcnt(0)
	v_mul_f64 v[38:39], v[34:35], v[16:17]
	v_mul_f64 v[16:17], v[36:37], v[16:17]
	v_fma_f64 v[40:41], v[4:5], v[10:11], v[158:159]
	v_fma_f64 v[10:11], v[2:3], v[10:11], -v[12:13]
	v_add_f64 v[12:13], v[8:9], v[6:7]
	v_add_f64 v[30:31], v[30:31], v[32:33]
	ds_load_b128 v[2:5], v1 offset:1072
	ds_load_b128 v[6:9], v1 offset:1088
	v_fma_f64 v[36:37], v[36:37], v[14:15], v[38:39]
	v_fma_f64 v[14:15], v[34:35], v[14:15], -v[16:17]
	s_waitcnt vmcnt(2) lgkmcnt(1)
	v_mul_f64 v[32:33], v[2:3], v[20:21]
	v_mul_f64 v[20:21], v[4:5], v[20:21]
	s_waitcnt vmcnt(1) lgkmcnt(0)
	v_mul_f64 v[16:17], v[6:7], v[24:25]
	v_mul_f64 v[24:25], v[8:9], v[24:25]
	v_add_f64 v[10:11], v[12:13], v[10:11]
	v_add_f64 v[12:13], v[30:31], v[40:41]
	v_fma_f64 v[30:31], v[4:5], v[18:19], v[32:33]
	v_fma_f64 v[18:19], v[2:3], v[18:19], -v[20:21]
	ds_load_b128 v[2:5], v1 offset:1104
	v_fma_f64 v[8:9], v[8:9], v[22:23], v[16:17]
	v_fma_f64 v[6:7], v[6:7], v[22:23], -v[24:25]
	v_add_f64 v[10:11], v[10:11], v[14:15]
	v_add_f64 v[12:13], v[12:13], v[36:37]
	s_waitcnt vmcnt(0) lgkmcnt(0)
	v_mul_f64 v[14:15], v[2:3], v[28:29]
	v_mul_f64 v[20:21], v[4:5], v[28:29]
	s_delay_alu instid0(VALU_DEP_4) | instskip(NEXT) | instid1(VALU_DEP_4)
	v_add_f64 v[10:11], v[10:11], v[18:19]
	v_add_f64 v[12:13], v[12:13], v[30:31]
	s_delay_alu instid0(VALU_DEP_4) | instskip(NEXT) | instid1(VALU_DEP_4)
	v_fma_f64 v[4:5], v[4:5], v[26:27], v[14:15]
	v_fma_f64 v[2:3], v[2:3], v[26:27], -v[20:21]
	s_delay_alu instid0(VALU_DEP_4) | instskip(NEXT) | instid1(VALU_DEP_4)
	v_add_f64 v[6:7], v[10:11], v[6:7]
	v_add_f64 v[8:9], v[12:13], v[8:9]
	s_delay_alu instid0(VALU_DEP_2) | instskip(NEXT) | instid1(VALU_DEP_2)
	v_add_f64 v[2:3], v[6:7], v[2:3]
	v_add_f64 v[4:5], v[8:9], v[4:5]
	s_delay_alu instid0(VALU_DEP_2) | instskip(NEXT) | instid1(VALU_DEP_2)
	v_add_f64 v[2:3], v[42:43], -v[2:3]
	v_add_f64 v[4:5], v[44:45], -v[4:5]
	scratch_store_b128 off, v[2:5], off offset:112
	v_cmpx_lt_u32_e32 6, v116
	s_cbranch_execz .LBB34_211
; %bb.210:
	scratch_load_b128 v[5:8], v141, off
	v_mov_b32_e32 v2, v1
	v_mov_b32_e32 v3, v1
	;; [unrolled: 1-line block ×3, first 2 shown]
	scratch_store_b128 off, v[1:4], off offset:96
	s_waitcnt vmcnt(0)
	ds_store_b128 v151, v[5:8]
.LBB34_211:
	s_or_b32 exec_lo, exec_lo, s2
	s_waitcnt lgkmcnt(0)
	s_waitcnt_vscnt null, 0x0
	s_barrier
	buffer_gl0_inv
	s_clause 0x8
	scratch_load_b128 v[2:5], off, off offset:112
	scratch_load_b128 v[6:9], off, off offset:128
	;; [unrolled: 1-line block ×9, first 2 shown]
	ds_load_b128 v[42:45], v1 offset:672
	ds_load_b128 v[38:41], v1 offset:688
	s_clause 0x1
	scratch_load_b128 v[152:155], off, off offset:96
	scratch_load_b128 v[156:159], off, off offset:256
	s_mov_b32 s2, exec_lo
	s_waitcnt vmcnt(10) lgkmcnt(1)
	v_mul_f64 v[160:161], v[44:45], v[4:5]
	v_mul_f64 v[4:5], v[42:43], v[4:5]
	s_waitcnt vmcnt(9) lgkmcnt(0)
	v_mul_f64 v[164:165], v[38:39], v[8:9]
	v_mul_f64 v[8:9], v[40:41], v[8:9]
	s_delay_alu instid0(VALU_DEP_4) | instskip(NEXT) | instid1(VALU_DEP_4)
	v_fma_f64 v[166:167], v[42:43], v[2:3], -v[160:161]
	v_fma_f64 v[168:169], v[44:45], v[2:3], v[4:5]
	ds_load_b128 v[2:5], v1 offset:704
	ds_load_b128 v[160:163], v1 offset:720
	scratch_load_b128 v[42:45], off, off offset:272
	v_fma_f64 v[40:41], v[40:41], v[6:7], v[164:165]
	v_fma_f64 v[38:39], v[38:39], v[6:7], -v[8:9]
	scratch_load_b128 v[6:9], off, off offset:288
	s_waitcnt vmcnt(10) lgkmcnt(1)
	v_mul_f64 v[170:171], v[2:3], v[12:13]
	v_mul_f64 v[12:13], v[4:5], v[12:13]
	v_add_f64 v[164:165], v[166:167], 0
	v_add_f64 v[166:167], v[168:169], 0
	s_waitcnt vmcnt(9) lgkmcnt(0)
	v_mul_f64 v[168:169], v[160:161], v[16:17]
	v_mul_f64 v[16:17], v[162:163], v[16:17]
	v_fma_f64 v[170:171], v[4:5], v[10:11], v[170:171]
	v_fma_f64 v[172:173], v[2:3], v[10:11], -v[12:13]
	ds_load_b128 v[2:5], v1 offset:736
	scratch_load_b128 v[10:13], off, off offset:304
	v_add_f64 v[164:165], v[164:165], v[38:39]
	v_add_f64 v[166:167], v[166:167], v[40:41]
	ds_load_b128 v[38:41], v1 offset:752
	v_fma_f64 v[162:163], v[162:163], v[14:15], v[168:169]
	v_fma_f64 v[160:161], v[160:161], v[14:15], -v[16:17]
	scratch_load_b128 v[14:17], off, off offset:320
	s_waitcnt vmcnt(10) lgkmcnt(1)
	v_mul_f64 v[174:175], v[2:3], v[20:21]
	v_mul_f64 v[20:21], v[4:5], v[20:21]
	s_waitcnt vmcnt(9) lgkmcnt(0)
	v_mul_f64 v[168:169], v[38:39], v[24:25]
	v_mul_f64 v[24:25], v[40:41], v[24:25]
	v_add_f64 v[164:165], v[164:165], v[172:173]
	v_add_f64 v[166:167], v[166:167], v[170:171]
	v_fma_f64 v[170:171], v[4:5], v[18:19], v[174:175]
	v_fma_f64 v[172:173], v[2:3], v[18:19], -v[20:21]
	ds_load_b128 v[2:5], v1 offset:768
	scratch_load_b128 v[18:21], off, off offset:336
	v_fma_f64 v[40:41], v[40:41], v[22:23], v[168:169]
	v_fma_f64 v[38:39], v[38:39], v[22:23], -v[24:25]
	scratch_load_b128 v[22:25], off, off offset:352
	v_add_f64 v[164:165], v[164:165], v[160:161]
	v_add_f64 v[166:167], v[166:167], v[162:163]
	ds_load_b128 v[160:163], v1 offset:784
	s_waitcnt vmcnt(10) lgkmcnt(1)
	v_mul_f64 v[174:175], v[2:3], v[28:29]
	v_mul_f64 v[28:29], v[4:5], v[28:29]
	s_waitcnt vmcnt(9) lgkmcnt(0)
	v_mul_f64 v[168:169], v[160:161], v[32:33]
	v_mul_f64 v[32:33], v[162:163], v[32:33]
	v_add_f64 v[164:165], v[164:165], v[172:173]
	v_add_f64 v[166:167], v[166:167], v[170:171]
	v_fma_f64 v[170:171], v[4:5], v[26:27], v[174:175]
	v_fma_f64 v[172:173], v[2:3], v[26:27], -v[28:29]
	ds_load_b128 v[2:5], v1 offset:800
	scratch_load_b128 v[26:29], off, off offset:368
	v_fma_f64 v[162:163], v[162:163], v[30:31], v[168:169]
	v_fma_f64 v[160:161], v[160:161], v[30:31], -v[32:33]
	scratch_load_b128 v[30:33], off, off offset:384
	v_add_f64 v[164:165], v[164:165], v[38:39]
	v_add_f64 v[166:167], v[166:167], v[40:41]
	ds_load_b128 v[38:41], v1 offset:816
	s_waitcnt vmcnt(10) lgkmcnt(1)
	v_mul_f64 v[174:175], v[2:3], v[36:37]
	v_mul_f64 v[36:37], v[4:5], v[36:37]
	s_waitcnt vmcnt(8) lgkmcnt(0)
	v_mul_f64 v[168:169], v[38:39], v[158:159]
	v_add_f64 v[164:165], v[164:165], v[172:173]
	v_add_f64 v[166:167], v[166:167], v[170:171]
	v_mul_f64 v[170:171], v[40:41], v[158:159]
	v_fma_f64 v[172:173], v[4:5], v[34:35], v[174:175]
	v_fma_f64 v[174:175], v[2:3], v[34:35], -v[36:37]
	ds_load_b128 v[2:5], v1 offset:832
	scratch_load_b128 v[34:37], off, off offset:400
	v_fma_f64 v[168:169], v[40:41], v[156:157], v[168:169]
	v_add_f64 v[164:165], v[164:165], v[160:161]
	v_add_f64 v[162:163], v[166:167], v[162:163]
	ds_load_b128 v[158:161], v1 offset:848
	v_fma_f64 v[156:157], v[38:39], v[156:157], -v[170:171]
	scratch_load_b128 v[38:41], off, off offset:416
	s_waitcnt vmcnt(9) lgkmcnt(1)
	v_mul_f64 v[166:167], v[2:3], v[44:45]
	v_mul_f64 v[44:45], v[4:5], v[44:45]
	s_waitcnt vmcnt(8) lgkmcnt(0)
	v_mul_f64 v[170:171], v[158:159], v[8:9]
	v_mul_f64 v[8:9], v[160:161], v[8:9]
	v_add_f64 v[164:165], v[164:165], v[174:175]
	v_add_f64 v[162:163], v[162:163], v[172:173]
	v_fma_f64 v[166:167], v[4:5], v[42:43], v[166:167]
	v_fma_f64 v[172:173], v[2:3], v[42:43], -v[44:45]
	ds_load_b128 v[2:5], v1 offset:864
	scratch_load_b128 v[42:45], off, off offset:432
	v_fma_f64 v[160:161], v[160:161], v[6:7], v[170:171]
	v_fma_f64 v[158:159], v[158:159], v[6:7], -v[8:9]
	scratch_load_b128 v[6:9], off, off offset:448
	v_add_f64 v[156:157], v[164:165], v[156:157]
	v_add_f64 v[168:169], v[162:163], v[168:169]
	ds_load_b128 v[162:165], v1 offset:880
	s_waitcnt vmcnt(9) lgkmcnt(1)
	v_mul_f64 v[174:175], v[2:3], v[12:13]
	v_mul_f64 v[12:13], v[4:5], v[12:13]
	v_add_f64 v[156:157], v[156:157], v[172:173]
	v_add_f64 v[166:167], v[168:169], v[166:167]
	s_waitcnt vmcnt(8) lgkmcnt(0)
	v_mul_f64 v[168:169], v[162:163], v[16:17]
	v_mul_f64 v[16:17], v[164:165], v[16:17]
	v_fma_f64 v[170:171], v[4:5], v[10:11], v[174:175]
	v_fma_f64 v[172:173], v[2:3], v[10:11], -v[12:13]
	ds_load_b128 v[2:5], v1 offset:896
	scratch_load_b128 v[10:13], off, off offset:464
	v_add_f64 v[174:175], v[156:157], v[158:159]
	v_add_f64 v[160:161], v[166:167], v[160:161]
	ds_load_b128 v[156:159], v1 offset:912
	s_waitcnt vmcnt(8) lgkmcnt(1)
	v_mul_f64 v[166:167], v[2:3], v[20:21]
	v_mul_f64 v[20:21], v[4:5], v[20:21]
	v_fma_f64 v[164:165], v[164:165], v[14:15], v[168:169]
	v_fma_f64 v[162:163], v[162:163], v[14:15], -v[16:17]
	scratch_load_b128 v[14:17], off, off offset:480
	v_add_f64 v[168:169], v[174:175], v[172:173]
	v_add_f64 v[160:161], v[160:161], v[170:171]
	s_waitcnt vmcnt(8) lgkmcnt(0)
	v_mul_f64 v[170:171], v[156:157], v[24:25]
	v_mul_f64 v[24:25], v[158:159], v[24:25]
	v_fma_f64 v[166:167], v[4:5], v[18:19], v[166:167]
	v_fma_f64 v[172:173], v[2:3], v[18:19], -v[20:21]
	ds_load_b128 v[2:5], v1 offset:928
	scratch_load_b128 v[18:21], off, off offset:496
	v_add_f64 v[168:169], v[168:169], v[162:163]
	v_add_f64 v[164:165], v[160:161], v[164:165]
	ds_load_b128 v[160:163], v1 offset:944
	s_waitcnt vmcnt(8) lgkmcnt(1)
	v_mul_f64 v[174:175], v[2:3], v[28:29]
	v_mul_f64 v[28:29], v[4:5], v[28:29]
	v_fma_f64 v[158:159], v[158:159], v[22:23], v[170:171]
	v_fma_f64 v[156:157], v[156:157], v[22:23], -v[24:25]
	scratch_load_b128 v[22:25], off, off offset:512
	;; [unrolled: 18-line block ×3, first 2 shown]
	v_add_f64 v[166:167], v[168:169], v[172:173]
	v_add_f64 v[164:165], v[164:165], v[170:171]
	s_waitcnt vmcnt(8) lgkmcnt(0)
	v_mul_f64 v[168:169], v[156:157], v[40:41]
	v_mul_f64 v[40:41], v[158:159], v[40:41]
	v_fma_f64 v[170:171], v[4:5], v[34:35], v[174:175]
	v_fma_f64 v[172:173], v[2:3], v[34:35], -v[36:37]
	ds_load_b128 v[2:5], v1 offset:992
	ds_load_b128 v[34:37], v1 offset:1008
	v_add_f64 v[160:161], v[166:167], v[160:161]
	v_add_f64 v[162:163], v[164:165], v[162:163]
	s_waitcnt vmcnt(7) lgkmcnt(1)
	v_mul_f64 v[164:165], v[2:3], v[44:45]
	v_mul_f64 v[44:45], v[4:5], v[44:45]
	v_fma_f64 v[158:159], v[158:159], v[38:39], v[168:169]
	v_fma_f64 v[38:39], v[156:157], v[38:39], -v[40:41]
	v_add_f64 v[40:41], v[160:161], v[172:173]
	v_add_f64 v[156:157], v[162:163], v[170:171]
	s_waitcnt vmcnt(6) lgkmcnt(0)
	v_mul_f64 v[160:161], v[34:35], v[8:9]
	v_mul_f64 v[8:9], v[36:37], v[8:9]
	v_fma_f64 v[162:163], v[4:5], v[42:43], v[164:165]
	v_fma_f64 v[42:43], v[2:3], v[42:43], -v[44:45]
	v_add_f64 v[44:45], v[40:41], v[38:39]
	v_add_f64 v[156:157], v[156:157], v[158:159]
	ds_load_b128 v[2:5], v1 offset:1024
	ds_load_b128 v[38:41], v1 offset:1040
	v_fma_f64 v[36:37], v[36:37], v[6:7], v[160:161]
	v_fma_f64 v[6:7], v[34:35], v[6:7], -v[8:9]
	s_waitcnt vmcnt(5) lgkmcnt(1)
	v_mul_f64 v[158:159], v[2:3], v[12:13]
	v_mul_f64 v[12:13], v[4:5], v[12:13]
	v_add_f64 v[8:9], v[44:45], v[42:43]
	v_add_f64 v[34:35], v[156:157], v[162:163]
	s_waitcnt vmcnt(4) lgkmcnt(0)
	v_mul_f64 v[42:43], v[38:39], v[16:17]
	v_mul_f64 v[16:17], v[40:41], v[16:17]
	v_fma_f64 v[44:45], v[4:5], v[10:11], v[158:159]
	v_fma_f64 v[10:11], v[2:3], v[10:11], -v[12:13]
	v_add_f64 v[12:13], v[8:9], v[6:7]
	v_add_f64 v[34:35], v[34:35], v[36:37]
	ds_load_b128 v[2:5], v1 offset:1056
	ds_load_b128 v[6:9], v1 offset:1072
	v_fma_f64 v[40:41], v[40:41], v[14:15], v[42:43]
	v_fma_f64 v[14:15], v[38:39], v[14:15], -v[16:17]
	s_waitcnt vmcnt(3) lgkmcnt(1)
	v_mul_f64 v[36:37], v[2:3], v[20:21]
	v_mul_f64 v[20:21], v[4:5], v[20:21]
	s_waitcnt vmcnt(2) lgkmcnt(0)
	v_mul_f64 v[16:17], v[6:7], v[24:25]
	v_mul_f64 v[24:25], v[8:9], v[24:25]
	v_add_f64 v[10:11], v[12:13], v[10:11]
	v_add_f64 v[12:13], v[34:35], v[44:45]
	v_fma_f64 v[34:35], v[4:5], v[18:19], v[36:37]
	v_fma_f64 v[18:19], v[2:3], v[18:19], -v[20:21]
	v_fma_f64 v[8:9], v[8:9], v[22:23], v[16:17]
	v_fma_f64 v[6:7], v[6:7], v[22:23], -v[24:25]
	v_add_f64 v[14:15], v[10:11], v[14:15]
	v_add_f64 v[20:21], v[12:13], v[40:41]
	ds_load_b128 v[2:5], v1 offset:1088
	ds_load_b128 v[10:13], v1 offset:1104
	s_waitcnt vmcnt(1) lgkmcnt(1)
	v_mul_f64 v[36:37], v[2:3], v[28:29]
	v_mul_f64 v[28:29], v[4:5], v[28:29]
	v_add_f64 v[14:15], v[14:15], v[18:19]
	v_add_f64 v[16:17], v[20:21], v[34:35]
	s_waitcnt vmcnt(0) lgkmcnt(0)
	v_mul_f64 v[18:19], v[10:11], v[32:33]
	v_mul_f64 v[20:21], v[12:13], v[32:33]
	v_fma_f64 v[4:5], v[4:5], v[26:27], v[36:37]
	v_fma_f64 v[1:2], v[2:3], v[26:27], -v[28:29]
	v_add_f64 v[6:7], v[14:15], v[6:7]
	v_add_f64 v[8:9], v[16:17], v[8:9]
	v_fma_f64 v[12:13], v[12:13], v[30:31], v[18:19]
	v_fma_f64 v[10:11], v[10:11], v[30:31], -v[20:21]
	s_delay_alu instid0(VALU_DEP_4) | instskip(NEXT) | instid1(VALU_DEP_4)
	v_add_f64 v[1:2], v[6:7], v[1:2]
	v_add_f64 v[3:4], v[8:9], v[4:5]
	s_delay_alu instid0(VALU_DEP_2) | instskip(NEXT) | instid1(VALU_DEP_2)
	v_add_f64 v[1:2], v[1:2], v[10:11]
	v_add_f64 v[3:4], v[3:4], v[12:13]
	s_delay_alu instid0(VALU_DEP_2) | instskip(NEXT) | instid1(VALU_DEP_2)
	v_add_f64 v[1:2], v[152:153], -v[1:2]
	v_add_f64 v[3:4], v[154:155], -v[3:4]
	scratch_store_b128 off, v[1:4], off offset:96
	v_cmpx_lt_u32_e32 5, v116
	s_cbranch_execz .LBB34_213
; %bb.212:
	scratch_load_b128 v[1:4], v142, off
	v_mov_b32_e32 v5, 0
	s_delay_alu instid0(VALU_DEP_1)
	v_mov_b32_e32 v6, v5
	v_mov_b32_e32 v7, v5
	;; [unrolled: 1-line block ×3, first 2 shown]
	scratch_store_b128 off, v[5:8], off offset:80
	s_waitcnt vmcnt(0)
	ds_store_b128 v151, v[1:4]
.LBB34_213:
	s_or_b32 exec_lo, exec_lo, s2
	s_waitcnt lgkmcnt(0)
	s_waitcnt_vscnt null, 0x0
	s_barrier
	buffer_gl0_inv
	s_clause 0x7
	scratch_load_b128 v[2:5], off, off offset:96
	scratch_load_b128 v[6:9], off, off offset:112
	;; [unrolled: 1-line block ×8, first 2 shown]
	v_mov_b32_e32 v1, 0
	s_mov_b32 s2, exec_lo
	ds_load_b128 v[38:41], v1 offset:656
	s_clause 0x1
	scratch_load_b128 v[34:37], off, off offset:224
	scratch_load_b128 v[42:45], off, off offset:80
	ds_load_b128 v[152:155], v1 offset:672
	scratch_load_b128 v[156:159], off, off offset:240
	s_waitcnt vmcnt(10) lgkmcnt(1)
	v_mul_f64 v[160:161], v[40:41], v[4:5]
	v_mul_f64 v[4:5], v[38:39], v[4:5]
	s_delay_alu instid0(VALU_DEP_2) | instskip(NEXT) | instid1(VALU_DEP_2)
	v_fma_f64 v[166:167], v[38:39], v[2:3], -v[160:161]
	v_fma_f64 v[168:169], v[40:41], v[2:3], v[4:5]
	scratch_load_b128 v[38:41], off, off offset:256
	ds_load_b128 v[2:5], v1 offset:688
	s_waitcnt vmcnt(10) lgkmcnt(1)
	v_mul_f64 v[164:165], v[152:153], v[8:9]
	v_mul_f64 v[8:9], v[154:155], v[8:9]
	ds_load_b128 v[160:163], v1 offset:704
	s_waitcnt vmcnt(9) lgkmcnt(1)
	v_mul_f64 v[170:171], v[2:3], v[12:13]
	v_mul_f64 v[12:13], v[4:5], v[12:13]
	v_fma_f64 v[154:155], v[154:155], v[6:7], v[164:165]
	v_fma_f64 v[152:153], v[152:153], v[6:7], -v[8:9]
	v_add_f64 v[164:165], v[166:167], 0
	v_add_f64 v[166:167], v[168:169], 0
	scratch_load_b128 v[6:9], off, off offset:272
	v_fma_f64 v[170:171], v[4:5], v[10:11], v[170:171]
	v_fma_f64 v[172:173], v[2:3], v[10:11], -v[12:13]
	scratch_load_b128 v[10:13], off, off offset:288
	ds_load_b128 v[2:5], v1 offset:720
	s_waitcnt vmcnt(10) lgkmcnt(1)
	v_mul_f64 v[168:169], v[160:161], v[16:17]
	v_mul_f64 v[16:17], v[162:163], v[16:17]
	v_add_f64 v[164:165], v[164:165], v[152:153]
	v_add_f64 v[166:167], v[166:167], v[154:155]
	s_waitcnt vmcnt(9) lgkmcnt(0)
	v_mul_f64 v[174:175], v[2:3], v[20:21]
	v_mul_f64 v[20:21], v[4:5], v[20:21]
	ds_load_b128 v[152:155], v1 offset:736
	v_fma_f64 v[162:163], v[162:163], v[14:15], v[168:169]
	v_fma_f64 v[160:161], v[160:161], v[14:15], -v[16:17]
	scratch_load_b128 v[14:17], off, off offset:304
	v_add_f64 v[164:165], v[164:165], v[172:173]
	v_add_f64 v[166:167], v[166:167], v[170:171]
	v_fma_f64 v[170:171], v[4:5], v[18:19], v[174:175]
	v_fma_f64 v[172:173], v[2:3], v[18:19], -v[20:21]
	scratch_load_b128 v[18:21], off, off offset:320
	ds_load_b128 v[2:5], v1 offset:752
	s_waitcnt vmcnt(10) lgkmcnt(1)
	v_mul_f64 v[168:169], v[152:153], v[24:25]
	v_mul_f64 v[24:25], v[154:155], v[24:25]
	s_waitcnt vmcnt(9) lgkmcnt(0)
	v_mul_f64 v[174:175], v[2:3], v[28:29]
	v_mul_f64 v[28:29], v[4:5], v[28:29]
	v_add_f64 v[164:165], v[164:165], v[160:161]
	v_add_f64 v[166:167], v[166:167], v[162:163]
	ds_load_b128 v[160:163], v1 offset:768
	v_fma_f64 v[154:155], v[154:155], v[22:23], v[168:169]
	v_fma_f64 v[152:153], v[152:153], v[22:23], -v[24:25]
	scratch_load_b128 v[22:25], off, off offset:336
	v_add_f64 v[164:165], v[164:165], v[172:173]
	v_add_f64 v[166:167], v[166:167], v[170:171]
	v_fma_f64 v[170:171], v[4:5], v[26:27], v[174:175]
	v_fma_f64 v[172:173], v[2:3], v[26:27], -v[28:29]
	scratch_load_b128 v[26:29], off, off offset:352
	ds_load_b128 v[2:5], v1 offset:784
	s_waitcnt vmcnt(10) lgkmcnt(1)
	v_mul_f64 v[168:169], v[160:161], v[32:33]
	v_mul_f64 v[32:33], v[162:163], v[32:33]
	s_waitcnt vmcnt(9) lgkmcnt(0)
	v_mul_f64 v[174:175], v[2:3], v[36:37]
	v_mul_f64 v[36:37], v[4:5], v[36:37]
	v_add_f64 v[164:165], v[164:165], v[152:153]
	v_add_f64 v[166:167], v[166:167], v[154:155]
	ds_load_b128 v[152:155], v1 offset:800
	v_fma_f64 v[162:163], v[162:163], v[30:31], v[168:169]
	v_fma_f64 v[160:161], v[160:161], v[30:31], -v[32:33]
	scratch_load_b128 v[30:33], off, off offset:368
	v_add_f64 v[164:165], v[164:165], v[172:173]
	v_add_f64 v[166:167], v[166:167], v[170:171]
	v_fma_f64 v[172:173], v[4:5], v[34:35], v[174:175]
	v_fma_f64 v[174:175], v[2:3], v[34:35], -v[36:37]
	scratch_load_b128 v[34:37], off, off offset:384
	ds_load_b128 v[2:5], v1 offset:816
	s_waitcnt vmcnt(9) lgkmcnt(1)
	v_mul_f64 v[168:169], v[152:153], v[158:159]
	v_mul_f64 v[170:171], v[154:155], v[158:159]
	v_add_f64 v[164:165], v[164:165], v[160:161]
	v_add_f64 v[162:163], v[166:167], v[162:163]
	ds_load_b128 v[158:161], v1 offset:832
	v_fma_f64 v[168:169], v[154:155], v[156:157], v[168:169]
	v_fma_f64 v[156:157], v[152:153], v[156:157], -v[170:171]
	scratch_load_b128 v[152:155], off, off offset:400
	s_waitcnt vmcnt(9) lgkmcnt(1)
	v_mul_f64 v[166:167], v[2:3], v[40:41]
	v_mul_f64 v[40:41], v[4:5], v[40:41]
	v_add_f64 v[164:165], v[164:165], v[174:175]
	v_add_f64 v[162:163], v[162:163], v[172:173]
	s_delay_alu instid0(VALU_DEP_4) | instskip(NEXT) | instid1(VALU_DEP_4)
	v_fma_f64 v[166:167], v[4:5], v[38:39], v[166:167]
	v_fma_f64 v[172:173], v[2:3], v[38:39], -v[40:41]
	scratch_load_b128 v[38:41], off, off offset:416
	ds_load_b128 v[2:5], v1 offset:848
	s_waitcnt vmcnt(9) lgkmcnt(1)
	v_mul_f64 v[170:171], v[158:159], v[8:9]
	v_mul_f64 v[8:9], v[160:161], v[8:9]
	s_waitcnt vmcnt(8) lgkmcnt(0)
	v_mul_f64 v[174:175], v[2:3], v[12:13]
	v_mul_f64 v[12:13], v[4:5], v[12:13]
	v_add_f64 v[156:157], v[164:165], v[156:157]
	v_add_f64 v[168:169], v[162:163], v[168:169]
	ds_load_b128 v[162:165], v1 offset:864
	v_fma_f64 v[160:161], v[160:161], v[6:7], v[170:171]
	v_fma_f64 v[158:159], v[158:159], v[6:7], -v[8:9]
	scratch_load_b128 v[6:9], off, off offset:432
	v_fma_f64 v[170:171], v[4:5], v[10:11], v[174:175]
	v_add_f64 v[156:157], v[156:157], v[172:173]
	v_add_f64 v[166:167], v[168:169], v[166:167]
	v_fma_f64 v[172:173], v[2:3], v[10:11], -v[12:13]
	scratch_load_b128 v[10:13], off, off offset:448
	ds_load_b128 v[2:5], v1 offset:880
	s_waitcnt vmcnt(9) lgkmcnt(1)
	v_mul_f64 v[168:169], v[162:163], v[16:17]
	v_mul_f64 v[16:17], v[164:165], v[16:17]
	v_add_f64 v[174:175], v[156:157], v[158:159]
	v_add_f64 v[160:161], v[166:167], v[160:161]
	s_waitcnt vmcnt(8) lgkmcnt(0)
	v_mul_f64 v[166:167], v[2:3], v[20:21]
	v_mul_f64 v[20:21], v[4:5], v[20:21]
	ds_load_b128 v[156:159], v1 offset:896
	v_fma_f64 v[164:165], v[164:165], v[14:15], v[168:169]
	v_fma_f64 v[162:163], v[162:163], v[14:15], -v[16:17]
	scratch_load_b128 v[14:17], off, off offset:464
	v_add_f64 v[168:169], v[174:175], v[172:173]
	v_add_f64 v[160:161], v[160:161], v[170:171]
	v_fma_f64 v[166:167], v[4:5], v[18:19], v[166:167]
	v_fma_f64 v[172:173], v[2:3], v[18:19], -v[20:21]
	scratch_load_b128 v[18:21], off, off offset:480
	ds_load_b128 v[2:5], v1 offset:912
	s_waitcnt vmcnt(9) lgkmcnt(1)
	v_mul_f64 v[170:171], v[156:157], v[24:25]
	v_mul_f64 v[24:25], v[158:159], v[24:25]
	s_waitcnt vmcnt(8) lgkmcnt(0)
	v_mul_f64 v[174:175], v[2:3], v[28:29]
	v_mul_f64 v[28:29], v[4:5], v[28:29]
	v_add_f64 v[168:169], v[168:169], v[162:163]
	v_add_f64 v[164:165], v[160:161], v[164:165]
	ds_load_b128 v[160:163], v1 offset:928
	v_fma_f64 v[158:159], v[158:159], v[22:23], v[170:171]
	v_fma_f64 v[156:157], v[156:157], v[22:23], -v[24:25]
	scratch_load_b128 v[22:25], off, off offset:496
	v_fma_f64 v[170:171], v[4:5], v[26:27], v[174:175]
	v_add_f64 v[168:169], v[168:169], v[172:173]
	v_add_f64 v[164:165], v[164:165], v[166:167]
	v_fma_f64 v[172:173], v[2:3], v[26:27], -v[28:29]
	scratch_load_b128 v[26:29], off, off offset:512
	ds_load_b128 v[2:5], v1 offset:944
	s_waitcnt vmcnt(9) lgkmcnt(1)
	v_mul_f64 v[166:167], v[160:161], v[32:33]
	v_mul_f64 v[32:33], v[162:163], v[32:33]
	s_waitcnt vmcnt(8) lgkmcnt(0)
	v_mul_f64 v[174:175], v[2:3], v[36:37]
	v_mul_f64 v[36:37], v[4:5], v[36:37]
	v_add_f64 v[168:169], v[168:169], v[156:157]
	v_add_f64 v[164:165], v[164:165], v[158:159]
	ds_load_b128 v[156:159], v1 offset:960
	v_fma_f64 v[162:163], v[162:163], v[30:31], v[166:167]
	v_fma_f64 v[160:161], v[160:161], v[30:31], -v[32:33]
	scratch_load_b128 v[30:33], off, off offset:528
	v_add_f64 v[166:167], v[168:169], v[172:173]
	v_add_f64 v[164:165], v[164:165], v[170:171]
	v_fma_f64 v[170:171], v[4:5], v[34:35], v[174:175]
	v_fma_f64 v[172:173], v[2:3], v[34:35], -v[36:37]
	scratch_load_b128 v[34:37], off, off offset:544
	ds_load_b128 v[2:5], v1 offset:976
	s_waitcnt vmcnt(9) lgkmcnt(1)
	v_mul_f64 v[168:169], v[156:157], v[154:155]
	v_mul_f64 v[154:155], v[158:159], v[154:155]
	s_waitcnt vmcnt(8) lgkmcnt(0)
	v_mul_f64 v[174:175], v[2:3], v[40:41]
	v_mul_f64 v[40:41], v[4:5], v[40:41]
	v_add_f64 v[166:167], v[166:167], v[160:161]
	v_add_f64 v[164:165], v[164:165], v[162:163]
	ds_load_b128 v[160:163], v1 offset:992
	v_fma_f64 v[158:159], v[158:159], v[152:153], v[168:169]
	v_fma_f64 v[152:153], v[156:157], v[152:153], -v[154:155]
	v_fma_f64 v[168:169], v[2:3], v[38:39], -v[40:41]
	v_add_f64 v[154:155], v[166:167], v[172:173]
	v_add_f64 v[156:157], v[164:165], v[170:171]
	s_waitcnt vmcnt(7) lgkmcnt(0)
	v_mul_f64 v[164:165], v[160:161], v[8:9]
	v_mul_f64 v[8:9], v[162:163], v[8:9]
	v_fma_f64 v[166:167], v[4:5], v[38:39], v[174:175]
	ds_load_b128 v[2:5], v1 offset:1008
	ds_load_b128 v[38:41], v1 offset:1024
	v_add_f64 v[152:153], v[154:155], v[152:153]
	v_add_f64 v[154:155], v[156:157], v[158:159]
	s_waitcnt vmcnt(6) lgkmcnt(1)
	v_mul_f64 v[156:157], v[2:3], v[12:13]
	v_mul_f64 v[12:13], v[4:5], v[12:13]
	v_fma_f64 v[158:159], v[162:163], v[6:7], v[164:165]
	v_fma_f64 v[6:7], v[160:161], v[6:7], -v[8:9]
	v_add_f64 v[8:9], v[152:153], v[168:169]
	v_add_f64 v[152:153], v[154:155], v[166:167]
	s_waitcnt vmcnt(5) lgkmcnt(0)
	v_mul_f64 v[154:155], v[38:39], v[16:17]
	v_mul_f64 v[16:17], v[40:41], v[16:17]
	v_fma_f64 v[156:157], v[4:5], v[10:11], v[156:157]
	v_fma_f64 v[10:11], v[2:3], v[10:11], -v[12:13]
	v_add_f64 v[12:13], v[8:9], v[6:7]
	v_add_f64 v[152:153], v[152:153], v[158:159]
	ds_load_b128 v[2:5], v1 offset:1040
	ds_load_b128 v[6:9], v1 offset:1056
	v_fma_f64 v[40:41], v[40:41], v[14:15], v[154:155]
	v_fma_f64 v[14:15], v[38:39], v[14:15], -v[16:17]
	s_waitcnt vmcnt(4) lgkmcnt(1)
	v_mul_f64 v[158:159], v[2:3], v[20:21]
	v_mul_f64 v[20:21], v[4:5], v[20:21]
	s_waitcnt vmcnt(3) lgkmcnt(0)
	v_mul_f64 v[16:17], v[6:7], v[24:25]
	v_mul_f64 v[24:25], v[8:9], v[24:25]
	v_add_f64 v[10:11], v[12:13], v[10:11]
	v_add_f64 v[12:13], v[152:153], v[156:157]
	v_fma_f64 v[38:39], v[4:5], v[18:19], v[158:159]
	v_fma_f64 v[18:19], v[2:3], v[18:19], -v[20:21]
	v_fma_f64 v[8:9], v[8:9], v[22:23], v[16:17]
	v_fma_f64 v[6:7], v[6:7], v[22:23], -v[24:25]
	v_add_f64 v[14:15], v[10:11], v[14:15]
	v_add_f64 v[20:21], v[12:13], v[40:41]
	ds_load_b128 v[2:5], v1 offset:1072
	ds_load_b128 v[10:13], v1 offset:1088
	s_waitcnt vmcnt(2) lgkmcnt(1)
	v_mul_f64 v[40:41], v[2:3], v[28:29]
	v_mul_f64 v[28:29], v[4:5], v[28:29]
	v_add_f64 v[14:15], v[14:15], v[18:19]
	v_add_f64 v[16:17], v[20:21], v[38:39]
	s_waitcnt vmcnt(1) lgkmcnt(0)
	v_mul_f64 v[18:19], v[10:11], v[32:33]
	v_mul_f64 v[20:21], v[12:13], v[32:33]
	v_fma_f64 v[22:23], v[4:5], v[26:27], v[40:41]
	v_fma_f64 v[24:25], v[2:3], v[26:27], -v[28:29]
	ds_load_b128 v[2:5], v1 offset:1104
	v_add_f64 v[6:7], v[14:15], v[6:7]
	v_add_f64 v[8:9], v[16:17], v[8:9]
	v_fma_f64 v[12:13], v[12:13], v[30:31], v[18:19]
	v_fma_f64 v[10:11], v[10:11], v[30:31], -v[20:21]
	s_waitcnt vmcnt(0) lgkmcnt(0)
	v_mul_f64 v[14:15], v[2:3], v[36:37]
	v_mul_f64 v[16:17], v[4:5], v[36:37]
	v_add_f64 v[6:7], v[6:7], v[24:25]
	v_add_f64 v[8:9], v[8:9], v[22:23]
	s_delay_alu instid0(VALU_DEP_4) | instskip(NEXT) | instid1(VALU_DEP_4)
	v_fma_f64 v[4:5], v[4:5], v[34:35], v[14:15]
	v_fma_f64 v[2:3], v[2:3], v[34:35], -v[16:17]
	s_delay_alu instid0(VALU_DEP_4) | instskip(NEXT) | instid1(VALU_DEP_4)
	v_add_f64 v[6:7], v[6:7], v[10:11]
	v_add_f64 v[8:9], v[8:9], v[12:13]
	s_delay_alu instid0(VALU_DEP_2) | instskip(NEXT) | instid1(VALU_DEP_2)
	v_add_f64 v[2:3], v[6:7], v[2:3]
	v_add_f64 v[4:5], v[8:9], v[4:5]
	s_delay_alu instid0(VALU_DEP_2) | instskip(NEXT) | instid1(VALU_DEP_2)
	v_add_f64 v[2:3], v[42:43], -v[2:3]
	v_add_f64 v[4:5], v[44:45], -v[4:5]
	scratch_store_b128 off, v[2:5], off offset:80
	v_cmpx_lt_u32_e32 4, v116
	s_cbranch_execz .LBB34_215
; %bb.214:
	scratch_load_b128 v[5:8], v117, off
	v_mov_b32_e32 v2, v1
	v_mov_b32_e32 v3, v1
	;; [unrolled: 1-line block ×3, first 2 shown]
	scratch_store_b128 off, v[1:4], off offset:64
	s_waitcnt vmcnt(0)
	ds_store_b128 v151, v[5:8]
.LBB34_215:
	s_or_b32 exec_lo, exec_lo, s2
	s_waitcnt lgkmcnt(0)
	s_waitcnt_vscnt null, 0x0
	s_barrier
	buffer_gl0_inv
	s_clause 0x8
	scratch_load_b128 v[2:5], off, off offset:80
	scratch_load_b128 v[6:9], off, off offset:96
	;; [unrolled: 1-line block ×9, first 2 shown]
	ds_load_b128 v[42:45], v1 offset:640
	ds_load_b128 v[38:41], v1 offset:656
	s_clause 0x1
	scratch_load_b128 v[152:155], off, off offset:64
	scratch_load_b128 v[156:159], off, off offset:224
	s_mov_b32 s2, exec_lo
	s_waitcnt vmcnt(10) lgkmcnt(1)
	v_mul_f64 v[160:161], v[44:45], v[4:5]
	v_mul_f64 v[4:5], v[42:43], v[4:5]
	s_waitcnt vmcnt(9) lgkmcnt(0)
	v_mul_f64 v[164:165], v[38:39], v[8:9]
	v_mul_f64 v[8:9], v[40:41], v[8:9]
	s_delay_alu instid0(VALU_DEP_4) | instskip(NEXT) | instid1(VALU_DEP_4)
	v_fma_f64 v[166:167], v[42:43], v[2:3], -v[160:161]
	v_fma_f64 v[168:169], v[44:45], v[2:3], v[4:5]
	ds_load_b128 v[2:5], v1 offset:672
	ds_load_b128 v[160:163], v1 offset:688
	scratch_load_b128 v[42:45], off, off offset:240
	v_fma_f64 v[40:41], v[40:41], v[6:7], v[164:165]
	v_fma_f64 v[38:39], v[38:39], v[6:7], -v[8:9]
	scratch_load_b128 v[6:9], off, off offset:256
	s_waitcnt vmcnt(10) lgkmcnt(1)
	v_mul_f64 v[170:171], v[2:3], v[12:13]
	v_mul_f64 v[12:13], v[4:5], v[12:13]
	v_add_f64 v[164:165], v[166:167], 0
	v_add_f64 v[166:167], v[168:169], 0
	s_waitcnt vmcnt(9) lgkmcnt(0)
	v_mul_f64 v[168:169], v[160:161], v[16:17]
	v_mul_f64 v[16:17], v[162:163], v[16:17]
	v_fma_f64 v[170:171], v[4:5], v[10:11], v[170:171]
	v_fma_f64 v[172:173], v[2:3], v[10:11], -v[12:13]
	ds_load_b128 v[2:5], v1 offset:704
	scratch_load_b128 v[10:13], off, off offset:272
	v_add_f64 v[164:165], v[164:165], v[38:39]
	v_add_f64 v[166:167], v[166:167], v[40:41]
	ds_load_b128 v[38:41], v1 offset:720
	v_fma_f64 v[162:163], v[162:163], v[14:15], v[168:169]
	v_fma_f64 v[160:161], v[160:161], v[14:15], -v[16:17]
	scratch_load_b128 v[14:17], off, off offset:288
	s_waitcnt vmcnt(10) lgkmcnt(1)
	v_mul_f64 v[174:175], v[2:3], v[20:21]
	v_mul_f64 v[20:21], v[4:5], v[20:21]
	s_waitcnt vmcnt(9) lgkmcnt(0)
	v_mul_f64 v[168:169], v[38:39], v[24:25]
	v_mul_f64 v[24:25], v[40:41], v[24:25]
	v_add_f64 v[164:165], v[164:165], v[172:173]
	v_add_f64 v[166:167], v[166:167], v[170:171]
	v_fma_f64 v[170:171], v[4:5], v[18:19], v[174:175]
	v_fma_f64 v[172:173], v[2:3], v[18:19], -v[20:21]
	ds_load_b128 v[2:5], v1 offset:736
	scratch_load_b128 v[18:21], off, off offset:304
	v_fma_f64 v[40:41], v[40:41], v[22:23], v[168:169]
	v_fma_f64 v[38:39], v[38:39], v[22:23], -v[24:25]
	scratch_load_b128 v[22:25], off, off offset:320
	v_add_f64 v[164:165], v[164:165], v[160:161]
	v_add_f64 v[166:167], v[166:167], v[162:163]
	ds_load_b128 v[160:163], v1 offset:752
	s_waitcnt vmcnt(10) lgkmcnt(1)
	v_mul_f64 v[174:175], v[2:3], v[28:29]
	v_mul_f64 v[28:29], v[4:5], v[28:29]
	s_waitcnt vmcnt(9) lgkmcnt(0)
	v_mul_f64 v[168:169], v[160:161], v[32:33]
	v_mul_f64 v[32:33], v[162:163], v[32:33]
	v_add_f64 v[164:165], v[164:165], v[172:173]
	v_add_f64 v[166:167], v[166:167], v[170:171]
	v_fma_f64 v[170:171], v[4:5], v[26:27], v[174:175]
	v_fma_f64 v[172:173], v[2:3], v[26:27], -v[28:29]
	ds_load_b128 v[2:5], v1 offset:768
	scratch_load_b128 v[26:29], off, off offset:336
	v_fma_f64 v[162:163], v[162:163], v[30:31], v[168:169]
	v_fma_f64 v[160:161], v[160:161], v[30:31], -v[32:33]
	scratch_load_b128 v[30:33], off, off offset:352
	v_add_f64 v[164:165], v[164:165], v[38:39]
	v_add_f64 v[166:167], v[166:167], v[40:41]
	ds_load_b128 v[38:41], v1 offset:784
	s_waitcnt vmcnt(10) lgkmcnt(1)
	v_mul_f64 v[174:175], v[2:3], v[36:37]
	v_mul_f64 v[36:37], v[4:5], v[36:37]
	s_waitcnt vmcnt(8) lgkmcnt(0)
	v_mul_f64 v[168:169], v[38:39], v[158:159]
	v_add_f64 v[164:165], v[164:165], v[172:173]
	v_add_f64 v[166:167], v[166:167], v[170:171]
	v_mul_f64 v[170:171], v[40:41], v[158:159]
	v_fma_f64 v[172:173], v[4:5], v[34:35], v[174:175]
	v_fma_f64 v[174:175], v[2:3], v[34:35], -v[36:37]
	ds_load_b128 v[2:5], v1 offset:800
	scratch_load_b128 v[34:37], off, off offset:368
	v_fma_f64 v[168:169], v[40:41], v[156:157], v[168:169]
	v_add_f64 v[164:165], v[164:165], v[160:161]
	v_add_f64 v[162:163], v[166:167], v[162:163]
	ds_load_b128 v[158:161], v1 offset:816
	v_fma_f64 v[156:157], v[38:39], v[156:157], -v[170:171]
	scratch_load_b128 v[38:41], off, off offset:384
	s_waitcnt vmcnt(9) lgkmcnt(1)
	v_mul_f64 v[166:167], v[2:3], v[44:45]
	v_mul_f64 v[44:45], v[4:5], v[44:45]
	s_waitcnt vmcnt(8) lgkmcnt(0)
	v_mul_f64 v[170:171], v[158:159], v[8:9]
	v_mul_f64 v[8:9], v[160:161], v[8:9]
	v_add_f64 v[164:165], v[164:165], v[174:175]
	v_add_f64 v[162:163], v[162:163], v[172:173]
	v_fma_f64 v[166:167], v[4:5], v[42:43], v[166:167]
	v_fma_f64 v[172:173], v[2:3], v[42:43], -v[44:45]
	ds_load_b128 v[2:5], v1 offset:832
	scratch_load_b128 v[42:45], off, off offset:400
	v_fma_f64 v[160:161], v[160:161], v[6:7], v[170:171]
	v_fma_f64 v[158:159], v[158:159], v[6:7], -v[8:9]
	scratch_load_b128 v[6:9], off, off offset:416
	v_add_f64 v[156:157], v[164:165], v[156:157]
	v_add_f64 v[168:169], v[162:163], v[168:169]
	ds_load_b128 v[162:165], v1 offset:848
	s_waitcnt vmcnt(9) lgkmcnt(1)
	v_mul_f64 v[174:175], v[2:3], v[12:13]
	v_mul_f64 v[12:13], v[4:5], v[12:13]
	v_add_f64 v[156:157], v[156:157], v[172:173]
	v_add_f64 v[166:167], v[168:169], v[166:167]
	s_waitcnt vmcnt(8) lgkmcnt(0)
	v_mul_f64 v[168:169], v[162:163], v[16:17]
	v_mul_f64 v[16:17], v[164:165], v[16:17]
	v_fma_f64 v[170:171], v[4:5], v[10:11], v[174:175]
	v_fma_f64 v[172:173], v[2:3], v[10:11], -v[12:13]
	ds_load_b128 v[2:5], v1 offset:864
	scratch_load_b128 v[10:13], off, off offset:432
	v_add_f64 v[174:175], v[156:157], v[158:159]
	v_add_f64 v[160:161], v[166:167], v[160:161]
	ds_load_b128 v[156:159], v1 offset:880
	s_waitcnt vmcnt(8) lgkmcnt(1)
	v_mul_f64 v[166:167], v[2:3], v[20:21]
	v_mul_f64 v[20:21], v[4:5], v[20:21]
	v_fma_f64 v[164:165], v[164:165], v[14:15], v[168:169]
	v_fma_f64 v[162:163], v[162:163], v[14:15], -v[16:17]
	scratch_load_b128 v[14:17], off, off offset:448
	v_add_f64 v[168:169], v[174:175], v[172:173]
	v_add_f64 v[160:161], v[160:161], v[170:171]
	s_waitcnt vmcnt(8) lgkmcnt(0)
	v_mul_f64 v[170:171], v[156:157], v[24:25]
	v_mul_f64 v[24:25], v[158:159], v[24:25]
	v_fma_f64 v[166:167], v[4:5], v[18:19], v[166:167]
	v_fma_f64 v[172:173], v[2:3], v[18:19], -v[20:21]
	ds_load_b128 v[2:5], v1 offset:896
	scratch_load_b128 v[18:21], off, off offset:464
	v_add_f64 v[168:169], v[168:169], v[162:163]
	v_add_f64 v[164:165], v[160:161], v[164:165]
	ds_load_b128 v[160:163], v1 offset:912
	s_waitcnt vmcnt(8) lgkmcnt(1)
	v_mul_f64 v[174:175], v[2:3], v[28:29]
	v_mul_f64 v[28:29], v[4:5], v[28:29]
	v_fma_f64 v[158:159], v[158:159], v[22:23], v[170:171]
	v_fma_f64 v[156:157], v[156:157], v[22:23], -v[24:25]
	scratch_load_b128 v[22:25], off, off offset:480
	;; [unrolled: 18-line block ×4, first 2 shown]
	s_waitcnt vmcnt(8) lgkmcnt(0)
	v_mul_f64 v[168:169], v[160:161], v[8:9]
	v_mul_f64 v[8:9], v[162:163], v[8:9]
	v_add_f64 v[166:167], v[166:167], v[172:173]
	v_add_f64 v[164:165], v[164:165], v[170:171]
	v_fma_f64 v[170:171], v[4:5], v[42:43], v[174:175]
	v_fma_f64 v[172:173], v[2:3], v[42:43], -v[44:45]
	ds_load_b128 v[2:5], v1 offset:992
	ds_load_b128 v[42:45], v1 offset:1008
	v_fma_f64 v[162:163], v[162:163], v[6:7], v[168:169]
	v_fma_f64 v[6:7], v[160:161], v[6:7], -v[8:9]
	v_add_f64 v[156:157], v[166:167], v[156:157]
	v_add_f64 v[158:159], v[164:165], v[158:159]
	s_waitcnt vmcnt(7) lgkmcnt(1)
	v_mul_f64 v[164:165], v[2:3], v[12:13]
	v_mul_f64 v[12:13], v[4:5], v[12:13]
	s_delay_alu instid0(VALU_DEP_4) | instskip(NEXT) | instid1(VALU_DEP_4)
	v_add_f64 v[8:9], v[156:157], v[172:173]
	v_add_f64 v[156:157], v[158:159], v[170:171]
	s_waitcnt vmcnt(6) lgkmcnt(0)
	v_mul_f64 v[158:159], v[42:43], v[16:17]
	v_mul_f64 v[16:17], v[44:45], v[16:17]
	v_fma_f64 v[160:161], v[4:5], v[10:11], v[164:165]
	v_fma_f64 v[10:11], v[2:3], v[10:11], -v[12:13]
	v_add_f64 v[12:13], v[8:9], v[6:7]
	v_add_f64 v[156:157], v[156:157], v[162:163]
	ds_load_b128 v[2:5], v1 offset:1024
	ds_load_b128 v[6:9], v1 offset:1040
	v_fma_f64 v[44:45], v[44:45], v[14:15], v[158:159]
	v_fma_f64 v[14:15], v[42:43], v[14:15], -v[16:17]
	s_waitcnt vmcnt(5) lgkmcnt(1)
	v_mul_f64 v[162:163], v[2:3], v[20:21]
	v_mul_f64 v[20:21], v[4:5], v[20:21]
	s_waitcnt vmcnt(4) lgkmcnt(0)
	v_mul_f64 v[16:17], v[6:7], v[24:25]
	v_mul_f64 v[24:25], v[8:9], v[24:25]
	v_add_f64 v[10:11], v[12:13], v[10:11]
	v_add_f64 v[12:13], v[156:157], v[160:161]
	v_fma_f64 v[42:43], v[4:5], v[18:19], v[162:163]
	v_fma_f64 v[18:19], v[2:3], v[18:19], -v[20:21]
	v_fma_f64 v[8:9], v[8:9], v[22:23], v[16:17]
	v_fma_f64 v[6:7], v[6:7], v[22:23], -v[24:25]
	v_add_f64 v[14:15], v[10:11], v[14:15]
	v_add_f64 v[20:21], v[12:13], v[44:45]
	ds_load_b128 v[2:5], v1 offset:1056
	ds_load_b128 v[10:13], v1 offset:1072
	s_waitcnt vmcnt(3) lgkmcnt(1)
	v_mul_f64 v[44:45], v[2:3], v[28:29]
	v_mul_f64 v[28:29], v[4:5], v[28:29]
	v_add_f64 v[14:15], v[14:15], v[18:19]
	v_add_f64 v[16:17], v[20:21], v[42:43]
	s_waitcnt vmcnt(2) lgkmcnt(0)
	v_mul_f64 v[18:19], v[10:11], v[32:33]
	v_mul_f64 v[20:21], v[12:13], v[32:33]
	v_fma_f64 v[22:23], v[4:5], v[26:27], v[44:45]
	v_fma_f64 v[24:25], v[2:3], v[26:27], -v[28:29]
	v_add_f64 v[14:15], v[14:15], v[6:7]
	v_add_f64 v[16:17], v[16:17], v[8:9]
	ds_load_b128 v[2:5], v1 offset:1088
	ds_load_b128 v[6:9], v1 offset:1104
	v_fma_f64 v[12:13], v[12:13], v[30:31], v[18:19]
	v_fma_f64 v[10:11], v[10:11], v[30:31], -v[20:21]
	s_waitcnt vmcnt(1) lgkmcnt(1)
	v_mul_f64 v[26:27], v[2:3], v[36:37]
	v_mul_f64 v[28:29], v[4:5], v[36:37]
	s_waitcnt vmcnt(0) lgkmcnt(0)
	v_mul_f64 v[18:19], v[6:7], v[40:41]
	v_mul_f64 v[20:21], v[8:9], v[40:41]
	v_add_f64 v[14:15], v[14:15], v[24:25]
	v_add_f64 v[16:17], v[16:17], v[22:23]
	v_fma_f64 v[4:5], v[4:5], v[34:35], v[26:27]
	v_fma_f64 v[1:2], v[2:3], v[34:35], -v[28:29]
	v_fma_f64 v[8:9], v[8:9], v[38:39], v[18:19]
	v_fma_f64 v[6:7], v[6:7], v[38:39], -v[20:21]
	v_add_f64 v[10:11], v[14:15], v[10:11]
	v_add_f64 v[12:13], v[16:17], v[12:13]
	s_delay_alu instid0(VALU_DEP_2) | instskip(NEXT) | instid1(VALU_DEP_2)
	v_add_f64 v[1:2], v[10:11], v[1:2]
	v_add_f64 v[3:4], v[12:13], v[4:5]
	s_delay_alu instid0(VALU_DEP_2) | instskip(NEXT) | instid1(VALU_DEP_2)
	;; [unrolled: 3-line block ×3, first 2 shown]
	v_add_f64 v[1:2], v[152:153], -v[1:2]
	v_add_f64 v[3:4], v[154:155], -v[3:4]
	scratch_store_b128 off, v[1:4], off offset:64
	v_cmpx_lt_u32_e32 3, v116
	s_cbranch_execz .LBB34_217
; %bb.216:
	scratch_load_b128 v[1:4], v118, off
	v_mov_b32_e32 v5, 0
	s_delay_alu instid0(VALU_DEP_1)
	v_mov_b32_e32 v6, v5
	v_mov_b32_e32 v7, v5
	;; [unrolled: 1-line block ×3, first 2 shown]
	scratch_store_b128 off, v[5:8], off offset:48
	s_waitcnt vmcnt(0)
	ds_store_b128 v151, v[1:4]
.LBB34_217:
	s_or_b32 exec_lo, exec_lo, s2
	s_waitcnt lgkmcnt(0)
	s_waitcnt_vscnt null, 0x0
	s_barrier
	buffer_gl0_inv
	s_clause 0x7
	scratch_load_b128 v[2:5], off, off offset:64
	scratch_load_b128 v[6:9], off, off offset:80
	;; [unrolled: 1-line block ×8, first 2 shown]
	v_mov_b32_e32 v1, 0
	s_mov_b32 s2, exec_lo
	ds_load_b128 v[38:41], v1 offset:624
	s_clause 0x1
	scratch_load_b128 v[34:37], off, off offset:192
	scratch_load_b128 v[42:45], off, off offset:48
	ds_load_b128 v[152:155], v1 offset:640
	scratch_load_b128 v[156:159], off, off offset:208
	s_waitcnt vmcnt(10) lgkmcnt(1)
	v_mul_f64 v[160:161], v[40:41], v[4:5]
	v_mul_f64 v[4:5], v[38:39], v[4:5]
	s_delay_alu instid0(VALU_DEP_2) | instskip(NEXT) | instid1(VALU_DEP_2)
	v_fma_f64 v[166:167], v[38:39], v[2:3], -v[160:161]
	v_fma_f64 v[168:169], v[40:41], v[2:3], v[4:5]
	scratch_load_b128 v[38:41], off, off offset:224
	ds_load_b128 v[2:5], v1 offset:656
	s_waitcnt vmcnt(10) lgkmcnt(1)
	v_mul_f64 v[164:165], v[152:153], v[8:9]
	v_mul_f64 v[8:9], v[154:155], v[8:9]
	ds_load_b128 v[160:163], v1 offset:672
	s_waitcnt vmcnt(9) lgkmcnt(1)
	v_mul_f64 v[170:171], v[2:3], v[12:13]
	v_mul_f64 v[12:13], v[4:5], v[12:13]
	v_fma_f64 v[154:155], v[154:155], v[6:7], v[164:165]
	v_fma_f64 v[152:153], v[152:153], v[6:7], -v[8:9]
	v_add_f64 v[164:165], v[166:167], 0
	v_add_f64 v[166:167], v[168:169], 0
	scratch_load_b128 v[6:9], off, off offset:240
	v_fma_f64 v[170:171], v[4:5], v[10:11], v[170:171]
	v_fma_f64 v[172:173], v[2:3], v[10:11], -v[12:13]
	scratch_load_b128 v[10:13], off, off offset:256
	ds_load_b128 v[2:5], v1 offset:688
	s_waitcnt vmcnt(10) lgkmcnt(1)
	v_mul_f64 v[168:169], v[160:161], v[16:17]
	v_mul_f64 v[16:17], v[162:163], v[16:17]
	v_add_f64 v[164:165], v[164:165], v[152:153]
	v_add_f64 v[166:167], v[166:167], v[154:155]
	s_waitcnt vmcnt(9) lgkmcnt(0)
	v_mul_f64 v[174:175], v[2:3], v[20:21]
	v_mul_f64 v[20:21], v[4:5], v[20:21]
	ds_load_b128 v[152:155], v1 offset:704
	v_fma_f64 v[162:163], v[162:163], v[14:15], v[168:169]
	v_fma_f64 v[160:161], v[160:161], v[14:15], -v[16:17]
	scratch_load_b128 v[14:17], off, off offset:272
	v_add_f64 v[164:165], v[164:165], v[172:173]
	v_add_f64 v[166:167], v[166:167], v[170:171]
	v_fma_f64 v[170:171], v[4:5], v[18:19], v[174:175]
	v_fma_f64 v[172:173], v[2:3], v[18:19], -v[20:21]
	scratch_load_b128 v[18:21], off, off offset:288
	ds_load_b128 v[2:5], v1 offset:720
	s_waitcnt vmcnt(10) lgkmcnt(1)
	v_mul_f64 v[168:169], v[152:153], v[24:25]
	v_mul_f64 v[24:25], v[154:155], v[24:25]
	s_waitcnt vmcnt(9) lgkmcnt(0)
	v_mul_f64 v[174:175], v[2:3], v[28:29]
	v_mul_f64 v[28:29], v[4:5], v[28:29]
	v_add_f64 v[164:165], v[164:165], v[160:161]
	v_add_f64 v[166:167], v[166:167], v[162:163]
	ds_load_b128 v[160:163], v1 offset:736
	v_fma_f64 v[154:155], v[154:155], v[22:23], v[168:169]
	v_fma_f64 v[152:153], v[152:153], v[22:23], -v[24:25]
	scratch_load_b128 v[22:25], off, off offset:304
	v_add_f64 v[164:165], v[164:165], v[172:173]
	v_add_f64 v[166:167], v[166:167], v[170:171]
	v_fma_f64 v[170:171], v[4:5], v[26:27], v[174:175]
	v_fma_f64 v[172:173], v[2:3], v[26:27], -v[28:29]
	scratch_load_b128 v[26:29], off, off offset:320
	ds_load_b128 v[2:5], v1 offset:752
	s_waitcnt vmcnt(10) lgkmcnt(1)
	v_mul_f64 v[168:169], v[160:161], v[32:33]
	v_mul_f64 v[32:33], v[162:163], v[32:33]
	s_waitcnt vmcnt(9) lgkmcnt(0)
	v_mul_f64 v[174:175], v[2:3], v[36:37]
	v_mul_f64 v[36:37], v[4:5], v[36:37]
	v_add_f64 v[164:165], v[164:165], v[152:153]
	v_add_f64 v[166:167], v[166:167], v[154:155]
	ds_load_b128 v[152:155], v1 offset:768
	v_fma_f64 v[162:163], v[162:163], v[30:31], v[168:169]
	v_fma_f64 v[160:161], v[160:161], v[30:31], -v[32:33]
	scratch_load_b128 v[30:33], off, off offset:336
	v_add_f64 v[164:165], v[164:165], v[172:173]
	v_add_f64 v[166:167], v[166:167], v[170:171]
	v_fma_f64 v[172:173], v[4:5], v[34:35], v[174:175]
	v_fma_f64 v[174:175], v[2:3], v[34:35], -v[36:37]
	scratch_load_b128 v[34:37], off, off offset:352
	ds_load_b128 v[2:5], v1 offset:784
	s_waitcnt vmcnt(9) lgkmcnt(1)
	v_mul_f64 v[168:169], v[152:153], v[158:159]
	v_mul_f64 v[170:171], v[154:155], v[158:159]
	v_add_f64 v[164:165], v[164:165], v[160:161]
	v_add_f64 v[162:163], v[166:167], v[162:163]
	ds_load_b128 v[158:161], v1 offset:800
	v_fma_f64 v[168:169], v[154:155], v[156:157], v[168:169]
	v_fma_f64 v[156:157], v[152:153], v[156:157], -v[170:171]
	scratch_load_b128 v[152:155], off, off offset:368
	s_waitcnt vmcnt(9) lgkmcnt(1)
	v_mul_f64 v[166:167], v[2:3], v[40:41]
	v_mul_f64 v[40:41], v[4:5], v[40:41]
	v_add_f64 v[164:165], v[164:165], v[174:175]
	v_add_f64 v[162:163], v[162:163], v[172:173]
	s_delay_alu instid0(VALU_DEP_4) | instskip(NEXT) | instid1(VALU_DEP_4)
	v_fma_f64 v[166:167], v[4:5], v[38:39], v[166:167]
	v_fma_f64 v[172:173], v[2:3], v[38:39], -v[40:41]
	scratch_load_b128 v[38:41], off, off offset:384
	ds_load_b128 v[2:5], v1 offset:816
	s_waitcnt vmcnt(9) lgkmcnt(1)
	v_mul_f64 v[170:171], v[158:159], v[8:9]
	v_mul_f64 v[8:9], v[160:161], v[8:9]
	s_waitcnt vmcnt(8) lgkmcnt(0)
	v_mul_f64 v[174:175], v[2:3], v[12:13]
	v_mul_f64 v[12:13], v[4:5], v[12:13]
	v_add_f64 v[156:157], v[164:165], v[156:157]
	v_add_f64 v[168:169], v[162:163], v[168:169]
	ds_load_b128 v[162:165], v1 offset:832
	v_fma_f64 v[160:161], v[160:161], v[6:7], v[170:171]
	v_fma_f64 v[158:159], v[158:159], v[6:7], -v[8:9]
	scratch_load_b128 v[6:9], off, off offset:400
	v_fma_f64 v[170:171], v[4:5], v[10:11], v[174:175]
	v_add_f64 v[156:157], v[156:157], v[172:173]
	v_add_f64 v[166:167], v[168:169], v[166:167]
	v_fma_f64 v[172:173], v[2:3], v[10:11], -v[12:13]
	scratch_load_b128 v[10:13], off, off offset:416
	ds_load_b128 v[2:5], v1 offset:848
	s_waitcnt vmcnt(9) lgkmcnt(1)
	v_mul_f64 v[168:169], v[162:163], v[16:17]
	v_mul_f64 v[16:17], v[164:165], v[16:17]
	v_add_f64 v[174:175], v[156:157], v[158:159]
	v_add_f64 v[160:161], v[166:167], v[160:161]
	s_waitcnt vmcnt(8) lgkmcnt(0)
	v_mul_f64 v[166:167], v[2:3], v[20:21]
	v_mul_f64 v[20:21], v[4:5], v[20:21]
	ds_load_b128 v[156:159], v1 offset:864
	v_fma_f64 v[164:165], v[164:165], v[14:15], v[168:169]
	v_fma_f64 v[162:163], v[162:163], v[14:15], -v[16:17]
	scratch_load_b128 v[14:17], off, off offset:432
	v_add_f64 v[168:169], v[174:175], v[172:173]
	v_add_f64 v[160:161], v[160:161], v[170:171]
	v_fma_f64 v[166:167], v[4:5], v[18:19], v[166:167]
	v_fma_f64 v[172:173], v[2:3], v[18:19], -v[20:21]
	scratch_load_b128 v[18:21], off, off offset:448
	ds_load_b128 v[2:5], v1 offset:880
	s_waitcnt vmcnt(9) lgkmcnt(1)
	v_mul_f64 v[170:171], v[156:157], v[24:25]
	v_mul_f64 v[24:25], v[158:159], v[24:25]
	s_waitcnt vmcnt(8) lgkmcnt(0)
	v_mul_f64 v[174:175], v[2:3], v[28:29]
	v_mul_f64 v[28:29], v[4:5], v[28:29]
	v_add_f64 v[168:169], v[168:169], v[162:163]
	v_add_f64 v[164:165], v[160:161], v[164:165]
	ds_load_b128 v[160:163], v1 offset:896
	v_fma_f64 v[158:159], v[158:159], v[22:23], v[170:171]
	v_fma_f64 v[156:157], v[156:157], v[22:23], -v[24:25]
	scratch_load_b128 v[22:25], off, off offset:464
	v_fma_f64 v[170:171], v[4:5], v[26:27], v[174:175]
	v_add_f64 v[168:169], v[168:169], v[172:173]
	v_add_f64 v[164:165], v[164:165], v[166:167]
	v_fma_f64 v[172:173], v[2:3], v[26:27], -v[28:29]
	scratch_load_b128 v[26:29], off, off offset:480
	ds_load_b128 v[2:5], v1 offset:912
	s_waitcnt vmcnt(9) lgkmcnt(1)
	v_mul_f64 v[166:167], v[160:161], v[32:33]
	v_mul_f64 v[32:33], v[162:163], v[32:33]
	s_waitcnt vmcnt(8) lgkmcnt(0)
	v_mul_f64 v[174:175], v[2:3], v[36:37]
	v_mul_f64 v[36:37], v[4:5], v[36:37]
	v_add_f64 v[168:169], v[168:169], v[156:157]
	v_add_f64 v[164:165], v[164:165], v[158:159]
	ds_load_b128 v[156:159], v1 offset:928
	v_fma_f64 v[162:163], v[162:163], v[30:31], v[166:167]
	v_fma_f64 v[160:161], v[160:161], v[30:31], -v[32:33]
	scratch_load_b128 v[30:33], off, off offset:496
	v_add_f64 v[166:167], v[168:169], v[172:173]
	v_add_f64 v[164:165], v[164:165], v[170:171]
	v_fma_f64 v[170:171], v[4:5], v[34:35], v[174:175]
	v_fma_f64 v[172:173], v[2:3], v[34:35], -v[36:37]
	scratch_load_b128 v[34:37], off, off offset:512
	ds_load_b128 v[2:5], v1 offset:944
	s_waitcnt vmcnt(9) lgkmcnt(1)
	v_mul_f64 v[168:169], v[156:157], v[154:155]
	v_mul_f64 v[154:155], v[158:159], v[154:155]
	s_waitcnt vmcnt(8) lgkmcnt(0)
	v_mul_f64 v[174:175], v[2:3], v[40:41]
	v_mul_f64 v[40:41], v[4:5], v[40:41]
	v_add_f64 v[166:167], v[166:167], v[160:161]
	v_add_f64 v[164:165], v[164:165], v[162:163]
	ds_load_b128 v[160:163], v1 offset:960
	v_fma_f64 v[158:159], v[158:159], v[152:153], v[168:169]
	v_fma_f64 v[156:157], v[156:157], v[152:153], -v[154:155]
	scratch_load_b128 v[152:155], off, off offset:528
	v_add_f64 v[166:167], v[166:167], v[172:173]
	v_add_f64 v[164:165], v[164:165], v[170:171]
	v_fma_f64 v[170:171], v[4:5], v[38:39], v[174:175]
	v_fma_f64 v[172:173], v[2:3], v[38:39], -v[40:41]
	scratch_load_b128 v[38:41], off, off offset:544
	ds_load_b128 v[2:5], v1 offset:976
	s_waitcnt vmcnt(9) lgkmcnt(1)
	v_mul_f64 v[168:169], v[160:161], v[8:9]
	v_mul_f64 v[8:9], v[162:163], v[8:9]
	s_waitcnt vmcnt(8) lgkmcnt(0)
	v_mul_f64 v[174:175], v[2:3], v[12:13]
	v_mul_f64 v[12:13], v[4:5], v[12:13]
	v_add_f64 v[166:167], v[166:167], v[156:157]
	v_add_f64 v[164:165], v[164:165], v[158:159]
	ds_load_b128 v[156:159], v1 offset:992
	v_fma_f64 v[162:163], v[162:163], v[6:7], v[168:169]
	v_fma_f64 v[6:7], v[160:161], v[6:7], -v[8:9]
	v_add_f64 v[8:9], v[166:167], v[172:173]
	v_add_f64 v[160:161], v[164:165], v[170:171]
	s_waitcnt vmcnt(7) lgkmcnt(0)
	v_mul_f64 v[164:165], v[156:157], v[16:17]
	v_mul_f64 v[16:17], v[158:159], v[16:17]
	v_fma_f64 v[166:167], v[4:5], v[10:11], v[174:175]
	v_fma_f64 v[10:11], v[2:3], v[10:11], -v[12:13]
	v_add_f64 v[12:13], v[8:9], v[6:7]
	v_add_f64 v[160:161], v[160:161], v[162:163]
	ds_load_b128 v[2:5], v1 offset:1008
	ds_load_b128 v[6:9], v1 offset:1024
	v_fma_f64 v[158:159], v[158:159], v[14:15], v[164:165]
	v_fma_f64 v[14:15], v[156:157], v[14:15], -v[16:17]
	s_waitcnt vmcnt(6) lgkmcnt(1)
	v_mul_f64 v[162:163], v[2:3], v[20:21]
	v_mul_f64 v[20:21], v[4:5], v[20:21]
	s_waitcnt vmcnt(5) lgkmcnt(0)
	v_mul_f64 v[16:17], v[6:7], v[24:25]
	v_mul_f64 v[24:25], v[8:9], v[24:25]
	v_add_f64 v[10:11], v[12:13], v[10:11]
	v_add_f64 v[12:13], v[160:161], v[166:167]
	v_fma_f64 v[156:157], v[4:5], v[18:19], v[162:163]
	v_fma_f64 v[18:19], v[2:3], v[18:19], -v[20:21]
	v_fma_f64 v[8:9], v[8:9], v[22:23], v[16:17]
	v_fma_f64 v[6:7], v[6:7], v[22:23], -v[24:25]
	v_add_f64 v[14:15], v[10:11], v[14:15]
	v_add_f64 v[20:21], v[12:13], v[158:159]
	ds_load_b128 v[2:5], v1 offset:1040
	ds_load_b128 v[10:13], v1 offset:1056
	s_waitcnt vmcnt(4) lgkmcnt(1)
	v_mul_f64 v[158:159], v[2:3], v[28:29]
	v_mul_f64 v[28:29], v[4:5], v[28:29]
	v_add_f64 v[14:15], v[14:15], v[18:19]
	v_add_f64 v[16:17], v[20:21], v[156:157]
	s_waitcnt vmcnt(3) lgkmcnt(0)
	v_mul_f64 v[18:19], v[10:11], v[32:33]
	v_mul_f64 v[20:21], v[12:13], v[32:33]
	v_fma_f64 v[22:23], v[4:5], v[26:27], v[158:159]
	v_fma_f64 v[24:25], v[2:3], v[26:27], -v[28:29]
	v_add_f64 v[14:15], v[14:15], v[6:7]
	v_add_f64 v[16:17], v[16:17], v[8:9]
	ds_load_b128 v[2:5], v1 offset:1072
	ds_load_b128 v[6:9], v1 offset:1088
	v_fma_f64 v[12:13], v[12:13], v[30:31], v[18:19]
	v_fma_f64 v[10:11], v[10:11], v[30:31], -v[20:21]
	s_waitcnt vmcnt(2) lgkmcnt(1)
	v_mul_f64 v[26:27], v[2:3], v[36:37]
	v_mul_f64 v[28:29], v[4:5], v[36:37]
	s_waitcnt vmcnt(1) lgkmcnt(0)
	v_mul_f64 v[18:19], v[6:7], v[154:155]
	v_mul_f64 v[20:21], v[8:9], v[154:155]
	v_add_f64 v[14:15], v[14:15], v[24:25]
	v_add_f64 v[16:17], v[16:17], v[22:23]
	v_fma_f64 v[22:23], v[4:5], v[34:35], v[26:27]
	v_fma_f64 v[24:25], v[2:3], v[34:35], -v[28:29]
	ds_load_b128 v[2:5], v1 offset:1104
	v_fma_f64 v[8:9], v[8:9], v[152:153], v[18:19]
	v_fma_f64 v[6:7], v[6:7], v[152:153], -v[20:21]
	v_add_f64 v[10:11], v[14:15], v[10:11]
	v_add_f64 v[12:13], v[16:17], v[12:13]
	s_waitcnt vmcnt(0) lgkmcnt(0)
	v_mul_f64 v[14:15], v[2:3], v[40:41]
	v_mul_f64 v[16:17], v[4:5], v[40:41]
	s_delay_alu instid0(VALU_DEP_4) | instskip(NEXT) | instid1(VALU_DEP_4)
	v_add_f64 v[10:11], v[10:11], v[24:25]
	v_add_f64 v[12:13], v[12:13], v[22:23]
	s_delay_alu instid0(VALU_DEP_4) | instskip(NEXT) | instid1(VALU_DEP_4)
	v_fma_f64 v[4:5], v[4:5], v[38:39], v[14:15]
	v_fma_f64 v[2:3], v[2:3], v[38:39], -v[16:17]
	s_delay_alu instid0(VALU_DEP_4) | instskip(NEXT) | instid1(VALU_DEP_4)
	v_add_f64 v[6:7], v[10:11], v[6:7]
	v_add_f64 v[8:9], v[12:13], v[8:9]
	s_delay_alu instid0(VALU_DEP_2) | instskip(NEXT) | instid1(VALU_DEP_2)
	v_add_f64 v[2:3], v[6:7], v[2:3]
	v_add_f64 v[4:5], v[8:9], v[4:5]
	s_delay_alu instid0(VALU_DEP_2) | instskip(NEXT) | instid1(VALU_DEP_2)
	v_add_f64 v[2:3], v[42:43], -v[2:3]
	v_add_f64 v[4:5], v[44:45], -v[4:5]
	scratch_store_b128 off, v[2:5], off offset:48
	v_cmpx_lt_u32_e32 2, v116
	s_cbranch_execz .LBB34_219
; %bb.218:
	scratch_load_b128 v[5:8], v119, off
	v_mov_b32_e32 v2, v1
	v_mov_b32_e32 v3, v1
	;; [unrolled: 1-line block ×3, first 2 shown]
	scratch_store_b128 off, v[1:4], off offset:32
	s_waitcnt vmcnt(0)
	ds_store_b128 v151, v[5:8]
.LBB34_219:
	s_or_b32 exec_lo, exec_lo, s2
	s_waitcnt lgkmcnt(0)
	s_waitcnt_vscnt null, 0x0
	s_barrier
	buffer_gl0_inv
	s_clause 0x8
	scratch_load_b128 v[2:5], off, off offset:48
	scratch_load_b128 v[6:9], off, off offset:64
	;; [unrolled: 1-line block ×9, first 2 shown]
	ds_load_b128 v[42:45], v1 offset:608
	ds_load_b128 v[38:41], v1 offset:624
	s_clause 0x1
	scratch_load_b128 v[152:155], off, off offset:32
	scratch_load_b128 v[156:159], off, off offset:192
	s_mov_b32 s2, exec_lo
	s_waitcnt vmcnt(10) lgkmcnt(1)
	v_mul_f64 v[160:161], v[44:45], v[4:5]
	v_mul_f64 v[4:5], v[42:43], v[4:5]
	s_waitcnt vmcnt(9) lgkmcnt(0)
	v_mul_f64 v[164:165], v[38:39], v[8:9]
	v_mul_f64 v[8:9], v[40:41], v[8:9]
	s_delay_alu instid0(VALU_DEP_4) | instskip(NEXT) | instid1(VALU_DEP_4)
	v_fma_f64 v[166:167], v[42:43], v[2:3], -v[160:161]
	v_fma_f64 v[168:169], v[44:45], v[2:3], v[4:5]
	ds_load_b128 v[2:5], v1 offset:640
	ds_load_b128 v[160:163], v1 offset:656
	scratch_load_b128 v[42:45], off, off offset:208
	v_fma_f64 v[40:41], v[40:41], v[6:7], v[164:165]
	v_fma_f64 v[38:39], v[38:39], v[6:7], -v[8:9]
	scratch_load_b128 v[6:9], off, off offset:224
	s_waitcnt vmcnt(10) lgkmcnt(1)
	v_mul_f64 v[170:171], v[2:3], v[12:13]
	v_mul_f64 v[12:13], v[4:5], v[12:13]
	v_add_f64 v[164:165], v[166:167], 0
	v_add_f64 v[166:167], v[168:169], 0
	s_waitcnt vmcnt(9) lgkmcnt(0)
	v_mul_f64 v[168:169], v[160:161], v[16:17]
	v_mul_f64 v[16:17], v[162:163], v[16:17]
	v_fma_f64 v[170:171], v[4:5], v[10:11], v[170:171]
	v_fma_f64 v[172:173], v[2:3], v[10:11], -v[12:13]
	ds_load_b128 v[2:5], v1 offset:672
	scratch_load_b128 v[10:13], off, off offset:240
	v_add_f64 v[164:165], v[164:165], v[38:39]
	v_add_f64 v[166:167], v[166:167], v[40:41]
	ds_load_b128 v[38:41], v1 offset:688
	v_fma_f64 v[162:163], v[162:163], v[14:15], v[168:169]
	v_fma_f64 v[160:161], v[160:161], v[14:15], -v[16:17]
	scratch_load_b128 v[14:17], off, off offset:256
	s_waitcnt vmcnt(10) lgkmcnt(1)
	v_mul_f64 v[174:175], v[2:3], v[20:21]
	v_mul_f64 v[20:21], v[4:5], v[20:21]
	s_waitcnt vmcnt(9) lgkmcnt(0)
	v_mul_f64 v[168:169], v[38:39], v[24:25]
	v_mul_f64 v[24:25], v[40:41], v[24:25]
	v_add_f64 v[164:165], v[164:165], v[172:173]
	v_add_f64 v[166:167], v[166:167], v[170:171]
	v_fma_f64 v[170:171], v[4:5], v[18:19], v[174:175]
	v_fma_f64 v[172:173], v[2:3], v[18:19], -v[20:21]
	ds_load_b128 v[2:5], v1 offset:704
	scratch_load_b128 v[18:21], off, off offset:272
	v_fma_f64 v[40:41], v[40:41], v[22:23], v[168:169]
	v_fma_f64 v[38:39], v[38:39], v[22:23], -v[24:25]
	scratch_load_b128 v[22:25], off, off offset:288
	v_add_f64 v[164:165], v[164:165], v[160:161]
	v_add_f64 v[166:167], v[166:167], v[162:163]
	ds_load_b128 v[160:163], v1 offset:720
	s_waitcnt vmcnt(10) lgkmcnt(1)
	v_mul_f64 v[174:175], v[2:3], v[28:29]
	v_mul_f64 v[28:29], v[4:5], v[28:29]
	s_waitcnt vmcnt(9) lgkmcnt(0)
	v_mul_f64 v[168:169], v[160:161], v[32:33]
	v_mul_f64 v[32:33], v[162:163], v[32:33]
	v_add_f64 v[164:165], v[164:165], v[172:173]
	v_add_f64 v[166:167], v[166:167], v[170:171]
	v_fma_f64 v[170:171], v[4:5], v[26:27], v[174:175]
	v_fma_f64 v[172:173], v[2:3], v[26:27], -v[28:29]
	ds_load_b128 v[2:5], v1 offset:736
	scratch_load_b128 v[26:29], off, off offset:304
	v_fma_f64 v[162:163], v[162:163], v[30:31], v[168:169]
	v_fma_f64 v[160:161], v[160:161], v[30:31], -v[32:33]
	scratch_load_b128 v[30:33], off, off offset:320
	v_add_f64 v[164:165], v[164:165], v[38:39]
	v_add_f64 v[166:167], v[166:167], v[40:41]
	ds_load_b128 v[38:41], v1 offset:752
	s_waitcnt vmcnt(10) lgkmcnt(1)
	v_mul_f64 v[174:175], v[2:3], v[36:37]
	v_mul_f64 v[36:37], v[4:5], v[36:37]
	s_waitcnt vmcnt(8) lgkmcnt(0)
	v_mul_f64 v[168:169], v[38:39], v[158:159]
	v_add_f64 v[164:165], v[164:165], v[172:173]
	v_add_f64 v[166:167], v[166:167], v[170:171]
	v_mul_f64 v[170:171], v[40:41], v[158:159]
	v_fma_f64 v[172:173], v[4:5], v[34:35], v[174:175]
	v_fma_f64 v[174:175], v[2:3], v[34:35], -v[36:37]
	ds_load_b128 v[2:5], v1 offset:768
	scratch_load_b128 v[34:37], off, off offset:336
	v_fma_f64 v[168:169], v[40:41], v[156:157], v[168:169]
	v_add_f64 v[164:165], v[164:165], v[160:161]
	v_add_f64 v[162:163], v[166:167], v[162:163]
	ds_load_b128 v[158:161], v1 offset:784
	v_fma_f64 v[156:157], v[38:39], v[156:157], -v[170:171]
	scratch_load_b128 v[38:41], off, off offset:352
	s_waitcnt vmcnt(9) lgkmcnt(1)
	v_mul_f64 v[166:167], v[2:3], v[44:45]
	v_mul_f64 v[44:45], v[4:5], v[44:45]
	s_waitcnt vmcnt(8) lgkmcnt(0)
	v_mul_f64 v[170:171], v[158:159], v[8:9]
	v_mul_f64 v[8:9], v[160:161], v[8:9]
	v_add_f64 v[164:165], v[164:165], v[174:175]
	v_add_f64 v[162:163], v[162:163], v[172:173]
	v_fma_f64 v[166:167], v[4:5], v[42:43], v[166:167]
	v_fma_f64 v[172:173], v[2:3], v[42:43], -v[44:45]
	ds_load_b128 v[2:5], v1 offset:800
	scratch_load_b128 v[42:45], off, off offset:368
	v_fma_f64 v[160:161], v[160:161], v[6:7], v[170:171]
	v_fma_f64 v[158:159], v[158:159], v[6:7], -v[8:9]
	scratch_load_b128 v[6:9], off, off offset:384
	v_add_f64 v[156:157], v[164:165], v[156:157]
	v_add_f64 v[168:169], v[162:163], v[168:169]
	ds_load_b128 v[162:165], v1 offset:816
	s_waitcnt vmcnt(9) lgkmcnt(1)
	v_mul_f64 v[174:175], v[2:3], v[12:13]
	v_mul_f64 v[12:13], v[4:5], v[12:13]
	v_add_f64 v[156:157], v[156:157], v[172:173]
	v_add_f64 v[166:167], v[168:169], v[166:167]
	s_waitcnt vmcnt(8) lgkmcnt(0)
	v_mul_f64 v[168:169], v[162:163], v[16:17]
	v_mul_f64 v[16:17], v[164:165], v[16:17]
	v_fma_f64 v[170:171], v[4:5], v[10:11], v[174:175]
	v_fma_f64 v[172:173], v[2:3], v[10:11], -v[12:13]
	ds_load_b128 v[2:5], v1 offset:832
	scratch_load_b128 v[10:13], off, off offset:400
	v_add_f64 v[174:175], v[156:157], v[158:159]
	v_add_f64 v[160:161], v[166:167], v[160:161]
	ds_load_b128 v[156:159], v1 offset:848
	s_waitcnt vmcnt(8) lgkmcnt(1)
	v_mul_f64 v[166:167], v[2:3], v[20:21]
	v_mul_f64 v[20:21], v[4:5], v[20:21]
	v_fma_f64 v[164:165], v[164:165], v[14:15], v[168:169]
	v_fma_f64 v[162:163], v[162:163], v[14:15], -v[16:17]
	scratch_load_b128 v[14:17], off, off offset:416
	v_add_f64 v[168:169], v[174:175], v[172:173]
	v_add_f64 v[160:161], v[160:161], v[170:171]
	s_waitcnt vmcnt(8) lgkmcnt(0)
	v_mul_f64 v[170:171], v[156:157], v[24:25]
	v_mul_f64 v[24:25], v[158:159], v[24:25]
	v_fma_f64 v[166:167], v[4:5], v[18:19], v[166:167]
	v_fma_f64 v[172:173], v[2:3], v[18:19], -v[20:21]
	ds_load_b128 v[2:5], v1 offset:864
	scratch_load_b128 v[18:21], off, off offset:432
	v_add_f64 v[168:169], v[168:169], v[162:163]
	v_add_f64 v[164:165], v[160:161], v[164:165]
	ds_load_b128 v[160:163], v1 offset:880
	s_waitcnt vmcnt(8) lgkmcnt(1)
	v_mul_f64 v[174:175], v[2:3], v[28:29]
	v_mul_f64 v[28:29], v[4:5], v[28:29]
	v_fma_f64 v[158:159], v[158:159], v[22:23], v[170:171]
	v_fma_f64 v[156:157], v[156:157], v[22:23], -v[24:25]
	scratch_load_b128 v[22:25], off, off offset:448
	;; [unrolled: 18-line block ×4, first 2 shown]
	s_waitcnt vmcnt(8) lgkmcnt(0)
	v_mul_f64 v[168:169], v[160:161], v[8:9]
	v_mul_f64 v[8:9], v[162:163], v[8:9]
	v_add_f64 v[166:167], v[166:167], v[172:173]
	v_add_f64 v[164:165], v[164:165], v[170:171]
	v_fma_f64 v[170:171], v[4:5], v[42:43], v[174:175]
	v_fma_f64 v[172:173], v[2:3], v[42:43], -v[44:45]
	ds_load_b128 v[2:5], v1 offset:960
	scratch_load_b128 v[42:45], off, off offset:528
	v_fma_f64 v[162:163], v[162:163], v[6:7], v[168:169]
	v_fma_f64 v[160:161], v[160:161], v[6:7], -v[8:9]
	scratch_load_b128 v[6:9], off, off offset:544
	v_add_f64 v[166:167], v[166:167], v[156:157]
	v_add_f64 v[164:165], v[164:165], v[158:159]
	ds_load_b128 v[156:159], v1 offset:976
	s_waitcnt vmcnt(9) lgkmcnt(1)
	v_mul_f64 v[174:175], v[2:3], v[12:13]
	v_mul_f64 v[12:13], v[4:5], v[12:13]
	s_waitcnt vmcnt(8) lgkmcnt(0)
	v_mul_f64 v[168:169], v[156:157], v[16:17]
	v_mul_f64 v[16:17], v[158:159], v[16:17]
	v_add_f64 v[166:167], v[166:167], v[172:173]
	v_add_f64 v[164:165], v[164:165], v[170:171]
	v_fma_f64 v[170:171], v[4:5], v[10:11], v[174:175]
	v_fma_f64 v[172:173], v[2:3], v[10:11], -v[12:13]
	ds_load_b128 v[2:5], v1 offset:992
	ds_load_b128 v[10:13], v1 offset:1008
	v_fma_f64 v[158:159], v[158:159], v[14:15], v[168:169]
	v_fma_f64 v[14:15], v[156:157], v[14:15], -v[16:17]
	v_add_f64 v[160:161], v[166:167], v[160:161]
	v_add_f64 v[162:163], v[164:165], v[162:163]
	s_waitcnt vmcnt(7) lgkmcnt(1)
	v_mul_f64 v[164:165], v[2:3], v[20:21]
	v_mul_f64 v[20:21], v[4:5], v[20:21]
	s_delay_alu instid0(VALU_DEP_4) | instskip(NEXT) | instid1(VALU_DEP_4)
	v_add_f64 v[16:17], v[160:161], v[172:173]
	v_add_f64 v[156:157], v[162:163], v[170:171]
	s_waitcnt vmcnt(6) lgkmcnt(0)
	v_mul_f64 v[160:161], v[10:11], v[24:25]
	v_mul_f64 v[24:25], v[12:13], v[24:25]
	v_fma_f64 v[162:163], v[4:5], v[18:19], v[164:165]
	v_fma_f64 v[18:19], v[2:3], v[18:19], -v[20:21]
	v_add_f64 v[20:21], v[16:17], v[14:15]
	v_add_f64 v[156:157], v[156:157], v[158:159]
	ds_load_b128 v[2:5], v1 offset:1024
	ds_load_b128 v[14:17], v1 offset:1040
	v_fma_f64 v[12:13], v[12:13], v[22:23], v[160:161]
	v_fma_f64 v[10:11], v[10:11], v[22:23], -v[24:25]
	s_waitcnt vmcnt(5) lgkmcnt(1)
	v_mul_f64 v[158:159], v[2:3], v[28:29]
	v_mul_f64 v[28:29], v[4:5], v[28:29]
	s_waitcnt vmcnt(4) lgkmcnt(0)
	v_mul_f64 v[22:23], v[14:15], v[32:33]
	v_mul_f64 v[24:25], v[16:17], v[32:33]
	v_add_f64 v[18:19], v[20:21], v[18:19]
	v_add_f64 v[20:21], v[156:157], v[162:163]
	v_fma_f64 v[32:33], v[4:5], v[26:27], v[158:159]
	v_fma_f64 v[26:27], v[2:3], v[26:27], -v[28:29]
	v_fma_f64 v[16:17], v[16:17], v[30:31], v[22:23]
	v_fma_f64 v[14:15], v[14:15], v[30:31], -v[24:25]
	v_add_f64 v[18:19], v[18:19], v[10:11]
	v_add_f64 v[20:21], v[20:21], v[12:13]
	ds_load_b128 v[2:5], v1 offset:1056
	ds_load_b128 v[10:13], v1 offset:1072
	s_waitcnt vmcnt(3) lgkmcnt(1)
	v_mul_f64 v[28:29], v[2:3], v[36:37]
	v_mul_f64 v[36:37], v[4:5], v[36:37]
	s_waitcnt vmcnt(2) lgkmcnt(0)
	v_mul_f64 v[22:23], v[10:11], v[40:41]
	v_mul_f64 v[24:25], v[12:13], v[40:41]
	v_add_f64 v[18:19], v[18:19], v[26:27]
	v_add_f64 v[20:21], v[20:21], v[32:33]
	v_fma_f64 v[26:27], v[4:5], v[34:35], v[28:29]
	v_fma_f64 v[28:29], v[2:3], v[34:35], -v[36:37]
	v_fma_f64 v[12:13], v[12:13], v[38:39], v[22:23]
	v_fma_f64 v[10:11], v[10:11], v[38:39], -v[24:25]
	v_add_f64 v[18:19], v[18:19], v[14:15]
	v_add_f64 v[20:21], v[20:21], v[16:17]
	ds_load_b128 v[2:5], v1 offset:1088
	ds_load_b128 v[14:17], v1 offset:1104
	s_waitcnt vmcnt(1) lgkmcnt(1)
	v_mul_f64 v[30:31], v[2:3], v[44:45]
	v_mul_f64 v[32:33], v[4:5], v[44:45]
	s_waitcnt vmcnt(0) lgkmcnt(0)
	v_mul_f64 v[22:23], v[14:15], v[8:9]
	v_mul_f64 v[8:9], v[16:17], v[8:9]
	v_add_f64 v[18:19], v[18:19], v[28:29]
	v_add_f64 v[20:21], v[20:21], v[26:27]
	v_fma_f64 v[4:5], v[4:5], v[42:43], v[30:31]
	v_fma_f64 v[1:2], v[2:3], v[42:43], -v[32:33]
	v_fma_f64 v[16:17], v[16:17], v[6:7], v[22:23]
	v_fma_f64 v[6:7], v[14:15], v[6:7], -v[8:9]
	v_add_f64 v[10:11], v[18:19], v[10:11]
	v_add_f64 v[12:13], v[20:21], v[12:13]
	s_delay_alu instid0(VALU_DEP_2) | instskip(NEXT) | instid1(VALU_DEP_2)
	v_add_f64 v[1:2], v[10:11], v[1:2]
	v_add_f64 v[3:4], v[12:13], v[4:5]
	s_delay_alu instid0(VALU_DEP_2) | instskip(NEXT) | instid1(VALU_DEP_2)
	;; [unrolled: 3-line block ×3, first 2 shown]
	v_add_f64 v[1:2], v[152:153], -v[1:2]
	v_add_f64 v[3:4], v[154:155], -v[3:4]
	scratch_store_b128 off, v[1:4], off offset:32
	v_cmpx_lt_u32_e32 1, v116
	s_cbranch_execz .LBB34_221
; %bb.220:
	scratch_load_b128 v[1:4], v120, off
	v_mov_b32_e32 v5, 0
	s_delay_alu instid0(VALU_DEP_1)
	v_mov_b32_e32 v6, v5
	v_mov_b32_e32 v7, v5
	;; [unrolled: 1-line block ×3, first 2 shown]
	scratch_store_b128 off, v[5:8], off offset:16
	s_waitcnt vmcnt(0)
	ds_store_b128 v151, v[1:4]
.LBB34_221:
	s_or_b32 exec_lo, exec_lo, s2
	s_waitcnt lgkmcnt(0)
	s_waitcnt_vscnt null, 0x0
	s_barrier
	buffer_gl0_inv
	s_clause 0x7
	scratch_load_b128 v[2:5], off, off offset:32
	scratch_load_b128 v[6:9], off, off offset:48
	scratch_load_b128 v[10:13], off, off offset:64
	scratch_load_b128 v[14:17], off, off offset:80
	scratch_load_b128 v[18:21], off, off offset:96
	scratch_load_b128 v[22:25], off, off offset:112
	scratch_load_b128 v[26:29], off, off offset:128
	scratch_load_b128 v[30:33], off, off offset:144
	v_mov_b32_e32 v1, 0
	s_mov_b32 s2, exec_lo
	ds_load_b128 v[38:41], v1 offset:592
	s_clause 0x1
	scratch_load_b128 v[34:37], off, off offset:160
	scratch_load_b128 v[42:45], off, off offset:16
	ds_load_b128 v[152:155], v1 offset:608
	scratch_load_b128 v[156:159], off, off offset:176
	s_waitcnt vmcnt(10) lgkmcnt(1)
	v_mul_f64 v[160:161], v[40:41], v[4:5]
	v_mul_f64 v[4:5], v[38:39], v[4:5]
	s_delay_alu instid0(VALU_DEP_2) | instskip(NEXT) | instid1(VALU_DEP_2)
	v_fma_f64 v[166:167], v[38:39], v[2:3], -v[160:161]
	v_fma_f64 v[168:169], v[40:41], v[2:3], v[4:5]
	scratch_load_b128 v[38:41], off, off offset:192
	ds_load_b128 v[2:5], v1 offset:624
	s_waitcnt vmcnt(10) lgkmcnt(1)
	v_mul_f64 v[164:165], v[152:153], v[8:9]
	v_mul_f64 v[8:9], v[154:155], v[8:9]
	ds_load_b128 v[160:163], v1 offset:640
	s_waitcnt vmcnt(9) lgkmcnt(1)
	v_mul_f64 v[170:171], v[2:3], v[12:13]
	v_mul_f64 v[12:13], v[4:5], v[12:13]
	v_fma_f64 v[154:155], v[154:155], v[6:7], v[164:165]
	v_fma_f64 v[152:153], v[152:153], v[6:7], -v[8:9]
	v_add_f64 v[164:165], v[166:167], 0
	v_add_f64 v[166:167], v[168:169], 0
	scratch_load_b128 v[6:9], off, off offset:208
	v_fma_f64 v[170:171], v[4:5], v[10:11], v[170:171]
	v_fma_f64 v[172:173], v[2:3], v[10:11], -v[12:13]
	scratch_load_b128 v[10:13], off, off offset:224
	ds_load_b128 v[2:5], v1 offset:656
	s_waitcnt vmcnt(10) lgkmcnt(1)
	v_mul_f64 v[168:169], v[160:161], v[16:17]
	v_mul_f64 v[16:17], v[162:163], v[16:17]
	v_add_f64 v[164:165], v[164:165], v[152:153]
	v_add_f64 v[166:167], v[166:167], v[154:155]
	s_waitcnt vmcnt(9) lgkmcnt(0)
	v_mul_f64 v[174:175], v[2:3], v[20:21]
	v_mul_f64 v[20:21], v[4:5], v[20:21]
	ds_load_b128 v[152:155], v1 offset:672
	v_fma_f64 v[162:163], v[162:163], v[14:15], v[168:169]
	v_fma_f64 v[160:161], v[160:161], v[14:15], -v[16:17]
	scratch_load_b128 v[14:17], off, off offset:240
	v_add_f64 v[164:165], v[164:165], v[172:173]
	v_add_f64 v[166:167], v[166:167], v[170:171]
	v_fma_f64 v[170:171], v[4:5], v[18:19], v[174:175]
	v_fma_f64 v[172:173], v[2:3], v[18:19], -v[20:21]
	scratch_load_b128 v[18:21], off, off offset:256
	ds_load_b128 v[2:5], v1 offset:688
	s_waitcnt vmcnt(10) lgkmcnt(1)
	v_mul_f64 v[168:169], v[152:153], v[24:25]
	v_mul_f64 v[24:25], v[154:155], v[24:25]
	s_waitcnt vmcnt(9) lgkmcnt(0)
	v_mul_f64 v[174:175], v[2:3], v[28:29]
	v_mul_f64 v[28:29], v[4:5], v[28:29]
	v_add_f64 v[164:165], v[164:165], v[160:161]
	v_add_f64 v[166:167], v[166:167], v[162:163]
	ds_load_b128 v[160:163], v1 offset:704
	v_fma_f64 v[154:155], v[154:155], v[22:23], v[168:169]
	v_fma_f64 v[152:153], v[152:153], v[22:23], -v[24:25]
	scratch_load_b128 v[22:25], off, off offset:272
	v_add_f64 v[164:165], v[164:165], v[172:173]
	v_add_f64 v[166:167], v[166:167], v[170:171]
	v_fma_f64 v[170:171], v[4:5], v[26:27], v[174:175]
	v_fma_f64 v[172:173], v[2:3], v[26:27], -v[28:29]
	scratch_load_b128 v[26:29], off, off offset:288
	ds_load_b128 v[2:5], v1 offset:720
	s_waitcnt vmcnt(10) lgkmcnt(1)
	v_mul_f64 v[168:169], v[160:161], v[32:33]
	v_mul_f64 v[32:33], v[162:163], v[32:33]
	s_waitcnt vmcnt(9) lgkmcnt(0)
	v_mul_f64 v[174:175], v[2:3], v[36:37]
	v_mul_f64 v[36:37], v[4:5], v[36:37]
	v_add_f64 v[164:165], v[164:165], v[152:153]
	v_add_f64 v[166:167], v[166:167], v[154:155]
	ds_load_b128 v[152:155], v1 offset:736
	v_fma_f64 v[162:163], v[162:163], v[30:31], v[168:169]
	v_fma_f64 v[160:161], v[160:161], v[30:31], -v[32:33]
	scratch_load_b128 v[30:33], off, off offset:304
	v_add_f64 v[164:165], v[164:165], v[172:173]
	v_add_f64 v[166:167], v[166:167], v[170:171]
	v_fma_f64 v[172:173], v[4:5], v[34:35], v[174:175]
	v_fma_f64 v[174:175], v[2:3], v[34:35], -v[36:37]
	scratch_load_b128 v[34:37], off, off offset:320
	ds_load_b128 v[2:5], v1 offset:752
	s_waitcnt vmcnt(9) lgkmcnt(1)
	v_mul_f64 v[168:169], v[152:153], v[158:159]
	v_mul_f64 v[170:171], v[154:155], v[158:159]
	v_add_f64 v[164:165], v[164:165], v[160:161]
	v_add_f64 v[162:163], v[166:167], v[162:163]
	ds_load_b128 v[158:161], v1 offset:768
	v_fma_f64 v[168:169], v[154:155], v[156:157], v[168:169]
	v_fma_f64 v[156:157], v[152:153], v[156:157], -v[170:171]
	scratch_load_b128 v[152:155], off, off offset:336
	s_waitcnt vmcnt(9) lgkmcnt(1)
	v_mul_f64 v[166:167], v[2:3], v[40:41]
	v_mul_f64 v[40:41], v[4:5], v[40:41]
	v_add_f64 v[164:165], v[164:165], v[174:175]
	v_add_f64 v[162:163], v[162:163], v[172:173]
	s_delay_alu instid0(VALU_DEP_4) | instskip(NEXT) | instid1(VALU_DEP_4)
	v_fma_f64 v[166:167], v[4:5], v[38:39], v[166:167]
	v_fma_f64 v[172:173], v[2:3], v[38:39], -v[40:41]
	scratch_load_b128 v[38:41], off, off offset:352
	ds_load_b128 v[2:5], v1 offset:784
	s_waitcnt vmcnt(9) lgkmcnt(1)
	v_mul_f64 v[170:171], v[158:159], v[8:9]
	v_mul_f64 v[8:9], v[160:161], v[8:9]
	s_waitcnt vmcnt(8) lgkmcnt(0)
	v_mul_f64 v[174:175], v[2:3], v[12:13]
	v_mul_f64 v[12:13], v[4:5], v[12:13]
	v_add_f64 v[156:157], v[164:165], v[156:157]
	v_add_f64 v[168:169], v[162:163], v[168:169]
	ds_load_b128 v[162:165], v1 offset:800
	v_fma_f64 v[160:161], v[160:161], v[6:7], v[170:171]
	v_fma_f64 v[158:159], v[158:159], v[6:7], -v[8:9]
	scratch_load_b128 v[6:9], off, off offset:368
	v_fma_f64 v[170:171], v[4:5], v[10:11], v[174:175]
	v_add_f64 v[156:157], v[156:157], v[172:173]
	v_add_f64 v[166:167], v[168:169], v[166:167]
	v_fma_f64 v[172:173], v[2:3], v[10:11], -v[12:13]
	scratch_load_b128 v[10:13], off, off offset:384
	ds_load_b128 v[2:5], v1 offset:816
	s_waitcnt vmcnt(9) lgkmcnt(1)
	v_mul_f64 v[168:169], v[162:163], v[16:17]
	v_mul_f64 v[16:17], v[164:165], v[16:17]
	v_add_f64 v[174:175], v[156:157], v[158:159]
	v_add_f64 v[160:161], v[166:167], v[160:161]
	s_waitcnt vmcnt(8) lgkmcnt(0)
	v_mul_f64 v[166:167], v[2:3], v[20:21]
	v_mul_f64 v[20:21], v[4:5], v[20:21]
	ds_load_b128 v[156:159], v1 offset:832
	v_fma_f64 v[164:165], v[164:165], v[14:15], v[168:169]
	v_fma_f64 v[162:163], v[162:163], v[14:15], -v[16:17]
	scratch_load_b128 v[14:17], off, off offset:400
	v_add_f64 v[168:169], v[174:175], v[172:173]
	v_add_f64 v[160:161], v[160:161], v[170:171]
	v_fma_f64 v[166:167], v[4:5], v[18:19], v[166:167]
	v_fma_f64 v[172:173], v[2:3], v[18:19], -v[20:21]
	scratch_load_b128 v[18:21], off, off offset:416
	ds_load_b128 v[2:5], v1 offset:848
	s_waitcnt vmcnt(9) lgkmcnt(1)
	v_mul_f64 v[170:171], v[156:157], v[24:25]
	v_mul_f64 v[24:25], v[158:159], v[24:25]
	s_waitcnt vmcnt(8) lgkmcnt(0)
	v_mul_f64 v[174:175], v[2:3], v[28:29]
	v_mul_f64 v[28:29], v[4:5], v[28:29]
	v_add_f64 v[168:169], v[168:169], v[162:163]
	v_add_f64 v[164:165], v[160:161], v[164:165]
	ds_load_b128 v[160:163], v1 offset:864
	v_fma_f64 v[158:159], v[158:159], v[22:23], v[170:171]
	v_fma_f64 v[156:157], v[156:157], v[22:23], -v[24:25]
	scratch_load_b128 v[22:25], off, off offset:432
	v_fma_f64 v[170:171], v[4:5], v[26:27], v[174:175]
	v_add_f64 v[168:169], v[168:169], v[172:173]
	v_add_f64 v[164:165], v[164:165], v[166:167]
	v_fma_f64 v[172:173], v[2:3], v[26:27], -v[28:29]
	scratch_load_b128 v[26:29], off, off offset:448
	ds_load_b128 v[2:5], v1 offset:880
	s_waitcnt vmcnt(9) lgkmcnt(1)
	v_mul_f64 v[166:167], v[160:161], v[32:33]
	v_mul_f64 v[32:33], v[162:163], v[32:33]
	s_waitcnt vmcnt(8) lgkmcnt(0)
	v_mul_f64 v[174:175], v[2:3], v[36:37]
	v_mul_f64 v[36:37], v[4:5], v[36:37]
	v_add_f64 v[168:169], v[168:169], v[156:157]
	v_add_f64 v[164:165], v[164:165], v[158:159]
	ds_load_b128 v[156:159], v1 offset:896
	v_fma_f64 v[162:163], v[162:163], v[30:31], v[166:167]
	v_fma_f64 v[160:161], v[160:161], v[30:31], -v[32:33]
	scratch_load_b128 v[30:33], off, off offset:464
	v_add_f64 v[166:167], v[168:169], v[172:173]
	v_add_f64 v[164:165], v[164:165], v[170:171]
	v_fma_f64 v[170:171], v[4:5], v[34:35], v[174:175]
	v_fma_f64 v[172:173], v[2:3], v[34:35], -v[36:37]
	scratch_load_b128 v[34:37], off, off offset:480
	ds_load_b128 v[2:5], v1 offset:912
	s_waitcnt vmcnt(9) lgkmcnt(1)
	v_mul_f64 v[168:169], v[156:157], v[154:155]
	v_mul_f64 v[154:155], v[158:159], v[154:155]
	s_waitcnt vmcnt(8) lgkmcnt(0)
	v_mul_f64 v[174:175], v[2:3], v[40:41]
	v_mul_f64 v[40:41], v[4:5], v[40:41]
	v_add_f64 v[166:167], v[166:167], v[160:161]
	v_add_f64 v[164:165], v[164:165], v[162:163]
	ds_load_b128 v[160:163], v1 offset:928
	v_fma_f64 v[158:159], v[158:159], v[152:153], v[168:169]
	v_fma_f64 v[156:157], v[156:157], v[152:153], -v[154:155]
	scratch_load_b128 v[152:155], off, off offset:496
	v_add_f64 v[166:167], v[166:167], v[172:173]
	v_add_f64 v[164:165], v[164:165], v[170:171]
	v_fma_f64 v[170:171], v[4:5], v[38:39], v[174:175]
	;; [unrolled: 18-line block ×3, first 2 shown]
	v_fma_f64 v[172:173], v[2:3], v[10:11], -v[12:13]
	scratch_load_b128 v[10:13], off, off offset:544
	ds_load_b128 v[2:5], v1 offset:976
	s_waitcnt vmcnt(9) lgkmcnt(1)
	v_mul_f64 v[168:169], v[156:157], v[16:17]
	v_mul_f64 v[16:17], v[158:159], v[16:17]
	s_waitcnt vmcnt(8) lgkmcnt(0)
	v_mul_f64 v[174:175], v[2:3], v[20:21]
	v_mul_f64 v[20:21], v[4:5], v[20:21]
	v_add_f64 v[166:167], v[166:167], v[160:161]
	v_add_f64 v[164:165], v[164:165], v[162:163]
	ds_load_b128 v[160:163], v1 offset:992
	v_fma_f64 v[158:159], v[158:159], v[14:15], v[168:169]
	v_fma_f64 v[14:15], v[156:157], v[14:15], -v[16:17]
	v_add_f64 v[16:17], v[166:167], v[172:173]
	v_add_f64 v[156:157], v[164:165], v[170:171]
	s_waitcnt vmcnt(7) lgkmcnt(0)
	v_mul_f64 v[164:165], v[160:161], v[24:25]
	v_mul_f64 v[24:25], v[162:163], v[24:25]
	v_fma_f64 v[166:167], v[4:5], v[18:19], v[174:175]
	v_fma_f64 v[18:19], v[2:3], v[18:19], -v[20:21]
	v_add_f64 v[20:21], v[16:17], v[14:15]
	v_add_f64 v[156:157], v[156:157], v[158:159]
	ds_load_b128 v[2:5], v1 offset:1008
	ds_load_b128 v[14:17], v1 offset:1024
	v_fma_f64 v[162:163], v[162:163], v[22:23], v[164:165]
	v_fma_f64 v[22:23], v[160:161], v[22:23], -v[24:25]
	s_waitcnt vmcnt(6) lgkmcnt(1)
	v_mul_f64 v[158:159], v[2:3], v[28:29]
	v_mul_f64 v[28:29], v[4:5], v[28:29]
	s_waitcnt vmcnt(5) lgkmcnt(0)
	v_mul_f64 v[24:25], v[14:15], v[32:33]
	v_mul_f64 v[32:33], v[16:17], v[32:33]
	v_add_f64 v[18:19], v[20:21], v[18:19]
	v_add_f64 v[20:21], v[156:157], v[166:167]
	v_fma_f64 v[156:157], v[4:5], v[26:27], v[158:159]
	v_fma_f64 v[26:27], v[2:3], v[26:27], -v[28:29]
	v_fma_f64 v[16:17], v[16:17], v[30:31], v[24:25]
	v_fma_f64 v[14:15], v[14:15], v[30:31], -v[32:33]
	v_add_f64 v[22:23], v[18:19], v[22:23]
	v_add_f64 v[28:29], v[20:21], v[162:163]
	ds_load_b128 v[2:5], v1 offset:1040
	ds_load_b128 v[18:21], v1 offset:1056
	s_waitcnt vmcnt(4) lgkmcnt(1)
	v_mul_f64 v[158:159], v[2:3], v[36:37]
	v_mul_f64 v[36:37], v[4:5], v[36:37]
	v_add_f64 v[22:23], v[22:23], v[26:27]
	v_add_f64 v[24:25], v[28:29], v[156:157]
	s_waitcnt vmcnt(3) lgkmcnt(0)
	v_mul_f64 v[26:27], v[18:19], v[154:155]
	v_mul_f64 v[28:29], v[20:21], v[154:155]
	v_fma_f64 v[30:31], v[4:5], v[34:35], v[158:159]
	v_fma_f64 v[32:33], v[2:3], v[34:35], -v[36:37]
	v_add_f64 v[22:23], v[22:23], v[14:15]
	v_add_f64 v[24:25], v[24:25], v[16:17]
	ds_load_b128 v[2:5], v1 offset:1072
	ds_load_b128 v[14:17], v1 offset:1088
	v_fma_f64 v[20:21], v[20:21], v[152:153], v[26:27]
	v_fma_f64 v[18:19], v[18:19], v[152:153], -v[28:29]
	s_waitcnt vmcnt(2) lgkmcnt(1)
	v_mul_f64 v[34:35], v[2:3], v[40:41]
	v_mul_f64 v[36:37], v[4:5], v[40:41]
	s_waitcnt vmcnt(1) lgkmcnt(0)
	v_mul_f64 v[26:27], v[14:15], v[8:9]
	v_mul_f64 v[8:9], v[16:17], v[8:9]
	v_add_f64 v[22:23], v[22:23], v[32:33]
	v_add_f64 v[24:25], v[24:25], v[30:31]
	v_fma_f64 v[28:29], v[4:5], v[38:39], v[34:35]
	v_fma_f64 v[30:31], v[2:3], v[38:39], -v[36:37]
	ds_load_b128 v[2:5], v1 offset:1104
	v_fma_f64 v[16:17], v[16:17], v[6:7], v[26:27]
	v_fma_f64 v[6:7], v[14:15], v[6:7], -v[8:9]
	v_add_f64 v[18:19], v[22:23], v[18:19]
	v_add_f64 v[20:21], v[24:25], v[20:21]
	s_waitcnt vmcnt(0) lgkmcnt(0)
	v_mul_f64 v[22:23], v[2:3], v[12:13]
	v_mul_f64 v[12:13], v[4:5], v[12:13]
	s_delay_alu instid0(VALU_DEP_4) | instskip(NEXT) | instid1(VALU_DEP_4)
	v_add_f64 v[8:9], v[18:19], v[30:31]
	v_add_f64 v[14:15], v[20:21], v[28:29]
	s_delay_alu instid0(VALU_DEP_4) | instskip(NEXT) | instid1(VALU_DEP_4)
	v_fma_f64 v[4:5], v[4:5], v[10:11], v[22:23]
	v_fma_f64 v[2:3], v[2:3], v[10:11], -v[12:13]
	s_delay_alu instid0(VALU_DEP_4) | instskip(NEXT) | instid1(VALU_DEP_4)
	v_add_f64 v[6:7], v[8:9], v[6:7]
	v_add_f64 v[8:9], v[14:15], v[16:17]
	s_delay_alu instid0(VALU_DEP_2) | instskip(NEXT) | instid1(VALU_DEP_2)
	v_add_f64 v[2:3], v[6:7], v[2:3]
	v_add_f64 v[4:5], v[8:9], v[4:5]
	s_delay_alu instid0(VALU_DEP_2) | instskip(NEXT) | instid1(VALU_DEP_2)
	v_add_f64 v[2:3], v[42:43], -v[2:3]
	v_add_f64 v[4:5], v[44:45], -v[4:5]
	scratch_store_b128 off, v[2:5], off offset:16
	v_cmpx_ne_u32_e32 0, v116
	s_cbranch_execz .LBB34_223
; %bb.222:
	scratch_load_b128 v[5:8], off, off
	v_mov_b32_e32 v2, v1
	v_mov_b32_e32 v3, v1
	;; [unrolled: 1-line block ×3, first 2 shown]
	scratch_store_b128 off, v[1:4], off
	s_waitcnt vmcnt(0)
	ds_store_b128 v151, v[5:8]
.LBB34_223:
	s_or_b32 exec_lo, exec_lo, s2
	s_waitcnt lgkmcnt(0)
	s_waitcnt_vscnt null, 0x0
	s_barrier
	buffer_gl0_inv
	s_clause 0x8
	scratch_load_b128 v[2:5], off, off offset:16
	scratch_load_b128 v[6:9], off, off offset:32
	;; [unrolled: 1-line block ×9, first 2 shown]
	ds_load_b128 v[42:45], v1 offset:576
	ds_load_b128 v[38:41], v1 offset:592
	s_clause 0x1
	scratch_load_b128 v[151:154], off, off
	scratch_load_b128 v[155:158], off, off offset:160
	s_and_b32 vcc_lo, exec_lo, s20
	s_waitcnt vmcnt(10) lgkmcnt(1)
	v_mul_f64 v[159:160], v[44:45], v[4:5]
	v_mul_f64 v[4:5], v[42:43], v[4:5]
	s_waitcnt vmcnt(9) lgkmcnt(0)
	v_mul_f64 v[163:164], v[38:39], v[8:9]
	v_mul_f64 v[8:9], v[40:41], v[8:9]
	s_delay_alu instid0(VALU_DEP_4) | instskip(NEXT) | instid1(VALU_DEP_4)
	v_fma_f64 v[165:166], v[42:43], v[2:3], -v[159:160]
	v_fma_f64 v[167:168], v[44:45], v[2:3], v[4:5]
	ds_load_b128 v[2:5], v1 offset:608
	ds_load_b128 v[159:162], v1 offset:624
	scratch_load_b128 v[42:45], off, off offset:176
	v_fma_f64 v[40:41], v[40:41], v[6:7], v[163:164]
	v_fma_f64 v[38:39], v[38:39], v[6:7], -v[8:9]
	scratch_load_b128 v[6:9], off, off offset:192
	s_waitcnt vmcnt(10) lgkmcnt(1)
	v_mul_f64 v[169:170], v[2:3], v[12:13]
	v_mul_f64 v[12:13], v[4:5], v[12:13]
	v_add_f64 v[163:164], v[165:166], 0
	v_add_f64 v[165:166], v[167:168], 0
	s_waitcnt vmcnt(9) lgkmcnt(0)
	v_mul_f64 v[167:168], v[159:160], v[16:17]
	v_mul_f64 v[16:17], v[161:162], v[16:17]
	v_fma_f64 v[169:170], v[4:5], v[10:11], v[169:170]
	v_fma_f64 v[171:172], v[2:3], v[10:11], -v[12:13]
	ds_load_b128 v[2:5], v1 offset:640
	scratch_load_b128 v[10:13], off, off offset:208
	v_add_f64 v[163:164], v[163:164], v[38:39]
	v_add_f64 v[165:166], v[165:166], v[40:41]
	ds_load_b128 v[38:41], v1 offset:656
	v_fma_f64 v[161:162], v[161:162], v[14:15], v[167:168]
	v_fma_f64 v[159:160], v[159:160], v[14:15], -v[16:17]
	scratch_load_b128 v[14:17], off, off offset:224
	s_waitcnt vmcnt(10) lgkmcnt(1)
	v_mul_f64 v[173:174], v[2:3], v[20:21]
	v_mul_f64 v[20:21], v[4:5], v[20:21]
	s_waitcnt vmcnt(9) lgkmcnt(0)
	v_mul_f64 v[167:168], v[38:39], v[24:25]
	v_mul_f64 v[24:25], v[40:41], v[24:25]
	v_add_f64 v[163:164], v[163:164], v[171:172]
	v_add_f64 v[165:166], v[165:166], v[169:170]
	v_fma_f64 v[169:170], v[4:5], v[18:19], v[173:174]
	v_fma_f64 v[171:172], v[2:3], v[18:19], -v[20:21]
	ds_load_b128 v[2:5], v1 offset:672
	scratch_load_b128 v[18:21], off, off offset:240
	v_fma_f64 v[40:41], v[40:41], v[22:23], v[167:168]
	v_fma_f64 v[38:39], v[38:39], v[22:23], -v[24:25]
	scratch_load_b128 v[22:25], off, off offset:256
	v_add_f64 v[163:164], v[163:164], v[159:160]
	v_add_f64 v[165:166], v[165:166], v[161:162]
	ds_load_b128 v[159:162], v1 offset:688
	s_waitcnt vmcnt(10) lgkmcnt(1)
	v_mul_f64 v[173:174], v[2:3], v[28:29]
	v_mul_f64 v[28:29], v[4:5], v[28:29]
	s_waitcnt vmcnt(9) lgkmcnt(0)
	v_mul_f64 v[167:168], v[159:160], v[32:33]
	v_mul_f64 v[32:33], v[161:162], v[32:33]
	v_add_f64 v[163:164], v[163:164], v[171:172]
	v_add_f64 v[165:166], v[165:166], v[169:170]
	v_fma_f64 v[169:170], v[4:5], v[26:27], v[173:174]
	v_fma_f64 v[171:172], v[2:3], v[26:27], -v[28:29]
	ds_load_b128 v[2:5], v1 offset:704
	scratch_load_b128 v[26:29], off, off offset:272
	v_fma_f64 v[161:162], v[161:162], v[30:31], v[167:168]
	v_fma_f64 v[159:160], v[159:160], v[30:31], -v[32:33]
	scratch_load_b128 v[30:33], off, off offset:288
	v_add_f64 v[163:164], v[163:164], v[38:39]
	v_add_f64 v[165:166], v[165:166], v[40:41]
	ds_load_b128 v[38:41], v1 offset:720
	s_waitcnt vmcnt(10) lgkmcnt(1)
	v_mul_f64 v[173:174], v[2:3], v[36:37]
	v_mul_f64 v[36:37], v[4:5], v[36:37]
	s_waitcnt vmcnt(8) lgkmcnt(0)
	v_mul_f64 v[167:168], v[38:39], v[157:158]
	v_add_f64 v[163:164], v[163:164], v[171:172]
	v_add_f64 v[165:166], v[165:166], v[169:170]
	v_mul_f64 v[169:170], v[40:41], v[157:158]
	v_fma_f64 v[171:172], v[4:5], v[34:35], v[173:174]
	v_fma_f64 v[173:174], v[2:3], v[34:35], -v[36:37]
	ds_load_b128 v[2:5], v1 offset:736
	scratch_load_b128 v[34:37], off, off offset:304
	v_fma_f64 v[167:168], v[40:41], v[155:156], v[167:168]
	v_add_f64 v[163:164], v[163:164], v[159:160]
	v_add_f64 v[161:162], v[165:166], v[161:162]
	ds_load_b128 v[157:160], v1 offset:752
	v_fma_f64 v[155:156], v[38:39], v[155:156], -v[169:170]
	scratch_load_b128 v[38:41], off, off offset:320
	s_waitcnt vmcnt(9) lgkmcnt(1)
	v_mul_f64 v[165:166], v[2:3], v[44:45]
	v_mul_f64 v[44:45], v[4:5], v[44:45]
	s_waitcnt vmcnt(8) lgkmcnt(0)
	v_mul_f64 v[169:170], v[157:158], v[8:9]
	v_mul_f64 v[8:9], v[159:160], v[8:9]
	v_add_f64 v[163:164], v[163:164], v[173:174]
	v_add_f64 v[161:162], v[161:162], v[171:172]
	v_fma_f64 v[165:166], v[4:5], v[42:43], v[165:166]
	v_fma_f64 v[171:172], v[2:3], v[42:43], -v[44:45]
	ds_load_b128 v[2:5], v1 offset:768
	scratch_load_b128 v[42:45], off, off offset:336
	v_fma_f64 v[159:160], v[159:160], v[6:7], v[169:170]
	v_fma_f64 v[157:158], v[157:158], v[6:7], -v[8:9]
	scratch_load_b128 v[6:9], off, off offset:352
	v_add_f64 v[155:156], v[163:164], v[155:156]
	v_add_f64 v[167:168], v[161:162], v[167:168]
	ds_load_b128 v[161:164], v1 offset:784
	s_waitcnt vmcnt(9) lgkmcnt(1)
	v_mul_f64 v[173:174], v[2:3], v[12:13]
	v_mul_f64 v[12:13], v[4:5], v[12:13]
	v_add_f64 v[155:156], v[155:156], v[171:172]
	v_add_f64 v[165:166], v[167:168], v[165:166]
	s_waitcnt vmcnt(8) lgkmcnt(0)
	v_mul_f64 v[167:168], v[161:162], v[16:17]
	v_mul_f64 v[16:17], v[163:164], v[16:17]
	v_fma_f64 v[169:170], v[4:5], v[10:11], v[173:174]
	v_fma_f64 v[171:172], v[2:3], v[10:11], -v[12:13]
	ds_load_b128 v[2:5], v1 offset:800
	scratch_load_b128 v[10:13], off, off offset:368
	v_add_f64 v[173:174], v[155:156], v[157:158]
	v_add_f64 v[159:160], v[165:166], v[159:160]
	ds_load_b128 v[155:158], v1 offset:816
	s_waitcnt vmcnt(8) lgkmcnt(1)
	v_mul_f64 v[165:166], v[2:3], v[20:21]
	v_mul_f64 v[20:21], v[4:5], v[20:21]
	v_fma_f64 v[163:164], v[163:164], v[14:15], v[167:168]
	v_fma_f64 v[161:162], v[161:162], v[14:15], -v[16:17]
	scratch_load_b128 v[14:17], off, off offset:384
	v_add_f64 v[167:168], v[173:174], v[171:172]
	v_add_f64 v[159:160], v[159:160], v[169:170]
	s_waitcnt vmcnt(8) lgkmcnt(0)
	v_mul_f64 v[169:170], v[155:156], v[24:25]
	v_mul_f64 v[24:25], v[157:158], v[24:25]
	v_fma_f64 v[165:166], v[4:5], v[18:19], v[165:166]
	v_fma_f64 v[171:172], v[2:3], v[18:19], -v[20:21]
	ds_load_b128 v[2:5], v1 offset:832
	scratch_load_b128 v[18:21], off, off offset:400
	v_add_f64 v[167:168], v[167:168], v[161:162]
	v_add_f64 v[163:164], v[159:160], v[163:164]
	ds_load_b128 v[159:162], v1 offset:848
	s_waitcnt vmcnt(8) lgkmcnt(1)
	v_mul_f64 v[173:174], v[2:3], v[28:29]
	v_mul_f64 v[28:29], v[4:5], v[28:29]
	v_fma_f64 v[157:158], v[157:158], v[22:23], v[169:170]
	v_fma_f64 v[155:156], v[155:156], v[22:23], -v[24:25]
	scratch_load_b128 v[22:25], off, off offset:416
	;; [unrolled: 18-line block ×4, first 2 shown]
	s_waitcnt vmcnt(8) lgkmcnt(0)
	v_mul_f64 v[167:168], v[159:160], v[8:9]
	v_mul_f64 v[8:9], v[161:162], v[8:9]
	v_add_f64 v[165:166], v[165:166], v[171:172]
	v_add_f64 v[163:164], v[163:164], v[169:170]
	v_fma_f64 v[169:170], v[4:5], v[42:43], v[173:174]
	v_fma_f64 v[171:172], v[2:3], v[42:43], -v[44:45]
	ds_load_b128 v[2:5], v1 offset:928
	scratch_load_b128 v[42:45], off, off offset:496
	v_fma_f64 v[161:162], v[161:162], v[6:7], v[167:168]
	v_fma_f64 v[159:160], v[159:160], v[6:7], -v[8:9]
	scratch_load_b128 v[6:9], off, off offset:512
	v_add_f64 v[165:166], v[165:166], v[155:156]
	v_add_f64 v[163:164], v[163:164], v[157:158]
	ds_load_b128 v[155:158], v1 offset:944
	s_waitcnt vmcnt(9) lgkmcnt(1)
	v_mul_f64 v[173:174], v[2:3], v[12:13]
	v_mul_f64 v[12:13], v[4:5], v[12:13]
	s_waitcnt vmcnt(8) lgkmcnt(0)
	v_mul_f64 v[167:168], v[155:156], v[16:17]
	v_mul_f64 v[16:17], v[157:158], v[16:17]
	v_add_f64 v[165:166], v[165:166], v[171:172]
	v_add_f64 v[163:164], v[163:164], v[169:170]
	v_fma_f64 v[169:170], v[4:5], v[10:11], v[173:174]
	v_fma_f64 v[171:172], v[2:3], v[10:11], -v[12:13]
	ds_load_b128 v[2:5], v1 offset:960
	scratch_load_b128 v[10:13], off, off offset:528
	v_fma_f64 v[157:158], v[157:158], v[14:15], v[167:168]
	v_fma_f64 v[155:156], v[155:156], v[14:15], -v[16:17]
	scratch_load_b128 v[14:17], off, off offset:544
	v_add_f64 v[165:166], v[165:166], v[159:160]
	v_add_f64 v[163:164], v[163:164], v[161:162]
	ds_load_b128 v[159:162], v1 offset:976
	s_waitcnt vmcnt(9) lgkmcnt(1)
	v_mul_f64 v[173:174], v[2:3], v[20:21]
	v_mul_f64 v[20:21], v[4:5], v[20:21]
	s_waitcnt vmcnt(8) lgkmcnt(0)
	v_mul_f64 v[167:168], v[159:160], v[24:25]
	v_mul_f64 v[24:25], v[161:162], v[24:25]
	v_add_f64 v[165:166], v[165:166], v[171:172]
	v_add_f64 v[163:164], v[163:164], v[169:170]
	v_fma_f64 v[169:170], v[4:5], v[18:19], v[173:174]
	v_fma_f64 v[171:172], v[2:3], v[18:19], -v[20:21]
	ds_load_b128 v[2:5], v1 offset:992
	ds_load_b128 v[18:21], v1 offset:1008
	v_fma_f64 v[161:162], v[161:162], v[22:23], v[167:168]
	v_fma_f64 v[22:23], v[159:160], v[22:23], -v[24:25]
	v_add_f64 v[155:156], v[165:166], v[155:156]
	v_add_f64 v[157:158], v[163:164], v[157:158]
	s_waitcnt vmcnt(7) lgkmcnt(1)
	v_mul_f64 v[163:164], v[2:3], v[28:29]
	v_mul_f64 v[28:29], v[4:5], v[28:29]
	s_delay_alu instid0(VALU_DEP_4) | instskip(NEXT) | instid1(VALU_DEP_4)
	v_add_f64 v[24:25], v[155:156], v[171:172]
	v_add_f64 v[155:156], v[157:158], v[169:170]
	s_waitcnt vmcnt(6) lgkmcnt(0)
	v_mul_f64 v[157:158], v[18:19], v[32:33]
	v_mul_f64 v[32:33], v[20:21], v[32:33]
	v_fma_f64 v[159:160], v[4:5], v[26:27], v[163:164]
	v_fma_f64 v[26:27], v[2:3], v[26:27], -v[28:29]
	v_add_f64 v[28:29], v[24:25], v[22:23]
	v_add_f64 v[155:156], v[155:156], v[161:162]
	ds_load_b128 v[2:5], v1 offset:1024
	ds_load_b128 v[22:25], v1 offset:1040
	v_fma_f64 v[20:21], v[20:21], v[30:31], v[157:158]
	v_fma_f64 v[18:19], v[18:19], v[30:31], -v[32:33]
	s_waitcnt vmcnt(5) lgkmcnt(1)
	v_mul_f64 v[161:162], v[2:3], v[36:37]
	v_mul_f64 v[36:37], v[4:5], v[36:37]
	s_waitcnt vmcnt(4) lgkmcnt(0)
	v_mul_f64 v[30:31], v[22:23], v[40:41]
	v_mul_f64 v[32:33], v[24:25], v[40:41]
	v_add_f64 v[26:27], v[28:29], v[26:27]
	v_add_f64 v[28:29], v[155:156], v[159:160]
	v_fma_f64 v[40:41], v[4:5], v[34:35], v[161:162]
	v_fma_f64 v[34:35], v[2:3], v[34:35], -v[36:37]
	v_fma_f64 v[24:25], v[24:25], v[38:39], v[30:31]
	v_fma_f64 v[22:23], v[22:23], v[38:39], -v[32:33]
	v_add_f64 v[26:27], v[26:27], v[18:19]
	v_add_f64 v[28:29], v[28:29], v[20:21]
	ds_load_b128 v[2:5], v1 offset:1056
	ds_load_b128 v[18:21], v1 offset:1072
	s_waitcnt vmcnt(3) lgkmcnt(1)
	v_mul_f64 v[36:37], v[2:3], v[44:45]
	v_mul_f64 v[44:45], v[4:5], v[44:45]
	s_waitcnt vmcnt(2) lgkmcnt(0)
	v_mul_f64 v[30:31], v[18:19], v[8:9]
	v_mul_f64 v[8:9], v[20:21], v[8:9]
	v_add_f64 v[26:27], v[26:27], v[34:35]
	v_add_f64 v[28:29], v[28:29], v[40:41]
	v_fma_f64 v[32:33], v[4:5], v[42:43], v[36:37]
	v_fma_f64 v[34:35], v[2:3], v[42:43], -v[44:45]
	v_fma_f64 v[20:21], v[20:21], v[6:7], v[30:31]
	v_fma_f64 v[6:7], v[18:19], v[6:7], -v[8:9]
	v_add_f64 v[26:27], v[26:27], v[22:23]
	v_add_f64 v[28:29], v[28:29], v[24:25]
	ds_load_b128 v[2:5], v1 offset:1088
	ds_load_b128 v[22:25], v1 offset:1104
	s_waitcnt vmcnt(1) lgkmcnt(1)
	v_mul_f64 v[36:37], v[2:3], v[12:13]
	v_mul_f64 v[12:13], v[4:5], v[12:13]
	v_add_f64 v[8:9], v[26:27], v[34:35]
	v_add_f64 v[18:19], v[28:29], v[32:33]
	s_waitcnt vmcnt(0) lgkmcnt(0)
	v_mul_f64 v[26:27], v[22:23], v[16:17]
	v_mul_f64 v[16:17], v[24:25], v[16:17]
	v_fma_f64 v[4:5], v[4:5], v[10:11], v[36:37]
	v_fma_f64 v[1:2], v[2:3], v[10:11], -v[12:13]
	v_add_f64 v[6:7], v[8:9], v[6:7]
	v_add_f64 v[8:9], v[18:19], v[20:21]
	v_fma_f64 v[10:11], v[24:25], v[14:15], v[26:27]
	v_fma_f64 v[12:13], v[22:23], v[14:15], -v[16:17]
	s_delay_alu instid0(VALU_DEP_4) | instskip(NEXT) | instid1(VALU_DEP_4)
	v_add_f64 v[1:2], v[6:7], v[1:2]
	v_add_f64 v[3:4], v[8:9], v[4:5]
	s_delay_alu instid0(VALU_DEP_2) | instskip(NEXT) | instid1(VALU_DEP_2)
	v_add_f64 v[1:2], v[1:2], v[12:13]
	v_add_f64 v[3:4], v[3:4], v[10:11]
	s_delay_alu instid0(VALU_DEP_2) | instskip(NEXT) | instid1(VALU_DEP_2)
	v_add_f64 v[1:2], v[151:152], -v[1:2]
	v_add_f64 v[3:4], v[153:154], -v[3:4]
	scratch_store_b128 off, v[1:4], off
	s_cbranch_vccz .LBB34_293
; %bb.224:
	v_dual_mov_b32 v1, s16 :: v_dual_mov_b32 v2, s17
	s_load_b64 s[0:1], s[0:1], 0x4
	flat_load_b32 v1, v[1:2] offset:132
	v_bfe_u32 v2, v0, 10, 10
	v_bfe_u32 v0, v0, 20, 10
	s_waitcnt lgkmcnt(0)
	s_lshr_b32 s0, s0, 16
	s_delay_alu instid0(VALU_DEP_2) | instskip(SKIP_1) | instid1(SALU_CYCLE_1)
	v_mul_u32_u24_e32 v2, s1, v2
	s_mul_i32 s0, s0, s1
	v_mul_u32_u24_e32 v3, s0, v116
	s_mov_b32 s0, exec_lo
	s_delay_alu instid0(VALU_DEP_1) | instskip(NEXT) | instid1(VALU_DEP_1)
	v_add3_u32 v0, v3, v2, v0
	v_lshl_add_u32 v0, v0, 4, 0x468
	s_waitcnt vmcnt(0)
	v_cmpx_ne_u32_e32 34, v1
	s_cbranch_execz .LBB34_226
; %bb.225:
	v_lshl_add_u32 v9, v1, 4, 0
	s_clause 0x1
	scratch_load_b128 v[1:4], v132, off
	scratch_load_b128 v[5:8], v9, off offset:-16
	s_waitcnt vmcnt(1)
	ds_store_2addr_b64 v0, v[1:2], v[3:4] offset1:1
	s_waitcnt vmcnt(0)
	s_clause 0x1
	scratch_store_b128 v132, v[5:8], off
	scratch_store_b128 v9, v[1:4], off offset:-16
.LBB34_226:
	s_or_b32 exec_lo, exec_lo, s0
	v_dual_mov_b32 v1, s16 :: v_dual_mov_b32 v2, s17
	s_mov_b32 s0, exec_lo
	flat_load_b32 v1, v[1:2] offset:128
	s_waitcnt vmcnt(0) lgkmcnt(0)
	v_cmpx_ne_u32_e32 33, v1
	s_cbranch_execz .LBB34_228
; %bb.227:
	v_lshl_add_u32 v9, v1, 4, 0
	s_clause 0x1
	scratch_load_b128 v[1:4], v137, off
	scratch_load_b128 v[5:8], v9, off offset:-16
	s_waitcnt vmcnt(1)
	ds_store_2addr_b64 v0, v[1:2], v[3:4] offset1:1
	s_waitcnt vmcnt(0)
	s_clause 0x1
	scratch_store_b128 v137, v[5:8], off
	scratch_store_b128 v9, v[1:4], off offset:-16
.LBB34_228:
	s_or_b32 exec_lo, exec_lo, s0
	v_dual_mov_b32 v1, s16 :: v_dual_mov_b32 v2, s17
	s_mov_b32 s0, exec_lo
	flat_load_b32 v1, v[1:2] offset:124
	s_waitcnt vmcnt(0) lgkmcnt(0)
	;; [unrolled: 19-line block ×32, first 2 shown]
	v_cmpx_ne_u32_e32 2, v1
	s_cbranch_execz .LBB34_290
; %bb.289:
	v_lshl_add_u32 v9, v1, 4, 0
	s_clause 0x1
	scratch_load_b128 v[1:4], v120, off
	scratch_load_b128 v[5:8], v9, off offset:-16
	s_waitcnt vmcnt(1)
	ds_store_2addr_b64 v0, v[1:2], v[3:4] offset1:1
	s_waitcnt vmcnt(0)
	s_clause 0x1
	scratch_store_b128 v120, v[5:8], off
	scratch_store_b128 v9, v[1:4], off offset:-16
.LBB34_290:
	s_or_b32 exec_lo, exec_lo, s0
	v_dual_mov_b32 v1, s16 :: v_dual_mov_b32 v2, s17
	s_mov_b32 s0, exec_lo
	flat_load_b32 v1, v[1:2]
	s_waitcnt vmcnt(0) lgkmcnt(0)
	v_cmpx_ne_u32_e32 1, v1
	s_cbranch_execz .LBB34_292
; %bb.291:
	v_lshl_add_u32 v9, v1, 4, 0
	scratch_load_b128 v[1:4], off, off
	scratch_load_b128 v[5:8], v9, off offset:-16
	s_waitcnt vmcnt(1)
	ds_store_2addr_b64 v0, v[1:2], v[3:4] offset1:1
	s_waitcnt vmcnt(0)
	scratch_store_b128 off, v[5:8], off
	scratch_store_b128 v9, v[1:4], off offset:-16
.LBB34_292:
	s_or_b32 exec_lo, exec_lo, s0
.LBB34_293:
	scratch_load_b128 v[0:3], off, off
	s_clause 0x19
	scratch_load_b128 v[4:7], v120, off
	scratch_load_b128 v[8:11], v119, off
	;; [unrolled: 1-line block ×26, first 2 shown]
	s_waitcnt vmcnt(26)
	global_store_b128 v[46:47], v[0:3], off
	s_clause 0x1
	scratch_load_b128 v[0:3], v146, off
	scratch_load_b128 v[44:47], v145, off
	s_waitcnt vmcnt(27)
	global_store_b128 v[48:49], v[4:7], off
	s_clause 0x1
	scratch_load_b128 v[4:7], v144, off
	scratch_load_b128 v[141:144], v143, off
	;; [unrolled: 5-line block ×4, first 2 shown]
	s_waitcnt vmcnt(30)
	global_store_b128 v[54:55], v[16:19], off
	s_waitcnt vmcnt(29)
	global_store_b128 v[56:57], v[20:23], off
	;; [unrolled: 2-line block ×31, first 2 shown]
	s_endpgm
	.section	.rodata,"a",@progbits
	.p2align	6, 0x0
	.amdhsa_kernel _ZN9rocsolver6v33100L18getri_kernel_smallILi35E19rocblas_complex_numIdEPS3_EEvT1_iilPiilS6_bb
		.amdhsa_group_segment_fixed_size 2152
		.amdhsa_private_segment_fixed_size 576
		.amdhsa_kernarg_size 60
		.amdhsa_user_sgpr_count 15
		.amdhsa_user_sgpr_dispatch_ptr 1
		.amdhsa_user_sgpr_queue_ptr 0
		.amdhsa_user_sgpr_kernarg_segment_ptr 1
		.amdhsa_user_sgpr_dispatch_id 0
		.amdhsa_user_sgpr_private_segment_size 0
		.amdhsa_wavefront_size32 1
		.amdhsa_uses_dynamic_stack 0
		.amdhsa_enable_private_segment 1
		.amdhsa_system_sgpr_workgroup_id_x 1
		.amdhsa_system_sgpr_workgroup_id_y 0
		.amdhsa_system_sgpr_workgroup_id_z 0
		.amdhsa_system_sgpr_workgroup_info 0
		.amdhsa_system_vgpr_workitem_id 2
		.amdhsa_next_free_vgpr 215
		.amdhsa_next_free_sgpr 42
		.amdhsa_reserve_vcc 1
		.amdhsa_float_round_mode_32 0
		.amdhsa_float_round_mode_16_64 0
		.amdhsa_float_denorm_mode_32 3
		.amdhsa_float_denorm_mode_16_64 3
		.amdhsa_dx10_clamp 1
		.amdhsa_ieee_mode 1
		.amdhsa_fp16_overflow 0
		.amdhsa_workgroup_processor_mode 1
		.amdhsa_memory_ordered 1
		.amdhsa_forward_progress 0
		.amdhsa_shared_vgpr_count 0
		.amdhsa_exception_fp_ieee_invalid_op 0
		.amdhsa_exception_fp_denorm_src 0
		.amdhsa_exception_fp_ieee_div_zero 0
		.amdhsa_exception_fp_ieee_overflow 0
		.amdhsa_exception_fp_ieee_underflow 0
		.amdhsa_exception_fp_ieee_inexact 0
		.amdhsa_exception_int_div_zero 0
	.end_amdhsa_kernel
	.section	.text._ZN9rocsolver6v33100L18getri_kernel_smallILi35E19rocblas_complex_numIdEPS3_EEvT1_iilPiilS6_bb,"axG",@progbits,_ZN9rocsolver6v33100L18getri_kernel_smallILi35E19rocblas_complex_numIdEPS3_EEvT1_iilPiilS6_bb,comdat
.Lfunc_end34:
	.size	_ZN9rocsolver6v33100L18getri_kernel_smallILi35E19rocblas_complex_numIdEPS3_EEvT1_iilPiilS6_bb, .Lfunc_end34-_ZN9rocsolver6v33100L18getri_kernel_smallILi35E19rocblas_complex_numIdEPS3_EEvT1_iilPiilS6_bb
                                        ; -- End function
	.section	.AMDGPU.csdata,"",@progbits
; Kernel info:
; codeLenInByte = 62348
; NumSgprs: 44
; NumVgprs: 215
; ScratchSize: 576
; MemoryBound: 0
; FloatMode: 240
; IeeeMode: 1
; LDSByteSize: 2152 bytes/workgroup (compile time only)
; SGPRBlocks: 5
; VGPRBlocks: 26
; NumSGPRsForWavesPerEU: 44
; NumVGPRsForWavesPerEU: 215
; Occupancy: 7
; WaveLimiterHint : 1
; COMPUTE_PGM_RSRC2:SCRATCH_EN: 1
; COMPUTE_PGM_RSRC2:USER_SGPR: 15
; COMPUTE_PGM_RSRC2:TRAP_HANDLER: 0
; COMPUTE_PGM_RSRC2:TGID_X_EN: 1
; COMPUTE_PGM_RSRC2:TGID_Y_EN: 0
; COMPUTE_PGM_RSRC2:TGID_Z_EN: 0
; COMPUTE_PGM_RSRC2:TIDIG_COMP_CNT: 2
	.section	.text._ZN9rocsolver6v33100L18getri_kernel_smallILi36E19rocblas_complex_numIdEPS3_EEvT1_iilPiilS6_bb,"axG",@progbits,_ZN9rocsolver6v33100L18getri_kernel_smallILi36E19rocblas_complex_numIdEPS3_EEvT1_iilPiilS6_bb,comdat
	.globl	_ZN9rocsolver6v33100L18getri_kernel_smallILi36E19rocblas_complex_numIdEPS3_EEvT1_iilPiilS6_bb ; -- Begin function _ZN9rocsolver6v33100L18getri_kernel_smallILi36E19rocblas_complex_numIdEPS3_EEvT1_iilPiilS6_bb
	.p2align	8
	.type	_ZN9rocsolver6v33100L18getri_kernel_smallILi36E19rocblas_complex_numIdEPS3_EEvT1_iilPiilS6_bb,@function
_ZN9rocsolver6v33100L18getri_kernel_smallILi36E19rocblas_complex_numIdEPS3_EEvT1_iilPiilS6_bb: ; @_ZN9rocsolver6v33100L18getri_kernel_smallILi36E19rocblas_complex_numIdEPS3_EEvT1_iilPiilS6_bb
; %bb.0:
	v_and_b32_e32 v118, 0x3ff, v0
	s_mov_b32 s4, exec_lo
	s_delay_alu instid0(VALU_DEP_1)
	v_cmpx_gt_u32_e32 36, v118
	s_cbranch_execz .LBB35_158
; %bb.1:
	s_mov_b32 s18, s15
	s_clause 0x2
	s_load_b32 s21, s[2:3], 0x38
	s_load_b128 s[12:15], s[2:3], 0x10
	s_load_b128 s[4:7], s[2:3], 0x28
                                        ; implicit-def: $sgpr16_sgpr17
	s_waitcnt lgkmcnt(0)
	s_bitcmp1_b32 s21, 8
	s_cselect_b32 s20, -1, 0
	s_bfe_u32 s8, s21, 0x10008
	s_ashr_i32 s19, s18, 31
	s_cmp_eq_u32 s8, 0
	s_cbranch_scc1 .LBB35_3
; %bb.2:
	s_load_b32 s8, s[2:3], 0x20
	s_mul_i32 s5, s18, s5
	s_mul_hi_u32 s9, s18, s4
	s_mul_i32 s10, s19, s4
	s_add_i32 s5, s9, s5
	s_mul_i32 s4, s18, s4
	s_add_i32 s5, s5, s10
	s_delay_alu instid0(SALU_CYCLE_1)
	s_lshl_b64 s[4:5], s[4:5], 2
	s_waitcnt lgkmcnt(0)
	s_ashr_i32 s9, s8, 31
	s_add_u32 s10, s14, s4
	s_addc_u32 s11, s15, s5
	s_lshl_b64 s[4:5], s[8:9], 2
	s_delay_alu instid0(SALU_CYCLE_1)
	s_add_u32 s16, s10, s4
	s_addc_u32 s17, s11, s5
.LBB35_3:
	s_load_b128 s[8:11], s[2:3], 0x0
	s_mul_i32 s2, s18, s13
	s_mul_hi_u32 s3, s18, s12
	s_mul_i32 s4, s19, s12
	s_add_i32 s3, s3, s2
	s_mul_i32 s2, s18, s12
	s_add_i32 s3, s3, s4
	v_lshlrev_b32_e32 v13, 4, v118
	s_lshl_b64 s[2:3], s[2:3], 4
	s_movk_i32 s12, 0xc0
	s_movk_i32 s13, 0xd0
	;; [unrolled: 1-line block ×11, first 2 shown]
	s_waitcnt lgkmcnt(0)
	v_add3_u32 v5, s11, s11, v118
	s_ashr_i32 s5, s10, 31
	s_mov_b32 s4, s10
	s_add_u32 s8, s8, s2
	s_addc_u32 s9, s9, s3
	v_add_nc_u32_e32 v9, s11, v5
	s_lshl_b64 s[2:3], s[4:5], 4
	v_ashrrev_i32_e32 v6, 31, v5
	s_add_u32 s2, s8, s2
	s_addc_u32 s3, s9, s3
	v_add_nc_u32_e32 v11, s11, v9
	v_add_co_u32 v48, s8, s2, v13
	s_mov_b32 s4, s11
	s_ashr_i32 s5, s11, 31
	v_add_co_ci_u32_e64 v49, null, s3, 0, s8
	v_lshlrev_b64 v[14:15], 4, v[5:6]
	s_lshl_b64 s[4:5], s[4:5], 4
	v_add_nc_u32_e32 v18, s11, v11
	v_add_co_u32 v46, vcc_lo, v48, s4
	v_ashrrev_i32_e32 v10, 31, v9
	v_add_co_ci_u32_e32 v47, vcc_lo, s5, v49, vcc_lo
	v_ashrrev_i32_e32 v12, 31, v11
	v_add_co_u32 v50, vcc_lo, s2, v14
	v_add_nc_u32_e32 v22, s11, v18
	v_add_co_ci_u32_e32 v51, vcc_lo, s3, v15, vcc_lo
	v_lshlrev_b64 v[14:15], 4, v[9:10]
	v_ashrrev_i32_e32 v19, 31, v18
	v_lshlrev_b64 v[16:17], 4, v[11:12]
	v_add_nc_u32_e32 v34, s11, v22
	v_ashrrev_i32_e32 v23, 31, v22
	s_clause 0x1
	global_load_b128 v[1:4], v13, s[2:3]
	global_load_b128 v[5:8], v[46:47], off
	v_add_co_u32 v52, vcc_lo, s2, v14
	v_lshlrev_b64 v[24:25], 4, v[18:19]
	v_add_co_ci_u32_e32 v53, vcc_lo, s3, v15, vcc_lo
	v_add_co_u32 v54, vcc_lo, s2, v16
	v_ashrrev_i32_e32 v35, 31, v34
	v_add_co_ci_u32_e32 v55, vcc_lo, s3, v17, vcc_lo
	v_lshlrev_b64 v[22:23], 4, v[22:23]
	v_add_co_u32 v56, vcc_lo, s2, v24
	v_add_co_ci_u32_e32 v57, vcc_lo, s3, v25, vcc_lo
	v_lshlrev_b64 v[24:25], 4, v[34:35]
	s_delay_alu instid0(VALU_DEP_4)
	v_add_co_u32 v58, vcc_lo, s2, v22
	s_clause 0x1
	global_load_b128 v[9:12], v[50:51], off
	global_load_b128 v[14:17], v[52:53], off
	v_add_co_ci_u32_e32 v59, vcc_lo, s3, v23, vcc_lo
	v_add_co_u32 v60, vcc_lo, s2, v24
	v_add_co_ci_u32_e32 v61, vcc_lo, s3, v25, vcc_lo
	s_clause 0x3
	global_load_b128 v[18:21], v[54:55], off
	global_load_b128 v[22:25], v[56:57], off
	;; [unrolled: 1-line block ×4, first 2 shown]
	v_add_nc_u32_e32 v34, s11, v34
	s_movk_i32 s4, 0x60
	s_movk_i32 s5, 0x70
	;; [unrolled: 1-line block ×4, first 2 shown]
	v_add_nc_u32_e32 v36, s11, v34
	v_ashrrev_i32_e32 v35, 31, v34
	s_movk_i32 s10, 0xa0
	s_movk_i32 s29, 0x170
	;; [unrolled: 1-line block ×3, first 2 shown]
	v_add_nc_u32_e32 v38, s11, v36
	v_ashrrev_i32_e32 v37, 31, v36
	v_lshlrev_b64 v[34:35], 4, v[34:35]
	s_movk_i32 s31, 0x190
	s_movk_i32 s33, 0x1a0
	v_add_nc_u32_e32 v40, s11, v38
	v_ashrrev_i32_e32 v39, 31, v38
	v_lshlrev_b64 v[42:43], 4, v[36:37]
	v_add_co_u32 v62, vcc_lo, s2, v34
	s_delay_alu instid0(VALU_DEP_4) | instskip(SKIP_3) | instid1(VALU_DEP_4)
	v_add_nc_u32_e32 v44, s11, v40
	v_ashrrev_i32_e32 v41, 31, v40
	v_lshlrev_b64 v[38:39], 4, v[38:39]
	v_add_co_ci_u32_e32 v63, vcc_lo, s3, v35, vcc_lo
	v_add_nc_u32_e32 v70, s11, v44
	v_ashrrev_i32_e32 v45, 31, v44
	v_add_co_u32 v64, vcc_lo, s2, v42
	v_lshlrev_b64 v[68:69], 4, v[40:41]
	s_delay_alu instid0(VALU_DEP_4) | instskip(SKIP_3) | instid1(VALU_DEP_4)
	v_add_nc_u32_e32 v72, s11, v70
	v_ashrrev_i32_e32 v71, 31, v70
	v_add_co_ci_u32_e32 v65, vcc_lo, s3, v43, vcc_lo
	v_add_co_u32 v66, vcc_lo, s2, v38
	v_add_nc_u32_e32 v76, s11, v72
	v_lshlrev_b64 v[74:75], 4, v[44:45]
	v_add_co_ci_u32_e32 v67, vcc_lo, s3, v39, vcc_lo
	v_add_co_u32 v68, vcc_lo, s2, v68
	v_lshlrev_b64 v[78:79], 4, v[70:71]
	v_ashrrev_i32_e32 v73, 31, v72
	v_add_nc_u32_e32 v80, s11, v76
	v_add_co_ci_u32_e32 v69, vcc_lo, s3, v69, vcc_lo
	v_add_co_u32 v70, vcc_lo, s2, v74
	v_add_co_ci_u32_e32 v71, vcc_lo, s3, v75, vcc_lo
	v_lshlrev_b64 v[74:75], 4, v[72:73]
	v_add_co_u32 v72, vcc_lo, s2, v78
	v_add_nc_u32_e32 v78, s11, v80
	v_ashrrev_i32_e32 v77, 31, v76
	v_ashrrev_i32_e32 v81, 31, v80
	v_add_co_ci_u32_e32 v73, vcc_lo, s3, v79, vcc_lo
	s_delay_alu instid0(VALU_DEP_4) | instskip(NEXT) | instid1(VALU_DEP_4)
	v_add_nc_u32_e32 v82, s11, v78
	v_lshlrev_b64 v[76:77], 4, v[76:77]
	v_ashrrev_i32_e32 v79, 31, v78
	v_add_co_u32 v74, vcc_lo, s2, v74
	s_delay_alu instid0(VALU_DEP_4) | instskip(SKIP_3) | instid1(VALU_DEP_4)
	v_add_nc_u32_e32 v84, s11, v82
	v_lshlrev_b64 v[80:81], 4, v[80:81]
	v_ashrrev_i32_e32 v83, 31, v82
	v_add_co_ci_u32_e32 v75, vcc_lo, s3, v75, vcc_lo
	v_add_nc_u32_e32 v88, s11, v84
	v_add_co_u32 v76, vcc_lo, s2, v76
	v_lshlrev_b64 v[86:87], 4, v[78:79]
	v_ashrrev_i32_e32 v85, 31, v84
	s_delay_alu instid0(VALU_DEP_4) | instskip(SKIP_2) | instid1(VALU_DEP_3)
	v_add_nc_u32_e32 v90, s11, v88
	v_add_co_ci_u32_e32 v77, vcc_lo, s3, v77, vcc_lo
	v_add_co_u32 v78, vcc_lo, s2, v80
	v_add_nc_u32_e32 v92, s11, v90
	v_lshlrev_b64 v[82:83], 4, v[82:83]
	v_ashrrev_i32_e32 v89, 31, v88
	v_add_co_ci_u32_e32 v79, vcc_lo, s3, v81, vcc_lo
	s_delay_alu instid0(VALU_DEP_4) | instskip(SKIP_3) | instid1(VALU_DEP_4)
	v_add_nc_u32_e32 v94, s11, v92
	v_add_co_u32 v80, vcc_lo, s2, v86
	v_lshlrev_b64 v[84:85], 4, v[84:85]
	v_ashrrev_i32_e32 v91, 31, v90
	v_add_nc_u32_e32 v96, s11, v94
	v_add_co_ci_u32_e32 v81, vcc_lo, s3, v87, vcc_lo
	v_add_co_u32 v82, vcc_lo, s2, v82
	s_delay_alu instid0(VALU_DEP_3) | instskip(SKIP_3) | instid1(VALU_DEP_4)
	v_add_nc_u32_e32 v98, s11, v96
	v_lshlrev_b64 v[86:87], 4, v[88:89]
	v_ashrrev_i32_e32 v93, 31, v92
	v_add_co_ci_u32_e32 v83, vcc_lo, s3, v83, vcc_lo
	v_add_nc_u32_e32 v100, s11, v98
	v_add_co_u32 v84, vcc_lo, s2, v84
	v_lshlrev_b64 v[88:89], 4, v[90:91]
	v_ashrrev_i32_e32 v95, 31, v94
	s_delay_alu instid0(VALU_DEP_4) | instskip(SKIP_2) | instid1(VALU_DEP_3)
	v_add_nc_u32_e32 v102, s11, v100
	v_add_co_ci_u32_e32 v85, vcc_lo, s3, v85, vcc_lo
	v_add_co_u32 v86, vcc_lo, s2, v86
	v_add_nc_u32_e32 v104, s11, v102
	v_lshlrev_b64 v[90:91], 4, v[92:93]
	v_ashrrev_i32_e32 v97, 31, v96
	v_add_co_ci_u32_e32 v87, vcc_lo, s3, v87, vcc_lo
	s_delay_alu instid0(VALU_DEP_4) | instskip(SKIP_3) | instid1(VALU_DEP_4)
	v_add_nc_u32_e32 v106, s11, v104
	v_add_co_u32 v88, vcc_lo, s2, v88
	v_lshlrev_b64 v[92:93], 4, v[94:95]
	v_ashrrev_i32_e32 v99, 31, v98
	v_add_nc_u32_e32 v108, s11, v106
	v_ashrrev_i32_e32 v101, 31, v100
	v_ashrrev_i32_e32 v103, 31, v102
	v_add_co_ci_u32_e32 v89, vcc_lo, s3, v89, vcc_lo
	s_delay_alu instid0(VALU_DEP_4) | instskip(SKIP_3) | instid1(VALU_DEP_4)
	v_add_nc_u32_e32 v110, s11, v108
	v_add_co_u32 v90, vcc_lo, s2, v90
	v_lshlrev_b64 v[94:95], 4, v[96:97]
	v_add_co_ci_u32_e32 v91, vcc_lo, s3, v91, vcc_lo
	v_add_nc_u32_e32 v112, s11, v110
	v_lshlrev_b64 v[96:97], 4, v[98:99]
	v_lshlrev_b64 v[98:99], 4, v[100:101]
	;; [unrolled: 1-line block ×3, first 2 shown]
	v_add_co_u32 v92, vcc_lo, s2, v92
	v_add_nc_u32_e32 v114, s11, v112
	v_add_co_ci_u32_e32 v93, vcc_lo, s3, v93, vcc_lo
	v_add_co_u32 v94, vcc_lo, s2, v94
	s_delay_alu instid0(VALU_DEP_3) | instskip(SKIP_2) | instid1(VALU_DEP_3)
	v_add_nc_u32_e32 v116, s11, v114
	v_add_co_ci_u32_e32 v95, vcc_lo, s3, v95, vcc_lo
	v_add_co_u32 v96, vcc_lo, s2, v96
	v_add_nc_u32_e32 v102, s11, v116
	v_ashrrev_i32_e32 v105, 31, v104
	v_add_co_ci_u32_e32 v97, vcc_lo, s3, v97, vcc_lo
	v_add_co_u32 v98, vcc_lo, s2, v98
	s_delay_alu instid0(VALU_DEP_4) | instskip(SKIP_3) | instid1(VALU_DEP_4)
	v_ashrrev_i32_e32 v103, 31, v102
	v_ashrrev_i32_e32 v107, 31, v106
	v_add_co_ci_u32_e32 v99, vcc_lo, s3, v99, vcc_lo
	v_lshlrev_b64 v[104:105], 4, v[104:105]
	v_lshlrev_b64 v[102:103], 4, v[102:103]
	v_add_co_u32 v100, vcc_lo, s2, v100
	v_ashrrev_i32_e32 v109, 31, v108
	v_add_co_ci_u32_e32 v101, vcc_lo, s3, v101, vcc_lo
	v_lshlrev_b64 v[106:107], 4, v[106:107]
	v_add_co_u32 v102, vcc_lo, s2, v102
	v_ashrrev_i32_e32 v111, 31, v110
	v_add_co_ci_u32_e32 v103, vcc_lo, s3, v103, vcc_lo
	v_add_co_u32 v104, vcc_lo, s2, v104
	v_lshlrev_b64 v[108:109], 4, v[108:109]
	v_ashrrev_i32_e32 v113, 31, v112
	v_add_co_ci_u32_e32 v105, vcc_lo, s3, v105, vcc_lo
	v_add_co_u32 v106, vcc_lo, s2, v106
	v_lshlrev_b64 v[110:111], 4, v[110:111]
	v_ashrrev_i32_e32 v115, 31, v114
	v_add_co_ci_u32_e32 v107, vcc_lo, s3, v107, vcc_lo
	v_add_co_u32 v108, vcc_lo, s2, v108
	v_lshlrev_b64 v[112:113], 4, v[112:113]
	v_ashrrev_i32_e32 v117, 31, v116
	v_add_co_ci_u32_e32 v109, vcc_lo, s3, v109, vcc_lo
	v_add_co_u32 v110, vcc_lo, s2, v110
	v_lshlrev_b64 v[114:115], 4, v[114:115]
	v_add_co_ci_u32_e32 v111, vcc_lo, s3, v111, vcc_lo
	v_add_co_u32 v112, vcc_lo, s2, v112
	v_lshlrev_b64 v[116:117], 4, v[116:117]
	v_add_co_ci_u32_e32 v113, vcc_lo, s3, v113, vcc_lo
	v_add_co_u32 v114, vcc_lo, s2, v114
	v_add_co_ci_u32_e32 v115, vcc_lo, s3, v115, vcc_lo
	s_clause 0x13
	global_load_b128 v[34:37], v[62:63], off
	global_load_b128 v[38:41], v[64:65], off
	;; [unrolled: 1-line block ×20, first 2 shown]
	v_add_co_u32 v116, vcc_lo, s2, v116
	v_add_co_ci_u32_e32 v117, vcc_lo, s3, v117, vcc_lo
	s_movk_i32 s2, 0x50
	s_movk_i32 s11, 0xb0
	s_movk_i32 s34, 0x1b0
	s_movk_i32 s35, 0x1c0
	s_movk_i32 s36, 0x1d0
	s_movk_i32 s37, 0x1e0
	s_movk_i32 s38, 0x1f0
	s_movk_i32 s39, 0x200
	s_movk_i32 s40, 0x210
	s_movk_i32 s41, 0x220
	s_movk_i32 s42, 0x230
	v_add_nc_u32_e64 v122, 0, 16
	v_add_nc_u32_e64 v120, 0, 32
	;; [unrolled: 1-line block ×21, first 2 shown]
	s_mov_b32 s3, -1
	s_bitcmp0_b32 s21, 0
	s_waitcnt vmcnt(27)
	scratch_store_b128 off, v[1:4], off
	s_waitcnt vmcnt(26)
	scratch_store_b128 off, v[5:8], off offset:16
	s_clause 0x1
	global_load_b128 v[1:4], v[100:101], off
	global_load_b128 v[5:8], v[104:105], off
	s_waitcnt vmcnt(27)
	scratch_store_b128 off, v[9:12], off offset:32
	s_waitcnt vmcnt(26)
	scratch_store_b128 off, v[14:17], off offset:48
	s_clause 0x1
	global_load_b128 v[9:12], v[106:107], off
	global_load_b128 v[14:17], v[108:109], off
	s_waitcnt vmcnt(26)
	s_clause 0x1
	scratch_store_b128 off, v[22:25], off offset:80
	scratch_store_b128 off, v[18:21], off offset:64
	s_clause 0x1
	global_load_b128 v[18:21], v[110:111], off
	global_load_b128 v[22:25], v[112:113], off
	s_waitcnt vmcnt(27)
	scratch_store_b128 off, v[26:29], off offset:96
	s_waitcnt vmcnt(26)
	scratch_store_b128 off, v[30:33], off offset:112
	s_clause 0x1
	global_load_b128 v[26:29], v[114:115], off
	global_load_b128 v[30:33], v[116:117], off
	s_waitcnt vmcnt(27)
	scratch_store_b128 off, v[34:37], off offset:128
	s_waitcnt vmcnt(26)
	scratch_store_b128 off, v[38:41], off offset:144
	;; [unrolled: 2-line block ×4, first 2 shown]
	v_add_nc_u32_e64 v125, s24, 0
	s_waitcnt vmcnt(23)
	scratch_store_b128 off, v[144:147], off offset:192
	v_add_nc_u32_e64 v126, s25, 0
	v_add_nc_u32_e64 v147, s33, 0
	;; [unrolled: 1-line block ×7, first 2 shown]
	s_waitcnt vmcnt(22)
	scratch_store_b128 off, v[148:151], off offset:208
	s_waitcnt vmcnt(21)
	scratch_store_b128 off, v[152:155], off offset:224
	;; [unrolled: 2-line block ×19, first 2 shown]
	v_add_nc_u32_e64 v153, s26, 0
	v_add_nc_u32_e64 v152, s27, 0
	;; [unrolled: 1-line block ×6, first 2 shown]
	s_waitcnt vmcnt(2)
	scratch_store_b128 off, v[22:25], off offset:512
	s_waitcnt vmcnt(1)
	scratch_store_b128 off, v[26:29], off offset:528
	s_waitcnt vmcnt(0)
	s_clause 0x1
	scratch_store_b128 off, v[30:33], off offset:544
	scratch_store_b128 off, v[204:207], off offset:560
	s_cbranch_scc1 .LBB35_156
; %bb.4:
	v_cmp_eq_u32_e64 s2, 0, v118
	s_delay_alu instid0(VALU_DEP_1)
	s_and_saveexec_b32 s3, s2
	s_cbranch_execz .LBB35_6
; %bb.5:
	v_mov_b32_e32 v1, 0
	ds_store_b32 v1, v1 offset:1152
.LBB35_6:
	s_or_b32 exec_lo, exec_lo, s3
	s_waitcnt lgkmcnt(0)
	s_waitcnt_vscnt null, 0x0
	s_barrier
	buffer_gl0_inv
	scratch_load_b128 v[1:4], v13, off
	s_waitcnt vmcnt(0)
	v_cmp_eq_f64_e32 vcc_lo, 0, v[1:2]
	v_cmp_eq_f64_e64 s3, 0, v[3:4]
	s_delay_alu instid0(VALU_DEP_1) | instskip(NEXT) | instid1(SALU_CYCLE_1)
	s_and_b32 s3, vcc_lo, s3
	s_and_saveexec_b32 s4, s3
	s_cbranch_execz .LBB35_10
; %bb.7:
	v_mov_b32_e32 v1, 0
	s_mov_b32 s5, 0
	ds_load_b32 v2, v1 offset:1152
	s_waitcnt lgkmcnt(0)
	v_readfirstlane_b32 s3, v2
	v_add_nc_u32_e32 v2, 1, v118
	s_delay_alu instid0(VALU_DEP_2) | instskip(NEXT) | instid1(VALU_DEP_1)
	s_cmp_eq_u32 s3, 0
	v_cmp_gt_i32_e32 vcc_lo, s3, v2
	s_cselect_b32 s8, -1, 0
	s_delay_alu instid0(SALU_CYCLE_1) | instskip(NEXT) | instid1(SALU_CYCLE_1)
	s_or_b32 s8, s8, vcc_lo
	s_and_b32 exec_lo, exec_lo, s8
	s_cbranch_execz .LBB35_10
; %bb.8:
	v_mov_b32_e32 v3, s3
.LBB35_9:                               ; =>This Inner Loop Header: Depth=1
	ds_cmpstore_rtn_b32 v3, v1, v2, v3 offset:1152
	s_waitcnt lgkmcnt(0)
	v_cmp_ne_u32_e32 vcc_lo, 0, v3
	v_cmp_le_i32_e64 s3, v3, v2
	s_delay_alu instid0(VALU_DEP_1) | instskip(NEXT) | instid1(SALU_CYCLE_1)
	s_and_b32 s3, vcc_lo, s3
	s_and_b32 s3, exec_lo, s3
	s_delay_alu instid0(SALU_CYCLE_1) | instskip(NEXT) | instid1(SALU_CYCLE_1)
	s_or_b32 s5, s3, s5
	s_and_not1_b32 exec_lo, exec_lo, s5
	s_cbranch_execnz .LBB35_9
.LBB35_10:
	s_or_b32 exec_lo, exec_lo, s4
	v_mov_b32_e32 v1, 0
	s_barrier
	buffer_gl0_inv
	ds_load_b32 v2, v1 offset:1152
	s_and_saveexec_b32 s3, s2
	s_cbranch_execz .LBB35_12
; %bb.11:
	s_lshl_b64 s[4:5], s[18:19], 2
	s_delay_alu instid0(SALU_CYCLE_1)
	s_add_u32 s4, s6, s4
	s_addc_u32 s5, s7, s5
	s_waitcnt lgkmcnt(0)
	global_store_b32 v1, v2, s[4:5]
.LBB35_12:
	s_or_b32 exec_lo, exec_lo, s3
	s_waitcnt lgkmcnt(0)
	v_cmp_ne_u32_e32 vcc_lo, 0, v2
	s_mov_b32 s3, 0
	s_cbranch_vccnz .LBB35_156
; %bb.13:
	v_add_nc_u32_e32 v14, 0, v13
                                        ; implicit-def: $vgpr9_vgpr10
	scratch_load_b128 v[1:4], v14, off
	s_waitcnt vmcnt(0)
	v_mov_b32_e32 v5, v1
	v_cmp_gt_f64_e32 vcc_lo, 0, v[1:2]
	v_xor_b32_e32 v6, 0x80000000, v2
	v_xor_b32_e32 v7, 0x80000000, v4
	s_delay_alu instid0(VALU_DEP_2) | instskip(SKIP_1) | instid1(VALU_DEP_3)
	v_cndmask_b32_e32 v6, v2, v6, vcc_lo
	v_cmp_gt_f64_e32 vcc_lo, 0, v[3:4]
	v_dual_cndmask_b32 v8, v4, v7 :: v_dual_mov_b32 v7, v3
	s_delay_alu instid0(VALU_DEP_1) | instskip(SKIP_1) | instid1(SALU_CYCLE_1)
	v_cmp_ngt_f64_e32 vcc_lo, v[5:6], v[7:8]
                                        ; implicit-def: $vgpr5_vgpr6
	s_and_saveexec_b32 s3, vcc_lo
	s_xor_b32 s3, exec_lo, s3
	s_cbranch_execz .LBB35_15
; %bb.14:
	v_div_scale_f64 v[5:6], null, v[3:4], v[3:4], v[1:2]
	v_div_scale_f64 v[11:12], vcc_lo, v[1:2], v[3:4], v[1:2]
	s_delay_alu instid0(VALU_DEP_2) | instskip(SKIP_2) | instid1(VALU_DEP_1)
	v_rcp_f64_e32 v[7:8], v[5:6]
	s_waitcnt_depctr 0xfff
	v_fma_f64 v[9:10], -v[5:6], v[7:8], 1.0
	v_fma_f64 v[7:8], v[7:8], v[9:10], v[7:8]
	s_delay_alu instid0(VALU_DEP_1) | instskip(NEXT) | instid1(VALU_DEP_1)
	v_fma_f64 v[9:10], -v[5:6], v[7:8], 1.0
	v_fma_f64 v[7:8], v[7:8], v[9:10], v[7:8]
	s_delay_alu instid0(VALU_DEP_1) | instskip(NEXT) | instid1(VALU_DEP_1)
	v_mul_f64 v[9:10], v[11:12], v[7:8]
	v_fma_f64 v[5:6], -v[5:6], v[9:10], v[11:12]
	s_delay_alu instid0(VALU_DEP_1) | instskip(NEXT) | instid1(VALU_DEP_1)
	v_div_fmas_f64 v[5:6], v[5:6], v[7:8], v[9:10]
	v_div_fixup_f64 v[5:6], v[5:6], v[3:4], v[1:2]
	s_delay_alu instid0(VALU_DEP_1) | instskip(NEXT) | instid1(VALU_DEP_1)
	v_fma_f64 v[1:2], v[1:2], v[5:6], v[3:4]
	v_div_scale_f64 v[3:4], null, v[1:2], v[1:2], 1.0
	v_div_scale_f64 v[11:12], vcc_lo, 1.0, v[1:2], 1.0
	s_delay_alu instid0(VALU_DEP_2) | instskip(SKIP_2) | instid1(VALU_DEP_1)
	v_rcp_f64_e32 v[7:8], v[3:4]
	s_waitcnt_depctr 0xfff
	v_fma_f64 v[9:10], -v[3:4], v[7:8], 1.0
	v_fma_f64 v[7:8], v[7:8], v[9:10], v[7:8]
	s_delay_alu instid0(VALU_DEP_1) | instskip(NEXT) | instid1(VALU_DEP_1)
	v_fma_f64 v[9:10], -v[3:4], v[7:8], 1.0
	v_fma_f64 v[7:8], v[7:8], v[9:10], v[7:8]
	s_delay_alu instid0(VALU_DEP_1) | instskip(NEXT) | instid1(VALU_DEP_1)
	v_mul_f64 v[9:10], v[11:12], v[7:8]
	v_fma_f64 v[3:4], -v[3:4], v[9:10], v[11:12]
	s_delay_alu instid0(VALU_DEP_1) | instskip(NEXT) | instid1(VALU_DEP_1)
	v_div_fmas_f64 v[3:4], v[3:4], v[7:8], v[9:10]
	v_div_fixup_f64 v[7:8], v[3:4], v[1:2], 1.0
                                        ; implicit-def: $vgpr1_vgpr2
	s_delay_alu instid0(VALU_DEP_1) | instskip(SKIP_1) | instid1(VALU_DEP_2)
	v_mul_f64 v[5:6], v[5:6], v[7:8]
	v_xor_b32_e32 v8, 0x80000000, v8
	v_xor_b32_e32 v10, 0x80000000, v6
	s_delay_alu instid0(VALU_DEP_3)
	v_mov_b32_e32 v9, v5
.LBB35_15:
	s_and_not1_saveexec_b32 s3, s3
	s_cbranch_execz .LBB35_17
; %bb.16:
	v_div_scale_f64 v[5:6], null, v[1:2], v[1:2], v[3:4]
	v_div_scale_f64 v[11:12], vcc_lo, v[3:4], v[1:2], v[3:4]
	s_delay_alu instid0(VALU_DEP_2) | instskip(SKIP_2) | instid1(VALU_DEP_1)
	v_rcp_f64_e32 v[7:8], v[5:6]
	s_waitcnt_depctr 0xfff
	v_fma_f64 v[9:10], -v[5:6], v[7:8], 1.0
	v_fma_f64 v[7:8], v[7:8], v[9:10], v[7:8]
	s_delay_alu instid0(VALU_DEP_1) | instskip(NEXT) | instid1(VALU_DEP_1)
	v_fma_f64 v[9:10], -v[5:6], v[7:8], 1.0
	v_fma_f64 v[7:8], v[7:8], v[9:10], v[7:8]
	s_delay_alu instid0(VALU_DEP_1) | instskip(NEXT) | instid1(VALU_DEP_1)
	v_mul_f64 v[9:10], v[11:12], v[7:8]
	v_fma_f64 v[5:6], -v[5:6], v[9:10], v[11:12]
	s_delay_alu instid0(VALU_DEP_1) | instskip(NEXT) | instid1(VALU_DEP_1)
	v_div_fmas_f64 v[5:6], v[5:6], v[7:8], v[9:10]
	v_div_fixup_f64 v[7:8], v[5:6], v[1:2], v[3:4]
	s_delay_alu instid0(VALU_DEP_1) | instskip(NEXT) | instid1(VALU_DEP_1)
	v_fma_f64 v[1:2], v[3:4], v[7:8], v[1:2]
	v_div_scale_f64 v[3:4], null, v[1:2], v[1:2], 1.0
	s_delay_alu instid0(VALU_DEP_1) | instskip(SKIP_2) | instid1(VALU_DEP_1)
	v_rcp_f64_e32 v[5:6], v[3:4]
	s_waitcnt_depctr 0xfff
	v_fma_f64 v[9:10], -v[3:4], v[5:6], 1.0
	v_fma_f64 v[5:6], v[5:6], v[9:10], v[5:6]
	s_delay_alu instid0(VALU_DEP_1) | instskip(NEXT) | instid1(VALU_DEP_1)
	v_fma_f64 v[9:10], -v[3:4], v[5:6], 1.0
	v_fma_f64 v[5:6], v[5:6], v[9:10], v[5:6]
	v_div_scale_f64 v[9:10], vcc_lo, 1.0, v[1:2], 1.0
	s_delay_alu instid0(VALU_DEP_1) | instskip(NEXT) | instid1(VALU_DEP_1)
	v_mul_f64 v[11:12], v[9:10], v[5:6]
	v_fma_f64 v[3:4], -v[3:4], v[11:12], v[9:10]
	s_delay_alu instid0(VALU_DEP_1) | instskip(NEXT) | instid1(VALU_DEP_1)
	v_div_fmas_f64 v[3:4], v[3:4], v[5:6], v[11:12]
	v_div_fixup_f64 v[5:6], v[3:4], v[1:2], 1.0
	s_delay_alu instid0(VALU_DEP_1)
	v_mul_f64 v[7:8], v[7:8], -v[5:6]
	v_xor_b32_e32 v10, 0x80000000, v6
	v_mov_b32_e32 v9, v5
.LBB35_17:
	s_or_b32 exec_lo, exec_lo, s3
	scratch_store_b128 v14, v[5:8], off
	scratch_load_b128 v[1:4], v122, off
	v_xor_b32_e32 v12, 0x80000000, v8
	v_mov_b32_e32 v11, v7
	v_add_nc_u32_e32 v5, 0x240, v13
	ds_store_b128 v13, v[9:12]
	s_waitcnt vmcnt(0)
	ds_store_b128 v13, v[1:4] offset:576
	s_waitcnt lgkmcnt(0)
	s_waitcnt_vscnt null, 0x0
	s_barrier
	buffer_gl0_inv
	s_and_saveexec_b32 s3, s2
	s_cbranch_execz .LBB35_19
; %bb.18:
	scratch_load_b128 v[1:4], v14, off
	ds_load_b128 v[6:9], v5
	v_mov_b32_e32 v10, 0
	ds_load_b128 v[15:18], v10 offset:16
	s_waitcnt vmcnt(0) lgkmcnt(1)
	v_mul_f64 v[10:11], v[6:7], v[3:4]
	v_mul_f64 v[3:4], v[8:9], v[3:4]
	s_delay_alu instid0(VALU_DEP_2) | instskip(NEXT) | instid1(VALU_DEP_2)
	v_fma_f64 v[8:9], v[8:9], v[1:2], v[10:11]
	v_fma_f64 v[1:2], v[6:7], v[1:2], -v[3:4]
	s_delay_alu instid0(VALU_DEP_2) | instskip(NEXT) | instid1(VALU_DEP_2)
	v_add_f64 v[3:4], v[8:9], 0
	v_add_f64 v[1:2], v[1:2], 0
	s_waitcnt lgkmcnt(0)
	s_delay_alu instid0(VALU_DEP_2) | instskip(NEXT) | instid1(VALU_DEP_2)
	v_mul_f64 v[6:7], v[3:4], v[17:18]
	v_mul_f64 v[8:9], v[1:2], v[17:18]
	s_delay_alu instid0(VALU_DEP_2) | instskip(NEXT) | instid1(VALU_DEP_2)
	v_fma_f64 v[1:2], v[1:2], v[15:16], -v[6:7]
	v_fma_f64 v[3:4], v[3:4], v[15:16], v[8:9]
	scratch_store_b128 off, v[1:4], off offset:16
.LBB35_19:
	s_or_b32 exec_lo, exec_lo, s3
	s_waitcnt_vscnt null, 0x0
	s_barrier
	buffer_gl0_inv
	scratch_load_b128 v[1:4], v120, off
	s_mov_b32 s3, exec_lo
	s_waitcnt vmcnt(0)
	ds_store_b128 v5, v[1:4]
	s_waitcnt lgkmcnt(0)
	s_barrier
	buffer_gl0_inv
	v_cmpx_gt_u32_e32 2, v118
	s_cbranch_execz .LBB35_23
; %bb.20:
	scratch_load_b128 v[1:4], v14, off
	ds_load_b128 v[6:9], v5
	s_waitcnt vmcnt(0) lgkmcnt(0)
	v_mul_f64 v[10:11], v[8:9], v[3:4]
	v_mul_f64 v[3:4], v[6:7], v[3:4]
	s_delay_alu instid0(VALU_DEP_2) | instskip(NEXT) | instid1(VALU_DEP_2)
	v_fma_f64 v[6:7], v[6:7], v[1:2], -v[10:11]
	v_fma_f64 v[3:4], v[8:9], v[1:2], v[3:4]
	s_delay_alu instid0(VALU_DEP_2) | instskip(NEXT) | instid1(VALU_DEP_2)
	v_add_f64 v[1:2], v[6:7], 0
	v_add_f64 v[3:4], v[3:4], 0
	s_and_saveexec_b32 s4, s2
	s_cbranch_execz .LBB35_22
; %bb.21:
	scratch_load_b128 v[6:9], off, off offset:16
	v_mov_b32_e32 v10, 0
	ds_load_b128 v[15:18], v10 offset:592
	s_waitcnt vmcnt(0) lgkmcnt(0)
	v_mul_f64 v[10:11], v[15:16], v[8:9]
	v_mul_f64 v[8:9], v[17:18], v[8:9]
	s_delay_alu instid0(VALU_DEP_2) | instskip(NEXT) | instid1(VALU_DEP_2)
	v_fma_f64 v[10:11], v[17:18], v[6:7], v[10:11]
	v_fma_f64 v[6:7], v[15:16], v[6:7], -v[8:9]
	s_delay_alu instid0(VALU_DEP_2) | instskip(NEXT) | instid1(VALU_DEP_2)
	v_add_f64 v[3:4], v[3:4], v[10:11]
	v_add_f64 v[1:2], v[1:2], v[6:7]
.LBB35_22:
	s_or_b32 exec_lo, exec_lo, s4
	v_mov_b32_e32 v6, 0
	ds_load_b128 v[6:9], v6 offset:32
	s_waitcnt lgkmcnt(0)
	v_mul_f64 v[10:11], v[3:4], v[8:9]
	v_mul_f64 v[8:9], v[1:2], v[8:9]
	s_delay_alu instid0(VALU_DEP_2) | instskip(NEXT) | instid1(VALU_DEP_2)
	v_fma_f64 v[1:2], v[1:2], v[6:7], -v[10:11]
	v_fma_f64 v[3:4], v[3:4], v[6:7], v[8:9]
	scratch_store_b128 off, v[1:4], off offset:32
.LBB35_23:
	s_or_b32 exec_lo, exec_lo, s3
	s_waitcnt_vscnt null, 0x0
	s_barrier
	buffer_gl0_inv
	scratch_load_b128 v[1:4], v121, off
	v_add_nc_u32_e32 v6, -1, v118
	s_mov_b32 s2, exec_lo
	s_waitcnt vmcnt(0)
	ds_store_b128 v5, v[1:4]
	s_waitcnt lgkmcnt(0)
	s_barrier
	buffer_gl0_inv
	v_cmpx_gt_u32_e32 3, v118
	s_cbranch_execz .LBB35_27
; %bb.24:
	v_dual_mov_b32 v1, 0 :: v_dual_add_nc_u32 v8, 0x240, v13
	v_dual_mov_b32 v2, 0 :: v_dual_add_nc_u32 v7, -1, v118
	v_or_b32_e32 v9, 8, v14
	s_mov_b32 s3, 0
	s_delay_alu instid0(VALU_DEP_2)
	v_dual_mov_b32 v4, v2 :: v_dual_mov_b32 v3, v1
	.p2align	6
.LBB35_25:                              ; =>This Inner Loop Header: Depth=1
	scratch_load_b128 v[15:18], v9, off offset:-8
	ds_load_b128 v[19:22], v8
	v_add_nc_u32_e32 v7, 1, v7
	v_add_nc_u32_e32 v8, 16, v8
	;; [unrolled: 1-line block ×3, first 2 shown]
	s_delay_alu instid0(VALU_DEP_3) | instskip(SKIP_4) | instid1(VALU_DEP_2)
	v_cmp_lt_u32_e32 vcc_lo, 1, v7
	s_or_b32 s3, vcc_lo, s3
	s_waitcnt vmcnt(0) lgkmcnt(0)
	v_mul_f64 v[10:11], v[21:22], v[17:18]
	v_mul_f64 v[17:18], v[19:20], v[17:18]
	v_fma_f64 v[10:11], v[19:20], v[15:16], -v[10:11]
	s_delay_alu instid0(VALU_DEP_2) | instskip(NEXT) | instid1(VALU_DEP_2)
	v_fma_f64 v[15:16], v[21:22], v[15:16], v[17:18]
	v_add_f64 v[3:4], v[3:4], v[10:11]
	s_delay_alu instid0(VALU_DEP_2)
	v_add_f64 v[1:2], v[1:2], v[15:16]
	s_and_not1_b32 exec_lo, exec_lo, s3
	s_cbranch_execnz .LBB35_25
; %bb.26:
	s_or_b32 exec_lo, exec_lo, s3
	v_mov_b32_e32 v7, 0
	ds_load_b128 v[7:10], v7 offset:48
	s_waitcnt lgkmcnt(0)
	v_mul_f64 v[11:12], v[1:2], v[9:10]
	v_mul_f64 v[15:16], v[3:4], v[9:10]
	s_delay_alu instid0(VALU_DEP_2) | instskip(NEXT) | instid1(VALU_DEP_2)
	v_fma_f64 v[9:10], v[3:4], v[7:8], -v[11:12]
	v_fma_f64 v[11:12], v[1:2], v[7:8], v[15:16]
	scratch_store_b128 off, v[9:12], off offset:48
.LBB35_27:
	s_or_b32 exec_lo, exec_lo, s2
	s_waitcnt_vscnt null, 0x0
	s_barrier
	buffer_gl0_inv
	scratch_load_b128 v[1:4], v119, off
	s_mov_b32 s2, exec_lo
	s_waitcnt vmcnt(0)
	ds_store_b128 v5, v[1:4]
	s_waitcnt lgkmcnt(0)
	s_barrier
	buffer_gl0_inv
	v_cmpx_gt_u32_e32 4, v118
	s_cbranch_execz .LBB35_31
; %bb.28:
	v_dual_mov_b32 v1, 0 :: v_dual_add_nc_u32 v8, 0x240, v13
	v_dual_mov_b32 v2, 0 :: v_dual_add_nc_u32 v7, -1, v118
	v_or_b32_e32 v9, 8, v14
	s_mov_b32 s3, 0
	s_delay_alu instid0(VALU_DEP_2)
	v_dual_mov_b32 v4, v2 :: v_dual_mov_b32 v3, v1
	.p2align	6
.LBB35_29:                              ; =>This Inner Loop Header: Depth=1
	scratch_load_b128 v[15:18], v9, off offset:-8
	ds_load_b128 v[19:22], v8
	v_add_nc_u32_e32 v7, 1, v7
	v_add_nc_u32_e32 v8, 16, v8
	v_add_nc_u32_e32 v9, 16, v9
	s_delay_alu instid0(VALU_DEP_3) | instskip(SKIP_4) | instid1(VALU_DEP_2)
	v_cmp_lt_u32_e32 vcc_lo, 2, v7
	s_or_b32 s3, vcc_lo, s3
	s_waitcnt vmcnt(0) lgkmcnt(0)
	v_mul_f64 v[10:11], v[21:22], v[17:18]
	v_mul_f64 v[17:18], v[19:20], v[17:18]
	v_fma_f64 v[10:11], v[19:20], v[15:16], -v[10:11]
	s_delay_alu instid0(VALU_DEP_2) | instskip(NEXT) | instid1(VALU_DEP_2)
	v_fma_f64 v[15:16], v[21:22], v[15:16], v[17:18]
	v_add_f64 v[3:4], v[3:4], v[10:11]
	s_delay_alu instid0(VALU_DEP_2)
	v_add_f64 v[1:2], v[1:2], v[15:16]
	s_and_not1_b32 exec_lo, exec_lo, s3
	s_cbranch_execnz .LBB35_29
; %bb.30:
	s_or_b32 exec_lo, exec_lo, s3
	v_mov_b32_e32 v7, 0
	ds_load_b128 v[7:10], v7 offset:64
	s_waitcnt lgkmcnt(0)
	v_mul_f64 v[11:12], v[1:2], v[9:10]
	v_mul_f64 v[15:16], v[3:4], v[9:10]
	s_delay_alu instid0(VALU_DEP_2) | instskip(NEXT) | instid1(VALU_DEP_2)
	v_fma_f64 v[9:10], v[3:4], v[7:8], -v[11:12]
	v_fma_f64 v[11:12], v[1:2], v[7:8], v[15:16]
	scratch_store_b128 off, v[9:12], off offset:64
.LBB35_31:
	s_or_b32 exec_lo, exec_lo, s2
	s_waitcnt_vscnt null, 0x0
	s_barrier
	buffer_gl0_inv
	scratch_load_b128 v[1:4], v143, off
	s_mov_b32 s2, exec_lo
	s_waitcnt vmcnt(0)
	ds_store_b128 v5, v[1:4]
	s_waitcnt lgkmcnt(0)
	s_barrier
	buffer_gl0_inv
	v_cmpx_gt_u32_e32 5, v118
	s_cbranch_execz .LBB35_35
; %bb.32:
	v_dual_mov_b32 v1, 0 :: v_dual_add_nc_u32 v8, 0x240, v13
	v_dual_mov_b32 v2, 0 :: v_dual_add_nc_u32 v7, -1, v118
	v_or_b32_e32 v9, 8, v14
	s_mov_b32 s3, 0
	s_delay_alu instid0(VALU_DEP_2)
	v_dual_mov_b32 v4, v2 :: v_dual_mov_b32 v3, v1
	.p2align	6
.LBB35_33:                              ; =>This Inner Loop Header: Depth=1
	scratch_load_b128 v[15:18], v9, off offset:-8
	ds_load_b128 v[19:22], v8
	v_add_nc_u32_e32 v7, 1, v7
	v_add_nc_u32_e32 v8, 16, v8
	;; [unrolled: 1-line block ×3, first 2 shown]
	s_delay_alu instid0(VALU_DEP_3) | instskip(SKIP_4) | instid1(VALU_DEP_2)
	v_cmp_lt_u32_e32 vcc_lo, 3, v7
	s_or_b32 s3, vcc_lo, s3
	s_waitcnt vmcnt(0) lgkmcnt(0)
	v_mul_f64 v[10:11], v[21:22], v[17:18]
	v_mul_f64 v[17:18], v[19:20], v[17:18]
	v_fma_f64 v[10:11], v[19:20], v[15:16], -v[10:11]
	s_delay_alu instid0(VALU_DEP_2) | instskip(NEXT) | instid1(VALU_DEP_2)
	v_fma_f64 v[15:16], v[21:22], v[15:16], v[17:18]
	v_add_f64 v[3:4], v[3:4], v[10:11]
	s_delay_alu instid0(VALU_DEP_2)
	v_add_f64 v[1:2], v[1:2], v[15:16]
	s_and_not1_b32 exec_lo, exec_lo, s3
	s_cbranch_execnz .LBB35_33
; %bb.34:
	s_or_b32 exec_lo, exec_lo, s3
	v_mov_b32_e32 v7, 0
	ds_load_b128 v[7:10], v7 offset:80
	s_waitcnt lgkmcnt(0)
	v_mul_f64 v[11:12], v[1:2], v[9:10]
	v_mul_f64 v[15:16], v[3:4], v[9:10]
	s_delay_alu instid0(VALU_DEP_2) | instskip(NEXT) | instid1(VALU_DEP_2)
	v_fma_f64 v[9:10], v[3:4], v[7:8], -v[11:12]
	v_fma_f64 v[11:12], v[1:2], v[7:8], v[15:16]
	scratch_store_b128 off, v[9:12], off offset:80
.LBB35_35:
	s_or_b32 exec_lo, exec_lo, s2
	s_waitcnt_vscnt null, 0x0
	s_barrier
	buffer_gl0_inv
	scratch_load_b128 v[1:4], v141, off
	s_mov_b32 s2, exec_lo
	s_waitcnt vmcnt(0)
	ds_store_b128 v5, v[1:4]
	s_waitcnt lgkmcnt(0)
	s_barrier
	buffer_gl0_inv
	v_cmpx_gt_u32_e32 6, v118
	s_cbranch_execz .LBB35_39
; %bb.36:
	v_dual_mov_b32 v1, 0 :: v_dual_add_nc_u32 v8, 0x240, v13
	v_dual_mov_b32 v2, 0 :: v_dual_add_nc_u32 v7, -1, v118
	v_or_b32_e32 v9, 8, v14
	s_mov_b32 s3, 0
	s_delay_alu instid0(VALU_DEP_2)
	v_dual_mov_b32 v4, v2 :: v_dual_mov_b32 v3, v1
	.p2align	6
.LBB35_37:                              ; =>This Inner Loop Header: Depth=1
	scratch_load_b128 v[15:18], v9, off offset:-8
	ds_load_b128 v[19:22], v8
	v_add_nc_u32_e32 v7, 1, v7
	v_add_nc_u32_e32 v8, 16, v8
	;; [unrolled: 1-line block ×3, first 2 shown]
	s_delay_alu instid0(VALU_DEP_3) | instskip(SKIP_4) | instid1(VALU_DEP_2)
	v_cmp_lt_u32_e32 vcc_lo, 4, v7
	s_or_b32 s3, vcc_lo, s3
	s_waitcnt vmcnt(0) lgkmcnt(0)
	v_mul_f64 v[10:11], v[21:22], v[17:18]
	v_mul_f64 v[17:18], v[19:20], v[17:18]
	v_fma_f64 v[10:11], v[19:20], v[15:16], -v[10:11]
	s_delay_alu instid0(VALU_DEP_2) | instskip(NEXT) | instid1(VALU_DEP_2)
	v_fma_f64 v[15:16], v[21:22], v[15:16], v[17:18]
	v_add_f64 v[3:4], v[3:4], v[10:11]
	s_delay_alu instid0(VALU_DEP_2)
	v_add_f64 v[1:2], v[1:2], v[15:16]
	s_and_not1_b32 exec_lo, exec_lo, s3
	s_cbranch_execnz .LBB35_37
; %bb.38:
	s_or_b32 exec_lo, exec_lo, s3
	v_mov_b32_e32 v7, 0
	ds_load_b128 v[7:10], v7 offset:96
	s_waitcnt lgkmcnt(0)
	v_mul_f64 v[11:12], v[1:2], v[9:10]
	v_mul_f64 v[15:16], v[3:4], v[9:10]
	s_delay_alu instid0(VALU_DEP_2) | instskip(NEXT) | instid1(VALU_DEP_2)
	v_fma_f64 v[9:10], v[3:4], v[7:8], -v[11:12]
	v_fma_f64 v[11:12], v[1:2], v[7:8], v[15:16]
	scratch_store_b128 off, v[9:12], off offset:96
.LBB35_39:
	s_or_b32 exec_lo, exec_lo, s2
	s_waitcnt_vscnt null, 0x0
	s_barrier
	buffer_gl0_inv
	scratch_load_b128 v[1:4], v142, off
	s_mov_b32 s2, exec_lo
	s_waitcnt vmcnt(0)
	ds_store_b128 v5, v[1:4]
	s_waitcnt lgkmcnt(0)
	s_barrier
	buffer_gl0_inv
	v_cmpx_gt_u32_e32 7, v118
	s_cbranch_execz .LBB35_43
; %bb.40:
	v_dual_mov_b32 v1, 0 :: v_dual_add_nc_u32 v8, 0x240, v13
	v_dual_mov_b32 v2, 0 :: v_dual_add_nc_u32 v7, -1, v118
	v_or_b32_e32 v9, 8, v14
	s_mov_b32 s3, 0
	s_delay_alu instid0(VALU_DEP_2)
	v_dual_mov_b32 v4, v2 :: v_dual_mov_b32 v3, v1
	.p2align	6
.LBB35_41:                              ; =>This Inner Loop Header: Depth=1
	scratch_load_b128 v[15:18], v9, off offset:-8
	ds_load_b128 v[19:22], v8
	v_add_nc_u32_e32 v7, 1, v7
	v_add_nc_u32_e32 v8, 16, v8
	;; [unrolled: 1-line block ×3, first 2 shown]
	s_delay_alu instid0(VALU_DEP_3) | instskip(SKIP_4) | instid1(VALU_DEP_2)
	v_cmp_lt_u32_e32 vcc_lo, 5, v7
	s_or_b32 s3, vcc_lo, s3
	s_waitcnt vmcnt(0) lgkmcnt(0)
	v_mul_f64 v[10:11], v[21:22], v[17:18]
	v_mul_f64 v[17:18], v[19:20], v[17:18]
	v_fma_f64 v[10:11], v[19:20], v[15:16], -v[10:11]
	s_delay_alu instid0(VALU_DEP_2) | instskip(NEXT) | instid1(VALU_DEP_2)
	v_fma_f64 v[15:16], v[21:22], v[15:16], v[17:18]
	v_add_f64 v[3:4], v[3:4], v[10:11]
	s_delay_alu instid0(VALU_DEP_2)
	v_add_f64 v[1:2], v[1:2], v[15:16]
	s_and_not1_b32 exec_lo, exec_lo, s3
	s_cbranch_execnz .LBB35_41
; %bb.42:
	s_or_b32 exec_lo, exec_lo, s3
	v_mov_b32_e32 v7, 0
	ds_load_b128 v[7:10], v7 offset:112
	s_waitcnt lgkmcnt(0)
	v_mul_f64 v[11:12], v[1:2], v[9:10]
	v_mul_f64 v[15:16], v[3:4], v[9:10]
	s_delay_alu instid0(VALU_DEP_2) | instskip(NEXT) | instid1(VALU_DEP_2)
	v_fma_f64 v[9:10], v[3:4], v[7:8], -v[11:12]
	v_fma_f64 v[11:12], v[1:2], v[7:8], v[15:16]
	scratch_store_b128 off, v[9:12], off offset:112
.LBB35_43:
	s_or_b32 exec_lo, exec_lo, s2
	s_waitcnt_vscnt null, 0x0
	s_barrier
	buffer_gl0_inv
	scratch_load_b128 v[1:4], v140, off
	s_mov_b32 s2, exec_lo
	s_waitcnt vmcnt(0)
	ds_store_b128 v5, v[1:4]
	s_waitcnt lgkmcnt(0)
	s_barrier
	buffer_gl0_inv
	v_cmpx_gt_u32_e32 8, v118
	s_cbranch_execz .LBB35_47
; %bb.44:
	v_dual_mov_b32 v1, 0 :: v_dual_add_nc_u32 v8, 0x240, v13
	v_dual_mov_b32 v2, 0 :: v_dual_add_nc_u32 v7, -1, v118
	v_or_b32_e32 v9, 8, v14
	s_mov_b32 s3, 0
	s_delay_alu instid0(VALU_DEP_2)
	v_dual_mov_b32 v4, v2 :: v_dual_mov_b32 v3, v1
	.p2align	6
.LBB35_45:                              ; =>This Inner Loop Header: Depth=1
	scratch_load_b128 v[15:18], v9, off offset:-8
	ds_load_b128 v[19:22], v8
	v_add_nc_u32_e32 v7, 1, v7
	v_add_nc_u32_e32 v8, 16, v8
	v_add_nc_u32_e32 v9, 16, v9
	s_delay_alu instid0(VALU_DEP_3) | instskip(SKIP_4) | instid1(VALU_DEP_2)
	v_cmp_lt_u32_e32 vcc_lo, 6, v7
	s_or_b32 s3, vcc_lo, s3
	s_waitcnt vmcnt(0) lgkmcnt(0)
	v_mul_f64 v[10:11], v[21:22], v[17:18]
	v_mul_f64 v[17:18], v[19:20], v[17:18]
	v_fma_f64 v[10:11], v[19:20], v[15:16], -v[10:11]
	s_delay_alu instid0(VALU_DEP_2) | instskip(NEXT) | instid1(VALU_DEP_2)
	v_fma_f64 v[15:16], v[21:22], v[15:16], v[17:18]
	v_add_f64 v[3:4], v[3:4], v[10:11]
	s_delay_alu instid0(VALU_DEP_2)
	v_add_f64 v[1:2], v[1:2], v[15:16]
	s_and_not1_b32 exec_lo, exec_lo, s3
	s_cbranch_execnz .LBB35_45
; %bb.46:
	s_or_b32 exec_lo, exec_lo, s3
	v_mov_b32_e32 v7, 0
	ds_load_b128 v[7:10], v7 offset:128
	s_waitcnt lgkmcnt(0)
	v_mul_f64 v[11:12], v[1:2], v[9:10]
	v_mul_f64 v[15:16], v[3:4], v[9:10]
	s_delay_alu instid0(VALU_DEP_2) | instskip(NEXT) | instid1(VALU_DEP_2)
	v_fma_f64 v[9:10], v[3:4], v[7:8], -v[11:12]
	v_fma_f64 v[11:12], v[1:2], v[7:8], v[15:16]
	scratch_store_b128 off, v[9:12], off offset:128
.LBB35_47:
	s_or_b32 exec_lo, exec_lo, s2
	s_waitcnt_vscnt null, 0x0
	s_barrier
	buffer_gl0_inv
	scratch_load_b128 v[1:4], v138, off
	s_mov_b32 s2, exec_lo
	s_waitcnt vmcnt(0)
	ds_store_b128 v5, v[1:4]
	s_waitcnt lgkmcnt(0)
	s_barrier
	buffer_gl0_inv
	v_cmpx_gt_u32_e32 9, v118
	s_cbranch_execz .LBB35_51
; %bb.48:
	v_dual_mov_b32 v1, 0 :: v_dual_add_nc_u32 v8, 0x240, v13
	v_dual_mov_b32 v2, 0 :: v_dual_add_nc_u32 v7, -1, v118
	v_or_b32_e32 v9, 8, v14
	s_mov_b32 s3, 0
	s_delay_alu instid0(VALU_DEP_2)
	v_dual_mov_b32 v4, v2 :: v_dual_mov_b32 v3, v1
	.p2align	6
.LBB35_49:                              ; =>This Inner Loop Header: Depth=1
	scratch_load_b128 v[15:18], v9, off offset:-8
	ds_load_b128 v[19:22], v8
	v_add_nc_u32_e32 v7, 1, v7
	v_add_nc_u32_e32 v8, 16, v8
	v_add_nc_u32_e32 v9, 16, v9
	s_delay_alu instid0(VALU_DEP_3) | instskip(SKIP_4) | instid1(VALU_DEP_2)
	v_cmp_lt_u32_e32 vcc_lo, 7, v7
	s_or_b32 s3, vcc_lo, s3
	s_waitcnt vmcnt(0) lgkmcnt(0)
	v_mul_f64 v[10:11], v[21:22], v[17:18]
	v_mul_f64 v[17:18], v[19:20], v[17:18]
	v_fma_f64 v[10:11], v[19:20], v[15:16], -v[10:11]
	s_delay_alu instid0(VALU_DEP_2) | instskip(NEXT) | instid1(VALU_DEP_2)
	v_fma_f64 v[15:16], v[21:22], v[15:16], v[17:18]
	v_add_f64 v[3:4], v[3:4], v[10:11]
	s_delay_alu instid0(VALU_DEP_2)
	v_add_f64 v[1:2], v[1:2], v[15:16]
	s_and_not1_b32 exec_lo, exec_lo, s3
	s_cbranch_execnz .LBB35_49
; %bb.50:
	s_or_b32 exec_lo, exec_lo, s3
	v_mov_b32_e32 v7, 0
	ds_load_b128 v[7:10], v7 offset:144
	s_waitcnt lgkmcnt(0)
	v_mul_f64 v[11:12], v[1:2], v[9:10]
	v_mul_f64 v[15:16], v[3:4], v[9:10]
	s_delay_alu instid0(VALU_DEP_2) | instskip(NEXT) | instid1(VALU_DEP_2)
	v_fma_f64 v[9:10], v[3:4], v[7:8], -v[11:12]
	v_fma_f64 v[11:12], v[1:2], v[7:8], v[15:16]
	scratch_store_b128 off, v[9:12], off offset:144
.LBB35_51:
	s_or_b32 exec_lo, exec_lo, s2
	s_waitcnt_vscnt null, 0x0
	s_barrier
	buffer_gl0_inv
	scratch_load_b128 v[1:4], v135, off
	s_mov_b32 s2, exec_lo
	s_waitcnt vmcnt(0)
	ds_store_b128 v5, v[1:4]
	s_waitcnt lgkmcnt(0)
	s_barrier
	buffer_gl0_inv
	v_cmpx_gt_u32_e32 10, v118
	s_cbranch_execz .LBB35_55
; %bb.52:
	v_dual_mov_b32 v1, 0 :: v_dual_add_nc_u32 v8, 0x240, v13
	v_dual_mov_b32 v2, 0 :: v_dual_add_nc_u32 v7, -1, v118
	v_or_b32_e32 v9, 8, v14
	s_mov_b32 s3, 0
	s_delay_alu instid0(VALU_DEP_2)
	v_dual_mov_b32 v4, v2 :: v_dual_mov_b32 v3, v1
	.p2align	6
.LBB35_53:                              ; =>This Inner Loop Header: Depth=1
	scratch_load_b128 v[15:18], v9, off offset:-8
	ds_load_b128 v[19:22], v8
	v_add_nc_u32_e32 v7, 1, v7
	v_add_nc_u32_e32 v8, 16, v8
	;; [unrolled: 1-line block ×3, first 2 shown]
	s_delay_alu instid0(VALU_DEP_3) | instskip(SKIP_4) | instid1(VALU_DEP_2)
	v_cmp_lt_u32_e32 vcc_lo, 8, v7
	s_or_b32 s3, vcc_lo, s3
	s_waitcnt vmcnt(0) lgkmcnt(0)
	v_mul_f64 v[10:11], v[21:22], v[17:18]
	v_mul_f64 v[17:18], v[19:20], v[17:18]
	v_fma_f64 v[10:11], v[19:20], v[15:16], -v[10:11]
	s_delay_alu instid0(VALU_DEP_2) | instskip(NEXT) | instid1(VALU_DEP_2)
	v_fma_f64 v[15:16], v[21:22], v[15:16], v[17:18]
	v_add_f64 v[3:4], v[3:4], v[10:11]
	s_delay_alu instid0(VALU_DEP_2)
	v_add_f64 v[1:2], v[1:2], v[15:16]
	s_and_not1_b32 exec_lo, exec_lo, s3
	s_cbranch_execnz .LBB35_53
; %bb.54:
	s_or_b32 exec_lo, exec_lo, s3
	v_mov_b32_e32 v7, 0
	ds_load_b128 v[7:10], v7 offset:160
	s_waitcnt lgkmcnt(0)
	v_mul_f64 v[11:12], v[1:2], v[9:10]
	v_mul_f64 v[15:16], v[3:4], v[9:10]
	s_delay_alu instid0(VALU_DEP_2) | instskip(NEXT) | instid1(VALU_DEP_2)
	v_fma_f64 v[9:10], v[3:4], v[7:8], -v[11:12]
	v_fma_f64 v[11:12], v[1:2], v[7:8], v[15:16]
	scratch_store_b128 off, v[9:12], off offset:160
.LBB35_55:
	s_or_b32 exec_lo, exec_lo, s2
	s_waitcnt_vscnt null, 0x0
	s_barrier
	buffer_gl0_inv
	scratch_load_b128 v[1:4], v137, off
	s_mov_b32 s2, exec_lo
	s_waitcnt vmcnt(0)
	ds_store_b128 v5, v[1:4]
	s_waitcnt lgkmcnt(0)
	s_barrier
	buffer_gl0_inv
	v_cmpx_gt_u32_e32 11, v118
	s_cbranch_execz .LBB35_59
; %bb.56:
	v_dual_mov_b32 v1, 0 :: v_dual_add_nc_u32 v8, 0x240, v13
	v_dual_mov_b32 v2, 0 :: v_dual_add_nc_u32 v7, -1, v118
	v_or_b32_e32 v9, 8, v14
	s_mov_b32 s3, 0
	s_delay_alu instid0(VALU_DEP_2)
	v_dual_mov_b32 v4, v2 :: v_dual_mov_b32 v3, v1
	.p2align	6
.LBB35_57:                              ; =>This Inner Loop Header: Depth=1
	scratch_load_b128 v[15:18], v9, off offset:-8
	ds_load_b128 v[19:22], v8
	v_add_nc_u32_e32 v7, 1, v7
	v_add_nc_u32_e32 v8, 16, v8
	;; [unrolled: 1-line block ×3, first 2 shown]
	s_delay_alu instid0(VALU_DEP_3) | instskip(SKIP_4) | instid1(VALU_DEP_2)
	v_cmp_lt_u32_e32 vcc_lo, 9, v7
	s_or_b32 s3, vcc_lo, s3
	s_waitcnt vmcnt(0) lgkmcnt(0)
	v_mul_f64 v[10:11], v[21:22], v[17:18]
	v_mul_f64 v[17:18], v[19:20], v[17:18]
	v_fma_f64 v[10:11], v[19:20], v[15:16], -v[10:11]
	s_delay_alu instid0(VALU_DEP_2) | instskip(NEXT) | instid1(VALU_DEP_2)
	v_fma_f64 v[15:16], v[21:22], v[15:16], v[17:18]
	v_add_f64 v[3:4], v[3:4], v[10:11]
	s_delay_alu instid0(VALU_DEP_2)
	v_add_f64 v[1:2], v[1:2], v[15:16]
	s_and_not1_b32 exec_lo, exec_lo, s3
	s_cbranch_execnz .LBB35_57
; %bb.58:
	s_or_b32 exec_lo, exec_lo, s3
	v_mov_b32_e32 v7, 0
	ds_load_b128 v[7:10], v7 offset:176
	s_waitcnt lgkmcnt(0)
	v_mul_f64 v[11:12], v[1:2], v[9:10]
	v_mul_f64 v[15:16], v[3:4], v[9:10]
	s_delay_alu instid0(VALU_DEP_2) | instskip(NEXT) | instid1(VALU_DEP_2)
	v_fma_f64 v[9:10], v[3:4], v[7:8], -v[11:12]
	v_fma_f64 v[11:12], v[1:2], v[7:8], v[15:16]
	scratch_store_b128 off, v[9:12], off offset:176
.LBB35_59:
	s_or_b32 exec_lo, exec_lo, s2
	s_waitcnt_vscnt null, 0x0
	s_barrier
	buffer_gl0_inv
	scratch_load_b128 v[1:4], v134, off
	s_mov_b32 s2, exec_lo
	s_waitcnt vmcnt(0)
	ds_store_b128 v5, v[1:4]
	s_waitcnt lgkmcnt(0)
	s_barrier
	buffer_gl0_inv
	v_cmpx_gt_u32_e32 12, v118
	s_cbranch_execz .LBB35_63
; %bb.60:
	v_dual_mov_b32 v1, 0 :: v_dual_add_nc_u32 v8, 0x240, v13
	v_dual_mov_b32 v2, 0 :: v_dual_add_nc_u32 v7, -1, v118
	v_or_b32_e32 v9, 8, v14
	s_mov_b32 s3, 0
	s_delay_alu instid0(VALU_DEP_2)
	v_dual_mov_b32 v4, v2 :: v_dual_mov_b32 v3, v1
	.p2align	6
.LBB35_61:                              ; =>This Inner Loop Header: Depth=1
	scratch_load_b128 v[15:18], v9, off offset:-8
	ds_load_b128 v[19:22], v8
	v_add_nc_u32_e32 v7, 1, v7
	v_add_nc_u32_e32 v8, 16, v8
	;; [unrolled: 1-line block ×3, first 2 shown]
	s_delay_alu instid0(VALU_DEP_3) | instskip(SKIP_4) | instid1(VALU_DEP_2)
	v_cmp_lt_u32_e32 vcc_lo, 10, v7
	s_or_b32 s3, vcc_lo, s3
	s_waitcnt vmcnt(0) lgkmcnt(0)
	v_mul_f64 v[10:11], v[21:22], v[17:18]
	v_mul_f64 v[17:18], v[19:20], v[17:18]
	v_fma_f64 v[10:11], v[19:20], v[15:16], -v[10:11]
	s_delay_alu instid0(VALU_DEP_2) | instskip(NEXT) | instid1(VALU_DEP_2)
	v_fma_f64 v[15:16], v[21:22], v[15:16], v[17:18]
	v_add_f64 v[3:4], v[3:4], v[10:11]
	s_delay_alu instid0(VALU_DEP_2)
	v_add_f64 v[1:2], v[1:2], v[15:16]
	s_and_not1_b32 exec_lo, exec_lo, s3
	s_cbranch_execnz .LBB35_61
; %bb.62:
	s_or_b32 exec_lo, exec_lo, s3
	v_mov_b32_e32 v7, 0
	ds_load_b128 v[7:10], v7 offset:192
	s_waitcnt lgkmcnt(0)
	v_mul_f64 v[11:12], v[1:2], v[9:10]
	v_mul_f64 v[15:16], v[3:4], v[9:10]
	s_delay_alu instid0(VALU_DEP_2) | instskip(NEXT) | instid1(VALU_DEP_2)
	v_fma_f64 v[9:10], v[3:4], v[7:8], -v[11:12]
	v_fma_f64 v[11:12], v[1:2], v[7:8], v[15:16]
	scratch_store_b128 off, v[9:12], off offset:192
.LBB35_63:
	s_or_b32 exec_lo, exec_lo, s2
	s_waitcnt_vscnt null, 0x0
	s_barrier
	buffer_gl0_inv
	scratch_load_b128 v[1:4], v133, off
	s_mov_b32 s2, exec_lo
	s_waitcnt vmcnt(0)
	ds_store_b128 v5, v[1:4]
	s_waitcnt lgkmcnt(0)
	s_barrier
	buffer_gl0_inv
	v_cmpx_gt_u32_e32 13, v118
	s_cbranch_execz .LBB35_67
; %bb.64:
	v_dual_mov_b32 v1, 0 :: v_dual_add_nc_u32 v8, 0x240, v13
	v_dual_mov_b32 v2, 0 :: v_dual_add_nc_u32 v7, -1, v118
	v_or_b32_e32 v9, 8, v14
	s_mov_b32 s3, 0
	s_delay_alu instid0(VALU_DEP_2)
	v_dual_mov_b32 v4, v2 :: v_dual_mov_b32 v3, v1
	.p2align	6
.LBB35_65:                              ; =>This Inner Loop Header: Depth=1
	scratch_load_b128 v[15:18], v9, off offset:-8
	ds_load_b128 v[19:22], v8
	v_add_nc_u32_e32 v7, 1, v7
	v_add_nc_u32_e32 v8, 16, v8
	;; [unrolled: 1-line block ×3, first 2 shown]
	s_delay_alu instid0(VALU_DEP_3) | instskip(SKIP_4) | instid1(VALU_DEP_2)
	v_cmp_lt_u32_e32 vcc_lo, 11, v7
	s_or_b32 s3, vcc_lo, s3
	s_waitcnt vmcnt(0) lgkmcnt(0)
	v_mul_f64 v[10:11], v[21:22], v[17:18]
	v_mul_f64 v[17:18], v[19:20], v[17:18]
	v_fma_f64 v[10:11], v[19:20], v[15:16], -v[10:11]
	s_delay_alu instid0(VALU_DEP_2) | instskip(NEXT) | instid1(VALU_DEP_2)
	v_fma_f64 v[15:16], v[21:22], v[15:16], v[17:18]
	v_add_f64 v[3:4], v[3:4], v[10:11]
	s_delay_alu instid0(VALU_DEP_2)
	v_add_f64 v[1:2], v[1:2], v[15:16]
	s_and_not1_b32 exec_lo, exec_lo, s3
	s_cbranch_execnz .LBB35_65
; %bb.66:
	s_or_b32 exec_lo, exec_lo, s3
	v_mov_b32_e32 v7, 0
	ds_load_b128 v[7:10], v7 offset:208
	s_waitcnt lgkmcnt(0)
	v_mul_f64 v[11:12], v[1:2], v[9:10]
	v_mul_f64 v[15:16], v[3:4], v[9:10]
	s_delay_alu instid0(VALU_DEP_2) | instskip(NEXT) | instid1(VALU_DEP_2)
	v_fma_f64 v[9:10], v[3:4], v[7:8], -v[11:12]
	v_fma_f64 v[11:12], v[1:2], v[7:8], v[15:16]
	scratch_store_b128 off, v[9:12], off offset:208
.LBB35_67:
	s_or_b32 exec_lo, exec_lo, s2
	s_waitcnt_vscnt null, 0x0
	s_barrier
	buffer_gl0_inv
	scratch_load_b128 v[1:4], v130, off
	s_mov_b32 s2, exec_lo
	s_waitcnt vmcnt(0)
	ds_store_b128 v5, v[1:4]
	s_waitcnt lgkmcnt(0)
	s_barrier
	buffer_gl0_inv
	v_cmpx_gt_u32_e32 14, v118
	s_cbranch_execz .LBB35_71
; %bb.68:
	v_dual_mov_b32 v1, 0 :: v_dual_add_nc_u32 v8, 0x240, v13
	v_dual_mov_b32 v2, 0 :: v_dual_add_nc_u32 v7, -1, v118
	v_or_b32_e32 v9, 8, v14
	s_mov_b32 s3, 0
	s_delay_alu instid0(VALU_DEP_2)
	v_dual_mov_b32 v4, v2 :: v_dual_mov_b32 v3, v1
	.p2align	6
.LBB35_69:                              ; =>This Inner Loop Header: Depth=1
	scratch_load_b128 v[15:18], v9, off offset:-8
	ds_load_b128 v[19:22], v8
	v_add_nc_u32_e32 v7, 1, v7
	v_add_nc_u32_e32 v8, 16, v8
	;; [unrolled: 1-line block ×3, first 2 shown]
	s_delay_alu instid0(VALU_DEP_3) | instskip(SKIP_4) | instid1(VALU_DEP_2)
	v_cmp_lt_u32_e32 vcc_lo, 12, v7
	s_or_b32 s3, vcc_lo, s3
	s_waitcnt vmcnt(0) lgkmcnt(0)
	v_mul_f64 v[10:11], v[21:22], v[17:18]
	v_mul_f64 v[17:18], v[19:20], v[17:18]
	v_fma_f64 v[10:11], v[19:20], v[15:16], -v[10:11]
	s_delay_alu instid0(VALU_DEP_2) | instskip(NEXT) | instid1(VALU_DEP_2)
	v_fma_f64 v[15:16], v[21:22], v[15:16], v[17:18]
	v_add_f64 v[3:4], v[3:4], v[10:11]
	s_delay_alu instid0(VALU_DEP_2)
	v_add_f64 v[1:2], v[1:2], v[15:16]
	s_and_not1_b32 exec_lo, exec_lo, s3
	s_cbranch_execnz .LBB35_69
; %bb.70:
	s_or_b32 exec_lo, exec_lo, s3
	v_mov_b32_e32 v7, 0
	ds_load_b128 v[7:10], v7 offset:224
	s_waitcnt lgkmcnt(0)
	v_mul_f64 v[11:12], v[1:2], v[9:10]
	v_mul_f64 v[15:16], v[3:4], v[9:10]
	s_delay_alu instid0(VALU_DEP_2) | instskip(NEXT) | instid1(VALU_DEP_2)
	v_fma_f64 v[9:10], v[3:4], v[7:8], -v[11:12]
	v_fma_f64 v[11:12], v[1:2], v[7:8], v[15:16]
	scratch_store_b128 off, v[9:12], off offset:224
.LBB35_71:
	s_or_b32 exec_lo, exec_lo, s2
	s_waitcnt_vscnt null, 0x0
	s_barrier
	buffer_gl0_inv
	scratch_load_b128 v[1:4], v132, off
	s_mov_b32 s2, exec_lo
	s_waitcnt vmcnt(0)
	ds_store_b128 v5, v[1:4]
	s_waitcnt lgkmcnt(0)
	s_barrier
	buffer_gl0_inv
	v_cmpx_gt_u32_e32 15, v118
	s_cbranch_execz .LBB35_75
; %bb.72:
	v_dual_mov_b32 v1, 0 :: v_dual_add_nc_u32 v8, 0x240, v13
	v_dual_mov_b32 v2, 0 :: v_dual_add_nc_u32 v7, -1, v118
	v_or_b32_e32 v9, 8, v14
	s_mov_b32 s3, 0
	s_delay_alu instid0(VALU_DEP_2)
	v_dual_mov_b32 v4, v2 :: v_dual_mov_b32 v3, v1
	.p2align	6
.LBB35_73:                              ; =>This Inner Loop Header: Depth=1
	scratch_load_b128 v[15:18], v9, off offset:-8
	ds_load_b128 v[19:22], v8
	v_add_nc_u32_e32 v7, 1, v7
	v_add_nc_u32_e32 v8, 16, v8
	;; [unrolled: 1-line block ×3, first 2 shown]
	s_delay_alu instid0(VALU_DEP_3) | instskip(SKIP_4) | instid1(VALU_DEP_2)
	v_cmp_lt_u32_e32 vcc_lo, 13, v7
	s_or_b32 s3, vcc_lo, s3
	s_waitcnt vmcnt(0) lgkmcnt(0)
	v_mul_f64 v[10:11], v[21:22], v[17:18]
	v_mul_f64 v[17:18], v[19:20], v[17:18]
	v_fma_f64 v[10:11], v[19:20], v[15:16], -v[10:11]
	s_delay_alu instid0(VALU_DEP_2) | instskip(NEXT) | instid1(VALU_DEP_2)
	v_fma_f64 v[15:16], v[21:22], v[15:16], v[17:18]
	v_add_f64 v[3:4], v[3:4], v[10:11]
	s_delay_alu instid0(VALU_DEP_2)
	v_add_f64 v[1:2], v[1:2], v[15:16]
	s_and_not1_b32 exec_lo, exec_lo, s3
	s_cbranch_execnz .LBB35_73
; %bb.74:
	s_or_b32 exec_lo, exec_lo, s3
	v_mov_b32_e32 v7, 0
	ds_load_b128 v[7:10], v7 offset:240
	s_waitcnt lgkmcnt(0)
	v_mul_f64 v[11:12], v[1:2], v[9:10]
	v_mul_f64 v[15:16], v[3:4], v[9:10]
	s_delay_alu instid0(VALU_DEP_2) | instskip(NEXT) | instid1(VALU_DEP_2)
	v_fma_f64 v[9:10], v[3:4], v[7:8], -v[11:12]
	v_fma_f64 v[11:12], v[1:2], v[7:8], v[15:16]
	scratch_store_b128 off, v[9:12], off offset:240
.LBB35_75:
	s_or_b32 exec_lo, exec_lo, s2
	s_waitcnt_vscnt null, 0x0
	s_barrier
	buffer_gl0_inv
	scratch_load_b128 v[1:4], v129, off
	s_mov_b32 s2, exec_lo
	s_waitcnt vmcnt(0)
	ds_store_b128 v5, v[1:4]
	s_waitcnt lgkmcnt(0)
	s_barrier
	buffer_gl0_inv
	v_cmpx_gt_u32_e32 16, v118
	s_cbranch_execz .LBB35_79
; %bb.76:
	v_dual_mov_b32 v1, 0 :: v_dual_add_nc_u32 v8, 0x240, v13
	v_dual_mov_b32 v2, 0 :: v_dual_add_nc_u32 v7, -1, v118
	v_or_b32_e32 v9, 8, v14
	s_mov_b32 s3, 0
	s_delay_alu instid0(VALU_DEP_2)
	v_dual_mov_b32 v4, v2 :: v_dual_mov_b32 v3, v1
	.p2align	6
.LBB35_77:                              ; =>This Inner Loop Header: Depth=1
	scratch_load_b128 v[15:18], v9, off offset:-8
	ds_load_b128 v[19:22], v8
	v_add_nc_u32_e32 v7, 1, v7
	v_add_nc_u32_e32 v8, 16, v8
	v_add_nc_u32_e32 v9, 16, v9
	s_delay_alu instid0(VALU_DEP_3) | instskip(SKIP_4) | instid1(VALU_DEP_2)
	v_cmp_lt_u32_e32 vcc_lo, 14, v7
	s_or_b32 s3, vcc_lo, s3
	s_waitcnt vmcnt(0) lgkmcnt(0)
	v_mul_f64 v[10:11], v[21:22], v[17:18]
	v_mul_f64 v[17:18], v[19:20], v[17:18]
	v_fma_f64 v[10:11], v[19:20], v[15:16], -v[10:11]
	s_delay_alu instid0(VALU_DEP_2) | instskip(NEXT) | instid1(VALU_DEP_2)
	v_fma_f64 v[15:16], v[21:22], v[15:16], v[17:18]
	v_add_f64 v[3:4], v[3:4], v[10:11]
	s_delay_alu instid0(VALU_DEP_2)
	v_add_f64 v[1:2], v[1:2], v[15:16]
	s_and_not1_b32 exec_lo, exec_lo, s3
	s_cbranch_execnz .LBB35_77
; %bb.78:
	s_or_b32 exec_lo, exec_lo, s3
	v_mov_b32_e32 v7, 0
	ds_load_b128 v[7:10], v7 offset:256
	s_waitcnt lgkmcnt(0)
	v_mul_f64 v[11:12], v[1:2], v[9:10]
	v_mul_f64 v[15:16], v[3:4], v[9:10]
	s_delay_alu instid0(VALU_DEP_2) | instskip(NEXT) | instid1(VALU_DEP_2)
	v_fma_f64 v[9:10], v[3:4], v[7:8], -v[11:12]
	v_fma_f64 v[11:12], v[1:2], v[7:8], v[15:16]
	scratch_store_b128 off, v[9:12], off offset:256
.LBB35_79:
	s_or_b32 exec_lo, exec_lo, s2
	s_waitcnt_vscnt null, 0x0
	s_barrier
	buffer_gl0_inv
	scratch_load_b128 v[1:4], v127, off
	s_mov_b32 s2, exec_lo
	s_waitcnt vmcnt(0)
	ds_store_b128 v5, v[1:4]
	s_waitcnt lgkmcnt(0)
	s_barrier
	buffer_gl0_inv
	v_cmpx_gt_u32_e32 17, v118
	s_cbranch_execz .LBB35_83
; %bb.80:
	v_dual_mov_b32 v1, 0 :: v_dual_add_nc_u32 v8, 0x240, v13
	v_dual_mov_b32 v2, 0 :: v_dual_add_nc_u32 v7, -1, v118
	v_or_b32_e32 v9, 8, v14
	s_mov_b32 s3, 0
	s_delay_alu instid0(VALU_DEP_2)
	v_dual_mov_b32 v4, v2 :: v_dual_mov_b32 v3, v1
	.p2align	6
.LBB35_81:                              ; =>This Inner Loop Header: Depth=1
	scratch_load_b128 v[15:18], v9, off offset:-8
	ds_load_b128 v[19:22], v8
	v_add_nc_u32_e32 v7, 1, v7
	v_add_nc_u32_e32 v8, 16, v8
	;; [unrolled: 1-line block ×3, first 2 shown]
	s_delay_alu instid0(VALU_DEP_3) | instskip(SKIP_4) | instid1(VALU_DEP_2)
	v_cmp_lt_u32_e32 vcc_lo, 15, v7
	s_or_b32 s3, vcc_lo, s3
	s_waitcnt vmcnt(0) lgkmcnt(0)
	v_mul_f64 v[10:11], v[21:22], v[17:18]
	v_mul_f64 v[17:18], v[19:20], v[17:18]
	v_fma_f64 v[10:11], v[19:20], v[15:16], -v[10:11]
	s_delay_alu instid0(VALU_DEP_2) | instskip(NEXT) | instid1(VALU_DEP_2)
	v_fma_f64 v[15:16], v[21:22], v[15:16], v[17:18]
	v_add_f64 v[3:4], v[3:4], v[10:11]
	s_delay_alu instid0(VALU_DEP_2)
	v_add_f64 v[1:2], v[1:2], v[15:16]
	s_and_not1_b32 exec_lo, exec_lo, s3
	s_cbranch_execnz .LBB35_81
; %bb.82:
	s_or_b32 exec_lo, exec_lo, s3
	v_mov_b32_e32 v7, 0
	ds_load_b128 v[7:10], v7 offset:272
	s_waitcnt lgkmcnt(0)
	v_mul_f64 v[11:12], v[1:2], v[9:10]
	v_mul_f64 v[15:16], v[3:4], v[9:10]
	s_delay_alu instid0(VALU_DEP_2) | instskip(NEXT) | instid1(VALU_DEP_2)
	v_fma_f64 v[9:10], v[3:4], v[7:8], -v[11:12]
	v_fma_f64 v[11:12], v[1:2], v[7:8], v[15:16]
	scratch_store_b128 off, v[9:12], off offset:272
.LBB35_83:
	s_or_b32 exec_lo, exec_lo, s2
	s_waitcnt_vscnt null, 0x0
	s_barrier
	buffer_gl0_inv
	scratch_load_b128 v[1:4], v125, off
	s_mov_b32 s2, exec_lo
	s_waitcnt vmcnt(0)
	ds_store_b128 v5, v[1:4]
	s_waitcnt lgkmcnt(0)
	s_barrier
	buffer_gl0_inv
	v_cmpx_gt_u32_e32 18, v118
	s_cbranch_execz .LBB35_87
; %bb.84:
	v_dual_mov_b32 v1, 0 :: v_dual_add_nc_u32 v8, 0x240, v13
	v_dual_mov_b32 v2, 0 :: v_dual_add_nc_u32 v7, -1, v118
	v_or_b32_e32 v9, 8, v14
	s_mov_b32 s3, 0
	s_delay_alu instid0(VALU_DEP_2)
	v_dual_mov_b32 v4, v2 :: v_dual_mov_b32 v3, v1
	.p2align	6
.LBB35_85:                              ; =>This Inner Loop Header: Depth=1
	scratch_load_b128 v[15:18], v9, off offset:-8
	ds_load_b128 v[19:22], v8
	v_add_nc_u32_e32 v7, 1, v7
	v_add_nc_u32_e32 v8, 16, v8
	;; [unrolled: 1-line block ×3, first 2 shown]
	s_delay_alu instid0(VALU_DEP_3) | instskip(SKIP_4) | instid1(VALU_DEP_2)
	v_cmp_lt_u32_e32 vcc_lo, 16, v7
	s_or_b32 s3, vcc_lo, s3
	s_waitcnt vmcnt(0) lgkmcnt(0)
	v_mul_f64 v[10:11], v[21:22], v[17:18]
	v_mul_f64 v[17:18], v[19:20], v[17:18]
	v_fma_f64 v[10:11], v[19:20], v[15:16], -v[10:11]
	s_delay_alu instid0(VALU_DEP_2) | instskip(NEXT) | instid1(VALU_DEP_2)
	v_fma_f64 v[15:16], v[21:22], v[15:16], v[17:18]
	v_add_f64 v[3:4], v[3:4], v[10:11]
	s_delay_alu instid0(VALU_DEP_2)
	v_add_f64 v[1:2], v[1:2], v[15:16]
	s_and_not1_b32 exec_lo, exec_lo, s3
	s_cbranch_execnz .LBB35_85
; %bb.86:
	s_or_b32 exec_lo, exec_lo, s3
	v_mov_b32_e32 v7, 0
	ds_load_b128 v[7:10], v7 offset:288
	s_waitcnt lgkmcnt(0)
	v_mul_f64 v[11:12], v[1:2], v[9:10]
	v_mul_f64 v[15:16], v[3:4], v[9:10]
	s_delay_alu instid0(VALU_DEP_2) | instskip(NEXT) | instid1(VALU_DEP_2)
	v_fma_f64 v[9:10], v[3:4], v[7:8], -v[11:12]
	v_fma_f64 v[11:12], v[1:2], v[7:8], v[15:16]
	scratch_store_b128 off, v[9:12], off offset:288
.LBB35_87:
	s_or_b32 exec_lo, exec_lo, s2
	s_waitcnt_vscnt null, 0x0
	s_barrier
	buffer_gl0_inv
	scratch_load_b128 v[1:4], v126, off
	s_mov_b32 s2, exec_lo
	s_waitcnt vmcnt(0)
	ds_store_b128 v5, v[1:4]
	s_waitcnt lgkmcnt(0)
	s_barrier
	buffer_gl0_inv
	v_cmpx_gt_u32_e32 19, v118
	s_cbranch_execz .LBB35_91
; %bb.88:
	v_dual_mov_b32 v1, 0 :: v_dual_add_nc_u32 v8, 0x240, v13
	v_dual_mov_b32 v2, 0 :: v_dual_add_nc_u32 v7, -1, v118
	v_or_b32_e32 v9, 8, v14
	s_mov_b32 s3, 0
	s_delay_alu instid0(VALU_DEP_2)
	v_dual_mov_b32 v4, v2 :: v_dual_mov_b32 v3, v1
	.p2align	6
.LBB35_89:                              ; =>This Inner Loop Header: Depth=1
	scratch_load_b128 v[15:18], v9, off offset:-8
	ds_load_b128 v[19:22], v8
	v_add_nc_u32_e32 v7, 1, v7
	v_add_nc_u32_e32 v8, 16, v8
	;; [unrolled: 1-line block ×3, first 2 shown]
	s_delay_alu instid0(VALU_DEP_3) | instskip(SKIP_4) | instid1(VALU_DEP_2)
	v_cmp_lt_u32_e32 vcc_lo, 17, v7
	s_or_b32 s3, vcc_lo, s3
	s_waitcnt vmcnt(0) lgkmcnt(0)
	v_mul_f64 v[10:11], v[21:22], v[17:18]
	v_mul_f64 v[17:18], v[19:20], v[17:18]
	v_fma_f64 v[10:11], v[19:20], v[15:16], -v[10:11]
	s_delay_alu instid0(VALU_DEP_2) | instskip(NEXT) | instid1(VALU_DEP_2)
	v_fma_f64 v[15:16], v[21:22], v[15:16], v[17:18]
	v_add_f64 v[3:4], v[3:4], v[10:11]
	s_delay_alu instid0(VALU_DEP_2)
	v_add_f64 v[1:2], v[1:2], v[15:16]
	s_and_not1_b32 exec_lo, exec_lo, s3
	s_cbranch_execnz .LBB35_89
; %bb.90:
	s_or_b32 exec_lo, exec_lo, s3
	v_mov_b32_e32 v7, 0
	ds_load_b128 v[7:10], v7 offset:304
	s_waitcnt lgkmcnt(0)
	v_mul_f64 v[11:12], v[1:2], v[9:10]
	v_mul_f64 v[15:16], v[3:4], v[9:10]
	s_delay_alu instid0(VALU_DEP_2) | instskip(NEXT) | instid1(VALU_DEP_2)
	v_fma_f64 v[9:10], v[3:4], v[7:8], -v[11:12]
	v_fma_f64 v[11:12], v[1:2], v[7:8], v[15:16]
	scratch_store_b128 off, v[9:12], off offset:304
.LBB35_91:
	s_or_b32 exec_lo, exec_lo, s2
	s_waitcnt_vscnt null, 0x0
	s_barrier
	buffer_gl0_inv
	scratch_load_b128 v[1:4], v153, off
	s_mov_b32 s2, exec_lo
	s_waitcnt vmcnt(0)
	ds_store_b128 v5, v[1:4]
	s_waitcnt lgkmcnt(0)
	s_barrier
	buffer_gl0_inv
	v_cmpx_gt_u32_e32 20, v118
	s_cbranch_execz .LBB35_95
; %bb.92:
	v_dual_mov_b32 v1, 0 :: v_dual_add_nc_u32 v8, 0x240, v13
	v_dual_mov_b32 v2, 0 :: v_dual_add_nc_u32 v7, -1, v118
	v_or_b32_e32 v9, 8, v14
	s_mov_b32 s3, 0
	s_delay_alu instid0(VALU_DEP_2)
	v_dual_mov_b32 v4, v2 :: v_dual_mov_b32 v3, v1
	.p2align	6
.LBB35_93:                              ; =>This Inner Loop Header: Depth=1
	scratch_load_b128 v[15:18], v9, off offset:-8
	ds_load_b128 v[19:22], v8
	v_add_nc_u32_e32 v7, 1, v7
	v_add_nc_u32_e32 v8, 16, v8
	;; [unrolled: 1-line block ×3, first 2 shown]
	s_delay_alu instid0(VALU_DEP_3) | instskip(SKIP_4) | instid1(VALU_DEP_2)
	v_cmp_lt_u32_e32 vcc_lo, 18, v7
	s_or_b32 s3, vcc_lo, s3
	s_waitcnt vmcnt(0) lgkmcnt(0)
	v_mul_f64 v[10:11], v[21:22], v[17:18]
	v_mul_f64 v[17:18], v[19:20], v[17:18]
	v_fma_f64 v[10:11], v[19:20], v[15:16], -v[10:11]
	s_delay_alu instid0(VALU_DEP_2) | instskip(NEXT) | instid1(VALU_DEP_2)
	v_fma_f64 v[15:16], v[21:22], v[15:16], v[17:18]
	v_add_f64 v[3:4], v[3:4], v[10:11]
	s_delay_alu instid0(VALU_DEP_2)
	v_add_f64 v[1:2], v[1:2], v[15:16]
	s_and_not1_b32 exec_lo, exec_lo, s3
	s_cbranch_execnz .LBB35_93
; %bb.94:
	s_or_b32 exec_lo, exec_lo, s3
	v_mov_b32_e32 v7, 0
	ds_load_b128 v[7:10], v7 offset:320
	s_waitcnt lgkmcnt(0)
	v_mul_f64 v[11:12], v[1:2], v[9:10]
	v_mul_f64 v[15:16], v[3:4], v[9:10]
	s_delay_alu instid0(VALU_DEP_2) | instskip(NEXT) | instid1(VALU_DEP_2)
	v_fma_f64 v[9:10], v[3:4], v[7:8], -v[11:12]
	v_fma_f64 v[11:12], v[1:2], v[7:8], v[15:16]
	scratch_store_b128 off, v[9:12], off offset:320
.LBB35_95:
	s_or_b32 exec_lo, exec_lo, s2
	s_waitcnt_vscnt null, 0x0
	s_barrier
	buffer_gl0_inv
	scratch_load_b128 v[1:4], v152, off
	s_mov_b32 s2, exec_lo
	s_waitcnt vmcnt(0)
	ds_store_b128 v5, v[1:4]
	s_waitcnt lgkmcnt(0)
	s_barrier
	buffer_gl0_inv
	v_cmpx_gt_u32_e32 21, v118
	s_cbranch_execz .LBB35_99
; %bb.96:
	v_dual_mov_b32 v1, 0 :: v_dual_add_nc_u32 v8, 0x240, v13
	v_dual_mov_b32 v2, 0 :: v_dual_add_nc_u32 v7, -1, v118
	v_or_b32_e32 v9, 8, v14
	s_mov_b32 s3, 0
	s_delay_alu instid0(VALU_DEP_2)
	v_dual_mov_b32 v4, v2 :: v_dual_mov_b32 v3, v1
	.p2align	6
.LBB35_97:                              ; =>This Inner Loop Header: Depth=1
	scratch_load_b128 v[15:18], v9, off offset:-8
	ds_load_b128 v[19:22], v8
	v_add_nc_u32_e32 v7, 1, v7
	v_add_nc_u32_e32 v8, 16, v8
	;; [unrolled: 1-line block ×3, first 2 shown]
	s_delay_alu instid0(VALU_DEP_3) | instskip(SKIP_4) | instid1(VALU_DEP_2)
	v_cmp_lt_u32_e32 vcc_lo, 19, v7
	s_or_b32 s3, vcc_lo, s3
	s_waitcnt vmcnt(0) lgkmcnt(0)
	v_mul_f64 v[10:11], v[21:22], v[17:18]
	v_mul_f64 v[17:18], v[19:20], v[17:18]
	v_fma_f64 v[10:11], v[19:20], v[15:16], -v[10:11]
	s_delay_alu instid0(VALU_DEP_2) | instskip(NEXT) | instid1(VALU_DEP_2)
	v_fma_f64 v[15:16], v[21:22], v[15:16], v[17:18]
	v_add_f64 v[3:4], v[3:4], v[10:11]
	s_delay_alu instid0(VALU_DEP_2)
	v_add_f64 v[1:2], v[1:2], v[15:16]
	s_and_not1_b32 exec_lo, exec_lo, s3
	s_cbranch_execnz .LBB35_97
; %bb.98:
	s_or_b32 exec_lo, exec_lo, s3
	v_mov_b32_e32 v7, 0
	ds_load_b128 v[7:10], v7 offset:336
	s_waitcnt lgkmcnt(0)
	v_mul_f64 v[11:12], v[1:2], v[9:10]
	v_mul_f64 v[15:16], v[3:4], v[9:10]
	s_delay_alu instid0(VALU_DEP_2) | instskip(NEXT) | instid1(VALU_DEP_2)
	v_fma_f64 v[9:10], v[3:4], v[7:8], -v[11:12]
	v_fma_f64 v[11:12], v[1:2], v[7:8], v[15:16]
	scratch_store_b128 off, v[9:12], off offset:336
.LBB35_99:
	s_or_b32 exec_lo, exec_lo, s2
	s_waitcnt_vscnt null, 0x0
	s_barrier
	buffer_gl0_inv
	scratch_load_b128 v[1:4], v151, off
	s_mov_b32 s2, exec_lo
	s_waitcnt vmcnt(0)
	ds_store_b128 v5, v[1:4]
	s_waitcnt lgkmcnt(0)
	s_barrier
	buffer_gl0_inv
	v_cmpx_gt_u32_e32 22, v118
	s_cbranch_execz .LBB35_103
; %bb.100:
	v_dual_mov_b32 v1, 0 :: v_dual_add_nc_u32 v8, 0x240, v13
	v_dual_mov_b32 v2, 0 :: v_dual_add_nc_u32 v7, -1, v118
	v_or_b32_e32 v9, 8, v14
	s_mov_b32 s3, 0
	s_delay_alu instid0(VALU_DEP_2)
	v_dual_mov_b32 v4, v2 :: v_dual_mov_b32 v3, v1
	.p2align	6
.LBB35_101:                             ; =>This Inner Loop Header: Depth=1
	scratch_load_b128 v[15:18], v9, off offset:-8
	ds_load_b128 v[19:22], v8
	v_add_nc_u32_e32 v7, 1, v7
	v_add_nc_u32_e32 v8, 16, v8
	;; [unrolled: 1-line block ×3, first 2 shown]
	s_delay_alu instid0(VALU_DEP_3) | instskip(SKIP_4) | instid1(VALU_DEP_2)
	v_cmp_lt_u32_e32 vcc_lo, 20, v7
	s_or_b32 s3, vcc_lo, s3
	s_waitcnt vmcnt(0) lgkmcnt(0)
	v_mul_f64 v[10:11], v[21:22], v[17:18]
	v_mul_f64 v[17:18], v[19:20], v[17:18]
	v_fma_f64 v[10:11], v[19:20], v[15:16], -v[10:11]
	s_delay_alu instid0(VALU_DEP_2) | instskip(NEXT) | instid1(VALU_DEP_2)
	v_fma_f64 v[15:16], v[21:22], v[15:16], v[17:18]
	v_add_f64 v[3:4], v[3:4], v[10:11]
	s_delay_alu instid0(VALU_DEP_2)
	v_add_f64 v[1:2], v[1:2], v[15:16]
	s_and_not1_b32 exec_lo, exec_lo, s3
	s_cbranch_execnz .LBB35_101
; %bb.102:
	s_or_b32 exec_lo, exec_lo, s3
	v_mov_b32_e32 v7, 0
	ds_load_b128 v[7:10], v7 offset:352
	s_waitcnt lgkmcnt(0)
	v_mul_f64 v[11:12], v[1:2], v[9:10]
	v_mul_f64 v[15:16], v[3:4], v[9:10]
	s_delay_alu instid0(VALU_DEP_2) | instskip(NEXT) | instid1(VALU_DEP_2)
	v_fma_f64 v[9:10], v[3:4], v[7:8], -v[11:12]
	v_fma_f64 v[11:12], v[1:2], v[7:8], v[15:16]
	scratch_store_b128 off, v[9:12], off offset:352
.LBB35_103:
	s_or_b32 exec_lo, exec_lo, s2
	s_waitcnt_vscnt null, 0x0
	s_barrier
	buffer_gl0_inv
	scratch_load_b128 v[1:4], v150, off
	s_mov_b32 s2, exec_lo
	s_waitcnt vmcnt(0)
	ds_store_b128 v5, v[1:4]
	s_waitcnt lgkmcnt(0)
	s_barrier
	buffer_gl0_inv
	v_cmpx_gt_u32_e32 23, v118
	s_cbranch_execz .LBB35_107
; %bb.104:
	v_dual_mov_b32 v1, 0 :: v_dual_add_nc_u32 v8, 0x240, v13
	v_dual_mov_b32 v2, 0 :: v_dual_add_nc_u32 v7, -1, v118
	v_or_b32_e32 v9, 8, v14
	s_mov_b32 s3, 0
	s_delay_alu instid0(VALU_DEP_2)
	v_dual_mov_b32 v4, v2 :: v_dual_mov_b32 v3, v1
	.p2align	6
.LBB35_105:                             ; =>This Inner Loop Header: Depth=1
	scratch_load_b128 v[15:18], v9, off offset:-8
	ds_load_b128 v[19:22], v8
	v_add_nc_u32_e32 v7, 1, v7
	v_add_nc_u32_e32 v8, 16, v8
	;; [unrolled: 1-line block ×3, first 2 shown]
	s_delay_alu instid0(VALU_DEP_3) | instskip(SKIP_4) | instid1(VALU_DEP_2)
	v_cmp_lt_u32_e32 vcc_lo, 21, v7
	s_or_b32 s3, vcc_lo, s3
	s_waitcnt vmcnt(0) lgkmcnt(0)
	v_mul_f64 v[10:11], v[21:22], v[17:18]
	v_mul_f64 v[17:18], v[19:20], v[17:18]
	v_fma_f64 v[10:11], v[19:20], v[15:16], -v[10:11]
	s_delay_alu instid0(VALU_DEP_2) | instskip(NEXT) | instid1(VALU_DEP_2)
	v_fma_f64 v[15:16], v[21:22], v[15:16], v[17:18]
	v_add_f64 v[3:4], v[3:4], v[10:11]
	s_delay_alu instid0(VALU_DEP_2)
	v_add_f64 v[1:2], v[1:2], v[15:16]
	s_and_not1_b32 exec_lo, exec_lo, s3
	s_cbranch_execnz .LBB35_105
; %bb.106:
	s_or_b32 exec_lo, exec_lo, s3
	v_mov_b32_e32 v7, 0
	ds_load_b128 v[7:10], v7 offset:368
	s_waitcnt lgkmcnt(0)
	v_mul_f64 v[11:12], v[1:2], v[9:10]
	v_mul_f64 v[15:16], v[3:4], v[9:10]
	s_delay_alu instid0(VALU_DEP_2) | instskip(NEXT) | instid1(VALU_DEP_2)
	v_fma_f64 v[9:10], v[3:4], v[7:8], -v[11:12]
	v_fma_f64 v[11:12], v[1:2], v[7:8], v[15:16]
	scratch_store_b128 off, v[9:12], off offset:368
.LBB35_107:
	s_or_b32 exec_lo, exec_lo, s2
	s_waitcnt_vscnt null, 0x0
	s_barrier
	buffer_gl0_inv
	scratch_load_b128 v[1:4], v149, off
	s_mov_b32 s2, exec_lo
	s_waitcnt vmcnt(0)
	ds_store_b128 v5, v[1:4]
	s_waitcnt lgkmcnt(0)
	s_barrier
	buffer_gl0_inv
	v_cmpx_gt_u32_e32 24, v118
	s_cbranch_execz .LBB35_111
; %bb.108:
	v_dual_mov_b32 v1, 0 :: v_dual_add_nc_u32 v8, 0x240, v13
	v_dual_mov_b32 v2, 0 :: v_dual_add_nc_u32 v7, -1, v118
	v_or_b32_e32 v9, 8, v14
	s_mov_b32 s3, 0
	s_delay_alu instid0(VALU_DEP_2)
	v_dual_mov_b32 v4, v2 :: v_dual_mov_b32 v3, v1
	.p2align	6
.LBB35_109:                             ; =>This Inner Loop Header: Depth=1
	scratch_load_b128 v[15:18], v9, off offset:-8
	ds_load_b128 v[19:22], v8
	v_add_nc_u32_e32 v7, 1, v7
	v_add_nc_u32_e32 v8, 16, v8
	;; [unrolled: 1-line block ×3, first 2 shown]
	s_delay_alu instid0(VALU_DEP_3) | instskip(SKIP_4) | instid1(VALU_DEP_2)
	v_cmp_lt_u32_e32 vcc_lo, 22, v7
	s_or_b32 s3, vcc_lo, s3
	s_waitcnt vmcnt(0) lgkmcnt(0)
	v_mul_f64 v[10:11], v[21:22], v[17:18]
	v_mul_f64 v[17:18], v[19:20], v[17:18]
	v_fma_f64 v[10:11], v[19:20], v[15:16], -v[10:11]
	s_delay_alu instid0(VALU_DEP_2) | instskip(NEXT) | instid1(VALU_DEP_2)
	v_fma_f64 v[15:16], v[21:22], v[15:16], v[17:18]
	v_add_f64 v[3:4], v[3:4], v[10:11]
	s_delay_alu instid0(VALU_DEP_2)
	v_add_f64 v[1:2], v[1:2], v[15:16]
	s_and_not1_b32 exec_lo, exec_lo, s3
	s_cbranch_execnz .LBB35_109
; %bb.110:
	s_or_b32 exec_lo, exec_lo, s3
	v_mov_b32_e32 v7, 0
	ds_load_b128 v[7:10], v7 offset:384
	s_waitcnt lgkmcnt(0)
	v_mul_f64 v[11:12], v[1:2], v[9:10]
	v_mul_f64 v[15:16], v[3:4], v[9:10]
	s_delay_alu instid0(VALU_DEP_2) | instskip(NEXT) | instid1(VALU_DEP_2)
	v_fma_f64 v[9:10], v[3:4], v[7:8], -v[11:12]
	v_fma_f64 v[11:12], v[1:2], v[7:8], v[15:16]
	scratch_store_b128 off, v[9:12], off offset:384
.LBB35_111:
	s_or_b32 exec_lo, exec_lo, s2
	s_waitcnt_vscnt null, 0x0
	s_barrier
	buffer_gl0_inv
	scratch_load_b128 v[1:4], v148, off
	s_mov_b32 s2, exec_lo
	s_waitcnt vmcnt(0)
	ds_store_b128 v5, v[1:4]
	s_waitcnt lgkmcnt(0)
	s_barrier
	buffer_gl0_inv
	v_cmpx_gt_u32_e32 25, v118
	s_cbranch_execz .LBB35_115
; %bb.112:
	v_dual_mov_b32 v1, 0 :: v_dual_add_nc_u32 v8, 0x240, v13
	v_dual_mov_b32 v2, 0 :: v_dual_add_nc_u32 v7, -1, v118
	v_or_b32_e32 v9, 8, v14
	s_mov_b32 s3, 0
	s_delay_alu instid0(VALU_DEP_2)
	v_dual_mov_b32 v4, v2 :: v_dual_mov_b32 v3, v1
	.p2align	6
.LBB35_113:                             ; =>This Inner Loop Header: Depth=1
	scratch_load_b128 v[15:18], v9, off offset:-8
	ds_load_b128 v[19:22], v8
	v_add_nc_u32_e32 v7, 1, v7
	v_add_nc_u32_e32 v8, 16, v8
	;; [unrolled: 1-line block ×3, first 2 shown]
	s_delay_alu instid0(VALU_DEP_3) | instskip(SKIP_4) | instid1(VALU_DEP_2)
	v_cmp_lt_u32_e32 vcc_lo, 23, v7
	s_or_b32 s3, vcc_lo, s3
	s_waitcnt vmcnt(0) lgkmcnt(0)
	v_mul_f64 v[10:11], v[21:22], v[17:18]
	v_mul_f64 v[17:18], v[19:20], v[17:18]
	v_fma_f64 v[10:11], v[19:20], v[15:16], -v[10:11]
	s_delay_alu instid0(VALU_DEP_2) | instskip(NEXT) | instid1(VALU_DEP_2)
	v_fma_f64 v[15:16], v[21:22], v[15:16], v[17:18]
	v_add_f64 v[3:4], v[3:4], v[10:11]
	s_delay_alu instid0(VALU_DEP_2)
	v_add_f64 v[1:2], v[1:2], v[15:16]
	s_and_not1_b32 exec_lo, exec_lo, s3
	s_cbranch_execnz .LBB35_113
; %bb.114:
	s_or_b32 exec_lo, exec_lo, s3
	v_mov_b32_e32 v7, 0
	ds_load_b128 v[7:10], v7 offset:400
	s_waitcnt lgkmcnt(0)
	v_mul_f64 v[11:12], v[1:2], v[9:10]
	v_mul_f64 v[15:16], v[3:4], v[9:10]
	s_delay_alu instid0(VALU_DEP_2) | instskip(NEXT) | instid1(VALU_DEP_2)
	v_fma_f64 v[9:10], v[3:4], v[7:8], -v[11:12]
	v_fma_f64 v[11:12], v[1:2], v[7:8], v[15:16]
	scratch_store_b128 off, v[9:12], off offset:400
.LBB35_115:
	s_or_b32 exec_lo, exec_lo, s2
	s_waitcnt_vscnt null, 0x0
	s_barrier
	buffer_gl0_inv
	scratch_load_b128 v[1:4], v147, off
	s_mov_b32 s2, exec_lo
	s_waitcnt vmcnt(0)
	ds_store_b128 v5, v[1:4]
	s_waitcnt lgkmcnt(0)
	s_barrier
	buffer_gl0_inv
	v_cmpx_gt_u32_e32 26, v118
	s_cbranch_execz .LBB35_119
; %bb.116:
	v_dual_mov_b32 v1, 0 :: v_dual_add_nc_u32 v8, 0x240, v13
	v_dual_mov_b32 v2, 0 :: v_dual_add_nc_u32 v7, -1, v118
	v_or_b32_e32 v9, 8, v14
	s_mov_b32 s3, 0
	s_delay_alu instid0(VALU_DEP_2)
	v_dual_mov_b32 v4, v2 :: v_dual_mov_b32 v3, v1
	.p2align	6
.LBB35_117:                             ; =>This Inner Loop Header: Depth=1
	scratch_load_b128 v[15:18], v9, off offset:-8
	ds_load_b128 v[19:22], v8
	v_add_nc_u32_e32 v7, 1, v7
	v_add_nc_u32_e32 v8, 16, v8
	;; [unrolled: 1-line block ×3, first 2 shown]
	s_delay_alu instid0(VALU_DEP_3) | instskip(SKIP_4) | instid1(VALU_DEP_2)
	v_cmp_lt_u32_e32 vcc_lo, 24, v7
	s_or_b32 s3, vcc_lo, s3
	s_waitcnt vmcnt(0) lgkmcnt(0)
	v_mul_f64 v[10:11], v[21:22], v[17:18]
	v_mul_f64 v[17:18], v[19:20], v[17:18]
	v_fma_f64 v[10:11], v[19:20], v[15:16], -v[10:11]
	s_delay_alu instid0(VALU_DEP_2) | instskip(NEXT) | instid1(VALU_DEP_2)
	v_fma_f64 v[15:16], v[21:22], v[15:16], v[17:18]
	v_add_f64 v[3:4], v[3:4], v[10:11]
	s_delay_alu instid0(VALU_DEP_2)
	v_add_f64 v[1:2], v[1:2], v[15:16]
	s_and_not1_b32 exec_lo, exec_lo, s3
	s_cbranch_execnz .LBB35_117
; %bb.118:
	s_or_b32 exec_lo, exec_lo, s3
	v_mov_b32_e32 v7, 0
	ds_load_b128 v[7:10], v7 offset:416
	s_waitcnt lgkmcnt(0)
	v_mul_f64 v[11:12], v[1:2], v[9:10]
	v_mul_f64 v[15:16], v[3:4], v[9:10]
	s_delay_alu instid0(VALU_DEP_2) | instskip(NEXT) | instid1(VALU_DEP_2)
	v_fma_f64 v[9:10], v[3:4], v[7:8], -v[11:12]
	v_fma_f64 v[11:12], v[1:2], v[7:8], v[15:16]
	scratch_store_b128 off, v[9:12], off offset:416
.LBB35_119:
	s_or_b32 exec_lo, exec_lo, s2
	s_waitcnt_vscnt null, 0x0
	s_barrier
	buffer_gl0_inv
	scratch_load_b128 v[1:4], v146, off
	s_mov_b32 s2, exec_lo
	s_waitcnt vmcnt(0)
	ds_store_b128 v5, v[1:4]
	s_waitcnt lgkmcnt(0)
	s_barrier
	buffer_gl0_inv
	v_cmpx_gt_u32_e32 27, v118
	s_cbranch_execz .LBB35_123
; %bb.120:
	v_dual_mov_b32 v1, 0 :: v_dual_add_nc_u32 v8, 0x240, v13
	v_dual_mov_b32 v2, 0 :: v_dual_add_nc_u32 v7, -1, v118
	v_or_b32_e32 v9, 8, v14
	s_mov_b32 s3, 0
	s_delay_alu instid0(VALU_DEP_2)
	v_dual_mov_b32 v4, v2 :: v_dual_mov_b32 v3, v1
	.p2align	6
.LBB35_121:                             ; =>This Inner Loop Header: Depth=1
	scratch_load_b128 v[15:18], v9, off offset:-8
	ds_load_b128 v[19:22], v8
	v_add_nc_u32_e32 v7, 1, v7
	v_add_nc_u32_e32 v8, 16, v8
	;; [unrolled: 1-line block ×3, first 2 shown]
	s_delay_alu instid0(VALU_DEP_3) | instskip(SKIP_4) | instid1(VALU_DEP_2)
	v_cmp_lt_u32_e32 vcc_lo, 25, v7
	s_or_b32 s3, vcc_lo, s3
	s_waitcnt vmcnt(0) lgkmcnt(0)
	v_mul_f64 v[10:11], v[21:22], v[17:18]
	v_mul_f64 v[17:18], v[19:20], v[17:18]
	v_fma_f64 v[10:11], v[19:20], v[15:16], -v[10:11]
	s_delay_alu instid0(VALU_DEP_2) | instskip(NEXT) | instid1(VALU_DEP_2)
	v_fma_f64 v[15:16], v[21:22], v[15:16], v[17:18]
	v_add_f64 v[3:4], v[3:4], v[10:11]
	s_delay_alu instid0(VALU_DEP_2)
	v_add_f64 v[1:2], v[1:2], v[15:16]
	s_and_not1_b32 exec_lo, exec_lo, s3
	s_cbranch_execnz .LBB35_121
; %bb.122:
	s_or_b32 exec_lo, exec_lo, s3
	v_mov_b32_e32 v7, 0
	ds_load_b128 v[7:10], v7 offset:432
	s_waitcnt lgkmcnt(0)
	v_mul_f64 v[11:12], v[1:2], v[9:10]
	v_mul_f64 v[15:16], v[3:4], v[9:10]
	s_delay_alu instid0(VALU_DEP_2) | instskip(NEXT) | instid1(VALU_DEP_2)
	v_fma_f64 v[9:10], v[3:4], v[7:8], -v[11:12]
	v_fma_f64 v[11:12], v[1:2], v[7:8], v[15:16]
	scratch_store_b128 off, v[9:12], off offset:432
.LBB35_123:
	s_or_b32 exec_lo, exec_lo, s2
	s_waitcnt_vscnt null, 0x0
	s_barrier
	buffer_gl0_inv
	scratch_load_b128 v[1:4], v145, off
	s_mov_b32 s2, exec_lo
	s_waitcnt vmcnt(0)
	ds_store_b128 v5, v[1:4]
	s_waitcnt lgkmcnt(0)
	s_barrier
	buffer_gl0_inv
	v_cmpx_gt_u32_e32 28, v118
	s_cbranch_execz .LBB35_127
; %bb.124:
	v_dual_mov_b32 v1, 0 :: v_dual_add_nc_u32 v8, 0x240, v13
	v_dual_mov_b32 v2, 0 :: v_dual_add_nc_u32 v7, -1, v118
	v_or_b32_e32 v9, 8, v14
	s_mov_b32 s3, 0
	s_delay_alu instid0(VALU_DEP_2)
	v_dual_mov_b32 v4, v2 :: v_dual_mov_b32 v3, v1
	.p2align	6
.LBB35_125:                             ; =>This Inner Loop Header: Depth=1
	scratch_load_b128 v[15:18], v9, off offset:-8
	ds_load_b128 v[19:22], v8
	v_add_nc_u32_e32 v7, 1, v7
	v_add_nc_u32_e32 v8, 16, v8
	;; [unrolled: 1-line block ×3, first 2 shown]
	s_delay_alu instid0(VALU_DEP_3) | instskip(SKIP_4) | instid1(VALU_DEP_2)
	v_cmp_lt_u32_e32 vcc_lo, 26, v7
	s_or_b32 s3, vcc_lo, s3
	s_waitcnt vmcnt(0) lgkmcnt(0)
	v_mul_f64 v[10:11], v[21:22], v[17:18]
	v_mul_f64 v[17:18], v[19:20], v[17:18]
	v_fma_f64 v[10:11], v[19:20], v[15:16], -v[10:11]
	s_delay_alu instid0(VALU_DEP_2) | instskip(NEXT) | instid1(VALU_DEP_2)
	v_fma_f64 v[15:16], v[21:22], v[15:16], v[17:18]
	v_add_f64 v[3:4], v[3:4], v[10:11]
	s_delay_alu instid0(VALU_DEP_2)
	v_add_f64 v[1:2], v[1:2], v[15:16]
	s_and_not1_b32 exec_lo, exec_lo, s3
	s_cbranch_execnz .LBB35_125
; %bb.126:
	s_or_b32 exec_lo, exec_lo, s3
	v_mov_b32_e32 v7, 0
	ds_load_b128 v[7:10], v7 offset:448
	s_waitcnt lgkmcnt(0)
	v_mul_f64 v[11:12], v[1:2], v[9:10]
	v_mul_f64 v[15:16], v[3:4], v[9:10]
	s_delay_alu instid0(VALU_DEP_2) | instskip(NEXT) | instid1(VALU_DEP_2)
	v_fma_f64 v[9:10], v[3:4], v[7:8], -v[11:12]
	v_fma_f64 v[11:12], v[1:2], v[7:8], v[15:16]
	scratch_store_b128 off, v[9:12], off offset:448
.LBB35_127:
	s_or_b32 exec_lo, exec_lo, s2
	s_waitcnt_vscnt null, 0x0
	s_barrier
	buffer_gl0_inv
	scratch_load_b128 v[1:4], v144, off
	s_mov_b32 s2, exec_lo
	s_waitcnt vmcnt(0)
	ds_store_b128 v5, v[1:4]
	s_waitcnt lgkmcnt(0)
	s_barrier
	buffer_gl0_inv
	v_cmpx_gt_u32_e32 29, v118
	s_cbranch_execz .LBB35_131
; %bb.128:
	v_dual_mov_b32 v1, 0 :: v_dual_add_nc_u32 v8, 0x240, v13
	v_dual_mov_b32 v2, 0 :: v_dual_add_nc_u32 v7, -1, v118
	v_or_b32_e32 v9, 8, v14
	s_mov_b32 s3, 0
	s_delay_alu instid0(VALU_DEP_2)
	v_dual_mov_b32 v4, v2 :: v_dual_mov_b32 v3, v1
	.p2align	6
.LBB35_129:                             ; =>This Inner Loop Header: Depth=1
	scratch_load_b128 v[15:18], v9, off offset:-8
	ds_load_b128 v[19:22], v8
	v_add_nc_u32_e32 v7, 1, v7
	v_add_nc_u32_e32 v8, 16, v8
	;; [unrolled: 1-line block ×3, first 2 shown]
	s_delay_alu instid0(VALU_DEP_3) | instskip(SKIP_4) | instid1(VALU_DEP_2)
	v_cmp_lt_u32_e32 vcc_lo, 27, v7
	s_or_b32 s3, vcc_lo, s3
	s_waitcnt vmcnt(0) lgkmcnt(0)
	v_mul_f64 v[10:11], v[21:22], v[17:18]
	v_mul_f64 v[17:18], v[19:20], v[17:18]
	v_fma_f64 v[10:11], v[19:20], v[15:16], -v[10:11]
	s_delay_alu instid0(VALU_DEP_2) | instskip(NEXT) | instid1(VALU_DEP_2)
	v_fma_f64 v[15:16], v[21:22], v[15:16], v[17:18]
	v_add_f64 v[3:4], v[3:4], v[10:11]
	s_delay_alu instid0(VALU_DEP_2)
	v_add_f64 v[1:2], v[1:2], v[15:16]
	s_and_not1_b32 exec_lo, exec_lo, s3
	s_cbranch_execnz .LBB35_129
; %bb.130:
	s_or_b32 exec_lo, exec_lo, s3
	v_mov_b32_e32 v7, 0
	ds_load_b128 v[7:10], v7 offset:464
	s_waitcnt lgkmcnt(0)
	v_mul_f64 v[11:12], v[1:2], v[9:10]
	v_mul_f64 v[15:16], v[3:4], v[9:10]
	s_delay_alu instid0(VALU_DEP_2) | instskip(NEXT) | instid1(VALU_DEP_2)
	v_fma_f64 v[9:10], v[3:4], v[7:8], -v[11:12]
	v_fma_f64 v[11:12], v[1:2], v[7:8], v[15:16]
	scratch_store_b128 off, v[9:12], off offset:464
.LBB35_131:
	s_or_b32 exec_lo, exec_lo, s2
	s_waitcnt_vscnt null, 0x0
	s_barrier
	buffer_gl0_inv
	scratch_load_b128 v[1:4], v139, off
	s_mov_b32 s2, exec_lo
	s_waitcnt vmcnt(0)
	ds_store_b128 v5, v[1:4]
	s_waitcnt lgkmcnt(0)
	s_barrier
	buffer_gl0_inv
	v_cmpx_gt_u32_e32 30, v118
	s_cbranch_execz .LBB35_135
; %bb.132:
	v_dual_mov_b32 v1, 0 :: v_dual_add_nc_u32 v8, 0x240, v13
	v_dual_mov_b32 v2, 0 :: v_dual_add_nc_u32 v7, -1, v118
	v_or_b32_e32 v9, 8, v14
	s_mov_b32 s3, 0
	s_delay_alu instid0(VALU_DEP_2)
	v_dual_mov_b32 v4, v2 :: v_dual_mov_b32 v3, v1
	.p2align	6
.LBB35_133:                             ; =>This Inner Loop Header: Depth=1
	scratch_load_b128 v[15:18], v9, off offset:-8
	ds_load_b128 v[19:22], v8
	v_add_nc_u32_e32 v7, 1, v7
	v_add_nc_u32_e32 v8, 16, v8
	v_add_nc_u32_e32 v9, 16, v9
	s_delay_alu instid0(VALU_DEP_3) | instskip(SKIP_4) | instid1(VALU_DEP_2)
	v_cmp_lt_u32_e32 vcc_lo, 28, v7
	s_or_b32 s3, vcc_lo, s3
	s_waitcnt vmcnt(0) lgkmcnt(0)
	v_mul_f64 v[10:11], v[21:22], v[17:18]
	v_mul_f64 v[17:18], v[19:20], v[17:18]
	v_fma_f64 v[10:11], v[19:20], v[15:16], -v[10:11]
	s_delay_alu instid0(VALU_DEP_2) | instskip(NEXT) | instid1(VALU_DEP_2)
	v_fma_f64 v[15:16], v[21:22], v[15:16], v[17:18]
	v_add_f64 v[3:4], v[3:4], v[10:11]
	s_delay_alu instid0(VALU_DEP_2)
	v_add_f64 v[1:2], v[1:2], v[15:16]
	s_and_not1_b32 exec_lo, exec_lo, s3
	s_cbranch_execnz .LBB35_133
; %bb.134:
	s_or_b32 exec_lo, exec_lo, s3
	v_mov_b32_e32 v7, 0
	ds_load_b128 v[7:10], v7 offset:480
	s_waitcnt lgkmcnt(0)
	v_mul_f64 v[11:12], v[1:2], v[9:10]
	v_mul_f64 v[15:16], v[3:4], v[9:10]
	s_delay_alu instid0(VALU_DEP_2) | instskip(NEXT) | instid1(VALU_DEP_2)
	v_fma_f64 v[9:10], v[3:4], v[7:8], -v[11:12]
	v_fma_f64 v[11:12], v[1:2], v[7:8], v[15:16]
	scratch_store_b128 off, v[9:12], off offset:480
.LBB35_135:
	s_or_b32 exec_lo, exec_lo, s2
	s_waitcnt_vscnt null, 0x0
	s_barrier
	buffer_gl0_inv
	scratch_load_b128 v[1:4], v136, off
	s_mov_b32 s2, exec_lo
	s_waitcnt vmcnt(0)
	ds_store_b128 v5, v[1:4]
	s_waitcnt lgkmcnt(0)
	s_barrier
	buffer_gl0_inv
	v_cmpx_gt_u32_e32 31, v118
	s_cbranch_execz .LBB35_139
; %bb.136:
	v_dual_mov_b32 v1, 0 :: v_dual_add_nc_u32 v8, 0x240, v13
	v_dual_mov_b32 v2, 0 :: v_dual_add_nc_u32 v7, -1, v118
	v_or_b32_e32 v9, 8, v14
	s_mov_b32 s3, 0
	s_delay_alu instid0(VALU_DEP_2)
	v_dual_mov_b32 v4, v2 :: v_dual_mov_b32 v3, v1
	.p2align	6
.LBB35_137:                             ; =>This Inner Loop Header: Depth=1
	scratch_load_b128 v[15:18], v9, off offset:-8
	ds_load_b128 v[19:22], v8
	v_add_nc_u32_e32 v7, 1, v7
	v_add_nc_u32_e32 v8, 16, v8
	;; [unrolled: 1-line block ×3, first 2 shown]
	s_delay_alu instid0(VALU_DEP_3) | instskip(SKIP_4) | instid1(VALU_DEP_2)
	v_cmp_lt_u32_e32 vcc_lo, 29, v7
	s_or_b32 s3, vcc_lo, s3
	s_waitcnt vmcnt(0) lgkmcnt(0)
	v_mul_f64 v[10:11], v[21:22], v[17:18]
	v_mul_f64 v[17:18], v[19:20], v[17:18]
	v_fma_f64 v[10:11], v[19:20], v[15:16], -v[10:11]
	s_delay_alu instid0(VALU_DEP_2) | instskip(NEXT) | instid1(VALU_DEP_2)
	v_fma_f64 v[15:16], v[21:22], v[15:16], v[17:18]
	v_add_f64 v[3:4], v[3:4], v[10:11]
	s_delay_alu instid0(VALU_DEP_2)
	v_add_f64 v[1:2], v[1:2], v[15:16]
	s_and_not1_b32 exec_lo, exec_lo, s3
	s_cbranch_execnz .LBB35_137
; %bb.138:
	s_or_b32 exec_lo, exec_lo, s3
	v_mov_b32_e32 v7, 0
	ds_load_b128 v[7:10], v7 offset:496
	s_waitcnt lgkmcnt(0)
	v_mul_f64 v[11:12], v[1:2], v[9:10]
	v_mul_f64 v[15:16], v[3:4], v[9:10]
	s_delay_alu instid0(VALU_DEP_2) | instskip(NEXT) | instid1(VALU_DEP_2)
	v_fma_f64 v[9:10], v[3:4], v[7:8], -v[11:12]
	v_fma_f64 v[11:12], v[1:2], v[7:8], v[15:16]
	scratch_store_b128 off, v[9:12], off offset:496
.LBB35_139:
	s_or_b32 exec_lo, exec_lo, s2
	s_waitcnt_vscnt null, 0x0
	s_barrier
	buffer_gl0_inv
	scratch_load_b128 v[1:4], v131, off
	s_mov_b32 s2, exec_lo
	s_waitcnt vmcnt(0)
	ds_store_b128 v5, v[1:4]
	s_waitcnt lgkmcnt(0)
	s_barrier
	buffer_gl0_inv
	v_cmpx_gt_u32_e32 32, v118
	s_cbranch_execz .LBB35_143
; %bb.140:
	v_dual_mov_b32 v1, 0 :: v_dual_add_nc_u32 v8, 0x240, v13
	v_dual_mov_b32 v2, 0 :: v_dual_add_nc_u32 v7, -1, v118
	v_or_b32_e32 v9, 8, v14
	s_mov_b32 s3, 0
	s_delay_alu instid0(VALU_DEP_2)
	v_dual_mov_b32 v4, v2 :: v_dual_mov_b32 v3, v1
	.p2align	6
.LBB35_141:                             ; =>This Inner Loop Header: Depth=1
	scratch_load_b128 v[15:18], v9, off offset:-8
	ds_load_b128 v[19:22], v8
	v_add_nc_u32_e32 v7, 1, v7
	v_add_nc_u32_e32 v8, 16, v8
	v_add_nc_u32_e32 v9, 16, v9
	s_delay_alu instid0(VALU_DEP_3) | instskip(SKIP_4) | instid1(VALU_DEP_2)
	v_cmp_lt_u32_e32 vcc_lo, 30, v7
	s_or_b32 s3, vcc_lo, s3
	s_waitcnt vmcnt(0) lgkmcnt(0)
	v_mul_f64 v[10:11], v[21:22], v[17:18]
	v_mul_f64 v[17:18], v[19:20], v[17:18]
	v_fma_f64 v[10:11], v[19:20], v[15:16], -v[10:11]
	s_delay_alu instid0(VALU_DEP_2) | instskip(NEXT) | instid1(VALU_DEP_2)
	v_fma_f64 v[15:16], v[21:22], v[15:16], v[17:18]
	v_add_f64 v[3:4], v[3:4], v[10:11]
	s_delay_alu instid0(VALU_DEP_2)
	v_add_f64 v[1:2], v[1:2], v[15:16]
	s_and_not1_b32 exec_lo, exec_lo, s3
	s_cbranch_execnz .LBB35_141
; %bb.142:
	s_or_b32 exec_lo, exec_lo, s3
	v_mov_b32_e32 v7, 0
	ds_load_b128 v[7:10], v7 offset:512
	s_waitcnt lgkmcnt(0)
	v_mul_f64 v[11:12], v[1:2], v[9:10]
	v_mul_f64 v[15:16], v[3:4], v[9:10]
	s_delay_alu instid0(VALU_DEP_2) | instskip(NEXT) | instid1(VALU_DEP_2)
	v_fma_f64 v[9:10], v[3:4], v[7:8], -v[11:12]
	v_fma_f64 v[11:12], v[1:2], v[7:8], v[15:16]
	scratch_store_b128 off, v[9:12], off offset:512
.LBB35_143:
	s_or_b32 exec_lo, exec_lo, s2
	s_waitcnt_vscnt null, 0x0
	s_barrier
	buffer_gl0_inv
	scratch_load_b128 v[1:4], v128, off
	s_mov_b32 s2, exec_lo
	s_waitcnt vmcnt(0)
	ds_store_b128 v5, v[1:4]
	s_waitcnt lgkmcnt(0)
	s_barrier
	buffer_gl0_inv
	v_cmpx_gt_u32_e32 33, v118
	s_cbranch_execz .LBB35_147
; %bb.144:
	v_dual_mov_b32 v1, 0 :: v_dual_add_nc_u32 v8, 0x240, v13
	v_dual_mov_b32 v2, 0 :: v_dual_add_nc_u32 v7, -1, v118
	v_or_b32_e32 v9, 8, v14
	s_mov_b32 s3, 0
	s_delay_alu instid0(VALU_DEP_2)
	v_dual_mov_b32 v4, v2 :: v_dual_mov_b32 v3, v1
	.p2align	6
.LBB35_145:                             ; =>This Inner Loop Header: Depth=1
	scratch_load_b128 v[15:18], v9, off offset:-8
	ds_load_b128 v[19:22], v8
	v_add_nc_u32_e32 v7, 1, v7
	v_add_nc_u32_e32 v8, 16, v8
	v_add_nc_u32_e32 v9, 16, v9
	s_delay_alu instid0(VALU_DEP_3) | instskip(SKIP_4) | instid1(VALU_DEP_2)
	v_cmp_lt_u32_e32 vcc_lo, 31, v7
	s_or_b32 s3, vcc_lo, s3
	s_waitcnt vmcnt(0) lgkmcnt(0)
	v_mul_f64 v[10:11], v[21:22], v[17:18]
	v_mul_f64 v[17:18], v[19:20], v[17:18]
	v_fma_f64 v[10:11], v[19:20], v[15:16], -v[10:11]
	s_delay_alu instid0(VALU_DEP_2) | instskip(NEXT) | instid1(VALU_DEP_2)
	v_fma_f64 v[15:16], v[21:22], v[15:16], v[17:18]
	v_add_f64 v[3:4], v[3:4], v[10:11]
	s_delay_alu instid0(VALU_DEP_2)
	v_add_f64 v[1:2], v[1:2], v[15:16]
	s_and_not1_b32 exec_lo, exec_lo, s3
	s_cbranch_execnz .LBB35_145
; %bb.146:
	s_or_b32 exec_lo, exec_lo, s3
	v_mov_b32_e32 v7, 0
	ds_load_b128 v[7:10], v7 offset:528
	s_waitcnt lgkmcnt(0)
	v_mul_f64 v[11:12], v[1:2], v[9:10]
	v_mul_f64 v[15:16], v[3:4], v[9:10]
	s_delay_alu instid0(VALU_DEP_2) | instskip(NEXT) | instid1(VALU_DEP_2)
	v_fma_f64 v[9:10], v[3:4], v[7:8], -v[11:12]
	v_fma_f64 v[11:12], v[1:2], v[7:8], v[15:16]
	scratch_store_b128 off, v[9:12], off offset:528
.LBB35_147:
	s_or_b32 exec_lo, exec_lo, s2
	s_waitcnt_vscnt null, 0x0
	s_barrier
	buffer_gl0_inv
	scratch_load_b128 v[1:4], v124, off
	s_mov_b32 s2, exec_lo
	s_waitcnt vmcnt(0)
	ds_store_b128 v5, v[1:4]
	s_waitcnt lgkmcnt(0)
	s_barrier
	buffer_gl0_inv
	v_cmpx_gt_u32_e32 34, v118
	s_cbranch_execz .LBB35_151
; %bb.148:
	v_dual_mov_b32 v1, 0 :: v_dual_add_nc_u32 v8, 0x240, v13
	v_dual_mov_b32 v2, 0 :: v_dual_add_nc_u32 v7, -1, v118
	v_or_b32_e32 v9, 8, v14
	s_mov_b32 s3, 0
	s_delay_alu instid0(VALU_DEP_2)
	v_dual_mov_b32 v4, v2 :: v_dual_mov_b32 v3, v1
	.p2align	6
.LBB35_149:                             ; =>This Inner Loop Header: Depth=1
	scratch_load_b128 v[10:13], v9, off offset:-8
	ds_load_b128 v[15:18], v8
	v_add_nc_u32_e32 v7, 1, v7
	v_add_nc_u32_e32 v8, 16, v8
	v_add_nc_u32_e32 v9, 16, v9
	s_delay_alu instid0(VALU_DEP_3) | instskip(SKIP_4) | instid1(VALU_DEP_2)
	v_cmp_lt_u32_e32 vcc_lo, 32, v7
	s_or_b32 s3, vcc_lo, s3
	s_waitcnt vmcnt(0) lgkmcnt(0)
	v_mul_f64 v[19:20], v[17:18], v[12:13]
	v_mul_f64 v[12:13], v[15:16], v[12:13]
	v_fma_f64 v[15:16], v[15:16], v[10:11], -v[19:20]
	s_delay_alu instid0(VALU_DEP_2) | instskip(NEXT) | instid1(VALU_DEP_2)
	v_fma_f64 v[10:11], v[17:18], v[10:11], v[12:13]
	v_add_f64 v[3:4], v[3:4], v[15:16]
	s_delay_alu instid0(VALU_DEP_2)
	v_add_f64 v[1:2], v[1:2], v[10:11]
	s_and_not1_b32 exec_lo, exec_lo, s3
	s_cbranch_execnz .LBB35_149
; %bb.150:
	s_or_b32 exec_lo, exec_lo, s3
	v_mov_b32_e32 v7, 0
	ds_load_b128 v[7:10], v7 offset:544
	s_waitcnt lgkmcnt(0)
	v_mul_f64 v[11:12], v[1:2], v[9:10]
	v_mul_f64 v[15:16], v[3:4], v[9:10]
	s_delay_alu instid0(VALU_DEP_2) | instskip(NEXT) | instid1(VALU_DEP_2)
	v_fma_f64 v[9:10], v[3:4], v[7:8], -v[11:12]
	v_fma_f64 v[11:12], v[1:2], v[7:8], v[15:16]
	scratch_store_b128 off, v[9:12], off offset:544
.LBB35_151:
	s_or_b32 exec_lo, exec_lo, s2
	s_waitcnt_vscnt null, 0x0
	s_barrier
	buffer_gl0_inv
	scratch_load_b128 v[1:4], v123, off
	s_mov_b32 s2, exec_lo
	s_waitcnt vmcnt(0)
	ds_store_b128 v5, v[1:4]
	s_waitcnt lgkmcnt(0)
	s_barrier
	buffer_gl0_inv
	v_cmpx_ne_u32_e32 35, v118
	s_cbranch_execz .LBB35_155
; %bb.152:
	v_mov_b32_e32 v1, 0
	v_mov_b32_e32 v2, 0
	v_or_b32_e32 v7, 8, v14
	s_mov_b32 s3, 0
	s_delay_alu instid0(VALU_DEP_2)
	v_dual_mov_b32 v4, v2 :: v_dual_mov_b32 v3, v1
	.p2align	6
.LBB35_153:                             ; =>This Inner Loop Header: Depth=1
	scratch_load_b128 v[8:11], v7, off offset:-8
	ds_load_b128 v[12:15], v5
	v_add_nc_u32_e32 v6, 1, v6
	v_add_nc_u32_e32 v5, 16, v5
	;; [unrolled: 1-line block ×3, first 2 shown]
	s_delay_alu instid0(VALU_DEP_3) | instskip(SKIP_4) | instid1(VALU_DEP_2)
	v_cmp_lt_u32_e32 vcc_lo, 33, v6
	s_or_b32 s3, vcc_lo, s3
	s_waitcnt vmcnt(0) lgkmcnt(0)
	v_mul_f64 v[16:17], v[14:15], v[10:11]
	v_mul_f64 v[10:11], v[12:13], v[10:11]
	v_fma_f64 v[12:13], v[12:13], v[8:9], -v[16:17]
	s_delay_alu instid0(VALU_DEP_2) | instskip(NEXT) | instid1(VALU_DEP_2)
	v_fma_f64 v[8:9], v[14:15], v[8:9], v[10:11]
	v_add_f64 v[3:4], v[3:4], v[12:13]
	s_delay_alu instid0(VALU_DEP_2)
	v_add_f64 v[1:2], v[1:2], v[8:9]
	s_and_not1_b32 exec_lo, exec_lo, s3
	s_cbranch_execnz .LBB35_153
; %bb.154:
	s_or_b32 exec_lo, exec_lo, s3
	v_mov_b32_e32 v5, 0
	ds_load_b128 v[5:8], v5 offset:560
	s_waitcnt lgkmcnt(0)
	v_mul_f64 v[9:10], v[1:2], v[7:8]
	v_mul_f64 v[7:8], v[3:4], v[7:8]
	s_delay_alu instid0(VALU_DEP_2) | instskip(NEXT) | instid1(VALU_DEP_2)
	v_fma_f64 v[3:4], v[3:4], v[5:6], -v[9:10]
	v_fma_f64 v[5:6], v[1:2], v[5:6], v[7:8]
	scratch_store_b128 off, v[3:6], off offset:560
.LBB35_155:
	s_or_b32 exec_lo, exec_lo, s2
	s_mov_b32 s3, -1
	s_waitcnt_vscnt null, 0x0
	s_barrier
	buffer_gl0_inv
.LBB35_156:
	s_and_b32 vcc_lo, exec_lo, s3
	s_cbranch_vccz .LBB35_158
; %bb.157:
	s_lshl_b64 s[2:3], s[18:19], 2
	v_mov_b32_e32 v1, 0
	s_add_u32 s2, s6, s2
	s_addc_u32 s3, s7, s3
	global_load_b32 v1, v1, s[2:3]
	s_waitcnt vmcnt(0)
	v_cmp_ne_u32_e32 vcc_lo, 0, v1
	s_cbranch_vccz .LBB35_159
.LBB35_158:
	s_endpgm
.LBB35_159:
	v_lshl_add_u32 v154, v118, 4, 0x240
	s_mov_b32 s2, exec_lo
	v_cmpx_eq_u32_e32 35, v118
	s_cbranch_execz .LBB35_161
; %bb.160:
	scratch_load_b128 v[1:4], v124, off
	v_mov_b32_e32 v5, 0
	s_delay_alu instid0(VALU_DEP_1)
	v_mov_b32_e32 v6, v5
	v_mov_b32_e32 v7, v5
	;; [unrolled: 1-line block ×3, first 2 shown]
	scratch_store_b128 off, v[5:8], off offset:544
	s_waitcnt vmcnt(0)
	ds_store_b128 v154, v[1:4]
.LBB35_161:
	s_or_b32 exec_lo, exec_lo, s2
	s_waitcnt lgkmcnt(0)
	s_waitcnt_vscnt null, 0x0
	s_barrier
	buffer_gl0_inv
	s_clause 0x1
	scratch_load_b128 v[2:5], off, off offset:560
	scratch_load_b128 v[6:9], off, off offset:544
	v_mov_b32_e32 v1, 0
	s_mov_b32 s2, exec_lo
	ds_load_b128 v[10:13], v1 offset:1136
	s_waitcnt vmcnt(1) lgkmcnt(0)
	v_mul_f64 v[14:15], v[12:13], v[4:5]
	v_mul_f64 v[4:5], v[10:11], v[4:5]
	s_delay_alu instid0(VALU_DEP_2) | instskip(NEXT) | instid1(VALU_DEP_2)
	v_fma_f64 v[10:11], v[10:11], v[2:3], -v[14:15]
	v_fma_f64 v[2:3], v[12:13], v[2:3], v[4:5]
	s_delay_alu instid0(VALU_DEP_2) | instskip(NEXT) | instid1(VALU_DEP_2)
	v_add_f64 v[4:5], v[10:11], 0
	v_add_f64 v[10:11], v[2:3], 0
	s_waitcnt vmcnt(0)
	s_delay_alu instid0(VALU_DEP_2) | instskip(NEXT) | instid1(VALU_DEP_2)
	v_add_f64 v[2:3], v[6:7], -v[4:5]
	v_add_f64 v[4:5], v[8:9], -v[10:11]
	scratch_store_b128 off, v[2:5], off offset:544
	v_cmpx_lt_u32_e32 33, v118
	s_cbranch_execz .LBB35_163
; %bb.162:
	scratch_load_b128 v[5:8], v128, off
	v_mov_b32_e32 v2, v1
	v_mov_b32_e32 v3, v1
	;; [unrolled: 1-line block ×3, first 2 shown]
	scratch_store_b128 off, v[1:4], off offset:528
	s_waitcnt vmcnt(0)
	ds_store_b128 v154, v[5:8]
.LBB35_163:
	s_or_b32 exec_lo, exec_lo, s2
	s_waitcnt lgkmcnt(0)
	s_waitcnt_vscnt null, 0x0
	s_barrier
	buffer_gl0_inv
	s_clause 0x2
	scratch_load_b128 v[2:5], off, off offset:544
	scratch_load_b128 v[6:9], off, off offset:560
	;; [unrolled: 1-line block ×3, first 2 shown]
	ds_load_b128 v[14:17], v1 offset:1120
	ds_load_b128 v[18:21], v1 offset:1136
	s_mov_b32 s2, exec_lo
	s_waitcnt vmcnt(2) lgkmcnt(1)
	v_mul_f64 v[22:23], v[16:17], v[4:5]
	v_mul_f64 v[4:5], v[14:15], v[4:5]
	s_waitcnt vmcnt(1) lgkmcnt(0)
	v_mul_f64 v[24:25], v[18:19], v[8:9]
	v_mul_f64 v[8:9], v[20:21], v[8:9]
	s_delay_alu instid0(VALU_DEP_4) | instskip(NEXT) | instid1(VALU_DEP_4)
	v_fma_f64 v[14:15], v[14:15], v[2:3], -v[22:23]
	v_fma_f64 v[1:2], v[16:17], v[2:3], v[4:5]
	s_delay_alu instid0(VALU_DEP_4) | instskip(NEXT) | instid1(VALU_DEP_4)
	v_fma_f64 v[3:4], v[20:21], v[6:7], v[24:25]
	v_fma_f64 v[5:6], v[18:19], v[6:7], -v[8:9]
	s_delay_alu instid0(VALU_DEP_4) | instskip(NEXT) | instid1(VALU_DEP_4)
	v_add_f64 v[7:8], v[14:15], 0
	v_add_f64 v[1:2], v[1:2], 0
	s_delay_alu instid0(VALU_DEP_2) | instskip(NEXT) | instid1(VALU_DEP_2)
	v_add_f64 v[5:6], v[7:8], v[5:6]
	v_add_f64 v[3:4], v[1:2], v[3:4]
	s_waitcnt vmcnt(0)
	s_delay_alu instid0(VALU_DEP_2) | instskip(NEXT) | instid1(VALU_DEP_2)
	v_add_f64 v[1:2], v[10:11], -v[5:6]
	v_add_f64 v[3:4], v[12:13], -v[3:4]
	scratch_store_b128 off, v[1:4], off offset:528
	v_cmpx_lt_u32_e32 32, v118
	s_cbranch_execz .LBB35_165
; %bb.164:
	scratch_load_b128 v[1:4], v131, off
	v_mov_b32_e32 v5, 0
	s_delay_alu instid0(VALU_DEP_1)
	v_mov_b32_e32 v6, v5
	v_mov_b32_e32 v7, v5
	;; [unrolled: 1-line block ×3, first 2 shown]
	scratch_store_b128 off, v[5:8], off offset:512
	s_waitcnt vmcnt(0)
	ds_store_b128 v154, v[1:4]
.LBB35_165:
	s_or_b32 exec_lo, exec_lo, s2
	s_waitcnt lgkmcnt(0)
	s_waitcnt_vscnt null, 0x0
	s_barrier
	buffer_gl0_inv
	s_clause 0x3
	scratch_load_b128 v[2:5], off, off offset:528
	scratch_load_b128 v[6:9], off, off offset:544
	;; [unrolled: 1-line block ×4, first 2 shown]
	v_mov_b32_e32 v1, 0
	ds_load_b128 v[18:21], v1 offset:1104
	ds_load_b128 v[22:25], v1 offset:1120
	s_mov_b32 s2, exec_lo
	s_waitcnt vmcnt(3) lgkmcnt(1)
	v_mul_f64 v[26:27], v[20:21], v[4:5]
	v_mul_f64 v[4:5], v[18:19], v[4:5]
	s_waitcnt vmcnt(2) lgkmcnt(0)
	v_mul_f64 v[28:29], v[22:23], v[8:9]
	v_mul_f64 v[8:9], v[24:25], v[8:9]
	s_delay_alu instid0(VALU_DEP_4) | instskip(NEXT) | instid1(VALU_DEP_4)
	v_fma_f64 v[18:19], v[18:19], v[2:3], -v[26:27]
	v_fma_f64 v[20:21], v[20:21], v[2:3], v[4:5]
	ds_load_b128 v[2:5], v1 offset:1136
	v_fma_f64 v[24:25], v[24:25], v[6:7], v[28:29]
	v_fma_f64 v[6:7], v[22:23], v[6:7], -v[8:9]
	s_waitcnt vmcnt(1) lgkmcnt(0)
	v_mul_f64 v[26:27], v[2:3], v[12:13]
	v_mul_f64 v[12:13], v[4:5], v[12:13]
	v_add_f64 v[8:9], v[18:19], 0
	v_add_f64 v[18:19], v[20:21], 0
	s_delay_alu instid0(VALU_DEP_4) | instskip(NEXT) | instid1(VALU_DEP_4)
	v_fma_f64 v[4:5], v[4:5], v[10:11], v[26:27]
	v_fma_f64 v[2:3], v[2:3], v[10:11], -v[12:13]
	s_delay_alu instid0(VALU_DEP_4) | instskip(NEXT) | instid1(VALU_DEP_4)
	v_add_f64 v[6:7], v[8:9], v[6:7]
	v_add_f64 v[8:9], v[18:19], v[24:25]
	s_delay_alu instid0(VALU_DEP_2) | instskip(NEXT) | instid1(VALU_DEP_2)
	v_add_f64 v[2:3], v[6:7], v[2:3]
	v_add_f64 v[4:5], v[8:9], v[4:5]
	s_waitcnt vmcnt(0)
	s_delay_alu instid0(VALU_DEP_2) | instskip(NEXT) | instid1(VALU_DEP_2)
	v_add_f64 v[2:3], v[14:15], -v[2:3]
	v_add_f64 v[4:5], v[16:17], -v[4:5]
	scratch_store_b128 off, v[2:5], off offset:512
	v_cmpx_lt_u32_e32 31, v118
	s_cbranch_execz .LBB35_167
; %bb.166:
	scratch_load_b128 v[5:8], v136, off
	v_mov_b32_e32 v2, v1
	v_mov_b32_e32 v3, v1
	v_mov_b32_e32 v4, v1
	scratch_store_b128 off, v[1:4], off offset:496
	s_waitcnt vmcnt(0)
	ds_store_b128 v154, v[5:8]
.LBB35_167:
	s_or_b32 exec_lo, exec_lo, s2
	s_waitcnt lgkmcnt(0)
	s_waitcnt_vscnt null, 0x0
	s_barrier
	buffer_gl0_inv
	s_clause 0x4
	scratch_load_b128 v[2:5], off, off offset:512
	scratch_load_b128 v[6:9], off, off offset:528
	;; [unrolled: 1-line block ×5, first 2 shown]
	ds_load_b128 v[22:25], v1 offset:1088
	ds_load_b128 v[26:29], v1 offset:1104
	s_mov_b32 s2, exec_lo
	s_waitcnt vmcnt(4) lgkmcnt(1)
	v_mul_f64 v[30:31], v[24:25], v[4:5]
	v_mul_f64 v[4:5], v[22:23], v[4:5]
	s_waitcnt vmcnt(3) lgkmcnt(0)
	v_mul_f64 v[32:33], v[26:27], v[8:9]
	v_mul_f64 v[8:9], v[28:29], v[8:9]
	s_delay_alu instid0(VALU_DEP_4) | instskip(NEXT) | instid1(VALU_DEP_4)
	v_fma_f64 v[30:31], v[22:23], v[2:3], -v[30:31]
	v_fma_f64 v[34:35], v[24:25], v[2:3], v[4:5]
	ds_load_b128 v[2:5], v1 offset:1120
	ds_load_b128 v[22:25], v1 offset:1136
	v_fma_f64 v[28:29], v[28:29], v[6:7], v[32:33]
	v_fma_f64 v[6:7], v[26:27], v[6:7], -v[8:9]
	s_waitcnt vmcnt(2) lgkmcnt(1)
	v_mul_f64 v[36:37], v[2:3], v[12:13]
	v_mul_f64 v[12:13], v[4:5], v[12:13]
	v_add_f64 v[8:9], v[30:31], 0
	v_add_f64 v[26:27], v[34:35], 0
	s_waitcnt vmcnt(1) lgkmcnt(0)
	v_mul_f64 v[30:31], v[22:23], v[16:17]
	v_mul_f64 v[16:17], v[24:25], v[16:17]
	v_fma_f64 v[4:5], v[4:5], v[10:11], v[36:37]
	v_fma_f64 v[1:2], v[2:3], v[10:11], -v[12:13]
	v_add_f64 v[6:7], v[8:9], v[6:7]
	v_add_f64 v[8:9], v[26:27], v[28:29]
	v_fma_f64 v[10:11], v[24:25], v[14:15], v[30:31]
	v_fma_f64 v[12:13], v[22:23], v[14:15], -v[16:17]
	s_delay_alu instid0(VALU_DEP_4) | instskip(NEXT) | instid1(VALU_DEP_4)
	v_add_f64 v[1:2], v[6:7], v[1:2]
	v_add_f64 v[3:4], v[8:9], v[4:5]
	s_delay_alu instid0(VALU_DEP_2) | instskip(NEXT) | instid1(VALU_DEP_2)
	v_add_f64 v[1:2], v[1:2], v[12:13]
	v_add_f64 v[3:4], v[3:4], v[10:11]
	s_waitcnt vmcnt(0)
	s_delay_alu instid0(VALU_DEP_2) | instskip(NEXT) | instid1(VALU_DEP_2)
	v_add_f64 v[1:2], v[18:19], -v[1:2]
	v_add_f64 v[3:4], v[20:21], -v[3:4]
	scratch_store_b128 off, v[1:4], off offset:496
	v_cmpx_lt_u32_e32 30, v118
	s_cbranch_execz .LBB35_169
; %bb.168:
	scratch_load_b128 v[1:4], v139, off
	v_mov_b32_e32 v5, 0
	s_delay_alu instid0(VALU_DEP_1)
	v_mov_b32_e32 v6, v5
	v_mov_b32_e32 v7, v5
	v_mov_b32_e32 v8, v5
	scratch_store_b128 off, v[5:8], off offset:480
	s_waitcnt vmcnt(0)
	ds_store_b128 v154, v[1:4]
.LBB35_169:
	s_or_b32 exec_lo, exec_lo, s2
	s_waitcnt lgkmcnt(0)
	s_waitcnt_vscnt null, 0x0
	s_barrier
	buffer_gl0_inv
	s_clause 0x5
	scratch_load_b128 v[2:5], off, off offset:496
	scratch_load_b128 v[6:9], off, off offset:512
	;; [unrolled: 1-line block ×6, first 2 shown]
	v_mov_b32_e32 v1, 0
	ds_load_b128 v[26:29], v1 offset:1072
	ds_load_b128 v[30:33], v1 offset:1088
	s_mov_b32 s2, exec_lo
	s_waitcnt vmcnt(5) lgkmcnt(1)
	v_mul_f64 v[34:35], v[28:29], v[4:5]
	v_mul_f64 v[4:5], v[26:27], v[4:5]
	s_waitcnt vmcnt(4) lgkmcnt(0)
	v_mul_f64 v[36:37], v[30:31], v[8:9]
	v_mul_f64 v[8:9], v[32:33], v[8:9]
	s_delay_alu instid0(VALU_DEP_4) | instskip(NEXT) | instid1(VALU_DEP_4)
	v_fma_f64 v[34:35], v[26:27], v[2:3], -v[34:35]
	v_fma_f64 v[38:39], v[28:29], v[2:3], v[4:5]
	ds_load_b128 v[2:5], v1 offset:1104
	ds_load_b128 v[26:29], v1 offset:1120
	v_fma_f64 v[32:33], v[32:33], v[6:7], v[36:37]
	v_fma_f64 v[6:7], v[30:31], v[6:7], -v[8:9]
	s_waitcnt vmcnt(3) lgkmcnt(1)
	v_mul_f64 v[40:41], v[2:3], v[12:13]
	v_mul_f64 v[12:13], v[4:5], v[12:13]
	v_add_f64 v[8:9], v[34:35], 0
	v_add_f64 v[30:31], v[38:39], 0
	s_waitcnt vmcnt(2) lgkmcnt(0)
	v_mul_f64 v[34:35], v[26:27], v[16:17]
	v_mul_f64 v[16:17], v[28:29], v[16:17]
	v_fma_f64 v[36:37], v[4:5], v[10:11], v[40:41]
	v_fma_f64 v[10:11], v[2:3], v[10:11], -v[12:13]
	ds_load_b128 v[2:5], v1 offset:1136
	v_add_f64 v[6:7], v[8:9], v[6:7]
	v_add_f64 v[8:9], v[30:31], v[32:33]
	v_fma_f64 v[28:29], v[28:29], v[14:15], v[34:35]
	v_fma_f64 v[14:15], v[26:27], v[14:15], -v[16:17]
	s_waitcnt vmcnt(1) lgkmcnt(0)
	v_mul_f64 v[12:13], v[2:3], v[20:21]
	v_mul_f64 v[20:21], v[4:5], v[20:21]
	v_add_f64 v[6:7], v[6:7], v[10:11]
	v_add_f64 v[8:9], v[8:9], v[36:37]
	s_delay_alu instid0(VALU_DEP_4) | instskip(NEXT) | instid1(VALU_DEP_4)
	v_fma_f64 v[4:5], v[4:5], v[18:19], v[12:13]
	v_fma_f64 v[2:3], v[2:3], v[18:19], -v[20:21]
	s_delay_alu instid0(VALU_DEP_4) | instskip(NEXT) | instid1(VALU_DEP_4)
	v_add_f64 v[6:7], v[6:7], v[14:15]
	v_add_f64 v[8:9], v[8:9], v[28:29]
	s_delay_alu instid0(VALU_DEP_2) | instskip(NEXT) | instid1(VALU_DEP_2)
	v_add_f64 v[2:3], v[6:7], v[2:3]
	v_add_f64 v[4:5], v[8:9], v[4:5]
	s_waitcnt vmcnt(0)
	s_delay_alu instid0(VALU_DEP_2) | instskip(NEXT) | instid1(VALU_DEP_2)
	v_add_f64 v[2:3], v[22:23], -v[2:3]
	v_add_f64 v[4:5], v[24:25], -v[4:5]
	scratch_store_b128 off, v[2:5], off offset:480
	v_cmpx_lt_u32_e32 29, v118
	s_cbranch_execz .LBB35_171
; %bb.170:
	scratch_load_b128 v[5:8], v144, off
	v_mov_b32_e32 v2, v1
	v_mov_b32_e32 v3, v1
	;; [unrolled: 1-line block ×3, first 2 shown]
	scratch_store_b128 off, v[1:4], off offset:464
	s_waitcnt vmcnt(0)
	ds_store_b128 v154, v[5:8]
.LBB35_171:
	s_or_b32 exec_lo, exec_lo, s2
	s_waitcnt lgkmcnt(0)
	s_waitcnt_vscnt null, 0x0
	s_barrier
	buffer_gl0_inv
	s_clause 0x5
	scratch_load_b128 v[2:5], off, off offset:480
	scratch_load_b128 v[6:9], off, off offset:496
	;; [unrolled: 1-line block ×6, first 2 shown]
	ds_load_b128 v[26:29], v1 offset:1056
	ds_load_b128 v[34:37], v1 offset:1072
	scratch_load_b128 v[30:33], off, off offset:464
	s_mov_b32 s2, exec_lo
	s_waitcnt vmcnt(6) lgkmcnt(1)
	v_mul_f64 v[38:39], v[28:29], v[4:5]
	v_mul_f64 v[4:5], v[26:27], v[4:5]
	s_waitcnt vmcnt(5) lgkmcnt(0)
	v_mul_f64 v[40:41], v[34:35], v[8:9]
	v_mul_f64 v[8:9], v[36:37], v[8:9]
	s_delay_alu instid0(VALU_DEP_4) | instskip(NEXT) | instid1(VALU_DEP_4)
	v_fma_f64 v[38:39], v[26:27], v[2:3], -v[38:39]
	v_fma_f64 v[42:43], v[28:29], v[2:3], v[4:5]
	ds_load_b128 v[2:5], v1 offset:1088
	ds_load_b128 v[26:29], v1 offset:1104
	v_fma_f64 v[36:37], v[36:37], v[6:7], v[40:41]
	v_fma_f64 v[6:7], v[34:35], v[6:7], -v[8:9]
	s_waitcnt vmcnt(4) lgkmcnt(1)
	v_mul_f64 v[44:45], v[2:3], v[12:13]
	v_mul_f64 v[12:13], v[4:5], v[12:13]
	v_add_f64 v[8:9], v[38:39], 0
	v_add_f64 v[34:35], v[42:43], 0
	s_waitcnt vmcnt(3) lgkmcnt(0)
	v_mul_f64 v[38:39], v[26:27], v[16:17]
	v_mul_f64 v[16:17], v[28:29], v[16:17]
	v_fma_f64 v[40:41], v[4:5], v[10:11], v[44:45]
	v_fma_f64 v[10:11], v[2:3], v[10:11], -v[12:13]
	v_add_f64 v[12:13], v[8:9], v[6:7]
	v_add_f64 v[34:35], v[34:35], v[36:37]
	ds_load_b128 v[2:5], v1 offset:1120
	ds_load_b128 v[6:9], v1 offset:1136
	v_fma_f64 v[28:29], v[28:29], v[14:15], v[38:39]
	v_fma_f64 v[14:15], v[26:27], v[14:15], -v[16:17]
	s_waitcnt vmcnt(2) lgkmcnt(1)
	v_mul_f64 v[36:37], v[2:3], v[20:21]
	v_mul_f64 v[20:21], v[4:5], v[20:21]
	s_waitcnt vmcnt(1) lgkmcnt(0)
	v_mul_f64 v[16:17], v[6:7], v[24:25]
	v_mul_f64 v[24:25], v[8:9], v[24:25]
	v_add_f64 v[10:11], v[12:13], v[10:11]
	v_add_f64 v[12:13], v[34:35], v[40:41]
	v_fma_f64 v[4:5], v[4:5], v[18:19], v[36:37]
	v_fma_f64 v[1:2], v[2:3], v[18:19], -v[20:21]
	v_fma_f64 v[8:9], v[8:9], v[22:23], v[16:17]
	v_fma_f64 v[6:7], v[6:7], v[22:23], -v[24:25]
	v_add_f64 v[10:11], v[10:11], v[14:15]
	v_add_f64 v[12:13], v[12:13], v[28:29]
	s_delay_alu instid0(VALU_DEP_2) | instskip(NEXT) | instid1(VALU_DEP_2)
	v_add_f64 v[1:2], v[10:11], v[1:2]
	v_add_f64 v[3:4], v[12:13], v[4:5]
	s_delay_alu instid0(VALU_DEP_2) | instskip(NEXT) | instid1(VALU_DEP_2)
	v_add_f64 v[1:2], v[1:2], v[6:7]
	v_add_f64 v[3:4], v[3:4], v[8:9]
	s_waitcnt vmcnt(0)
	s_delay_alu instid0(VALU_DEP_2) | instskip(NEXT) | instid1(VALU_DEP_2)
	v_add_f64 v[1:2], v[30:31], -v[1:2]
	v_add_f64 v[3:4], v[32:33], -v[3:4]
	scratch_store_b128 off, v[1:4], off offset:464
	v_cmpx_lt_u32_e32 28, v118
	s_cbranch_execz .LBB35_173
; %bb.172:
	scratch_load_b128 v[1:4], v145, off
	v_mov_b32_e32 v5, 0
	s_delay_alu instid0(VALU_DEP_1)
	v_mov_b32_e32 v6, v5
	v_mov_b32_e32 v7, v5
	;; [unrolled: 1-line block ×3, first 2 shown]
	scratch_store_b128 off, v[5:8], off offset:448
	s_waitcnt vmcnt(0)
	ds_store_b128 v154, v[1:4]
.LBB35_173:
	s_or_b32 exec_lo, exec_lo, s2
	s_waitcnt lgkmcnt(0)
	s_waitcnt_vscnt null, 0x0
	s_barrier
	buffer_gl0_inv
	s_clause 0x6
	scratch_load_b128 v[2:5], off, off offset:464
	scratch_load_b128 v[6:9], off, off offset:480
	;; [unrolled: 1-line block ×7, first 2 shown]
	v_mov_b32_e32 v1, 0
	scratch_load_b128 v[34:37], off, off offset:448
	s_mov_b32 s2, exec_lo
	ds_load_b128 v[30:33], v1 offset:1040
	ds_load_b128 v[38:41], v1 offset:1056
	s_waitcnt vmcnt(7) lgkmcnt(1)
	v_mul_f64 v[42:43], v[32:33], v[4:5]
	v_mul_f64 v[4:5], v[30:31], v[4:5]
	s_waitcnt vmcnt(6) lgkmcnt(0)
	v_mul_f64 v[44:45], v[38:39], v[8:9]
	v_mul_f64 v[8:9], v[40:41], v[8:9]
	s_delay_alu instid0(VALU_DEP_4) | instskip(NEXT) | instid1(VALU_DEP_4)
	v_fma_f64 v[42:43], v[30:31], v[2:3], -v[42:43]
	v_fma_f64 v[155:156], v[32:33], v[2:3], v[4:5]
	ds_load_b128 v[2:5], v1 offset:1072
	ds_load_b128 v[30:33], v1 offset:1088
	v_fma_f64 v[40:41], v[40:41], v[6:7], v[44:45]
	v_fma_f64 v[6:7], v[38:39], v[6:7], -v[8:9]
	s_waitcnt vmcnt(5) lgkmcnt(1)
	v_mul_f64 v[157:158], v[2:3], v[12:13]
	v_mul_f64 v[12:13], v[4:5], v[12:13]
	v_add_f64 v[8:9], v[42:43], 0
	v_add_f64 v[38:39], v[155:156], 0
	s_waitcnt vmcnt(4) lgkmcnt(0)
	v_mul_f64 v[42:43], v[30:31], v[16:17]
	v_mul_f64 v[16:17], v[32:33], v[16:17]
	v_fma_f64 v[44:45], v[4:5], v[10:11], v[157:158]
	v_fma_f64 v[10:11], v[2:3], v[10:11], -v[12:13]
	v_add_f64 v[12:13], v[8:9], v[6:7]
	v_add_f64 v[38:39], v[38:39], v[40:41]
	ds_load_b128 v[2:5], v1 offset:1104
	ds_load_b128 v[6:9], v1 offset:1120
	v_fma_f64 v[32:33], v[32:33], v[14:15], v[42:43]
	v_fma_f64 v[14:15], v[30:31], v[14:15], -v[16:17]
	s_waitcnt vmcnt(3) lgkmcnt(1)
	v_mul_f64 v[40:41], v[2:3], v[20:21]
	v_mul_f64 v[20:21], v[4:5], v[20:21]
	s_waitcnt vmcnt(2) lgkmcnt(0)
	v_mul_f64 v[16:17], v[6:7], v[24:25]
	v_mul_f64 v[24:25], v[8:9], v[24:25]
	v_add_f64 v[10:11], v[12:13], v[10:11]
	v_add_f64 v[12:13], v[38:39], v[44:45]
	v_fma_f64 v[30:31], v[4:5], v[18:19], v[40:41]
	v_fma_f64 v[18:19], v[2:3], v[18:19], -v[20:21]
	ds_load_b128 v[2:5], v1 offset:1136
	v_fma_f64 v[8:9], v[8:9], v[22:23], v[16:17]
	v_fma_f64 v[6:7], v[6:7], v[22:23], -v[24:25]
	v_add_f64 v[10:11], v[10:11], v[14:15]
	v_add_f64 v[12:13], v[12:13], v[32:33]
	s_waitcnt vmcnt(1) lgkmcnt(0)
	v_mul_f64 v[14:15], v[2:3], v[28:29]
	v_mul_f64 v[20:21], v[4:5], v[28:29]
	s_delay_alu instid0(VALU_DEP_4) | instskip(NEXT) | instid1(VALU_DEP_4)
	v_add_f64 v[10:11], v[10:11], v[18:19]
	v_add_f64 v[12:13], v[12:13], v[30:31]
	s_delay_alu instid0(VALU_DEP_4) | instskip(NEXT) | instid1(VALU_DEP_4)
	v_fma_f64 v[4:5], v[4:5], v[26:27], v[14:15]
	v_fma_f64 v[2:3], v[2:3], v[26:27], -v[20:21]
	s_delay_alu instid0(VALU_DEP_4) | instskip(NEXT) | instid1(VALU_DEP_4)
	v_add_f64 v[6:7], v[10:11], v[6:7]
	v_add_f64 v[8:9], v[12:13], v[8:9]
	s_delay_alu instid0(VALU_DEP_2) | instskip(NEXT) | instid1(VALU_DEP_2)
	v_add_f64 v[2:3], v[6:7], v[2:3]
	v_add_f64 v[4:5], v[8:9], v[4:5]
	s_waitcnt vmcnt(0)
	s_delay_alu instid0(VALU_DEP_2) | instskip(NEXT) | instid1(VALU_DEP_2)
	v_add_f64 v[2:3], v[34:35], -v[2:3]
	v_add_f64 v[4:5], v[36:37], -v[4:5]
	scratch_store_b128 off, v[2:5], off offset:448
	v_cmpx_lt_u32_e32 27, v118
	s_cbranch_execz .LBB35_175
; %bb.174:
	scratch_load_b128 v[5:8], v146, off
	v_mov_b32_e32 v2, v1
	v_mov_b32_e32 v3, v1
	v_mov_b32_e32 v4, v1
	scratch_store_b128 off, v[1:4], off offset:432
	s_waitcnt vmcnt(0)
	ds_store_b128 v154, v[5:8]
.LBB35_175:
	s_or_b32 exec_lo, exec_lo, s2
	s_waitcnt lgkmcnt(0)
	s_waitcnt_vscnt null, 0x0
	s_barrier
	buffer_gl0_inv
	s_clause 0x7
	scratch_load_b128 v[2:5], off, off offset:448
	scratch_load_b128 v[6:9], off, off offset:464
	;; [unrolled: 1-line block ×8, first 2 shown]
	ds_load_b128 v[34:37], v1 offset:1024
	ds_load_b128 v[38:41], v1 offset:1040
	scratch_load_b128 v[42:45], off, off offset:432
	s_mov_b32 s2, exec_lo
	s_waitcnt vmcnt(8) lgkmcnt(1)
	v_mul_f64 v[155:156], v[36:37], v[4:5]
	v_mul_f64 v[4:5], v[34:35], v[4:5]
	s_waitcnt vmcnt(7) lgkmcnt(0)
	v_mul_f64 v[157:158], v[38:39], v[8:9]
	v_mul_f64 v[8:9], v[40:41], v[8:9]
	s_delay_alu instid0(VALU_DEP_4) | instskip(NEXT) | instid1(VALU_DEP_4)
	v_fma_f64 v[155:156], v[34:35], v[2:3], -v[155:156]
	v_fma_f64 v[159:160], v[36:37], v[2:3], v[4:5]
	ds_load_b128 v[2:5], v1 offset:1056
	ds_load_b128 v[34:37], v1 offset:1072
	v_fma_f64 v[40:41], v[40:41], v[6:7], v[157:158]
	v_fma_f64 v[6:7], v[38:39], v[6:7], -v[8:9]
	s_waitcnt vmcnt(6) lgkmcnt(1)
	v_mul_f64 v[161:162], v[2:3], v[12:13]
	v_mul_f64 v[12:13], v[4:5], v[12:13]
	v_add_f64 v[8:9], v[155:156], 0
	v_add_f64 v[38:39], v[159:160], 0
	s_waitcnt vmcnt(5) lgkmcnt(0)
	v_mul_f64 v[155:156], v[34:35], v[16:17]
	v_mul_f64 v[16:17], v[36:37], v[16:17]
	v_fma_f64 v[157:158], v[4:5], v[10:11], v[161:162]
	v_fma_f64 v[10:11], v[2:3], v[10:11], -v[12:13]
	v_add_f64 v[12:13], v[8:9], v[6:7]
	v_add_f64 v[38:39], v[38:39], v[40:41]
	ds_load_b128 v[2:5], v1 offset:1088
	ds_load_b128 v[6:9], v1 offset:1104
	v_fma_f64 v[36:37], v[36:37], v[14:15], v[155:156]
	v_fma_f64 v[14:15], v[34:35], v[14:15], -v[16:17]
	s_waitcnt vmcnt(4) lgkmcnt(1)
	v_mul_f64 v[40:41], v[2:3], v[20:21]
	v_mul_f64 v[20:21], v[4:5], v[20:21]
	s_waitcnt vmcnt(3) lgkmcnt(0)
	v_mul_f64 v[16:17], v[6:7], v[24:25]
	v_mul_f64 v[24:25], v[8:9], v[24:25]
	v_add_f64 v[10:11], v[12:13], v[10:11]
	v_add_f64 v[12:13], v[38:39], v[157:158]
	v_fma_f64 v[34:35], v[4:5], v[18:19], v[40:41]
	v_fma_f64 v[18:19], v[2:3], v[18:19], -v[20:21]
	v_fma_f64 v[8:9], v[8:9], v[22:23], v[16:17]
	v_fma_f64 v[6:7], v[6:7], v[22:23], -v[24:25]
	v_add_f64 v[14:15], v[10:11], v[14:15]
	v_add_f64 v[20:21], v[12:13], v[36:37]
	ds_load_b128 v[2:5], v1 offset:1120
	ds_load_b128 v[10:13], v1 offset:1136
	s_waitcnt vmcnt(2) lgkmcnt(1)
	v_mul_f64 v[36:37], v[2:3], v[28:29]
	v_mul_f64 v[28:29], v[4:5], v[28:29]
	v_add_f64 v[14:15], v[14:15], v[18:19]
	v_add_f64 v[16:17], v[20:21], v[34:35]
	s_waitcnt vmcnt(1) lgkmcnt(0)
	v_mul_f64 v[18:19], v[10:11], v[32:33]
	v_mul_f64 v[20:21], v[12:13], v[32:33]
	v_fma_f64 v[4:5], v[4:5], v[26:27], v[36:37]
	v_fma_f64 v[1:2], v[2:3], v[26:27], -v[28:29]
	v_add_f64 v[6:7], v[14:15], v[6:7]
	v_add_f64 v[8:9], v[16:17], v[8:9]
	v_fma_f64 v[12:13], v[12:13], v[30:31], v[18:19]
	v_fma_f64 v[10:11], v[10:11], v[30:31], -v[20:21]
	s_delay_alu instid0(VALU_DEP_4) | instskip(NEXT) | instid1(VALU_DEP_4)
	v_add_f64 v[1:2], v[6:7], v[1:2]
	v_add_f64 v[3:4], v[8:9], v[4:5]
	s_delay_alu instid0(VALU_DEP_2) | instskip(NEXT) | instid1(VALU_DEP_2)
	v_add_f64 v[1:2], v[1:2], v[10:11]
	v_add_f64 v[3:4], v[3:4], v[12:13]
	s_waitcnt vmcnt(0)
	s_delay_alu instid0(VALU_DEP_2) | instskip(NEXT) | instid1(VALU_DEP_2)
	v_add_f64 v[1:2], v[42:43], -v[1:2]
	v_add_f64 v[3:4], v[44:45], -v[3:4]
	scratch_store_b128 off, v[1:4], off offset:432
	v_cmpx_lt_u32_e32 26, v118
	s_cbranch_execz .LBB35_177
; %bb.176:
	scratch_load_b128 v[1:4], v147, off
	v_mov_b32_e32 v5, 0
	s_delay_alu instid0(VALU_DEP_1)
	v_mov_b32_e32 v6, v5
	v_mov_b32_e32 v7, v5
	;; [unrolled: 1-line block ×3, first 2 shown]
	scratch_store_b128 off, v[5:8], off offset:416
	s_waitcnt vmcnt(0)
	ds_store_b128 v154, v[1:4]
.LBB35_177:
	s_or_b32 exec_lo, exec_lo, s2
	s_waitcnt lgkmcnt(0)
	s_waitcnt_vscnt null, 0x0
	s_barrier
	buffer_gl0_inv
	s_clause 0x7
	scratch_load_b128 v[2:5], off, off offset:432
	scratch_load_b128 v[6:9], off, off offset:448
	;; [unrolled: 1-line block ×8, first 2 shown]
	v_mov_b32_e32 v1, 0
	scratch_load_b128 v[38:41], off, off offset:560
	s_mov_b32 s2, exec_lo
	ds_load_b128 v[34:37], v1 offset:1008
	ds_load_b128 v[42:45], v1 offset:1024
	s_waitcnt vmcnt(8) lgkmcnt(1)
	v_mul_f64 v[155:156], v[36:37], v[4:5]
	v_mul_f64 v[4:5], v[34:35], v[4:5]
	s_waitcnt vmcnt(7) lgkmcnt(0)
	v_mul_f64 v[157:158], v[42:43], v[8:9]
	v_mul_f64 v[8:9], v[44:45], v[8:9]
	s_delay_alu instid0(VALU_DEP_4) | instskip(NEXT) | instid1(VALU_DEP_4)
	v_fma_f64 v[34:35], v[34:35], v[2:3], -v[155:156]
	v_fma_f64 v[36:37], v[36:37], v[2:3], v[4:5]
	ds_load_b128 v[2:5], v1 offset:1040
	v_fma_f64 v[44:45], v[44:45], v[6:7], v[157:158]
	v_fma_f64 v[42:43], v[42:43], v[6:7], -v[8:9]
	ds_load_b128 v[6:9], v1 offset:1056
	s_waitcnt vmcnt(6) lgkmcnt(1)
	v_mul_f64 v[155:156], v[2:3], v[12:13]
	v_mul_f64 v[12:13], v[4:5], v[12:13]
	s_waitcnt vmcnt(5) lgkmcnt(0)
	v_mul_f64 v[161:162], v[6:7], v[16:17]
	v_mul_f64 v[16:17], v[8:9], v[16:17]
	v_add_f64 v[157:158], v[34:35], 0
	v_add_f64 v[159:160], v[36:37], 0
	scratch_load_b128 v[34:37], off, off offset:416
	v_fma_f64 v[155:156], v[4:5], v[10:11], v[155:156]
	v_fma_f64 v[10:11], v[2:3], v[10:11], -v[12:13]
	ds_load_b128 v[2:5], v1 offset:1072
	v_add_f64 v[12:13], v[157:158], v[42:43]
	v_add_f64 v[42:43], v[159:160], v[44:45]
	v_fma_f64 v[157:158], v[8:9], v[14:15], v[161:162]
	v_fma_f64 v[14:15], v[6:7], v[14:15], -v[16:17]
	ds_load_b128 v[6:9], v1 offset:1088
	s_waitcnt vmcnt(5) lgkmcnt(1)
	v_mul_f64 v[44:45], v[2:3], v[20:21]
	v_mul_f64 v[20:21], v[4:5], v[20:21]
	s_waitcnt vmcnt(4) lgkmcnt(0)
	v_mul_f64 v[16:17], v[6:7], v[24:25]
	v_mul_f64 v[24:25], v[8:9], v[24:25]
	v_add_f64 v[10:11], v[12:13], v[10:11]
	v_add_f64 v[12:13], v[42:43], v[155:156]
	v_fma_f64 v[42:43], v[4:5], v[18:19], v[44:45]
	v_fma_f64 v[18:19], v[2:3], v[18:19], -v[20:21]
	ds_load_b128 v[2:5], v1 offset:1104
	v_fma_f64 v[16:17], v[8:9], v[22:23], v[16:17]
	v_fma_f64 v[22:23], v[6:7], v[22:23], -v[24:25]
	ds_load_b128 v[6:9], v1 offset:1120
	s_waitcnt vmcnt(3) lgkmcnt(1)
	v_mul_f64 v[20:21], v[4:5], v[28:29]
	v_add_f64 v[10:11], v[10:11], v[14:15]
	v_add_f64 v[12:13], v[12:13], v[157:158]
	v_mul_f64 v[14:15], v[2:3], v[28:29]
	s_waitcnt vmcnt(2) lgkmcnt(0)
	v_mul_f64 v[24:25], v[8:9], v[32:33]
	v_fma_f64 v[20:21], v[2:3], v[26:27], -v[20:21]
	v_add_f64 v[10:11], v[10:11], v[18:19]
	v_add_f64 v[12:13], v[12:13], v[42:43]
	v_mul_f64 v[18:19], v[6:7], v[32:33]
	v_fma_f64 v[14:15], v[4:5], v[26:27], v[14:15]
	ds_load_b128 v[2:5], v1 offset:1136
	v_fma_f64 v[6:7], v[6:7], v[30:31], -v[24:25]
	v_add_f64 v[10:11], v[10:11], v[22:23]
	v_add_f64 v[12:13], v[12:13], v[16:17]
	s_waitcnt vmcnt(1) lgkmcnt(0)
	v_mul_f64 v[16:17], v[2:3], v[40:41]
	v_mul_f64 v[22:23], v[4:5], v[40:41]
	v_fma_f64 v[8:9], v[8:9], v[30:31], v[18:19]
	v_add_f64 v[10:11], v[10:11], v[20:21]
	v_add_f64 v[12:13], v[12:13], v[14:15]
	v_fma_f64 v[4:5], v[4:5], v[38:39], v[16:17]
	v_fma_f64 v[2:3], v[2:3], v[38:39], -v[22:23]
	s_delay_alu instid0(VALU_DEP_4) | instskip(NEXT) | instid1(VALU_DEP_4)
	v_add_f64 v[6:7], v[10:11], v[6:7]
	v_add_f64 v[8:9], v[12:13], v[8:9]
	s_delay_alu instid0(VALU_DEP_2) | instskip(NEXT) | instid1(VALU_DEP_2)
	v_add_f64 v[2:3], v[6:7], v[2:3]
	v_add_f64 v[4:5], v[8:9], v[4:5]
	s_waitcnt vmcnt(0)
	s_delay_alu instid0(VALU_DEP_2) | instskip(NEXT) | instid1(VALU_DEP_2)
	v_add_f64 v[2:3], v[34:35], -v[2:3]
	v_add_f64 v[4:5], v[36:37], -v[4:5]
	scratch_store_b128 off, v[2:5], off offset:416
	v_cmpx_lt_u32_e32 25, v118
	s_cbranch_execz .LBB35_179
; %bb.178:
	scratch_load_b128 v[5:8], v148, off
	v_mov_b32_e32 v2, v1
	v_mov_b32_e32 v3, v1
	;; [unrolled: 1-line block ×3, first 2 shown]
	scratch_store_b128 off, v[1:4], off offset:400
	s_waitcnt vmcnt(0)
	ds_store_b128 v154, v[5:8]
.LBB35_179:
	s_or_b32 exec_lo, exec_lo, s2
	s_waitcnt lgkmcnt(0)
	s_waitcnt_vscnt null, 0x0
	s_barrier
	buffer_gl0_inv
	s_clause 0x7
	scratch_load_b128 v[2:5], off, off offset:416
	scratch_load_b128 v[6:9], off, off offset:432
	;; [unrolled: 1-line block ×8, first 2 shown]
	ds_load_b128 v[34:37], v1 offset:992
	ds_load_b128 v[42:45], v1 offset:1008
	s_clause 0x1
	scratch_load_b128 v[38:41], off, off offset:544
	scratch_load_b128 v[155:158], off, off offset:560
	s_mov_b32 s2, exec_lo
	s_waitcnt vmcnt(9) lgkmcnt(1)
	v_mul_f64 v[159:160], v[36:37], v[4:5]
	v_mul_f64 v[4:5], v[34:35], v[4:5]
	s_waitcnt vmcnt(8) lgkmcnt(0)
	v_mul_f64 v[161:162], v[42:43], v[8:9]
	v_mul_f64 v[8:9], v[44:45], v[8:9]
	s_delay_alu instid0(VALU_DEP_4) | instskip(NEXT) | instid1(VALU_DEP_4)
	v_fma_f64 v[34:35], v[34:35], v[2:3], -v[159:160]
	v_fma_f64 v[36:37], v[36:37], v[2:3], v[4:5]
	ds_load_b128 v[2:5], v1 offset:1024
	v_fma_f64 v[44:45], v[44:45], v[6:7], v[161:162]
	v_fma_f64 v[42:43], v[42:43], v[6:7], -v[8:9]
	ds_load_b128 v[6:9], v1 offset:1040
	s_waitcnt vmcnt(7) lgkmcnt(1)
	v_mul_f64 v[159:160], v[2:3], v[12:13]
	v_mul_f64 v[12:13], v[4:5], v[12:13]
	s_waitcnt vmcnt(6) lgkmcnt(0)
	v_mul_f64 v[161:162], v[6:7], v[16:17]
	v_mul_f64 v[16:17], v[8:9], v[16:17]
	v_add_f64 v[34:35], v[34:35], 0
	v_add_f64 v[36:37], v[36:37], 0
	v_fma_f64 v[159:160], v[4:5], v[10:11], v[159:160]
	v_fma_f64 v[163:164], v[2:3], v[10:11], -v[12:13]
	ds_load_b128 v[2:5], v1 offset:1056
	scratch_load_b128 v[10:13], off, off offset:400
	v_add_f64 v[34:35], v[34:35], v[42:43]
	v_add_f64 v[36:37], v[36:37], v[44:45]
	v_fma_f64 v[44:45], v[8:9], v[14:15], v[161:162]
	v_fma_f64 v[14:15], v[6:7], v[14:15], -v[16:17]
	ds_load_b128 v[6:9], v1 offset:1072
	s_waitcnt vmcnt(6) lgkmcnt(1)
	v_mul_f64 v[42:43], v[2:3], v[20:21]
	v_mul_f64 v[20:21], v[4:5], v[20:21]
	v_add_f64 v[16:17], v[34:35], v[163:164]
	v_add_f64 v[34:35], v[36:37], v[159:160]
	s_waitcnt vmcnt(5) lgkmcnt(0)
	v_mul_f64 v[36:37], v[6:7], v[24:25]
	v_mul_f64 v[24:25], v[8:9], v[24:25]
	v_fma_f64 v[42:43], v[4:5], v[18:19], v[42:43]
	v_fma_f64 v[18:19], v[2:3], v[18:19], -v[20:21]
	ds_load_b128 v[2:5], v1 offset:1088
	v_add_f64 v[14:15], v[16:17], v[14:15]
	v_add_f64 v[16:17], v[34:35], v[44:45]
	v_fma_f64 v[34:35], v[8:9], v[22:23], v[36:37]
	v_fma_f64 v[22:23], v[6:7], v[22:23], -v[24:25]
	ds_load_b128 v[6:9], v1 offset:1104
	s_waitcnt vmcnt(4) lgkmcnt(1)
	v_mul_f64 v[20:21], v[2:3], v[28:29]
	v_mul_f64 v[28:29], v[4:5], v[28:29]
	s_waitcnt vmcnt(3) lgkmcnt(0)
	v_mul_f64 v[24:25], v[8:9], v[32:33]
	v_add_f64 v[14:15], v[14:15], v[18:19]
	v_add_f64 v[16:17], v[16:17], v[42:43]
	v_mul_f64 v[18:19], v[6:7], v[32:33]
	v_fma_f64 v[20:21], v[4:5], v[26:27], v[20:21]
	v_fma_f64 v[26:27], v[2:3], v[26:27], -v[28:29]
	ds_load_b128 v[2:5], v1 offset:1120
	v_fma_f64 v[24:25], v[6:7], v[30:31], -v[24:25]
	v_add_f64 v[14:15], v[14:15], v[22:23]
	v_add_f64 v[16:17], v[16:17], v[34:35]
	v_fma_f64 v[18:19], v[8:9], v[30:31], v[18:19]
	ds_load_b128 v[6:9], v1 offset:1136
	s_waitcnt vmcnt(2) lgkmcnt(1)
	v_mul_f64 v[22:23], v[2:3], v[40:41]
	v_mul_f64 v[28:29], v[4:5], v[40:41]
	v_add_f64 v[14:15], v[14:15], v[26:27]
	v_add_f64 v[16:17], v[16:17], v[20:21]
	s_waitcnt vmcnt(1) lgkmcnt(0)
	v_mul_f64 v[20:21], v[6:7], v[157:158]
	v_mul_f64 v[26:27], v[8:9], v[157:158]
	v_fma_f64 v[4:5], v[4:5], v[38:39], v[22:23]
	v_fma_f64 v[1:2], v[2:3], v[38:39], -v[28:29]
	v_add_f64 v[14:15], v[14:15], v[24:25]
	v_add_f64 v[16:17], v[16:17], v[18:19]
	v_fma_f64 v[8:9], v[8:9], v[155:156], v[20:21]
	v_fma_f64 v[6:7], v[6:7], v[155:156], -v[26:27]
	s_delay_alu instid0(VALU_DEP_4) | instskip(NEXT) | instid1(VALU_DEP_4)
	v_add_f64 v[1:2], v[14:15], v[1:2]
	v_add_f64 v[3:4], v[16:17], v[4:5]
	s_delay_alu instid0(VALU_DEP_2) | instskip(NEXT) | instid1(VALU_DEP_2)
	v_add_f64 v[1:2], v[1:2], v[6:7]
	v_add_f64 v[3:4], v[3:4], v[8:9]
	s_waitcnt vmcnt(0)
	s_delay_alu instid0(VALU_DEP_2) | instskip(NEXT) | instid1(VALU_DEP_2)
	v_add_f64 v[1:2], v[10:11], -v[1:2]
	v_add_f64 v[3:4], v[12:13], -v[3:4]
	scratch_store_b128 off, v[1:4], off offset:400
	v_cmpx_lt_u32_e32 24, v118
	s_cbranch_execz .LBB35_181
; %bb.180:
	scratch_load_b128 v[1:4], v149, off
	v_mov_b32_e32 v5, 0
	s_delay_alu instid0(VALU_DEP_1)
	v_mov_b32_e32 v6, v5
	v_mov_b32_e32 v7, v5
	;; [unrolled: 1-line block ×3, first 2 shown]
	scratch_store_b128 off, v[5:8], off offset:384
	s_waitcnt vmcnt(0)
	ds_store_b128 v154, v[1:4]
.LBB35_181:
	s_or_b32 exec_lo, exec_lo, s2
	s_waitcnt lgkmcnt(0)
	s_waitcnt_vscnt null, 0x0
	s_barrier
	buffer_gl0_inv
	s_clause 0x7
	scratch_load_b128 v[2:5], off, off offset:400
	scratch_load_b128 v[6:9], off, off offset:416
	;; [unrolled: 1-line block ×8, first 2 shown]
	v_mov_b32_e32 v1, 0
	s_clause 0x1
	scratch_load_b128 v[38:41], off, off offset:528
	scratch_load_b128 v[155:158], off, off offset:544
	s_mov_b32 s2, exec_lo
	ds_load_b128 v[34:37], v1 offset:976
	ds_load_b128 v[42:45], v1 offset:992
	s_waitcnt vmcnt(9) lgkmcnt(1)
	v_mul_f64 v[159:160], v[36:37], v[4:5]
	v_mul_f64 v[4:5], v[34:35], v[4:5]
	s_waitcnt vmcnt(8) lgkmcnt(0)
	v_mul_f64 v[161:162], v[42:43], v[8:9]
	v_mul_f64 v[8:9], v[44:45], v[8:9]
	s_delay_alu instid0(VALU_DEP_4) | instskip(NEXT) | instid1(VALU_DEP_4)
	v_fma_f64 v[159:160], v[34:35], v[2:3], -v[159:160]
	v_fma_f64 v[163:164], v[36:37], v[2:3], v[4:5]
	ds_load_b128 v[2:5], v1 offset:1008
	scratch_load_b128 v[34:37], off, off offset:560
	v_fma_f64 v[44:45], v[44:45], v[6:7], v[161:162]
	v_fma_f64 v[42:43], v[42:43], v[6:7], -v[8:9]
	ds_load_b128 v[6:9], v1 offset:1024
	s_waitcnt vmcnt(8) lgkmcnt(1)
	v_mul_f64 v[165:166], v[2:3], v[12:13]
	v_mul_f64 v[12:13], v[4:5], v[12:13]
	v_add_f64 v[159:160], v[159:160], 0
	v_add_f64 v[161:162], v[163:164], 0
	s_waitcnt vmcnt(7) lgkmcnt(0)
	v_mul_f64 v[163:164], v[6:7], v[16:17]
	v_mul_f64 v[16:17], v[8:9], v[16:17]
	v_fma_f64 v[165:166], v[4:5], v[10:11], v[165:166]
	v_fma_f64 v[10:11], v[2:3], v[10:11], -v[12:13]
	ds_load_b128 v[2:5], v1 offset:1040
	v_add_f64 v[12:13], v[159:160], v[42:43]
	v_add_f64 v[42:43], v[161:162], v[44:45]
	v_fma_f64 v[159:160], v[8:9], v[14:15], v[163:164]
	v_fma_f64 v[14:15], v[6:7], v[14:15], -v[16:17]
	ds_load_b128 v[6:9], v1 offset:1056
	s_waitcnt vmcnt(6) lgkmcnt(1)
	v_mul_f64 v[44:45], v[2:3], v[20:21]
	v_mul_f64 v[20:21], v[4:5], v[20:21]
	s_waitcnt vmcnt(5) lgkmcnt(0)
	v_mul_f64 v[161:162], v[6:7], v[24:25]
	v_mul_f64 v[24:25], v[8:9], v[24:25]
	v_add_f64 v[16:17], v[12:13], v[10:11]
	v_add_f64 v[42:43], v[42:43], v[165:166]
	scratch_load_b128 v[10:13], off, off offset:384
	v_fma_f64 v[44:45], v[4:5], v[18:19], v[44:45]
	v_fma_f64 v[18:19], v[2:3], v[18:19], -v[20:21]
	ds_load_b128 v[2:5], v1 offset:1072
	v_add_f64 v[14:15], v[16:17], v[14:15]
	v_add_f64 v[16:17], v[42:43], v[159:160]
	v_fma_f64 v[42:43], v[8:9], v[22:23], v[161:162]
	v_fma_f64 v[22:23], v[6:7], v[22:23], -v[24:25]
	ds_load_b128 v[6:9], v1 offset:1088
	s_waitcnt vmcnt(5) lgkmcnt(1)
	v_mul_f64 v[20:21], v[2:3], v[28:29]
	v_mul_f64 v[28:29], v[4:5], v[28:29]
	s_waitcnt vmcnt(4) lgkmcnt(0)
	v_mul_f64 v[24:25], v[8:9], v[32:33]
	v_add_f64 v[14:15], v[14:15], v[18:19]
	v_add_f64 v[16:17], v[16:17], v[44:45]
	v_mul_f64 v[18:19], v[6:7], v[32:33]
	v_fma_f64 v[20:21], v[4:5], v[26:27], v[20:21]
	v_fma_f64 v[26:27], v[2:3], v[26:27], -v[28:29]
	ds_load_b128 v[2:5], v1 offset:1104
	v_fma_f64 v[24:25], v[6:7], v[30:31], -v[24:25]
	v_add_f64 v[14:15], v[14:15], v[22:23]
	v_add_f64 v[16:17], v[16:17], v[42:43]
	v_fma_f64 v[18:19], v[8:9], v[30:31], v[18:19]
	ds_load_b128 v[6:9], v1 offset:1120
	s_waitcnt vmcnt(3) lgkmcnt(1)
	v_mul_f64 v[22:23], v[2:3], v[40:41]
	v_mul_f64 v[28:29], v[4:5], v[40:41]
	v_add_f64 v[14:15], v[14:15], v[26:27]
	v_add_f64 v[16:17], v[16:17], v[20:21]
	s_waitcnt vmcnt(2) lgkmcnt(0)
	v_mul_f64 v[20:21], v[6:7], v[157:158]
	v_mul_f64 v[26:27], v[8:9], v[157:158]
	v_fma_f64 v[22:23], v[4:5], v[38:39], v[22:23]
	v_fma_f64 v[28:29], v[2:3], v[38:39], -v[28:29]
	ds_load_b128 v[2:5], v1 offset:1136
	v_add_f64 v[14:15], v[14:15], v[24:25]
	v_add_f64 v[16:17], v[16:17], v[18:19]
	v_fma_f64 v[8:9], v[8:9], v[155:156], v[20:21]
	v_fma_f64 v[6:7], v[6:7], v[155:156], -v[26:27]
	s_waitcnt vmcnt(1) lgkmcnt(0)
	v_mul_f64 v[18:19], v[2:3], v[36:37]
	v_mul_f64 v[24:25], v[4:5], v[36:37]
	v_add_f64 v[14:15], v[14:15], v[28:29]
	v_add_f64 v[16:17], v[16:17], v[22:23]
	s_delay_alu instid0(VALU_DEP_4) | instskip(NEXT) | instid1(VALU_DEP_4)
	v_fma_f64 v[4:5], v[4:5], v[34:35], v[18:19]
	v_fma_f64 v[2:3], v[2:3], v[34:35], -v[24:25]
	s_delay_alu instid0(VALU_DEP_4) | instskip(NEXT) | instid1(VALU_DEP_4)
	v_add_f64 v[6:7], v[14:15], v[6:7]
	v_add_f64 v[8:9], v[16:17], v[8:9]
	s_delay_alu instid0(VALU_DEP_2) | instskip(NEXT) | instid1(VALU_DEP_2)
	v_add_f64 v[2:3], v[6:7], v[2:3]
	v_add_f64 v[4:5], v[8:9], v[4:5]
	s_waitcnt vmcnt(0)
	s_delay_alu instid0(VALU_DEP_2) | instskip(NEXT) | instid1(VALU_DEP_2)
	v_add_f64 v[2:3], v[10:11], -v[2:3]
	v_add_f64 v[4:5], v[12:13], -v[4:5]
	scratch_store_b128 off, v[2:5], off offset:384
	v_cmpx_lt_u32_e32 23, v118
	s_cbranch_execz .LBB35_183
; %bb.182:
	scratch_load_b128 v[5:8], v150, off
	v_mov_b32_e32 v2, v1
	v_mov_b32_e32 v3, v1
	;; [unrolled: 1-line block ×3, first 2 shown]
	scratch_store_b128 off, v[1:4], off offset:368
	s_waitcnt vmcnt(0)
	ds_store_b128 v154, v[5:8]
.LBB35_183:
	s_or_b32 exec_lo, exec_lo, s2
	s_waitcnt lgkmcnt(0)
	s_waitcnt_vscnt null, 0x0
	s_barrier
	buffer_gl0_inv
	s_clause 0x8
	scratch_load_b128 v[2:5], off, off offset:384
	scratch_load_b128 v[6:9], off, off offset:400
	;; [unrolled: 1-line block ×9, first 2 shown]
	ds_load_b128 v[38:41], v1 offset:960
	ds_load_b128 v[42:45], v1 offset:976
	s_clause 0x1
	scratch_load_b128 v[155:158], off, off offset:368
	scratch_load_b128 v[159:162], off, off offset:528
	s_mov_b32 s2, exec_lo
	s_waitcnt vmcnt(10) lgkmcnt(1)
	v_mul_f64 v[163:164], v[40:41], v[4:5]
	v_mul_f64 v[4:5], v[38:39], v[4:5]
	s_waitcnt vmcnt(9) lgkmcnt(0)
	v_mul_f64 v[167:168], v[42:43], v[8:9]
	v_mul_f64 v[8:9], v[44:45], v[8:9]
	s_delay_alu instid0(VALU_DEP_4) | instskip(NEXT) | instid1(VALU_DEP_4)
	v_fma_f64 v[169:170], v[38:39], v[2:3], -v[163:164]
	v_fma_f64 v[171:172], v[40:41], v[2:3], v[4:5]
	ds_load_b128 v[2:5], v1 offset:992
	ds_load_b128 v[163:166], v1 offset:1008
	scratch_load_b128 v[38:41], off, off offset:544
	v_fma_f64 v[44:45], v[44:45], v[6:7], v[167:168]
	v_fma_f64 v[42:43], v[42:43], v[6:7], -v[8:9]
	scratch_load_b128 v[6:9], off, off offset:560
	s_waitcnt vmcnt(10) lgkmcnt(1)
	v_mul_f64 v[173:174], v[2:3], v[12:13]
	v_mul_f64 v[12:13], v[4:5], v[12:13]
	v_add_f64 v[167:168], v[169:170], 0
	v_add_f64 v[169:170], v[171:172], 0
	s_waitcnt vmcnt(9) lgkmcnt(0)
	v_mul_f64 v[171:172], v[163:164], v[16:17]
	v_mul_f64 v[16:17], v[165:166], v[16:17]
	v_fma_f64 v[173:174], v[4:5], v[10:11], v[173:174]
	v_fma_f64 v[175:176], v[2:3], v[10:11], -v[12:13]
	ds_load_b128 v[2:5], v1 offset:1024
	ds_load_b128 v[10:13], v1 offset:1040
	v_add_f64 v[42:43], v[167:168], v[42:43]
	v_add_f64 v[44:45], v[169:170], v[44:45]
	v_fma_f64 v[165:166], v[165:166], v[14:15], v[171:172]
	v_fma_f64 v[14:15], v[163:164], v[14:15], -v[16:17]
	s_waitcnt vmcnt(8) lgkmcnt(1)
	v_mul_f64 v[167:168], v[2:3], v[20:21]
	v_mul_f64 v[20:21], v[4:5], v[20:21]
	v_add_f64 v[16:17], v[42:43], v[175:176]
	v_add_f64 v[42:43], v[44:45], v[173:174]
	s_waitcnt vmcnt(7) lgkmcnt(0)
	v_mul_f64 v[44:45], v[10:11], v[24:25]
	v_mul_f64 v[24:25], v[12:13], v[24:25]
	v_fma_f64 v[163:164], v[4:5], v[18:19], v[167:168]
	v_fma_f64 v[18:19], v[2:3], v[18:19], -v[20:21]
	v_add_f64 v[20:21], v[16:17], v[14:15]
	v_add_f64 v[42:43], v[42:43], v[165:166]
	ds_load_b128 v[2:5], v1 offset:1056
	ds_load_b128 v[14:17], v1 offset:1072
	v_fma_f64 v[12:13], v[12:13], v[22:23], v[44:45]
	v_fma_f64 v[10:11], v[10:11], v[22:23], -v[24:25]
	s_waitcnt vmcnt(6) lgkmcnt(1)
	v_mul_f64 v[165:166], v[2:3], v[28:29]
	v_mul_f64 v[28:29], v[4:5], v[28:29]
	s_waitcnt vmcnt(5) lgkmcnt(0)
	v_mul_f64 v[22:23], v[14:15], v[32:33]
	v_mul_f64 v[24:25], v[16:17], v[32:33]
	v_add_f64 v[18:19], v[20:21], v[18:19]
	v_add_f64 v[20:21], v[42:43], v[163:164]
	v_fma_f64 v[32:33], v[4:5], v[26:27], v[165:166]
	v_fma_f64 v[26:27], v[2:3], v[26:27], -v[28:29]
	v_fma_f64 v[16:17], v[16:17], v[30:31], v[22:23]
	v_fma_f64 v[14:15], v[14:15], v[30:31], -v[24:25]
	v_add_f64 v[18:19], v[18:19], v[10:11]
	v_add_f64 v[20:21], v[20:21], v[12:13]
	ds_load_b128 v[2:5], v1 offset:1088
	ds_load_b128 v[10:13], v1 offset:1104
	s_waitcnt vmcnt(4) lgkmcnt(1)
	v_mul_f64 v[28:29], v[2:3], v[36:37]
	v_mul_f64 v[36:37], v[4:5], v[36:37]
	s_waitcnt vmcnt(2) lgkmcnt(0)
	v_mul_f64 v[22:23], v[10:11], v[161:162]
	v_mul_f64 v[24:25], v[12:13], v[161:162]
	v_add_f64 v[18:19], v[18:19], v[26:27]
	v_add_f64 v[20:21], v[20:21], v[32:33]
	v_fma_f64 v[26:27], v[4:5], v[34:35], v[28:29]
	v_fma_f64 v[28:29], v[2:3], v[34:35], -v[36:37]
	v_fma_f64 v[12:13], v[12:13], v[159:160], v[22:23]
	v_fma_f64 v[10:11], v[10:11], v[159:160], -v[24:25]
	v_add_f64 v[18:19], v[18:19], v[14:15]
	v_add_f64 v[20:21], v[20:21], v[16:17]
	ds_load_b128 v[2:5], v1 offset:1120
	ds_load_b128 v[14:17], v1 offset:1136
	s_waitcnt vmcnt(1) lgkmcnt(1)
	v_mul_f64 v[30:31], v[2:3], v[40:41]
	v_mul_f64 v[32:33], v[4:5], v[40:41]
	s_waitcnt vmcnt(0) lgkmcnt(0)
	v_mul_f64 v[22:23], v[14:15], v[8:9]
	v_mul_f64 v[8:9], v[16:17], v[8:9]
	v_add_f64 v[18:19], v[18:19], v[28:29]
	v_add_f64 v[20:21], v[20:21], v[26:27]
	v_fma_f64 v[4:5], v[4:5], v[38:39], v[30:31]
	v_fma_f64 v[1:2], v[2:3], v[38:39], -v[32:33]
	v_fma_f64 v[16:17], v[16:17], v[6:7], v[22:23]
	v_fma_f64 v[6:7], v[14:15], v[6:7], -v[8:9]
	v_add_f64 v[10:11], v[18:19], v[10:11]
	v_add_f64 v[12:13], v[20:21], v[12:13]
	s_delay_alu instid0(VALU_DEP_2) | instskip(NEXT) | instid1(VALU_DEP_2)
	v_add_f64 v[1:2], v[10:11], v[1:2]
	v_add_f64 v[3:4], v[12:13], v[4:5]
	s_delay_alu instid0(VALU_DEP_2) | instskip(NEXT) | instid1(VALU_DEP_2)
	;; [unrolled: 3-line block ×3, first 2 shown]
	v_add_f64 v[1:2], v[155:156], -v[1:2]
	v_add_f64 v[3:4], v[157:158], -v[3:4]
	scratch_store_b128 off, v[1:4], off offset:368
	v_cmpx_lt_u32_e32 22, v118
	s_cbranch_execz .LBB35_185
; %bb.184:
	scratch_load_b128 v[1:4], v151, off
	v_mov_b32_e32 v5, 0
	s_delay_alu instid0(VALU_DEP_1)
	v_mov_b32_e32 v6, v5
	v_mov_b32_e32 v7, v5
	;; [unrolled: 1-line block ×3, first 2 shown]
	scratch_store_b128 off, v[5:8], off offset:352
	s_waitcnt vmcnt(0)
	ds_store_b128 v154, v[1:4]
.LBB35_185:
	s_or_b32 exec_lo, exec_lo, s2
	s_waitcnt lgkmcnt(0)
	s_waitcnt_vscnt null, 0x0
	s_barrier
	buffer_gl0_inv
	s_clause 0x7
	scratch_load_b128 v[2:5], off, off offset:368
	scratch_load_b128 v[6:9], off, off offset:384
	;; [unrolled: 1-line block ×8, first 2 shown]
	v_mov_b32_e32 v1, 0
	s_mov_b32 s2, exec_lo
	ds_load_b128 v[34:37], v1 offset:944
	s_clause 0x1
	scratch_load_b128 v[38:41], off, off offset:496
	scratch_load_b128 v[42:45], off, off offset:352
	ds_load_b128 v[155:158], v1 offset:960
	scratch_load_b128 v[159:162], off, off offset:512
	s_waitcnt vmcnt(10) lgkmcnt(1)
	v_mul_f64 v[163:164], v[36:37], v[4:5]
	v_mul_f64 v[4:5], v[34:35], v[4:5]
	s_delay_alu instid0(VALU_DEP_2) | instskip(NEXT) | instid1(VALU_DEP_2)
	v_fma_f64 v[169:170], v[34:35], v[2:3], -v[163:164]
	v_fma_f64 v[171:172], v[36:37], v[2:3], v[4:5]
	scratch_load_b128 v[34:37], off, off offset:528
	ds_load_b128 v[2:5], v1 offset:976
	s_waitcnt vmcnt(10) lgkmcnt(1)
	v_mul_f64 v[167:168], v[155:156], v[8:9]
	v_mul_f64 v[8:9], v[157:158], v[8:9]
	ds_load_b128 v[163:166], v1 offset:992
	s_waitcnt vmcnt(9) lgkmcnt(1)
	v_mul_f64 v[173:174], v[2:3], v[12:13]
	v_mul_f64 v[12:13], v[4:5], v[12:13]
	v_fma_f64 v[157:158], v[157:158], v[6:7], v[167:168]
	v_fma_f64 v[155:156], v[155:156], v[6:7], -v[8:9]
	v_add_f64 v[167:168], v[169:170], 0
	v_add_f64 v[169:170], v[171:172], 0
	scratch_load_b128 v[6:9], off, off offset:544
	v_fma_f64 v[173:174], v[4:5], v[10:11], v[173:174]
	v_fma_f64 v[175:176], v[2:3], v[10:11], -v[12:13]
	scratch_load_b128 v[10:13], off, off offset:560
	ds_load_b128 v[2:5], v1 offset:1008
	s_waitcnt vmcnt(10) lgkmcnt(1)
	v_mul_f64 v[171:172], v[163:164], v[16:17]
	v_mul_f64 v[16:17], v[165:166], v[16:17]
	v_add_f64 v[167:168], v[167:168], v[155:156]
	v_add_f64 v[169:170], v[169:170], v[157:158]
	s_waitcnt vmcnt(9) lgkmcnt(0)
	v_mul_f64 v[177:178], v[2:3], v[20:21]
	v_mul_f64 v[20:21], v[4:5], v[20:21]
	ds_load_b128 v[155:158], v1 offset:1024
	v_fma_f64 v[165:166], v[165:166], v[14:15], v[171:172]
	v_fma_f64 v[14:15], v[163:164], v[14:15], -v[16:17]
	v_add_f64 v[16:17], v[167:168], v[175:176]
	v_add_f64 v[163:164], v[169:170], v[173:174]
	s_waitcnt vmcnt(8) lgkmcnt(0)
	v_mul_f64 v[167:168], v[155:156], v[24:25]
	v_mul_f64 v[24:25], v[157:158], v[24:25]
	v_fma_f64 v[169:170], v[4:5], v[18:19], v[177:178]
	v_fma_f64 v[18:19], v[2:3], v[18:19], -v[20:21]
	v_add_f64 v[20:21], v[16:17], v[14:15]
	v_add_f64 v[163:164], v[163:164], v[165:166]
	ds_load_b128 v[2:5], v1 offset:1040
	ds_load_b128 v[14:17], v1 offset:1056
	v_fma_f64 v[157:158], v[157:158], v[22:23], v[167:168]
	v_fma_f64 v[22:23], v[155:156], v[22:23], -v[24:25]
	s_waitcnt vmcnt(7) lgkmcnt(1)
	v_mul_f64 v[165:166], v[2:3], v[28:29]
	v_mul_f64 v[28:29], v[4:5], v[28:29]
	s_waitcnt vmcnt(6) lgkmcnt(0)
	v_mul_f64 v[24:25], v[14:15], v[32:33]
	v_mul_f64 v[32:33], v[16:17], v[32:33]
	v_add_f64 v[18:19], v[20:21], v[18:19]
	v_add_f64 v[20:21], v[163:164], v[169:170]
	v_fma_f64 v[155:156], v[4:5], v[26:27], v[165:166]
	v_fma_f64 v[26:27], v[2:3], v[26:27], -v[28:29]
	v_fma_f64 v[16:17], v[16:17], v[30:31], v[24:25]
	v_fma_f64 v[14:15], v[14:15], v[30:31], -v[32:33]
	v_add_f64 v[22:23], v[18:19], v[22:23]
	v_add_f64 v[28:29], v[20:21], v[157:158]
	ds_load_b128 v[2:5], v1 offset:1072
	ds_load_b128 v[18:21], v1 offset:1088
	s_waitcnt vmcnt(5) lgkmcnt(1)
	v_mul_f64 v[157:158], v[2:3], v[40:41]
	v_mul_f64 v[40:41], v[4:5], v[40:41]
	v_add_f64 v[22:23], v[22:23], v[26:27]
	v_add_f64 v[24:25], v[28:29], v[155:156]
	s_waitcnt vmcnt(3) lgkmcnt(0)
	v_mul_f64 v[26:27], v[18:19], v[161:162]
	v_mul_f64 v[28:29], v[20:21], v[161:162]
	v_fma_f64 v[30:31], v[4:5], v[38:39], v[157:158]
	v_fma_f64 v[32:33], v[2:3], v[38:39], -v[40:41]
	v_add_f64 v[22:23], v[22:23], v[14:15]
	v_add_f64 v[24:25], v[24:25], v[16:17]
	ds_load_b128 v[2:5], v1 offset:1104
	ds_load_b128 v[14:17], v1 offset:1120
	v_fma_f64 v[20:21], v[20:21], v[159:160], v[26:27]
	v_fma_f64 v[18:19], v[18:19], v[159:160], -v[28:29]
	s_waitcnt vmcnt(2) lgkmcnt(1)
	v_mul_f64 v[38:39], v[2:3], v[36:37]
	v_mul_f64 v[36:37], v[4:5], v[36:37]
	v_add_f64 v[22:23], v[22:23], v[32:33]
	v_add_f64 v[24:25], v[24:25], v[30:31]
	s_waitcnt vmcnt(1) lgkmcnt(0)
	v_mul_f64 v[26:27], v[14:15], v[8:9]
	v_mul_f64 v[8:9], v[16:17], v[8:9]
	v_fma_f64 v[28:29], v[4:5], v[34:35], v[38:39]
	v_fma_f64 v[30:31], v[2:3], v[34:35], -v[36:37]
	ds_load_b128 v[2:5], v1 offset:1136
	v_add_f64 v[18:19], v[22:23], v[18:19]
	v_add_f64 v[20:21], v[24:25], v[20:21]
	s_waitcnt vmcnt(0) lgkmcnt(0)
	v_mul_f64 v[22:23], v[2:3], v[12:13]
	v_mul_f64 v[12:13], v[4:5], v[12:13]
	v_fma_f64 v[16:17], v[16:17], v[6:7], v[26:27]
	v_fma_f64 v[6:7], v[14:15], v[6:7], -v[8:9]
	v_add_f64 v[8:9], v[18:19], v[30:31]
	v_add_f64 v[14:15], v[20:21], v[28:29]
	v_fma_f64 v[4:5], v[4:5], v[10:11], v[22:23]
	v_fma_f64 v[2:3], v[2:3], v[10:11], -v[12:13]
	s_delay_alu instid0(VALU_DEP_4) | instskip(NEXT) | instid1(VALU_DEP_4)
	v_add_f64 v[6:7], v[8:9], v[6:7]
	v_add_f64 v[8:9], v[14:15], v[16:17]
	s_delay_alu instid0(VALU_DEP_2) | instskip(NEXT) | instid1(VALU_DEP_2)
	v_add_f64 v[2:3], v[6:7], v[2:3]
	v_add_f64 v[4:5], v[8:9], v[4:5]
	s_delay_alu instid0(VALU_DEP_2) | instskip(NEXT) | instid1(VALU_DEP_2)
	v_add_f64 v[2:3], v[42:43], -v[2:3]
	v_add_f64 v[4:5], v[44:45], -v[4:5]
	scratch_store_b128 off, v[2:5], off offset:352
	v_cmpx_lt_u32_e32 21, v118
	s_cbranch_execz .LBB35_187
; %bb.186:
	scratch_load_b128 v[5:8], v152, off
	v_mov_b32_e32 v2, v1
	v_mov_b32_e32 v3, v1
	;; [unrolled: 1-line block ×3, first 2 shown]
	scratch_store_b128 off, v[1:4], off offset:336
	s_waitcnt vmcnt(0)
	ds_store_b128 v154, v[5:8]
.LBB35_187:
	s_or_b32 exec_lo, exec_lo, s2
	s_waitcnt lgkmcnt(0)
	s_waitcnt_vscnt null, 0x0
	s_barrier
	buffer_gl0_inv
	s_clause 0x8
	scratch_load_b128 v[2:5], off, off offset:352
	scratch_load_b128 v[6:9], off, off offset:368
	;; [unrolled: 1-line block ×9, first 2 shown]
	ds_load_b128 v[38:41], v1 offset:928
	ds_load_b128 v[42:45], v1 offset:944
	s_clause 0x1
	scratch_load_b128 v[155:158], off, off offset:336
	scratch_load_b128 v[159:162], off, off offset:496
	s_mov_b32 s2, exec_lo
	s_waitcnt vmcnt(10) lgkmcnt(1)
	v_mul_f64 v[163:164], v[40:41], v[4:5]
	v_mul_f64 v[4:5], v[38:39], v[4:5]
	s_waitcnt vmcnt(9) lgkmcnt(0)
	v_mul_f64 v[167:168], v[42:43], v[8:9]
	v_mul_f64 v[8:9], v[44:45], v[8:9]
	s_delay_alu instid0(VALU_DEP_4) | instskip(NEXT) | instid1(VALU_DEP_4)
	v_fma_f64 v[169:170], v[38:39], v[2:3], -v[163:164]
	v_fma_f64 v[171:172], v[40:41], v[2:3], v[4:5]
	ds_load_b128 v[2:5], v1 offset:960
	ds_load_b128 v[163:166], v1 offset:976
	scratch_load_b128 v[38:41], off, off offset:512
	v_fma_f64 v[44:45], v[44:45], v[6:7], v[167:168]
	v_fma_f64 v[42:43], v[42:43], v[6:7], -v[8:9]
	scratch_load_b128 v[6:9], off, off offset:528
	s_waitcnt vmcnt(10) lgkmcnt(1)
	v_mul_f64 v[173:174], v[2:3], v[12:13]
	v_mul_f64 v[12:13], v[4:5], v[12:13]
	v_add_f64 v[167:168], v[169:170], 0
	v_add_f64 v[169:170], v[171:172], 0
	s_waitcnt vmcnt(9) lgkmcnt(0)
	v_mul_f64 v[171:172], v[163:164], v[16:17]
	v_mul_f64 v[16:17], v[165:166], v[16:17]
	v_fma_f64 v[173:174], v[4:5], v[10:11], v[173:174]
	v_fma_f64 v[175:176], v[2:3], v[10:11], -v[12:13]
	ds_load_b128 v[2:5], v1 offset:992
	scratch_load_b128 v[10:13], off, off offset:544
	v_add_f64 v[167:168], v[167:168], v[42:43]
	v_add_f64 v[169:170], v[169:170], v[44:45]
	ds_load_b128 v[42:45], v1 offset:1008
	v_fma_f64 v[165:166], v[165:166], v[14:15], v[171:172]
	v_fma_f64 v[163:164], v[163:164], v[14:15], -v[16:17]
	scratch_load_b128 v[14:17], off, off offset:560
	s_waitcnt vmcnt(10) lgkmcnt(1)
	v_mul_f64 v[177:178], v[2:3], v[20:21]
	v_mul_f64 v[20:21], v[4:5], v[20:21]
	s_waitcnt vmcnt(9) lgkmcnt(0)
	v_mul_f64 v[171:172], v[42:43], v[24:25]
	v_mul_f64 v[24:25], v[44:45], v[24:25]
	v_add_f64 v[167:168], v[167:168], v[175:176]
	v_add_f64 v[169:170], v[169:170], v[173:174]
	v_fma_f64 v[173:174], v[4:5], v[18:19], v[177:178]
	v_fma_f64 v[175:176], v[2:3], v[18:19], -v[20:21]
	ds_load_b128 v[2:5], v1 offset:1024
	ds_load_b128 v[18:21], v1 offset:1040
	v_fma_f64 v[44:45], v[44:45], v[22:23], v[171:172]
	v_fma_f64 v[22:23], v[42:43], v[22:23], -v[24:25]
	v_add_f64 v[163:164], v[167:168], v[163:164]
	v_add_f64 v[165:166], v[169:170], v[165:166]
	s_waitcnt vmcnt(8) lgkmcnt(1)
	v_mul_f64 v[167:168], v[2:3], v[28:29]
	v_mul_f64 v[28:29], v[4:5], v[28:29]
	s_delay_alu instid0(VALU_DEP_4) | instskip(NEXT) | instid1(VALU_DEP_4)
	v_add_f64 v[24:25], v[163:164], v[175:176]
	v_add_f64 v[42:43], v[165:166], v[173:174]
	s_waitcnt vmcnt(7) lgkmcnt(0)
	v_mul_f64 v[163:164], v[18:19], v[32:33]
	v_mul_f64 v[32:33], v[20:21], v[32:33]
	v_fma_f64 v[165:166], v[4:5], v[26:27], v[167:168]
	v_fma_f64 v[26:27], v[2:3], v[26:27], -v[28:29]
	v_add_f64 v[28:29], v[24:25], v[22:23]
	v_add_f64 v[42:43], v[42:43], v[44:45]
	ds_load_b128 v[2:5], v1 offset:1056
	ds_load_b128 v[22:25], v1 offset:1072
	v_fma_f64 v[20:21], v[20:21], v[30:31], v[163:164]
	v_fma_f64 v[18:19], v[18:19], v[30:31], -v[32:33]
	s_waitcnt vmcnt(6) lgkmcnt(1)
	v_mul_f64 v[44:45], v[2:3], v[36:37]
	v_mul_f64 v[36:37], v[4:5], v[36:37]
	s_waitcnt vmcnt(4) lgkmcnt(0)
	v_mul_f64 v[30:31], v[22:23], v[161:162]
	v_mul_f64 v[32:33], v[24:25], v[161:162]
	v_add_f64 v[26:27], v[28:29], v[26:27]
	v_add_f64 v[28:29], v[42:43], v[165:166]
	v_fma_f64 v[42:43], v[4:5], v[34:35], v[44:45]
	v_fma_f64 v[34:35], v[2:3], v[34:35], -v[36:37]
	v_fma_f64 v[24:25], v[24:25], v[159:160], v[30:31]
	v_fma_f64 v[22:23], v[22:23], v[159:160], -v[32:33]
	v_add_f64 v[26:27], v[26:27], v[18:19]
	v_add_f64 v[28:29], v[28:29], v[20:21]
	ds_load_b128 v[2:5], v1 offset:1088
	ds_load_b128 v[18:21], v1 offset:1104
	s_waitcnt vmcnt(3) lgkmcnt(1)
	v_mul_f64 v[36:37], v[2:3], v[40:41]
	v_mul_f64 v[40:41], v[4:5], v[40:41]
	s_waitcnt vmcnt(2) lgkmcnt(0)
	v_mul_f64 v[30:31], v[18:19], v[8:9]
	v_mul_f64 v[8:9], v[20:21], v[8:9]
	v_add_f64 v[26:27], v[26:27], v[34:35]
	v_add_f64 v[28:29], v[28:29], v[42:43]
	v_fma_f64 v[32:33], v[4:5], v[38:39], v[36:37]
	v_fma_f64 v[34:35], v[2:3], v[38:39], -v[40:41]
	v_fma_f64 v[20:21], v[20:21], v[6:7], v[30:31]
	v_fma_f64 v[6:7], v[18:19], v[6:7], -v[8:9]
	v_add_f64 v[26:27], v[26:27], v[22:23]
	v_add_f64 v[28:29], v[28:29], v[24:25]
	ds_load_b128 v[2:5], v1 offset:1120
	ds_load_b128 v[22:25], v1 offset:1136
	s_waitcnt vmcnt(1) lgkmcnt(1)
	v_mul_f64 v[36:37], v[2:3], v[12:13]
	v_mul_f64 v[12:13], v[4:5], v[12:13]
	v_add_f64 v[8:9], v[26:27], v[34:35]
	v_add_f64 v[18:19], v[28:29], v[32:33]
	s_waitcnt vmcnt(0) lgkmcnt(0)
	v_mul_f64 v[26:27], v[22:23], v[16:17]
	v_mul_f64 v[16:17], v[24:25], v[16:17]
	v_fma_f64 v[4:5], v[4:5], v[10:11], v[36:37]
	v_fma_f64 v[1:2], v[2:3], v[10:11], -v[12:13]
	v_add_f64 v[6:7], v[8:9], v[6:7]
	v_add_f64 v[8:9], v[18:19], v[20:21]
	v_fma_f64 v[10:11], v[24:25], v[14:15], v[26:27]
	v_fma_f64 v[12:13], v[22:23], v[14:15], -v[16:17]
	s_delay_alu instid0(VALU_DEP_4) | instskip(NEXT) | instid1(VALU_DEP_4)
	v_add_f64 v[1:2], v[6:7], v[1:2]
	v_add_f64 v[3:4], v[8:9], v[4:5]
	s_delay_alu instid0(VALU_DEP_2) | instskip(NEXT) | instid1(VALU_DEP_2)
	v_add_f64 v[1:2], v[1:2], v[12:13]
	v_add_f64 v[3:4], v[3:4], v[10:11]
	s_delay_alu instid0(VALU_DEP_2) | instskip(NEXT) | instid1(VALU_DEP_2)
	v_add_f64 v[1:2], v[155:156], -v[1:2]
	v_add_f64 v[3:4], v[157:158], -v[3:4]
	scratch_store_b128 off, v[1:4], off offset:336
	v_cmpx_lt_u32_e32 20, v118
	s_cbranch_execz .LBB35_189
; %bb.188:
	scratch_load_b128 v[1:4], v153, off
	v_mov_b32_e32 v5, 0
	s_delay_alu instid0(VALU_DEP_1)
	v_mov_b32_e32 v6, v5
	v_mov_b32_e32 v7, v5
	;; [unrolled: 1-line block ×3, first 2 shown]
	scratch_store_b128 off, v[5:8], off offset:320
	s_waitcnt vmcnt(0)
	ds_store_b128 v154, v[1:4]
.LBB35_189:
	s_or_b32 exec_lo, exec_lo, s2
	s_waitcnt lgkmcnt(0)
	s_waitcnt_vscnt null, 0x0
	s_barrier
	buffer_gl0_inv
	s_clause 0x7
	scratch_load_b128 v[2:5], off, off offset:336
	scratch_load_b128 v[6:9], off, off offset:352
	;; [unrolled: 1-line block ×8, first 2 shown]
	v_mov_b32_e32 v1, 0
	s_mov_b32 s2, exec_lo
	ds_load_b128 v[34:37], v1 offset:912
	s_clause 0x1
	scratch_load_b128 v[38:41], off, off offset:464
	scratch_load_b128 v[42:45], off, off offset:320
	ds_load_b128 v[155:158], v1 offset:928
	scratch_load_b128 v[159:162], off, off offset:480
	s_waitcnt vmcnt(10) lgkmcnt(1)
	v_mul_f64 v[163:164], v[36:37], v[4:5]
	v_mul_f64 v[4:5], v[34:35], v[4:5]
	s_delay_alu instid0(VALU_DEP_2) | instskip(NEXT) | instid1(VALU_DEP_2)
	v_fma_f64 v[169:170], v[34:35], v[2:3], -v[163:164]
	v_fma_f64 v[171:172], v[36:37], v[2:3], v[4:5]
	scratch_load_b128 v[34:37], off, off offset:496
	ds_load_b128 v[2:5], v1 offset:944
	s_waitcnt vmcnt(10) lgkmcnt(1)
	v_mul_f64 v[167:168], v[155:156], v[8:9]
	v_mul_f64 v[8:9], v[157:158], v[8:9]
	ds_load_b128 v[163:166], v1 offset:960
	s_waitcnt vmcnt(9) lgkmcnt(1)
	v_mul_f64 v[173:174], v[2:3], v[12:13]
	v_mul_f64 v[12:13], v[4:5], v[12:13]
	v_fma_f64 v[157:158], v[157:158], v[6:7], v[167:168]
	v_fma_f64 v[155:156], v[155:156], v[6:7], -v[8:9]
	v_add_f64 v[167:168], v[169:170], 0
	v_add_f64 v[169:170], v[171:172], 0
	scratch_load_b128 v[6:9], off, off offset:512
	v_fma_f64 v[173:174], v[4:5], v[10:11], v[173:174]
	v_fma_f64 v[175:176], v[2:3], v[10:11], -v[12:13]
	scratch_load_b128 v[10:13], off, off offset:528
	ds_load_b128 v[2:5], v1 offset:976
	s_waitcnt vmcnt(10) lgkmcnt(1)
	v_mul_f64 v[171:172], v[163:164], v[16:17]
	v_mul_f64 v[16:17], v[165:166], v[16:17]
	v_add_f64 v[167:168], v[167:168], v[155:156]
	v_add_f64 v[169:170], v[169:170], v[157:158]
	s_waitcnt vmcnt(9) lgkmcnt(0)
	v_mul_f64 v[177:178], v[2:3], v[20:21]
	v_mul_f64 v[20:21], v[4:5], v[20:21]
	ds_load_b128 v[155:158], v1 offset:992
	v_fma_f64 v[165:166], v[165:166], v[14:15], v[171:172]
	v_fma_f64 v[163:164], v[163:164], v[14:15], -v[16:17]
	scratch_load_b128 v[14:17], off, off offset:544
	v_add_f64 v[167:168], v[167:168], v[175:176]
	v_add_f64 v[169:170], v[169:170], v[173:174]
	v_fma_f64 v[173:174], v[4:5], v[18:19], v[177:178]
	v_fma_f64 v[175:176], v[2:3], v[18:19], -v[20:21]
	scratch_load_b128 v[18:21], off, off offset:560
	ds_load_b128 v[2:5], v1 offset:1008
	s_waitcnt vmcnt(10) lgkmcnt(1)
	v_mul_f64 v[171:172], v[155:156], v[24:25]
	v_mul_f64 v[24:25], v[157:158], v[24:25]
	s_waitcnt vmcnt(9) lgkmcnt(0)
	v_mul_f64 v[177:178], v[2:3], v[28:29]
	v_mul_f64 v[28:29], v[4:5], v[28:29]
	v_add_f64 v[167:168], v[167:168], v[163:164]
	v_add_f64 v[169:170], v[169:170], v[165:166]
	ds_load_b128 v[163:166], v1 offset:1024
	v_fma_f64 v[157:158], v[157:158], v[22:23], v[171:172]
	v_fma_f64 v[22:23], v[155:156], v[22:23], -v[24:25]
	v_add_f64 v[24:25], v[167:168], v[175:176]
	v_add_f64 v[155:156], v[169:170], v[173:174]
	s_waitcnt vmcnt(8) lgkmcnt(0)
	v_mul_f64 v[167:168], v[163:164], v[32:33]
	v_mul_f64 v[32:33], v[165:166], v[32:33]
	v_fma_f64 v[169:170], v[4:5], v[26:27], v[177:178]
	v_fma_f64 v[26:27], v[2:3], v[26:27], -v[28:29]
	v_add_f64 v[28:29], v[24:25], v[22:23]
	v_add_f64 v[155:156], v[155:156], v[157:158]
	ds_load_b128 v[2:5], v1 offset:1040
	ds_load_b128 v[22:25], v1 offset:1056
	v_fma_f64 v[165:166], v[165:166], v[30:31], v[167:168]
	v_fma_f64 v[30:31], v[163:164], v[30:31], -v[32:33]
	s_waitcnt vmcnt(7) lgkmcnt(1)
	v_mul_f64 v[157:158], v[2:3], v[40:41]
	v_mul_f64 v[40:41], v[4:5], v[40:41]
	s_waitcnt vmcnt(5) lgkmcnt(0)
	v_mul_f64 v[32:33], v[22:23], v[161:162]
	v_add_f64 v[26:27], v[28:29], v[26:27]
	v_add_f64 v[28:29], v[155:156], v[169:170]
	v_mul_f64 v[155:156], v[24:25], v[161:162]
	v_fma_f64 v[157:158], v[4:5], v[38:39], v[157:158]
	v_fma_f64 v[38:39], v[2:3], v[38:39], -v[40:41]
	v_fma_f64 v[24:25], v[24:25], v[159:160], v[32:33]
	v_add_f64 v[30:31], v[26:27], v[30:31]
	v_add_f64 v[40:41], v[28:29], v[165:166]
	ds_load_b128 v[2:5], v1 offset:1072
	ds_load_b128 v[26:29], v1 offset:1088
	v_fma_f64 v[22:23], v[22:23], v[159:160], -v[155:156]
	s_waitcnt vmcnt(4) lgkmcnt(1)
	v_mul_f64 v[161:162], v[2:3], v[36:37]
	v_mul_f64 v[36:37], v[4:5], v[36:37]
	v_add_f64 v[30:31], v[30:31], v[38:39]
	v_add_f64 v[32:33], v[40:41], v[157:158]
	s_waitcnt vmcnt(3) lgkmcnt(0)
	v_mul_f64 v[38:39], v[26:27], v[8:9]
	v_mul_f64 v[8:9], v[28:29], v[8:9]
	v_fma_f64 v[40:41], v[4:5], v[34:35], v[161:162]
	v_fma_f64 v[34:35], v[2:3], v[34:35], -v[36:37]
	v_add_f64 v[30:31], v[30:31], v[22:23]
	v_add_f64 v[32:33], v[32:33], v[24:25]
	ds_load_b128 v[2:5], v1 offset:1104
	ds_load_b128 v[22:25], v1 offset:1120
	v_fma_f64 v[28:29], v[28:29], v[6:7], v[38:39]
	v_fma_f64 v[6:7], v[26:27], v[6:7], -v[8:9]
	s_waitcnt vmcnt(2) lgkmcnt(1)
	v_mul_f64 v[36:37], v[2:3], v[12:13]
	v_mul_f64 v[12:13], v[4:5], v[12:13]
	v_add_f64 v[8:9], v[30:31], v[34:35]
	v_add_f64 v[26:27], v[32:33], v[40:41]
	s_waitcnt vmcnt(1) lgkmcnt(0)
	v_mul_f64 v[30:31], v[22:23], v[16:17]
	v_mul_f64 v[16:17], v[24:25], v[16:17]
	v_fma_f64 v[32:33], v[4:5], v[10:11], v[36:37]
	v_fma_f64 v[10:11], v[2:3], v[10:11], -v[12:13]
	ds_load_b128 v[2:5], v1 offset:1136
	v_add_f64 v[6:7], v[8:9], v[6:7]
	v_add_f64 v[8:9], v[26:27], v[28:29]
	v_fma_f64 v[24:25], v[24:25], v[14:15], v[30:31]
	v_fma_f64 v[14:15], v[22:23], v[14:15], -v[16:17]
	s_waitcnt vmcnt(0) lgkmcnt(0)
	v_mul_f64 v[12:13], v[2:3], v[20:21]
	v_mul_f64 v[20:21], v[4:5], v[20:21]
	v_add_f64 v[6:7], v[6:7], v[10:11]
	v_add_f64 v[8:9], v[8:9], v[32:33]
	s_delay_alu instid0(VALU_DEP_4) | instskip(NEXT) | instid1(VALU_DEP_4)
	v_fma_f64 v[4:5], v[4:5], v[18:19], v[12:13]
	v_fma_f64 v[2:3], v[2:3], v[18:19], -v[20:21]
	s_delay_alu instid0(VALU_DEP_4) | instskip(NEXT) | instid1(VALU_DEP_4)
	v_add_f64 v[6:7], v[6:7], v[14:15]
	v_add_f64 v[8:9], v[8:9], v[24:25]
	s_delay_alu instid0(VALU_DEP_2) | instskip(NEXT) | instid1(VALU_DEP_2)
	v_add_f64 v[2:3], v[6:7], v[2:3]
	v_add_f64 v[4:5], v[8:9], v[4:5]
	s_delay_alu instid0(VALU_DEP_2) | instskip(NEXT) | instid1(VALU_DEP_2)
	v_add_f64 v[2:3], v[42:43], -v[2:3]
	v_add_f64 v[4:5], v[44:45], -v[4:5]
	scratch_store_b128 off, v[2:5], off offset:320
	v_cmpx_lt_u32_e32 19, v118
	s_cbranch_execz .LBB35_191
; %bb.190:
	scratch_load_b128 v[5:8], v126, off
	v_mov_b32_e32 v2, v1
	v_mov_b32_e32 v3, v1
	;; [unrolled: 1-line block ×3, first 2 shown]
	scratch_store_b128 off, v[1:4], off offset:304
	s_waitcnt vmcnt(0)
	ds_store_b128 v154, v[5:8]
.LBB35_191:
	s_or_b32 exec_lo, exec_lo, s2
	s_waitcnt lgkmcnt(0)
	s_waitcnt_vscnt null, 0x0
	s_barrier
	buffer_gl0_inv
	s_clause 0x8
	scratch_load_b128 v[2:5], off, off offset:320
	scratch_load_b128 v[6:9], off, off offset:336
	;; [unrolled: 1-line block ×9, first 2 shown]
	ds_load_b128 v[38:41], v1 offset:896
	ds_load_b128 v[42:45], v1 offset:912
	s_clause 0x1
	scratch_load_b128 v[155:158], off, off offset:304
	scratch_load_b128 v[159:162], off, off offset:464
	s_mov_b32 s2, exec_lo
	s_waitcnt vmcnt(10) lgkmcnt(1)
	v_mul_f64 v[163:164], v[40:41], v[4:5]
	v_mul_f64 v[4:5], v[38:39], v[4:5]
	s_waitcnt vmcnt(9) lgkmcnt(0)
	v_mul_f64 v[167:168], v[42:43], v[8:9]
	v_mul_f64 v[8:9], v[44:45], v[8:9]
	s_delay_alu instid0(VALU_DEP_4) | instskip(NEXT) | instid1(VALU_DEP_4)
	v_fma_f64 v[169:170], v[38:39], v[2:3], -v[163:164]
	v_fma_f64 v[171:172], v[40:41], v[2:3], v[4:5]
	ds_load_b128 v[2:5], v1 offset:928
	ds_load_b128 v[163:166], v1 offset:944
	scratch_load_b128 v[38:41], off, off offset:480
	v_fma_f64 v[44:45], v[44:45], v[6:7], v[167:168]
	v_fma_f64 v[42:43], v[42:43], v[6:7], -v[8:9]
	scratch_load_b128 v[6:9], off, off offset:496
	s_waitcnt vmcnt(10) lgkmcnt(1)
	v_mul_f64 v[173:174], v[2:3], v[12:13]
	v_mul_f64 v[12:13], v[4:5], v[12:13]
	v_add_f64 v[167:168], v[169:170], 0
	v_add_f64 v[169:170], v[171:172], 0
	s_waitcnt vmcnt(9) lgkmcnt(0)
	v_mul_f64 v[171:172], v[163:164], v[16:17]
	v_mul_f64 v[16:17], v[165:166], v[16:17]
	v_fma_f64 v[173:174], v[4:5], v[10:11], v[173:174]
	v_fma_f64 v[175:176], v[2:3], v[10:11], -v[12:13]
	ds_load_b128 v[2:5], v1 offset:960
	scratch_load_b128 v[10:13], off, off offset:512
	v_add_f64 v[167:168], v[167:168], v[42:43]
	v_add_f64 v[169:170], v[169:170], v[44:45]
	ds_load_b128 v[42:45], v1 offset:976
	v_fma_f64 v[165:166], v[165:166], v[14:15], v[171:172]
	v_fma_f64 v[163:164], v[163:164], v[14:15], -v[16:17]
	scratch_load_b128 v[14:17], off, off offset:528
	s_waitcnt vmcnt(10) lgkmcnt(1)
	v_mul_f64 v[177:178], v[2:3], v[20:21]
	v_mul_f64 v[20:21], v[4:5], v[20:21]
	s_waitcnt vmcnt(9) lgkmcnt(0)
	v_mul_f64 v[171:172], v[42:43], v[24:25]
	v_mul_f64 v[24:25], v[44:45], v[24:25]
	v_add_f64 v[167:168], v[167:168], v[175:176]
	v_add_f64 v[169:170], v[169:170], v[173:174]
	v_fma_f64 v[173:174], v[4:5], v[18:19], v[177:178]
	v_fma_f64 v[175:176], v[2:3], v[18:19], -v[20:21]
	ds_load_b128 v[2:5], v1 offset:992
	scratch_load_b128 v[18:21], off, off offset:544
	v_fma_f64 v[44:45], v[44:45], v[22:23], v[171:172]
	v_fma_f64 v[42:43], v[42:43], v[22:23], -v[24:25]
	scratch_load_b128 v[22:25], off, off offset:560
	v_add_f64 v[167:168], v[167:168], v[163:164]
	v_add_f64 v[169:170], v[169:170], v[165:166]
	ds_load_b128 v[163:166], v1 offset:1008
	s_waitcnt vmcnt(10) lgkmcnt(1)
	v_mul_f64 v[177:178], v[2:3], v[28:29]
	v_mul_f64 v[28:29], v[4:5], v[28:29]
	s_waitcnt vmcnt(9) lgkmcnt(0)
	v_mul_f64 v[171:172], v[163:164], v[32:33]
	v_mul_f64 v[32:33], v[165:166], v[32:33]
	v_add_f64 v[167:168], v[167:168], v[175:176]
	v_add_f64 v[169:170], v[169:170], v[173:174]
	v_fma_f64 v[173:174], v[4:5], v[26:27], v[177:178]
	v_fma_f64 v[175:176], v[2:3], v[26:27], -v[28:29]
	ds_load_b128 v[2:5], v1 offset:1024
	ds_load_b128 v[26:29], v1 offset:1040
	v_fma_f64 v[165:166], v[165:166], v[30:31], v[171:172]
	v_fma_f64 v[30:31], v[163:164], v[30:31], -v[32:33]
	v_add_f64 v[42:43], v[167:168], v[42:43]
	v_add_f64 v[44:45], v[169:170], v[44:45]
	s_waitcnt vmcnt(8) lgkmcnt(1)
	v_mul_f64 v[167:168], v[2:3], v[36:37]
	v_mul_f64 v[36:37], v[4:5], v[36:37]
	s_delay_alu instid0(VALU_DEP_4) | instskip(NEXT) | instid1(VALU_DEP_4)
	v_add_f64 v[32:33], v[42:43], v[175:176]
	v_add_f64 v[42:43], v[44:45], v[173:174]
	s_waitcnt vmcnt(6) lgkmcnt(0)
	v_mul_f64 v[44:45], v[26:27], v[161:162]
	v_mul_f64 v[161:162], v[28:29], v[161:162]
	v_fma_f64 v[163:164], v[4:5], v[34:35], v[167:168]
	v_fma_f64 v[34:35], v[2:3], v[34:35], -v[36:37]
	v_add_f64 v[36:37], v[32:33], v[30:31]
	v_add_f64 v[42:43], v[42:43], v[165:166]
	ds_load_b128 v[2:5], v1 offset:1056
	ds_load_b128 v[30:33], v1 offset:1072
	v_fma_f64 v[28:29], v[28:29], v[159:160], v[44:45]
	v_fma_f64 v[26:27], v[26:27], v[159:160], -v[161:162]
	s_waitcnt vmcnt(5) lgkmcnt(1)
	v_mul_f64 v[165:166], v[2:3], v[40:41]
	v_mul_f64 v[40:41], v[4:5], v[40:41]
	v_add_f64 v[34:35], v[36:37], v[34:35]
	v_add_f64 v[36:37], v[42:43], v[163:164]
	s_waitcnt vmcnt(4) lgkmcnt(0)
	v_mul_f64 v[42:43], v[30:31], v[8:9]
	v_mul_f64 v[8:9], v[32:33], v[8:9]
	v_fma_f64 v[44:45], v[4:5], v[38:39], v[165:166]
	v_fma_f64 v[38:39], v[2:3], v[38:39], -v[40:41]
	v_add_f64 v[34:35], v[34:35], v[26:27]
	v_add_f64 v[36:37], v[36:37], v[28:29]
	ds_load_b128 v[2:5], v1 offset:1088
	ds_load_b128 v[26:29], v1 offset:1104
	v_fma_f64 v[32:33], v[32:33], v[6:7], v[42:43]
	v_fma_f64 v[6:7], v[30:31], v[6:7], -v[8:9]
	s_waitcnt vmcnt(3) lgkmcnt(1)
	v_mul_f64 v[40:41], v[2:3], v[12:13]
	v_mul_f64 v[12:13], v[4:5], v[12:13]
	v_add_f64 v[8:9], v[34:35], v[38:39]
	v_add_f64 v[30:31], v[36:37], v[44:45]
	s_waitcnt vmcnt(2) lgkmcnt(0)
	v_mul_f64 v[34:35], v[26:27], v[16:17]
	v_mul_f64 v[16:17], v[28:29], v[16:17]
	v_fma_f64 v[36:37], v[4:5], v[10:11], v[40:41]
	v_fma_f64 v[10:11], v[2:3], v[10:11], -v[12:13]
	v_add_f64 v[12:13], v[8:9], v[6:7]
	v_add_f64 v[30:31], v[30:31], v[32:33]
	ds_load_b128 v[2:5], v1 offset:1120
	ds_load_b128 v[6:9], v1 offset:1136
	v_fma_f64 v[28:29], v[28:29], v[14:15], v[34:35]
	v_fma_f64 v[14:15], v[26:27], v[14:15], -v[16:17]
	s_waitcnt vmcnt(1) lgkmcnt(1)
	v_mul_f64 v[32:33], v[2:3], v[20:21]
	v_mul_f64 v[20:21], v[4:5], v[20:21]
	s_waitcnt vmcnt(0) lgkmcnt(0)
	v_mul_f64 v[16:17], v[6:7], v[24:25]
	v_mul_f64 v[24:25], v[8:9], v[24:25]
	v_add_f64 v[10:11], v[12:13], v[10:11]
	v_add_f64 v[12:13], v[30:31], v[36:37]
	v_fma_f64 v[4:5], v[4:5], v[18:19], v[32:33]
	v_fma_f64 v[1:2], v[2:3], v[18:19], -v[20:21]
	v_fma_f64 v[8:9], v[8:9], v[22:23], v[16:17]
	v_fma_f64 v[6:7], v[6:7], v[22:23], -v[24:25]
	v_add_f64 v[10:11], v[10:11], v[14:15]
	v_add_f64 v[12:13], v[12:13], v[28:29]
	s_delay_alu instid0(VALU_DEP_2) | instskip(NEXT) | instid1(VALU_DEP_2)
	v_add_f64 v[1:2], v[10:11], v[1:2]
	v_add_f64 v[3:4], v[12:13], v[4:5]
	s_delay_alu instid0(VALU_DEP_2) | instskip(NEXT) | instid1(VALU_DEP_2)
	;; [unrolled: 3-line block ×3, first 2 shown]
	v_add_f64 v[1:2], v[155:156], -v[1:2]
	v_add_f64 v[3:4], v[157:158], -v[3:4]
	scratch_store_b128 off, v[1:4], off offset:304
	v_cmpx_lt_u32_e32 18, v118
	s_cbranch_execz .LBB35_193
; %bb.192:
	scratch_load_b128 v[1:4], v125, off
	v_mov_b32_e32 v5, 0
	s_delay_alu instid0(VALU_DEP_1)
	v_mov_b32_e32 v6, v5
	v_mov_b32_e32 v7, v5
	;; [unrolled: 1-line block ×3, first 2 shown]
	scratch_store_b128 off, v[5:8], off offset:288
	s_waitcnt vmcnt(0)
	ds_store_b128 v154, v[1:4]
.LBB35_193:
	s_or_b32 exec_lo, exec_lo, s2
	s_waitcnt lgkmcnt(0)
	s_waitcnt_vscnt null, 0x0
	s_barrier
	buffer_gl0_inv
	s_clause 0x7
	scratch_load_b128 v[2:5], off, off offset:304
	scratch_load_b128 v[6:9], off, off offset:320
	;; [unrolled: 1-line block ×8, first 2 shown]
	v_mov_b32_e32 v1, 0
	s_mov_b32 s2, exec_lo
	ds_load_b128 v[34:37], v1 offset:880
	s_clause 0x1
	scratch_load_b128 v[38:41], off, off offset:432
	scratch_load_b128 v[42:45], off, off offset:288
	ds_load_b128 v[155:158], v1 offset:896
	scratch_load_b128 v[159:162], off, off offset:448
	s_waitcnt vmcnt(10) lgkmcnt(1)
	v_mul_f64 v[163:164], v[36:37], v[4:5]
	v_mul_f64 v[4:5], v[34:35], v[4:5]
	s_delay_alu instid0(VALU_DEP_2) | instskip(NEXT) | instid1(VALU_DEP_2)
	v_fma_f64 v[169:170], v[34:35], v[2:3], -v[163:164]
	v_fma_f64 v[171:172], v[36:37], v[2:3], v[4:5]
	scratch_load_b128 v[34:37], off, off offset:464
	ds_load_b128 v[2:5], v1 offset:912
	s_waitcnt vmcnt(10) lgkmcnt(1)
	v_mul_f64 v[167:168], v[155:156], v[8:9]
	v_mul_f64 v[8:9], v[157:158], v[8:9]
	ds_load_b128 v[163:166], v1 offset:928
	s_waitcnt vmcnt(9) lgkmcnt(1)
	v_mul_f64 v[173:174], v[2:3], v[12:13]
	v_mul_f64 v[12:13], v[4:5], v[12:13]
	v_fma_f64 v[157:158], v[157:158], v[6:7], v[167:168]
	v_fma_f64 v[155:156], v[155:156], v[6:7], -v[8:9]
	v_add_f64 v[167:168], v[169:170], 0
	v_add_f64 v[169:170], v[171:172], 0
	scratch_load_b128 v[6:9], off, off offset:480
	v_fma_f64 v[173:174], v[4:5], v[10:11], v[173:174]
	v_fma_f64 v[175:176], v[2:3], v[10:11], -v[12:13]
	scratch_load_b128 v[10:13], off, off offset:496
	ds_load_b128 v[2:5], v1 offset:944
	s_waitcnt vmcnt(10) lgkmcnt(1)
	v_mul_f64 v[171:172], v[163:164], v[16:17]
	v_mul_f64 v[16:17], v[165:166], v[16:17]
	v_add_f64 v[167:168], v[167:168], v[155:156]
	v_add_f64 v[169:170], v[169:170], v[157:158]
	s_waitcnt vmcnt(9) lgkmcnt(0)
	v_mul_f64 v[177:178], v[2:3], v[20:21]
	v_mul_f64 v[20:21], v[4:5], v[20:21]
	ds_load_b128 v[155:158], v1 offset:960
	v_fma_f64 v[165:166], v[165:166], v[14:15], v[171:172]
	v_fma_f64 v[163:164], v[163:164], v[14:15], -v[16:17]
	scratch_load_b128 v[14:17], off, off offset:512
	v_add_f64 v[167:168], v[167:168], v[175:176]
	v_add_f64 v[169:170], v[169:170], v[173:174]
	v_fma_f64 v[173:174], v[4:5], v[18:19], v[177:178]
	v_fma_f64 v[175:176], v[2:3], v[18:19], -v[20:21]
	scratch_load_b128 v[18:21], off, off offset:528
	ds_load_b128 v[2:5], v1 offset:976
	s_waitcnt vmcnt(10) lgkmcnt(1)
	v_mul_f64 v[171:172], v[155:156], v[24:25]
	v_mul_f64 v[24:25], v[157:158], v[24:25]
	s_waitcnt vmcnt(9) lgkmcnt(0)
	v_mul_f64 v[177:178], v[2:3], v[28:29]
	v_mul_f64 v[28:29], v[4:5], v[28:29]
	v_add_f64 v[167:168], v[167:168], v[163:164]
	v_add_f64 v[169:170], v[169:170], v[165:166]
	ds_load_b128 v[163:166], v1 offset:992
	v_fma_f64 v[157:158], v[157:158], v[22:23], v[171:172]
	v_fma_f64 v[155:156], v[155:156], v[22:23], -v[24:25]
	scratch_load_b128 v[22:25], off, off offset:544
	v_add_f64 v[167:168], v[167:168], v[175:176]
	v_add_f64 v[169:170], v[169:170], v[173:174]
	v_fma_f64 v[173:174], v[4:5], v[26:27], v[177:178]
	v_fma_f64 v[175:176], v[2:3], v[26:27], -v[28:29]
	scratch_load_b128 v[26:29], off, off offset:560
	ds_load_b128 v[2:5], v1 offset:1008
	s_waitcnt vmcnt(10) lgkmcnt(1)
	v_mul_f64 v[171:172], v[163:164], v[32:33]
	v_mul_f64 v[32:33], v[165:166], v[32:33]
	s_waitcnt vmcnt(9) lgkmcnt(0)
	v_mul_f64 v[177:178], v[2:3], v[40:41]
	v_mul_f64 v[40:41], v[4:5], v[40:41]
	v_add_f64 v[167:168], v[167:168], v[155:156]
	v_add_f64 v[169:170], v[169:170], v[157:158]
	ds_load_b128 v[155:158], v1 offset:1024
	v_fma_f64 v[165:166], v[165:166], v[30:31], v[171:172]
	v_fma_f64 v[30:31], v[163:164], v[30:31], -v[32:33]
	v_add_f64 v[32:33], v[167:168], v[175:176]
	v_add_f64 v[163:164], v[169:170], v[173:174]
	s_waitcnt vmcnt(7) lgkmcnt(0)
	v_mul_f64 v[167:168], v[155:156], v[161:162]
	v_mul_f64 v[161:162], v[157:158], v[161:162]
	v_fma_f64 v[169:170], v[4:5], v[38:39], v[177:178]
	v_fma_f64 v[38:39], v[2:3], v[38:39], -v[40:41]
	v_add_f64 v[40:41], v[32:33], v[30:31]
	v_add_f64 v[163:164], v[163:164], v[165:166]
	ds_load_b128 v[2:5], v1 offset:1040
	ds_load_b128 v[30:33], v1 offset:1056
	v_fma_f64 v[157:158], v[157:158], v[159:160], v[167:168]
	v_fma_f64 v[155:156], v[155:156], v[159:160], -v[161:162]
	s_waitcnt vmcnt(6) lgkmcnt(1)
	v_mul_f64 v[165:166], v[2:3], v[36:37]
	v_mul_f64 v[36:37], v[4:5], v[36:37]
	v_add_f64 v[38:39], v[40:41], v[38:39]
	v_add_f64 v[40:41], v[163:164], v[169:170]
	s_waitcnt vmcnt(5) lgkmcnt(0)
	v_mul_f64 v[159:160], v[30:31], v[8:9]
	v_mul_f64 v[8:9], v[32:33], v[8:9]
	v_fma_f64 v[161:162], v[4:5], v[34:35], v[165:166]
	v_fma_f64 v[163:164], v[2:3], v[34:35], -v[36:37]
	ds_load_b128 v[2:5], v1 offset:1072
	ds_load_b128 v[34:37], v1 offset:1088
	v_add_f64 v[38:39], v[38:39], v[155:156]
	v_add_f64 v[40:41], v[40:41], v[157:158]
	s_waitcnt vmcnt(4) lgkmcnt(1)
	v_mul_f64 v[155:156], v[2:3], v[12:13]
	v_mul_f64 v[12:13], v[4:5], v[12:13]
	v_fma_f64 v[32:33], v[32:33], v[6:7], v[159:160]
	v_fma_f64 v[6:7], v[30:31], v[6:7], -v[8:9]
	v_add_f64 v[8:9], v[38:39], v[163:164]
	v_add_f64 v[30:31], v[40:41], v[161:162]
	s_waitcnt vmcnt(3) lgkmcnt(0)
	v_mul_f64 v[38:39], v[34:35], v[16:17]
	v_mul_f64 v[16:17], v[36:37], v[16:17]
	v_fma_f64 v[40:41], v[4:5], v[10:11], v[155:156]
	v_fma_f64 v[10:11], v[2:3], v[10:11], -v[12:13]
	v_add_f64 v[12:13], v[8:9], v[6:7]
	v_add_f64 v[30:31], v[30:31], v[32:33]
	ds_load_b128 v[2:5], v1 offset:1104
	ds_load_b128 v[6:9], v1 offset:1120
	v_fma_f64 v[36:37], v[36:37], v[14:15], v[38:39]
	v_fma_f64 v[14:15], v[34:35], v[14:15], -v[16:17]
	s_waitcnt vmcnt(2) lgkmcnt(1)
	v_mul_f64 v[32:33], v[2:3], v[20:21]
	v_mul_f64 v[20:21], v[4:5], v[20:21]
	s_waitcnt vmcnt(1) lgkmcnt(0)
	v_mul_f64 v[16:17], v[6:7], v[24:25]
	v_mul_f64 v[24:25], v[8:9], v[24:25]
	v_add_f64 v[10:11], v[12:13], v[10:11]
	v_add_f64 v[12:13], v[30:31], v[40:41]
	v_fma_f64 v[30:31], v[4:5], v[18:19], v[32:33]
	v_fma_f64 v[18:19], v[2:3], v[18:19], -v[20:21]
	ds_load_b128 v[2:5], v1 offset:1136
	v_fma_f64 v[8:9], v[8:9], v[22:23], v[16:17]
	v_fma_f64 v[6:7], v[6:7], v[22:23], -v[24:25]
	v_add_f64 v[10:11], v[10:11], v[14:15]
	v_add_f64 v[12:13], v[12:13], v[36:37]
	s_waitcnt vmcnt(0) lgkmcnt(0)
	v_mul_f64 v[14:15], v[2:3], v[28:29]
	v_mul_f64 v[20:21], v[4:5], v[28:29]
	s_delay_alu instid0(VALU_DEP_4) | instskip(NEXT) | instid1(VALU_DEP_4)
	v_add_f64 v[10:11], v[10:11], v[18:19]
	v_add_f64 v[12:13], v[12:13], v[30:31]
	s_delay_alu instid0(VALU_DEP_4) | instskip(NEXT) | instid1(VALU_DEP_4)
	v_fma_f64 v[4:5], v[4:5], v[26:27], v[14:15]
	v_fma_f64 v[2:3], v[2:3], v[26:27], -v[20:21]
	s_delay_alu instid0(VALU_DEP_4) | instskip(NEXT) | instid1(VALU_DEP_4)
	v_add_f64 v[6:7], v[10:11], v[6:7]
	v_add_f64 v[8:9], v[12:13], v[8:9]
	s_delay_alu instid0(VALU_DEP_2) | instskip(NEXT) | instid1(VALU_DEP_2)
	v_add_f64 v[2:3], v[6:7], v[2:3]
	v_add_f64 v[4:5], v[8:9], v[4:5]
	s_delay_alu instid0(VALU_DEP_2) | instskip(NEXT) | instid1(VALU_DEP_2)
	v_add_f64 v[2:3], v[42:43], -v[2:3]
	v_add_f64 v[4:5], v[44:45], -v[4:5]
	scratch_store_b128 off, v[2:5], off offset:288
	v_cmpx_lt_u32_e32 17, v118
	s_cbranch_execz .LBB35_195
; %bb.194:
	scratch_load_b128 v[5:8], v127, off
	v_mov_b32_e32 v2, v1
	v_mov_b32_e32 v3, v1
	;; [unrolled: 1-line block ×3, first 2 shown]
	scratch_store_b128 off, v[1:4], off offset:272
	s_waitcnt vmcnt(0)
	ds_store_b128 v154, v[5:8]
.LBB35_195:
	s_or_b32 exec_lo, exec_lo, s2
	s_waitcnt lgkmcnt(0)
	s_waitcnt_vscnt null, 0x0
	s_barrier
	buffer_gl0_inv
	s_clause 0x8
	scratch_load_b128 v[2:5], off, off offset:288
	scratch_load_b128 v[6:9], off, off offset:304
	;; [unrolled: 1-line block ×9, first 2 shown]
	ds_load_b128 v[38:41], v1 offset:864
	ds_load_b128 v[42:45], v1 offset:880
	s_clause 0x1
	scratch_load_b128 v[155:158], off, off offset:272
	scratch_load_b128 v[159:162], off, off offset:432
	s_mov_b32 s2, exec_lo
	s_waitcnt vmcnt(10) lgkmcnt(1)
	v_mul_f64 v[163:164], v[40:41], v[4:5]
	v_mul_f64 v[4:5], v[38:39], v[4:5]
	s_waitcnt vmcnt(9) lgkmcnt(0)
	v_mul_f64 v[167:168], v[42:43], v[8:9]
	v_mul_f64 v[8:9], v[44:45], v[8:9]
	s_delay_alu instid0(VALU_DEP_4) | instskip(NEXT) | instid1(VALU_DEP_4)
	v_fma_f64 v[169:170], v[38:39], v[2:3], -v[163:164]
	v_fma_f64 v[171:172], v[40:41], v[2:3], v[4:5]
	ds_load_b128 v[2:5], v1 offset:896
	ds_load_b128 v[163:166], v1 offset:912
	scratch_load_b128 v[38:41], off, off offset:448
	v_fma_f64 v[44:45], v[44:45], v[6:7], v[167:168]
	v_fma_f64 v[42:43], v[42:43], v[6:7], -v[8:9]
	scratch_load_b128 v[6:9], off, off offset:464
	s_waitcnt vmcnt(10) lgkmcnt(1)
	v_mul_f64 v[173:174], v[2:3], v[12:13]
	v_mul_f64 v[12:13], v[4:5], v[12:13]
	v_add_f64 v[167:168], v[169:170], 0
	v_add_f64 v[169:170], v[171:172], 0
	s_waitcnt vmcnt(9) lgkmcnt(0)
	v_mul_f64 v[171:172], v[163:164], v[16:17]
	v_mul_f64 v[16:17], v[165:166], v[16:17]
	v_fma_f64 v[173:174], v[4:5], v[10:11], v[173:174]
	v_fma_f64 v[175:176], v[2:3], v[10:11], -v[12:13]
	ds_load_b128 v[2:5], v1 offset:928
	scratch_load_b128 v[10:13], off, off offset:480
	v_add_f64 v[167:168], v[167:168], v[42:43]
	v_add_f64 v[169:170], v[169:170], v[44:45]
	ds_load_b128 v[42:45], v1 offset:944
	v_fma_f64 v[165:166], v[165:166], v[14:15], v[171:172]
	v_fma_f64 v[163:164], v[163:164], v[14:15], -v[16:17]
	scratch_load_b128 v[14:17], off, off offset:496
	s_waitcnt vmcnt(10) lgkmcnt(1)
	v_mul_f64 v[177:178], v[2:3], v[20:21]
	v_mul_f64 v[20:21], v[4:5], v[20:21]
	s_waitcnt vmcnt(9) lgkmcnt(0)
	v_mul_f64 v[171:172], v[42:43], v[24:25]
	v_mul_f64 v[24:25], v[44:45], v[24:25]
	v_add_f64 v[167:168], v[167:168], v[175:176]
	v_add_f64 v[169:170], v[169:170], v[173:174]
	v_fma_f64 v[173:174], v[4:5], v[18:19], v[177:178]
	v_fma_f64 v[175:176], v[2:3], v[18:19], -v[20:21]
	ds_load_b128 v[2:5], v1 offset:960
	scratch_load_b128 v[18:21], off, off offset:512
	v_fma_f64 v[44:45], v[44:45], v[22:23], v[171:172]
	v_fma_f64 v[42:43], v[42:43], v[22:23], -v[24:25]
	scratch_load_b128 v[22:25], off, off offset:528
	v_add_f64 v[167:168], v[167:168], v[163:164]
	v_add_f64 v[169:170], v[169:170], v[165:166]
	ds_load_b128 v[163:166], v1 offset:976
	s_waitcnt vmcnt(10) lgkmcnt(1)
	v_mul_f64 v[177:178], v[2:3], v[28:29]
	v_mul_f64 v[28:29], v[4:5], v[28:29]
	s_waitcnt vmcnt(9) lgkmcnt(0)
	v_mul_f64 v[171:172], v[163:164], v[32:33]
	v_mul_f64 v[32:33], v[165:166], v[32:33]
	v_add_f64 v[167:168], v[167:168], v[175:176]
	v_add_f64 v[169:170], v[169:170], v[173:174]
	v_fma_f64 v[173:174], v[4:5], v[26:27], v[177:178]
	v_fma_f64 v[175:176], v[2:3], v[26:27], -v[28:29]
	ds_load_b128 v[2:5], v1 offset:992
	scratch_load_b128 v[26:29], off, off offset:544
	v_fma_f64 v[165:166], v[165:166], v[30:31], v[171:172]
	v_fma_f64 v[163:164], v[163:164], v[30:31], -v[32:33]
	scratch_load_b128 v[30:33], off, off offset:560
	v_add_f64 v[167:168], v[167:168], v[42:43]
	v_add_f64 v[169:170], v[169:170], v[44:45]
	ds_load_b128 v[42:45], v1 offset:1008
	s_waitcnt vmcnt(10) lgkmcnt(1)
	v_mul_f64 v[177:178], v[2:3], v[36:37]
	v_mul_f64 v[36:37], v[4:5], v[36:37]
	s_waitcnt vmcnt(8) lgkmcnt(0)
	v_mul_f64 v[171:172], v[42:43], v[161:162]
	v_mul_f64 v[161:162], v[44:45], v[161:162]
	v_add_f64 v[167:168], v[167:168], v[175:176]
	v_add_f64 v[169:170], v[169:170], v[173:174]
	v_fma_f64 v[173:174], v[4:5], v[34:35], v[177:178]
	v_fma_f64 v[175:176], v[2:3], v[34:35], -v[36:37]
	ds_load_b128 v[2:5], v1 offset:1024
	ds_load_b128 v[34:37], v1 offset:1040
	v_fma_f64 v[44:45], v[44:45], v[159:160], v[171:172]
	v_fma_f64 v[42:43], v[42:43], v[159:160], -v[161:162]
	v_add_f64 v[163:164], v[167:168], v[163:164]
	v_add_f64 v[165:166], v[169:170], v[165:166]
	s_waitcnt vmcnt(7) lgkmcnt(1)
	v_mul_f64 v[167:168], v[2:3], v[40:41]
	v_mul_f64 v[40:41], v[4:5], v[40:41]
	s_delay_alu instid0(VALU_DEP_4) | instskip(NEXT) | instid1(VALU_DEP_4)
	v_add_f64 v[159:160], v[163:164], v[175:176]
	v_add_f64 v[161:162], v[165:166], v[173:174]
	s_waitcnt vmcnt(6) lgkmcnt(0)
	v_mul_f64 v[163:164], v[34:35], v[8:9]
	v_mul_f64 v[8:9], v[36:37], v[8:9]
	v_fma_f64 v[165:166], v[4:5], v[38:39], v[167:168]
	v_fma_f64 v[167:168], v[2:3], v[38:39], -v[40:41]
	ds_load_b128 v[2:5], v1 offset:1056
	ds_load_b128 v[38:41], v1 offset:1072
	v_add_f64 v[42:43], v[159:160], v[42:43]
	v_add_f64 v[44:45], v[161:162], v[44:45]
	v_fma_f64 v[36:37], v[36:37], v[6:7], v[163:164]
	s_waitcnt vmcnt(5) lgkmcnt(1)
	v_mul_f64 v[159:160], v[2:3], v[12:13]
	v_mul_f64 v[12:13], v[4:5], v[12:13]
	v_fma_f64 v[6:7], v[34:35], v[6:7], -v[8:9]
	v_add_f64 v[8:9], v[42:43], v[167:168]
	v_add_f64 v[34:35], v[44:45], v[165:166]
	s_waitcnt vmcnt(4) lgkmcnt(0)
	v_mul_f64 v[42:43], v[38:39], v[16:17]
	v_mul_f64 v[16:17], v[40:41], v[16:17]
	v_fma_f64 v[44:45], v[4:5], v[10:11], v[159:160]
	v_fma_f64 v[10:11], v[2:3], v[10:11], -v[12:13]
	v_add_f64 v[12:13], v[8:9], v[6:7]
	v_add_f64 v[34:35], v[34:35], v[36:37]
	ds_load_b128 v[2:5], v1 offset:1088
	ds_load_b128 v[6:9], v1 offset:1104
	v_fma_f64 v[40:41], v[40:41], v[14:15], v[42:43]
	v_fma_f64 v[14:15], v[38:39], v[14:15], -v[16:17]
	s_waitcnt vmcnt(3) lgkmcnt(1)
	v_mul_f64 v[36:37], v[2:3], v[20:21]
	v_mul_f64 v[20:21], v[4:5], v[20:21]
	s_waitcnt vmcnt(2) lgkmcnt(0)
	v_mul_f64 v[16:17], v[6:7], v[24:25]
	v_mul_f64 v[24:25], v[8:9], v[24:25]
	v_add_f64 v[10:11], v[12:13], v[10:11]
	v_add_f64 v[12:13], v[34:35], v[44:45]
	v_fma_f64 v[34:35], v[4:5], v[18:19], v[36:37]
	v_fma_f64 v[18:19], v[2:3], v[18:19], -v[20:21]
	v_fma_f64 v[8:9], v[8:9], v[22:23], v[16:17]
	v_fma_f64 v[6:7], v[6:7], v[22:23], -v[24:25]
	v_add_f64 v[14:15], v[10:11], v[14:15]
	v_add_f64 v[20:21], v[12:13], v[40:41]
	ds_load_b128 v[2:5], v1 offset:1120
	ds_load_b128 v[10:13], v1 offset:1136
	s_waitcnt vmcnt(1) lgkmcnt(1)
	v_mul_f64 v[36:37], v[2:3], v[28:29]
	v_mul_f64 v[28:29], v[4:5], v[28:29]
	v_add_f64 v[14:15], v[14:15], v[18:19]
	v_add_f64 v[16:17], v[20:21], v[34:35]
	s_waitcnt vmcnt(0) lgkmcnt(0)
	v_mul_f64 v[18:19], v[10:11], v[32:33]
	v_mul_f64 v[20:21], v[12:13], v[32:33]
	v_fma_f64 v[4:5], v[4:5], v[26:27], v[36:37]
	v_fma_f64 v[1:2], v[2:3], v[26:27], -v[28:29]
	v_add_f64 v[6:7], v[14:15], v[6:7]
	v_add_f64 v[8:9], v[16:17], v[8:9]
	v_fma_f64 v[12:13], v[12:13], v[30:31], v[18:19]
	v_fma_f64 v[10:11], v[10:11], v[30:31], -v[20:21]
	s_delay_alu instid0(VALU_DEP_4) | instskip(NEXT) | instid1(VALU_DEP_4)
	v_add_f64 v[1:2], v[6:7], v[1:2]
	v_add_f64 v[3:4], v[8:9], v[4:5]
	s_delay_alu instid0(VALU_DEP_2) | instskip(NEXT) | instid1(VALU_DEP_2)
	v_add_f64 v[1:2], v[1:2], v[10:11]
	v_add_f64 v[3:4], v[3:4], v[12:13]
	s_delay_alu instid0(VALU_DEP_2) | instskip(NEXT) | instid1(VALU_DEP_2)
	v_add_f64 v[1:2], v[155:156], -v[1:2]
	v_add_f64 v[3:4], v[157:158], -v[3:4]
	scratch_store_b128 off, v[1:4], off offset:272
	v_cmpx_lt_u32_e32 16, v118
	s_cbranch_execz .LBB35_197
; %bb.196:
	scratch_load_b128 v[1:4], v129, off
	v_mov_b32_e32 v5, 0
	s_delay_alu instid0(VALU_DEP_1)
	v_mov_b32_e32 v6, v5
	v_mov_b32_e32 v7, v5
	;; [unrolled: 1-line block ×3, first 2 shown]
	scratch_store_b128 off, v[5:8], off offset:256
	s_waitcnt vmcnt(0)
	ds_store_b128 v154, v[1:4]
.LBB35_197:
	s_or_b32 exec_lo, exec_lo, s2
	s_waitcnt lgkmcnt(0)
	s_waitcnt_vscnt null, 0x0
	s_barrier
	buffer_gl0_inv
	s_clause 0x7
	scratch_load_b128 v[2:5], off, off offset:272
	scratch_load_b128 v[6:9], off, off offset:288
	scratch_load_b128 v[10:13], off, off offset:304
	scratch_load_b128 v[14:17], off, off offset:320
	scratch_load_b128 v[18:21], off, off offset:336
	scratch_load_b128 v[22:25], off, off offset:352
	scratch_load_b128 v[26:29], off, off offset:368
	scratch_load_b128 v[30:33], off, off offset:384
	v_mov_b32_e32 v1, 0
	s_mov_b32 s2, exec_lo
	ds_load_b128 v[34:37], v1 offset:848
	s_clause 0x1
	scratch_load_b128 v[38:41], off, off offset:400
	scratch_load_b128 v[42:45], off, off offset:256
	ds_load_b128 v[155:158], v1 offset:864
	scratch_load_b128 v[159:162], off, off offset:416
	s_waitcnt vmcnt(10) lgkmcnt(1)
	v_mul_f64 v[163:164], v[36:37], v[4:5]
	v_mul_f64 v[4:5], v[34:35], v[4:5]
	s_delay_alu instid0(VALU_DEP_2) | instskip(NEXT) | instid1(VALU_DEP_2)
	v_fma_f64 v[169:170], v[34:35], v[2:3], -v[163:164]
	v_fma_f64 v[171:172], v[36:37], v[2:3], v[4:5]
	scratch_load_b128 v[34:37], off, off offset:432
	ds_load_b128 v[2:5], v1 offset:880
	s_waitcnt vmcnt(10) lgkmcnt(1)
	v_mul_f64 v[167:168], v[155:156], v[8:9]
	v_mul_f64 v[8:9], v[157:158], v[8:9]
	ds_load_b128 v[163:166], v1 offset:896
	s_waitcnt vmcnt(9) lgkmcnt(1)
	v_mul_f64 v[173:174], v[2:3], v[12:13]
	v_mul_f64 v[12:13], v[4:5], v[12:13]
	v_fma_f64 v[157:158], v[157:158], v[6:7], v[167:168]
	v_fma_f64 v[155:156], v[155:156], v[6:7], -v[8:9]
	v_add_f64 v[167:168], v[169:170], 0
	v_add_f64 v[169:170], v[171:172], 0
	scratch_load_b128 v[6:9], off, off offset:448
	v_fma_f64 v[173:174], v[4:5], v[10:11], v[173:174]
	v_fma_f64 v[175:176], v[2:3], v[10:11], -v[12:13]
	scratch_load_b128 v[10:13], off, off offset:464
	ds_load_b128 v[2:5], v1 offset:912
	s_waitcnt vmcnt(10) lgkmcnt(1)
	v_mul_f64 v[171:172], v[163:164], v[16:17]
	v_mul_f64 v[16:17], v[165:166], v[16:17]
	v_add_f64 v[167:168], v[167:168], v[155:156]
	v_add_f64 v[169:170], v[169:170], v[157:158]
	s_waitcnt vmcnt(9) lgkmcnt(0)
	v_mul_f64 v[177:178], v[2:3], v[20:21]
	v_mul_f64 v[20:21], v[4:5], v[20:21]
	ds_load_b128 v[155:158], v1 offset:928
	v_fma_f64 v[165:166], v[165:166], v[14:15], v[171:172]
	v_fma_f64 v[163:164], v[163:164], v[14:15], -v[16:17]
	scratch_load_b128 v[14:17], off, off offset:480
	v_add_f64 v[167:168], v[167:168], v[175:176]
	v_add_f64 v[169:170], v[169:170], v[173:174]
	v_fma_f64 v[173:174], v[4:5], v[18:19], v[177:178]
	v_fma_f64 v[175:176], v[2:3], v[18:19], -v[20:21]
	scratch_load_b128 v[18:21], off, off offset:496
	ds_load_b128 v[2:5], v1 offset:944
	s_waitcnt vmcnt(10) lgkmcnt(1)
	v_mul_f64 v[171:172], v[155:156], v[24:25]
	v_mul_f64 v[24:25], v[157:158], v[24:25]
	s_waitcnt vmcnt(9) lgkmcnt(0)
	v_mul_f64 v[177:178], v[2:3], v[28:29]
	v_mul_f64 v[28:29], v[4:5], v[28:29]
	v_add_f64 v[167:168], v[167:168], v[163:164]
	v_add_f64 v[169:170], v[169:170], v[165:166]
	ds_load_b128 v[163:166], v1 offset:960
	v_fma_f64 v[157:158], v[157:158], v[22:23], v[171:172]
	v_fma_f64 v[155:156], v[155:156], v[22:23], -v[24:25]
	scratch_load_b128 v[22:25], off, off offset:512
	v_add_f64 v[167:168], v[167:168], v[175:176]
	v_add_f64 v[169:170], v[169:170], v[173:174]
	v_fma_f64 v[173:174], v[4:5], v[26:27], v[177:178]
	v_fma_f64 v[175:176], v[2:3], v[26:27], -v[28:29]
	scratch_load_b128 v[26:29], off, off offset:528
	ds_load_b128 v[2:5], v1 offset:976
	s_waitcnt vmcnt(10) lgkmcnt(1)
	v_mul_f64 v[171:172], v[163:164], v[32:33]
	v_mul_f64 v[32:33], v[165:166], v[32:33]
	s_waitcnt vmcnt(9) lgkmcnt(0)
	v_mul_f64 v[177:178], v[2:3], v[40:41]
	v_mul_f64 v[40:41], v[4:5], v[40:41]
	v_add_f64 v[167:168], v[167:168], v[155:156]
	v_add_f64 v[169:170], v[169:170], v[157:158]
	ds_load_b128 v[155:158], v1 offset:992
	v_fma_f64 v[165:166], v[165:166], v[30:31], v[171:172]
	v_fma_f64 v[163:164], v[163:164], v[30:31], -v[32:33]
	scratch_load_b128 v[30:33], off, off offset:544
	v_add_f64 v[167:168], v[167:168], v[175:176]
	v_add_f64 v[169:170], v[169:170], v[173:174]
	v_fma_f64 v[175:176], v[4:5], v[38:39], v[177:178]
	v_fma_f64 v[177:178], v[2:3], v[38:39], -v[40:41]
	scratch_load_b128 v[38:41], off, off offset:560
	ds_load_b128 v[2:5], v1 offset:1008
	s_waitcnt vmcnt(9) lgkmcnt(1)
	v_mul_f64 v[171:172], v[155:156], v[161:162]
	v_mul_f64 v[173:174], v[157:158], v[161:162]
	v_add_f64 v[167:168], v[167:168], v[163:164]
	v_add_f64 v[165:166], v[169:170], v[165:166]
	ds_load_b128 v[161:164], v1 offset:1024
	v_fma_f64 v[157:158], v[157:158], v[159:160], v[171:172]
	v_fma_f64 v[155:156], v[155:156], v[159:160], -v[173:174]
	s_waitcnt vmcnt(8) lgkmcnt(1)
	v_mul_f64 v[169:170], v[2:3], v[36:37]
	v_mul_f64 v[36:37], v[4:5], v[36:37]
	v_add_f64 v[159:160], v[167:168], v[177:178]
	v_add_f64 v[165:166], v[165:166], v[175:176]
	s_delay_alu instid0(VALU_DEP_4) | instskip(NEXT) | instid1(VALU_DEP_4)
	v_fma_f64 v[169:170], v[4:5], v[34:35], v[169:170]
	v_fma_f64 v[171:172], v[2:3], v[34:35], -v[36:37]
	ds_load_b128 v[2:5], v1 offset:1040
	ds_load_b128 v[34:37], v1 offset:1056
	s_waitcnt vmcnt(7) lgkmcnt(2)
	v_mul_f64 v[167:168], v[161:162], v[8:9]
	v_mul_f64 v[8:9], v[163:164], v[8:9]
	v_add_f64 v[155:156], v[159:160], v[155:156]
	v_add_f64 v[157:158], v[165:166], v[157:158]
	s_waitcnt vmcnt(6) lgkmcnt(1)
	v_mul_f64 v[159:160], v[2:3], v[12:13]
	v_mul_f64 v[12:13], v[4:5], v[12:13]
	v_fma_f64 v[163:164], v[163:164], v[6:7], v[167:168]
	v_fma_f64 v[6:7], v[161:162], v[6:7], -v[8:9]
	v_add_f64 v[8:9], v[155:156], v[171:172]
	v_add_f64 v[155:156], v[157:158], v[169:170]
	s_waitcnt vmcnt(5) lgkmcnt(0)
	v_mul_f64 v[157:158], v[34:35], v[16:17]
	v_mul_f64 v[16:17], v[36:37], v[16:17]
	v_fma_f64 v[159:160], v[4:5], v[10:11], v[159:160]
	v_fma_f64 v[10:11], v[2:3], v[10:11], -v[12:13]
	v_add_f64 v[12:13], v[8:9], v[6:7]
	v_add_f64 v[155:156], v[155:156], v[163:164]
	ds_load_b128 v[2:5], v1 offset:1072
	ds_load_b128 v[6:9], v1 offset:1088
	v_fma_f64 v[36:37], v[36:37], v[14:15], v[157:158]
	v_fma_f64 v[14:15], v[34:35], v[14:15], -v[16:17]
	s_waitcnt vmcnt(4) lgkmcnt(1)
	v_mul_f64 v[161:162], v[2:3], v[20:21]
	v_mul_f64 v[20:21], v[4:5], v[20:21]
	s_waitcnt vmcnt(3) lgkmcnt(0)
	v_mul_f64 v[16:17], v[6:7], v[24:25]
	v_mul_f64 v[24:25], v[8:9], v[24:25]
	v_add_f64 v[10:11], v[12:13], v[10:11]
	v_add_f64 v[12:13], v[155:156], v[159:160]
	v_fma_f64 v[34:35], v[4:5], v[18:19], v[161:162]
	v_fma_f64 v[18:19], v[2:3], v[18:19], -v[20:21]
	v_fma_f64 v[8:9], v[8:9], v[22:23], v[16:17]
	v_fma_f64 v[6:7], v[6:7], v[22:23], -v[24:25]
	v_add_f64 v[14:15], v[10:11], v[14:15]
	v_add_f64 v[20:21], v[12:13], v[36:37]
	ds_load_b128 v[2:5], v1 offset:1104
	ds_load_b128 v[10:13], v1 offset:1120
	s_waitcnt vmcnt(2) lgkmcnt(1)
	v_mul_f64 v[36:37], v[2:3], v[28:29]
	v_mul_f64 v[28:29], v[4:5], v[28:29]
	v_add_f64 v[14:15], v[14:15], v[18:19]
	v_add_f64 v[16:17], v[20:21], v[34:35]
	s_waitcnt vmcnt(1) lgkmcnt(0)
	v_mul_f64 v[18:19], v[10:11], v[32:33]
	v_mul_f64 v[20:21], v[12:13], v[32:33]
	v_fma_f64 v[22:23], v[4:5], v[26:27], v[36:37]
	v_fma_f64 v[24:25], v[2:3], v[26:27], -v[28:29]
	ds_load_b128 v[2:5], v1 offset:1136
	v_add_f64 v[6:7], v[14:15], v[6:7]
	v_add_f64 v[8:9], v[16:17], v[8:9]
	v_fma_f64 v[12:13], v[12:13], v[30:31], v[18:19]
	v_fma_f64 v[10:11], v[10:11], v[30:31], -v[20:21]
	s_waitcnt vmcnt(0) lgkmcnt(0)
	v_mul_f64 v[14:15], v[2:3], v[40:41]
	v_mul_f64 v[16:17], v[4:5], v[40:41]
	v_add_f64 v[6:7], v[6:7], v[24:25]
	v_add_f64 v[8:9], v[8:9], v[22:23]
	s_delay_alu instid0(VALU_DEP_4) | instskip(NEXT) | instid1(VALU_DEP_4)
	v_fma_f64 v[4:5], v[4:5], v[38:39], v[14:15]
	v_fma_f64 v[2:3], v[2:3], v[38:39], -v[16:17]
	s_delay_alu instid0(VALU_DEP_4) | instskip(NEXT) | instid1(VALU_DEP_4)
	v_add_f64 v[6:7], v[6:7], v[10:11]
	v_add_f64 v[8:9], v[8:9], v[12:13]
	s_delay_alu instid0(VALU_DEP_2) | instskip(NEXT) | instid1(VALU_DEP_2)
	v_add_f64 v[2:3], v[6:7], v[2:3]
	v_add_f64 v[4:5], v[8:9], v[4:5]
	s_delay_alu instid0(VALU_DEP_2) | instskip(NEXT) | instid1(VALU_DEP_2)
	v_add_f64 v[2:3], v[42:43], -v[2:3]
	v_add_f64 v[4:5], v[44:45], -v[4:5]
	scratch_store_b128 off, v[2:5], off offset:256
	v_cmpx_lt_u32_e32 15, v118
	s_cbranch_execz .LBB35_199
; %bb.198:
	scratch_load_b128 v[5:8], v132, off
	v_mov_b32_e32 v2, v1
	v_mov_b32_e32 v3, v1
	v_mov_b32_e32 v4, v1
	scratch_store_b128 off, v[1:4], off offset:240
	s_waitcnt vmcnt(0)
	ds_store_b128 v154, v[5:8]
.LBB35_199:
	s_or_b32 exec_lo, exec_lo, s2
	s_waitcnt lgkmcnt(0)
	s_waitcnt_vscnt null, 0x0
	s_barrier
	buffer_gl0_inv
	s_clause 0x8
	scratch_load_b128 v[2:5], off, off offset:256
	scratch_load_b128 v[6:9], off, off offset:272
	scratch_load_b128 v[10:13], off, off offset:288
	scratch_load_b128 v[14:17], off, off offset:304
	scratch_load_b128 v[18:21], off, off offset:320
	scratch_load_b128 v[22:25], off, off offset:336
	scratch_load_b128 v[26:29], off, off offset:352
	scratch_load_b128 v[30:33], off, off offset:368
	scratch_load_b128 v[34:37], off, off offset:384
	ds_load_b128 v[38:41], v1 offset:832
	ds_load_b128 v[42:45], v1 offset:848
	s_clause 0x1
	scratch_load_b128 v[155:158], off, off offset:240
	scratch_load_b128 v[159:162], off, off offset:400
	s_mov_b32 s2, exec_lo
	s_waitcnt vmcnt(10) lgkmcnt(1)
	v_mul_f64 v[163:164], v[40:41], v[4:5]
	v_mul_f64 v[4:5], v[38:39], v[4:5]
	s_waitcnt vmcnt(9) lgkmcnt(0)
	v_mul_f64 v[167:168], v[42:43], v[8:9]
	v_mul_f64 v[8:9], v[44:45], v[8:9]
	s_delay_alu instid0(VALU_DEP_4) | instskip(NEXT) | instid1(VALU_DEP_4)
	v_fma_f64 v[169:170], v[38:39], v[2:3], -v[163:164]
	v_fma_f64 v[171:172], v[40:41], v[2:3], v[4:5]
	ds_load_b128 v[2:5], v1 offset:864
	ds_load_b128 v[163:166], v1 offset:880
	scratch_load_b128 v[38:41], off, off offset:416
	v_fma_f64 v[44:45], v[44:45], v[6:7], v[167:168]
	v_fma_f64 v[42:43], v[42:43], v[6:7], -v[8:9]
	scratch_load_b128 v[6:9], off, off offset:432
	s_waitcnt vmcnt(10) lgkmcnt(1)
	v_mul_f64 v[173:174], v[2:3], v[12:13]
	v_mul_f64 v[12:13], v[4:5], v[12:13]
	v_add_f64 v[167:168], v[169:170], 0
	v_add_f64 v[169:170], v[171:172], 0
	s_waitcnt vmcnt(9) lgkmcnt(0)
	v_mul_f64 v[171:172], v[163:164], v[16:17]
	v_mul_f64 v[16:17], v[165:166], v[16:17]
	v_fma_f64 v[173:174], v[4:5], v[10:11], v[173:174]
	v_fma_f64 v[175:176], v[2:3], v[10:11], -v[12:13]
	ds_load_b128 v[2:5], v1 offset:896
	scratch_load_b128 v[10:13], off, off offset:448
	v_add_f64 v[167:168], v[167:168], v[42:43]
	v_add_f64 v[169:170], v[169:170], v[44:45]
	ds_load_b128 v[42:45], v1 offset:912
	v_fma_f64 v[165:166], v[165:166], v[14:15], v[171:172]
	v_fma_f64 v[163:164], v[163:164], v[14:15], -v[16:17]
	scratch_load_b128 v[14:17], off, off offset:464
	s_waitcnt vmcnt(10) lgkmcnt(1)
	v_mul_f64 v[177:178], v[2:3], v[20:21]
	v_mul_f64 v[20:21], v[4:5], v[20:21]
	s_waitcnt vmcnt(9) lgkmcnt(0)
	v_mul_f64 v[171:172], v[42:43], v[24:25]
	v_mul_f64 v[24:25], v[44:45], v[24:25]
	v_add_f64 v[167:168], v[167:168], v[175:176]
	v_add_f64 v[169:170], v[169:170], v[173:174]
	v_fma_f64 v[173:174], v[4:5], v[18:19], v[177:178]
	v_fma_f64 v[175:176], v[2:3], v[18:19], -v[20:21]
	ds_load_b128 v[2:5], v1 offset:928
	scratch_load_b128 v[18:21], off, off offset:480
	v_fma_f64 v[44:45], v[44:45], v[22:23], v[171:172]
	v_fma_f64 v[42:43], v[42:43], v[22:23], -v[24:25]
	scratch_load_b128 v[22:25], off, off offset:496
	v_add_f64 v[167:168], v[167:168], v[163:164]
	v_add_f64 v[169:170], v[169:170], v[165:166]
	ds_load_b128 v[163:166], v1 offset:944
	s_waitcnt vmcnt(10) lgkmcnt(1)
	v_mul_f64 v[177:178], v[2:3], v[28:29]
	v_mul_f64 v[28:29], v[4:5], v[28:29]
	s_waitcnt vmcnt(9) lgkmcnt(0)
	v_mul_f64 v[171:172], v[163:164], v[32:33]
	v_mul_f64 v[32:33], v[165:166], v[32:33]
	v_add_f64 v[167:168], v[167:168], v[175:176]
	v_add_f64 v[169:170], v[169:170], v[173:174]
	v_fma_f64 v[173:174], v[4:5], v[26:27], v[177:178]
	v_fma_f64 v[175:176], v[2:3], v[26:27], -v[28:29]
	ds_load_b128 v[2:5], v1 offset:960
	scratch_load_b128 v[26:29], off, off offset:512
	v_fma_f64 v[165:166], v[165:166], v[30:31], v[171:172]
	v_fma_f64 v[163:164], v[163:164], v[30:31], -v[32:33]
	scratch_load_b128 v[30:33], off, off offset:528
	v_add_f64 v[167:168], v[167:168], v[42:43]
	v_add_f64 v[169:170], v[169:170], v[44:45]
	ds_load_b128 v[42:45], v1 offset:976
	s_waitcnt vmcnt(10) lgkmcnt(1)
	v_mul_f64 v[177:178], v[2:3], v[36:37]
	v_mul_f64 v[36:37], v[4:5], v[36:37]
	s_waitcnt vmcnt(8) lgkmcnt(0)
	v_mul_f64 v[171:172], v[42:43], v[161:162]
	v_add_f64 v[167:168], v[167:168], v[175:176]
	v_add_f64 v[169:170], v[169:170], v[173:174]
	v_mul_f64 v[173:174], v[44:45], v[161:162]
	v_fma_f64 v[175:176], v[4:5], v[34:35], v[177:178]
	v_fma_f64 v[177:178], v[2:3], v[34:35], -v[36:37]
	ds_load_b128 v[2:5], v1 offset:992
	scratch_load_b128 v[34:37], off, off offset:544
	v_fma_f64 v[44:45], v[44:45], v[159:160], v[171:172]
	v_add_f64 v[167:168], v[167:168], v[163:164]
	v_add_f64 v[165:166], v[169:170], v[165:166]
	ds_load_b128 v[161:164], v1 offset:1008
	v_fma_f64 v[159:160], v[42:43], v[159:160], -v[173:174]
	s_waitcnt vmcnt(8) lgkmcnt(1)
	v_mul_f64 v[169:170], v[2:3], v[40:41]
	v_mul_f64 v[179:180], v[4:5], v[40:41]
	scratch_load_b128 v[40:43], off, off offset:560
	s_waitcnt vmcnt(8) lgkmcnt(0)
	v_mul_f64 v[171:172], v[161:162], v[8:9]
	v_mul_f64 v[8:9], v[163:164], v[8:9]
	v_add_f64 v[167:168], v[167:168], v[177:178]
	v_add_f64 v[165:166], v[165:166], v[175:176]
	v_fma_f64 v[169:170], v[4:5], v[38:39], v[169:170]
	v_fma_f64 v[38:39], v[2:3], v[38:39], -v[179:180]
	v_fma_f64 v[163:164], v[163:164], v[6:7], v[171:172]
	v_fma_f64 v[6:7], v[161:162], v[6:7], -v[8:9]
	v_add_f64 v[159:160], v[167:168], v[159:160]
	v_add_f64 v[44:45], v[165:166], v[44:45]
	ds_load_b128 v[2:5], v1 offset:1024
	ds_load_b128 v[165:168], v1 offset:1040
	s_waitcnt vmcnt(7) lgkmcnt(1)
	v_mul_f64 v[173:174], v[2:3], v[12:13]
	v_mul_f64 v[12:13], v[4:5], v[12:13]
	v_add_f64 v[8:9], v[159:160], v[38:39]
	v_add_f64 v[38:39], v[44:45], v[169:170]
	s_waitcnt vmcnt(6) lgkmcnt(0)
	v_mul_f64 v[44:45], v[165:166], v[16:17]
	v_mul_f64 v[16:17], v[167:168], v[16:17]
	v_fma_f64 v[159:160], v[4:5], v[10:11], v[173:174]
	v_fma_f64 v[10:11], v[2:3], v[10:11], -v[12:13]
	v_add_f64 v[12:13], v[8:9], v[6:7]
	v_add_f64 v[38:39], v[38:39], v[163:164]
	ds_load_b128 v[2:5], v1 offset:1056
	ds_load_b128 v[6:9], v1 offset:1072
	v_fma_f64 v[44:45], v[167:168], v[14:15], v[44:45]
	v_fma_f64 v[14:15], v[165:166], v[14:15], -v[16:17]
	s_waitcnt vmcnt(5) lgkmcnt(1)
	v_mul_f64 v[161:162], v[2:3], v[20:21]
	v_mul_f64 v[20:21], v[4:5], v[20:21]
	s_waitcnt vmcnt(4) lgkmcnt(0)
	v_mul_f64 v[16:17], v[6:7], v[24:25]
	v_mul_f64 v[24:25], v[8:9], v[24:25]
	v_add_f64 v[10:11], v[12:13], v[10:11]
	v_add_f64 v[12:13], v[38:39], v[159:160]
	v_fma_f64 v[38:39], v[4:5], v[18:19], v[161:162]
	v_fma_f64 v[18:19], v[2:3], v[18:19], -v[20:21]
	v_fma_f64 v[8:9], v[8:9], v[22:23], v[16:17]
	v_fma_f64 v[6:7], v[6:7], v[22:23], -v[24:25]
	v_add_f64 v[14:15], v[10:11], v[14:15]
	v_add_f64 v[20:21], v[12:13], v[44:45]
	ds_load_b128 v[2:5], v1 offset:1088
	ds_load_b128 v[10:13], v1 offset:1104
	s_waitcnt vmcnt(3) lgkmcnt(1)
	v_mul_f64 v[44:45], v[2:3], v[28:29]
	v_mul_f64 v[28:29], v[4:5], v[28:29]
	v_add_f64 v[14:15], v[14:15], v[18:19]
	v_add_f64 v[16:17], v[20:21], v[38:39]
	s_waitcnt vmcnt(2) lgkmcnt(0)
	v_mul_f64 v[18:19], v[10:11], v[32:33]
	v_mul_f64 v[20:21], v[12:13], v[32:33]
	v_fma_f64 v[22:23], v[4:5], v[26:27], v[44:45]
	v_fma_f64 v[24:25], v[2:3], v[26:27], -v[28:29]
	v_add_f64 v[14:15], v[14:15], v[6:7]
	v_add_f64 v[16:17], v[16:17], v[8:9]
	ds_load_b128 v[2:5], v1 offset:1120
	ds_load_b128 v[6:9], v1 offset:1136
	v_fma_f64 v[12:13], v[12:13], v[30:31], v[18:19]
	v_fma_f64 v[10:11], v[10:11], v[30:31], -v[20:21]
	s_waitcnt vmcnt(1) lgkmcnt(1)
	v_mul_f64 v[26:27], v[2:3], v[36:37]
	v_mul_f64 v[28:29], v[4:5], v[36:37]
	s_waitcnt vmcnt(0) lgkmcnt(0)
	v_mul_f64 v[18:19], v[6:7], v[42:43]
	v_add_f64 v[14:15], v[14:15], v[24:25]
	v_add_f64 v[16:17], v[16:17], v[22:23]
	v_mul_f64 v[20:21], v[8:9], v[42:43]
	v_fma_f64 v[4:5], v[4:5], v[34:35], v[26:27]
	v_fma_f64 v[1:2], v[2:3], v[34:35], -v[28:29]
	v_fma_f64 v[8:9], v[8:9], v[40:41], v[18:19]
	v_add_f64 v[10:11], v[14:15], v[10:11]
	v_add_f64 v[12:13], v[16:17], v[12:13]
	v_fma_f64 v[6:7], v[6:7], v[40:41], -v[20:21]
	s_delay_alu instid0(VALU_DEP_3) | instskip(NEXT) | instid1(VALU_DEP_3)
	v_add_f64 v[1:2], v[10:11], v[1:2]
	v_add_f64 v[3:4], v[12:13], v[4:5]
	s_delay_alu instid0(VALU_DEP_2) | instskip(NEXT) | instid1(VALU_DEP_2)
	v_add_f64 v[1:2], v[1:2], v[6:7]
	v_add_f64 v[3:4], v[3:4], v[8:9]
	s_delay_alu instid0(VALU_DEP_2) | instskip(NEXT) | instid1(VALU_DEP_2)
	v_add_f64 v[1:2], v[155:156], -v[1:2]
	v_add_f64 v[3:4], v[157:158], -v[3:4]
	scratch_store_b128 off, v[1:4], off offset:240
	v_cmpx_lt_u32_e32 14, v118
	s_cbranch_execz .LBB35_201
; %bb.200:
	scratch_load_b128 v[1:4], v130, off
	v_mov_b32_e32 v5, 0
	s_delay_alu instid0(VALU_DEP_1)
	v_mov_b32_e32 v6, v5
	v_mov_b32_e32 v7, v5
	;; [unrolled: 1-line block ×3, first 2 shown]
	scratch_store_b128 off, v[5:8], off offset:224
	s_waitcnt vmcnt(0)
	ds_store_b128 v154, v[1:4]
.LBB35_201:
	s_or_b32 exec_lo, exec_lo, s2
	s_waitcnt lgkmcnt(0)
	s_waitcnt_vscnt null, 0x0
	s_barrier
	buffer_gl0_inv
	s_clause 0x7
	scratch_load_b128 v[2:5], off, off offset:240
	scratch_load_b128 v[6:9], off, off offset:256
	;; [unrolled: 1-line block ×8, first 2 shown]
	v_mov_b32_e32 v1, 0
	s_mov_b32 s2, exec_lo
	ds_load_b128 v[34:37], v1 offset:816
	s_clause 0x1
	scratch_load_b128 v[38:41], off, off offset:368
	scratch_load_b128 v[42:45], off, off offset:224
	ds_load_b128 v[155:158], v1 offset:832
	scratch_load_b128 v[159:162], off, off offset:384
	s_waitcnt vmcnt(10) lgkmcnt(1)
	v_mul_f64 v[163:164], v[36:37], v[4:5]
	v_mul_f64 v[4:5], v[34:35], v[4:5]
	s_delay_alu instid0(VALU_DEP_2) | instskip(NEXT) | instid1(VALU_DEP_2)
	v_fma_f64 v[169:170], v[34:35], v[2:3], -v[163:164]
	v_fma_f64 v[171:172], v[36:37], v[2:3], v[4:5]
	scratch_load_b128 v[34:37], off, off offset:400
	ds_load_b128 v[2:5], v1 offset:848
	s_waitcnt vmcnt(10) lgkmcnt(1)
	v_mul_f64 v[167:168], v[155:156], v[8:9]
	v_mul_f64 v[8:9], v[157:158], v[8:9]
	ds_load_b128 v[163:166], v1 offset:864
	s_waitcnt vmcnt(9) lgkmcnt(1)
	v_mul_f64 v[173:174], v[2:3], v[12:13]
	v_mul_f64 v[12:13], v[4:5], v[12:13]
	v_fma_f64 v[157:158], v[157:158], v[6:7], v[167:168]
	v_fma_f64 v[155:156], v[155:156], v[6:7], -v[8:9]
	v_add_f64 v[167:168], v[169:170], 0
	v_add_f64 v[169:170], v[171:172], 0
	scratch_load_b128 v[6:9], off, off offset:416
	v_fma_f64 v[173:174], v[4:5], v[10:11], v[173:174]
	v_fma_f64 v[175:176], v[2:3], v[10:11], -v[12:13]
	scratch_load_b128 v[10:13], off, off offset:432
	ds_load_b128 v[2:5], v1 offset:880
	s_waitcnt vmcnt(10) lgkmcnt(1)
	v_mul_f64 v[171:172], v[163:164], v[16:17]
	v_mul_f64 v[16:17], v[165:166], v[16:17]
	v_add_f64 v[167:168], v[167:168], v[155:156]
	v_add_f64 v[169:170], v[169:170], v[157:158]
	s_waitcnt vmcnt(9) lgkmcnt(0)
	v_mul_f64 v[177:178], v[2:3], v[20:21]
	v_mul_f64 v[20:21], v[4:5], v[20:21]
	ds_load_b128 v[155:158], v1 offset:896
	v_fma_f64 v[165:166], v[165:166], v[14:15], v[171:172]
	v_fma_f64 v[163:164], v[163:164], v[14:15], -v[16:17]
	scratch_load_b128 v[14:17], off, off offset:448
	v_add_f64 v[167:168], v[167:168], v[175:176]
	v_add_f64 v[169:170], v[169:170], v[173:174]
	v_fma_f64 v[173:174], v[4:5], v[18:19], v[177:178]
	v_fma_f64 v[175:176], v[2:3], v[18:19], -v[20:21]
	scratch_load_b128 v[18:21], off, off offset:464
	ds_load_b128 v[2:5], v1 offset:912
	s_waitcnt vmcnt(10) lgkmcnt(1)
	v_mul_f64 v[171:172], v[155:156], v[24:25]
	v_mul_f64 v[24:25], v[157:158], v[24:25]
	s_waitcnt vmcnt(9) lgkmcnt(0)
	v_mul_f64 v[177:178], v[2:3], v[28:29]
	v_mul_f64 v[28:29], v[4:5], v[28:29]
	v_add_f64 v[167:168], v[167:168], v[163:164]
	v_add_f64 v[169:170], v[169:170], v[165:166]
	ds_load_b128 v[163:166], v1 offset:928
	v_fma_f64 v[157:158], v[157:158], v[22:23], v[171:172]
	v_fma_f64 v[155:156], v[155:156], v[22:23], -v[24:25]
	scratch_load_b128 v[22:25], off, off offset:480
	v_add_f64 v[167:168], v[167:168], v[175:176]
	v_add_f64 v[169:170], v[169:170], v[173:174]
	v_fma_f64 v[173:174], v[4:5], v[26:27], v[177:178]
	v_fma_f64 v[175:176], v[2:3], v[26:27], -v[28:29]
	scratch_load_b128 v[26:29], off, off offset:496
	ds_load_b128 v[2:5], v1 offset:944
	s_waitcnt vmcnt(10) lgkmcnt(1)
	v_mul_f64 v[171:172], v[163:164], v[32:33]
	v_mul_f64 v[32:33], v[165:166], v[32:33]
	s_waitcnt vmcnt(9) lgkmcnt(0)
	v_mul_f64 v[177:178], v[2:3], v[40:41]
	v_mul_f64 v[40:41], v[4:5], v[40:41]
	v_add_f64 v[167:168], v[167:168], v[155:156]
	v_add_f64 v[169:170], v[169:170], v[157:158]
	ds_load_b128 v[155:158], v1 offset:960
	v_fma_f64 v[165:166], v[165:166], v[30:31], v[171:172]
	v_fma_f64 v[163:164], v[163:164], v[30:31], -v[32:33]
	scratch_load_b128 v[30:33], off, off offset:512
	v_add_f64 v[167:168], v[167:168], v[175:176]
	v_add_f64 v[169:170], v[169:170], v[173:174]
	v_fma_f64 v[175:176], v[4:5], v[38:39], v[177:178]
	v_fma_f64 v[177:178], v[2:3], v[38:39], -v[40:41]
	scratch_load_b128 v[38:41], off, off offset:528
	ds_load_b128 v[2:5], v1 offset:976
	s_waitcnt vmcnt(9) lgkmcnt(1)
	v_mul_f64 v[171:172], v[155:156], v[161:162]
	v_mul_f64 v[173:174], v[157:158], v[161:162]
	v_add_f64 v[167:168], v[167:168], v[163:164]
	v_add_f64 v[165:166], v[169:170], v[165:166]
	ds_load_b128 v[161:164], v1 offset:992
	v_fma_f64 v[171:172], v[157:158], v[159:160], v[171:172]
	v_fma_f64 v[159:160], v[155:156], v[159:160], -v[173:174]
	scratch_load_b128 v[155:158], off, off offset:544
	s_waitcnt vmcnt(9) lgkmcnt(1)
	v_mul_f64 v[169:170], v[2:3], v[36:37]
	v_mul_f64 v[36:37], v[4:5], v[36:37]
	v_add_f64 v[167:168], v[167:168], v[177:178]
	v_add_f64 v[165:166], v[165:166], v[175:176]
	s_delay_alu instid0(VALU_DEP_4) | instskip(NEXT) | instid1(VALU_DEP_4)
	v_fma_f64 v[169:170], v[4:5], v[34:35], v[169:170]
	v_fma_f64 v[175:176], v[2:3], v[34:35], -v[36:37]
	scratch_load_b128 v[34:37], off, off offset:560
	ds_load_b128 v[2:5], v1 offset:1008
	s_waitcnt vmcnt(9) lgkmcnt(1)
	v_mul_f64 v[173:174], v[161:162], v[8:9]
	v_mul_f64 v[8:9], v[163:164], v[8:9]
	s_waitcnt vmcnt(8) lgkmcnt(0)
	v_mul_f64 v[177:178], v[2:3], v[12:13]
	v_mul_f64 v[12:13], v[4:5], v[12:13]
	v_add_f64 v[159:160], v[167:168], v[159:160]
	v_add_f64 v[171:172], v[165:166], v[171:172]
	ds_load_b128 v[165:168], v1 offset:1024
	v_fma_f64 v[163:164], v[163:164], v[6:7], v[173:174]
	v_fma_f64 v[6:7], v[161:162], v[6:7], -v[8:9]
	v_add_f64 v[8:9], v[159:160], v[175:176]
	v_add_f64 v[159:160], v[171:172], v[169:170]
	s_waitcnt vmcnt(7) lgkmcnt(0)
	v_mul_f64 v[161:162], v[165:166], v[16:17]
	v_mul_f64 v[16:17], v[167:168], v[16:17]
	v_fma_f64 v[169:170], v[4:5], v[10:11], v[177:178]
	v_fma_f64 v[10:11], v[2:3], v[10:11], -v[12:13]
	v_add_f64 v[12:13], v[8:9], v[6:7]
	v_add_f64 v[159:160], v[159:160], v[163:164]
	ds_load_b128 v[2:5], v1 offset:1040
	ds_load_b128 v[6:9], v1 offset:1056
	v_fma_f64 v[161:162], v[167:168], v[14:15], v[161:162]
	v_fma_f64 v[14:15], v[165:166], v[14:15], -v[16:17]
	s_waitcnt vmcnt(6) lgkmcnt(1)
	v_mul_f64 v[163:164], v[2:3], v[20:21]
	v_mul_f64 v[20:21], v[4:5], v[20:21]
	s_waitcnt vmcnt(5) lgkmcnt(0)
	v_mul_f64 v[16:17], v[6:7], v[24:25]
	v_mul_f64 v[24:25], v[8:9], v[24:25]
	v_add_f64 v[10:11], v[12:13], v[10:11]
	v_add_f64 v[12:13], v[159:160], v[169:170]
	v_fma_f64 v[159:160], v[4:5], v[18:19], v[163:164]
	v_fma_f64 v[18:19], v[2:3], v[18:19], -v[20:21]
	v_fma_f64 v[8:9], v[8:9], v[22:23], v[16:17]
	v_fma_f64 v[6:7], v[6:7], v[22:23], -v[24:25]
	v_add_f64 v[14:15], v[10:11], v[14:15]
	v_add_f64 v[20:21], v[12:13], v[161:162]
	ds_load_b128 v[2:5], v1 offset:1072
	ds_load_b128 v[10:13], v1 offset:1088
	s_waitcnt vmcnt(4) lgkmcnt(1)
	v_mul_f64 v[161:162], v[2:3], v[28:29]
	v_mul_f64 v[28:29], v[4:5], v[28:29]
	v_add_f64 v[14:15], v[14:15], v[18:19]
	v_add_f64 v[16:17], v[20:21], v[159:160]
	s_waitcnt vmcnt(3) lgkmcnt(0)
	v_mul_f64 v[18:19], v[10:11], v[32:33]
	v_mul_f64 v[20:21], v[12:13], v[32:33]
	v_fma_f64 v[22:23], v[4:5], v[26:27], v[161:162]
	v_fma_f64 v[24:25], v[2:3], v[26:27], -v[28:29]
	v_add_f64 v[14:15], v[14:15], v[6:7]
	v_add_f64 v[16:17], v[16:17], v[8:9]
	ds_load_b128 v[2:5], v1 offset:1104
	ds_load_b128 v[6:9], v1 offset:1120
	v_fma_f64 v[12:13], v[12:13], v[30:31], v[18:19]
	v_fma_f64 v[10:11], v[10:11], v[30:31], -v[20:21]
	s_waitcnt vmcnt(2) lgkmcnt(1)
	v_mul_f64 v[26:27], v[2:3], v[40:41]
	v_mul_f64 v[28:29], v[4:5], v[40:41]
	s_waitcnt vmcnt(1) lgkmcnt(0)
	v_mul_f64 v[18:19], v[6:7], v[157:158]
	v_mul_f64 v[20:21], v[8:9], v[157:158]
	v_add_f64 v[14:15], v[14:15], v[24:25]
	v_add_f64 v[16:17], v[16:17], v[22:23]
	v_fma_f64 v[22:23], v[4:5], v[38:39], v[26:27]
	v_fma_f64 v[24:25], v[2:3], v[38:39], -v[28:29]
	ds_load_b128 v[2:5], v1 offset:1136
	v_fma_f64 v[8:9], v[8:9], v[155:156], v[18:19]
	v_fma_f64 v[6:7], v[6:7], v[155:156], -v[20:21]
	v_add_f64 v[10:11], v[14:15], v[10:11]
	v_add_f64 v[12:13], v[16:17], v[12:13]
	s_waitcnt vmcnt(0) lgkmcnt(0)
	v_mul_f64 v[14:15], v[2:3], v[36:37]
	v_mul_f64 v[16:17], v[4:5], v[36:37]
	s_delay_alu instid0(VALU_DEP_4) | instskip(NEXT) | instid1(VALU_DEP_4)
	v_add_f64 v[10:11], v[10:11], v[24:25]
	v_add_f64 v[12:13], v[12:13], v[22:23]
	s_delay_alu instid0(VALU_DEP_4) | instskip(NEXT) | instid1(VALU_DEP_4)
	v_fma_f64 v[4:5], v[4:5], v[34:35], v[14:15]
	v_fma_f64 v[2:3], v[2:3], v[34:35], -v[16:17]
	s_delay_alu instid0(VALU_DEP_4) | instskip(NEXT) | instid1(VALU_DEP_4)
	v_add_f64 v[6:7], v[10:11], v[6:7]
	v_add_f64 v[8:9], v[12:13], v[8:9]
	s_delay_alu instid0(VALU_DEP_2) | instskip(NEXT) | instid1(VALU_DEP_2)
	v_add_f64 v[2:3], v[6:7], v[2:3]
	v_add_f64 v[4:5], v[8:9], v[4:5]
	s_delay_alu instid0(VALU_DEP_2) | instskip(NEXT) | instid1(VALU_DEP_2)
	v_add_f64 v[2:3], v[42:43], -v[2:3]
	v_add_f64 v[4:5], v[44:45], -v[4:5]
	scratch_store_b128 off, v[2:5], off offset:224
	v_cmpx_lt_u32_e32 13, v118
	s_cbranch_execz .LBB35_203
; %bb.202:
	scratch_load_b128 v[5:8], v133, off
	v_mov_b32_e32 v2, v1
	v_mov_b32_e32 v3, v1
	;; [unrolled: 1-line block ×3, first 2 shown]
	scratch_store_b128 off, v[1:4], off offset:208
	s_waitcnt vmcnt(0)
	ds_store_b128 v154, v[5:8]
.LBB35_203:
	s_or_b32 exec_lo, exec_lo, s2
	s_waitcnt lgkmcnt(0)
	s_waitcnt_vscnt null, 0x0
	s_barrier
	buffer_gl0_inv
	s_clause 0x8
	scratch_load_b128 v[2:5], off, off offset:224
	scratch_load_b128 v[6:9], off, off offset:240
	;; [unrolled: 1-line block ×9, first 2 shown]
	ds_load_b128 v[38:41], v1 offset:800
	ds_load_b128 v[42:45], v1 offset:816
	s_clause 0x1
	scratch_load_b128 v[155:158], off, off offset:208
	scratch_load_b128 v[159:162], off, off offset:368
	s_mov_b32 s2, exec_lo
	s_waitcnt vmcnt(10) lgkmcnt(1)
	v_mul_f64 v[163:164], v[40:41], v[4:5]
	v_mul_f64 v[4:5], v[38:39], v[4:5]
	s_waitcnt vmcnt(9) lgkmcnt(0)
	v_mul_f64 v[167:168], v[42:43], v[8:9]
	v_mul_f64 v[8:9], v[44:45], v[8:9]
	s_delay_alu instid0(VALU_DEP_4) | instskip(NEXT) | instid1(VALU_DEP_4)
	v_fma_f64 v[169:170], v[38:39], v[2:3], -v[163:164]
	v_fma_f64 v[171:172], v[40:41], v[2:3], v[4:5]
	ds_load_b128 v[2:5], v1 offset:832
	ds_load_b128 v[163:166], v1 offset:848
	scratch_load_b128 v[38:41], off, off offset:384
	v_fma_f64 v[44:45], v[44:45], v[6:7], v[167:168]
	v_fma_f64 v[42:43], v[42:43], v[6:7], -v[8:9]
	scratch_load_b128 v[6:9], off, off offset:400
	s_waitcnt vmcnt(10) lgkmcnt(1)
	v_mul_f64 v[173:174], v[2:3], v[12:13]
	v_mul_f64 v[12:13], v[4:5], v[12:13]
	v_add_f64 v[167:168], v[169:170], 0
	v_add_f64 v[169:170], v[171:172], 0
	s_waitcnt vmcnt(9) lgkmcnt(0)
	v_mul_f64 v[171:172], v[163:164], v[16:17]
	v_mul_f64 v[16:17], v[165:166], v[16:17]
	v_fma_f64 v[173:174], v[4:5], v[10:11], v[173:174]
	v_fma_f64 v[175:176], v[2:3], v[10:11], -v[12:13]
	ds_load_b128 v[2:5], v1 offset:864
	scratch_load_b128 v[10:13], off, off offset:416
	v_add_f64 v[167:168], v[167:168], v[42:43]
	v_add_f64 v[169:170], v[169:170], v[44:45]
	ds_load_b128 v[42:45], v1 offset:880
	v_fma_f64 v[165:166], v[165:166], v[14:15], v[171:172]
	v_fma_f64 v[163:164], v[163:164], v[14:15], -v[16:17]
	scratch_load_b128 v[14:17], off, off offset:432
	s_waitcnt vmcnt(10) lgkmcnt(1)
	v_mul_f64 v[177:178], v[2:3], v[20:21]
	v_mul_f64 v[20:21], v[4:5], v[20:21]
	s_waitcnt vmcnt(9) lgkmcnt(0)
	v_mul_f64 v[171:172], v[42:43], v[24:25]
	v_mul_f64 v[24:25], v[44:45], v[24:25]
	v_add_f64 v[167:168], v[167:168], v[175:176]
	v_add_f64 v[169:170], v[169:170], v[173:174]
	v_fma_f64 v[173:174], v[4:5], v[18:19], v[177:178]
	v_fma_f64 v[175:176], v[2:3], v[18:19], -v[20:21]
	ds_load_b128 v[2:5], v1 offset:896
	scratch_load_b128 v[18:21], off, off offset:448
	v_fma_f64 v[44:45], v[44:45], v[22:23], v[171:172]
	v_fma_f64 v[42:43], v[42:43], v[22:23], -v[24:25]
	scratch_load_b128 v[22:25], off, off offset:464
	v_add_f64 v[167:168], v[167:168], v[163:164]
	v_add_f64 v[169:170], v[169:170], v[165:166]
	ds_load_b128 v[163:166], v1 offset:912
	s_waitcnt vmcnt(10) lgkmcnt(1)
	v_mul_f64 v[177:178], v[2:3], v[28:29]
	v_mul_f64 v[28:29], v[4:5], v[28:29]
	s_waitcnt vmcnt(9) lgkmcnt(0)
	v_mul_f64 v[171:172], v[163:164], v[32:33]
	v_mul_f64 v[32:33], v[165:166], v[32:33]
	v_add_f64 v[167:168], v[167:168], v[175:176]
	v_add_f64 v[169:170], v[169:170], v[173:174]
	v_fma_f64 v[173:174], v[4:5], v[26:27], v[177:178]
	v_fma_f64 v[175:176], v[2:3], v[26:27], -v[28:29]
	ds_load_b128 v[2:5], v1 offset:928
	scratch_load_b128 v[26:29], off, off offset:480
	v_fma_f64 v[165:166], v[165:166], v[30:31], v[171:172]
	v_fma_f64 v[163:164], v[163:164], v[30:31], -v[32:33]
	scratch_load_b128 v[30:33], off, off offset:496
	v_add_f64 v[167:168], v[167:168], v[42:43]
	v_add_f64 v[169:170], v[169:170], v[44:45]
	ds_load_b128 v[42:45], v1 offset:944
	s_waitcnt vmcnt(10) lgkmcnt(1)
	v_mul_f64 v[177:178], v[2:3], v[36:37]
	v_mul_f64 v[36:37], v[4:5], v[36:37]
	s_waitcnt vmcnt(8) lgkmcnt(0)
	v_mul_f64 v[171:172], v[42:43], v[161:162]
	v_add_f64 v[167:168], v[167:168], v[175:176]
	v_add_f64 v[169:170], v[169:170], v[173:174]
	v_mul_f64 v[173:174], v[44:45], v[161:162]
	v_fma_f64 v[175:176], v[4:5], v[34:35], v[177:178]
	v_fma_f64 v[177:178], v[2:3], v[34:35], -v[36:37]
	ds_load_b128 v[2:5], v1 offset:960
	scratch_load_b128 v[34:37], off, off offset:512
	v_fma_f64 v[44:45], v[44:45], v[159:160], v[171:172]
	v_add_f64 v[167:168], v[167:168], v[163:164]
	v_add_f64 v[165:166], v[169:170], v[165:166]
	ds_load_b128 v[161:164], v1 offset:976
	v_fma_f64 v[159:160], v[42:43], v[159:160], -v[173:174]
	s_waitcnt vmcnt(8) lgkmcnt(1)
	v_mul_f64 v[169:170], v[2:3], v[40:41]
	v_mul_f64 v[179:180], v[4:5], v[40:41]
	scratch_load_b128 v[40:43], off, off offset:528
	s_waitcnt vmcnt(8) lgkmcnt(0)
	v_mul_f64 v[173:174], v[161:162], v[8:9]
	v_mul_f64 v[8:9], v[163:164], v[8:9]
	v_add_f64 v[167:168], v[167:168], v[177:178]
	v_add_f64 v[165:166], v[165:166], v[175:176]
	v_fma_f64 v[175:176], v[4:5], v[38:39], v[169:170]
	v_fma_f64 v[38:39], v[2:3], v[38:39], -v[179:180]
	ds_load_b128 v[2:5], v1 offset:992
	ds_load_b128 v[169:172], v1 offset:1008
	v_fma_f64 v[163:164], v[163:164], v[6:7], v[173:174]
	v_fma_f64 v[161:162], v[161:162], v[6:7], -v[8:9]
	scratch_load_b128 v[6:9], off, off offset:560
	v_add_f64 v[159:160], v[167:168], v[159:160]
	v_add_f64 v[44:45], v[165:166], v[44:45]
	scratch_load_b128 v[165:168], off, off offset:544
	s_waitcnt vmcnt(9) lgkmcnt(1)
	v_mul_f64 v[177:178], v[2:3], v[12:13]
	v_mul_f64 v[12:13], v[4:5], v[12:13]
	v_add_f64 v[38:39], v[159:160], v[38:39]
	v_add_f64 v[44:45], v[44:45], v[175:176]
	s_waitcnt vmcnt(8) lgkmcnt(0)
	v_mul_f64 v[159:160], v[169:170], v[16:17]
	v_mul_f64 v[16:17], v[171:172], v[16:17]
	v_fma_f64 v[173:174], v[4:5], v[10:11], v[177:178]
	v_fma_f64 v[175:176], v[2:3], v[10:11], -v[12:13]
	ds_load_b128 v[2:5], v1 offset:1024
	ds_load_b128 v[10:13], v1 offset:1040
	v_add_f64 v[38:39], v[38:39], v[161:162]
	v_add_f64 v[44:45], v[44:45], v[163:164]
	s_waitcnt vmcnt(7) lgkmcnt(1)
	v_mul_f64 v[161:162], v[2:3], v[20:21]
	v_mul_f64 v[20:21], v[4:5], v[20:21]
	v_fma_f64 v[159:160], v[171:172], v[14:15], v[159:160]
	v_fma_f64 v[14:15], v[169:170], v[14:15], -v[16:17]
	v_add_f64 v[16:17], v[38:39], v[175:176]
	v_add_f64 v[38:39], v[44:45], v[173:174]
	s_waitcnt vmcnt(6) lgkmcnt(0)
	v_mul_f64 v[44:45], v[10:11], v[24:25]
	v_mul_f64 v[24:25], v[12:13], v[24:25]
	v_fma_f64 v[161:162], v[4:5], v[18:19], v[161:162]
	v_fma_f64 v[18:19], v[2:3], v[18:19], -v[20:21]
	v_add_f64 v[20:21], v[16:17], v[14:15]
	v_add_f64 v[38:39], v[38:39], v[159:160]
	ds_load_b128 v[2:5], v1 offset:1056
	ds_load_b128 v[14:17], v1 offset:1072
	v_fma_f64 v[12:13], v[12:13], v[22:23], v[44:45]
	v_fma_f64 v[10:11], v[10:11], v[22:23], -v[24:25]
	s_waitcnt vmcnt(5) lgkmcnt(1)
	v_mul_f64 v[159:160], v[2:3], v[28:29]
	v_mul_f64 v[28:29], v[4:5], v[28:29]
	s_waitcnt vmcnt(4) lgkmcnt(0)
	v_mul_f64 v[22:23], v[14:15], v[32:33]
	v_mul_f64 v[24:25], v[16:17], v[32:33]
	v_add_f64 v[18:19], v[20:21], v[18:19]
	v_add_f64 v[20:21], v[38:39], v[161:162]
	v_fma_f64 v[32:33], v[4:5], v[26:27], v[159:160]
	v_fma_f64 v[26:27], v[2:3], v[26:27], -v[28:29]
	v_fma_f64 v[16:17], v[16:17], v[30:31], v[22:23]
	v_fma_f64 v[14:15], v[14:15], v[30:31], -v[24:25]
	v_add_f64 v[18:19], v[18:19], v[10:11]
	v_add_f64 v[20:21], v[20:21], v[12:13]
	ds_load_b128 v[2:5], v1 offset:1088
	ds_load_b128 v[10:13], v1 offset:1104
	s_waitcnt vmcnt(3) lgkmcnt(1)
	v_mul_f64 v[28:29], v[2:3], v[36:37]
	v_mul_f64 v[36:37], v[4:5], v[36:37]
	s_waitcnt vmcnt(2) lgkmcnt(0)
	v_mul_f64 v[22:23], v[10:11], v[42:43]
	v_add_f64 v[18:19], v[18:19], v[26:27]
	v_add_f64 v[20:21], v[20:21], v[32:33]
	v_mul_f64 v[24:25], v[12:13], v[42:43]
	v_fma_f64 v[26:27], v[4:5], v[34:35], v[28:29]
	v_fma_f64 v[28:29], v[2:3], v[34:35], -v[36:37]
	v_fma_f64 v[12:13], v[12:13], v[40:41], v[22:23]
	v_add_f64 v[18:19], v[18:19], v[14:15]
	v_add_f64 v[20:21], v[20:21], v[16:17]
	ds_load_b128 v[2:5], v1 offset:1120
	ds_load_b128 v[14:17], v1 offset:1136
	v_fma_f64 v[10:11], v[10:11], v[40:41], -v[24:25]
	s_waitcnt vmcnt(0) lgkmcnt(1)
	v_mul_f64 v[30:31], v[2:3], v[167:168]
	v_mul_f64 v[32:33], v[4:5], v[167:168]
	s_waitcnt lgkmcnt(0)
	v_mul_f64 v[22:23], v[14:15], v[8:9]
	v_mul_f64 v[8:9], v[16:17], v[8:9]
	v_add_f64 v[18:19], v[18:19], v[28:29]
	v_add_f64 v[20:21], v[20:21], v[26:27]
	v_fma_f64 v[4:5], v[4:5], v[165:166], v[30:31]
	v_fma_f64 v[1:2], v[2:3], v[165:166], -v[32:33]
	v_fma_f64 v[16:17], v[16:17], v[6:7], v[22:23]
	v_fma_f64 v[6:7], v[14:15], v[6:7], -v[8:9]
	v_add_f64 v[10:11], v[18:19], v[10:11]
	v_add_f64 v[12:13], v[20:21], v[12:13]
	s_delay_alu instid0(VALU_DEP_2) | instskip(NEXT) | instid1(VALU_DEP_2)
	v_add_f64 v[1:2], v[10:11], v[1:2]
	v_add_f64 v[3:4], v[12:13], v[4:5]
	s_delay_alu instid0(VALU_DEP_2) | instskip(NEXT) | instid1(VALU_DEP_2)
	;; [unrolled: 3-line block ×3, first 2 shown]
	v_add_f64 v[1:2], v[155:156], -v[1:2]
	v_add_f64 v[3:4], v[157:158], -v[3:4]
	scratch_store_b128 off, v[1:4], off offset:208
	v_cmpx_lt_u32_e32 12, v118
	s_cbranch_execz .LBB35_205
; %bb.204:
	scratch_load_b128 v[1:4], v134, off
	v_mov_b32_e32 v5, 0
	s_delay_alu instid0(VALU_DEP_1)
	v_mov_b32_e32 v6, v5
	v_mov_b32_e32 v7, v5
	;; [unrolled: 1-line block ×3, first 2 shown]
	scratch_store_b128 off, v[5:8], off offset:192
	s_waitcnt vmcnt(0)
	ds_store_b128 v154, v[1:4]
.LBB35_205:
	s_or_b32 exec_lo, exec_lo, s2
	s_waitcnt lgkmcnt(0)
	s_waitcnt_vscnt null, 0x0
	s_barrier
	buffer_gl0_inv
	s_clause 0x7
	scratch_load_b128 v[2:5], off, off offset:208
	scratch_load_b128 v[6:9], off, off offset:224
	;; [unrolled: 1-line block ×8, first 2 shown]
	v_mov_b32_e32 v1, 0
	s_mov_b32 s2, exec_lo
	ds_load_b128 v[34:37], v1 offset:784
	s_clause 0x1
	scratch_load_b128 v[38:41], off, off offset:336
	scratch_load_b128 v[42:45], off, off offset:192
	ds_load_b128 v[155:158], v1 offset:800
	scratch_load_b128 v[159:162], off, off offset:352
	s_waitcnt vmcnt(10) lgkmcnt(1)
	v_mul_f64 v[163:164], v[36:37], v[4:5]
	v_mul_f64 v[4:5], v[34:35], v[4:5]
	s_delay_alu instid0(VALU_DEP_2) | instskip(NEXT) | instid1(VALU_DEP_2)
	v_fma_f64 v[169:170], v[34:35], v[2:3], -v[163:164]
	v_fma_f64 v[171:172], v[36:37], v[2:3], v[4:5]
	scratch_load_b128 v[34:37], off, off offset:368
	ds_load_b128 v[2:5], v1 offset:816
	s_waitcnt vmcnt(10) lgkmcnt(1)
	v_mul_f64 v[167:168], v[155:156], v[8:9]
	v_mul_f64 v[8:9], v[157:158], v[8:9]
	ds_load_b128 v[163:166], v1 offset:832
	s_waitcnt vmcnt(9) lgkmcnt(1)
	v_mul_f64 v[173:174], v[2:3], v[12:13]
	v_mul_f64 v[12:13], v[4:5], v[12:13]
	v_fma_f64 v[157:158], v[157:158], v[6:7], v[167:168]
	v_fma_f64 v[155:156], v[155:156], v[6:7], -v[8:9]
	v_add_f64 v[167:168], v[169:170], 0
	v_add_f64 v[169:170], v[171:172], 0
	scratch_load_b128 v[6:9], off, off offset:384
	v_fma_f64 v[173:174], v[4:5], v[10:11], v[173:174]
	v_fma_f64 v[175:176], v[2:3], v[10:11], -v[12:13]
	scratch_load_b128 v[10:13], off, off offset:400
	ds_load_b128 v[2:5], v1 offset:848
	s_waitcnt vmcnt(10) lgkmcnt(1)
	v_mul_f64 v[171:172], v[163:164], v[16:17]
	v_mul_f64 v[16:17], v[165:166], v[16:17]
	v_add_f64 v[167:168], v[167:168], v[155:156]
	v_add_f64 v[169:170], v[169:170], v[157:158]
	s_waitcnt vmcnt(9) lgkmcnt(0)
	v_mul_f64 v[177:178], v[2:3], v[20:21]
	v_mul_f64 v[20:21], v[4:5], v[20:21]
	ds_load_b128 v[155:158], v1 offset:864
	v_fma_f64 v[165:166], v[165:166], v[14:15], v[171:172]
	v_fma_f64 v[163:164], v[163:164], v[14:15], -v[16:17]
	scratch_load_b128 v[14:17], off, off offset:416
	v_add_f64 v[167:168], v[167:168], v[175:176]
	v_add_f64 v[169:170], v[169:170], v[173:174]
	v_fma_f64 v[173:174], v[4:5], v[18:19], v[177:178]
	v_fma_f64 v[175:176], v[2:3], v[18:19], -v[20:21]
	scratch_load_b128 v[18:21], off, off offset:432
	ds_load_b128 v[2:5], v1 offset:880
	s_waitcnt vmcnt(10) lgkmcnt(1)
	v_mul_f64 v[171:172], v[155:156], v[24:25]
	v_mul_f64 v[24:25], v[157:158], v[24:25]
	s_waitcnt vmcnt(9) lgkmcnt(0)
	v_mul_f64 v[177:178], v[2:3], v[28:29]
	v_mul_f64 v[28:29], v[4:5], v[28:29]
	v_add_f64 v[167:168], v[167:168], v[163:164]
	v_add_f64 v[169:170], v[169:170], v[165:166]
	ds_load_b128 v[163:166], v1 offset:896
	v_fma_f64 v[157:158], v[157:158], v[22:23], v[171:172]
	v_fma_f64 v[155:156], v[155:156], v[22:23], -v[24:25]
	scratch_load_b128 v[22:25], off, off offset:448
	v_add_f64 v[167:168], v[167:168], v[175:176]
	v_add_f64 v[169:170], v[169:170], v[173:174]
	v_fma_f64 v[173:174], v[4:5], v[26:27], v[177:178]
	v_fma_f64 v[175:176], v[2:3], v[26:27], -v[28:29]
	scratch_load_b128 v[26:29], off, off offset:464
	ds_load_b128 v[2:5], v1 offset:912
	s_waitcnt vmcnt(10) lgkmcnt(1)
	v_mul_f64 v[171:172], v[163:164], v[32:33]
	v_mul_f64 v[32:33], v[165:166], v[32:33]
	s_waitcnt vmcnt(9) lgkmcnt(0)
	v_mul_f64 v[177:178], v[2:3], v[40:41]
	v_mul_f64 v[40:41], v[4:5], v[40:41]
	v_add_f64 v[167:168], v[167:168], v[155:156]
	v_add_f64 v[169:170], v[169:170], v[157:158]
	ds_load_b128 v[155:158], v1 offset:928
	v_fma_f64 v[165:166], v[165:166], v[30:31], v[171:172]
	v_fma_f64 v[163:164], v[163:164], v[30:31], -v[32:33]
	scratch_load_b128 v[30:33], off, off offset:480
	v_add_f64 v[167:168], v[167:168], v[175:176]
	v_add_f64 v[169:170], v[169:170], v[173:174]
	v_fma_f64 v[175:176], v[4:5], v[38:39], v[177:178]
	v_fma_f64 v[177:178], v[2:3], v[38:39], -v[40:41]
	scratch_load_b128 v[38:41], off, off offset:496
	ds_load_b128 v[2:5], v1 offset:944
	s_waitcnt vmcnt(9) lgkmcnt(1)
	v_mul_f64 v[171:172], v[155:156], v[161:162]
	v_mul_f64 v[173:174], v[157:158], v[161:162]
	v_add_f64 v[167:168], v[167:168], v[163:164]
	v_add_f64 v[165:166], v[169:170], v[165:166]
	ds_load_b128 v[161:164], v1 offset:960
	v_fma_f64 v[171:172], v[157:158], v[159:160], v[171:172]
	v_fma_f64 v[159:160], v[155:156], v[159:160], -v[173:174]
	scratch_load_b128 v[155:158], off, off offset:512
	s_waitcnt vmcnt(9) lgkmcnt(1)
	v_mul_f64 v[169:170], v[2:3], v[36:37]
	v_mul_f64 v[36:37], v[4:5], v[36:37]
	v_add_f64 v[167:168], v[167:168], v[177:178]
	v_add_f64 v[165:166], v[165:166], v[175:176]
	s_delay_alu instid0(VALU_DEP_4) | instskip(NEXT) | instid1(VALU_DEP_4)
	v_fma_f64 v[169:170], v[4:5], v[34:35], v[169:170]
	v_fma_f64 v[175:176], v[2:3], v[34:35], -v[36:37]
	scratch_load_b128 v[34:37], off, off offset:528
	ds_load_b128 v[2:5], v1 offset:976
	s_waitcnt vmcnt(9) lgkmcnt(1)
	v_mul_f64 v[173:174], v[161:162], v[8:9]
	v_mul_f64 v[8:9], v[163:164], v[8:9]
	s_waitcnt vmcnt(8) lgkmcnt(0)
	v_mul_f64 v[177:178], v[2:3], v[12:13]
	v_mul_f64 v[12:13], v[4:5], v[12:13]
	v_add_f64 v[159:160], v[167:168], v[159:160]
	v_add_f64 v[171:172], v[165:166], v[171:172]
	ds_load_b128 v[165:168], v1 offset:992
	v_fma_f64 v[163:164], v[163:164], v[6:7], v[173:174]
	v_fma_f64 v[161:162], v[161:162], v[6:7], -v[8:9]
	scratch_load_b128 v[6:9], off, off offset:544
	v_fma_f64 v[173:174], v[4:5], v[10:11], v[177:178]
	v_add_f64 v[159:160], v[159:160], v[175:176]
	v_add_f64 v[169:170], v[171:172], v[169:170]
	v_fma_f64 v[175:176], v[2:3], v[10:11], -v[12:13]
	scratch_load_b128 v[10:13], off, off offset:560
	ds_load_b128 v[2:5], v1 offset:1008
	s_waitcnt vmcnt(9) lgkmcnt(1)
	v_mul_f64 v[171:172], v[165:166], v[16:17]
	v_mul_f64 v[16:17], v[167:168], v[16:17]
	v_add_f64 v[177:178], v[159:160], v[161:162]
	v_add_f64 v[163:164], v[169:170], v[163:164]
	s_waitcnt vmcnt(8) lgkmcnt(0)
	v_mul_f64 v[169:170], v[2:3], v[20:21]
	v_mul_f64 v[20:21], v[4:5], v[20:21]
	ds_load_b128 v[159:162], v1 offset:1024
	v_fma_f64 v[167:168], v[167:168], v[14:15], v[171:172]
	v_fma_f64 v[14:15], v[165:166], v[14:15], -v[16:17]
	s_waitcnt vmcnt(7) lgkmcnt(0)
	v_mul_f64 v[165:166], v[159:160], v[24:25]
	v_mul_f64 v[24:25], v[161:162], v[24:25]
	v_add_f64 v[16:17], v[177:178], v[175:176]
	v_add_f64 v[163:164], v[163:164], v[173:174]
	v_fma_f64 v[169:170], v[4:5], v[18:19], v[169:170]
	v_fma_f64 v[18:19], v[2:3], v[18:19], -v[20:21]
	v_fma_f64 v[161:162], v[161:162], v[22:23], v[165:166]
	v_fma_f64 v[22:23], v[159:160], v[22:23], -v[24:25]
	v_add_f64 v[20:21], v[16:17], v[14:15]
	v_add_f64 v[163:164], v[163:164], v[167:168]
	ds_load_b128 v[2:5], v1 offset:1040
	ds_load_b128 v[14:17], v1 offset:1056
	s_waitcnt vmcnt(6) lgkmcnt(1)
	v_mul_f64 v[167:168], v[2:3], v[28:29]
	v_mul_f64 v[28:29], v[4:5], v[28:29]
	s_waitcnt vmcnt(5) lgkmcnt(0)
	v_mul_f64 v[24:25], v[14:15], v[32:33]
	v_mul_f64 v[32:33], v[16:17], v[32:33]
	v_add_f64 v[18:19], v[20:21], v[18:19]
	v_add_f64 v[20:21], v[163:164], v[169:170]
	v_fma_f64 v[159:160], v[4:5], v[26:27], v[167:168]
	v_fma_f64 v[26:27], v[2:3], v[26:27], -v[28:29]
	v_fma_f64 v[16:17], v[16:17], v[30:31], v[24:25]
	v_fma_f64 v[14:15], v[14:15], v[30:31], -v[32:33]
	v_add_f64 v[22:23], v[18:19], v[22:23]
	v_add_f64 v[28:29], v[20:21], v[161:162]
	ds_load_b128 v[2:5], v1 offset:1072
	ds_load_b128 v[18:21], v1 offset:1088
	s_waitcnt vmcnt(4) lgkmcnt(1)
	v_mul_f64 v[161:162], v[2:3], v[40:41]
	v_mul_f64 v[40:41], v[4:5], v[40:41]
	v_add_f64 v[22:23], v[22:23], v[26:27]
	v_add_f64 v[24:25], v[28:29], v[159:160]
	s_waitcnt vmcnt(3) lgkmcnt(0)
	v_mul_f64 v[26:27], v[18:19], v[157:158]
	v_mul_f64 v[28:29], v[20:21], v[157:158]
	v_fma_f64 v[30:31], v[4:5], v[38:39], v[161:162]
	v_fma_f64 v[32:33], v[2:3], v[38:39], -v[40:41]
	v_add_f64 v[22:23], v[22:23], v[14:15]
	v_add_f64 v[24:25], v[24:25], v[16:17]
	ds_load_b128 v[2:5], v1 offset:1104
	ds_load_b128 v[14:17], v1 offset:1120
	v_fma_f64 v[20:21], v[20:21], v[155:156], v[26:27]
	v_fma_f64 v[18:19], v[18:19], v[155:156], -v[28:29]
	s_waitcnt vmcnt(2) lgkmcnt(1)
	v_mul_f64 v[38:39], v[2:3], v[36:37]
	v_mul_f64 v[36:37], v[4:5], v[36:37]
	s_waitcnt vmcnt(1) lgkmcnt(0)
	v_mul_f64 v[26:27], v[14:15], v[8:9]
	v_mul_f64 v[8:9], v[16:17], v[8:9]
	v_add_f64 v[22:23], v[22:23], v[32:33]
	v_add_f64 v[24:25], v[24:25], v[30:31]
	v_fma_f64 v[28:29], v[4:5], v[34:35], v[38:39]
	v_fma_f64 v[30:31], v[2:3], v[34:35], -v[36:37]
	ds_load_b128 v[2:5], v1 offset:1136
	v_fma_f64 v[16:17], v[16:17], v[6:7], v[26:27]
	v_fma_f64 v[6:7], v[14:15], v[6:7], -v[8:9]
	v_add_f64 v[18:19], v[22:23], v[18:19]
	v_add_f64 v[20:21], v[24:25], v[20:21]
	s_waitcnt vmcnt(0) lgkmcnt(0)
	v_mul_f64 v[22:23], v[2:3], v[12:13]
	v_mul_f64 v[12:13], v[4:5], v[12:13]
	s_delay_alu instid0(VALU_DEP_4) | instskip(NEXT) | instid1(VALU_DEP_4)
	v_add_f64 v[8:9], v[18:19], v[30:31]
	v_add_f64 v[14:15], v[20:21], v[28:29]
	s_delay_alu instid0(VALU_DEP_4) | instskip(NEXT) | instid1(VALU_DEP_4)
	v_fma_f64 v[4:5], v[4:5], v[10:11], v[22:23]
	v_fma_f64 v[2:3], v[2:3], v[10:11], -v[12:13]
	s_delay_alu instid0(VALU_DEP_4) | instskip(NEXT) | instid1(VALU_DEP_4)
	v_add_f64 v[6:7], v[8:9], v[6:7]
	v_add_f64 v[8:9], v[14:15], v[16:17]
	s_delay_alu instid0(VALU_DEP_2) | instskip(NEXT) | instid1(VALU_DEP_2)
	v_add_f64 v[2:3], v[6:7], v[2:3]
	v_add_f64 v[4:5], v[8:9], v[4:5]
	s_delay_alu instid0(VALU_DEP_2) | instskip(NEXT) | instid1(VALU_DEP_2)
	v_add_f64 v[2:3], v[42:43], -v[2:3]
	v_add_f64 v[4:5], v[44:45], -v[4:5]
	scratch_store_b128 off, v[2:5], off offset:192
	v_cmpx_lt_u32_e32 11, v118
	s_cbranch_execz .LBB35_207
; %bb.206:
	scratch_load_b128 v[5:8], v137, off
	v_mov_b32_e32 v2, v1
	v_mov_b32_e32 v3, v1
	;; [unrolled: 1-line block ×3, first 2 shown]
	scratch_store_b128 off, v[1:4], off offset:176
	s_waitcnt vmcnt(0)
	ds_store_b128 v154, v[5:8]
.LBB35_207:
	s_or_b32 exec_lo, exec_lo, s2
	s_waitcnt lgkmcnt(0)
	s_waitcnt_vscnt null, 0x0
	s_barrier
	buffer_gl0_inv
	s_clause 0x8
	scratch_load_b128 v[2:5], off, off offset:192
	scratch_load_b128 v[6:9], off, off offset:208
	;; [unrolled: 1-line block ×9, first 2 shown]
	ds_load_b128 v[38:41], v1 offset:768
	ds_load_b128 v[42:45], v1 offset:784
	s_clause 0x1
	scratch_load_b128 v[155:158], off, off offset:176
	scratch_load_b128 v[159:162], off, off offset:336
	s_mov_b32 s2, exec_lo
	s_waitcnt vmcnt(10) lgkmcnt(1)
	v_mul_f64 v[163:164], v[40:41], v[4:5]
	v_mul_f64 v[4:5], v[38:39], v[4:5]
	s_waitcnt vmcnt(9) lgkmcnt(0)
	v_mul_f64 v[167:168], v[42:43], v[8:9]
	v_mul_f64 v[8:9], v[44:45], v[8:9]
	s_delay_alu instid0(VALU_DEP_4) | instskip(NEXT) | instid1(VALU_DEP_4)
	v_fma_f64 v[169:170], v[38:39], v[2:3], -v[163:164]
	v_fma_f64 v[171:172], v[40:41], v[2:3], v[4:5]
	ds_load_b128 v[2:5], v1 offset:800
	ds_load_b128 v[163:166], v1 offset:816
	scratch_load_b128 v[38:41], off, off offset:352
	v_fma_f64 v[44:45], v[44:45], v[6:7], v[167:168]
	v_fma_f64 v[42:43], v[42:43], v[6:7], -v[8:9]
	scratch_load_b128 v[6:9], off, off offset:368
	s_waitcnt vmcnt(10) lgkmcnt(1)
	v_mul_f64 v[173:174], v[2:3], v[12:13]
	v_mul_f64 v[12:13], v[4:5], v[12:13]
	v_add_f64 v[167:168], v[169:170], 0
	v_add_f64 v[169:170], v[171:172], 0
	s_waitcnt vmcnt(9) lgkmcnt(0)
	v_mul_f64 v[171:172], v[163:164], v[16:17]
	v_mul_f64 v[16:17], v[165:166], v[16:17]
	v_fma_f64 v[173:174], v[4:5], v[10:11], v[173:174]
	v_fma_f64 v[175:176], v[2:3], v[10:11], -v[12:13]
	ds_load_b128 v[2:5], v1 offset:832
	scratch_load_b128 v[10:13], off, off offset:384
	v_add_f64 v[167:168], v[167:168], v[42:43]
	v_add_f64 v[169:170], v[169:170], v[44:45]
	ds_load_b128 v[42:45], v1 offset:848
	v_fma_f64 v[165:166], v[165:166], v[14:15], v[171:172]
	v_fma_f64 v[163:164], v[163:164], v[14:15], -v[16:17]
	scratch_load_b128 v[14:17], off, off offset:400
	s_waitcnt vmcnt(10) lgkmcnt(1)
	v_mul_f64 v[177:178], v[2:3], v[20:21]
	v_mul_f64 v[20:21], v[4:5], v[20:21]
	s_waitcnt vmcnt(9) lgkmcnt(0)
	v_mul_f64 v[171:172], v[42:43], v[24:25]
	v_mul_f64 v[24:25], v[44:45], v[24:25]
	v_add_f64 v[167:168], v[167:168], v[175:176]
	v_add_f64 v[169:170], v[169:170], v[173:174]
	v_fma_f64 v[173:174], v[4:5], v[18:19], v[177:178]
	v_fma_f64 v[175:176], v[2:3], v[18:19], -v[20:21]
	ds_load_b128 v[2:5], v1 offset:864
	scratch_load_b128 v[18:21], off, off offset:416
	v_fma_f64 v[44:45], v[44:45], v[22:23], v[171:172]
	v_fma_f64 v[42:43], v[42:43], v[22:23], -v[24:25]
	scratch_load_b128 v[22:25], off, off offset:432
	v_add_f64 v[167:168], v[167:168], v[163:164]
	v_add_f64 v[169:170], v[169:170], v[165:166]
	ds_load_b128 v[163:166], v1 offset:880
	s_waitcnt vmcnt(10) lgkmcnt(1)
	v_mul_f64 v[177:178], v[2:3], v[28:29]
	v_mul_f64 v[28:29], v[4:5], v[28:29]
	s_waitcnt vmcnt(9) lgkmcnt(0)
	v_mul_f64 v[171:172], v[163:164], v[32:33]
	v_mul_f64 v[32:33], v[165:166], v[32:33]
	v_add_f64 v[167:168], v[167:168], v[175:176]
	v_add_f64 v[169:170], v[169:170], v[173:174]
	v_fma_f64 v[173:174], v[4:5], v[26:27], v[177:178]
	v_fma_f64 v[175:176], v[2:3], v[26:27], -v[28:29]
	ds_load_b128 v[2:5], v1 offset:896
	scratch_load_b128 v[26:29], off, off offset:448
	v_fma_f64 v[165:166], v[165:166], v[30:31], v[171:172]
	v_fma_f64 v[163:164], v[163:164], v[30:31], -v[32:33]
	scratch_load_b128 v[30:33], off, off offset:464
	v_add_f64 v[167:168], v[167:168], v[42:43]
	v_add_f64 v[169:170], v[169:170], v[44:45]
	ds_load_b128 v[42:45], v1 offset:912
	s_waitcnt vmcnt(10) lgkmcnt(1)
	v_mul_f64 v[177:178], v[2:3], v[36:37]
	v_mul_f64 v[36:37], v[4:5], v[36:37]
	s_waitcnt vmcnt(8) lgkmcnt(0)
	v_mul_f64 v[171:172], v[42:43], v[161:162]
	v_add_f64 v[167:168], v[167:168], v[175:176]
	v_add_f64 v[169:170], v[169:170], v[173:174]
	v_mul_f64 v[173:174], v[44:45], v[161:162]
	v_fma_f64 v[175:176], v[4:5], v[34:35], v[177:178]
	v_fma_f64 v[177:178], v[2:3], v[34:35], -v[36:37]
	ds_load_b128 v[2:5], v1 offset:928
	scratch_load_b128 v[34:37], off, off offset:480
	v_fma_f64 v[44:45], v[44:45], v[159:160], v[171:172]
	v_add_f64 v[167:168], v[167:168], v[163:164]
	v_add_f64 v[165:166], v[169:170], v[165:166]
	ds_load_b128 v[161:164], v1 offset:944
	v_fma_f64 v[159:160], v[42:43], v[159:160], -v[173:174]
	s_waitcnt vmcnt(8) lgkmcnt(1)
	v_mul_f64 v[169:170], v[2:3], v[40:41]
	v_mul_f64 v[179:180], v[4:5], v[40:41]
	scratch_load_b128 v[40:43], off, off offset:496
	s_waitcnt vmcnt(8) lgkmcnt(0)
	v_mul_f64 v[173:174], v[161:162], v[8:9]
	v_mul_f64 v[8:9], v[163:164], v[8:9]
	v_add_f64 v[167:168], v[167:168], v[177:178]
	v_add_f64 v[165:166], v[165:166], v[175:176]
	v_fma_f64 v[175:176], v[4:5], v[38:39], v[169:170]
	v_fma_f64 v[38:39], v[2:3], v[38:39], -v[179:180]
	ds_load_b128 v[2:5], v1 offset:960
	ds_load_b128 v[169:172], v1 offset:976
	v_fma_f64 v[163:164], v[163:164], v[6:7], v[173:174]
	v_fma_f64 v[161:162], v[161:162], v[6:7], -v[8:9]
	scratch_load_b128 v[6:9], off, off offset:528
	v_add_f64 v[159:160], v[167:168], v[159:160]
	v_add_f64 v[44:45], v[165:166], v[44:45]
	scratch_load_b128 v[165:168], off, off offset:512
	s_waitcnt vmcnt(9) lgkmcnt(1)
	v_mul_f64 v[177:178], v[2:3], v[12:13]
	v_mul_f64 v[12:13], v[4:5], v[12:13]
	s_waitcnt vmcnt(8) lgkmcnt(0)
	v_mul_f64 v[173:174], v[169:170], v[16:17]
	v_mul_f64 v[16:17], v[171:172], v[16:17]
	v_add_f64 v[38:39], v[159:160], v[38:39]
	v_add_f64 v[44:45], v[44:45], v[175:176]
	v_fma_f64 v[175:176], v[4:5], v[10:11], v[177:178]
	v_fma_f64 v[177:178], v[2:3], v[10:11], -v[12:13]
	ds_load_b128 v[2:5], v1 offset:992
	scratch_load_b128 v[10:13], off, off offset:544
	v_fma_f64 v[171:172], v[171:172], v[14:15], v[173:174]
	v_fma_f64 v[169:170], v[169:170], v[14:15], -v[16:17]
	scratch_load_b128 v[14:17], off, off offset:560
	v_add_f64 v[38:39], v[38:39], v[161:162]
	v_add_f64 v[44:45], v[44:45], v[163:164]
	ds_load_b128 v[159:162], v1 offset:1008
	s_waitcnt vmcnt(9) lgkmcnt(1)
	v_mul_f64 v[163:164], v[2:3], v[20:21]
	v_mul_f64 v[20:21], v[4:5], v[20:21]
	s_waitcnt vmcnt(8) lgkmcnt(0)
	v_mul_f64 v[173:174], v[159:160], v[24:25]
	v_mul_f64 v[24:25], v[161:162], v[24:25]
	v_add_f64 v[38:39], v[38:39], v[177:178]
	v_add_f64 v[44:45], v[44:45], v[175:176]
	v_fma_f64 v[163:164], v[4:5], v[18:19], v[163:164]
	v_fma_f64 v[175:176], v[2:3], v[18:19], -v[20:21]
	ds_load_b128 v[2:5], v1 offset:1024
	ds_load_b128 v[18:21], v1 offset:1040
	v_fma_f64 v[161:162], v[161:162], v[22:23], v[173:174]
	v_fma_f64 v[22:23], v[159:160], v[22:23], -v[24:25]
	v_add_f64 v[38:39], v[38:39], v[169:170]
	v_add_f64 v[44:45], v[44:45], v[171:172]
	s_waitcnt vmcnt(7) lgkmcnt(1)
	v_mul_f64 v[169:170], v[2:3], v[28:29]
	v_mul_f64 v[28:29], v[4:5], v[28:29]
	s_delay_alu instid0(VALU_DEP_4) | instskip(NEXT) | instid1(VALU_DEP_4)
	v_add_f64 v[24:25], v[38:39], v[175:176]
	v_add_f64 v[38:39], v[44:45], v[163:164]
	s_waitcnt vmcnt(6) lgkmcnt(0)
	v_mul_f64 v[44:45], v[18:19], v[32:33]
	v_mul_f64 v[32:33], v[20:21], v[32:33]
	v_fma_f64 v[159:160], v[4:5], v[26:27], v[169:170]
	v_fma_f64 v[26:27], v[2:3], v[26:27], -v[28:29]
	v_add_f64 v[28:29], v[24:25], v[22:23]
	v_add_f64 v[38:39], v[38:39], v[161:162]
	ds_load_b128 v[2:5], v1 offset:1056
	ds_load_b128 v[22:25], v1 offset:1072
	v_fma_f64 v[20:21], v[20:21], v[30:31], v[44:45]
	v_fma_f64 v[18:19], v[18:19], v[30:31], -v[32:33]
	s_waitcnt vmcnt(5) lgkmcnt(1)
	v_mul_f64 v[161:162], v[2:3], v[36:37]
	v_mul_f64 v[36:37], v[4:5], v[36:37]
	s_waitcnt vmcnt(4) lgkmcnt(0)
	v_mul_f64 v[30:31], v[22:23], v[42:43]
	v_add_f64 v[26:27], v[28:29], v[26:27]
	v_add_f64 v[28:29], v[38:39], v[159:160]
	v_mul_f64 v[32:33], v[24:25], v[42:43]
	v_fma_f64 v[38:39], v[4:5], v[34:35], v[161:162]
	v_fma_f64 v[34:35], v[2:3], v[34:35], -v[36:37]
	v_fma_f64 v[24:25], v[24:25], v[40:41], v[30:31]
	v_add_f64 v[26:27], v[26:27], v[18:19]
	v_add_f64 v[28:29], v[28:29], v[20:21]
	ds_load_b128 v[2:5], v1 offset:1088
	ds_load_b128 v[18:21], v1 offset:1104
	v_fma_f64 v[22:23], v[22:23], v[40:41], -v[32:33]
	s_waitcnt vmcnt(2) lgkmcnt(1)
	v_mul_f64 v[36:37], v[2:3], v[167:168]
	v_mul_f64 v[42:43], v[4:5], v[167:168]
	s_waitcnt lgkmcnt(0)
	v_mul_f64 v[30:31], v[18:19], v[8:9]
	v_mul_f64 v[8:9], v[20:21], v[8:9]
	v_add_f64 v[26:27], v[26:27], v[34:35]
	v_add_f64 v[28:29], v[28:29], v[38:39]
	v_fma_f64 v[32:33], v[4:5], v[165:166], v[36:37]
	v_fma_f64 v[34:35], v[2:3], v[165:166], -v[42:43]
	v_fma_f64 v[20:21], v[20:21], v[6:7], v[30:31]
	v_fma_f64 v[6:7], v[18:19], v[6:7], -v[8:9]
	v_add_f64 v[26:27], v[26:27], v[22:23]
	v_add_f64 v[28:29], v[28:29], v[24:25]
	ds_load_b128 v[2:5], v1 offset:1120
	ds_load_b128 v[22:25], v1 offset:1136
	s_waitcnt vmcnt(1) lgkmcnt(1)
	v_mul_f64 v[36:37], v[2:3], v[12:13]
	v_mul_f64 v[12:13], v[4:5], v[12:13]
	v_add_f64 v[8:9], v[26:27], v[34:35]
	v_add_f64 v[18:19], v[28:29], v[32:33]
	s_waitcnt vmcnt(0) lgkmcnt(0)
	v_mul_f64 v[26:27], v[22:23], v[16:17]
	v_mul_f64 v[16:17], v[24:25], v[16:17]
	v_fma_f64 v[4:5], v[4:5], v[10:11], v[36:37]
	v_fma_f64 v[1:2], v[2:3], v[10:11], -v[12:13]
	v_add_f64 v[6:7], v[8:9], v[6:7]
	v_add_f64 v[8:9], v[18:19], v[20:21]
	v_fma_f64 v[10:11], v[24:25], v[14:15], v[26:27]
	v_fma_f64 v[12:13], v[22:23], v[14:15], -v[16:17]
	s_delay_alu instid0(VALU_DEP_4) | instskip(NEXT) | instid1(VALU_DEP_4)
	v_add_f64 v[1:2], v[6:7], v[1:2]
	v_add_f64 v[3:4], v[8:9], v[4:5]
	s_delay_alu instid0(VALU_DEP_2) | instskip(NEXT) | instid1(VALU_DEP_2)
	v_add_f64 v[1:2], v[1:2], v[12:13]
	v_add_f64 v[3:4], v[3:4], v[10:11]
	s_delay_alu instid0(VALU_DEP_2) | instskip(NEXT) | instid1(VALU_DEP_2)
	v_add_f64 v[1:2], v[155:156], -v[1:2]
	v_add_f64 v[3:4], v[157:158], -v[3:4]
	scratch_store_b128 off, v[1:4], off offset:176
	v_cmpx_lt_u32_e32 10, v118
	s_cbranch_execz .LBB35_209
; %bb.208:
	scratch_load_b128 v[1:4], v135, off
	v_mov_b32_e32 v5, 0
	s_delay_alu instid0(VALU_DEP_1)
	v_mov_b32_e32 v6, v5
	v_mov_b32_e32 v7, v5
	;; [unrolled: 1-line block ×3, first 2 shown]
	scratch_store_b128 off, v[5:8], off offset:160
	s_waitcnt vmcnt(0)
	ds_store_b128 v154, v[1:4]
.LBB35_209:
	s_or_b32 exec_lo, exec_lo, s2
	s_waitcnt lgkmcnt(0)
	s_waitcnt_vscnt null, 0x0
	s_barrier
	buffer_gl0_inv
	s_clause 0x7
	scratch_load_b128 v[2:5], off, off offset:176
	scratch_load_b128 v[6:9], off, off offset:192
	;; [unrolled: 1-line block ×8, first 2 shown]
	v_mov_b32_e32 v1, 0
	s_mov_b32 s2, exec_lo
	ds_load_b128 v[34:37], v1 offset:752
	s_clause 0x1
	scratch_load_b128 v[38:41], off, off offset:304
	scratch_load_b128 v[42:45], off, off offset:160
	ds_load_b128 v[155:158], v1 offset:768
	scratch_load_b128 v[159:162], off, off offset:320
	s_waitcnt vmcnt(10) lgkmcnt(1)
	v_mul_f64 v[163:164], v[36:37], v[4:5]
	v_mul_f64 v[4:5], v[34:35], v[4:5]
	s_delay_alu instid0(VALU_DEP_2) | instskip(NEXT) | instid1(VALU_DEP_2)
	v_fma_f64 v[169:170], v[34:35], v[2:3], -v[163:164]
	v_fma_f64 v[171:172], v[36:37], v[2:3], v[4:5]
	scratch_load_b128 v[34:37], off, off offset:336
	ds_load_b128 v[2:5], v1 offset:784
	s_waitcnt vmcnt(10) lgkmcnt(1)
	v_mul_f64 v[167:168], v[155:156], v[8:9]
	v_mul_f64 v[8:9], v[157:158], v[8:9]
	ds_load_b128 v[163:166], v1 offset:800
	s_waitcnt vmcnt(9) lgkmcnt(1)
	v_mul_f64 v[173:174], v[2:3], v[12:13]
	v_mul_f64 v[12:13], v[4:5], v[12:13]
	v_fma_f64 v[157:158], v[157:158], v[6:7], v[167:168]
	v_fma_f64 v[155:156], v[155:156], v[6:7], -v[8:9]
	v_add_f64 v[167:168], v[169:170], 0
	v_add_f64 v[169:170], v[171:172], 0
	scratch_load_b128 v[6:9], off, off offset:352
	v_fma_f64 v[173:174], v[4:5], v[10:11], v[173:174]
	v_fma_f64 v[175:176], v[2:3], v[10:11], -v[12:13]
	scratch_load_b128 v[10:13], off, off offset:368
	ds_load_b128 v[2:5], v1 offset:816
	s_waitcnt vmcnt(10) lgkmcnt(1)
	v_mul_f64 v[171:172], v[163:164], v[16:17]
	v_mul_f64 v[16:17], v[165:166], v[16:17]
	v_add_f64 v[167:168], v[167:168], v[155:156]
	v_add_f64 v[169:170], v[169:170], v[157:158]
	s_waitcnt vmcnt(9) lgkmcnt(0)
	v_mul_f64 v[177:178], v[2:3], v[20:21]
	v_mul_f64 v[20:21], v[4:5], v[20:21]
	ds_load_b128 v[155:158], v1 offset:832
	v_fma_f64 v[165:166], v[165:166], v[14:15], v[171:172]
	v_fma_f64 v[163:164], v[163:164], v[14:15], -v[16:17]
	scratch_load_b128 v[14:17], off, off offset:384
	v_add_f64 v[167:168], v[167:168], v[175:176]
	v_add_f64 v[169:170], v[169:170], v[173:174]
	v_fma_f64 v[173:174], v[4:5], v[18:19], v[177:178]
	v_fma_f64 v[175:176], v[2:3], v[18:19], -v[20:21]
	scratch_load_b128 v[18:21], off, off offset:400
	ds_load_b128 v[2:5], v1 offset:848
	s_waitcnt vmcnt(10) lgkmcnt(1)
	v_mul_f64 v[171:172], v[155:156], v[24:25]
	v_mul_f64 v[24:25], v[157:158], v[24:25]
	s_waitcnt vmcnt(9) lgkmcnt(0)
	v_mul_f64 v[177:178], v[2:3], v[28:29]
	v_mul_f64 v[28:29], v[4:5], v[28:29]
	v_add_f64 v[167:168], v[167:168], v[163:164]
	v_add_f64 v[169:170], v[169:170], v[165:166]
	ds_load_b128 v[163:166], v1 offset:864
	v_fma_f64 v[157:158], v[157:158], v[22:23], v[171:172]
	v_fma_f64 v[155:156], v[155:156], v[22:23], -v[24:25]
	scratch_load_b128 v[22:25], off, off offset:416
	v_add_f64 v[167:168], v[167:168], v[175:176]
	v_add_f64 v[169:170], v[169:170], v[173:174]
	v_fma_f64 v[173:174], v[4:5], v[26:27], v[177:178]
	v_fma_f64 v[175:176], v[2:3], v[26:27], -v[28:29]
	scratch_load_b128 v[26:29], off, off offset:432
	ds_load_b128 v[2:5], v1 offset:880
	s_waitcnt vmcnt(10) lgkmcnt(1)
	v_mul_f64 v[171:172], v[163:164], v[32:33]
	v_mul_f64 v[32:33], v[165:166], v[32:33]
	s_waitcnt vmcnt(9) lgkmcnt(0)
	v_mul_f64 v[177:178], v[2:3], v[40:41]
	v_mul_f64 v[40:41], v[4:5], v[40:41]
	v_add_f64 v[167:168], v[167:168], v[155:156]
	v_add_f64 v[169:170], v[169:170], v[157:158]
	ds_load_b128 v[155:158], v1 offset:896
	v_fma_f64 v[165:166], v[165:166], v[30:31], v[171:172]
	v_fma_f64 v[163:164], v[163:164], v[30:31], -v[32:33]
	scratch_load_b128 v[30:33], off, off offset:448
	v_add_f64 v[167:168], v[167:168], v[175:176]
	v_add_f64 v[169:170], v[169:170], v[173:174]
	v_fma_f64 v[175:176], v[4:5], v[38:39], v[177:178]
	v_fma_f64 v[177:178], v[2:3], v[38:39], -v[40:41]
	scratch_load_b128 v[38:41], off, off offset:464
	ds_load_b128 v[2:5], v1 offset:912
	s_waitcnt vmcnt(9) lgkmcnt(1)
	v_mul_f64 v[171:172], v[155:156], v[161:162]
	v_mul_f64 v[173:174], v[157:158], v[161:162]
	v_add_f64 v[167:168], v[167:168], v[163:164]
	v_add_f64 v[165:166], v[169:170], v[165:166]
	ds_load_b128 v[161:164], v1 offset:928
	v_fma_f64 v[171:172], v[157:158], v[159:160], v[171:172]
	v_fma_f64 v[159:160], v[155:156], v[159:160], -v[173:174]
	scratch_load_b128 v[155:158], off, off offset:480
	s_waitcnt vmcnt(9) lgkmcnt(1)
	v_mul_f64 v[169:170], v[2:3], v[36:37]
	v_mul_f64 v[36:37], v[4:5], v[36:37]
	v_add_f64 v[167:168], v[167:168], v[177:178]
	v_add_f64 v[165:166], v[165:166], v[175:176]
	s_delay_alu instid0(VALU_DEP_4) | instskip(NEXT) | instid1(VALU_DEP_4)
	v_fma_f64 v[169:170], v[4:5], v[34:35], v[169:170]
	v_fma_f64 v[175:176], v[2:3], v[34:35], -v[36:37]
	scratch_load_b128 v[34:37], off, off offset:496
	ds_load_b128 v[2:5], v1 offset:944
	s_waitcnt vmcnt(9) lgkmcnt(1)
	v_mul_f64 v[173:174], v[161:162], v[8:9]
	v_mul_f64 v[8:9], v[163:164], v[8:9]
	s_waitcnt vmcnt(8) lgkmcnt(0)
	v_mul_f64 v[177:178], v[2:3], v[12:13]
	v_mul_f64 v[12:13], v[4:5], v[12:13]
	v_add_f64 v[159:160], v[167:168], v[159:160]
	v_add_f64 v[171:172], v[165:166], v[171:172]
	ds_load_b128 v[165:168], v1 offset:960
	v_fma_f64 v[163:164], v[163:164], v[6:7], v[173:174]
	v_fma_f64 v[161:162], v[161:162], v[6:7], -v[8:9]
	scratch_load_b128 v[6:9], off, off offset:512
	v_fma_f64 v[173:174], v[4:5], v[10:11], v[177:178]
	v_add_f64 v[159:160], v[159:160], v[175:176]
	v_add_f64 v[169:170], v[171:172], v[169:170]
	v_fma_f64 v[175:176], v[2:3], v[10:11], -v[12:13]
	scratch_load_b128 v[10:13], off, off offset:528
	ds_load_b128 v[2:5], v1 offset:976
	s_waitcnt vmcnt(9) lgkmcnt(1)
	v_mul_f64 v[171:172], v[165:166], v[16:17]
	v_mul_f64 v[16:17], v[167:168], v[16:17]
	v_add_f64 v[177:178], v[159:160], v[161:162]
	v_add_f64 v[163:164], v[169:170], v[163:164]
	s_waitcnt vmcnt(8) lgkmcnt(0)
	v_mul_f64 v[169:170], v[2:3], v[20:21]
	v_mul_f64 v[20:21], v[4:5], v[20:21]
	ds_load_b128 v[159:162], v1 offset:992
	v_fma_f64 v[167:168], v[167:168], v[14:15], v[171:172]
	v_fma_f64 v[165:166], v[165:166], v[14:15], -v[16:17]
	scratch_load_b128 v[14:17], off, off offset:544
	v_add_f64 v[171:172], v[177:178], v[175:176]
	v_add_f64 v[163:164], v[163:164], v[173:174]
	v_fma_f64 v[169:170], v[4:5], v[18:19], v[169:170]
	v_fma_f64 v[175:176], v[2:3], v[18:19], -v[20:21]
	scratch_load_b128 v[18:21], off, off offset:560
	ds_load_b128 v[2:5], v1 offset:1008
	s_waitcnt vmcnt(9) lgkmcnt(1)
	v_mul_f64 v[173:174], v[159:160], v[24:25]
	v_mul_f64 v[24:25], v[161:162], v[24:25]
	s_waitcnt vmcnt(8) lgkmcnt(0)
	v_mul_f64 v[177:178], v[2:3], v[28:29]
	v_mul_f64 v[28:29], v[4:5], v[28:29]
	v_add_f64 v[171:172], v[171:172], v[165:166]
	v_add_f64 v[167:168], v[163:164], v[167:168]
	ds_load_b128 v[163:166], v1 offset:1024
	v_fma_f64 v[161:162], v[161:162], v[22:23], v[173:174]
	v_fma_f64 v[22:23], v[159:160], v[22:23], -v[24:25]
	v_add_f64 v[24:25], v[171:172], v[175:176]
	v_add_f64 v[159:160], v[167:168], v[169:170]
	s_waitcnt vmcnt(7) lgkmcnt(0)
	v_mul_f64 v[167:168], v[163:164], v[32:33]
	v_mul_f64 v[32:33], v[165:166], v[32:33]
	v_fma_f64 v[169:170], v[4:5], v[26:27], v[177:178]
	v_fma_f64 v[26:27], v[2:3], v[26:27], -v[28:29]
	v_add_f64 v[28:29], v[24:25], v[22:23]
	v_add_f64 v[159:160], v[159:160], v[161:162]
	ds_load_b128 v[2:5], v1 offset:1040
	ds_load_b128 v[22:25], v1 offset:1056
	v_fma_f64 v[165:166], v[165:166], v[30:31], v[167:168]
	v_fma_f64 v[30:31], v[163:164], v[30:31], -v[32:33]
	s_waitcnt vmcnt(6) lgkmcnt(1)
	v_mul_f64 v[161:162], v[2:3], v[40:41]
	v_mul_f64 v[40:41], v[4:5], v[40:41]
	s_waitcnt vmcnt(5) lgkmcnt(0)
	v_mul_f64 v[32:33], v[22:23], v[157:158]
	v_mul_f64 v[157:158], v[24:25], v[157:158]
	v_add_f64 v[26:27], v[28:29], v[26:27]
	v_add_f64 v[28:29], v[159:160], v[169:170]
	v_fma_f64 v[159:160], v[4:5], v[38:39], v[161:162]
	v_fma_f64 v[38:39], v[2:3], v[38:39], -v[40:41]
	v_fma_f64 v[24:25], v[24:25], v[155:156], v[32:33]
	v_fma_f64 v[22:23], v[22:23], v[155:156], -v[157:158]
	v_add_f64 v[30:31], v[26:27], v[30:31]
	v_add_f64 v[40:41], v[28:29], v[165:166]
	ds_load_b128 v[2:5], v1 offset:1072
	ds_load_b128 v[26:29], v1 offset:1088
	s_waitcnt vmcnt(4) lgkmcnt(1)
	v_mul_f64 v[161:162], v[2:3], v[36:37]
	v_mul_f64 v[36:37], v[4:5], v[36:37]
	v_add_f64 v[30:31], v[30:31], v[38:39]
	v_add_f64 v[32:33], v[40:41], v[159:160]
	s_waitcnt vmcnt(3) lgkmcnt(0)
	v_mul_f64 v[38:39], v[26:27], v[8:9]
	v_mul_f64 v[8:9], v[28:29], v[8:9]
	v_fma_f64 v[40:41], v[4:5], v[34:35], v[161:162]
	v_fma_f64 v[34:35], v[2:3], v[34:35], -v[36:37]
	v_add_f64 v[30:31], v[30:31], v[22:23]
	v_add_f64 v[32:33], v[32:33], v[24:25]
	ds_load_b128 v[2:5], v1 offset:1104
	ds_load_b128 v[22:25], v1 offset:1120
	v_fma_f64 v[28:29], v[28:29], v[6:7], v[38:39]
	v_fma_f64 v[6:7], v[26:27], v[6:7], -v[8:9]
	s_waitcnt vmcnt(2) lgkmcnt(1)
	v_mul_f64 v[36:37], v[2:3], v[12:13]
	v_mul_f64 v[12:13], v[4:5], v[12:13]
	v_add_f64 v[8:9], v[30:31], v[34:35]
	v_add_f64 v[26:27], v[32:33], v[40:41]
	s_waitcnt vmcnt(1) lgkmcnt(0)
	v_mul_f64 v[30:31], v[22:23], v[16:17]
	v_mul_f64 v[16:17], v[24:25], v[16:17]
	v_fma_f64 v[32:33], v[4:5], v[10:11], v[36:37]
	v_fma_f64 v[10:11], v[2:3], v[10:11], -v[12:13]
	ds_load_b128 v[2:5], v1 offset:1136
	v_add_f64 v[6:7], v[8:9], v[6:7]
	v_add_f64 v[8:9], v[26:27], v[28:29]
	v_fma_f64 v[24:25], v[24:25], v[14:15], v[30:31]
	v_fma_f64 v[14:15], v[22:23], v[14:15], -v[16:17]
	s_waitcnt vmcnt(0) lgkmcnt(0)
	v_mul_f64 v[12:13], v[2:3], v[20:21]
	v_mul_f64 v[20:21], v[4:5], v[20:21]
	v_add_f64 v[6:7], v[6:7], v[10:11]
	v_add_f64 v[8:9], v[8:9], v[32:33]
	s_delay_alu instid0(VALU_DEP_4) | instskip(NEXT) | instid1(VALU_DEP_4)
	v_fma_f64 v[4:5], v[4:5], v[18:19], v[12:13]
	v_fma_f64 v[2:3], v[2:3], v[18:19], -v[20:21]
	s_delay_alu instid0(VALU_DEP_4) | instskip(NEXT) | instid1(VALU_DEP_4)
	v_add_f64 v[6:7], v[6:7], v[14:15]
	v_add_f64 v[8:9], v[8:9], v[24:25]
	s_delay_alu instid0(VALU_DEP_2) | instskip(NEXT) | instid1(VALU_DEP_2)
	v_add_f64 v[2:3], v[6:7], v[2:3]
	v_add_f64 v[4:5], v[8:9], v[4:5]
	s_delay_alu instid0(VALU_DEP_2) | instskip(NEXT) | instid1(VALU_DEP_2)
	v_add_f64 v[2:3], v[42:43], -v[2:3]
	v_add_f64 v[4:5], v[44:45], -v[4:5]
	scratch_store_b128 off, v[2:5], off offset:160
	v_cmpx_lt_u32_e32 9, v118
	s_cbranch_execz .LBB35_211
; %bb.210:
	scratch_load_b128 v[5:8], v138, off
	v_mov_b32_e32 v2, v1
	v_mov_b32_e32 v3, v1
	;; [unrolled: 1-line block ×3, first 2 shown]
	scratch_store_b128 off, v[1:4], off offset:144
	s_waitcnt vmcnt(0)
	ds_store_b128 v154, v[5:8]
.LBB35_211:
	s_or_b32 exec_lo, exec_lo, s2
	s_waitcnt lgkmcnt(0)
	s_waitcnt_vscnt null, 0x0
	s_barrier
	buffer_gl0_inv
	s_clause 0x8
	scratch_load_b128 v[2:5], off, off offset:160
	scratch_load_b128 v[6:9], off, off offset:176
	;; [unrolled: 1-line block ×9, first 2 shown]
	ds_load_b128 v[38:41], v1 offset:736
	ds_load_b128 v[42:45], v1 offset:752
	s_clause 0x1
	scratch_load_b128 v[155:158], off, off offset:144
	scratch_load_b128 v[159:162], off, off offset:304
	s_mov_b32 s2, exec_lo
	s_waitcnt vmcnt(10) lgkmcnt(1)
	v_mul_f64 v[163:164], v[40:41], v[4:5]
	v_mul_f64 v[4:5], v[38:39], v[4:5]
	s_waitcnt vmcnt(9) lgkmcnt(0)
	v_mul_f64 v[167:168], v[42:43], v[8:9]
	v_mul_f64 v[8:9], v[44:45], v[8:9]
	s_delay_alu instid0(VALU_DEP_4) | instskip(NEXT) | instid1(VALU_DEP_4)
	v_fma_f64 v[169:170], v[38:39], v[2:3], -v[163:164]
	v_fma_f64 v[171:172], v[40:41], v[2:3], v[4:5]
	ds_load_b128 v[2:5], v1 offset:768
	ds_load_b128 v[163:166], v1 offset:784
	scratch_load_b128 v[38:41], off, off offset:320
	v_fma_f64 v[44:45], v[44:45], v[6:7], v[167:168]
	v_fma_f64 v[42:43], v[42:43], v[6:7], -v[8:9]
	scratch_load_b128 v[6:9], off, off offset:336
	s_waitcnt vmcnt(10) lgkmcnt(1)
	v_mul_f64 v[173:174], v[2:3], v[12:13]
	v_mul_f64 v[12:13], v[4:5], v[12:13]
	v_add_f64 v[167:168], v[169:170], 0
	v_add_f64 v[169:170], v[171:172], 0
	s_waitcnt vmcnt(9) lgkmcnt(0)
	v_mul_f64 v[171:172], v[163:164], v[16:17]
	v_mul_f64 v[16:17], v[165:166], v[16:17]
	v_fma_f64 v[173:174], v[4:5], v[10:11], v[173:174]
	v_fma_f64 v[175:176], v[2:3], v[10:11], -v[12:13]
	ds_load_b128 v[2:5], v1 offset:800
	scratch_load_b128 v[10:13], off, off offset:352
	v_add_f64 v[167:168], v[167:168], v[42:43]
	v_add_f64 v[169:170], v[169:170], v[44:45]
	ds_load_b128 v[42:45], v1 offset:816
	v_fma_f64 v[165:166], v[165:166], v[14:15], v[171:172]
	v_fma_f64 v[163:164], v[163:164], v[14:15], -v[16:17]
	scratch_load_b128 v[14:17], off, off offset:368
	s_waitcnt vmcnt(10) lgkmcnt(1)
	v_mul_f64 v[177:178], v[2:3], v[20:21]
	v_mul_f64 v[20:21], v[4:5], v[20:21]
	s_waitcnt vmcnt(9) lgkmcnt(0)
	v_mul_f64 v[171:172], v[42:43], v[24:25]
	v_mul_f64 v[24:25], v[44:45], v[24:25]
	v_add_f64 v[167:168], v[167:168], v[175:176]
	v_add_f64 v[169:170], v[169:170], v[173:174]
	v_fma_f64 v[173:174], v[4:5], v[18:19], v[177:178]
	v_fma_f64 v[175:176], v[2:3], v[18:19], -v[20:21]
	ds_load_b128 v[2:5], v1 offset:832
	scratch_load_b128 v[18:21], off, off offset:384
	v_fma_f64 v[44:45], v[44:45], v[22:23], v[171:172]
	v_fma_f64 v[42:43], v[42:43], v[22:23], -v[24:25]
	scratch_load_b128 v[22:25], off, off offset:400
	v_add_f64 v[167:168], v[167:168], v[163:164]
	v_add_f64 v[169:170], v[169:170], v[165:166]
	ds_load_b128 v[163:166], v1 offset:848
	s_waitcnt vmcnt(10) lgkmcnt(1)
	v_mul_f64 v[177:178], v[2:3], v[28:29]
	v_mul_f64 v[28:29], v[4:5], v[28:29]
	s_waitcnt vmcnt(9) lgkmcnt(0)
	v_mul_f64 v[171:172], v[163:164], v[32:33]
	v_mul_f64 v[32:33], v[165:166], v[32:33]
	v_add_f64 v[167:168], v[167:168], v[175:176]
	v_add_f64 v[169:170], v[169:170], v[173:174]
	v_fma_f64 v[173:174], v[4:5], v[26:27], v[177:178]
	v_fma_f64 v[175:176], v[2:3], v[26:27], -v[28:29]
	ds_load_b128 v[2:5], v1 offset:864
	scratch_load_b128 v[26:29], off, off offset:416
	v_fma_f64 v[165:166], v[165:166], v[30:31], v[171:172]
	v_fma_f64 v[163:164], v[163:164], v[30:31], -v[32:33]
	scratch_load_b128 v[30:33], off, off offset:432
	v_add_f64 v[167:168], v[167:168], v[42:43]
	v_add_f64 v[169:170], v[169:170], v[44:45]
	ds_load_b128 v[42:45], v1 offset:880
	s_waitcnt vmcnt(10) lgkmcnt(1)
	v_mul_f64 v[177:178], v[2:3], v[36:37]
	v_mul_f64 v[36:37], v[4:5], v[36:37]
	s_waitcnt vmcnt(8) lgkmcnt(0)
	v_mul_f64 v[171:172], v[42:43], v[161:162]
	v_add_f64 v[167:168], v[167:168], v[175:176]
	v_add_f64 v[169:170], v[169:170], v[173:174]
	v_mul_f64 v[173:174], v[44:45], v[161:162]
	v_fma_f64 v[175:176], v[4:5], v[34:35], v[177:178]
	v_fma_f64 v[177:178], v[2:3], v[34:35], -v[36:37]
	ds_load_b128 v[2:5], v1 offset:896
	scratch_load_b128 v[34:37], off, off offset:448
	v_fma_f64 v[44:45], v[44:45], v[159:160], v[171:172]
	v_add_f64 v[167:168], v[167:168], v[163:164]
	v_add_f64 v[165:166], v[169:170], v[165:166]
	ds_load_b128 v[161:164], v1 offset:912
	v_fma_f64 v[159:160], v[42:43], v[159:160], -v[173:174]
	s_waitcnt vmcnt(8) lgkmcnt(1)
	v_mul_f64 v[169:170], v[2:3], v[40:41]
	v_mul_f64 v[179:180], v[4:5], v[40:41]
	scratch_load_b128 v[40:43], off, off offset:464
	s_waitcnt vmcnt(8) lgkmcnt(0)
	v_mul_f64 v[173:174], v[161:162], v[8:9]
	v_mul_f64 v[8:9], v[163:164], v[8:9]
	v_add_f64 v[167:168], v[167:168], v[177:178]
	v_add_f64 v[165:166], v[165:166], v[175:176]
	v_fma_f64 v[175:176], v[4:5], v[38:39], v[169:170]
	v_fma_f64 v[38:39], v[2:3], v[38:39], -v[179:180]
	ds_load_b128 v[2:5], v1 offset:928
	ds_load_b128 v[169:172], v1 offset:944
	v_fma_f64 v[163:164], v[163:164], v[6:7], v[173:174]
	v_fma_f64 v[161:162], v[161:162], v[6:7], -v[8:9]
	scratch_load_b128 v[6:9], off, off offset:496
	v_add_f64 v[159:160], v[167:168], v[159:160]
	v_add_f64 v[44:45], v[165:166], v[44:45]
	scratch_load_b128 v[165:168], off, off offset:480
	s_waitcnt vmcnt(9) lgkmcnt(1)
	v_mul_f64 v[177:178], v[2:3], v[12:13]
	v_mul_f64 v[12:13], v[4:5], v[12:13]
	s_waitcnt vmcnt(8) lgkmcnt(0)
	v_mul_f64 v[173:174], v[169:170], v[16:17]
	v_mul_f64 v[16:17], v[171:172], v[16:17]
	v_add_f64 v[38:39], v[159:160], v[38:39]
	v_add_f64 v[44:45], v[44:45], v[175:176]
	v_fma_f64 v[175:176], v[4:5], v[10:11], v[177:178]
	v_fma_f64 v[177:178], v[2:3], v[10:11], -v[12:13]
	ds_load_b128 v[2:5], v1 offset:960
	scratch_load_b128 v[10:13], off, off offset:512
	v_fma_f64 v[171:172], v[171:172], v[14:15], v[173:174]
	v_fma_f64 v[169:170], v[169:170], v[14:15], -v[16:17]
	scratch_load_b128 v[14:17], off, off offset:528
	v_add_f64 v[38:39], v[38:39], v[161:162]
	v_add_f64 v[44:45], v[44:45], v[163:164]
	ds_load_b128 v[159:162], v1 offset:976
	s_waitcnt vmcnt(9) lgkmcnt(1)
	v_mul_f64 v[163:164], v[2:3], v[20:21]
	v_mul_f64 v[20:21], v[4:5], v[20:21]
	s_waitcnt vmcnt(8) lgkmcnt(0)
	v_mul_f64 v[173:174], v[159:160], v[24:25]
	v_mul_f64 v[24:25], v[161:162], v[24:25]
	v_add_f64 v[38:39], v[38:39], v[177:178]
	v_add_f64 v[44:45], v[44:45], v[175:176]
	v_fma_f64 v[163:164], v[4:5], v[18:19], v[163:164]
	v_fma_f64 v[175:176], v[2:3], v[18:19], -v[20:21]
	ds_load_b128 v[2:5], v1 offset:992
	scratch_load_b128 v[18:21], off, off offset:544
	v_fma_f64 v[161:162], v[161:162], v[22:23], v[173:174]
	v_fma_f64 v[159:160], v[159:160], v[22:23], -v[24:25]
	scratch_load_b128 v[22:25], off, off offset:560
	v_add_f64 v[38:39], v[38:39], v[169:170]
	v_add_f64 v[44:45], v[44:45], v[171:172]
	ds_load_b128 v[169:172], v1 offset:1008
	s_waitcnt vmcnt(9) lgkmcnt(1)
	v_mul_f64 v[177:178], v[2:3], v[28:29]
	v_mul_f64 v[28:29], v[4:5], v[28:29]
	v_add_f64 v[38:39], v[38:39], v[175:176]
	v_add_f64 v[44:45], v[44:45], v[163:164]
	s_waitcnt vmcnt(8) lgkmcnt(0)
	v_mul_f64 v[163:164], v[169:170], v[32:33]
	v_mul_f64 v[32:33], v[171:172], v[32:33]
	v_fma_f64 v[173:174], v[4:5], v[26:27], v[177:178]
	v_fma_f64 v[175:176], v[2:3], v[26:27], -v[28:29]
	ds_load_b128 v[2:5], v1 offset:1024
	ds_load_b128 v[26:29], v1 offset:1040
	v_add_f64 v[38:39], v[38:39], v[159:160]
	v_add_f64 v[44:45], v[44:45], v[161:162]
	s_waitcnt vmcnt(7) lgkmcnt(1)
	v_mul_f64 v[159:160], v[2:3], v[36:37]
	v_mul_f64 v[36:37], v[4:5], v[36:37]
	v_fma_f64 v[161:162], v[171:172], v[30:31], v[163:164]
	v_fma_f64 v[30:31], v[169:170], v[30:31], -v[32:33]
	v_add_f64 v[32:33], v[38:39], v[175:176]
	v_add_f64 v[38:39], v[44:45], v[173:174]
	s_waitcnt vmcnt(6) lgkmcnt(0)
	v_mul_f64 v[44:45], v[26:27], v[42:43]
	v_mul_f64 v[42:43], v[28:29], v[42:43]
	v_fma_f64 v[159:160], v[4:5], v[34:35], v[159:160]
	v_fma_f64 v[34:35], v[2:3], v[34:35], -v[36:37]
	v_add_f64 v[36:37], v[32:33], v[30:31]
	v_add_f64 v[38:39], v[38:39], v[161:162]
	ds_load_b128 v[2:5], v1 offset:1056
	ds_load_b128 v[30:33], v1 offset:1072
	v_fma_f64 v[28:29], v[28:29], v[40:41], v[44:45]
	v_fma_f64 v[26:27], v[26:27], v[40:41], -v[42:43]
	s_waitcnt vmcnt(4) lgkmcnt(1)
	v_mul_f64 v[161:162], v[2:3], v[167:168]
	v_mul_f64 v[163:164], v[4:5], v[167:168]
	v_add_f64 v[34:35], v[36:37], v[34:35]
	v_add_f64 v[36:37], v[38:39], v[159:160]
	s_waitcnt lgkmcnt(0)
	v_mul_f64 v[38:39], v[30:31], v[8:9]
	v_mul_f64 v[8:9], v[32:33], v[8:9]
	v_fma_f64 v[40:41], v[4:5], v[165:166], v[161:162]
	v_fma_f64 v[42:43], v[2:3], v[165:166], -v[163:164]
	v_add_f64 v[34:35], v[34:35], v[26:27]
	v_add_f64 v[36:37], v[36:37], v[28:29]
	ds_load_b128 v[2:5], v1 offset:1088
	ds_load_b128 v[26:29], v1 offset:1104
	v_fma_f64 v[32:33], v[32:33], v[6:7], v[38:39]
	v_fma_f64 v[6:7], v[30:31], v[6:7], -v[8:9]
	s_waitcnt vmcnt(3) lgkmcnt(1)
	v_mul_f64 v[44:45], v[2:3], v[12:13]
	v_mul_f64 v[12:13], v[4:5], v[12:13]
	v_add_f64 v[8:9], v[34:35], v[42:43]
	v_add_f64 v[30:31], v[36:37], v[40:41]
	s_waitcnt vmcnt(2) lgkmcnt(0)
	v_mul_f64 v[34:35], v[26:27], v[16:17]
	v_mul_f64 v[16:17], v[28:29], v[16:17]
	v_fma_f64 v[36:37], v[4:5], v[10:11], v[44:45]
	v_fma_f64 v[10:11], v[2:3], v[10:11], -v[12:13]
	v_add_f64 v[12:13], v[8:9], v[6:7]
	v_add_f64 v[30:31], v[30:31], v[32:33]
	ds_load_b128 v[2:5], v1 offset:1120
	ds_load_b128 v[6:9], v1 offset:1136
	v_fma_f64 v[28:29], v[28:29], v[14:15], v[34:35]
	v_fma_f64 v[14:15], v[26:27], v[14:15], -v[16:17]
	s_waitcnt vmcnt(1) lgkmcnt(1)
	v_mul_f64 v[32:33], v[2:3], v[20:21]
	v_mul_f64 v[20:21], v[4:5], v[20:21]
	s_waitcnt vmcnt(0) lgkmcnt(0)
	v_mul_f64 v[16:17], v[6:7], v[24:25]
	v_mul_f64 v[24:25], v[8:9], v[24:25]
	v_add_f64 v[10:11], v[12:13], v[10:11]
	v_add_f64 v[12:13], v[30:31], v[36:37]
	v_fma_f64 v[4:5], v[4:5], v[18:19], v[32:33]
	v_fma_f64 v[1:2], v[2:3], v[18:19], -v[20:21]
	v_fma_f64 v[8:9], v[8:9], v[22:23], v[16:17]
	v_fma_f64 v[6:7], v[6:7], v[22:23], -v[24:25]
	v_add_f64 v[10:11], v[10:11], v[14:15]
	v_add_f64 v[12:13], v[12:13], v[28:29]
	s_delay_alu instid0(VALU_DEP_2) | instskip(NEXT) | instid1(VALU_DEP_2)
	v_add_f64 v[1:2], v[10:11], v[1:2]
	v_add_f64 v[3:4], v[12:13], v[4:5]
	s_delay_alu instid0(VALU_DEP_2) | instskip(NEXT) | instid1(VALU_DEP_2)
	;; [unrolled: 3-line block ×3, first 2 shown]
	v_add_f64 v[1:2], v[155:156], -v[1:2]
	v_add_f64 v[3:4], v[157:158], -v[3:4]
	scratch_store_b128 off, v[1:4], off offset:144
	v_cmpx_lt_u32_e32 8, v118
	s_cbranch_execz .LBB35_213
; %bb.212:
	scratch_load_b128 v[1:4], v140, off
	v_mov_b32_e32 v5, 0
	s_delay_alu instid0(VALU_DEP_1)
	v_mov_b32_e32 v6, v5
	v_mov_b32_e32 v7, v5
	;; [unrolled: 1-line block ×3, first 2 shown]
	scratch_store_b128 off, v[5:8], off offset:128
	s_waitcnt vmcnt(0)
	ds_store_b128 v154, v[1:4]
.LBB35_213:
	s_or_b32 exec_lo, exec_lo, s2
	s_waitcnt lgkmcnt(0)
	s_waitcnt_vscnt null, 0x0
	s_barrier
	buffer_gl0_inv
	s_clause 0x7
	scratch_load_b128 v[2:5], off, off offset:144
	scratch_load_b128 v[6:9], off, off offset:160
	;; [unrolled: 1-line block ×8, first 2 shown]
	v_mov_b32_e32 v1, 0
	s_mov_b32 s2, exec_lo
	ds_load_b128 v[38:41], v1 offset:720
	s_clause 0x1
	scratch_load_b128 v[34:37], off, off offset:272
	scratch_load_b128 v[42:45], off, off offset:128
	ds_load_b128 v[155:158], v1 offset:736
	scratch_load_b128 v[159:162], off, off offset:288
	s_waitcnt vmcnt(10) lgkmcnt(1)
	v_mul_f64 v[163:164], v[40:41], v[4:5]
	v_mul_f64 v[4:5], v[38:39], v[4:5]
	s_delay_alu instid0(VALU_DEP_2) | instskip(NEXT) | instid1(VALU_DEP_2)
	v_fma_f64 v[169:170], v[38:39], v[2:3], -v[163:164]
	v_fma_f64 v[171:172], v[40:41], v[2:3], v[4:5]
	scratch_load_b128 v[38:41], off, off offset:304
	ds_load_b128 v[2:5], v1 offset:752
	s_waitcnt vmcnt(10) lgkmcnt(1)
	v_mul_f64 v[167:168], v[155:156], v[8:9]
	v_mul_f64 v[8:9], v[157:158], v[8:9]
	ds_load_b128 v[163:166], v1 offset:768
	s_waitcnt vmcnt(9) lgkmcnt(1)
	v_mul_f64 v[173:174], v[2:3], v[12:13]
	v_mul_f64 v[12:13], v[4:5], v[12:13]
	v_fma_f64 v[157:158], v[157:158], v[6:7], v[167:168]
	v_fma_f64 v[155:156], v[155:156], v[6:7], -v[8:9]
	v_add_f64 v[167:168], v[169:170], 0
	v_add_f64 v[169:170], v[171:172], 0
	scratch_load_b128 v[6:9], off, off offset:320
	v_fma_f64 v[173:174], v[4:5], v[10:11], v[173:174]
	v_fma_f64 v[175:176], v[2:3], v[10:11], -v[12:13]
	scratch_load_b128 v[10:13], off, off offset:336
	ds_load_b128 v[2:5], v1 offset:784
	s_waitcnt vmcnt(10) lgkmcnt(1)
	v_mul_f64 v[171:172], v[163:164], v[16:17]
	v_mul_f64 v[16:17], v[165:166], v[16:17]
	v_add_f64 v[167:168], v[167:168], v[155:156]
	v_add_f64 v[169:170], v[169:170], v[157:158]
	s_waitcnt vmcnt(9) lgkmcnt(0)
	v_mul_f64 v[177:178], v[2:3], v[20:21]
	v_mul_f64 v[20:21], v[4:5], v[20:21]
	ds_load_b128 v[155:158], v1 offset:800
	v_fma_f64 v[165:166], v[165:166], v[14:15], v[171:172]
	v_fma_f64 v[163:164], v[163:164], v[14:15], -v[16:17]
	scratch_load_b128 v[14:17], off, off offset:352
	v_add_f64 v[167:168], v[167:168], v[175:176]
	v_add_f64 v[169:170], v[169:170], v[173:174]
	v_fma_f64 v[173:174], v[4:5], v[18:19], v[177:178]
	v_fma_f64 v[175:176], v[2:3], v[18:19], -v[20:21]
	scratch_load_b128 v[18:21], off, off offset:368
	ds_load_b128 v[2:5], v1 offset:816
	s_waitcnt vmcnt(10) lgkmcnt(1)
	v_mul_f64 v[171:172], v[155:156], v[24:25]
	v_mul_f64 v[24:25], v[157:158], v[24:25]
	s_waitcnt vmcnt(9) lgkmcnt(0)
	v_mul_f64 v[177:178], v[2:3], v[28:29]
	v_mul_f64 v[28:29], v[4:5], v[28:29]
	v_add_f64 v[167:168], v[167:168], v[163:164]
	v_add_f64 v[169:170], v[169:170], v[165:166]
	ds_load_b128 v[163:166], v1 offset:832
	v_fma_f64 v[157:158], v[157:158], v[22:23], v[171:172]
	v_fma_f64 v[155:156], v[155:156], v[22:23], -v[24:25]
	scratch_load_b128 v[22:25], off, off offset:384
	v_add_f64 v[167:168], v[167:168], v[175:176]
	v_add_f64 v[169:170], v[169:170], v[173:174]
	v_fma_f64 v[173:174], v[4:5], v[26:27], v[177:178]
	v_fma_f64 v[175:176], v[2:3], v[26:27], -v[28:29]
	scratch_load_b128 v[26:29], off, off offset:400
	ds_load_b128 v[2:5], v1 offset:848
	s_waitcnt vmcnt(10) lgkmcnt(1)
	v_mul_f64 v[171:172], v[163:164], v[32:33]
	v_mul_f64 v[32:33], v[165:166], v[32:33]
	s_waitcnt vmcnt(9) lgkmcnt(0)
	v_mul_f64 v[177:178], v[2:3], v[36:37]
	v_mul_f64 v[36:37], v[4:5], v[36:37]
	v_add_f64 v[167:168], v[167:168], v[155:156]
	v_add_f64 v[169:170], v[169:170], v[157:158]
	ds_load_b128 v[155:158], v1 offset:864
	v_fma_f64 v[165:166], v[165:166], v[30:31], v[171:172]
	v_fma_f64 v[163:164], v[163:164], v[30:31], -v[32:33]
	scratch_load_b128 v[30:33], off, off offset:416
	v_add_f64 v[167:168], v[167:168], v[175:176]
	v_add_f64 v[169:170], v[169:170], v[173:174]
	v_fma_f64 v[175:176], v[4:5], v[34:35], v[177:178]
	v_fma_f64 v[177:178], v[2:3], v[34:35], -v[36:37]
	scratch_load_b128 v[34:37], off, off offset:432
	ds_load_b128 v[2:5], v1 offset:880
	s_waitcnt vmcnt(9) lgkmcnt(1)
	v_mul_f64 v[171:172], v[155:156], v[161:162]
	v_mul_f64 v[173:174], v[157:158], v[161:162]
	v_add_f64 v[167:168], v[167:168], v[163:164]
	v_add_f64 v[165:166], v[169:170], v[165:166]
	ds_load_b128 v[161:164], v1 offset:896
	v_fma_f64 v[171:172], v[157:158], v[159:160], v[171:172]
	v_fma_f64 v[159:160], v[155:156], v[159:160], -v[173:174]
	scratch_load_b128 v[155:158], off, off offset:448
	s_waitcnt vmcnt(9) lgkmcnt(1)
	v_mul_f64 v[169:170], v[2:3], v[40:41]
	v_mul_f64 v[40:41], v[4:5], v[40:41]
	v_add_f64 v[167:168], v[167:168], v[177:178]
	v_add_f64 v[165:166], v[165:166], v[175:176]
	s_delay_alu instid0(VALU_DEP_4) | instskip(NEXT) | instid1(VALU_DEP_4)
	v_fma_f64 v[169:170], v[4:5], v[38:39], v[169:170]
	v_fma_f64 v[175:176], v[2:3], v[38:39], -v[40:41]
	scratch_load_b128 v[38:41], off, off offset:464
	ds_load_b128 v[2:5], v1 offset:912
	s_waitcnt vmcnt(9) lgkmcnt(1)
	v_mul_f64 v[173:174], v[161:162], v[8:9]
	v_mul_f64 v[8:9], v[163:164], v[8:9]
	s_waitcnt vmcnt(8) lgkmcnt(0)
	v_mul_f64 v[177:178], v[2:3], v[12:13]
	v_mul_f64 v[12:13], v[4:5], v[12:13]
	v_add_f64 v[159:160], v[167:168], v[159:160]
	v_add_f64 v[171:172], v[165:166], v[171:172]
	ds_load_b128 v[165:168], v1 offset:928
	v_fma_f64 v[163:164], v[163:164], v[6:7], v[173:174]
	v_fma_f64 v[161:162], v[161:162], v[6:7], -v[8:9]
	scratch_load_b128 v[6:9], off, off offset:480
	v_fma_f64 v[173:174], v[4:5], v[10:11], v[177:178]
	v_add_f64 v[159:160], v[159:160], v[175:176]
	v_add_f64 v[169:170], v[171:172], v[169:170]
	v_fma_f64 v[175:176], v[2:3], v[10:11], -v[12:13]
	scratch_load_b128 v[10:13], off, off offset:496
	ds_load_b128 v[2:5], v1 offset:944
	s_waitcnt vmcnt(9) lgkmcnt(1)
	v_mul_f64 v[171:172], v[165:166], v[16:17]
	v_mul_f64 v[16:17], v[167:168], v[16:17]
	v_add_f64 v[177:178], v[159:160], v[161:162]
	v_add_f64 v[163:164], v[169:170], v[163:164]
	s_waitcnt vmcnt(8) lgkmcnt(0)
	v_mul_f64 v[169:170], v[2:3], v[20:21]
	v_mul_f64 v[20:21], v[4:5], v[20:21]
	ds_load_b128 v[159:162], v1 offset:960
	v_fma_f64 v[167:168], v[167:168], v[14:15], v[171:172]
	v_fma_f64 v[165:166], v[165:166], v[14:15], -v[16:17]
	scratch_load_b128 v[14:17], off, off offset:512
	v_add_f64 v[171:172], v[177:178], v[175:176]
	v_add_f64 v[163:164], v[163:164], v[173:174]
	v_fma_f64 v[169:170], v[4:5], v[18:19], v[169:170]
	v_fma_f64 v[175:176], v[2:3], v[18:19], -v[20:21]
	scratch_load_b128 v[18:21], off, off offset:528
	ds_load_b128 v[2:5], v1 offset:976
	s_waitcnt vmcnt(9) lgkmcnt(1)
	v_mul_f64 v[173:174], v[159:160], v[24:25]
	v_mul_f64 v[24:25], v[161:162], v[24:25]
	s_waitcnt vmcnt(8) lgkmcnt(0)
	v_mul_f64 v[177:178], v[2:3], v[28:29]
	v_mul_f64 v[28:29], v[4:5], v[28:29]
	v_add_f64 v[171:172], v[171:172], v[165:166]
	v_add_f64 v[167:168], v[163:164], v[167:168]
	ds_load_b128 v[163:166], v1 offset:992
	v_fma_f64 v[161:162], v[161:162], v[22:23], v[173:174]
	v_fma_f64 v[159:160], v[159:160], v[22:23], -v[24:25]
	scratch_load_b128 v[22:25], off, off offset:544
	v_fma_f64 v[173:174], v[4:5], v[26:27], v[177:178]
	v_add_f64 v[171:172], v[171:172], v[175:176]
	v_add_f64 v[167:168], v[167:168], v[169:170]
	v_fma_f64 v[175:176], v[2:3], v[26:27], -v[28:29]
	scratch_load_b128 v[26:29], off, off offset:560
	ds_load_b128 v[2:5], v1 offset:1008
	s_waitcnt vmcnt(9) lgkmcnt(1)
	v_mul_f64 v[169:170], v[163:164], v[32:33]
	v_mul_f64 v[32:33], v[165:166], v[32:33]
	s_waitcnt vmcnt(8) lgkmcnt(0)
	v_mul_f64 v[177:178], v[2:3], v[36:37]
	v_mul_f64 v[36:37], v[4:5], v[36:37]
	v_add_f64 v[171:172], v[171:172], v[159:160]
	v_add_f64 v[167:168], v[167:168], v[161:162]
	ds_load_b128 v[159:162], v1 offset:1024
	v_fma_f64 v[165:166], v[165:166], v[30:31], v[169:170]
	v_fma_f64 v[30:31], v[163:164], v[30:31], -v[32:33]
	v_fma_f64 v[169:170], v[4:5], v[34:35], v[177:178]
	v_fma_f64 v[34:35], v[2:3], v[34:35], -v[36:37]
	v_add_f64 v[32:33], v[171:172], v[175:176]
	v_add_f64 v[163:164], v[167:168], v[173:174]
	s_waitcnt vmcnt(7) lgkmcnt(0)
	v_mul_f64 v[167:168], v[159:160], v[157:158]
	v_mul_f64 v[157:158], v[161:162], v[157:158]
	s_delay_alu instid0(VALU_DEP_4) | instskip(NEXT) | instid1(VALU_DEP_4)
	v_add_f64 v[36:37], v[32:33], v[30:31]
	v_add_f64 v[163:164], v[163:164], v[165:166]
	ds_load_b128 v[2:5], v1 offset:1040
	ds_load_b128 v[30:33], v1 offset:1056
	v_fma_f64 v[161:162], v[161:162], v[155:156], v[167:168]
	v_fma_f64 v[155:156], v[159:160], v[155:156], -v[157:158]
	s_waitcnt vmcnt(6) lgkmcnt(1)
	v_mul_f64 v[165:166], v[2:3], v[40:41]
	v_mul_f64 v[40:41], v[4:5], v[40:41]
	s_waitcnt vmcnt(5) lgkmcnt(0)
	v_mul_f64 v[157:158], v[30:31], v[8:9]
	v_mul_f64 v[8:9], v[32:33], v[8:9]
	v_add_f64 v[34:35], v[36:37], v[34:35]
	v_add_f64 v[36:37], v[163:164], v[169:170]
	v_fma_f64 v[159:160], v[4:5], v[38:39], v[165:166]
	v_fma_f64 v[38:39], v[2:3], v[38:39], -v[40:41]
	v_fma_f64 v[32:33], v[32:33], v[6:7], v[157:158]
	v_fma_f64 v[6:7], v[30:31], v[6:7], -v[8:9]
	v_add_f64 v[40:41], v[34:35], v[155:156]
	v_add_f64 v[155:156], v[36:37], v[161:162]
	ds_load_b128 v[2:5], v1 offset:1072
	ds_load_b128 v[34:37], v1 offset:1088
	s_waitcnt vmcnt(4) lgkmcnt(1)
	v_mul_f64 v[161:162], v[2:3], v[12:13]
	v_mul_f64 v[12:13], v[4:5], v[12:13]
	v_add_f64 v[8:9], v[40:41], v[38:39]
	v_add_f64 v[30:31], v[155:156], v[159:160]
	s_waitcnt vmcnt(3) lgkmcnt(0)
	v_mul_f64 v[38:39], v[34:35], v[16:17]
	v_mul_f64 v[16:17], v[36:37], v[16:17]
	v_fma_f64 v[40:41], v[4:5], v[10:11], v[161:162]
	v_fma_f64 v[10:11], v[2:3], v[10:11], -v[12:13]
	v_add_f64 v[12:13], v[8:9], v[6:7]
	v_add_f64 v[30:31], v[30:31], v[32:33]
	ds_load_b128 v[2:5], v1 offset:1104
	ds_load_b128 v[6:9], v1 offset:1120
	v_fma_f64 v[36:37], v[36:37], v[14:15], v[38:39]
	v_fma_f64 v[14:15], v[34:35], v[14:15], -v[16:17]
	s_waitcnt vmcnt(2) lgkmcnt(1)
	v_mul_f64 v[32:33], v[2:3], v[20:21]
	v_mul_f64 v[20:21], v[4:5], v[20:21]
	s_waitcnt vmcnt(1) lgkmcnt(0)
	v_mul_f64 v[16:17], v[6:7], v[24:25]
	v_mul_f64 v[24:25], v[8:9], v[24:25]
	v_add_f64 v[10:11], v[12:13], v[10:11]
	v_add_f64 v[12:13], v[30:31], v[40:41]
	v_fma_f64 v[30:31], v[4:5], v[18:19], v[32:33]
	v_fma_f64 v[18:19], v[2:3], v[18:19], -v[20:21]
	ds_load_b128 v[2:5], v1 offset:1136
	v_fma_f64 v[8:9], v[8:9], v[22:23], v[16:17]
	v_fma_f64 v[6:7], v[6:7], v[22:23], -v[24:25]
	v_add_f64 v[10:11], v[10:11], v[14:15]
	v_add_f64 v[12:13], v[12:13], v[36:37]
	s_waitcnt vmcnt(0) lgkmcnt(0)
	v_mul_f64 v[14:15], v[2:3], v[28:29]
	v_mul_f64 v[20:21], v[4:5], v[28:29]
	s_delay_alu instid0(VALU_DEP_4) | instskip(NEXT) | instid1(VALU_DEP_4)
	v_add_f64 v[10:11], v[10:11], v[18:19]
	v_add_f64 v[12:13], v[12:13], v[30:31]
	s_delay_alu instid0(VALU_DEP_4) | instskip(NEXT) | instid1(VALU_DEP_4)
	v_fma_f64 v[4:5], v[4:5], v[26:27], v[14:15]
	v_fma_f64 v[2:3], v[2:3], v[26:27], -v[20:21]
	s_delay_alu instid0(VALU_DEP_4) | instskip(NEXT) | instid1(VALU_DEP_4)
	v_add_f64 v[6:7], v[10:11], v[6:7]
	v_add_f64 v[8:9], v[12:13], v[8:9]
	s_delay_alu instid0(VALU_DEP_2) | instskip(NEXT) | instid1(VALU_DEP_2)
	v_add_f64 v[2:3], v[6:7], v[2:3]
	v_add_f64 v[4:5], v[8:9], v[4:5]
	s_delay_alu instid0(VALU_DEP_2) | instskip(NEXT) | instid1(VALU_DEP_2)
	v_add_f64 v[2:3], v[42:43], -v[2:3]
	v_add_f64 v[4:5], v[44:45], -v[4:5]
	scratch_store_b128 off, v[2:5], off offset:128
	v_cmpx_lt_u32_e32 7, v118
	s_cbranch_execz .LBB35_215
; %bb.214:
	scratch_load_b128 v[5:8], v142, off
	v_mov_b32_e32 v2, v1
	v_mov_b32_e32 v3, v1
	v_mov_b32_e32 v4, v1
	scratch_store_b128 off, v[1:4], off offset:112
	s_waitcnt vmcnt(0)
	ds_store_b128 v154, v[5:8]
.LBB35_215:
	s_or_b32 exec_lo, exec_lo, s2
	s_waitcnt lgkmcnt(0)
	s_waitcnt_vscnt null, 0x0
	s_barrier
	buffer_gl0_inv
	s_clause 0x8
	scratch_load_b128 v[2:5], off, off offset:128
	scratch_load_b128 v[6:9], off, off offset:144
	;; [unrolled: 1-line block ×9, first 2 shown]
	ds_load_b128 v[42:45], v1 offset:704
	ds_load_b128 v[38:41], v1 offset:720
	s_clause 0x1
	scratch_load_b128 v[155:158], off, off offset:112
	scratch_load_b128 v[159:162], off, off offset:272
	s_mov_b32 s2, exec_lo
	s_waitcnt vmcnt(10) lgkmcnt(1)
	v_mul_f64 v[163:164], v[44:45], v[4:5]
	v_mul_f64 v[4:5], v[42:43], v[4:5]
	s_waitcnt vmcnt(9) lgkmcnt(0)
	v_mul_f64 v[167:168], v[38:39], v[8:9]
	v_mul_f64 v[8:9], v[40:41], v[8:9]
	s_delay_alu instid0(VALU_DEP_4) | instskip(NEXT) | instid1(VALU_DEP_4)
	v_fma_f64 v[169:170], v[42:43], v[2:3], -v[163:164]
	v_fma_f64 v[171:172], v[44:45], v[2:3], v[4:5]
	ds_load_b128 v[2:5], v1 offset:736
	ds_load_b128 v[163:166], v1 offset:752
	scratch_load_b128 v[42:45], off, off offset:288
	v_fma_f64 v[40:41], v[40:41], v[6:7], v[167:168]
	v_fma_f64 v[38:39], v[38:39], v[6:7], -v[8:9]
	scratch_load_b128 v[6:9], off, off offset:304
	s_waitcnt vmcnt(10) lgkmcnt(1)
	v_mul_f64 v[173:174], v[2:3], v[12:13]
	v_mul_f64 v[12:13], v[4:5], v[12:13]
	v_add_f64 v[167:168], v[169:170], 0
	v_add_f64 v[169:170], v[171:172], 0
	s_waitcnt vmcnt(9) lgkmcnt(0)
	v_mul_f64 v[171:172], v[163:164], v[16:17]
	v_mul_f64 v[16:17], v[165:166], v[16:17]
	v_fma_f64 v[173:174], v[4:5], v[10:11], v[173:174]
	v_fma_f64 v[175:176], v[2:3], v[10:11], -v[12:13]
	ds_load_b128 v[2:5], v1 offset:768
	scratch_load_b128 v[10:13], off, off offset:320
	v_add_f64 v[167:168], v[167:168], v[38:39]
	v_add_f64 v[169:170], v[169:170], v[40:41]
	ds_load_b128 v[38:41], v1 offset:784
	v_fma_f64 v[165:166], v[165:166], v[14:15], v[171:172]
	v_fma_f64 v[163:164], v[163:164], v[14:15], -v[16:17]
	scratch_load_b128 v[14:17], off, off offset:336
	s_waitcnt vmcnt(10) lgkmcnt(1)
	v_mul_f64 v[177:178], v[2:3], v[20:21]
	v_mul_f64 v[20:21], v[4:5], v[20:21]
	s_waitcnt vmcnt(9) lgkmcnt(0)
	v_mul_f64 v[171:172], v[38:39], v[24:25]
	v_mul_f64 v[24:25], v[40:41], v[24:25]
	v_add_f64 v[167:168], v[167:168], v[175:176]
	v_add_f64 v[169:170], v[169:170], v[173:174]
	v_fma_f64 v[173:174], v[4:5], v[18:19], v[177:178]
	v_fma_f64 v[175:176], v[2:3], v[18:19], -v[20:21]
	ds_load_b128 v[2:5], v1 offset:800
	scratch_load_b128 v[18:21], off, off offset:352
	v_fma_f64 v[40:41], v[40:41], v[22:23], v[171:172]
	v_fma_f64 v[38:39], v[38:39], v[22:23], -v[24:25]
	scratch_load_b128 v[22:25], off, off offset:368
	v_add_f64 v[167:168], v[167:168], v[163:164]
	v_add_f64 v[169:170], v[169:170], v[165:166]
	ds_load_b128 v[163:166], v1 offset:816
	s_waitcnt vmcnt(10) lgkmcnt(1)
	v_mul_f64 v[177:178], v[2:3], v[28:29]
	v_mul_f64 v[28:29], v[4:5], v[28:29]
	s_waitcnt vmcnt(9) lgkmcnt(0)
	v_mul_f64 v[171:172], v[163:164], v[32:33]
	v_mul_f64 v[32:33], v[165:166], v[32:33]
	v_add_f64 v[167:168], v[167:168], v[175:176]
	v_add_f64 v[169:170], v[169:170], v[173:174]
	v_fma_f64 v[173:174], v[4:5], v[26:27], v[177:178]
	v_fma_f64 v[175:176], v[2:3], v[26:27], -v[28:29]
	ds_load_b128 v[2:5], v1 offset:832
	scratch_load_b128 v[26:29], off, off offset:384
	v_fma_f64 v[165:166], v[165:166], v[30:31], v[171:172]
	v_fma_f64 v[163:164], v[163:164], v[30:31], -v[32:33]
	scratch_load_b128 v[30:33], off, off offset:400
	v_add_f64 v[167:168], v[167:168], v[38:39]
	v_add_f64 v[169:170], v[169:170], v[40:41]
	ds_load_b128 v[38:41], v1 offset:848
	s_waitcnt vmcnt(10) lgkmcnt(1)
	v_mul_f64 v[177:178], v[2:3], v[36:37]
	v_mul_f64 v[36:37], v[4:5], v[36:37]
	s_waitcnt vmcnt(8) lgkmcnt(0)
	v_mul_f64 v[171:172], v[38:39], v[161:162]
	v_add_f64 v[167:168], v[167:168], v[175:176]
	v_add_f64 v[169:170], v[169:170], v[173:174]
	v_mul_f64 v[173:174], v[40:41], v[161:162]
	v_fma_f64 v[175:176], v[4:5], v[34:35], v[177:178]
	v_fma_f64 v[177:178], v[2:3], v[34:35], -v[36:37]
	ds_load_b128 v[2:5], v1 offset:864
	scratch_load_b128 v[34:37], off, off offset:416
	v_fma_f64 v[171:172], v[40:41], v[159:160], v[171:172]
	v_add_f64 v[167:168], v[167:168], v[163:164]
	v_add_f64 v[165:166], v[169:170], v[165:166]
	ds_load_b128 v[161:164], v1 offset:880
	v_fma_f64 v[159:160], v[38:39], v[159:160], -v[173:174]
	scratch_load_b128 v[38:41], off, off offset:432
	s_waitcnt vmcnt(9) lgkmcnt(1)
	v_mul_f64 v[169:170], v[2:3], v[44:45]
	v_mul_f64 v[44:45], v[4:5], v[44:45]
	s_waitcnt vmcnt(8) lgkmcnt(0)
	v_mul_f64 v[173:174], v[161:162], v[8:9]
	v_mul_f64 v[8:9], v[163:164], v[8:9]
	v_add_f64 v[167:168], v[167:168], v[177:178]
	v_add_f64 v[165:166], v[165:166], v[175:176]
	v_fma_f64 v[169:170], v[4:5], v[42:43], v[169:170]
	v_fma_f64 v[175:176], v[2:3], v[42:43], -v[44:45]
	ds_load_b128 v[2:5], v1 offset:896
	scratch_load_b128 v[42:45], off, off offset:448
	v_fma_f64 v[163:164], v[163:164], v[6:7], v[173:174]
	v_fma_f64 v[161:162], v[161:162], v[6:7], -v[8:9]
	scratch_load_b128 v[6:9], off, off offset:464
	v_add_f64 v[159:160], v[167:168], v[159:160]
	v_add_f64 v[171:172], v[165:166], v[171:172]
	ds_load_b128 v[165:168], v1 offset:912
	s_waitcnt vmcnt(9) lgkmcnt(1)
	v_mul_f64 v[177:178], v[2:3], v[12:13]
	v_mul_f64 v[12:13], v[4:5], v[12:13]
	v_add_f64 v[159:160], v[159:160], v[175:176]
	v_add_f64 v[169:170], v[171:172], v[169:170]
	s_waitcnt vmcnt(8) lgkmcnt(0)
	v_mul_f64 v[171:172], v[165:166], v[16:17]
	v_mul_f64 v[16:17], v[167:168], v[16:17]
	v_fma_f64 v[173:174], v[4:5], v[10:11], v[177:178]
	v_fma_f64 v[175:176], v[2:3], v[10:11], -v[12:13]
	ds_load_b128 v[2:5], v1 offset:928
	scratch_load_b128 v[10:13], off, off offset:480
	v_add_f64 v[177:178], v[159:160], v[161:162]
	v_add_f64 v[163:164], v[169:170], v[163:164]
	ds_load_b128 v[159:162], v1 offset:944
	s_waitcnt vmcnt(8) lgkmcnt(1)
	v_mul_f64 v[169:170], v[2:3], v[20:21]
	v_mul_f64 v[20:21], v[4:5], v[20:21]
	v_fma_f64 v[167:168], v[167:168], v[14:15], v[171:172]
	v_fma_f64 v[165:166], v[165:166], v[14:15], -v[16:17]
	scratch_load_b128 v[14:17], off, off offset:496
	v_add_f64 v[171:172], v[177:178], v[175:176]
	v_add_f64 v[163:164], v[163:164], v[173:174]
	s_waitcnt vmcnt(8) lgkmcnt(0)
	v_mul_f64 v[173:174], v[159:160], v[24:25]
	v_mul_f64 v[24:25], v[161:162], v[24:25]
	v_fma_f64 v[169:170], v[4:5], v[18:19], v[169:170]
	v_fma_f64 v[175:176], v[2:3], v[18:19], -v[20:21]
	ds_load_b128 v[2:5], v1 offset:960
	scratch_load_b128 v[18:21], off, off offset:512
	v_add_f64 v[171:172], v[171:172], v[165:166]
	v_add_f64 v[167:168], v[163:164], v[167:168]
	ds_load_b128 v[163:166], v1 offset:976
	s_waitcnt vmcnt(8) lgkmcnt(1)
	v_mul_f64 v[177:178], v[2:3], v[28:29]
	v_mul_f64 v[28:29], v[4:5], v[28:29]
	v_fma_f64 v[161:162], v[161:162], v[22:23], v[173:174]
	v_fma_f64 v[159:160], v[159:160], v[22:23], -v[24:25]
	scratch_load_b128 v[22:25], off, off offset:528
	;; [unrolled: 18-line block ×3, first 2 shown]
	v_add_f64 v[169:170], v[171:172], v[175:176]
	v_add_f64 v[167:168], v[167:168], v[173:174]
	s_waitcnt vmcnt(8) lgkmcnt(0)
	v_mul_f64 v[171:172], v[159:160], v[40:41]
	v_mul_f64 v[40:41], v[161:162], v[40:41]
	v_fma_f64 v[173:174], v[4:5], v[34:35], v[177:178]
	v_fma_f64 v[175:176], v[2:3], v[34:35], -v[36:37]
	ds_load_b128 v[2:5], v1 offset:1024
	ds_load_b128 v[34:37], v1 offset:1040
	v_add_f64 v[163:164], v[169:170], v[163:164]
	v_add_f64 v[165:166], v[167:168], v[165:166]
	s_waitcnt vmcnt(7) lgkmcnt(1)
	v_mul_f64 v[167:168], v[2:3], v[44:45]
	v_mul_f64 v[44:45], v[4:5], v[44:45]
	v_fma_f64 v[161:162], v[161:162], v[38:39], v[171:172]
	v_fma_f64 v[38:39], v[159:160], v[38:39], -v[40:41]
	v_add_f64 v[40:41], v[163:164], v[175:176]
	v_add_f64 v[159:160], v[165:166], v[173:174]
	s_waitcnt vmcnt(6) lgkmcnt(0)
	v_mul_f64 v[163:164], v[34:35], v[8:9]
	v_mul_f64 v[8:9], v[36:37], v[8:9]
	v_fma_f64 v[165:166], v[4:5], v[42:43], v[167:168]
	v_fma_f64 v[42:43], v[2:3], v[42:43], -v[44:45]
	v_add_f64 v[44:45], v[40:41], v[38:39]
	v_add_f64 v[159:160], v[159:160], v[161:162]
	ds_load_b128 v[2:5], v1 offset:1056
	ds_load_b128 v[38:41], v1 offset:1072
	v_fma_f64 v[36:37], v[36:37], v[6:7], v[163:164]
	v_fma_f64 v[6:7], v[34:35], v[6:7], -v[8:9]
	s_waitcnt vmcnt(5) lgkmcnt(1)
	v_mul_f64 v[161:162], v[2:3], v[12:13]
	v_mul_f64 v[12:13], v[4:5], v[12:13]
	v_add_f64 v[8:9], v[44:45], v[42:43]
	v_add_f64 v[34:35], v[159:160], v[165:166]
	s_waitcnt vmcnt(4) lgkmcnt(0)
	v_mul_f64 v[42:43], v[38:39], v[16:17]
	v_mul_f64 v[16:17], v[40:41], v[16:17]
	v_fma_f64 v[44:45], v[4:5], v[10:11], v[161:162]
	v_fma_f64 v[10:11], v[2:3], v[10:11], -v[12:13]
	v_add_f64 v[12:13], v[8:9], v[6:7]
	v_add_f64 v[34:35], v[34:35], v[36:37]
	ds_load_b128 v[2:5], v1 offset:1088
	ds_load_b128 v[6:9], v1 offset:1104
	v_fma_f64 v[40:41], v[40:41], v[14:15], v[42:43]
	v_fma_f64 v[14:15], v[38:39], v[14:15], -v[16:17]
	s_waitcnt vmcnt(3) lgkmcnt(1)
	v_mul_f64 v[36:37], v[2:3], v[20:21]
	v_mul_f64 v[20:21], v[4:5], v[20:21]
	s_waitcnt vmcnt(2) lgkmcnt(0)
	v_mul_f64 v[16:17], v[6:7], v[24:25]
	v_mul_f64 v[24:25], v[8:9], v[24:25]
	v_add_f64 v[10:11], v[12:13], v[10:11]
	v_add_f64 v[12:13], v[34:35], v[44:45]
	v_fma_f64 v[34:35], v[4:5], v[18:19], v[36:37]
	v_fma_f64 v[18:19], v[2:3], v[18:19], -v[20:21]
	v_fma_f64 v[8:9], v[8:9], v[22:23], v[16:17]
	v_fma_f64 v[6:7], v[6:7], v[22:23], -v[24:25]
	v_add_f64 v[14:15], v[10:11], v[14:15]
	v_add_f64 v[20:21], v[12:13], v[40:41]
	ds_load_b128 v[2:5], v1 offset:1120
	ds_load_b128 v[10:13], v1 offset:1136
	s_waitcnt vmcnt(1) lgkmcnt(1)
	v_mul_f64 v[36:37], v[2:3], v[28:29]
	v_mul_f64 v[28:29], v[4:5], v[28:29]
	v_add_f64 v[14:15], v[14:15], v[18:19]
	v_add_f64 v[16:17], v[20:21], v[34:35]
	s_waitcnt vmcnt(0) lgkmcnt(0)
	v_mul_f64 v[18:19], v[10:11], v[32:33]
	v_mul_f64 v[20:21], v[12:13], v[32:33]
	v_fma_f64 v[4:5], v[4:5], v[26:27], v[36:37]
	v_fma_f64 v[1:2], v[2:3], v[26:27], -v[28:29]
	v_add_f64 v[6:7], v[14:15], v[6:7]
	v_add_f64 v[8:9], v[16:17], v[8:9]
	v_fma_f64 v[12:13], v[12:13], v[30:31], v[18:19]
	v_fma_f64 v[10:11], v[10:11], v[30:31], -v[20:21]
	s_delay_alu instid0(VALU_DEP_4) | instskip(NEXT) | instid1(VALU_DEP_4)
	v_add_f64 v[1:2], v[6:7], v[1:2]
	v_add_f64 v[3:4], v[8:9], v[4:5]
	s_delay_alu instid0(VALU_DEP_2) | instskip(NEXT) | instid1(VALU_DEP_2)
	v_add_f64 v[1:2], v[1:2], v[10:11]
	v_add_f64 v[3:4], v[3:4], v[12:13]
	s_delay_alu instid0(VALU_DEP_2) | instskip(NEXT) | instid1(VALU_DEP_2)
	v_add_f64 v[1:2], v[155:156], -v[1:2]
	v_add_f64 v[3:4], v[157:158], -v[3:4]
	scratch_store_b128 off, v[1:4], off offset:112
	v_cmpx_lt_u32_e32 6, v118
	s_cbranch_execz .LBB35_217
; %bb.216:
	scratch_load_b128 v[1:4], v141, off
	v_mov_b32_e32 v5, 0
	s_delay_alu instid0(VALU_DEP_1)
	v_mov_b32_e32 v6, v5
	v_mov_b32_e32 v7, v5
	;; [unrolled: 1-line block ×3, first 2 shown]
	scratch_store_b128 off, v[5:8], off offset:96
	s_waitcnt vmcnt(0)
	ds_store_b128 v154, v[1:4]
.LBB35_217:
	s_or_b32 exec_lo, exec_lo, s2
	s_waitcnt lgkmcnt(0)
	s_waitcnt_vscnt null, 0x0
	s_barrier
	buffer_gl0_inv
	s_clause 0x7
	scratch_load_b128 v[2:5], off, off offset:112
	scratch_load_b128 v[6:9], off, off offset:128
	;; [unrolled: 1-line block ×8, first 2 shown]
	v_mov_b32_e32 v1, 0
	s_mov_b32 s2, exec_lo
	ds_load_b128 v[38:41], v1 offset:688
	s_clause 0x1
	scratch_load_b128 v[34:37], off, off offset:240
	scratch_load_b128 v[42:45], off, off offset:96
	ds_load_b128 v[155:158], v1 offset:704
	scratch_load_b128 v[159:162], off, off offset:256
	s_waitcnt vmcnt(10) lgkmcnt(1)
	v_mul_f64 v[163:164], v[40:41], v[4:5]
	v_mul_f64 v[4:5], v[38:39], v[4:5]
	s_delay_alu instid0(VALU_DEP_2) | instskip(NEXT) | instid1(VALU_DEP_2)
	v_fma_f64 v[169:170], v[38:39], v[2:3], -v[163:164]
	v_fma_f64 v[171:172], v[40:41], v[2:3], v[4:5]
	scratch_load_b128 v[38:41], off, off offset:272
	ds_load_b128 v[2:5], v1 offset:720
	s_waitcnt vmcnt(10) lgkmcnt(1)
	v_mul_f64 v[167:168], v[155:156], v[8:9]
	v_mul_f64 v[8:9], v[157:158], v[8:9]
	ds_load_b128 v[163:166], v1 offset:736
	s_waitcnt vmcnt(9) lgkmcnt(1)
	v_mul_f64 v[173:174], v[2:3], v[12:13]
	v_mul_f64 v[12:13], v[4:5], v[12:13]
	v_fma_f64 v[157:158], v[157:158], v[6:7], v[167:168]
	v_fma_f64 v[155:156], v[155:156], v[6:7], -v[8:9]
	v_add_f64 v[167:168], v[169:170], 0
	v_add_f64 v[169:170], v[171:172], 0
	scratch_load_b128 v[6:9], off, off offset:288
	v_fma_f64 v[173:174], v[4:5], v[10:11], v[173:174]
	v_fma_f64 v[175:176], v[2:3], v[10:11], -v[12:13]
	scratch_load_b128 v[10:13], off, off offset:304
	ds_load_b128 v[2:5], v1 offset:752
	s_waitcnt vmcnt(10) lgkmcnt(1)
	v_mul_f64 v[171:172], v[163:164], v[16:17]
	v_mul_f64 v[16:17], v[165:166], v[16:17]
	v_add_f64 v[167:168], v[167:168], v[155:156]
	v_add_f64 v[169:170], v[169:170], v[157:158]
	s_waitcnt vmcnt(9) lgkmcnt(0)
	v_mul_f64 v[177:178], v[2:3], v[20:21]
	v_mul_f64 v[20:21], v[4:5], v[20:21]
	ds_load_b128 v[155:158], v1 offset:768
	v_fma_f64 v[165:166], v[165:166], v[14:15], v[171:172]
	v_fma_f64 v[163:164], v[163:164], v[14:15], -v[16:17]
	scratch_load_b128 v[14:17], off, off offset:320
	v_add_f64 v[167:168], v[167:168], v[175:176]
	v_add_f64 v[169:170], v[169:170], v[173:174]
	v_fma_f64 v[173:174], v[4:5], v[18:19], v[177:178]
	v_fma_f64 v[175:176], v[2:3], v[18:19], -v[20:21]
	scratch_load_b128 v[18:21], off, off offset:336
	ds_load_b128 v[2:5], v1 offset:784
	s_waitcnt vmcnt(10) lgkmcnt(1)
	v_mul_f64 v[171:172], v[155:156], v[24:25]
	v_mul_f64 v[24:25], v[157:158], v[24:25]
	s_waitcnt vmcnt(9) lgkmcnt(0)
	v_mul_f64 v[177:178], v[2:3], v[28:29]
	v_mul_f64 v[28:29], v[4:5], v[28:29]
	v_add_f64 v[167:168], v[167:168], v[163:164]
	v_add_f64 v[169:170], v[169:170], v[165:166]
	ds_load_b128 v[163:166], v1 offset:800
	v_fma_f64 v[157:158], v[157:158], v[22:23], v[171:172]
	v_fma_f64 v[155:156], v[155:156], v[22:23], -v[24:25]
	scratch_load_b128 v[22:25], off, off offset:352
	v_add_f64 v[167:168], v[167:168], v[175:176]
	v_add_f64 v[169:170], v[169:170], v[173:174]
	v_fma_f64 v[173:174], v[4:5], v[26:27], v[177:178]
	v_fma_f64 v[175:176], v[2:3], v[26:27], -v[28:29]
	scratch_load_b128 v[26:29], off, off offset:368
	ds_load_b128 v[2:5], v1 offset:816
	s_waitcnt vmcnt(10) lgkmcnt(1)
	v_mul_f64 v[171:172], v[163:164], v[32:33]
	v_mul_f64 v[32:33], v[165:166], v[32:33]
	s_waitcnt vmcnt(9) lgkmcnt(0)
	v_mul_f64 v[177:178], v[2:3], v[36:37]
	v_mul_f64 v[36:37], v[4:5], v[36:37]
	v_add_f64 v[167:168], v[167:168], v[155:156]
	v_add_f64 v[169:170], v[169:170], v[157:158]
	ds_load_b128 v[155:158], v1 offset:832
	v_fma_f64 v[165:166], v[165:166], v[30:31], v[171:172]
	v_fma_f64 v[163:164], v[163:164], v[30:31], -v[32:33]
	scratch_load_b128 v[30:33], off, off offset:384
	v_add_f64 v[167:168], v[167:168], v[175:176]
	v_add_f64 v[169:170], v[169:170], v[173:174]
	v_fma_f64 v[175:176], v[4:5], v[34:35], v[177:178]
	v_fma_f64 v[177:178], v[2:3], v[34:35], -v[36:37]
	scratch_load_b128 v[34:37], off, off offset:400
	ds_load_b128 v[2:5], v1 offset:848
	s_waitcnt vmcnt(9) lgkmcnt(1)
	v_mul_f64 v[171:172], v[155:156], v[161:162]
	v_mul_f64 v[173:174], v[157:158], v[161:162]
	v_add_f64 v[167:168], v[167:168], v[163:164]
	v_add_f64 v[165:166], v[169:170], v[165:166]
	ds_load_b128 v[161:164], v1 offset:864
	v_fma_f64 v[171:172], v[157:158], v[159:160], v[171:172]
	v_fma_f64 v[159:160], v[155:156], v[159:160], -v[173:174]
	scratch_load_b128 v[155:158], off, off offset:416
	s_waitcnt vmcnt(9) lgkmcnt(1)
	v_mul_f64 v[169:170], v[2:3], v[40:41]
	v_mul_f64 v[40:41], v[4:5], v[40:41]
	v_add_f64 v[167:168], v[167:168], v[177:178]
	v_add_f64 v[165:166], v[165:166], v[175:176]
	s_delay_alu instid0(VALU_DEP_4) | instskip(NEXT) | instid1(VALU_DEP_4)
	v_fma_f64 v[169:170], v[4:5], v[38:39], v[169:170]
	v_fma_f64 v[175:176], v[2:3], v[38:39], -v[40:41]
	scratch_load_b128 v[38:41], off, off offset:432
	ds_load_b128 v[2:5], v1 offset:880
	s_waitcnt vmcnt(9) lgkmcnt(1)
	v_mul_f64 v[173:174], v[161:162], v[8:9]
	v_mul_f64 v[8:9], v[163:164], v[8:9]
	s_waitcnt vmcnt(8) lgkmcnt(0)
	v_mul_f64 v[177:178], v[2:3], v[12:13]
	v_mul_f64 v[12:13], v[4:5], v[12:13]
	v_add_f64 v[159:160], v[167:168], v[159:160]
	v_add_f64 v[171:172], v[165:166], v[171:172]
	ds_load_b128 v[165:168], v1 offset:896
	v_fma_f64 v[163:164], v[163:164], v[6:7], v[173:174]
	v_fma_f64 v[161:162], v[161:162], v[6:7], -v[8:9]
	scratch_load_b128 v[6:9], off, off offset:448
	v_fma_f64 v[173:174], v[4:5], v[10:11], v[177:178]
	v_add_f64 v[159:160], v[159:160], v[175:176]
	v_add_f64 v[169:170], v[171:172], v[169:170]
	v_fma_f64 v[175:176], v[2:3], v[10:11], -v[12:13]
	scratch_load_b128 v[10:13], off, off offset:464
	ds_load_b128 v[2:5], v1 offset:912
	s_waitcnt vmcnt(9) lgkmcnt(1)
	v_mul_f64 v[171:172], v[165:166], v[16:17]
	v_mul_f64 v[16:17], v[167:168], v[16:17]
	v_add_f64 v[177:178], v[159:160], v[161:162]
	v_add_f64 v[163:164], v[169:170], v[163:164]
	s_waitcnt vmcnt(8) lgkmcnt(0)
	v_mul_f64 v[169:170], v[2:3], v[20:21]
	v_mul_f64 v[20:21], v[4:5], v[20:21]
	ds_load_b128 v[159:162], v1 offset:928
	v_fma_f64 v[167:168], v[167:168], v[14:15], v[171:172]
	v_fma_f64 v[165:166], v[165:166], v[14:15], -v[16:17]
	scratch_load_b128 v[14:17], off, off offset:480
	v_add_f64 v[171:172], v[177:178], v[175:176]
	v_add_f64 v[163:164], v[163:164], v[173:174]
	v_fma_f64 v[169:170], v[4:5], v[18:19], v[169:170]
	v_fma_f64 v[175:176], v[2:3], v[18:19], -v[20:21]
	scratch_load_b128 v[18:21], off, off offset:496
	ds_load_b128 v[2:5], v1 offset:944
	s_waitcnt vmcnt(9) lgkmcnt(1)
	v_mul_f64 v[173:174], v[159:160], v[24:25]
	v_mul_f64 v[24:25], v[161:162], v[24:25]
	s_waitcnt vmcnt(8) lgkmcnt(0)
	v_mul_f64 v[177:178], v[2:3], v[28:29]
	v_mul_f64 v[28:29], v[4:5], v[28:29]
	v_add_f64 v[171:172], v[171:172], v[165:166]
	v_add_f64 v[167:168], v[163:164], v[167:168]
	ds_load_b128 v[163:166], v1 offset:960
	v_fma_f64 v[161:162], v[161:162], v[22:23], v[173:174]
	v_fma_f64 v[159:160], v[159:160], v[22:23], -v[24:25]
	scratch_load_b128 v[22:25], off, off offset:512
	v_fma_f64 v[173:174], v[4:5], v[26:27], v[177:178]
	v_add_f64 v[171:172], v[171:172], v[175:176]
	v_add_f64 v[167:168], v[167:168], v[169:170]
	v_fma_f64 v[175:176], v[2:3], v[26:27], -v[28:29]
	scratch_load_b128 v[26:29], off, off offset:528
	ds_load_b128 v[2:5], v1 offset:976
	s_waitcnt vmcnt(9) lgkmcnt(1)
	v_mul_f64 v[169:170], v[163:164], v[32:33]
	v_mul_f64 v[32:33], v[165:166], v[32:33]
	s_waitcnt vmcnt(8) lgkmcnt(0)
	v_mul_f64 v[177:178], v[2:3], v[36:37]
	v_mul_f64 v[36:37], v[4:5], v[36:37]
	v_add_f64 v[171:172], v[171:172], v[159:160]
	v_add_f64 v[167:168], v[167:168], v[161:162]
	ds_load_b128 v[159:162], v1 offset:992
	v_fma_f64 v[165:166], v[165:166], v[30:31], v[169:170]
	v_fma_f64 v[163:164], v[163:164], v[30:31], -v[32:33]
	scratch_load_b128 v[30:33], off, off offset:544
	v_add_f64 v[169:170], v[171:172], v[175:176]
	v_add_f64 v[167:168], v[167:168], v[173:174]
	v_fma_f64 v[173:174], v[4:5], v[34:35], v[177:178]
	v_fma_f64 v[175:176], v[2:3], v[34:35], -v[36:37]
	scratch_load_b128 v[34:37], off, off offset:560
	ds_load_b128 v[2:5], v1 offset:1008
	s_waitcnt vmcnt(9) lgkmcnt(1)
	v_mul_f64 v[171:172], v[159:160], v[157:158]
	v_mul_f64 v[157:158], v[161:162], v[157:158]
	s_waitcnt vmcnt(8) lgkmcnt(0)
	v_mul_f64 v[177:178], v[2:3], v[40:41]
	v_mul_f64 v[40:41], v[4:5], v[40:41]
	v_add_f64 v[169:170], v[169:170], v[163:164]
	v_add_f64 v[167:168], v[167:168], v[165:166]
	ds_load_b128 v[163:166], v1 offset:1024
	v_fma_f64 v[161:162], v[161:162], v[155:156], v[171:172]
	v_fma_f64 v[155:156], v[159:160], v[155:156], -v[157:158]
	v_fma_f64 v[171:172], v[2:3], v[38:39], -v[40:41]
	v_add_f64 v[157:158], v[169:170], v[175:176]
	v_add_f64 v[159:160], v[167:168], v[173:174]
	s_waitcnt vmcnt(7) lgkmcnt(0)
	v_mul_f64 v[167:168], v[163:164], v[8:9]
	v_mul_f64 v[8:9], v[165:166], v[8:9]
	v_fma_f64 v[169:170], v[4:5], v[38:39], v[177:178]
	ds_load_b128 v[2:5], v1 offset:1040
	ds_load_b128 v[38:41], v1 offset:1056
	v_add_f64 v[155:156], v[157:158], v[155:156]
	v_add_f64 v[157:158], v[159:160], v[161:162]
	s_waitcnt vmcnt(6) lgkmcnt(1)
	v_mul_f64 v[159:160], v[2:3], v[12:13]
	v_mul_f64 v[12:13], v[4:5], v[12:13]
	v_fma_f64 v[161:162], v[165:166], v[6:7], v[167:168]
	v_fma_f64 v[6:7], v[163:164], v[6:7], -v[8:9]
	v_add_f64 v[8:9], v[155:156], v[171:172]
	v_add_f64 v[155:156], v[157:158], v[169:170]
	s_waitcnt vmcnt(5) lgkmcnt(0)
	v_mul_f64 v[157:158], v[38:39], v[16:17]
	v_mul_f64 v[16:17], v[40:41], v[16:17]
	v_fma_f64 v[159:160], v[4:5], v[10:11], v[159:160]
	v_fma_f64 v[10:11], v[2:3], v[10:11], -v[12:13]
	v_add_f64 v[12:13], v[8:9], v[6:7]
	v_add_f64 v[155:156], v[155:156], v[161:162]
	ds_load_b128 v[2:5], v1 offset:1072
	ds_load_b128 v[6:9], v1 offset:1088
	v_fma_f64 v[40:41], v[40:41], v[14:15], v[157:158]
	v_fma_f64 v[14:15], v[38:39], v[14:15], -v[16:17]
	s_waitcnt vmcnt(4) lgkmcnt(1)
	v_mul_f64 v[161:162], v[2:3], v[20:21]
	v_mul_f64 v[20:21], v[4:5], v[20:21]
	s_waitcnt vmcnt(3) lgkmcnt(0)
	v_mul_f64 v[16:17], v[6:7], v[24:25]
	v_mul_f64 v[24:25], v[8:9], v[24:25]
	v_add_f64 v[10:11], v[12:13], v[10:11]
	v_add_f64 v[12:13], v[155:156], v[159:160]
	v_fma_f64 v[38:39], v[4:5], v[18:19], v[161:162]
	v_fma_f64 v[18:19], v[2:3], v[18:19], -v[20:21]
	v_fma_f64 v[8:9], v[8:9], v[22:23], v[16:17]
	v_fma_f64 v[6:7], v[6:7], v[22:23], -v[24:25]
	v_add_f64 v[14:15], v[10:11], v[14:15]
	v_add_f64 v[20:21], v[12:13], v[40:41]
	ds_load_b128 v[2:5], v1 offset:1104
	ds_load_b128 v[10:13], v1 offset:1120
	s_waitcnt vmcnt(2) lgkmcnt(1)
	v_mul_f64 v[40:41], v[2:3], v[28:29]
	v_mul_f64 v[28:29], v[4:5], v[28:29]
	v_add_f64 v[14:15], v[14:15], v[18:19]
	v_add_f64 v[16:17], v[20:21], v[38:39]
	s_waitcnt vmcnt(1) lgkmcnt(0)
	v_mul_f64 v[18:19], v[10:11], v[32:33]
	v_mul_f64 v[20:21], v[12:13], v[32:33]
	v_fma_f64 v[22:23], v[4:5], v[26:27], v[40:41]
	v_fma_f64 v[24:25], v[2:3], v[26:27], -v[28:29]
	ds_load_b128 v[2:5], v1 offset:1136
	v_add_f64 v[6:7], v[14:15], v[6:7]
	v_add_f64 v[8:9], v[16:17], v[8:9]
	v_fma_f64 v[12:13], v[12:13], v[30:31], v[18:19]
	v_fma_f64 v[10:11], v[10:11], v[30:31], -v[20:21]
	s_waitcnt vmcnt(0) lgkmcnt(0)
	v_mul_f64 v[14:15], v[2:3], v[36:37]
	v_mul_f64 v[16:17], v[4:5], v[36:37]
	v_add_f64 v[6:7], v[6:7], v[24:25]
	v_add_f64 v[8:9], v[8:9], v[22:23]
	s_delay_alu instid0(VALU_DEP_4) | instskip(NEXT) | instid1(VALU_DEP_4)
	v_fma_f64 v[4:5], v[4:5], v[34:35], v[14:15]
	v_fma_f64 v[2:3], v[2:3], v[34:35], -v[16:17]
	s_delay_alu instid0(VALU_DEP_4) | instskip(NEXT) | instid1(VALU_DEP_4)
	v_add_f64 v[6:7], v[6:7], v[10:11]
	v_add_f64 v[8:9], v[8:9], v[12:13]
	s_delay_alu instid0(VALU_DEP_2) | instskip(NEXT) | instid1(VALU_DEP_2)
	v_add_f64 v[2:3], v[6:7], v[2:3]
	v_add_f64 v[4:5], v[8:9], v[4:5]
	s_delay_alu instid0(VALU_DEP_2) | instskip(NEXT) | instid1(VALU_DEP_2)
	v_add_f64 v[2:3], v[42:43], -v[2:3]
	v_add_f64 v[4:5], v[44:45], -v[4:5]
	scratch_store_b128 off, v[2:5], off offset:96
	v_cmpx_lt_u32_e32 5, v118
	s_cbranch_execz .LBB35_219
; %bb.218:
	scratch_load_b128 v[5:8], v143, off
	v_mov_b32_e32 v2, v1
	v_mov_b32_e32 v3, v1
	;; [unrolled: 1-line block ×3, first 2 shown]
	scratch_store_b128 off, v[1:4], off offset:80
	s_waitcnt vmcnt(0)
	ds_store_b128 v154, v[5:8]
.LBB35_219:
	s_or_b32 exec_lo, exec_lo, s2
	s_waitcnt lgkmcnt(0)
	s_waitcnt_vscnt null, 0x0
	s_barrier
	buffer_gl0_inv
	s_clause 0x8
	scratch_load_b128 v[2:5], off, off offset:96
	scratch_load_b128 v[6:9], off, off offset:112
	scratch_load_b128 v[10:13], off, off offset:128
	scratch_load_b128 v[14:17], off, off offset:144
	scratch_load_b128 v[18:21], off, off offset:160
	scratch_load_b128 v[22:25], off, off offset:176
	scratch_load_b128 v[26:29], off, off offset:192
	scratch_load_b128 v[30:33], off, off offset:208
	scratch_load_b128 v[34:37], off, off offset:224
	ds_load_b128 v[42:45], v1 offset:672
	ds_load_b128 v[38:41], v1 offset:688
	s_clause 0x1
	scratch_load_b128 v[155:158], off, off offset:80
	scratch_load_b128 v[159:162], off, off offset:240
	s_mov_b32 s2, exec_lo
	s_waitcnt vmcnt(10) lgkmcnt(1)
	v_mul_f64 v[163:164], v[44:45], v[4:5]
	v_mul_f64 v[4:5], v[42:43], v[4:5]
	s_waitcnt vmcnt(9) lgkmcnt(0)
	v_mul_f64 v[167:168], v[38:39], v[8:9]
	v_mul_f64 v[8:9], v[40:41], v[8:9]
	s_delay_alu instid0(VALU_DEP_4) | instskip(NEXT) | instid1(VALU_DEP_4)
	v_fma_f64 v[169:170], v[42:43], v[2:3], -v[163:164]
	v_fma_f64 v[171:172], v[44:45], v[2:3], v[4:5]
	ds_load_b128 v[2:5], v1 offset:704
	ds_load_b128 v[163:166], v1 offset:720
	scratch_load_b128 v[42:45], off, off offset:256
	v_fma_f64 v[40:41], v[40:41], v[6:7], v[167:168]
	v_fma_f64 v[38:39], v[38:39], v[6:7], -v[8:9]
	scratch_load_b128 v[6:9], off, off offset:272
	s_waitcnt vmcnt(10) lgkmcnt(1)
	v_mul_f64 v[173:174], v[2:3], v[12:13]
	v_mul_f64 v[12:13], v[4:5], v[12:13]
	v_add_f64 v[167:168], v[169:170], 0
	v_add_f64 v[169:170], v[171:172], 0
	s_waitcnt vmcnt(9) lgkmcnt(0)
	v_mul_f64 v[171:172], v[163:164], v[16:17]
	v_mul_f64 v[16:17], v[165:166], v[16:17]
	v_fma_f64 v[173:174], v[4:5], v[10:11], v[173:174]
	v_fma_f64 v[175:176], v[2:3], v[10:11], -v[12:13]
	ds_load_b128 v[2:5], v1 offset:736
	scratch_load_b128 v[10:13], off, off offset:288
	v_add_f64 v[167:168], v[167:168], v[38:39]
	v_add_f64 v[169:170], v[169:170], v[40:41]
	ds_load_b128 v[38:41], v1 offset:752
	v_fma_f64 v[165:166], v[165:166], v[14:15], v[171:172]
	v_fma_f64 v[163:164], v[163:164], v[14:15], -v[16:17]
	scratch_load_b128 v[14:17], off, off offset:304
	s_waitcnt vmcnt(10) lgkmcnt(1)
	v_mul_f64 v[177:178], v[2:3], v[20:21]
	v_mul_f64 v[20:21], v[4:5], v[20:21]
	s_waitcnt vmcnt(9) lgkmcnt(0)
	v_mul_f64 v[171:172], v[38:39], v[24:25]
	v_mul_f64 v[24:25], v[40:41], v[24:25]
	v_add_f64 v[167:168], v[167:168], v[175:176]
	v_add_f64 v[169:170], v[169:170], v[173:174]
	v_fma_f64 v[173:174], v[4:5], v[18:19], v[177:178]
	v_fma_f64 v[175:176], v[2:3], v[18:19], -v[20:21]
	ds_load_b128 v[2:5], v1 offset:768
	scratch_load_b128 v[18:21], off, off offset:320
	v_fma_f64 v[40:41], v[40:41], v[22:23], v[171:172]
	v_fma_f64 v[38:39], v[38:39], v[22:23], -v[24:25]
	scratch_load_b128 v[22:25], off, off offset:336
	v_add_f64 v[167:168], v[167:168], v[163:164]
	v_add_f64 v[169:170], v[169:170], v[165:166]
	ds_load_b128 v[163:166], v1 offset:784
	s_waitcnt vmcnt(10) lgkmcnt(1)
	v_mul_f64 v[177:178], v[2:3], v[28:29]
	v_mul_f64 v[28:29], v[4:5], v[28:29]
	s_waitcnt vmcnt(9) lgkmcnt(0)
	v_mul_f64 v[171:172], v[163:164], v[32:33]
	v_mul_f64 v[32:33], v[165:166], v[32:33]
	v_add_f64 v[167:168], v[167:168], v[175:176]
	v_add_f64 v[169:170], v[169:170], v[173:174]
	v_fma_f64 v[173:174], v[4:5], v[26:27], v[177:178]
	v_fma_f64 v[175:176], v[2:3], v[26:27], -v[28:29]
	ds_load_b128 v[2:5], v1 offset:800
	scratch_load_b128 v[26:29], off, off offset:352
	v_fma_f64 v[165:166], v[165:166], v[30:31], v[171:172]
	v_fma_f64 v[163:164], v[163:164], v[30:31], -v[32:33]
	scratch_load_b128 v[30:33], off, off offset:368
	v_add_f64 v[167:168], v[167:168], v[38:39]
	v_add_f64 v[169:170], v[169:170], v[40:41]
	ds_load_b128 v[38:41], v1 offset:816
	s_waitcnt vmcnt(10) lgkmcnt(1)
	v_mul_f64 v[177:178], v[2:3], v[36:37]
	v_mul_f64 v[36:37], v[4:5], v[36:37]
	s_waitcnt vmcnt(8) lgkmcnt(0)
	v_mul_f64 v[171:172], v[38:39], v[161:162]
	v_add_f64 v[167:168], v[167:168], v[175:176]
	v_add_f64 v[169:170], v[169:170], v[173:174]
	v_mul_f64 v[173:174], v[40:41], v[161:162]
	v_fma_f64 v[175:176], v[4:5], v[34:35], v[177:178]
	v_fma_f64 v[177:178], v[2:3], v[34:35], -v[36:37]
	ds_load_b128 v[2:5], v1 offset:832
	scratch_load_b128 v[34:37], off, off offset:384
	v_fma_f64 v[171:172], v[40:41], v[159:160], v[171:172]
	v_add_f64 v[167:168], v[167:168], v[163:164]
	v_add_f64 v[165:166], v[169:170], v[165:166]
	ds_load_b128 v[161:164], v1 offset:848
	v_fma_f64 v[159:160], v[38:39], v[159:160], -v[173:174]
	scratch_load_b128 v[38:41], off, off offset:400
	s_waitcnt vmcnt(9) lgkmcnt(1)
	v_mul_f64 v[169:170], v[2:3], v[44:45]
	v_mul_f64 v[44:45], v[4:5], v[44:45]
	s_waitcnt vmcnt(8) lgkmcnt(0)
	v_mul_f64 v[173:174], v[161:162], v[8:9]
	v_mul_f64 v[8:9], v[163:164], v[8:9]
	v_add_f64 v[167:168], v[167:168], v[177:178]
	v_add_f64 v[165:166], v[165:166], v[175:176]
	v_fma_f64 v[169:170], v[4:5], v[42:43], v[169:170]
	v_fma_f64 v[175:176], v[2:3], v[42:43], -v[44:45]
	ds_load_b128 v[2:5], v1 offset:864
	scratch_load_b128 v[42:45], off, off offset:416
	v_fma_f64 v[163:164], v[163:164], v[6:7], v[173:174]
	v_fma_f64 v[161:162], v[161:162], v[6:7], -v[8:9]
	scratch_load_b128 v[6:9], off, off offset:432
	v_add_f64 v[159:160], v[167:168], v[159:160]
	v_add_f64 v[171:172], v[165:166], v[171:172]
	ds_load_b128 v[165:168], v1 offset:880
	s_waitcnt vmcnt(9) lgkmcnt(1)
	v_mul_f64 v[177:178], v[2:3], v[12:13]
	v_mul_f64 v[12:13], v[4:5], v[12:13]
	v_add_f64 v[159:160], v[159:160], v[175:176]
	v_add_f64 v[169:170], v[171:172], v[169:170]
	s_waitcnt vmcnt(8) lgkmcnt(0)
	v_mul_f64 v[171:172], v[165:166], v[16:17]
	v_mul_f64 v[16:17], v[167:168], v[16:17]
	v_fma_f64 v[173:174], v[4:5], v[10:11], v[177:178]
	v_fma_f64 v[175:176], v[2:3], v[10:11], -v[12:13]
	ds_load_b128 v[2:5], v1 offset:896
	scratch_load_b128 v[10:13], off, off offset:448
	v_add_f64 v[177:178], v[159:160], v[161:162]
	v_add_f64 v[163:164], v[169:170], v[163:164]
	ds_load_b128 v[159:162], v1 offset:912
	s_waitcnt vmcnt(8) lgkmcnt(1)
	v_mul_f64 v[169:170], v[2:3], v[20:21]
	v_mul_f64 v[20:21], v[4:5], v[20:21]
	v_fma_f64 v[167:168], v[167:168], v[14:15], v[171:172]
	v_fma_f64 v[165:166], v[165:166], v[14:15], -v[16:17]
	scratch_load_b128 v[14:17], off, off offset:464
	v_add_f64 v[171:172], v[177:178], v[175:176]
	v_add_f64 v[163:164], v[163:164], v[173:174]
	s_waitcnt vmcnt(8) lgkmcnt(0)
	v_mul_f64 v[173:174], v[159:160], v[24:25]
	v_mul_f64 v[24:25], v[161:162], v[24:25]
	v_fma_f64 v[169:170], v[4:5], v[18:19], v[169:170]
	v_fma_f64 v[175:176], v[2:3], v[18:19], -v[20:21]
	ds_load_b128 v[2:5], v1 offset:928
	scratch_load_b128 v[18:21], off, off offset:480
	v_add_f64 v[171:172], v[171:172], v[165:166]
	v_add_f64 v[167:168], v[163:164], v[167:168]
	ds_load_b128 v[163:166], v1 offset:944
	s_waitcnt vmcnt(8) lgkmcnt(1)
	v_mul_f64 v[177:178], v[2:3], v[28:29]
	v_mul_f64 v[28:29], v[4:5], v[28:29]
	v_fma_f64 v[161:162], v[161:162], v[22:23], v[173:174]
	v_fma_f64 v[159:160], v[159:160], v[22:23], -v[24:25]
	scratch_load_b128 v[22:25], off, off offset:496
	v_add_f64 v[171:172], v[171:172], v[175:176]
	v_add_f64 v[167:168], v[167:168], v[169:170]
	s_waitcnt vmcnt(8) lgkmcnt(0)
	v_mul_f64 v[169:170], v[163:164], v[32:33]
	v_mul_f64 v[32:33], v[165:166], v[32:33]
	v_fma_f64 v[173:174], v[4:5], v[26:27], v[177:178]
	v_fma_f64 v[175:176], v[2:3], v[26:27], -v[28:29]
	ds_load_b128 v[2:5], v1 offset:960
	scratch_load_b128 v[26:29], off, off offset:512
	v_add_f64 v[171:172], v[171:172], v[159:160]
	v_add_f64 v[167:168], v[167:168], v[161:162]
	ds_load_b128 v[159:162], v1 offset:976
	s_waitcnt vmcnt(8) lgkmcnt(1)
	v_mul_f64 v[177:178], v[2:3], v[36:37]
	v_mul_f64 v[36:37], v[4:5], v[36:37]
	v_fma_f64 v[165:166], v[165:166], v[30:31], v[169:170]
	v_fma_f64 v[163:164], v[163:164], v[30:31], -v[32:33]
	scratch_load_b128 v[30:33], off, off offset:528
	v_add_f64 v[169:170], v[171:172], v[175:176]
	v_add_f64 v[167:168], v[167:168], v[173:174]
	s_waitcnt vmcnt(8) lgkmcnt(0)
	v_mul_f64 v[171:172], v[159:160], v[40:41]
	v_mul_f64 v[40:41], v[161:162], v[40:41]
	v_fma_f64 v[173:174], v[4:5], v[34:35], v[177:178]
	v_fma_f64 v[175:176], v[2:3], v[34:35], -v[36:37]
	ds_load_b128 v[2:5], v1 offset:992
	scratch_load_b128 v[34:37], off, off offset:544
	v_add_f64 v[169:170], v[169:170], v[163:164]
	v_add_f64 v[167:168], v[167:168], v[165:166]
	ds_load_b128 v[163:166], v1 offset:1008
	s_waitcnt vmcnt(8) lgkmcnt(1)
	v_mul_f64 v[177:178], v[2:3], v[44:45]
	v_mul_f64 v[44:45], v[4:5], v[44:45]
	v_fma_f64 v[161:162], v[161:162], v[38:39], v[171:172]
	v_fma_f64 v[159:160], v[159:160], v[38:39], -v[40:41]
	scratch_load_b128 v[38:41], off, off offset:560
	s_waitcnt vmcnt(8) lgkmcnt(0)
	v_mul_f64 v[171:172], v[163:164], v[8:9]
	v_mul_f64 v[8:9], v[165:166], v[8:9]
	v_add_f64 v[169:170], v[169:170], v[175:176]
	v_add_f64 v[167:168], v[167:168], v[173:174]
	v_fma_f64 v[173:174], v[4:5], v[42:43], v[177:178]
	v_fma_f64 v[175:176], v[2:3], v[42:43], -v[44:45]
	ds_load_b128 v[2:5], v1 offset:1024
	ds_load_b128 v[42:45], v1 offset:1040
	v_fma_f64 v[165:166], v[165:166], v[6:7], v[171:172]
	v_fma_f64 v[6:7], v[163:164], v[6:7], -v[8:9]
	v_add_f64 v[159:160], v[169:170], v[159:160]
	v_add_f64 v[161:162], v[167:168], v[161:162]
	s_waitcnt vmcnt(7) lgkmcnt(1)
	v_mul_f64 v[167:168], v[2:3], v[12:13]
	v_mul_f64 v[12:13], v[4:5], v[12:13]
	s_delay_alu instid0(VALU_DEP_4) | instskip(NEXT) | instid1(VALU_DEP_4)
	v_add_f64 v[8:9], v[159:160], v[175:176]
	v_add_f64 v[159:160], v[161:162], v[173:174]
	s_waitcnt vmcnt(6) lgkmcnt(0)
	v_mul_f64 v[161:162], v[42:43], v[16:17]
	v_mul_f64 v[16:17], v[44:45], v[16:17]
	v_fma_f64 v[163:164], v[4:5], v[10:11], v[167:168]
	v_fma_f64 v[10:11], v[2:3], v[10:11], -v[12:13]
	v_add_f64 v[12:13], v[8:9], v[6:7]
	v_add_f64 v[159:160], v[159:160], v[165:166]
	ds_load_b128 v[2:5], v1 offset:1056
	ds_load_b128 v[6:9], v1 offset:1072
	v_fma_f64 v[44:45], v[44:45], v[14:15], v[161:162]
	v_fma_f64 v[14:15], v[42:43], v[14:15], -v[16:17]
	s_waitcnt vmcnt(5) lgkmcnt(1)
	v_mul_f64 v[165:166], v[2:3], v[20:21]
	v_mul_f64 v[20:21], v[4:5], v[20:21]
	s_waitcnt vmcnt(4) lgkmcnt(0)
	v_mul_f64 v[16:17], v[6:7], v[24:25]
	v_mul_f64 v[24:25], v[8:9], v[24:25]
	v_add_f64 v[10:11], v[12:13], v[10:11]
	v_add_f64 v[12:13], v[159:160], v[163:164]
	v_fma_f64 v[42:43], v[4:5], v[18:19], v[165:166]
	v_fma_f64 v[18:19], v[2:3], v[18:19], -v[20:21]
	v_fma_f64 v[8:9], v[8:9], v[22:23], v[16:17]
	v_fma_f64 v[6:7], v[6:7], v[22:23], -v[24:25]
	v_add_f64 v[14:15], v[10:11], v[14:15]
	v_add_f64 v[20:21], v[12:13], v[44:45]
	ds_load_b128 v[2:5], v1 offset:1088
	ds_load_b128 v[10:13], v1 offset:1104
	s_waitcnt vmcnt(3) lgkmcnt(1)
	v_mul_f64 v[44:45], v[2:3], v[28:29]
	v_mul_f64 v[28:29], v[4:5], v[28:29]
	v_add_f64 v[14:15], v[14:15], v[18:19]
	v_add_f64 v[16:17], v[20:21], v[42:43]
	s_waitcnt vmcnt(2) lgkmcnt(0)
	v_mul_f64 v[18:19], v[10:11], v[32:33]
	v_mul_f64 v[20:21], v[12:13], v[32:33]
	v_fma_f64 v[22:23], v[4:5], v[26:27], v[44:45]
	v_fma_f64 v[24:25], v[2:3], v[26:27], -v[28:29]
	v_add_f64 v[14:15], v[14:15], v[6:7]
	v_add_f64 v[16:17], v[16:17], v[8:9]
	ds_load_b128 v[2:5], v1 offset:1120
	ds_load_b128 v[6:9], v1 offset:1136
	v_fma_f64 v[12:13], v[12:13], v[30:31], v[18:19]
	v_fma_f64 v[10:11], v[10:11], v[30:31], -v[20:21]
	s_waitcnt vmcnt(1) lgkmcnt(1)
	v_mul_f64 v[26:27], v[2:3], v[36:37]
	v_mul_f64 v[28:29], v[4:5], v[36:37]
	s_waitcnt vmcnt(0) lgkmcnt(0)
	v_mul_f64 v[18:19], v[6:7], v[40:41]
	v_mul_f64 v[20:21], v[8:9], v[40:41]
	v_add_f64 v[14:15], v[14:15], v[24:25]
	v_add_f64 v[16:17], v[16:17], v[22:23]
	v_fma_f64 v[4:5], v[4:5], v[34:35], v[26:27]
	v_fma_f64 v[1:2], v[2:3], v[34:35], -v[28:29]
	v_fma_f64 v[8:9], v[8:9], v[38:39], v[18:19]
	v_fma_f64 v[6:7], v[6:7], v[38:39], -v[20:21]
	v_add_f64 v[10:11], v[14:15], v[10:11]
	v_add_f64 v[12:13], v[16:17], v[12:13]
	s_delay_alu instid0(VALU_DEP_2) | instskip(NEXT) | instid1(VALU_DEP_2)
	v_add_f64 v[1:2], v[10:11], v[1:2]
	v_add_f64 v[3:4], v[12:13], v[4:5]
	s_delay_alu instid0(VALU_DEP_2) | instskip(NEXT) | instid1(VALU_DEP_2)
	;; [unrolled: 3-line block ×3, first 2 shown]
	v_add_f64 v[1:2], v[155:156], -v[1:2]
	v_add_f64 v[3:4], v[157:158], -v[3:4]
	scratch_store_b128 off, v[1:4], off offset:80
	v_cmpx_lt_u32_e32 4, v118
	s_cbranch_execz .LBB35_221
; %bb.220:
	scratch_load_b128 v[1:4], v119, off
	v_mov_b32_e32 v5, 0
	s_delay_alu instid0(VALU_DEP_1)
	v_mov_b32_e32 v6, v5
	v_mov_b32_e32 v7, v5
	;; [unrolled: 1-line block ×3, first 2 shown]
	scratch_store_b128 off, v[5:8], off offset:64
	s_waitcnt vmcnt(0)
	ds_store_b128 v154, v[1:4]
.LBB35_221:
	s_or_b32 exec_lo, exec_lo, s2
	s_waitcnt lgkmcnt(0)
	s_waitcnt_vscnt null, 0x0
	s_barrier
	buffer_gl0_inv
	s_clause 0x7
	scratch_load_b128 v[2:5], off, off offset:80
	scratch_load_b128 v[6:9], off, off offset:96
	;; [unrolled: 1-line block ×8, first 2 shown]
	v_mov_b32_e32 v1, 0
	s_mov_b32 s2, exec_lo
	ds_load_b128 v[38:41], v1 offset:656
	s_clause 0x1
	scratch_load_b128 v[34:37], off, off offset:208
	scratch_load_b128 v[42:45], off, off offset:64
	ds_load_b128 v[155:158], v1 offset:672
	scratch_load_b128 v[159:162], off, off offset:224
	s_waitcnt vmcnt(10) lgkmcnt(1)
	v_mul_f64 v[163:164], v[40:41], v[4:5]
	v_mul_f64 v[4:5], v[38:39], v[4:5]
	s_delay_alu instid0(VALU_DEP_2) | instskip(NEXT) | instid1(VALU_DEP_2)
	v_fma_f64 v[169:170], v[38:39], v[2:3], -v[163:164]
	v_fma_f64 v[171:172], v[40:41], v[2:3], v[4:5]
	scratch_load_b128 v[38:41], off, off offset:240
	ds_load_b128 v[2:5], v1 offset:688
	s_waitcnt vmcnt(10) lgkmcnt(1)
	v_mul_f64 v[167:168], v[155:156], v[8:9]
	v_mul_f64 v[8:9], v[157:158], v[8:9]
	ds_load_b128 v[163:166], v1 offset:704
	s_waitcnt vmcnt(9) lgkmcnt(1)
	v_mul_f64 v[173:174], v[2:3], v[12:13]
	v_mul_f64 v[12:13], v[4:5], v[12:13]
	v_fma_f64 v[157:158], v[157:158], v[6:7], v[167:168]
	v_fma_f64 v[155:156], v[155:156], v[6:7], -v[8:9]
	v_add_f64 v[167:168], v[169:170], 0
	v_add_f64 v[169:170], v[171:172], 0
	scratch_load_b128 v[6:9], off, off offset:256
	v_fma_f64 v[173:174], v[4:5], v[10:11], v[173:174]
	v_fma_f64 v[175:176], v[2:3], v[10:11], -v[12:13]
	scratch_load_b128 v[10:13], off, off offset:272
	ds_load_b128 v[2:5], v1 offset:720
	s_waitcnt vmcnt(10) lgkmcnt(1)
	v_mul_f64 v[171:172], v[163:164], v[16:17]
	v_mul_f64 v[16:17], v[165:166], v[16:17]
	v_add_f64 v[167:168], v[167:168], v[155:156]
	v_add_f64 v[169:170], v[169:170], v[157:158]
	s_waitcnt vmcnt(9) lgkmcnt(0)
	v_mul_f64 v[177:178], v[2:3], v[20:21]
	v_mul_f64 v[20:21], v[4:5], v[20:21]
	ds_load_b128 v[155:158], v1 offset:736
	v_fma_f64 v[165:166], v[165:166], v[14:15], v[171:172]
	v_fma_f64 v[163:164], v[163:164], v[14:15], -v[16:17]
	scratch_load_b128 v[14:17], off, off offset:288
	v_add_f64 v[167:168], v[167:168], v[175:176]
	v_add_f64 v[169:170], v[169:170], v[173:174]
	v_fma_f64 v[173:174], v[4:5], v[18:19], v[177:178]
	v_fma_f64 v[175:176], v[2:3], v[18:19], -v[20:21]
	scratch_load_b128 v[18:21], off, off offset:304
	ds_load_b128 v[2:5], v1 offset:752
	s_waitcnt vmcnt(10) lgkmcnt(1)
	v_mul_f64 v[171:172], v[155:156], v[24:25]
	v_mul_f64 v[24:25], v[157:158], v[24:25]
	s_waitcnt vmcnt(9) lgkmcnt(0)
	v_mul_f64 v[177:178], v[2:3], v[28:29]
	v_mul_f64 v[28:29], v[4:5], v[28:29]
	v_add_f64 v[167:168], v[167:168], v[163:164]
	v_add_f64 v[169:170], v[169:170], v[165:166]
	ds_load_b128 v[163:166], v1 offset:768
	v_fma_f64 v[157:158], v[157:158], v[22:23], v[171:172]
	v_fma_f64 v[155:156], v[155:156], v[22:23], -v[24:25]
	scratch_load_b128 v[22:25], off, off offset:320
	v_add_f64 v[167:168], v[167:168], v[175:176]
	v_add_f64 v[169:170], v[169:170], v[173:174]
	v_fma_f64 v[173:174], v[4:5], v[26:27], v[177:178]
	v_fma_f64 v[175:176], v[2:3], v[26:27], -v[28:29]
	scratch_load_b128 v[26:29], off, off offset:336
	ds_load_b128 v[2:5], v1 offset:784
	s_waitcnt vmcnt(10) lgkmcnt(1)
	v_mul_f64 v[171:172], v[163:164], v[32:33]
	v_mul_f64 v[32:33], v[165:166], v[32:33]
	s_waitcnt vmcnt(9) lgkmcnt(0)
	v_mul_f64 v[177:178], v[2:3], v[36:37]
	v_mul_f64 v[36:37], v[4:5], v[36:37]
	v_add_f64 v[167:168], v[167:168], v[155:156]
	v_add_f64 v[169:170], v[169:170], v[157:158]
	ds_load_b128 v[155:158], v1 offset:800
	v_fma_f64 v[165:166], v[165:166], v[30:31], v[171:172]
	v_fma_f64 v[163:164], v[163:164], v[30:31], -v[32:33]
	scratch_load_b128 v[30:33], off, off offset:352
	v_add_f64 v[167:168], v[167:168], v[175:176]
	v_add_f64 v[169:170], v[169:170], v[173:174]
	v_fma_f64 v[175:176], v[4:5], v[34:35], v[177:178]
	v_fma_f64 v[177:178], v[2:3], v[34:35], -v[36:37]
	scratch_load_b128 v[34:37], off, off offset:368
	ds_load_b128 v[2:5], v1 offset:816
	s_waitcnt vmcnt(9) lgkmcnt(1)
	v_mul_f64 v[171:172], v[155:156], v[161:162]
	v_mul_f64 v[173:174], v[157:158], v[161:162]
	v_add_f64 v[167:168], v[167:168], v[163:164]
	v_add_f64 v[165:166], v[169:170], v[165:166]
	ds_load_b128 v[161:164], v1 offset:832
	v_fma_f64 v[171:172], v[157:158], v[159:160], v[171:172]
	v_fma_f64 v[159:160], v[155:156], v[159:160], -v[173:174]
	scratch_load_b128 v[155:158], off, off offset:384
	s_waitcnt vmcnt(9) lgkmcnt(1)
	v_mul_f64 v[169:170], v[2:3], v[40:41]
	v_mul_f64 v[40:41], v[4:5], v[40:41]
	v_add_f64 v[167:168], v[167:168], v[177:178]
	v_add_f64 v[165:166], v[165:166], v[175:176]
	s_delay_alu instid0(VALU_DEP_4) | instskip(NEXT) | instid1(VALU_DEP_4)
	v_fma_f64 v[169:170], v[4:5], v[38:39], v[169:170]
	v_fma_f64 v[175:176], v[2:3], v[38:39], -v[40:41]
	scratch_load_b128 v[38:41], off, off offset:400
	ds_load_b128 v[2:5], v1 offset:848
	s_waitcnt vmcnt(9) lgkmcnt(1)
	v_mul_f64 v[173:174], v[161:162], v[8:9]
	v_mul_f64 v[8:9], v[163:164], v[8:9]
	s_waitcnt vmcnt(8) lgkmcnt(0)
	v_mul_f64 v[177:178], v[2:3], v[12:13]
	v_mul_f64 v[12:13], v[4:5], v[12:13]
	v_add_f64 v[159:160], v[167:168], v[159:160]
	v_add_f64 v[171:172], v[165:166], v[171:172]
	ds_load_b128 v[165:168], v1 offset:864
	v_fma_f64 v[163:164], v[163:164], v[6:7], v[173:174]
	v_fma_f64 v[161:162], v[161:162], v[6:7], -v[8:9]
	scratch_load_b128 v[6:9], off, off offset:416
	v_fma_f64 v[173:174], v[4:5], v[10:11], v[177:178]
	v_add_f64 v[159:160], v[159:160], v[175:176]
	v_add_f64 v[169:170], v[171:172], v[169:170]
	v_fma_f64 v[175:176], v[2:3], v[10:11], -v[12:13]
	scratch_load_b128 v[10:13], off, off offset:432
	ds_load_b128 v[2:5], v1 offset:880
	s_waitcnt vmcnt(9) lgkmcnt(1)
	v_mul_f64 v[171:172], v[165:166], v[16:17]
	v_mul_f64 v[16:17], v[167:168], v[16:17]
	v_add_f64 v[177:178], v[159:160], v[161:162]
	v_add_f64 v[163:164], v[169:170], v[163:164]
	s_waitcnt vmcnt(8) lgkmcnt(0)
	v_mul_f64 v[169:170], v[2:3], v[20:21]
	v_mul_f64 v[20:21], v[4:5], v[20:21]
	ds_load_b128 v[159:162], v1 offset:896
	v_fma_f64 v[167:168], v[167:168], v[14:15], v[171:172]
	v_fma_f64 v[165:166], v[165:166], v[14:15], -v[16:17]
	scratch_load_b128 v[14:17], off, off offset:448
	v_add_f64 v[171:172], v[177:178], v[175:176]
	v_add_f64 v[163:164], v[163:164], v[173:174]
	v_fma_f64 v[169:170], v[4:5], v[18:19], v[169:170]
	v_fma_f64 v[175:176], v[2:3], v[18:19], -v[20:21]
	scratch_load_b128 v[18:21], off, off offset:464
	ds_load_b128 v[2:5], v1 offset:912
	s_waitcnt vmcnt(9) lgkmcnt(1)
	v_mul_f64 v[173:174], v[159:160], v[24:25]
	v_mul_f64 v[24:25], v[161:162], v[24:25]
	s_waitcnt vmcnt(8) lgkmcnt(0)
	v_mul_f64 v[177:178], v[2:3], v[28:29]
	v_mul_f64 v[28:29], v[4:5], v[28:29]
	v_add_f64 v[171:172], v[171:172], v[165:166]
	v_add_f64 v[167:168], v[163:164], v[167:168]
	ds_load_b128 v[163:166], v1 offset:928
	v_fma_f64 v[161:162], v[161:162], v[22:23], v[173:174]
	v_fma_f64 v[159:160], v[159:160], v[22:23], -v[24:25]
	scratch_load_b128 v[22:25], off, off offset:480
	v_fma_f64 v[173:174], v[4:5], v[26:27], v[177:178]
	v_add_f64 v[171:172], v[171:172], v[175:176]
	v_add_f64 v[167:168], v[167:168], v[169:170]
	v_fma_f64 v[175:176], v[2:3], v[26:27], -v[28:29]
	scratch_load_b128 v[26:29], off, off offset:496
	ds_load_b128 v[2:5], v1 offset:944
	s_waitcnt vmcnt(9) lgkmcnt(1)
	v_mul_f64 v[169:170], v[163:164], v[32:33]
	v_mul_f64 v[32:33], v[165:166], v[32:33]
	s_waitcnt vmcnt(8) lgkmcnt(0)
	v_mul_f64 v[177:178], v[2:3], v[36:37]
	v_mul_f64 v[36:37], v[4:5], v[36:37]
	v_add_f64 v[171:172], v[171:172], v[159:160]
	v_add_f64 v[167:168], v[167:168], v[161:162]
	ds_load_b128 v[159:162], v1 offset:960
	v_fma_f64 v[165:166], v[165:166], v[30:31], v[169:170]
	v_fma_f64 v[163:164], v[163:164], v[30:31], -v[32:33]
	scratch_load_b128 v[30:33], off, off offset:512
	v_add_f64 v[169:170], v[171:172], v[175:176]
	v_add_f64 v[167:168], v[167:168], v[173:174]
	v_fma_f64 v[173:174], v[4:5], v[34:35], v[177:178]
	v_fma_f64 v[175:176], v[2:3], v[34:35], -v[36:37]
	scratch_load_b128 v[34:37], off, off offset:528
	ds_load_b128 v[2:5], v1 offset:976
	s_waitcnt vmcnt(9) lgkmcnt(1)
	v_mul_f64 v[171:172], v[159:160], v[157:158]
	v_mul_f64 v[157:158], v[161:162], v[157:158]
	s_waitcnt vmcnt(8) lgkmcnt(0)
	v_mul_f64 v[177:178], v[2:3], v[40:41]
	v_mul_f64 v[40:41], v[4:5], v[40:41]
	v_add_f64 v[169:170], v[169:170], v[163:164]
	v_add_f64 v[167:168], v[167:168], v[165:166]
	ds_load_b128 v[163:166], v1 offset:992
	v_fma_f64 v[161:162], v[161:162], v[155:156], v[171:172]
	v_fma_f64 v[159:160], v[159:160], v[155:156], -v[157:158]
	scratch_load_b128 v[155:158], off, off offset:544
	v_add_f64 v[169:170], v[169:170], v[175:176]
	v_add_f64 v[167:168], v[167:168], v[173:174]
	v_fma_f64 v[173:174], v[4:5], v[38:39], v[177:178]
	v_fma_f64 v[175:176], v[2:3], v[38:39], -v[40:41]
	scratch_load_b128 v[38:41], off, off offset:560
	ds_load_b128 v[2:5], v1 offset:1008
	s_waitcnt vmcnt(9) lgkmcnt(1)
	v_mul_f64 v[171:172], v[163:164], v[8:9]
	v_mul_f64 v[8:9], v[165:166], v[8:9]
	s_waitcnt vmcnt(8) lgkmcnt(0)
	v_mul_f64 v[177:178], v[2:3], v[12:13]
	v_mul_f64 v[12:13], v[4:5], v[12:13]
	v_add_f64 v[169:170], v[169:170], v[159:160]
	v_add_f64 v[167:168], v[167:168], v[161:162]
	ds_load_b128 v[159:162], v1 offset:1024
	v_fma_f64 v[165:166], v[165:166], v[6:7], v[171:172]
	v_fma_f64 v[6:7], v[163:164], v[6:7], -v[8:9]
	v_add_f64 v[8:9], v[169:170], v[175:176]
	v_add_f64 v[163:164], v[167:168], v[173:174]
	s_waitcnt vmcnt(7) lgkmcnt(0)
	v_mul_f64 v[167:168], v[159:160], v[16:17]
	v_mul_f64 v[16:17], v[161:162], v[16:17]
	v_fma_f64 v[169:170], v[4:5], v[10:11], v[177:178]
	v_fma_f64 v[10:11], v[2:3], v[10:11], -v[12:13]
	v_add_f64 v[12:13], v[8:9], v[6:7]
	v_add_f64 v[163:164], v[163:164], v[165:166]
	ds_load_b128 v[2:5], v1 offset:1040
	ds_load_b128 v[6:9], v1 offset:1056
	v_fma_f64 v[161:162], v[161:162], v[14:15], v[167:168]
	v_fma_f64 v[14:15], v[159:160], v[14:15], -v[16:17]
	s_waitcnt vmcnt(6) lgkmcnt(1)
	v_mul_f64 v[165:166], v[2:3], v[20:21]
	v_mul_f64 v[20:21], v[4:5], v[20:21]
	s_waitcnt vmcnt(5) lgkmcnt(0)
	v_mul_f64 v[16:17], v[6:7], v[24:25]
	v_mul_f64 v[24:25], v[8:9], v[24:25]
	v_add_f64 v[10:11], v[12:13], v[10:11]
	v_add_f64 v[12:13], v[163:164], v[169:170]
	v_fma_f64 v[159:160], v[4:5], v[18:19], v[165:166]
	v_fma_f64 v[18:19], v[2:3], v[18:19], -v[20:21]
	v_fma_f64 v[8:9], v[8:9], v[22:23], v[16:17]
	v_fma_f64 v[6:7], v[6:7], v[22:23], -v[24:25]
	v_add_f64 v[14:15], v[10:11], v[14:15]
	v_add_f64 v[20:21], v[12:13], v[161:162]
	ds_load_b128 v[2:5], v1 offset:1072
	ds_load_b128 v[10:13], v1 offset:1088
	s_waitcnt vmcnt(4) lgkmcnt(1)
	v_mul_f64 v[161:162], v[2:3], v[28:29]
	v_mul_f64 v[28:29], v[4:5], v[28:29]
	v_add_f64 v[14:15], v[14:15], v[18:19]
	v_add_f64 v[16:17], v[20:21], v[159:160]
	s_waitcnt vmcnt(3) lgkmcnt(0)
	v_mul_f64 v[18:19], v[10:11], v[32:33]
	v_mul_f64 v[20:21], v[12:13], v[32:33]
	v_fma_f64 v[22:23], v[4:5], v[26:27], v[161:162]
	v_fma_f64 v[24:25], v[2:3], v[26:27], -v[28:29]
	v_add_f64 v[14:15], v[14:15], v[6:7]
	v_add_f64 v[16:17], v[16:17], v[8:9]
	ds_load_b128 v[2:5], v1 offset:1104
	ds_load_b128 v[6:9], v1 offset:1120
	v_fma_f64 v[12:13], v[12:13], v[30:31], v[18:19]
	v_fma_f64 v[10:11], v[10:11], v[30:31], -v[20:21]
	s_waitcnt vmcnt(2) lgkmcnt(1)
	v_mul_f64 v[26:27], v[2:3], v[36:37]
	v_mul_f64 v[28:29], v[4:5], v[36:37]
	s_waitcnt vmcnt(1) lgkmcnt(0)
	v_mul_f64 v[18:19], v[6:7], v[157:158]
	v_mul_f64 v[20:21], v[8:9], v[157:158]
	v_add_f64 v[14:15], v[14:15], v[24:25]
	v_add_f64 v[16:17], v[16:17], v[22:23]
	v_fma_f64 v[22:23], v[4:5], v[34:35], v[26:27]
	v_fma_f64 v[24:25], v[2:3], v[34:35], -v[28:29]
	ds_load_b128 v[2:5], v1 offset:1136
	v_fma_f64 v[8:9], v[8:9], v[155:156], v[18:19]
	v_fma_f64 v[6:7], v[6:7], v[155:156], -v[20:21]
	v_add_f64 v[10:11], v[14:15], v[10:11]
	v_add_f64 v[12:13], v[16:17], v[12:13]
	s_waitcnt vmcnt(0) lgkmcnt(0)
	v_mul_f64 v[14:15], v[2:3], v[40:41]
	v_mul_f64 v[16:17], v[4:5], v[40:41]
	s_delay_alu instid0(VALU_DEP_4) | instskip(NEXT) | instid1(VALU_DEP_4)
	v_add_f64 v[10:11], v[10:11], v[24:25]
	v_add_f64 v[12:13], v[12:13], v[22:23]
	s_delay_alu instid0(VALU_DEP_4) | instskip(NEXT) | instid1(VALU_DEP_4)
	v_fma_f64 v[4:5], v[4:5], v[38:39], v[14:15]
	v_fma_f64 v[2:3], v[2:3], v[38:39], -v[16:17]
	s_delay_alu instid0(VALU_DEP_4) | instskip(NEXT) | instid1(VALU_DEP_4)
	v_add_f64 v[6:7], v[10:11], v[6:7]
	v_add_f64 v[8:9], v[12:13], v[8:9]
	s_delay_alu instid0(VALU_DEP_2) | instskip(NEXT) | instid1(VALU_DEP_2)
	v_add_f64 v[2:3], v[6:7], v[2:3]
	v_add_f64 v[4:5], v[8:9], v[4:5]
	s_delay_alu instid0(VALU_DEP_2) | instskip(NEXT) | instid1(VALU_DEP_2)
	v_add_f64 v[2:3], v[42:43], -v[2:3]
	v_add_f64 v[4:5], v[44:45], -v[4:5]
	scratch_store_b128 off, v[2:5], off offset:64
	v_cmpx_lt_u32_e32 3, v118
	s_cbranch_execz .LBB35_223
; %bb.222:
	scratch_load_b128 v[5:8], v121, off
	v_mov_b32_e32 v2, v1
	v_mov_b32_e32 v3, v1
	;; [unrolled: 1-line block ×3, first 2 shown]
	scratch_store_b128 off, v[1:4], off offset:48
	s_waitcnt vmcnt(0)
	ds_store_b128 v154, v[5:8]
.LBB35_223:
	s_or_b32 exec_lo, exec_lo, s2
	s_waitcnt lgkmcnt(0)
	s_waitcnt_vscnt null, 0x0
	s_barrier
	buffer_gl0_inv
	s_clause 0x8
	scratch_load_b128 v[2:5], off, off offset:64
	scratch_load_b128 v[6:9], off, off offset:80
	;; [unrolled: 1-line block ×9, first 2 shown]
	ds_load_b128 v[42:45], v1 offset:640
	ds_load_b128 v[38:41], v1 offset:656
	s_clause 0x1
	scratch_load_b128 v[155:158], off, off offset:48
	scratch_load_b128 v[159:162], off, off offset:208
	s_mov_b32 s2, exec_lo
	s_waitcnt vmcnt(10) lgkmcnt(1)
	v_mul_f64 v[163:164], v[44:45], v[4:5]
	v_mul_f64 v[4:5], v[42:43], v[4:5]
	s_waitcnt vmcnt(9) lgkmcnt(0)
	v_mul_f64 v[167:168], v[38:39], v[8:9]
	v_mul_f64 v[8:9], v[40:41], v[8:9]
	s_delay_alu instid0(VALU_DEP_4) | instskip(NEXT) | instid1(VALU_DEP_4)
	v_fma_f64 v[169:170], v[42:43], v[2:3], -v[163:164]
	v_fma_f64 v[171:172], v[44:45], v[2:3], v[4:5]
	ds_load_b128 v[2:5], v1 offset:672
	ds_load_b128 v[163:166], v1 offset:688
	scratch_load_b128 v[42:45], off, off offset:224
	v_fma_f64 v[40:41], v[40:41], v[6:7], v[167:168]
	v_fma_f64 v[38:39], v[38:39], v[6:7], -v[8:9]
	scratch_load_b128 v[6:9], off, off offset:240
	s_waitcnt vmcnt(10) lgkmcnt(1)
	v_mul_f64 v[173:174], v[2:3], v[12:13]
	v_mul_f64 v[12:13], v[4:5], v[12:13]
	v_add_f64 v[167:168], v[169:170], 0
	v_add_f64 v[169:170], v[171:172], 0
	s_waitcnt vmcnt(9) lgkmcnt(0)
	v_mul_f64 v[171:172], v[163:164], v[16:17]
	v_mul_f64 v[16:17], v[165:166], v[16:17]
	v_fma_f64 v[173:174], v[4:5], v[10:11], v[173:174]
	v_fma_f64 v[175:176], v[2:3], v[10:11], -v[12:13]
	ds_load_b128 v[2:5], v1 offset:704
	scratch_load_b128 v[10:13], off, off offset:256
	v_add_f64 v[167:168], v[167:168], v[38:39]
	v_add_f64 v[169:170], v[169:170], v[40:41]
	ds_load_b128 v[38:41], v1 offset:720
	v_fma_f64 v[165:166], v[165:166], v[14:15], v[171:172]
	v_fma_f64 v[163:164], v[163:164], v[14:15], -v[16:17]
	scratch_load_b128 v[14:17], off, off offset:272
	s_waitcnt vmcnt(10) lgkmcnt(1)
	v_mul_f64 v[177:178], v[2:3], v[20:21]
	v_mul_f64 v[20:21], v[4:5], v[20:21]
	s_waitcnt vmcnt(9) lgkmcnt(0)
	v_mul_f64 v[171:172], v[38:39], v[24:25]
	v_mul_f64 v[24:25], v[40:41], v[24:25]
	v_add_f64 v[167:168], v[167:168], v[175:176]
	v_add_f64 v[169:170], v[169:170], v[173:174]
	v_fma_f64 v[173:174], v[4:5], v[18:19], v[177:178]
	v_fma_f64 v[175:176], v[2:3], v[18:19], -v[20:21]
	ds_load_b128 v[2:5], v1 offset:736
	scratch_load_b128 v[18:21], off, off offset:288
	v_fma_f64 v[40:41], v[40:41], v[22:23], v[171:172]
	v_fma_f64 v[38:39], v[38:39], v[22:23], -v[24:25]
	scratch_load_b128 v[22:25], off, off offset:304
	v_add_f64 v[167:168], v[167:168], v[163:164]
	v_add_f64 v[169:170], v[169:170], v[165:166]
	ds_load_b128 v[163:166], v1 offset:752
	s_waitcnt vmcnt(10) lgkmcnt(1)
	v_mul_f64 v[177:178], v[2:3], v[28:29]
	v_mul_f64 v[28:29], v[4:5], v[28:29]
	s_waitcnt vmcnt(9) lgkmcnt(0)
	v_mul_f64 v[171:172], v[163:164], v[32:33]
	v_mul_f64 v[32:33], v[165:166], v[32:33]
	v_add_f64 v[167:168], v[167:168], v[175:176]
	v_add_f64 v[169:170], v[169:170], v[173:174]
	v_fma_f64 v[173:174], v[4:5], v[26:27], v[177:178]
	v_fma_f64 v[175:176], v[2:3], v[26:27], -v[28:29]
	ds_load_b128 v[2:5], v1 offset:768
	scratch_load_b128 v[26:29], off, off offset:320
	v_fma_f64 v[165:166], v[165:166], v[30:31], v[171:172]
	v_fma_f64 v[163:164], v[163:164], v[30:31], -v[32:33]
	scratch_load_b128 v[30:33], off, off offset:336
	v_add_f64 v[167:168], v[167:168], v[38:39]
	v_add_f64 v[169:170], v[169:170], v[40:41]
	ds_load_b128 v[38:41], v1 offset:784
	s_waitcnt vmcnt(10) lgkmcnt(1)
	v_mul_f64 v[177:178], v[2:3], v[36:37]
	v_mul_f64 v[36:37], v[4:5], v[36:37]
	s_waitcnt vmcnt(8) lgkmcnt(0)
	v_mul_f64 v[171:172], v[38:39], v[161:162]
	v_add_f64 v[167:168], v[167:168], v[175:176]
	v_add_f64 v[169:170], v[169:170], v[173:174]
	v_mul_f64 v[173:174], v[40:41], v[161:162]
	v_fma_f64 v[175:176], v[4:5], v[34:35], v[177:178]
	v_fma_f64 v[177:178], v[2:3], v[34:35], -v[36:37]
	ds_load_b128 v[2:5], v1 offset:800
	scratch_load_b128 v[34:37], off, off offset:352
	v_fma_f64 v[171:172], v[40:41], v[159:160], v[171:172]
	v_add_f64 v[167:168], v[167:168], v[163:164]
	v_add_f64 v[165:166], v[169:170], v[165:166]
	ds_load_b128 v[161:164], v1 offset:816
	v_fma_f64 v[159:160], v[38:39], v[159:160], -v[173:174]
	scratch_load_b128 v[38:41], off, off offset:368
	s_waitcnt vmcnt(9) lgkmcnt(1)
	v_mul_f64 v[169:170], v[2:3], v[44:45]
	v_mul_f64 v[44:45], v[4:5], v[44:45]
	s_waitcnt vmcnt(8) lgkmcnt(0)
	v_mul_f64 v[173:174], v[161:162], v[8:9]
	v_mul_f64 v[8:9], v[163:164], v[8:9]
	v_add_f64 v[167:168], v[167:168], v[177:178]
	v_add_f64 v[165:166], v[165:166], v[175:176]
	v_fma_f64 v[169:170], v[4:5], v[42:43], v[169:170]
	v_fma_f64 v[175:176], v[2:3], v[42:43], -v[44:45]
	ds_load_b128 v[2:5], v1 offset:832
	scratch_load_b128 v[42:45], off, off offset:384
	v_fma_f64 v[163:164], v[163:164], v[6:7], v[173:174]
	v_fma_f64 v[161:162], v[161:162], v[6:7], -v[8:9]
	scratch_load_b128 v[6:9], off, off offset:400
	v_add_f64 v[159:160], v[167:168], v[159:160]
	v_add_f64 v[171:172], v[165:166], v[171:172]
	ds_load_b128 v[165:168], v1 offset:848
	s_waitcnt vmcnt(9) lgkmcnt(1)
	v_mul_f64 v[177:178], v[2:3], v[12:13]
	v_mul_f64 v[12:13], v[4:5], v[12:13]
	v_add_f64 v[159:160], v[159:160], v[175:176]
	v_add_f64 v[169:170], v[171:172], v[169:170]
	s_waitcnt vmcnt(8) lgkmcnt(0)
	v_mul_f64 v[171:172], v[165:166], v[16:17]
	v_mul_f64 v[16:17], v[167:168], v[16:17]
	v_fma_f64 v[173:174], v[4:5], v[10:11], v[177:178]
	v_fma_f64 v[175:176], v[2:3], v[10:11], -v[12:13]
	ds_load_b128 v[2:5], v1 offset:864
	scratch_load_b128 v[10:13], off, off offset:416
	v_add_f64 v[177:178], v[159:160], v[161:162]
	v_add_f64 v[163:164], v[169:170], v[163:164]
	ds_load_b128 v[159:162], v1 offset:880
	s_waitcnt vmcnt(8) lgkmcnt(1)
	v_mul_f64 v[169:170], v[2:3], v[20:21]
	v_mul_f64 v[20:21], v[4:5], v[20:21]
	v_fma_f64 v[167:168], v[167:168], v[14:15], v[171:172]
	v_fma_f64 v[165:166], v[165:166], v[14:15], -v[16:17]
	scratch_load_b128 v[14:17], off, off offset:432
	v_add_f64 v[171:172], v[177:178], v[175:176]
	v_add_f64 v[163:164], v[163:164], v[173:174]
	s_waitcnt vmcnt(8) lgkmcnt(0)
	v_mul_f64 v[173:174], v[159:160], v[24:25]
	v_mul_f64 v[24:25], v[161:162], v[24:25]
	v_fma_f64 v[169:170], v[4:5], v[18:19], v[169:170]
	v_fma_f64 v[175:176], v[2:3], v[18:19], -v[20:21]
	ds_load_b128 v[2:5], v1 offset:896
	scratch_load_b128 v[18:21], off, off offset:448
	v_add_f64 v[171:172], v[171:172], v[165:166]
	v_add_f64 v[167:168], v[163:164], v[167:168]
	ds_load_b128 v[163:166], v1 offset:912
	s_waitcnt vmcnt(8) lgkmcnt(1)
	v_mul_f64 v[177:178], v[2:3], v[28:29]
	v_mul_f64 v[28:29], v[4:5], v[28:29]
	v_fma_f64 v[161:162], v[161:162], v[22:23], v[173:174]
	v_fma_f64 v[159:160], v[159:160], v[22:23], -v[24:25]
	scratch_load_b128 v[22:25], off, off offset:464
	v_add_f64 v[171:172], v[171:172], v[175:176]
	v_add_f64 v[167:168], v[167:168], v[169:170]
	s_waitcnt vmcnt(8) lgkmcnt(0)
	v_mul_f64 v[169:170], v[163:164], v[32:33]
	v_mul_f64 v[32:33], v[165:166], v[32:33]
	v_fma_f64 v[173:174], v[4:5], v[26:27], v[177:178]
	v_fma_f64 v[175:176], v[2:3], v[26:27], -v[28:29]
	ds_load_b128 v[2:5], v1 offset:928
	scratch_load_b128 v[26:29], off, off offset:480
	v_add_f64 v[171:172], v[171:172], v[159:160]
	v_add_f64 v[167:168], v[167:168], v[161:162]
	ds_load_b128 v[159:162], v1 offset:944
	s_waitcnt vmcnt(8) lgkmcnt(1)
	v_mul_f64 v[177:178], v[2:3], v[36:37]
	v_mul_f64 v[36:37], v[4:5], v[36:37]
	v_fma_f64 v[165:166], v[165:166], v[30:31], v[169:170]
	v_fma_f64 v[163:164], v[163:164], v[30:31], -v[32:33]
	scratch_load_b128 v[30:33], off, off offset:496
	v_add_f64 v[169:170], v[171:172], v[175:176]
	v_add_f64 v[167:168], v[167:168], v[173:174]
	s_waitcnt vmcnt(8) lgkmcnt(0)
	v_mul_f64 v[171:172], v[159:160], v[40:41]
	v_mul_f64 v[40:41], v[161:162], v[40:41]
	v_fma_f64 v[173:174], v[4:5], v[34:35], v[177:178]
	v_fma_f64 v[175:176], v[2:3], v[34:35], -v[36:37]
	ds_load_b128 v[2:5], v1 offset:960
	scratch_load_b128 v[34:37], off, off offset:512
	v_add_f64 v[169:170], v[169:170], v[163:164]
	v_add_f64 v[167:168], v[167:168], v[165:166]
	ds_load_b128 v[163:166], v1 offset:976
	s_waitcnt vmcnt(8) lgkmcnt(1)
	v_mul_f64 v[177:178], v[2:3], v[44:45]
	v_mul_f64 v[44:45], v[4:5], v[44:45]
	v_fma_f64 v[161:162], v[161:162], v[38:39], v[171:172]
	v_fma_f64 v[159:160], v[159:160], v[38:39], -v[40:41]
	scratch_load_b128 v[38:41], off, off offset:528
	s_waitcnt vmcnt(8) lgkmcnt(0)
	v_mul_f64 v[171:172], v[163:164], v[8:9]
	v_mul_f64 v[8:9], v[165:166], v[8:9]
	v_add_f64 v[169:170], v[169:170], v[175:176]
	v_add_f64 v[167:168], v[167:168], v[173:174]
	v_fma_f64 v[173:174], v[4:5], v[42:43], v[177:178]
	v_fma_f64 v[175:176], v[2:3], v[42:43], -v[44:45]
	ds_load_b128 v[2:5], v1 offset:992
	scratch_load_b128 v[42:45], off, off offset:544
	v_fma_f64 v[165:166], v[165:166], v[6:7], v[171:172]
	v_fma_f64 v[163:164], v[163:164], v[6:7], -v[8:9]
	scratch_load_b128 v[6:9], off, off offset:560
	v_add_f64 v[169:170], v[169:170], v[159:160]
	v_add_f64 v[167:168], v[167:168], v[161:162]
	ds_load_b128 v[159:162], v1 offset:1008
	s_waitcnt vmcnt(9) lgkmcnt(1)
	v_mul_f64 v[177:178], v[2:3], v[12:13]
	v_mul_f64 v[12:13], v[4:5], v[12:13]
	s_waitcnt vmcnt(8) lgkmcnt(0)
	v_mul_f64 v[171:172], v[159:160], v[16:17]
	v_mul_f64 v[16:17], v[161:162], v[16:17]
	v_add_f64 v[169:170], v[169:170], v[175:176]
	v_add_f64 v[167:168], v[167:168], v[173:174]
	v_fma_f64 v[173:174], v[4:5], v[10:11], v[177:178]
	v_fma_f64 v[175:176], v[2:3], v[10:11], -v[12:13]
	ds_load_b128 v[2:5], v1 offset:1024
	ds_load_b128 v[10:13], v1 offset:1040
	v_fma_f64 v[161:162], v[161:162], v[14:15], v[171:172]
	v_fma_f64 v[14:15], v[159:160], v[14:15], -v[16:17]
	v_add_f64 v[163:164], v[169:170], v[163:164]
	v_add_f64 v[165:166], v[167:168], v[165:166]
	s_waitcnt vmcnt(7) lgkmcnt(1)
	v_mul_f64 v[167:168], v[2:3], v[20:21]
	v_mul_f64 v[20:21], v[4:5], v[20:21]
	s_delay_alu instid0(VALU_DEP_4) | instskip(NEXT) | instid1(VALU_DEP_4)
	v_add_f64 v[16:17], v[163:164], v[175:176]
	v_add_f64 v[159:160], v[165:166], v[173:174]
	s_waitcnt vmcnt(6) lgkmcnt(0)
	v_mul_f64 v[163:164], v[10:11], v[24:25]
	v_mul_f64 v[24:25], v[12:13], v[24:25]
	v_fma_f64 v[165:166], v[4:5], v[18:19], v[167:168]
	v_fma_f64 v[18:19], v[2:3], v[18:19], -v[20:21]
	v_add_f64 v[20:21], v[16:17], v[14:15]
	v_add_f64 v[159:160], v[159:160], v[161:162]
	ds_load_b128 v[2:5], v1 offset:1056
	ds_load_b128 v[14:17], v1 offset:1072
	v_fma_f64 v[12:13], v[12:13], v[22:23], v[163:164]
	v_fma_f64 v[10:11], v[10:11], v[22:23], -v[24:25]
	s_waitcnt vmcnt(5) lgkmcnt(1)
	v_mul_f64 v[161:162], v[2:3], v[28:29]
	v_mul_f64 v[28:29], v[4:5], v[28:29]
	s_waitcnt vmcnt(4) lgkmcnt(0)
	v_mul_f64 v[22:23], v[14:15], v[32:33]
	v_mul_f64 v[24:25], v[16:17], v[32:33]
	v_add_f64 v[18:19], v[20:21], v[18:19]
	v_add_f64 v[20:21], v[159:160], v[165:166]
	v_fma_f64 v[32:33], v[4:5], v[26:27], v[161:162]
	v_fma_f64 v[26:27], v[2:3], v[26:27], -v[28:29]
	v_fma_f64 v[16:17], v[16:17], v[30:31], v[22:23]
	v_fma_f64 v[14:15], v[14:15], v[30:31], -v[24:25]
	v_add_f64 v[18:19], v[18:19], v[10:11]
	v_add_f64 v[20:21], v[20:21], v[12:13]
	ds_load_b128 v[2:5], v1 offset:1088
	ds_load_b128 v[10:13], v1 offset:1104
	s_waitcnt vmcnt(3) lgkmcnt(1)
	v_mul_f64 v[28:29], v[2:3], v[36:37]
	v_mul_f64 v[36:37], v[4:5], v[36:37]
	s_waitcnt vmcnt(2) lgkmcnt(0)
	v_mul_f64 v[22:23], v[10:11], v[40:41]
	v_mul_f64 v[24:25], v[12:13], v[40:41]
	v_add_f64 v[18:19], v[18:19], v[26:27]
	v_add_f64 v[20:21], v[20:21], v[32:33]
	v_fma_f64 v[26:27], v[4:5], v[34:35], v[28:29]
	v_fma_f64 v[28:29], v[2:3], v[34:35], -v[36:37]
	v_fma_f64 v[12:13], v[12:13], v[38:39], v[22:23]
	v_fma_f64 v[10:11], v[10:11], v[38:39], -v[24:25]
	v_add_f64 v[18:19], v[18:19], v[14:15]
	v_add_f64 v[20:21], v[20:21], v[16:17]
	ds_load_b128 v[2:5], v1 offset:1120
	ds_load_b128 v[14:17], v1 offset:1136
	s_waitcnt vmcnt(1) lgkmcnt(1)
	v_mul_f64 v[30:31], v[2:3], v[44:45]
	v_mul_f64 v[32:33], v[4:5], v[44:45]
	s_waitcnt vmcnt(0) lgkmcnt(0)
	v_mul_f64 v[22:23], v[14:15], v[8:9]
	v_mul_f64 v[8:9], v[16:17], v[8:9]
	v_add_f64 v[18:19], v[18:19], v[28:29]
	v_add_f64 v[20:21], v[20:21], v[26:27]
	v_fma_f64 v[4:5], v[4:5], v[42:43], v[30:31]
	v_fma_f64 v[1:2], v[2:3], v[42:43], -v[32:33]
	v_fma_f64 v[16:17], v[16:17], v[6:7], v[22:23]
	v_fma_f64 v[6:7], v[14:15], v[6:7], -v[8:9]
	v_add_f64 v[10:11], v[18:19], v[10:11]
	v_add_f64 v[12:13], v[20:21], v[12:13]
	s_delay_alu instid0(VALU_DEP_2) | instskip(NEXT) | instid1(VALU_DEP_2)
	v_add_f64 v[1:2], v[10:11], v[1:2]
	v_add_f64 v[3:4], v[12:13], v[4:5]
	s_delay_alu instid0(VALU_DEP_2) | instskip(NEXT) | instid1(VALU_DEP_2)
	;; [unrolled: 3-line block ×3, first 2 shown]
	v_add_f64 v[1:2], v[155:156], -v[1:2]
	v_add_f64 v[3:4], v[157:158], -v[3:4]
	scratch_store_b128 off, v[1:4], off offset:48
	v_cmpx_lt_u32_e32 2, v118
	s_cbranch_execz .LBB35_225
; %bb.224:
	scratch_load_b128 v[1:4], v120, off
	v_mov_b32_e32 v5, 0
	s_delay_alu instid0(VALU_DEP_1)
	v_mov_b32_e32 v6, v5
	v_mov_b32_e32 v7, v5
	;; [unrolled: 1-line block ×3, first 2 shown]
	scratch_store_b128 off, v[5:8], off offset:32
	s_waitcnt vmcnt(0)
	ds_store_b128 v154, v[1:4]
.LBB35_225:
	s_or_b32 exec_lo, exec_lo, s2
	s_waitcnt lgkmcnt(0)
	s_waitcnt_vscnt null, 0x0
	s_barrier
	buffer_gl0_inv
	s_clause 0x7
	scratch_load_b128 v[2:5], off, off offset:48
	scratch_load_b128 v[6:9], off, off offset:64
	;; [unrolled: 1-line block ×8, first 2 shown]
	v_mov_b32_e32 v1, 0
	s_mov_b32 s2, exec_lo
	ds_load_b128 v[38:41], v1 offset:624
	s_clause 0x1
	scratch_load_b128 v[34:37], off, off offset:176
	scratch_load_b128 v[42:45], off, off offset:32
	ds_load_b128 v[155:158], v1 offset:640
	scratch_load_b128 v[159:162], off, off offset:192
	s_waitcnt vmcnt(10) lgkmcnt(1)
	v_mul_f64 v[163:164], v[40:41], v[4:5]
	v_mul_f64 v[4:5], v[38:39], v[4:5]
	s_delay_alu instid0(VALU_DEP_2) | instskip(NEXT) | instid1(VALU_DEP_2)
	v_fma_f64 v[169:170], v[38:39], v[2:3], -v[163:164]
	v_fma_f64 v[171:172], v[40:41], v[2:3], v[4:5]
	scratch_load_b128 v[38:41], off, off offset:208
	ds_load_b128 v[2:5], v1 offset:656
	s_waitcnt vmcnt(10) lgkmcnt(1)
	v_mul_f64 v[167:168], v[155:156], v[8:9]
	v_mul_f64 v[8:9], v[157:158], v[8:9]
	ds_load_b128 v[163:166], v1 offset:672
	s_waitcnt vmcnt(9) lgkmcnt(1)
	v_mul_f64 v[173:174], v[2:3], v[12:13]
	v_mul_f64 v[12:13], v[4:5], v[12:13]
	v_fma_f64 v[157:158], v[157:158], v[6:7], v[167:168]
	v_fma_f64 v[155:156], v[155:156], v[6:7], -v[8:9]
	v_add_f64 v[167:168], v[169:170], 0
	v_add_f64 v[169:170], v[171:172], 0
	scratch_load_b128 v[6:9], off, off offset:224
	v_fma_f64 v[173:174], v[4:5], v[10:11], v[173:174]
	v_fma_f64 v[175:176], v[2:3], v[10:11], -v[12:13]
	scratch_load_b128 v[10:13], off, off offset:240
	ds_load_b128 v[2:5], v1 offset:688
	s_waitcnt vmcnt(10) lgkmcnt(1)
	v_mul_f64 v[171:172], v[163:164], v[16:17]
	v_mul_f64 v[16:17], v[165:166], v[16:17]
	v_add_f64 v[167:168], v[167:168], v[155:156]
	v_add_f64 v[169:170], v[169:170], v[157:158]
	s_waitcnt vmcnt(9) lgkmcnt(0)
	v_mul_f64 v[177:178], v[2:3], v[20:21]
	v_mul_f64 v[20:21], v[4:5], v[20:21]
	ds_load_b128 v[155:158], v1 offset:704
	v_fma_f64 v[165:166], v[165:166], v[14:15], v[171:172]
	v_fma_f64 v[163:164], v[163:164], v[14:15], -v[16:17]
	scratch_load_b128 v[14:17], off, off offset:256
	v_add_f64 v[167:168], v[167:168], v[175:176]
	v_add_f64 v[169:170], v[169:170], v[173:174]
	v_fma_f64 v[173:174], v[4:5], v[18:19], v[177:178]
	v_fma_f64 v[175:176], v[2:3], v[18:19], -v[20:21]
	scratch_load_b128 v[18:21], off, off offset:272
	ds_load_b128 v[2:5], v1 offset:720
	s_waitcnt vmcnt(10) lgkmcnt(1)
	v_mul_f64 v[171:172], v[155:156], v[24:25]
	v_mul_f64 v[24:25], v[157:158], v[24:25]
	s_waitcnt vmcnt(9) lgkmcnt(0)
	v_mul_f64 v[177:178], v[2:3], v[28:29]
	v_mul_f64 v[28:29], v[4:5], v[28:29]
	v_add_f64 v[167:168], v[167:168], v[163:164]
	v_add_f64 v[169:170], v[169:170], v[165:166]
	ds_load_b128 v[163:166], v1 offset:736
	v_fma_f64 v[157:158], v[157:158], v[22:23], v[171:172]
	v_fma_f64 v[155:156], v[155:156], v[22:23], -v[24:25]
	scratch_load_b128 v[22:25], off, off offset:288
	v_add_f64 v[167:168], v[167:168], v[175:176]
	v_add_f64 v[169:170], v[169:170], v[173:174]
	v_fma_f64 v[173:174], v[4:5], v[26:27], v[177:178]
	v_fma_f64 v[175:176], v[2:3], v[26:27], -v[28:29]
	scratch_load_b128 v[26:29], off, off offset:304
	ds_load_b128 v[2:5], v1 offset:752
	s_waitcnt vmcnt(10) lgkmcnt(1)
	v_mul_f64 v[171:172], v[163:164], v[32:33]
	v_mul_f64 v[32:33], v[165:166], v[32:33]
	s_waitcnt vmcnt(9) lgkmcnt(0)
	v_mul_f64 v[177:178], v[2:3], v[36:37]
	v_mul_f64 v[36:37], v[4:5], v[36:37]
	v_add_f64 v[167:168], v[167:168], v[155:156]
	v_add_f64 v[169:170], v[169:170], v[157:158]
	ds_load_b128 v[155:158], v1 offset:768
	v_fma_f64 v[165:166], v[165:166], v[30:31], v[171:172]
	v_fma_f64 v[163:164], v[163:164], v[30:31], -v[32:33]
	scratch_load_b128 v[30:33], off, off offset:320
	v_add_f64 v[167:168], v[167:168], v[175:176]
	v_add_f64 v[169:170], v[169:170], v[173:174]
	v_fma_f64 v[175:176], v[4:5], v[34:35], v[177:178]
	v_fma_f64 v[177:178], v[2:3], v[34:35], -v[36:37]
	scratch_load_b128 v[34:37], off, off offset:336
	ds_load_b128 v[2:5], v1 offset:784
	s_waitcnt vmcnt(9) lgkmcnt(1)
	v_mul_f64 v[171:172], v[155:156], v[161:162]
	v_mul_f64 v[173:174], v[157:158], v[161:162]
	v_add_f64 v[167:168], v[167:168], v[163:164]
	v_add_f64 v[165:166], v[169:170], v[165:166]
	ds_load_b128 v[161:164], v1 offset:800
	v_fma_f64 v[171:172], v[157:158], v[159:160], v[171:172]
	v_fma_f64 v[159:160], v[155:156], v[159:160], -v[173:174]
	scratch_load_b128 v[155:158], off, off offset:352
	s_waitcnt vmcnt(9) lgkmcnt(1)
	v_mul_f64 v[169:170], v[2:3], v[40:41]
	v_mul_f64 v[40:41], v[4:5], v[40:41]
	v_add_f64 v[167:168], v[167:168], v[177:178]
	v_add_f64 v[165:166], v[165:166], v[175:176]
	s_delay_alu instid0(VALU_DEP_4) | instskip(NEXT) | instid1(VALU_DEP_4)
	v_fma_f64 v[169:170], v[4:5], v[38:39], v[169:170]
	v_fma_f64 v[175:176], v[2:3], v[38:39], -v[40:41]
	scratch_load_b128 v[38:41], off, off offset:368
	ds_load_b128 v[2:5], v1 offset:816
	s_waitcnt vmcnt(9) lgkmcnt(1)
	v_mul_f64 v[173:174], v[161:162], v[8:9]
	v_mul_f64 v[8:9], v[163:164], v[8:9]
	s_waitcnt vmcnt(8) lgkmcnt(0)
	v_mul_f64 v[177:178], v[2:3], v[12:13]
	v_mul_f64 v[12:13], v[4:5], v[12:13]
	v_add_f64 v[159:160], v[167:168], v[159:160]
	v_add_f64 v[171:172], v[165:166], v[171:172]
	ds_load_b128 v[165:168], v1 offset:832
	v_fma_f64 v[163:164], v[163:164], v[6:7], v[173:174]
	v_fma_f64 v[161:162], v[161:162], v[6:7], -v[8:9]
	scratch_load_b128 v[6:9], off, off offset:384
	v_fma_f64 v[173:174], v[4:5], v[10:11], v[177:178]
	v_add_f64 v[159:160], v[159:160], v[175:176]
	v_add_f64 v[169:170], v[171:172], v[169:170]
	v_fma_f64 v[175:176], v[2:3], v[10:11], -v[12:13]
	scratch_load_b128 v[10:13], off, off offset:400
	ds_load_b128 v[2:5], v1 offset:848
	s_waitcnt vmcnt(9) lgkmcnt(1)
	v_mul_f64 v[171:172], v[165:166], v[16:17]
	v_mul_f64 v[16:17], v[167:168], v[16:17]
	v_add_f64 v[177:178], v[159:160], v[161:162]
	v_add_f64 v[163:164], v[169:170], v[163:164]
	s_waitcnt vmcnt(8) lgkmcnt(0)
	v_mul_f64 v[169:170], v[2:3], v[20:21]
	v_mul_f64 v[20:21], v[4:5], v[20:21]
	ds_load_b128 v[159:162], v1 offset:864
	v_fma_f64 v[167:168], v[167:168], v[14:15], v[171:172]
	v_fma_f64 v[165:166], v[165:166], v[14:15], -v[16:17]
	scratch_load_b128 v[14:17], off, off offset:416
	v_add_f64 v[171:172], v[177:178], v[175:176]
	v_add_f64 v[163:164], v[163:164], v[173:174]
	v_fma_f64 v[169:170], v[4:5], v[18:19], v[169:170]
	v_fma_f64 v[175:176], v[2:3], v[18:19], -v[20:21]
	scratch_load_b128 v[18:21], off, off offset:432
	ds_load_b128 v[2:5], v1 offset:880
	s_waitcnt vmcnt(9) lgkmcnt(1)
	v_mul_f64 v[173:174], v[159:160], v[24:25]
	v_mul_f64 v[24:25], v[161:162], v[24:25]
	s_waitcnt vmcnt(8) lgkmcnt(0)
	v_mul_f64 v[177:178], v[2:3], v[28:29]
	v_mul_f64 v[28:29], v[4:5], v[28:29]
	v_add_f64 v[171:172], v[171:172], v[165:166]
	v_add_f64 v[167:168], v[163:164], v[167:168]
	ds_load_b128 v[163:166], v1 offset:896
	v_fma_f64 v[161:162], v[161:162], v[22:23], v[173:174]
	v_fma_f64 v[159:160], v[159:160], v[22:23], -v[24:25]
	scratch_load_b128 v[22:25], off, off offset:448
	v_fma_f64 v[173:174], v[4:5], v[26:27], v[177:178]
	v_add_f64 v[171:172], v[171:172], v[175:176]
	v_add_f64 v[167:168], v[167:168], v[169:170]
	v_fma_f64 v[175:176], v[2:3], v[26:27], -v[28:29]
	scratch_load_b128 v[26:29], off, off offset:464
	ds_load_b128 v[2:5], v1 offset:912
	s_waitcnt vmcnt(9) lgkmcnt(1)
	v_mul_f64 v[169:170], v[163:164], v[32:33]
	v_mul_f64 v[32:33], v[165:166], v[32:33]
	s_waitcnt vmcnt(8) lgkmcnt(0)
	v_mul_f64 v[177:178], v[2:3], v[36:37]
	v_mul_f64 v[36:37], v[4:5], v[36:37]
	v_add_f64 v[171:172], v[171:172], v[159:160]
	v_add_f64 v[167:168], v[167:168], v[161:162]
	ds_load_b128 v[159:162], v1 offset:928
	v_fma_f64 v[165:166], v[165:166], v[30:31], v[169:170]
	v_fma_f64 v[163:164], v[163:164], v[30:31], -v[32:33]
	scratch_load_b128 v[30:33], off, off offset:480
	v_add_f64 v[169:170], v[171:172], v[175:176]
	v_add_f64 v[167:168], v[167:168], v[173:174]
	v_fma_f64 v[173:174], v[4:5], v[34:35], v[177:178]
	v_fma_f64 v[175:176], v[2:3], v[34:35], -v[36:37]
	scratch_load_b128 v[34:37], off, off offset:496
	ds_load_b128 v[2:5], v1 offset:944
	s_waitcnt vmcnt(9) lgkmcnt(1)
	v_mul_f64 v[171:172], v[159:160], v[157:158]
	v_mul_f64 v[157:158], v[161:162], v[157:158]
	s_waitcnt vmcnt(8) lgkmcnt(0)
	v_mul_f64 v[177:178], v[2:3], v[40:41]
	v_mul_f64 v[40:41], v[4:5], v[40:41]
	v_add_f64 v[169:170], v[169:170], v[163:164]
	v_add_f64 v[167:168], v[167:168], v[165:166]
	ds_load_b128 v[163:166], v1 offset:960
	v_fma_f64 v[161:162], v[161:162], v[155:156], v[171:172]
	v_fma_f64 v[159:160], v[159:160], v[155:156], -v[157:158]
	scratch_load_b128 v[155:158], off, off offset:512
	v_add_f64 v[169:170], v[169:170], v[175:176]
	v_add_f64 v[167:168], v[167:168], v[173:174]
	v_fma_f64 v[173:174], v[4:5], v[38:39], v[177:178]
	v_fma_f64 v[175:176], v[2:3], v[38:39], -v[40:41]
	scratch_load_b128 v[38:41], off, off offset:528
	ds_load_b128 v[2:5], v1 offset:976
	s_waitcnt vmcnt(9) lgkmcnt(1)
	v_mul_f64 v[171:172], v[163:164], v[8:9]
	v_mul_f64 v[8:9], v[165:166], v[8:9]
	s_waitcnt vmcnt(8) lgkmcnt(0)
	v_mul_f64 v[177:178], v[2:3], v[12:13]
	v_mul_f64 v[12:13], v[4:5], v[12:13]
	v_add_f64 v[169:170], v[169:170], v[159:160]
	v_add_f64 v[167:168], v[167:168], v[161:162]
	ds_load_b128 v[159:162], v1 offset:992
	v_fma_f64 v[165:166], v[165:166], v[6:7], v[171:172]
	v_fma_f64 v[163:164], v[163:164], v[6:7], -v[8:9]
	scratch_load_b128 v[6:9], off, off offset:544
	v_add_f64 v[169:170], v[169:170], v[175:176]
	v_add_f64 v[167:168], v[167:168], v[173:174]
	v_fma_f64 v[173:174], v[4:5], v[10:11], v[177:178]
	v_fma_f64 v[175:176], v[2:3], v[10:11], -v[12:13]
	scratch_load_b128 v[10:13], off, off offset:560
	ds_load_b128 v[2:5], v1 offset:1008
	s_waitcnt vmcnt(9) lgkmcnt(1)
	v_mul_f64 v[171:172], v[159:160], v[16:17]
	v_mul_f64 v[16:17], v[161:162], v[16:17]
	s_waitcnt vmcnt(8) lgkmcnt(0)
	v_mul_f64 v[177:178], v[2:3], v[20:21]
	v_mul_f64 v[20:21], v[4:5], v[20:21]
	v_add_f64 v[169:170], v[169:170], v[163:164]
	v_add_f64 v[167:168], v[167:168], v[165:166]
	ds_load_b128 v[163:166], v1 offset:1024
	v_fma_f64 v[161:162], v[161:162], v[14:15], v[171:172]
	v_fma_f64 v[14:15], v[159:160], v[14:15], -v[16:17]
	v_add_f64 v[16:17], v[169:170], v[175:176]
	v_add_f64 v[159:160], v[167:168], v[173:174]
	s_waitcnt vmcnt(7) lgkmcnt(0)
	v_mul_f64 v[167:168], v[163:164], v[24:25]
	v_mul_f64 v[24:25], v[165:166], v[24:25]
	v_fma_f64 v[169:170], v[4:5], v[18:19], v[177:178]
	v_fma_f64 v[18:19], v[2:3], v[18:19], -v[20:21]
	v_add_f64 v[20:21], v[16:17], v[14:15]
	v_add_f64 v[159:160], v[159:160], v[161:162]
	ds_load_b128 v[2:5], v1 offset:1040
	ds_load_b128 v[14:17], v1 offset:1056
	v_fma_f64 v[165:166], v[165:166], v[22:23], v[167:168]
	v_fma_f64 v[22:23], v[163:164], v[22:23], -v[24:25]
	s_waitcnt vmcnt(6) lgkmcnt(1)
	v_mul_f64 v[161:162], v[2:3], v[28:29]
	v_mul_f64 v[28:29], v[4:5], v[28:29]
	s_waitcnt vmcnt(5) lgkmcnt(0)
	v_mul_f64 v[24:25], v[14:15], v[32:33]
	v_mul_f64 v[32:33], v[16:17], v[32:33]
	v_add_f64 v[18:19], v[20:21], v[18:19]
	v_add_f64 v[20:21], v[159:160], v[169:170]
	v_fma_f64 v[159:160], v[4:5], v[26:27], v[161:162]
	v_fma_f64 v[26:27], v[2:3], v[26:27], -v[28:29]
	v_fma_f64 v[16:17], v[16:17], v[30:31], v[24:25]
	v_fma_f64 v[14:15], v[14:15], v[30:31], -v[32:33]
	v_add_f64 v[22:23], v[18:19], v[22:23]
	v_add_f64 v[28:29], v[20:21], v[165:166]
	ds_load_b128 v[2:5], v1 offset:1072
	ds_load_b128 v[18:21], v1 offset:1088
	s_waitcnt vmcnt(4) lgkmcnt(1)
	v_mul_f64 v[161:162], v[2:3], v[36:37]
	v_mul_f64 v[36:37], v[4:5], v[36:37]
	v_add_f64 v[22:23], v[22:23], v[26:27]
	v_add_f64 v[24:25], v[28:29], v[159:160]
	s_waitcnt vmcnt(3) lgkmcnt(0)
	v_mul_f64 v[26:27], v[18:19], v[157:158]
	v_mul_f64 v[28:29], v[20:21], v[157:158]
	v_fma_f64 v[30:31], v[4:5], v[34:35], v[161:162]
	v_fma_f64 v[32:33], v[2:3], v[34:35], -v[36:37]
	v_add_f64 v[22:23], v[22:23], v[14:15]
	v_add_f64 v[24:25], v[24:25], v[16:17]
	ds_load_b128 v[2:5], v1 offset:1104
	ds_load_b128 v[14:17], v1 offset:1120
	v_fma_f64 v[20:21], v[20:21], v[155:156], v[26:27]
	v_fma_f64 v[18:19], v[18:19], v[155:156], -v[28:29]
	s_waitcnt vmcnt(2) lgkmcnt(1)
	v_mul_f64 v[34:35], v[2:3], v[40:41]
	v_mul_f64 v[36:37], v[4:5], v[40:41]
	s_waitcnt vmcnt(1) lgkmcnt(0)
	v_mul_f64 v[26:27], v[14:15], v[8:9]
	v_mul_f64 v[8:9], v[16:17], v[8:9]
	v_add_f64 v[22:23], v[22:23], v[32:33]
	v_add_f64 v[24:25], v[24:25], v[30:31]
	v_fma_f64 v[28:29], v[4:5], v[38:39], v[34:35]
	v_fma_f64 v[30:31], v[2:3], v[38:39], -v[36:37]
	ds_load_b128 v[2:5], v1 offset:1136
	v_fma_f64 v[16:17], v[16:17], v[6:7], v[26:27]
	v_fma_f64 v[6:7], v[14:15], v[6:7], -v[8:9]
	v_add_f64 v[18:19], v[22:23], v[18:19]
	v_add_f64 v[20:21], v[24:25], v[20:21]
	s_waitcnt vmcnt(0) lgkmcnt(0)
	v_mul_f64 v[22:23], v[2:3], v[12:13]
	v_mul_f64 v[12:13], v[4:5], v[12:13]
	s_delay_alu instid0(VALU_DEP_4) | instskip(NEXT) | instid1(VALU_DEP_4)
	v_add_f64 v[8:9], v[18:19], v[30:31]
	v_add_f64 v[14:15], v[20:21], v[28:29]
	s_delay_alu instid0(VALU_DEP_4) | instskip(NEXT) | instid1(VALU_DEP_4)
	v_fma_f64 v[4:5], v[4:5], v[10:11], v[22:23]
	v_fma_f64 v[2:3], v[2:3], v[10:11], -v[12:13]
	s_delay_alu instid0(VALU_DEP_4) | instskip(NEXT) | instid1(VALU_DEP_4)
	v_add_f64 v[6:7], v[8:9], v[6:7]
	v_add_f64 v[8:9], v[14:15], v[16:17]
	s_delay_alu instid0(VALU_DEP_2) | instskip(NEXT) | instid1(VALU_DEP_2)
	v_add_f64 v[2:3], v[6:7], v[2:3]
	v_add_f64 v[4:5], v[8:9], v[4:5]
	s_delay_alu instid0(VALU_DEP_2) | instskip(NEXT) | instid1(VALU_DEP_2)
	v_add_f64 v[2:3], v[42:43], -v[2:3]
	v_add_f64 v[4:5], v[44:45], -v[4:5]
	scratch_store_b128 off, v[2:5], off offset:32
	v_cmpx_lt_u32_e32 1, v118
	s_cbranch_execz .LBB35_227
; %bb.226:
	scratch_load_b128 v[5:8], v122, off
	v_mov_b32_e32 v2, v1
	v_mov_b32_e32 v3, v1
	v_mov_b32_e32 v4, v1
	scratch_store_b128 off, v[1:4], off offset:16
	s_waitcnt vmcnt(0)
	ds_store_b128 v154, v[5:8]
.LBB35_227:
	s_or_b32 exec_lo, exec_lo, s2
	s_waitcnt lgkmcnt(0)
	s_waitcnt_vscnt null, 0x0
	s_barrier
	buffer_gl0_inv
	s_clause 0x8
	scratch_load_b128 v[2:5], off, off offset:32
	scratch_load_b128 v[6:9], off, off offset:48
	;; [unrolled: 1-line block ×9, first 2 shown]
	ds_load_b128 v[42:45], v1 offset:608
	ds_load_b128 v[38:41], v1 offset:624
	s_clause 0x1
	scratch_load_b128 v[155:158], off, off offset:16
	scratch_load_b128 v[159:162], off, off offset:176
	s_mov_b32 s2, exec_lo
	s_waitcnt vmcnt(10) lgkmcnt(1)
	v_mul_f64 v[163:164], v[44:45], v[4:5]
	v_mul_f64 v[4:5], v[42:43], v[4:5]
	s_waitcnt vmcnt(9) lgkmcnt(0)
	v_mul_f64 v[167:168], v[38:39], v[8:9]
	v_mul_f64 v[8:9], v[40:41], v[8:9]
	s_delay_alu instid0(VALU_DEP_4) | instskip(NEXT) | instid1(VALU_DEP_4)
	v_fma_f64 v[169:170], v[42:43], v[2:3], -v[163:164]
	v_fma_f64 v[171:172], v[44:45], v[2:3], v[4:5]
	ds_load_b128 v[2:5], v1 offset:640
	ds_load_b128 v[163:166], v1 offset:656
	scratch_load_b128 v[42:45], off, off offset:192
	v_fma_f64 v[40:41], v[40:41], v[6:7], v[167:168]
	v_fma_f64 v[38:39], v[38:39], v[6:7], -v[8:9]
	scratch_load_b128 v[6:9], off, off offset:208
	s_waitcnt vmcnt(10) lgkmcnt(1)
	v_mul_f64 v[173:174], v[2:3], v[12:13]
	v_mul_f64 v[12:13], v[4:5], v[12:13]
	v_add_f64 v[167:168], v[169:170], 0
	v_add_f64 v[169:170], v[171:172], 0
	s_waitcnt vmcnt(9) lgkmcnt(0)
	v_mul_f64 v[171:172], v[163:164], v[16:17]
	v_mul_f64 v[16:17], v[165:166], v[16:17]
	v_fma_f64 v[173:174], v[4:5], v[10:11], v[173:174]
	v_fma_f64 v[175:176], v[2:3], v[10:11], -v[12:13]
	ds_load_b128 v[2:5], v1 offset:672
	scratch_load_b128 v[10:13], off, off offset:224
	v_add_f64 v[167:168], v[167:168], v[38:39]
	v_add_f64 v[169:170], v[169:170], v[40:41]
	ds_load_b128 v[38:41], v1 offset:688
	v_fma_f64 v[165:166], v[165:166], v[14:15], v[171:172]
	v_fma_f64 v[163:164], v[163:164], v[14:15], -v[16:17]
	scratch_load_b128 v[14:17], off, off offset:240
	s_waitcnt vmcnt(10) lgkmcnt(1)
	v_mul_f64 v[177:178], v[2:3], v[20:21]
	v_mul_f64 v[20:21], v[4:5], v[20:21]
	s_waitcnt vmcnt(9) lgkmcnt(0)
	v_mul_f64 v[171:172], v[38:39], v[24:25]
	v_mul_f64 v[24:25], v[40:41], v[24:25]
	v_add_f64 v[167:168], v[167:168], v[175:176]
	v_add_f64 v[169:170], v[169:170], v[173:174]
	v_fma_f64 v[173:174], v[4:5], v[18:19], v[177:178]
	v_fma_f64 v[175:176], v[2:3], v[18:19], -v[20:21]
	ds_load_b128 v[2:5], v1 offset:704
	scratch_load_b128 v[18:21], off, off offset:256
	v_fma_f64 v[40:41], v[40:41], v[22:23], v[171:172]
	v_fma_f64 v[38:39], v[38:39], v[22:23], -v[24:25]
	scratch_load_b128 v[22:25], off, off offset:272
	v_add_f64 v[167:168], v[167:168], v[163:164]
	v_add_f64 v[169:170], v[169:170], v[165:166]
	ds_load_b128 v[163:166], v1 offset:720
	s_waitcnt vmcnt(10) lgkmcnt(1)
	v_mul_f64 v[177:178], v[2:3], v[28:29]
	v_mul_f64 v[28:29], v[4:5], v[28:29]
	s_waitcnt vmcnt(9) lgkmcnt(0)
	v_mul_f64 v[171:172], v[163:164], v[32:33]
	v_mul_f64 v[32:33], v[165:166], v[32:33]
	v_add_f64 v[167:168], v[167:168], v[175:176]
	v_add_f64 v[169:170], v[169:170], v[173:174]
	v_fma_f64 v[173:174], v[4:5], v[26:27], v[177:178]
	v_fma_f64 v[175:176], v[2:3], v[26:27], -v[28:29]
	ds_load_b128 v[2:5], v1 offset:736
	scratch_load_b128 v[26:29], off, off offset:288
	v_fma_f64 v[165:166], v[165:166], v[30:31], v[171:172]
	v_fma_f64 v[163:164], v[163:164], v[30:31], -v[32:33]
	scratch_load_b128 v[30:33], off, off offset:304
	v_add_f64 v[167:168], v[167:168], v[38:39]
	v_add_f64 v[169:170], v[169:170], v[40:41]
	ds_load_b128 v[38:41], v1 offset:752
	s_waitcnt vmcnt(10) lgkmcnt(1)
	v_mul_f64 v[177:178], v[2:3], v[36:37]
	v_mul_f64 v[36:37], v[4:5], v[36:37]
	s_waitcnt vmcnt(8) lgkmcnt(0)
	v_mul_f64 v[171:172], v[38:39], v[161:162]
	v_add_f64 v[167:168], v[167:168], v[175:176]
	v_add_f64 v[169:170], v[169:170], v[173:174]
	v_mul_f64 v[173:174], v[40:41], v[161:162]
	v_fma_f64 v[175:176], v[4:5], v[34:35], v[177:178]
	v_fma_f64 v[177:178], v[2:3], v[34:35], -v[36:37]
	ds_load_b128 v[2:5], v1 offset:768
	scratch_load_b128 v[34:37], off, off offset:320
	v_fma_f64 v[171:172], v[40:41], v[159:160], v[171:172]
	v_add_f64 v[167:168], v[167:168], v[163:164]
	v_add_f64 v[165:166], v[169:170], v[165:166]
	ds_load_b128 v[161:164], v1 offset:784
	v_fma_f64 v[159:160], v[38:39], v[159:160], -v[173:174]
	scratch_load_b128 v[38:41], off, off offset:336
	s_waitcnt vmcnt(9) lgkmcnt(1)
	v_mul_f64 v[169:170], v[2:3], v[44:45]
	v_mul_f64 v[44:45], v[4:5], v[44:45]
	s_waitcnt vmcnt(8) lgkmcnt(0)
	v_mul_f64 v[173:174], v[161:162], v[8:9]
	v_mul_f64 v[8:9], v[163:164], v[8:9]
	v_add_f64 v[167:168], v[167:168], v[177:178]
	v_add_f64 v[165:166], v[165:166], v[175:176]
	v_fma_f64 v[169:170], v[4:5], v[42:43], v[169:170]
	v_fma_f64 v[175:176], v[2:3], v[42:43], -v[44:45]
	ds_load_b128 v[2:5], v1 offset:800
	scratch_load_b128 v[42:45], off, off offset:352
	v_fma_f64 v[163:164], v[163:164], v[6:7], v[173:174]
	v_fma_f64 v[161:162], v[161:162], v[6:7], -v[8:9]
	scratch_load_b128 v[6:9], off, off offset:368
	v_add_f64 v[159:160], v[167:168], v[159:160]
	v_add_f64 v[171:172], v[165:166], v[171:172]
	ds_load_b128 v[165:168], v1 offset:816
	s_waitcnt vmcnt(9) lgkmcnt(1)
	v_mul_f64 v[177:178], v[2:3], v[12:13]
	v_mul_f64 v[12:13], v[4:5], v[12:13]
	v_add_f64 v[159:160], v[159:160], v[175:176]
	v_add_f64 v[169:170], v[171:172], v[169:170]
	s_waitcnt vmcnt(8) lgkmcnt(0)
	v_mul_f64 v[171:172], v[165:166], v[16:17]
	v_mul_f64 v[16:17], v[167:168], v[16:17]
	v_fma_f64 v[173:174], v[4:5], v[10:11], v[177:178]
	v_fma_f64 v[175:176], v[2:3], v[10:11], -v[12:13]
	ds_load_b128 v[2:5], v1 offset:832
	scratch_load_b128 v[10:13], off, off offset:384
	v_add_f64 v[177:178], v[159:160], v[161:162]
	v_add_f64 v[163:164], v[169:170], v[163:164]
	ds_load_b128 v[159:162], v1 offset:848
	s_waitcnt vmcnt(8) lgkmcnt(1)
	v_mul_f64 v[169:170], v[2:3], v[20:21]
	v_mul_f64 v[20:21], v[4:5], v[20:21]
	v_fma_f64 v[167:168], v[167:168], v[14:15], v[171:172]
	v_fma_f64 v[165:166], v[165:166], v[14:15], -v[16:17]
	scratch_load_b128 v[14:17], off, off offset:400
	v_add_f64 v[171:172], v[177:178], v[175:176]
	v_add_f64 v[163:164], v[163:164], v[173:174]
	s_waitcnt vmcnt(8) lgkmcnt(0)
	v_mul_f64 v[173:174], v[159:160], v[24:25]
	v_mul_f64 v[24:25], v[161:162], v[24:25]
	v_fma_f64 v[169:170], v[4:5], v[18:19], v[169:170]
	v_fma_f64 v[175:176], v[2:3], v[18:19], -v[20:21]
	ds_load_b128 v[2:5], v1 offset:864
	scratch_load_b128 v[18:21], off, off offset:416
	v_add_f64 v[171:172], v[171:172], v[165:166]
	v_add_f64 v[167:168], v[163:164], v[167:168]
	ds_load_b128 v[163:166], v1 offset:880
	s_waitcnt vmcnt(8) lgkmcnt(1)
	v_mul_f64 v[177:178], v[2:3], v[28:29]
	v_mul_f64 v[28:29], v[4:5], v[28:29]
	v_fma_f64 v[161:162], v[161:162], v[22:23], v[173:174]
	v_fma_f64 v[159:160], v[159:160], v[22:23], -v[24:25]
	scratch_load_b128 v[22:25], off, off offset:432
	;; [unrolled: 18-line block ×4, first 2 shown]
	s_waitcnt vmcnt(8) lgkmcnt(0)
	v_mul_f64 v[171:172], v[163:164], v[8:9]
	v_mul_f64 v[8:9], v[165:166], v[8:9]
	v_add_f64 v[169:170], v[169:170], v[175:176]
	v_add_f64 v[167:168], v[167:168], v[173:174]
	v_fma_f64 v[173:174], v[4:5], v[42:43], v[177:178]
	v_fma_f64 v[175:176], v[2:3], v[42:43], -v[44:45]
	ds_load_b128 v[2:5], v1 offset:960
	scratch_load_b128 v[42:45], off, off offset:512
	v_fma_f64 v[165:166], v[165:166], v[6:7], v[171:172]
	v_fma_f64 v[163:164], v[163:164], v[6:7], -v[8:9]
	scratch_load_b128 v[6:9], off, off offset:528
	v_add_f64 v[169:170], v[169:170], v[159:160]
	v_add_f64 v[167:168], v[167:168], v[161:162]
	ds_load_b128 v[159:162], v1 offset:976
	s_waitcnt vmcnt(9) lgkmcnt(1)
	v_mul_f64 v[177:178], v[2:3], v[12:13]
	v_mul_f64 v[12:13], v[4:5], v[12:13]
	s_waitcnt vmcnt(8) lgkmcnt(0)
	v_mul_f64 v[171:172], v[159:160], v[16:17]
	v_mul_f64 v[16:17], v[161:162], v[16:17]
	v_add_f64 v[169:170], v[169:170], v[175:176]
	v_add_f64 v[167:168], v[167:168], v[173:174]
	v_fma_f64 v[173:174], v[4:5], v[10:11], v[177:178]
	v_fma_f64 v[175:176], v[2:3], v[10:11], -v[12:13]
	ds_load_b128 v[2:5], v1 offset:992
	scratch_load_b128 v[10:13], off, off offset:544
	v_fma_f64 v[161:162], v[161:162], v[14:15], v[171:172]
	v_fma_f64 v[159:160], v[159:160], v[14:15], -v[16:17]
	scratch_load_b128 v[14:17], off, off offset:560
	v_add_f64 v[169:170], v[169:170], v[163:164]
	v_add_f64 v[167:168], v[167:168], v[165:166]
	ds_load_b128 v[163:166], v1 offset:1008
	s_waitcnt vmcnt(9) lgkmcnt(1)
	v_mul_f64 v[177:178], v[2:3], v[20:21]
	v_mul_f64 v[20:21], v[4:5], v[20:21]
	s_waitcnt vmcnt(8) lgkmcnt(0)
	v_mul_f64 v[171:172], v[163:164], v[24:25]
	v_mul_f64 v[24:25], v[165:166], v[24:25]
	v_add_f64 v[169:170], v[169:170], v[175:176]
	v_add_f64 v[167:168], v[167:168], v[173:174]
	v_fma_f64 v[173:174], v[4:5], v[18:19], v[177:178]
	v_fma_f64 v[175:176], v[2:3], v[18:19], -v[20:21]
	ds_load_b128 v[2:5], v1 offset:1024
	ds_load_b128 v[18:21], v1 offset:1040
	v_fma_f64 v[165:166], v[165:166], v[22:23], v[171:172]
	v_fma_f64 v[22:23], v[163:164], v[22:23], -v[24:25]
	v_add_f64 v[159:160], v[169:170], v[159:160]
	v_add_f64 v[161:162], v[167:168], v[161:162]
	s_waitcnt vmcnt(7) lgkmcnt(1)
	v_mul_f64 v[167:168], v[2:3], v[28:29]
	v_mul_f64 v[28:29], v[4:5], v[28:29]
	s_delay_alu instid0(VALU_DEP_4) | instskip(NEXT) | instid1(VALU_DEP_4)
	v_add_f64 v[24:25], v[159:160], v[175:176]
	v_add_f64 v[159:160], v[161:162], v[173:174]
	s_waitcnt vmcnt(6) lgkmcnt(0)
	v_mul_f64 v[161:162], v[18:19], v[32:33]
	v_mul_f64 v[32:33], v[20:21], v[32:33]
	v_fma_f64 v[163:164], v[4:5], v[26:27], v[167:168]
	v_fma_f64 v[26:27], v[2:3], v[26:27], -v[28:29]
	v_add_f64 v[28:29], v[24:25], v[22:23]
	v_add_f64 v[159:160], v[159:160], v[165:166]
	ds_load_b128 v[2:5], v1 offset:1056
	ds_load_b128 v[22:25], v1 offset:1072
	v_fma_f64 v[20:21], v[20:21], v[30:31], v[161:162]
	v_fma_f64 v[18:19], v[18:19], v[30:31], -v[32:33]
	s_waitcnt vmcnt(5) lgkmcnt(1)
	v_mul_f64 v[165:166], v[2:3], v[36:37]
	v_mul_f64 v[36:37], v[4:5], v[36:37]
	s_waitcnt vmcnt(4) lgkmcnt(0)
	v_mul_f64 v[30:31], v[22:23], v[40:41]
	v_mul_f64 v[32:33], v[24:25], v[40:41]
	v_add_f64 v[26:27], v[28:29], v[26:27]
	v_add_f64 v[28:29], v[159:160], v[163:164]
	v_fma_f64 v[40:41], v[4:5], v[34:35], v[165:166]
	v_fma_f64 v[34:35], v[2:3], v[34:35], -v[36:37]
	v_fma_f64 v[24:25], v[24:25], v[38:39], v[30:31]
	v_fma_f64 v[22:23], v[22:23], v[38:39], -v[32:33]
	v_add_f64 v[26:27], v[26:27], v[18:19]
	v_add_f64 v[28:29], v[28:29], v[20:21]
	ds_load_b128 v[2:5], v1 offset:1088
	ds_load_b128 v[18:21], v1 offset:1104
	s_waitcnt vmcnt(3) lgkmcnt(1)
	v_mul_f64 v[36:37], v[2:3], v[44:45]
	v_mul_f64 v[44:45], v[4:5], v[44:45]
	s_waitcnt vmcnt(2) lgkmcnt(0)
	v_mul_f64 v[30:31], v[18:19], v[8:9]
	v_mul_f64 v[8:9], v[20:21], v[8:9]
	v_add_f64 v[26:27], v[26:27], v[34:35]
	v_add_f64 v[28:29], v[28:29], v[40:41]
	v_fma_f64 v[32:33], v[4:5], v[42:43], v[36:37]
	v_fma_f64 v[34:35], v[2:3], v[42:43], -v[44:45]
	v_fma_f64 v[20:21], v[20:21], v[6:7], v[30:31]
	v_fma_f64 v[6:7], v[18:19], v[6:7], -v[8:9]
	v_add_f64 v[26:27], v[26:27], v[22:23]
	v_add_f64 v[28:29], v[28:29], v[24:25]
	ds_load_b128 v[2:5], v1 offset:1120
	ds_load_b128 v[22:25], v1 offset:1136
	s_waitcnt vmcnt(1) lgkmcnt(1)
	v_mul_f64 v[36:37], v[2:3], v[12:13]
	v_mul_f64 v[12:13], v[4:5], v[12:13]
	v_add_f64 v[8:9], v[26:27], v[34:35]
	v_add_f64 v[18:19], v[28:29], v[32:33]
	s_waitcnt vmcnt(0) lgkmcnt(0)
	v_mul_f64 v[26:27], v[22:23], v[16:17]
	v_mul_f64 v[16:17], v[24:25], v[16:17]
	v_fma_f64 v[4:5], v[4:5], v[10:11], v[36:37]
	v_fma_f64 v[1:2], v[2:3], v[10:11], -v[12:13]
	v_add_f64 v[6:7], v[8:9], v[6:7]
	v_add_f64 v[8:9], v[18:19], v[20:21]
	v_fma_f64 v[10:11], v[24:25], v[14:15], v[26:27]
	v_fma_f64 v[12:13], v[22:23], v[14:15], -v[16:17]
	s_delay_alu instid0(VALU_DEP_4) | instskip(NEXT) | instid1(VALU_DEP_4)
	v_add_f64 v[1:2], v[6:7], v[1:2]
	v_add_f64 v[3:4], v[8:9], v[4:5]
	s_delay_alu instid0(VALU_DEP_2) | instskip(NEXT) | instid1(VALU_DEP_2)
	v_add_f64 v[1:2], v[1:2], v[12:13]
	v_add_f64 v[3:4], v[3:4], v[10:11]
	s_delay_alu instid0(VALU_DEP_2) | instskip(NEXT) | instid1(VALU_DEP_2)
	v_add_f64 v[1:2], v[155:156], -v[1:2]
	v_add_f64 v[3:4], v[157:158], -v[3:4]
	scratch_store_b128 off, v[1:4], off offset:16
	v_cmpx_ne_u32_e32 0, v118
	s_cbranch_execz .LBB35_229
; %bb.228:
	scratch_load_b128 v[1:4], off, off
	v_mov_b32_e32 v5, 0
	s_delay_alu instid0(VALU_DEP_1)
	v_mov_b32_e32 v6, v5
	v_mov_b32_e32 v7, v5
	;; [unrolled: 1-line block ×3, first 2 shown]
	scratch_store_b128 off, v[5:8], off
	s_waitcnt vmcnt(0)
	ds_store_b128 v154, v[1:4]
.LBB35_229:
	s_or_b32 exec_lo, exec_lo, s2
	s_waitcnt lgkmcnt(0)
	s_waitcnt_vscnt null, 0x0
	s_barrier
	buffer_gl0_inv
	s_clause 0x7
	scratch_load_b128 v[1:4], off, off offset:16
	scratch_load_b128 v[5:8], off, off offset:32
	;; [unrolled: 1-line block ×8, first 2 shown]
	v_mov_b32_e32 v41, 0
	s_and_b32 vcc_lo, exec_lo, s20
	ds_load_b128 v[37:40], v41 offset:592
	s_clause 0x1
	scratch_load_b128 v[33:36], off, off offset:144
	scratch_load_b128 v[42:45], off, off
	ds_load_b128 v[154:157], v41 offset:608
	scratch_load_b128 v[158:161], off, off offset:160
	s_waitcnt vmcnt(10) lgkmcnt(1)
	v_mul_f64 v[162:163], v[39:40], v[3:4]
	v_mul_f64 v[3:4], v[37:38], v[3:4]
	s_delay_alu instid0(VALU_DEP_2) | instskip(NEXT) | instid1(VALU_DEP_2)
	v_fma_f64 v[168:169], v[37:38], v[1:2], -v[162:163]
	v_fma_f64 v[170:171], v[39:40], v[1:2], v[3:4]
	scratch_load_b128 v[37:40], off, off offset:176
	ds_load_b128 v[1:4], v41 offset:624
	s_waitcnt vmcnt(10) lgkmcnt(1)
	v_mul_f64 v[166:167], v[154:155], v[7:8]
	v_mul_f64 v[7:8], v[156:157], v[7:8]
	ds_load_b128 v[162:165], v41 offset:640
	s_waitcnt vmcnt(9) lgkmcnt(1)
	v_mul_f64 v[172:173], v[1:2], v[11:12]
	v_mul_f64 v[11:12], v[3:4], v[11:12]
	v_fma_f64 v[156:157], v[156:157], v[5:6], v[166:167]
	v_fma_f64 v[154:155], v[154:155], v[5:6], -v[7:8]
	v_add_f64 v[166:167], v[168:169], 0
	v_add_f64 v[168:169], v[170:171], 0
	scratch_load_b128 v[5:8], off, off offset:192
	v_fma_f64 v[172:173], v[3:4], v[9:10], v[172:173]
	v_fma_f64 v[174:175], v[1:2], v[9:10], -v[11:12]
	scratch_load_b128 v[9:12], off, off offset:208
	ds_load_b128 v[1:4], v41 offset:656
	s_waitcnt vmcnt(10) lgkmcnt(1)
	v_mul_f64 v[170:171], v[162:163], v[15:16]
	v_mul_f64 v[15:16], v[164:165], v[15:16]
	v_add_f64 v[166:167], v[166:167], v[154:155]
	v_add_f64 v[168:169], v[168:169], v[156:157]
	s_waitcnt vmcnt(9) lgkmcnt(0)
	v_mul_f64 v[176:177], v[1:2], v[19:20]
	v_mul_f64 v[19:20], v[3:4], v[19:20]
	ds_load_b128 v[154:157], v41 offset:672
	v_fma_f64 v[164:165], v[164:165], v[13:14], v[170:171]
	v_fma_f64 v[162:163], v[162:163], v[13:14], -v[15:16]
	scratch_load_b128 v[13:16], off, off offset:224
	v_add_f64 v[166:167], v[166:167], v[174:175]
	v_add_f64 v[168:169], v[168:169], v[172:173]
	v_fma_f64 v[172:173], v[3:4], v[17:18], v[176:177]
	v_fma_f64 v[174:175], v[1:2], v[17:18], -v[19:20]
	scratch_load_b128 v[17:20], off, off offset:240
	ds_load_b128 v[1:4], v41 offset:688
	s_waitcnt vmcnt(10) lgkmcnt(1)
	v_mul_f64 v[170:171], v[154:155], v[23:24]
	v_mul_f64 v[23:24], v[156:157], v[23:24]
	s_waitcnt vmcnt(9) lgkmcnt(0)
	v_mul_f64 v[176:177], v[1:2], v[27:28]
	v_mul_f64 v[27:28], v[3:4], v[27:28]
	v_add_f64 v[166:167], v[166:167], v[162:163]
	v_add_f64 v[168:169], v[168:169], v[164:165]
	ds_load_b128 v[162:165], v41 offset:704
	v_fma_f64 v[156:157], v[156:157], v[21:22], v[170:171]
	v_fma_f64 v[154:155], v[154:155], v[21:22], -v[23:24]
	scratch_load_b128 v[21:24], off, off offset:256
	v_add_f64 v[166:167], v[166:167], v[174:175]
	v_add_f64 v[168:169], v[168:169], v[172:173]
	v_fma_f64 v[172:173], v[3:4], v[25:26], v[176:177]
	v_fma_f64 v[174:175], v[1:2], v[25:26], -v[27:28]
	scratch_load_b128 v[25:28], off, off offset:272
	ds_load_b128 v[1:4], v41 offset:720
	s_waitcnt vmcnt(10) lgkmcnt(1)
	v_mul_f64 v[170:171], v[162:163], v[31:32]
	v_mul_f64 v[31:32], v[164:165], v[31:32]
	s_waitcnt vmcnt(9) lgkmcnt(0)
	v_mul_f64 v[176:177], v[1:2], v[35:36]
	v_mul_f64 v[35:36], v[3:4], v[35:36]
	v_add_f64 v[166:167], v[166:167], v[154:155]
	v_add_f64 v[168:169], v[168:169], v[156:157]
	ds_load_b128 v[154:157], v41 offset:736
	v_fma_f64 v[164:165], v[164:165], v[29:30], v[170:171]
	v_fma_f64 v[162:163], v[162:163], v[29:30], -v[31:32]
	scratch_load_b128 v[29:32], off, off offset:288
	v_add_f64 v[166:167], v[166:167], v[174:175]
	v_add_f64 v[168:169], v[168:169], v[172:173]
	v_fma_f64 v[174:175], v[3:4], v[33:34], v[176:177]
	v_fma_f64 v[176:177], v[1:2], v[33:34], -v[35:36]
	scratch_load_b128 v[33:36], off, off offset:304
	ds_load_b128 v[1:4], v41 offset:752
	s_waitcnt vmcnt(9) lgkmcnt(1)
	v_mul_f64 v[170:171], v[154:155], v[160:161]
	v_mul_f64 v[172:173], v[156:157], v[160:161]
	v_add_f64 v[166:167], v[166:167], v[162:163]
	v_add_f64 v[164:165], v[168:169], v[164:165]
	ds_load_b128 v[160:163], v41 offset:768
	v_fma_f64 v[170:171], v[156:157], v[158:159], v[170:171]
	v_fma_f64 v[158:159], v[154:155], v[158:159], -v[172:173]
	scratch_load_b128 v[154:157], off, off offset:320
	s_waitcnt vmcnt(9) lgkmcnt(1)
	v_mul_f64 v[168:169], v[1:2], v[39:40]
	v_mul_f64 v[39:40], v[3:4], v[39:40]
	v_add_f64 v[166:167], v[166:167], v[176:177]
	v_add_f64 v[164:165], v[164:165], v[174:175]
	s_delay_alu instid0(VALU_DEP_4) | instskip(NEXT) | instid1(VALU_DEP_4)
	v_fma_f64 v[168:169], v[3:4], v[37:38], v[168:169]
	v_fma_f64 v[174:175], v[1:2], v[37:38], -v[39:40]
	scratch_load_b128 v[37:40], off, off offset:336
	ds_load_b128 v[1:4], v41 offset:784
	s_waitcnt vmcnt(9) lgkmcnt(1)
	v_mul_f64 v[172:173], v[160:161], v[7:8]
	v_mul_f64 v[7:8], v[162:163], v[7:8]
	s_waitcnt vmcnt(8) lgkmcnt(0)
	v_mul_f64 v[176:177], v[1:2], v[11:12]
	v_mul_f64 v[11:12], v[3:4], v[11:12]
	v_add_f64 v[158:159], v[166:167], v[158:159]
	v_add_f64 v[170:171], v[164:165], v[170:171]
	ds_load_b128 v[164:167], v41 offset:800
	v_fma_f64 v[162:163], v[162:163], v[5:6], v[172:173]
	v_fma_f64 v[160:161], v[160:161], v[5:6], -v[7:8]
	scratch_load_b128 v[5:8], off, off offset:352
	v_fma_f64 v[172:173], v[3:4], v[9:10], v[176:177]
	v_add_f64 v[158:159], v[158:159], v[174:175]
	v_add_f64 v[168:169], v[170:171], v[168:169]
	v_fma_f64 v[174:175], v[1:2], v[9:10], -v[11:12]
	scratch_load_b128 v[9:12], off, off offset:368
	ds_load_b128 v[1:4], v41 offset:816
	s_waitcnt vmcnt(9) lgkmcnt(1)
	v_mul_f64 v[170:171], v[164:165], v[15:16]
	v_mul_f64 v[15:16], v[166:167], v[15:16]
	v_add_f64 v[176:177], v[158:159], v[160:161]
	v_add_f64 v[162:163], v[168:169], v[162:163]
	s_waitcnt vmcnt(8) lgkmcnt(0)
	v_mul_f64 v[168:169], v[1:2], v[19:20]
	v_mul_f64 v[19:20], v[3:4], v[19:20]
	ds_load_b128 v[158:161], v41 offset:832
	v_fma_f64 v[166:167], v[166:167], v[13:14], v[170:171]
	v_fma_f64 v[164:165], v[164:165], v[13:14], -v[15:16]
	scratch_load_b128 v[13:16], off, off offset:384
	v_add_f64 v[170:171], v[176:177], v[174:175]
	v_add_f64 v[162:163], v[162:163], v[172:173]
	v_fma_f64 v[168:169], v[3:4], v[17:18], v[168:169]
	v_fma_f64 v[174:175], v[1:2], v[17:18], -v[19:20]
	scratch_load_b128 v[17:20], off, off offset:400
	ds_load_b128 v[1:4], v41 offset:848
	s_waitcnt vmcnt(9) lgkmcnt(1)
	v_mul_f64 v[172:173], v[158:159], v[23:24]
	v_mul_f64 v[23:24], v[160:161], v[23:24]
	s_waitcnt vmcnt(8) lgkmcnt(0)
	v_mul_f64 v[176:177], v[1:2], v[27:28]
	v_mul_f64 v[27:28], v[3:4], v[27:28]
	v_add_f64 v[170:171], v[170:171], v[164:165]
	v_add_f64 v[166:167], v[162:163], v[166:167]
	ds_load_b128 v[162:165], v41 offset:864
	v_fma_f64 v[160:161], v[160:161], v[21:22], v[172:173]
	v_fma_f64 v[158:159], v[158:159], v[21:22], -v[23:24]
	scratch_load_b128 v[21:24], off, off offset:416
	v_fma_f64 v[172:173], v[3:4], v[25:26], v[176:177]
	v_add_f64 v[170:171], v[170:171], v[174:175]
	v_add_f64 v[166:167], v[166:167], v[168:169]
	v_fma_f64 v[174:175], v[1:2], v[25:26], -v[27:28]
	scratch_load_b128 v[25:28], off, off offset:432
	ds_load_b128 v[1:4], v41 offset:880
	s_waitcnt vmcnt(9) lgkmcnt(1)
	v_mul_f64 v[168:169], v[162:163], v[31:32]
	v_mul_f64 v[31:32], v[164:165], v[31:32]
	s_waitcnt vmcnt(8) lgkmcnt(0)
	v_mul_f64 v[176:177], v[1:2], v[35:36]
	v_mul_f64 v[35:36], v[3:4], v[35:36]
	v_add_f64 v[170:171], v[170:171], v[158:159]
	v_add_f64 v[166:167], v[166:167], v[160:161]
	ds_load_b128 v[158:161], v41 offset:896
	v_fma_f64 v[164:165], v[164:165], v[29:30], v[168:169]
	v_fma_f64 v[162:163], v[162:163], v[29:30], -v[31:32]
	scratch_load_b128 v[29:32], off, off offset:448
	v_add_f64 v[168:169], v[170:171], v[174:175]
	v_add_f64 v[166:167], v[166:167], v[172:173]
	v_fma_f64 v[172:173], v[3:4], v[33:34], v[176:177]
	v_fma_f64 v[174:175], v[1:2], v[33:34], -v[35:36]
	scratch_load_b128 v[33:36], off, off offset:464
	ds_load_b128 v[1:4], v41 offset:912
	s_waitcnt vmcnt(9) lgkmcnt(1)
	v_mul_f64 v[170:171], v[158:159], v[156:157]
	v_mul_f64 v[156:157], v[160:161], v[156:157]
	s_waitcnt vmcnt(8) lgkmcnt(0)
	v_mul_f64 v[176:177], v[1:2], v[39:40]
	v_mul_f64 v[39:40], v[3:4], v[39:40]
	v_add_f64 v[168:169], v[168:169], v[162:163]
	v_add_f64 v[166:167], v[166:167], v[164:165]
	ds_load_b128 v[162:165], v41 offset:928
	v_fma_f64 v[160:161], v[160:161], v[154:155], v[170:171]
	v_fma_f64 v[158:159], v[158:159], v[154:155], -v[156:157]
	scratch_load_b128 v[154:157], off, off offset:480
	v_add_f64 v[168:169], v[168:169], v[174:175]
	v_add_f64 v[166:167], v[166:167], v[172:173]
	v_fma_f64 v[172:173], v[3:4], v[37:38], v[176:177]
	;; [unrolled: 18-line block ×4, first 2 shown]
	v_fma_f64 v[174:175], v[1:2], v[17:18], -v[19:20]
	scratch_load_b128 v[17:20], off, off offset:560
	ds_load_b128 v[1:4], v41 offset:1008
	s_waitcnt vmcnt(9) lgkmcnt(1)
	v_mul_f64 v[170:171], v[162:163], v[23:24]
	v_mul_f64 v[23:24], v[164:165], v[23:24]
	s_waitcnt vmcnt(8) lgkmcnt(0)
	v_mul_f64 v[176:177], v[1:2], v[27:28]
	v_mul_f64 v[27:28], v[3:4], v[27:28]
	v_add_f64 v[168:169], v[168:169], v[158:159]
	v_add_f64 v[166:167], v[166:167], v[160:161]
	ds_load_b128 v[158:161], v41 offset:1024
	v_fma_f64 v[164:165], v[164:165], v[21:22], v[170:171]
	v_fma_f64 v[21:22], v[162:163], v[21:22], -v[23:24]
	v_add_f64 v[23:24], v[168:169], v[174:175]
	v_add_f64 v[162:163], v[166:167], v[172:173]
	s_waitcnt vmcnt(7) lgkmcnt(0)
	v_mul_f64 v[166:167], v[158:159], v[31:32]
	v_mul_f64 v[31:32], v[160:161], v[31:32]
	v_fma_f64 v[168:169], v[3:4], v[25:26], v[176:177]
	v_fma_f64 v[25:26], v[1:2], v[25:26], -v[27:28]
	v_add_f64 v[27:28], v[23:24], v[21:22]
	v_add_f64 v[162:163], v[162:163], v[164:165]
	ds_load_b128 v[1:4], v41 offset:1040
	ds_load_b128 v[21:24], v41 offset:1056
	v_fma_f64 v[160:161], v[160:161], v[29:30], v[166:167]
	v_fma_f64 v[29:30], v[158:159], v[29:30], -v[31:32]
	s_waitcnt vmcnt(6) lgkmcnt(1)
	v_mul_f64 v[164:165], v[1:2], v[35:36]
	v_mul_f64 v[35:36], v[3:4], v[35:36]
	s_waitcnt vmcnt(5) lgkmcnt(0)
	v_mul_f64 v[31:32], v[21:22], v[156:157]
	v_mul_f64 v[156:157], v[23:24], v[156:157]
	v_add_f64 v[25:26], v[27:28], v[25:26]
	v_add_f64 v[27:28], v[162:163], v[168:169]
	v_fma_f64 v[158:159], v[3:4], v[33:34], v[164:165]
	v_fma_f64 v[33:34], v[1:2], v[33:34], -v[35:36]
	v_fma_f64 v[23:24], v[23:24], v[154:155], v[31:32]
	v_fma_f64 v[21:22], v[21:22], v[154:155], -v[156:157]
	v_add_f64 v[29:30], v[25:26], v[29:30]
	v_add_f64 v[35:36], v[27:28], v[160:161]
	ds_load_b128 v[1:4], v41 offset:1072
	ds_load_b128 v[25:28], v41 offset:1088
	s_waitcnt vmcnt(4) lgkmcnt(1)
	v_mul_f64 v[160:161], v[1:2], v[39:40]
	v_mul_f64 v[39:40], v[3:4], v[39:40]
	v_add_f64 v[29:30], v[29:30], v[33:34]
	v_add_f64 v[31:32], v[35:36], v[158:159]
	s_waitcnt vmcnt(3) lgkmcnt(0)
	v_mul_f64 v[33:34], v[25:26], v[7:8]
	v_mul_f64 v[7:8], v[27:28], v[7:8]
	v_fma_f64 v[35:36], v[3:4], v[37:38], v[160:161]
	v_fma_f64 v[37:38], v[1:2], v[37:38], -v[39:40]
	v_add_f64 v[29:30], v[29:30], v[21:22]
	v_add_f64 v[31:32], v[31:32], v[23:24]
	ds_load_b128 v[1:4], v41 offset:1104
	ds_load_b128 v[21:24], v41 offset:1120
	v_fma_f64 v[27:28], v[27:28], v[5:6], v[33:34]
	v_fma_f64 v[5:6], v[25:26], v[5:6], -v[7:8]
	s_waitcnt vmcnt(2) lgkmcnt(1)
	v_mul_f64 v[39:40], v[1:2], v[11:12]
	v_mul_f64 v[11:12], v[3:4], v[11:12]
	v_add_f64 v[7:8], v[29:30], v[37:38]
	v_add_f64 v[25:26], v[31:32], v[35:36]
	s_waitcnt vmcnt(1) lgkmcnt(0)
	v_mul_f64 v[29:30], v[21:22], v[15:16]
	v_mul_f64 v[15:16], v[23:24], v[15:16]
	v_fma_f64 v[31:32], v[3:4], v[9:10], v[39:40]
	v_fma_f64 v[9:10], v[1:2], v[9:10], -v[11:12]
	ds_load_b128 v[1:4], v41 offset:1136
	v_add_f64 v[5:6], v[7:8], v[5:6]
	v_add_f64 v[7:8], v[25:26], v[27:28]
	v_fma_f64 v[23:24], v[23:24], v[13:14], v[29:30]
	v_fma_f64 v[13:14], v[21:22], v[13:14], -v[15:16]
	s_waitcnt vmcnt(0) lgkmcnt(0)
	v_mul_f64 v[11:12], v[1:2], v[19:20]
	v_mul_f64 v[19:20], v[3:4], v[19:20]
	v_add_f64 v[5:6], v[5:6], v[9:10]
	v_add_f64 v[7:8], v[7:8], v[31:32]
	s_delay_alu instid0(VALU_DEP_4) | instskip(NEXT) | instid1(VALU_DEP_4)
	v_fma_f64 v[3:4], v[3:4], v[17:18], v[11:12]
	v_fma_f64 v[1:2], v[1:2], v[17:18], -v[19:20]
	s_delay_alu instid0(VALU_DEP_4) | instskip(NEXT) | instid1(VALU_DEP_4)
	v_add_f64 v[5:6], v[5:6], v[13:14]
	v_add_f64 v[7:8], v[7:8], v[23:24]
	s_delay_alu instid0(VALU_DEP_2) | instskip(NEXT) | instid1(VALU_DEP_2)
	v_add_f64 v[1:2], v[5:6], v[1:2]
	v_add_f64 v[3:4], v[7:8], v[3:4]
	s_delay_alu instid0(VALU_DEP_2) | instskip(NEXT) | instid1(VALU_DEP_2)
	v_add_f64 v[1:2], v[42:43], -v[1:2]
	v_add_f64 v[3:4], v[44:45], -v[3:4]
	scratch_store_b128 off, v[1:4], off
	s_cbranch_vccz .LBB35_301
; %bb.230:
	v_dual_mov_b32 v1, s16 :: v_dual_mov_b32 v2, s17
	s_load_b64 s[0:1], s[0:1], 0x4
	flat_load_b32 v1, v[1:2] offset:136
	v_bfe_u32 v2, v0, 10, 10
	v_bfe_u32 v0, v0, 20, 10
	s_waitcnt lgkmcnt(0)
	s_lshr_b32 s0, s0, 16
	s_delay_alu instid0(VALU_DEP_2) | instskip(SKIP_1) | instid1(SALU_CYCLE_1)
	v_mul_u32_u24_e32 v2, s1, v2
	s_mul_i32 s0, s0, s1
	v_mul_u32_u24_e32 v3, s0, v118
	s_mov_b32 s0, exec_lo
	s_delay_alu instid0(VALU_DEP_1) | instskip(NEXT) | instid1(VALU_DEP_1)
	v_add3_u32 v0, v3, v2, v0
	v_lshl_add_u32 v0, v0, 4, 0x488
	s_waitcnt vmcnt(0)
	v_cmpx_ne_u32_e32 35, v1
	s_cbranch_execz .LBB35_232
; %bb.231:
	v_lshl_add_u32 v9, v1, 4, 0
	s_clause 0x1
	scratch_load_b128 v[1:4], v124, off
	scratch_load_b128 v[5:8], v9, off offset:-16
	s_waitcnt vmcnt(1)
	ds_store_2addr_b64 v0, v[1:2], v[3:4] offset1:1
	s_waitcnt vmcnt(0)
	s_clause 0x1
	scratch_store_b128 v124, v[5:8], off
	scratch_store_b128 v9, v[1:4], off offset:-16
.LBB35_232:
	s_or_b32 exec_lo, exec_lo, s0
	v_dual_mov_b32 v1, s16 :: v_dual_mov_b32 v2, s17
	s_mov_b32 s0, exec_lo
	flat_load_b32 v1, v[1:2] offset:132
	s_waitcnt vmcnt(0) lgkmcnt(0)
	v_cmpx_ne_u32_e32 34, v1
	s_cbranch_execz .LBB35_234
; %bb.233:
	v_lshl_add_u32 v9, v1, 4, 0
	s_clause 0x1
	scratch_load_b128 v[1:4], v128, off
	scratch_load_b128 v[5:8], v9, off offset:-16
	s_waitcnt vmcnt(1)
	ds_store_2addr_b64 v0, v[1:2], v[3:4] offset1:1
	s_waitcnt vmcnt(0)
	s_clause 0x1
	scratch_store_b128 v128, v[5:8], off
	scratch_store_b128 v9, v[1:4], off offset:-16
.LBB35_234:
	s_or_b32 exec_lo, exec_lo, s0
	v_dual_mov_b32 v1, s16 :: v_dual_mov_b32 v2, s17
	s_mov_b32 s0, exec_lo
	flat_load_b32 v1, v[1:2] offset:128
	s_waitcnt vmcnt(0) lgkmcnt(0)
	;; [unrolled: 19-line block ×33, first 2 shown]
	v_cmpx_ne_u32_e32 2, v1
	s_cbranch_execz .LBB35_298
; %bb.297:
	v_lshl_add_u32 v9, v1, 4, 0
	s_clause 0x1
	scratch_load_b128 v[1:4], v122, off
	scratch_load_b128 v[5:8], v9, off offset:-16
	s_waitcnt vmcnt(1)
	ds_store_2addr_b64 v0, v[1:2], v[3:4] offset1:1
	s_waitcnt vmcnt(0)
	s_clause 0x1
	scratch_store_b128 v122, v[5:8], off
	scratch_store_b128 v9, v[1:4], off offset:-16
.LBB35_298:
	s_or_b32 exec_lo, exec_lo, s0
	v_dual_mov_b32 v1, s16 :: v_dual_mov_b32 v2, s17
	s_mov_b32 s0, exec_lo
	flat_load_b32 v1, v[1:2]
	s_waitcnt vmcnt(0) lgkmcnt(0)
	v_cmpx_ne_u32_e32 1, v1
	s_cbranch_execz .LBB35_300
; %bb.299:
	v_lshl_add_u32 v9, v1, 4, 0
	scratch_load_b128 v[1:4], off, off
	scratch_load_b128 v[5:8], v9, off offset:-16
	s_waitcnt vmcnt(1)
	ds_store_2addr_b64 v0, v[1:2], v[3:4] offset1:1
	s_waitcnt vmcnt(0)
	scratch_store_b128 off, v[5:8], off
	scratch_store_b128 v9, v[1:4], off offset:-16
.LBB35_300:
	s_or_b32 exec_lo, exec_lo, s0
.LBB35_301:
	scratch_load_b128 v[0:3], off, off
	s_clause 0x18
	scratch_load_b128 v[4:7], v122, off
	scratch_load_b128 v[8:11], v120, off
	;; [unrolled: 1-line block ×25, first 2 shown]
	s_waitcnt vmcnt(25)
	global_store_b128 v[48:49], v[0:3], off
	s_clause 0x1
	scratch_load_b128 v[0:3], v147, off
	scratch_load_b128 v[146:149], v146, off
	s_waitcnt vmcnt(26)
	global_store_b128 v[46:47], v[4:7], off
	s_clause 0x1
	scratch_load_b128 v[4:7], v145, off
	scratch_load_b128 v[44:47], v144, off
	;; [unrolled: 5-line block ×5, first 2 shown]
	s_waitcnt vmcnt(30)
	global_store_b128 v[56:57], v[20:23], off
	s_waitcnt vmcnt(29)
	global_store_b128 v[58:59], v[24:27], off
	;; [unrolled: 2-line block ×31, first 2 shown]
	s_endpgm
	.section	.rodata,"a",@progbits
	.p2align	6, 0x0
	.amdhsa_kernel _ZN9rocsolver6v33100L18getri_kernel_smallILi36E19rocblas_complex_numIdEPS3_EEvT1_iilPiilS6_bb
		.amdhsa_group_segment_fixed_size 2184
		.amdhsa_private_segment_fixed_size 592
		.amdhsa_kernarg_size 60
		.amdhsa_user_sgpr_count 15
		.amdhsa_user_sgpr_dispatch_ptr 1
		.amdhsa_user_sgpr_queue_ptr 0
		.amdhsa_user_sgpr_kernarg_segment_ptr 1
		.amdhsa_user_sgpr_dispatch_id 0
		.amdhsa_user_sgpr_private_segment_size 0
		.amdhsa_wavefront_size32 1
		.amdhsa_uses_dynamic_stack 0
		.amdhsa_enable_private_segment 1
		.amdhsa_system_sgpr_workgroup_id_x 1
		.amdhsa_system_sgpr_workgroup_id_y 0
		.amdhsa_system_sgpr_workgroup_id_z 0
		.amdhsa_system_sgpr_workgroup_info 0
		.amdhsa_system_vgpr_workitem_id 2
		.amdhsa_next_free_vgpr 208
		.amdhsa_next_free_sgpr 43
		.amdhsa_reserve_vcc 1
		.amdhsa_float_round_mode_32 0
		.amdhsa_float_round_mode_16_64 0
		.amdhsa_float_denorm_mode_32 3
		.amdhsa_float_denorm_mode_16_64 3
		.amdhsa_dx10_clamp 1
		.amdhsa_ieee_mode 1
		.amdhsa_fp16_overflow 0
		.amdhsa_workgroup_processor_mode 1
		.amdhsa_memory_ordered 1
		.amdhsa_forward_progress 0
		.amdhsa_shared_vgpr_count 0
		.amdhsa_exception_fp_ieee_invalid_op 0
		.amdhsa_exception_fp_denorm_src 0
		.amdhsa_exception_fp_ieee_div_zero 0
		.amdhsa_exception_fp_ieee_overflow 0
		.amdhsa_exception_fp_ieee_underflow 0
		.amdhsa_exception_fp_ieee_inexact 0
		.amdhsa_exception_int_div_zero 0
	.end_amdhsa_kernel
	.section	.text._ZN9rocsolver6v33100L18getri_kernel_smallILi36E19rocblas_complex_numIdEPS3_EEvT1_iilPiilS6_bb,"axG",@progbits,_ZN9rocsolver6v33100L18getri_kernel_smallILi36E19rocblas_complex_numIdEPS3_EEvT1_iilPiilS6_bb,comdat
.Lfunc_end35:
	.size	_ZN9rocsolver6v33100L18getri_kernel_smallILi36E19rocblas_complex_numIdEPS3_EEvT1_iilPiilS6_bb, .Lfunc_end35-_ZN9rocsolver6v33100L18getri_kernel_smallILi36E19rocblas_complex_numIdEPS3_EEvT1_iilPiilS6_bb
                                        ; -- End function
	.section	.AMDGPU.csdata,"",@progbits
; Kernel info:
; codeLenInByte = 65332
; NumSgprs: 45
; NumVgprs: 208
; ScratchSize: 592
; MemoryBound: 0
; FloatMode: 240
; IeeeMode: 1
; LDSByteSize: 2184 bytes/workgroup (compile time only)
; SGPRBlocks: 5
; VGPRBlocks: 25
; NumSGPRsForWavesPerEU: 45
; NumVGPRsForWavesPerEU: 208
; Occupancy: 7
; WaveLimiterHint : 1
; COMPUTE_PGM_RSRC2:SCRATCH_EN: 1
; COMPUTE_PGM_RSRC2:USER_SGPR: 15
; COMPUTE_PGM_RSRC2:TRAP_HANDLER: 0
; COMPUTE_PGM_RSRC2:TGID_X_EN: 1
; COMPUTE_PGM_RSRC2:TGID_Y_EN: 0
; COMPUTE_PGM_RSRC2:TGID_Z_EN: 0
; COMPUTE_PGM_RSRC2:TIDIG_COMP_CNT: 2
	.section	.text._ZN9rocsolver6v33100L18getri_kernel_smallILi37E19rocblas_complex_numIdEPS3_EEvT1_iilPiilS6_bb,"axG",@progbits,_ZN9rocsolver6v33100L18getri_kernel_smallILi37E19rocblas_complex_numIdEPS3_EEvT1_iilPiilS6_bb,comdat
	.globl	_ZN9rocsolver6v33100L18getri_kernel_smallILi37E19rocblas_complex_numIdEPS3_EEvT1_iilPiilS6_bb ; -- Begin function _ZN9rocsolver6v33100L18getri_kernel_smallILi37E19rocblas_complex_numIdEPS3_EEvT1_iilPiilS6_bb
	.p2align	8
	.type	_ZN9rocsolver6v33100L18getri_kernel_smallILi37E19rocblas_complex_numIdEPS3_EEvT1_iilPiilS6_bb,@function
_ZN9rocsolver6v33100L18getri_kernel_smallILi37E19rocblas_complex_numIdEPS3_EEvT1_iilPiilS6_bb: ; @_ZN9rocsolver6v33100L18getri_kernel_smallILi37E19rocblas_complex_numIdEPS3_EEvT1_iilPiilS6_bb
; %bb.0:
	v_and_b32_e32 v120, 0x3ff, v0
	s_mov_b32 s4, exec_lo
	s_delay_alu instid0(VALU_DEP_1)
	v_cmpx_gt_u32_e32 37, v120
	s_cbranch_execz .LBB36_162
; %bb.1:
	s_mov_b32 s18, s15
	s_clause 0x2
	s_load_b32 s21, s[2:3], 0x38
	s_load_b128 s[12:15], s[2:3], 0x10
	s_load_b128 s[4:7], s[2:3], 0x28
                                        ; implicit-def: $sgpr16_sgpr17
	s_waitcnt lgkmcnt(0)
	s_bitcmp1_b32 s21, 8
	s_cselect_b32 s20, -1, 0
	s_bfe_u32 s8, s21, 0x10008
	s_ashr_i32 s19, s18, 31
	s_cmp_eq_u32 s8, 0
	s_cbranch_scc1 .LBB36_3
; %bb.2:
	s_load_b32 s8, s[2:3], 0x20
	s_mul_i32 s5, s18, s5
	s_mul_hi_u32 s9, s18, s4
	s_mul_i32 s10, s19, s4
	s_add_i32 s5, s9, s5
	s_mul_i32 s4, s18, s4
	s_add_i32 s5, s5, s10
	s_delay_alu instid0(SALU_CYCLE_1)
	s_lshl_b64 s[4:5], s[4:5], 2
	s_waitcnt lgkmcnt(0)
	s_ashr_i32 s9, s8, 31
	s_add_u32 s10, s14, s4
	s_addc_u32 s11, s15, s5
	s_lshl_b64 s[4:5], s[8:9], 2
	s_delay_alu instid0(SALU_CYCLE_1)
	s_add_u32 s16, s10, s4
	s_addc_u32 s17, s11, s5
.LBB36_3:
	s_load_b128 s[8:11], s[2:3], 0x0
	s_mul_i32 s2, s18, s13
	s_mul_hi_u32 s3, s18, s12
	s_mul_i32 s4, s19, s12
	s_add_i32 s3, s3, s2
	s_mul_i32 s2, s18, s12
	s_add_i32 s3, s3, s4
	v_lshlrev_b32_e32 v13, 4, v120
	s_lshl_b64 s[2:3], s[2:3], 4
	s_movk_i32 s12, 0xc0
	s_movk_i32 s13, 0xd0
	;; [unrolled: 1-line block ×11, first 2 shown]
	s_waitcnt lgkmcnt(0)
	v_add3_u32 v5, s11, s11, v120
	s_ashr_i32 s5, s10, 31
	s_mov_b32 s4, s10
	s_add_u32 s8, s8, s2
	s_addc_u32 s9, s9, s3
	v_add_nc_u32_e32 v7, s11, v5
	s_lshl_b64 s[2:3], s[4:5], 4
	v_ashrrev_i32_e32 v6, 31, v5
	s_add_u32 s2, s8, s2
	s_addc_u32 s3, s9, s3
	v_add_nc_u32_e32 v9, s11, v7
	v_add_co_u32 v46, s8, s2, v13
	v_ashrrev_i32_e32 v8, 31, v7
	s_mov_b32 s4, s11
	s_ashr_i32 s5, s11, 31
	v_add_co_ci_u32_e64 v47, null, s3, 0, s8
	v_lshlrev_b64 v[5:6], 4, v[5:6]
	s_lshl_b64 s[4:5], s[4:5], 4
	v_add_nc_u32_e32 v16, s11, v9
	v_add_co_u32 v48, vcc_lo, v46, s4
	v_lshlrev_b64 v[14:15], 4, v[7:8]
	v_add_co_ci_u32_e32 v49, vcc_lo, s5, v47, vcc_lo
	v_add_co_u32 v50, vcc_lo, s2, v5
	v_ashrrev_i32_e32 v17, 31, v16
	v_add_nc_u32_e32 v20, s11, v16
	v_ashrrev_i32_e32 v10, 31, v9
	v_add_co_ci_u32_e32 v51, vcc_lo, s3, v6, vcc_lo
	v_add_co_u32 v52, vcc_lo, s2, v14
	v_add_co_ci_u32_e32 v53, vcc_lo, s3, v15, vcc_lo
	v_lshlrev_b64 v[14:15], 4, v[16:17]
	v_add_nc_u32_e32 v16, s11, v20
	v_lshlrev_b64 v[18:19], 4, v[9:10]
	v_ashrrev_i32_e32 v21, 31, v20
	s_clause 0x2
	global_load_b128 v[1:4], v13, s[2:3]
	global_load_b128 v[5:8], v[48:49], off
	global_load_b128 v[9:12], v[50:51], off
	v_add_nc_u32_e32 v38, s11, v16
	v_ashrrev_i32_e32 v17, 31, v16
	v_add_co_u32 v54, vcc_lo, s2, v18
	v_lshlrev_b64 v[26:27], 4, v[20:21]
	v_add_co_ci_u32_e32 v55, vcc_lo, s3, v19, vcc_lo
	v_add_co_u32 v56, vcc_lo, s2, v14
	v_ashrrev_i32_e32 v39, 31, v38
	v_add_co_ci_u32_e32 v57, vcc_lo, s3, v15, vcc_lo
	v_lshlrev_b64 v[28:29], 4, v[16:17]
	v_add_co_u32 v58, vcc_lo, s2, v26
	v_add_co_ci_u32_e32 v59, vcc_lo, s3, v27, vcc_lo
	v_lshlrev_b64 v[26:27], 4, v[38:39]
	s_delay_alu instid0(VALU_DEP_4)
	v_add_co_u32 v60, vcc_lo, s2, v28
	v_add_co_ci_u32_e32 v61, vcc_lo, s3, v29, vcc_lo
	s_clause 0x2
	global_load_b128 v[14:17], v[52:53], off
	global_load_b128 v[18:21], v[54:55], off
	;; [unrolled: 1-line block ×3, first 2 shown]
	v_add_co_u32 v62, vcc_lo, s2, v26
	v_add_co_ci_u32_e32 v63, vcc_lo, s3, v27, vcc_lo
	s_clause 0x2
	global_load_b128 v[26:29], v[58:59], off
	global_load_b128 v[30:33], v[60:61], off
	;; [unrolled: 1-line block ×3, first 2 shown]
	v_add_nc_u32_e32 v38, s11, v38
	s_movk_i32 s4, 0x60
	s_movk_i32 s5, 0x70
	;; [unrolled: 1-line block ×4, first 2 shown]
	v_add_nc_u32_e32 v40, s11, v38
	v_ashrrev_i32_e32 v39, 31, v38
	s_movk_i32 s10, 0xa0
	s_movk_i32 s29, 0x170
	s_movk_i32 s30, 0x180
	v_add_nc_u32_e32 v42, s11, v40
	v_ashrrev_i32_e32 v41, 31, v40
	v_lshlrev_b64 v[38:39], 4, v[38:39]
	s_movk_i32 s31, 0x190
	s_movk_i32 s33, 0x1a0
	v_add_nc_u32_e32 v44, s11, v42
	v_ashrrev_i32_e32 v43, 31, v42
	v_lshlrev_b64 v[40:41], 4, v[40:41]
	v_add_co_u32 v64, vcc_lo, s2, v38
	s_delay_alu instid0(VALU_DEP_4) | instskip(SKIP_3) | instid1(VALU_DEP_4)
	v_add_nc_u32_e32 v70, s11, v44
	v_ashrrev_i32_e32 v45, 31, v44
	v_add_co_ci_u32_e32 v65, vcc_lo, s3, v39, vcc_lo
	v_lshlrev_b64 v[38:39], 4, v[42:43]
	v_add_nc_u32_e32 v74, s11, v70
	v_ashrrev_i32_e32 v71, 31, v70
	v_add_co_u32 v66, vcc_lo, s2, v40
	v_lshlrev_b64 v[72:73], 4, v[44:45]
	s_delay_alu instid0(VALU_DEP_4)
	v_add_nc_u32_e32 v78, s11, v74
	v_add_co_ci_u32_e32 v67, vcc_lo, s3, v41, vcc_lo
	v_add_co_u32 v68, vcc_lo, s2, v38
	v_lshlrev_b64 v[76:77], 4, v[70:71]
	v_add_co_ci_u32_e32 v69, vcc_lo, s3, v39, vcc_lo
	v_add_co_u32 v70, vcc_lo, s2, v72
	v_ashrrev_i32_e32 v79, 31, v78
	v_add_nc_u32_e32 v80, s11, v78
	v_add_co_ci_u32_e32 v71, vcc_lo, s3, v73, vcc_lo
	v_ashrrev_i32_e32 v75, 31, v74
	v_add_co_u32 v72, vcc_lo, s2, v76
	v_add_co_ci_u32_e32 v73, vcc_lo, s3, v77, vcc_lo
	v_lshlrev_b64 v[76:77], 4, v[78:79]
	v_add_nc_u32_e32 v78, s11, v80
	v_lshlrev_b64 v[74:75], 4, v[74:75]
	v_ashrrev_i32_e32 v81, 31, v80
	s_clause 0x3
	global_load_b128 v[38:41], v[64:65], off
	global_load_b128 v[42:45], v[66:67], off
	global_load_b128 v[125:128], v[68:69], off
	global_load_b128 v[129:132], v[70:71], off
	v_add_nc_u32_e32 v82, s11, v78
	v_ashrrev_i32_e32 v79, 31, v78
	v_add_co_u32 v74, vcc_lo, s2, v74
	v_lshlrev_b64 v[80:81], 4, v[80:81]
	s_delay_alu instid0(VALU_DEP_4)
	v_add_nc_u32_e32 v86, s11, v82
	v_add_co_ci_u32_e32 v75, vcc_lo, s3, v75, vcc_lo
	v_add_co_u32 v76, vcc_lo, s2, v76
	v_lshlrev_b64 v[84:85], 4, v[78:79]
	v_add_co_ci_u32_e32 v77, vcc_lo, s3, v77, vcc_lo
	v_add_co_u32 v78, vcc_lo, s2, v80
	v_ashrrev_i32_e32 v87, 31, v86
	v_add_nc_u32_e32 v88, s11, v86
	v_add_co_ci_u32_e32 v79, vcc_lo, s3, v81, vcc_lo
	v_ashrrev_i32_e32 v83, 31, v82
	v_add_co_u32 v80, vcc_lo, s2, v84
	v_add_co_ci_u32_e32 v81, vcc_lo, s3, v85, vcc_lo
	v_lshlrev_b64 v[84:85], 4, v[86:87]
	v_add_nc_u32_e32 v86, s11, v88
	v_lshlrev_b64 v[82:83], 4, v[82:83]
	v_ashrrev_i32_e32 v89, 31, v88
	s_clause 0x3
	global_load_b128 v[153:156], v[72:73], off
	global_load_b128 v[157:160], v[74:75], off
	global_load_b128 v[161:164], v[76:77], off
	global_load_b128 v[165:168], v[78:79], off
	v_add_nc_u32_e32 v90, s11, v86
	v_ashrrev_i32_e32 v87, 31, v86
	v_add_co_u32 v82, vcc_lo, s2, v82
	v_lshlrev_b64 v[88:89], 4, v[88:89]
	s_delay_alu instid0(VALU_DEP_4)
	v_add_nc_u32_e32 v94, s11, v90
	v_add_co_ci_u32_e32 v83, vcc_lo, s3, v83, vcc_lo
	v_add_co_u32 v84, vcc_lo, s2, v84
	v_lshlrev_b64 v[92:93], 4, v[86:87]
	v_add_co_ci_u32_e32 v85, vcc_lo, s3, v85, vcc_lo
	v_add_co_u32 v86, vcc_lo, s2, v88
	v_ashrrev_i32_e32 v95, 31, v94
	v_add_nc_u32_e32 v96, s11, v94
	v_add_co_ci_u32_e32 v87, vcc_lo, s3, v89, vcc_lo
	v_ashrrev_i32_e32 v91, 31, v90
	v_add_co_u32 v88, vcc_lo, s2, v92
	v_add_co_ci_u32_e32 v89, vcc_lo, s3, v93, vcc_lo
	v_lshlrev_b64 v[92:93], 4, v[94:95]
	v_add_nc_u32_e32 v94, s11, v96
	v_lshlrev_b64 v[90:91], 4, v[90:91]
	v_ashrrev_i32_e32 v97, 31, v96
	s_clause 0x3
	global_load_b128 v[169:172], v[80:81], off
	global_load_b128 v[173:176], v[82:83], off
	global_load_b128 v[177:180], v[84:85], off
	global_load_b128 v[181:184], v[86:87], off
	v_add_nc_u32_e32 v98, s11, v94
	v_ashrrev_i32_e32 v95, 31, v94
	v_add_co_u32 v90, vcc_lo, s2, v90
	v_lshlrev_b64 v[96:97], 4, v[96:97]
	s_delay_alu instid0(VALU_DEP_4)
	v_add_nc_u32_e32 v102, s11, v98
	v_add_co_ci_u32_e32 v91, vcc_lo, s3, v91, vcc_lo
	v_add_co_u32 v92, vcc_lo, s2, v92
	v_lshlrev_b64 v[100:101], 4, v[94:95]
	v_add_co_ci_u32_e32 v93, vcc_lo, s3, v93, vcc_lo
	v_add_co_u32 v94, vcc_lo, s2, v96
	v_ashrrev_i32_e32 v103, 31, v102
	v_add_nc_u32_e32 v104, s11, v102
	v_add_co_ci_u32_e32 v95, vcc_lo, s3, v97, vcc_lo
	v_ashrrev_i32_e32 v99, 31, v98
	v_add_co_u32 v96, vcc_lo, s2, v100
	v_add_co_ci_u32_e32 v97, vcc_lo, s3, v101, vcc_lo
	v_lshlrev_b64 v[100:101], 4, v[102:103]
	v_add_nc_u32_e32 v102, s11, v104
	v_lshlrev_b64 v[98:99], 4, v[98:99]
	v_ashrrev_i32_e32 v105, 31, v104
	s_clause 0x3
	global_load_b128 v[185:188], v[88:89], off
	global_load_b128 v[189:192], v[90:91], off
	global_load_b128 v[193:196], v[92:93], off
	global_load_b128 v[197:200], v[94:95], off
	v_add_nc_u32_e32 v106, s11, v102
	v_ashrrev_i32_e32 v103, 31, v102
	v_add_co_u32 v98, vcc_lo, s2, v98
	v_lshlrev_b64 v[104:105], 4, v[104:105]
	s_delay_alu instid0(VALU_DEP_4)
	v_add_nc_u32_e32 v110, s11, v106
	v_add_co_ci_u32_e32 v99, vcc_lo, s3, v99, vcc_lo
	v_add_co_u32 v100, vcc_lo, s2, v100
	v_lshlrev_b64 v[108:109], 4, v[102:103]
	v_add_co_ci_u32_e32 v101, vcc_lo, s3, v101, vcc_lo
	v_add_co_u32 v102, vcc_lo, s2, v104
	v_ashrrev_i32_e32 v111, 31, v110
	v_add_nc_u32_e32 v112, s11, v110
	v_add_co_ci_u32_e32 v103, vcc_lo, s3, v105, vcc_lo
	v_add_co_u32 v104, vcc_lo, s2, v108
	v_ashrrev_i32_e32 v107, 31, v106
	v_add_co_ci_u32_e32 v105, vcc_lo, s3, v109, vcc_lo
	v_lshlrev_b64 v[108:109], 4, v[110:111]
	v_add_nc_u32_e32 v110, s11, v112
	s_delay_alu instid0(VALU_DEP_4)
	v_lshlrev_b64 v[106:107], 4, v[106:107]
	v_ashrrev_i32_e32 v113, 31, v112
	s_clause 0x1
	global_load_b128 v[201:204], v[96:97], off
	global_load_b128 v[205:208], v[98:99], off
	s_movk_i32 s34, 0x1b0
	v_add_nc_u32_e32 v114, s11, v110
	v_ashrrev_i32_e32 v111, 31, v110
	v_add_co_u32 v106, vcc_lo, s2, v106
	v_lshlrev_b64 v[112:113], 4, v[112:113]
	s_delay_alu instid0(VALU_DEP_4)
	v_add_nc_u32_e32 v118, s11, v114
	v_add_co_ci_u32_e32 v107, vcc_lo, s3, v107, vcc_lo
	v_add_co_u32 v108, vcc_lo, s2, v108
	v_lshlrev_b64 v[116:117], 4, v[110:111]
	v_ashrrev_i32_e32 v115, 31, v114
	v_add_nc_u32_e32 v121, s11, v118
	v_add_co_ci_u32_e32 v109, vcc_lo, s3, v109, vcc_lo
	v_add_co_u32 v110, vcc_lo, s2, v112
	v_ashrrev_i32_e32 v119, 31, v118
	v_add_co_ci_u32_e32 v111, vcc_lo, s3, v113, vcc_lo
	v_lshlrev_b64 v[114:115], 4, v[114:115]
	v_add_co_u32 v112, vcc_lo, s2, v116
	v_ashrrev_i32_e32 v122, 31, v121
	v_add_co_ci_u32_e32 v113, vcc_lo, s3, v117, vcc_lo
	v_lshlrev_b64 v[116:117], 4, v[118:119]
	v_add_co_u32 v114, vcc_lo, s2, v114
	s_delay_alu instid0(VALU_DEP_4) | instskip(SKIP_1) | instid1(VALU_DEP_4)
	v_lshlrev_b64 v[118:119], 4, v[121:122]
	v_add_co_ci_u32_e32 v115, vcc_lo, s3, v115, vcc_lo
	v_add_co_u32 v116, vcc_lo, s2, v116
	v_add_co_ci_u32_e32 v117, vcc_lo, s3, v117, vcc_lo
	s_delay_alu instid0(VALU_DEP_4)
	v_add_co_u32 v118, vcc_lo, s2, v118
	v_add_co_ci_u32_e32 v119, vcc_lo, s3, v119, vcc_lo
	s_movk_i32 s2, 0x50
	s_movk_i32 s11, 0xb0
	;; [unrolled: 1-line block ×11, first 2 shown]
	v_add_nc_u32_e64 v124, 0, 16
	v_add_nc_u32_e64 v123, 0, 32
	;; [unrolled: 1-line block ×24, first 2 shown]
	s_mov_b32 s3, -1
	s_bitcmp0_b32 s21, 0
	s_waitcnt vmcnt(26)
	scratch_store_b128 off, v[1:4], off
	s_clause 0x1
	global_load_b128 v[1:4], v[100:101], off
	global_load_b128 v[209:212], v[102:103], off
	s_waitcnt vmcnt(27)
	scratch_store_b128 off, v[5:8], off offset:16
	s_waitcnt vmcnt(26)
	scratch_store_b128 off, v[9:12], off offset:32
	s_clause 0x1
	global_load_b128 v[5:8], v[104:105], off
	global_load_b128 v[9:12], v[106:107], off
	s_waitcnt vmcnt(27)
	scratch_store_b128 off, v[14:17], off offset:48
	s_waitcnt vmcnt(26)
	scratch_store_b128 off, v[18:21], off offset:64
	s_clause 0x1
	global_load_b128 v[14:17], v[108:109], off
	global_load_b128 v[18:21], v[110:111], off
	s_waitcnt vmcnt(27)
	scratch_store_b128 off, v[22:25], off offset:80
	global_load_b128 v[22:25], v[112:113], off
	s_waitcnt vmcnt(27)
	scratch_store_b128 off, v[26:29], off offset:96
	;; [unrolled: 3-line block ×3, first 2 shown]
	s_waitcnt vmcnt(26)
	scratch_store_b128 off, v[34:37], off offset:128
	s_clause 0x1
	global_load_b128 v[30:33], v[116:117], off
	global_load_b128 v[34:37], v[118:119], off
	s_waitcnt vmcnt(27)
	scratch_store_b128 off, v[38:41], off offset:144
	s_waitcnt vmcnt(26)
	scratch_store_b128 off, v[42:45], off offset:160
	s_waitcnt vmcnt(25)
	scratch_store_b128 off, v[125:128], off offset:176
	s_waitcnt vmcnt(24)
	scratch_store_b128 off, v[129:132], off offset:192
	v_add_nc_u32_e64 v131, s26, 0
	v_add_nc_u32_e64 v130, s27, 0
	;; [unrolled: 1-line block ×8, first 2 shown]
	s_waitcnt vmcnt(23)
	scratch_store_b128 off, v[153:156], off offset:208
	s_waitcnt vmcnt(22)
	scratch_store_b128 off, v[157:160], off offset:224
	v_add_nc_u32_e64 v156, s31, 0
	v_add_nc_u32_e64 v155, s33, 0
	;; [unrolled: 1-line block ×4, first 2 shown]
	s_waitcnt vmcnt(21)
	scratch_store_b128 off, v[161:164], off offset:240
	s_waitcnt vmcnt(20)
	scratch_store_b128 off, v[165:168], off offset:256
	;; [unrolled: 2-line block ×22, first 2 shown]
	s_cbranch_scc1 .LBB36_160
; %bb.4:
	v_cmp_eq_u32_e64 s2, 0, v120
	s_delay_alu instid0(VALU_DEP_1)
	s_and_saveexec_b32 s3, s2
	s_cbranch_execz .LBB36_6
; %bb.5:
	v_mov_b32_e32 v1, 0
	ds_store_b32 v1, v1 offset:1184
.LBB36_6:
	s_or_b32 exec_lo, exec_lo, s3
	s_waitcnt lgkmcnt(0)
	s_waitcnt_vscnt null, 0x0
	s_barrier
	buffer_gl0_inv
	scratch_load_b128 v[1:4], v13, off
	s_waitcnt vmcnt(0)
	v_cmp_eq_f64_e32 vcc_lo, 0, v[1:2]
	v_cmp_eq_f64_e64 s3, 0, v[3:4]
	s_delay_alu instid0(VALU_DEP_1) | instskip(NEXT) | instid1(SALU_CYCLE_1)
	s_and_b32 s3, vcc_lo, s3
	s_and_saveexec_b32 s4, s3
	s_cbranch_execz .LBB36_10
; %bb.7:
	v_mov_b32_e32 v1, 0
	s_mov_b32 s5, 0
	ds_load_b32 v2, v1 offset:1184
	s_waitcnt lgkmcnt(0)
	v_readfirstlane_b32 s3, v2
	v_add_nc_u32_e32 v2, 1, v120
	s_delay_alu instid0(VALU_DEP_2) | instskip(NEXT) | instid1(VALU_DEP_1)
	s_cmp_eq_u32 s3, 0
	v_cmp_gt_i32_e32 vcc_lo, s3, v2
	s_cselect_b32 s8, -1, 0
	s_delay_alu instid0(SALU_CYCLE_1) | instskip(NEXT) | instid1(SALU_CYCLE_1)
	s_or_b32 s8, s8, vcc_lo
	s_and_b32 exec_lo, exec_lo, s8
	s_cbranch_execz .LBB36_10
; %bb.8:
	v_mov_b32_e32 v3, s3
.LBB36_9:                               ; =>This Inner Loop Header: Depth=1
	ds_cmpstore_rtn_b32 v3, v1, v2, v3 offset:1184
	s_waitcnt lgkmcnt(0)
	v_cmp_ne_u32_e32 vcc_lo, 0, v3
	v_cmp_le_i32_e64 s3, v3, v2
	s_delay_alu instid0(VALU_DEP_1) | instskip(NEXT) | instid1(SALU_CYCLE_1)
	s_and_b32 s3, vcc_lo, s3
	s_and_b32 s3, exec_lo, s3
	s_delay_alu instid0(SALU_CYCLE_1) | instskip(NEXT) | instid1(SALU_CYCLE_1)
	s_or_b32 s5, s3, s5
	s_and_not1_b32 exec_lo, exec_lo, s5
	s_cbranch_execnz .LBB36_9
.LBB36_10:
	s_or_b32 exec_lo, exec_lo, s4
	v_mov_b32_e32 v1, 0
	s_barrier
	buffer_gl0_inv
	ds_load_b32 v2, v1 offset:1184
	s_and_saveexec_b32 s3, s2
	s_cbranch_execz .LBB36_12
; %bb.11:
	s_lshl_b64 s[4:5], s[18:19], 2
	s_delay_alu instid0(SALU_CYCLE_1)
	s_add_u32 s4, s6, s4
	s_addc_u32 s5, s7, s5
	s_waitcnt lgkmcnt(0)
	global_store_b32 v1, v2, s[4:5]
.LBB36_12:
	s_or_b32 exec_lo, exec_lo, s3
	s_waitcnt lgkmcnt(0)
	v_cmp_ne_u32_e32 vcc_lo, 0, v2
	s_mov_b32 s3, 0
	s_cbranch_vccnz .LBB36_160
; %bb.13:
	v_add_nc_u32_e32 v14, 0, v13
                                        ; implicit-def: $vgpr9_vgpr10
	scratch_load_b128 v[1:4], v14, off
	s_waitcnt vmcnt(0)
	v_mov_b32_e32 v5, v1
	v_cmp_gt_f64_e32 vcc_lo, 0, v[1:2]
	v_xor_b32_e32 v6, 0x80000000, v2
	v_xor_b32_e32 v7, 0x80000000, v4
	s_delay_alu instid0(VALU_DEP_2) | instskip(SKIP_1) | instid1(VALU_DEP_3)
	v_cndmask_b32_e32 v6, v2, v6, vcc_lo
	v_cmp_gt_f64_e32 vcc_lo, 0, v[3:4]
	v_dual_cndmask_b32 v8, v4, v7 :: v_dual_mov_b32 v7, v3
	s_delay_alu instid0(VALU_DEP_1) | instskip(SKIP_1) | instid1(SALU_CYCLE_1)
	v_cmp_ngt_f64_e32 vcc_lo, v[5:6], v[7:8]
                                        ; implicit-def: $vgpr5_vgpr6
	s_and_saveexec_b32 s3, vcc_lo
	s_xor_b32 s3, exec_lo, s3
	s_cbranch_execz .LBB36_15
; %bb.14:
	v_div_scale_f64 v[5:6], null, v[3:4], v[3:4], v[1:2]
	v_div_scale_f64 v[11:12], vcc_lo, v[1:2], v[3:4], v[1:2]
	s_delay_alu instid0(VALU_DEP_2) | instskip(SKIP_2) | instid1(VALU_DEP_1)
	v_rcp_f64_e32 v[7:8], v[5:6]
	s_waitcnt_depctr 0xfff
	v_fma_f64 v[9:10], -v[5:6], v[7:8], 1.0
	v_fma_f64 v[7:8], v[7:8], v[9:10], v[7:8]
	s_delay_alu instid0(VALU_DEP_1) | instskip(NEXT) | instid1(VALU_DEP_1)
	v_fma_f64 v[9:10], -v[5:6], v[7:8], 1.0
	v_fma_f64 v[7:8], v[7:8], v[9:10], v[7:8]
	s_delay_alu instid0(VALU_DEP_1) | instskip(NEXT) | instid1(VALU_DEP_1)
	v_mul_f64 v[9:10], v[11:12], v[7:8]
	v_fma_f64 v[5:6], -v[5:6], v[9:10], v[11:12]
	s_delay_alu instid0(VALU_DEP_1) | instskip(NEXT) | instid1(VALU_DEP_1)
	v_div_fmas_f64 v[5:6], v[5:6], v[7:8], v[9:10]
	v_div_fixup_f64 v[5:6], v[5:6], v[3:4], v[1:2]
	s_delay_alu instid0(VALU_DEP_1) | instskip(NEXT) | instid1(VALU_DEP_1)
	v_fma_f64 v[1:2], v[1:2], v[5:6], v[3:4]
	v_div_scale_f64 v[3:4], null, v[1:2], v[1:2], 1.0
	v_div_scale_f64 v[11:12], vcc_lo, 1.0, v[1:2], 1.0
	s_delay_alu instid0(VALU_DEP_2) | instskip(SKIP_2) | instid1(VALU_DEP_1)
	v_rcp_f64_e32 v[7:8], v[3:4]
	s_waitcnt_depctr 0xfff
	v_fma_f64 v[9:10], -v[3:4], v[7:8], 1.0
	v_fma_f64 v[7:8], v[7:8], v[9:10], v[7:8]
	s_delay_alu instid0(VALU_DEP_1) | instskip(NEXT) | instid1(VALU_DEP_1)
	v_fma_f64 v[9:10], -v[3:4], v[7:8], 1.0
	v_fma_f64 v[7:8], v[7:8], v[9:10], v[7:8]
	s_delay_alu instid0(VALU_DEP_1) | instskip(NEXT) | instid1(VALU_DEP_1)
	v_mul_f64 v[9:10], v[11:12], v[7:8]
	v_fma_f64 v[3:4], -v[3:4], v[9:10], v[11:12]
	s_delay_alu instid0(VALU_DEP_1) | instskip(NEXT) | instid1(VALU_DEP_1)
	v_div_fmas_f64 v[3:4], v[3:4], v[7:8], v[9:10]
	v_div_fixup_f64 v[7:8], v[3:4], v[1:2], 1.0
                                        ; implicit-def: $vgpr1_vgpr2
	s_delay_alu instid0(VALU_DEP_1) | instskip(SKIP_1) | instid1(VALU_DEP_2)
	v_mul_f64 v[5:6], v[5:6], v[7:8]
	v_xor_b32_e32 v8, 0x80000000, v8
	v_xor_b32_e32 v10, 0x80000000, v6
	s_delay_alu instid0(VALU_DEP_3)
	v_mov_b32_e32 v9, v5
.LBB36_15:
	s_and_not1_saveexec_b32 s3, s3
	s_cbranch_execz .LBB36_17
; %bb.16:
	v_div_scale_f64 v[5:6], null, v[1:2], v[1:2], v[3:4]
	v_div_scale_f64 v[11:12], vcc_lo, v[3:4], v[1:2], v[3:4]
	s_delay_alu instid0(VALU_DEP_2) | instskip(SKIP_2) | instid1(VALU_DEP_1)
	v_rcp_f64_e32 v[7:8], v[5:6]
	s_waitcnt_depctr 0xfff
	v_fma_f64 v[9:10], -v[5:6], v[7:8], 1.0
	v_fma_f64 v[7:8], v[7:8], v[9:10], v[7:8]
	s_delay_alu instid0(VALU_DEP_1) | instskip(NEXT) | instid1(VALU_DEP_1)
	v_fma_f64 v[9:10], -v[5:6], v[7:8], 1.0
	v_fma_f64 v[7:8], v[7:8], v[9:10], v[7:8]
	s_delay_alu instid0(VALU_DEP_1) | instskip(NEXT) | instid1(VALU_DEP_1)
	v_mul_f64 v[9:10], v[11:12], v[7:8]
	v_fma_f64 v[5:6], -v[5:6], v[9:10], v[11:12]
	s_delay_alu instid0(VALU_DEP_1) | instskip(NEXT) | instid1(VALU_DEP_1)
	v_div_fmas_f64 v[5:6], v[5:6], v[7:8], v[9:10]
	v_div_fixup_f64 v[7:8], v[5:6], v[1:2], v[3:4]
	s_delay_alu instid0(VALU_DEP_1) | instskip(NEXT) | instid1(VALU_DEP_1)
	v_fma_f64 v[1:2], v[3:4], v[7:8], v[1:2]
	v_div_scale_f64 v[3:4], null, v[1:2], v[1:2], 1.0
	s_delay_alu instid0(VALU_DEP_1) | instskip(SKIP_2) | instid1(VALU_DEP_1)
	v_rcp_f64_e32 v[5:6], v[3:4]
	s_waitcnt_depctr 0xfff
	v_fma_f64 v[9:10], -v[3:4], v[5:6], 1.0
	v_fma_f64 v[5:6], v[5:6], v[9:10], v[5:6]
	s_delay_alu instid0(VALU_DEP_1) | instskip(NEXT) | instid1(VALU_DEP_1)
	v_fma_f64 v[9:10], -v[3:4], v[5:6], 1.0
	v_fma_f64 v[5:6], v[5:6], v[9:10], v[5:6]
	v_div_scale_f64 v[9:10], vcc_lo, 1.0, v[1:2], 1.0
	s_delay_alu instid0(VALU_DEP_1) | instskip(NEXT) | instid1(VALU_DEP_1)
	v_mul_f64 v[11:12], v[9:10], v[5:6]
	v_fma_f64 v[3:4], -v[3:4], v[11:12], v[9:10]
	s_delay_alu instid0(VALU_DEP_1) | instskip(NEXT) | instid1(VALU_DEP_1)
	v_div_fmas_f64 v[3:4], v[3:4], v[5:6], v[11:12]
	v_div_fixup_f64 v[5:6], v[3:4], v[1:2], 1.0
	s_delay_alu instid0(VALU_DEP_1)
	v_mul_f64 v[7:8], v[7:8], -v[5:6]
	v_xor_b32_e32 v10, 0x80000000, v6
	v_mov_b32_e32 v9, v5
.LBB36_17:
	s_or_b32 exec_lo, exec_lo, s3
	scratch_store_b128 v14, v[5:8], off
	scratch_load_b128 v[1:4], v124, off
	v_xor_b32_e32 v12, 0x80000000, v8
	v_mov_b32_e32 v11, v7
	v_add_nc_u32_e32 v5, 0x250, v13
	ds_store_b128 v13, v[9:12]
	s_waitcnt vmcnt(0)
	ds_store_b128 v13, v[1:4] offset:592
	s_waitcnt lgkmcnt(0)
	s_waitcnt_vscnt null, 0x0
	s_barrier
	buffer_gl0_inv
	s_and_saveexec_b32 s3, s2
	s_cbranch_execz .LBB36_19
; %bb.18:
	scratch_load_b128 v[1:4], v14, off
	ds_load_b128 v[6:9], v5
	v_mov_b32_e32 v10, 0
	ds_load_b128 v[15:18], v10 offset:16
	s_waitcnt vmcnt(0) lgkmcnt(1)
	v_mul_f64 v[10:11], v[6:7], v[3:4]
	v_mul_f64 v[3:4], v[8:9], v[3:4]
	s_delay_alu instid0(VALU_DEP_2) | instskip(NEXT) | instid1(VALU_DEP_2)
	v_fma_f64 v[8:9], v[8:9], v[1:2], v[10:11]
	v_fma_f64 v[1:2], v[6:7], v[1:2], -v[3:4]
	s_delay_alu instid0(VALU_DEP_2) | instskip(NEXT) | instid1(VALU_DEP_2)
	v_add_f64 v[3:4], v[8:9], 0
	v_add_f64 v[1:2], v[1:2], 0
	s_waitcnt lgkmcnt(0)
	s_delay_alu instid0(VALU_DEP_2) | instskip(NEXT) | instid1(VALU_DEP_2)
	v_mul_f64 v[6:7], v[3:4], v[17:18]
	v_mul_f64 v[8:9], v[1:2], v[17:18]
	s_delay_alu instid0(VALU_DEP_2) | instskip(NEXT) | instid1(VALU_DEP_2)
	v_fma_f64 v[1:2], v[1:2], v[15:16], -v[6:7]
	v_fma_f64 v[3:4], v[3:4], v[15:16], v[8:9]
	scratch_store_b128 off, v[1:4], off offset:16
.LBB36_19:
	s_or_b32 exec_lo, exec_lo, s3
	s_waitcnt_vscnt null, 0x0
	s_barrier
	buffer_gl0_inv
	scratch_load_b128 v[1:4], v123, off
	s_mov_b32 s3, exec_lo
	s_waitcnt vmcnt(0)
	ds_store_b128 v5, v[1:4]
	s_waitcnt lgkmcnt(0)
	s_barrier
	buffer_gl0_inv
	v_cmpx_gt_u32_e32 2, v120
	s_cbranch_execz .LBB36_23
; %bb.20:
	scratch_load_b128 v[1:4], v14, off
	ds_load_b128 v[6:9], v5
	s_waitcnt vmcnt(0) lgkmcnt(0)
	v_mul_f64 v[10:11], v[8:9], v[3:4]
	v_mul_f64 v[3:4], v[6:7], v[3:4]
	s_delay_alu instid0(VALU_DEP_2) | instskip(NEXT) | instid1(VALU_DEP_2)
	v_fma_f64 v[6:7], v[6:7], v[1:2], -v[10:11]
	v_fma_f64 v[3:4], v[8:9], v[1:2], v[3:4]
	s_delay_alu instid0(VALU_DEP_2) | instskip(NEXT) | instid1(VALU_DEP_2)
	v_add_f64 v[1:2], v[6:7], 0
	v_add_f64 v[3:4], v[3:4], 0
	s_and_saveexec_b32 s4, s2
	s_cbranch_execz .LBB36_22
; %bb.21:
	scratch_load_b128 v[6:9], off, off offset:16
	v_mov_b32_e32 v10, 0
	ds_load_b128 v[15:18], v10 offset:608
	s_waitcnt vmcnt(0) lgkmcnt(0)
	v_mul_f64 v[10:11], v[15:16], v[8:9]
	v_mul_f64 v[8:9], v[17:18], v[8:9]
	s_delay_alu instid0(VALU_DEP_2) | instskip(NEXT) | instid1(VALU_DEP_2)
	v_fma_f64 v[10:11], v[17:18], v[6:7], v[10:11]
	v_fma_f64 v[6:7], v[15:16], v[6:7], -v[8:9]
	s_delay_alu instid0(VALU_DEP_2) | instskip(NEXT) | instid1(VALU_DEP_2)
	v_add_f64 v[3:4], v[3:4], v[10:11]
	v_add_f64 v[1:2], v[1:2], v[6:7]
.LBB36_22:
	s_or_b32 exec_lo, exec_lo, s4
	v_mov_b32_e32 v6, 0
	ds_load_b128 v[6:9], v6 offset:32
	s_waitcnt lgkmcnt(0)
	v_mul_f64 v[10:11], v[3:4], v[8:9]
	v_mul_f64 v[8:9], v[1:2], v[8:9]
	s_delay_alu instid0(VALU_DEP_2) | instskip(NEXT) | instid1(VALU_DEP_2)
	v_fma_f64 v[1:2], v[1:2], v[6:7], -v[10:11]
	v_fma_f64 v[3:4], v[3:4], v[6:7], v[8:9]
	scratch_store_b128 off, v[1:4], off offset:32
.LBB36_23:
	s_or_b32 exec_lo, exec_lo, s3
	s_waitcnt_vscnt null, 0x0
	s_barrier
	buffer_gl0_inv
	scratch_load_b128 v[1:4], v122, off
	v_add_nc_u32_e32 v6, -1, v120
	s_mov_b32 s2, exec_lo
	s_waitcnt vmcnt(0)
	ds_store_b128 v5, v[1:4]
	s_waitcnt lgkmcnt(0)
	s_barrier
	buffer_gl0_inv
	v_cmpx_gt_u32_e32 3, v120
	s_cbranch_execz .LBB36_27
; %bb.24:
	v_dual_mov_b32 v1, 0 :: v_dual_add_nc_u32 v8, 0x250, v13
	v_dual_mov_b32 v2, 0 :: v_dual_add_nc_u32 v7, -1, v120
	v_or_b32_e32 v9, 8, v14
	s_mov_b32 s3, 0
	s_delay_alu instid0(VALU_DEP_2)
	v_dual_mov_b32 v4, v2 :: v_dual_mov_b32 v3, v1
	.p2align	6
.LBB36_25:                              ; =>This Inner Loop Header: Depth=1
	scratch_load_b128 v[15:18], v9, off offset:-8
	ds_load_b128 v[19:22], v8
	v_add_nc_u32_e32 v7, 1, v7
	v_add_nc_u32_e32 v8, 16, v8
	;; [unrolled: 1-line block ×3, first 2 shown]
	s_delay_alu instid0(VALU_DEP_3) | instskip(SKIP_4) | instid1(VALU_DEP_2)
	v_cmp_lt_u32_e32 vcc_lo, 1, v7
	s_or_b32 s3, vcc_lo, s3
	s_waitcnt vmcnt(0) lgkmcnt(0)
	v_mul_f64 v[10:11], v[21:22], v[17:18]
	v_mul_f64 v[17:18], v[19:20], v[17:18]
	v_fma_f64 v[10:11], v[19:20], v[15:16], -v[10:11]
	s_delay_alu instid0(VALU_DEP_2) | instskip(NEXT) | instid1(VALU_DEP_2)
	v_fma_f64 v[15:16], v[21:22], v[15:16], v[17:18]
	v_add_f64 v[3:4], v[3:4], v[10:11]
	s_delay_alu instid0(VALU_DEP_2)
	v_add_f64 v[1:2], v[1:2], v[15:16]
	s_and_not1_b32 exec_lo, exec_lo, s3
	s_cbranch_execnz .LBB36_25
; %bb.26:
	s_or_b32 exec_lo, exec_lo, s3
	v_mov_b32_e32 v7, 0
	ds_load_b128 v[7:10], v7 offset:48
	s_waitcnt lgkmcnt(0)
	v_mul_f64 v[11:12], v[1:2], v[9:10]
	v_mul_f64 v[15:16], v[3:4], v[9:10]
	s_delay_alu instid0(VALU_DEP_2) | instskip(NEXT) | instid1(VALU_DEP_2)
	v_fma_f64 v[9:10], v[3:4], v[7:8], -v[11:12]
	v_fma_f64 v[11:12], v[1:2], v[7:8], v[15:16]
	scratch_store_b128 off, v[9:12], off offset:48
.LBB36_27:
	s_or_b32 exec_lo, exec_lo, s2
	s_waitcnt_vscnt null, 0x0
	s_barrier
	buffer_gl0_inv
	scratch_load_b128 v[1:4], v121, off
	s_mov_b32 s2, exec_lo
	s_waitcnt vmcnt(0)
	ds_store_b128 v5, v[1:4]
	s_waitcnt lgkmcnt(0)
	s_barrier
	buffer_gl0_inv
	v_cmpx_gt_u32_e32 4, v120
	s_cbranch_execz .LBB36_31
; %bb.28:
	v_dual_mov_b32 v1, 0 :: v_dual_add_nc_u32 v8, 0x250, v13
	v_dual_mov_b32 v2, 0 :: v_dual_add_nc_u32 v7, -1, v120
	v_or_b32_e32 v9, 8, v14
	s_mov_b32 s3, 0
	s_delay_alu instid0(VALU_DEP_2)
	v_dual_mov_b32 v4, v2 :: v_dual_mov_b32 v3, v1
	.p2align	6
.LBB36_29:                              ; =>This Inner Loop Header: Depth=1
	scratch_load_b128 v[15:18], v9, off offset:-8
	ds_load_b128 v[19:22], v8
	v_add_nc_u32_e32 v7, 1, v7
	v_add_nc_u32_e32 v8, 16, v8
	;; [unrolled: 1-line block ×3, first 2 shown]
	s_delay_alu instid0(VALU_DEP_3) | instskip(SKIP_4) | instid1(VALU_DEP_2)
	v_cmp_lt_u32_e32 vcc_lo, 2, v7
	s_or_b32 s3, vcc_lo, s3
	s_waitcnt vmcnt(0) lgkmcnt(0)
	v_mul_f64 v[10:11], v[21:22], v[17:18]
	v_mul_f64 v[17:18], v[19:20], v[17:18]
	v_fma_f64 v[10:11], v[19:20], v[15:16], -v[10:11]
	s_delay_alu instid0(VALU_DEP_2) | instskip(NEXT) | instid1(VALU_DEP_2)
	v_fma_f64 v[15:16], v[21:22], v[15:16], v[17:18]
	v_add_f64 v[3:4], v[3:4], v[10:11]
	s_delay_alu instid0(VALU_DEP_2)
	v_add_f64 v[1:2], v[1:2], v[15:16]
	s_and_not1_b32 exec_lo, exec_lo, s3
	s_cbranch_execnz .LBB36_29
; %bb.30:
	s_or_b32 exec_lo, exec_lo, s3
	v_mov_b32_e32 v7, 0
	ds_load_b128 v[7:10], v7 offset:64
	s_waitcnt lgkmcnt(0)
	v_mul_f64 v[11:12], v[1:2], v[9:10]
	v_mul_f64 v[15:16], v[3:4], v[9:10]
	s_delay_alu instid0(VALU_DEP_2) | instskip(NEXT) | instid1(VALU_DEP_2)
	v_fma_f64 v[9:10], v[3:4], v[7:8], -v[11:12]
	v_fma_f64 v[11:12], v[1:2], v[7:8], v[15:16]
	scratch_store_b128 off, v[9:12], off offset:64
.LBB36_31:
	s_or_b32 exec_lo, exec_lo, s2
	s_waitcnt_vscnt null, 0x0
	s_barrier
	buffer_gl0_inv
	scratch_load_b128 v[1:4], v152, off
	s_mov_b32 s2, exec_lo
	s_waitcnt vmcnt(0)
	ds_store_b128 v5, v[1:4]
	s_waitcnt lgkmcnt(0)
	s_barrier
	buffer_gl0_inv
	v_cmpx_gt_u32_e32 5, v120
	s_cbranch_execz .LBB36_35
; %bb.32:
	v_dual_mov_b32 v1, 0 :: v_dual_add_nc_u32 v8, 0x250, v13
	v_dual_mov_b32 v2, 0 :: v_dual_add_nc_u32 v7, -1, v120
	v_or_b32_e32 v9, 8, v14
	s_mov_b32 s3, 0
	s_delay_alu instid0(VALU_DEP_2)
	v_dual_mov_b32 v4, v2 :: v_dual_mov_b32 v3, v1
	.p2align	6
.LBB36_33:                              ; =>This Inner Loop Header: Depth=1
	scratch_load_b128 v[15:18], v9, off offset:-8
	ds_load_b128 v[19:22], v8
	v_add_nc_u32_e32 v7, 1, v7
	v_add_nc_u32_e32 v8, 16, v8
	;; [unrolled: 1-line block ×3, first 2 shown]
	s_delay_alu instid0(VALU_DEP_3) | instskip(SKIP_4) | instid1(VALU_DEP_2)
	v_cmp_lt_u32_e32 vcc_lo, 3, v7
	s_or_b32 s3, vcc_lo, s3
	s_waitcnt vmcnt(0) lgkmcnt(0)
	v_mul_f64 v[10:11], v[21:22], v[17:18]
	v_mul_f64 v[17:18], v[19:20], v[17:18]
	v_fma_f64 v[10:11], v[19:20], v[15:16], -v[10:11]
	s_delay_alu instid0(VALU_DEP_2) | instskip(NEXT) | instid1(VALU_DEP_2)
	v_fma_f64 v[15:16], v[21:22], v[15:16], v[17:18]
	v_add_f64 v[3:4], v[3:4], v[10:11]
	s_delay_alu instid0(VALU_DEP_2)
	v_add_f64 v[1:2], v[1:2], v[15:16]
	s_and_not1_b32 exec_lo, exec_lo, s3
	s_cbranch_execnz .LBB36_33
; %bb.34:
	s_or_b32 exec_lo, exec_lo, s3
	v_mov_b32_e32 v7, 0
	ds_load_b128 v[7:10], v7 offset:80
	s_waitcnt lgkmcnt(0)
	v_mul_f64 v[11:12], v[1:2], v[9:10]
	v_mul_f64 v[15:16], v[3:4], v[9:10]
	s_delay_alu instid0(VALU_DEP_2) | instskip(NEXT) | instid1(VALU_DEP_2)
	v_fma_f64 v[9:10], v[3:4], v[7:8], -v[11:12]
	v_fma_f64 v[11:12], v[1:2], v[7:8], v[15:16]
	scratch_store_b128 off, v[9:12], off offset:80
.LBB36_35:
	s_or_b32 exec_lo, exec_lo, s2
	s_waitcnt_vscnt null, 0x0
	s_barrier
	buffer_gl0_inv
	scratch_load_b128 v[1:4], v151, off
	s_mov_b32 s2, exec_lo
	s_waitcnt vmcnt(0)
	ds_store_b128 v5, v[1:4]
	s_waitcnt lgkmcnt(0)
	s_barrier
	buffer_gl0_inv
	v_cmpx_gt_u32_e32 6, v120
	s_cbranch_execz .LBB36_39
; %bb.36:
	v_dual_mov_b32 v1, 0 :: v_dual_add_nc_u32 v8, 0x250, v13
	v_dual_mov_b32 v2, 0 :: v_dual_add_nc_u32 v7, -1, v120
	v_or_b32_e32 v9, 8, v14
	s_mov_b32 s3, 0
	s_delay_alu instid0(VALU_DEP_2)
	v_dual_mov_b32 v4, v2 :: v_dual_mov_b32 v3, v1
	.p2align	6
.LBB36_37:                              ; =>This Inner Loop Header: Depth=1
	scratch_load_b128 v[15:18], v9, off offset:-8
	ds_load_b128 v[19:22], v8
	v_add_nc_u32_e32 v7, 1, v7
	v_add_nc_u32_e32 v8, 16, v8
	;; [unrolled: 1-line block ×3, first 2 shown]
	s_delay_alu instid0(VALU_DEP_3) | instskip(SKIP_4) | instid1(VALU_DEP_2)
	v_cmp_lt_u32_e32 vcc_lo, 4, v7
	s_or_b32 s3, vcc_lo, s3
	s_waitcnt vmcnt(0) lgkmcnt(0)
	v_mul_f64 v[10:11], v[21:22], v[17:18]
	v_mul_f64 v[17:18], v[19:20], v[17:18]
	v_fma_f64 v[10:11], v[19:20], v[15:16], -v[10:11]
	s_delay_alu instid0(VALU_DEP_2) | instskip(NEXT) | instid1(VALU_DEP_2)
	v_fma_f64 v[15:16], v[21:22], v[15:16], v[17:18]
	v_add_f64 v[3:4], v[3:4], v[10:11]
	s_delay_alu instid0(VALU_DEP_2)
	v_add_f64 v[1:2], v[1:2], v[15:16]
	s_and_not1_b32 exec_lo, exec_lo, s3
	s_cbranch_execnz .LBB36_37
; %bb.38:
	s_or_b32 exec_lo, exec_lo, s3
	v_mov_b32_e32 v7, 0
	ds_load_b128 v[7:10], v7 offset:96
	s_waitcnt lgkmcnt(0)
	v_mul_f64 v[11:12], v[1:2], v[9:10]
	v_mul_f64 v[15:16], v[3:4], v[9:10]
	s_delay_alu instid0(VALU_DEP_2) | instskip(NEXT) | instid1(VALU_DEP_2)
	v_fma_f64 v[9:10], v[3:4], v[7:8], -v[11:12]
	v_fma_f64 v[11:12], v[1:2], v[7:8], v[15:16]
	scratch_store_b128 off, v[9:12], off offset:96
.LBB36_39:
	s_or_b32 exec_lo, exec_lo, s2
	s_waitcnt_vscnt null, 0x0
	s_barrier
	buffer_gl0_inv
	scratch_load_b128 v[1:4], v149, off
	s_mov_b32 s2, exec_lo
	s_waitcnt vmcnt(0)
	ds_store_b128 v5, v[1:4]
	s_waitcnt lgkmcnt(0)
	s_barrier
	buffer_gl0_inv
	v_cmpx_gt_u32_e32 7, v120
	s_cbranch_execz .LBB36_43
; %bb.40:
	v_dual_mov_b32 v1, 0 :: v_dual_add_nc_u32 v8, 0x250, v13
	v_dual_mov_b32 v2, 0 :: v_dual_add_nc_u32 v7, -1, v120
	v_or_b32_e32 v9, 8, v14
	s_mov_b32 s3, 0
	s_delay_alu instid0(VALU_DEP_2)
	v_dual_mov_b32 v4, v2 :: v_dual_mov_b32 v3, v1
	.p2align	6
.LBB36_41:                              ; =>This Inner Loop Header: Depth=1
	scratch_load_b128 v[15:18], v9, off offset:-8
	ds_load_b128 v[19:22], v8
	v_add_nc_u32_e32 v7, 1, v7
	v_add_nc_u32_e32 v8, 16, v8
	;; [unrolled: 1-line block ×3, first 2 shown]
	s_delay_alu instid0(VALU_DEP_3) | instskip(SKIP_4) | instid1(VALU_DEP_2)
	v_cmp_lt_u32_e32 vcc_lo, 5, v7
	s_or_b32 s3, vcc_lo, s3
	s_waitcnt vmcnt(0) lgkmcnt(0)
	v_mul_f64 v[10:11], v[21:22], v[17:18]
	v_mul_f64 v[17:18], v[19:20], v[17:18]
	v_fma_f64 v[10:11], v[19:20], v[15:16], -v[10:11]
	s_delay_alu instid0(VALU_DEP_2) | instskip(NEXT) | instid1(VALU_DEP_2)
	v_fma_f64 v[15:16], v[21:22], v[15:16], v[17:18]
	v_add_f64 v[3:4], v[3:4], v[10:11]
	s_delay_alu instid0(VALU_DEP_2)
	v_add_f64 v[1:2], v[1:2], v[15:16]
	s_and_not1_b32 exec_lo, exec_lo, s3
	s_cbranch_execnz .LBB36_41
; %bb.42:
	s_or_b32 exec_lo, exec_lo, s3
	v_mov_b32_e32 v7, 0
	ds_load_b128 v[7:10], v7 offset:112
	s_waitcnt lgkmcnt(0)
	v_mul_f64 v[11:12], v[1:2], v[9:10]
	v_mul_f64 v[15:16], v[3:4], v[9:10]
	s_delay_alu instid0(VALU_DEP_2) | instskip(NEXT) | instid1(VALU_DEP_2)
	v_fma_f64 v[9:10], v[3:4], v[7:8], -v[11:12]
	v_fma_f64 v[11:12], v[1:2], v[7:8], v[15:16]
	scratch_store_b128 off, v[9:12], off offset:112
.LBB36_43:
	s_or_b32 exec_lo, exec_lo, s2
	s_waitcnt_vscnt null, 0x0
	s_barrier
	buffer_gl0_inv
	scratch_load_b128 v[1:4], v146, off
	s_mov_b32 s2, exec_lo
	s_waitcnt vmcnt(0)
	ds_store_b128 v5, v[1:4]
	s_waitcnt lgkmcnt(0)
	s_barrier
	buffer_gl0_inv
	v_cmpx_gt_u32_e32 8, v120
	s_cbranch_execz .LBB36_47
; %bb.44:
	v_dual_mov_b32 v1, 0 :: v_dual_add_nc_u32 v8, 0x250, v13
	v_dual_mov_b32 v2, 0 :: v_dual_add_nc_u32 v7, -1, v120
	v_or_b32_e32 v9, 8, v14
	s_mov_b32 s3, 0
	s_delay_alu instid0(VALU_DEP_2)
	v_dual_mov_b32 v4, v2 :: v_dual_mov_b32 v3, v1
	.p2align	6
.LBB36_45:                              ; =>This Inner Loop Header: Depth=1
	scratch_load_b128 v[15:18], v9, off offset:-8
	ds_load_b128 v[19:22], v8
	v_add_nc_u32_e32 v7, 1, v7
	v_add_nc_u32_e32 v8, 16, v8
	v_add_nc_u32_e32 v9, 16, v9
	s_delay_alu instid0(VALU_DEP_3) | instskip(SKIP_4) | instid1(VALU_DEP_2)
	v_cmp_lt_u32_e32 vcc_lo, 6, v7
	s_or_b32 s3, vcc_lo, s3
	s_waitcnt vmcnt(0) lgkmcnt(0)
	v_mul_f64 v[10:11], v[21:22], v[17:18]
	v_mul_f64 v[17:18], v[19:20], v[17:18]
	v_fma_f64 v[10:11], v[19:20], v[15:16], -v[10:11]
	s_delay_alu instid0(VALU_DEP_2) | instskip(NEXT) | instid1(VALU_DEP_2)
	v_fma_f64 v[15:16], v[21:22], v[15:16], v[17:18]
	v_add_f64 v[3:4], v[3:4], v[10:11]
	s_delay_alu instid0(VALU_DEP_2)
	v_add_f64 v[1:2], v[1:2], v[15:16]
	s_and_not1_b32 exec_lo, exec_lo, s3
	s_cbranch_execnz .LBB36_45
; %bb.46:
	s_or_b32 exec_lo, exec_lo, s3
	v_mov_b32_e32 v7, 0
	ds_load_b128 v[7:10], v7 offset:128
	s_waitcnt lgkmcnt(0)
	v_mul_f64 v[11:12], v[1:2], v[9:10]
	v_mul_f64 v[15:16], v[3:4], v[9:10]
	s_delay_alu instid0(VALU_DEP_2) | instskip(NEXT) | instid1(VALU_DEP_2)
	v_fma_f64 v[9:10], v[3:4], v[7:8], -v[11:12]
	v_fma_f64 v[11:12], v[1:2], v[7:8], v[15:16]
	scratch_store_b128 off, v[9:12], off offset:128
.LBB36_47:
	s_or_b32 exec_lo, exec_lo, s2
	s_waitcnt_vscnt null, 0x0
	s_barrier
	buffer_gl0_inv
	scratch_load_b128 v[1:4], v148, off
	s_mov_b32 s2, exec_lo
	s_waitcnt vmcnt(0)
	ds_store_b128 v5, v[1:4]
	s_waitcnt lgkmcnt(0)
	s_barrier
	buffer_gl0_inv
	v_cmpx_gt_u32_e32 9, v120
	s_cbranch_execz .LBB36_51
; %bb.48:
	v_dual_mov_b32 v1, 0 :: v_dual_add_nc_u32 v8, 0x250, v13
	v_dual_mov_b32 v2, 0 :: v_dual_add_nc_u32 v7, -1, v120
	v_or_b32_e32 v9, 8, v14
	s_mov_b32 s3, 0
	s_delay_alu instid0(VALU_DEP_2)
	v_dual_mov_b32 v4, v2 :: v_dual_mov_b32 v3, v1
	.p2align	6
.LBB36_49:                              ; =>This Inner Loop Header: Depth=1
	scratch_load_b128 v[15:18], v9, off offset:-8
	ds_load_b128 v[19:22], v8
	v_add_nc_u32_e32 v7, 1, v7
	v_add_nc_u32_e32 v8, 16, v8
	;; [unrolled: 1-line block ×3, first 2 shown]
	s_delay_alu instid0(VALU_DEP_3) | instskip(SKIP_4) | instid1(VALU_DEP_2)
	v_cmp_lt_u32_e32 vcc_lo, 7, v7
	s_or_b32 s3, vcc_lo, s3
	s_waitcnt vmcnt(0) lgkmcnt(0)
	v_mul_f64 v[10:11], v[21:22], v[17:18]
	v_mul_f64 v[17:18], v[19:20], v[17:18]
	v_fma_f64 v[10:11], v[19:20], v[15:16], -v[10:11]
	s_delay_alu instid0(VALU_DEP_2) | instskip(NEXT) | instid1(VALU_DEP_2)
	v_fma_f64 v[15:16], v[21:22], v[15:16], v[17:18]
	v_add_f64 v[3:4], v[3:4], v[10:11]
	s_delay_alu instid0(VALU_DEP_2)
	v_add_f64 v[1:2], v[1:2], v[15:16]
	s_and_not1_b32 exec_lo, exec_lo, s3
	s_cbranch_execnz .LBB36_49
; %bb.50:
	s_or_b32 exec_lo, exec_lo, s3
	v_mov_b32_e32 v7, 0
	ds_load_b128 v[7:10], v7 offset:144
	s_waitcnt lgkmcnt(0)
	v_mul_f64 v[11:12], v[1:2], v[9:10]
	v_mul_f64 v[15:16], v[3:4], v[9:10]
	s_delay_alu instid0(VALU_DEP_2) | instskip(NEXT) | instid1(VALU_DEP_2)
	v_fma_f64 v[9:10], v[3:4], v[7:8], -v[11:12]
	v_fma_f64 v[11:12], v[1:2], v[7:8], v[15:16]
	scratch_store_b128 off, v[9:12], off offset:144
.LBB36_51:
	s_or_b32 exec_lo, exec_lo, s2
	s_waitcnt_vscnt null, 0x0
	s_barrier
	buffer_gl0_inv
	scratch_load_b128 v[1:4], v145, off
	s_mov_b32 s2, exec_lo
	s_waitcnt vmcnt(0)
	ds_store_b128 v5, v[1:4]
	s_waitcnt lgkmcnt(0)
	s_barrier
	buffer_gl0_inv
	v_cmpx_gt_u32_e32 10, v120
	s_cbranch_execz .LBB36_55
; %bb.52:
	v_dual_mov_b32 v1, 0 :: v_dual_add_nc_u32 v8, 0x250, v13
	v_dual_mov_b32 v2, 0 :: v_dual_add_nc_u32 v7, -1, v120
	v_or_b32_e32 v9, 8, v14
	s_mov_b32 s3, 0
	s_delay_alu instid0(VALU_DEP_2)
	v_dual_mov_b32 v4, v2 :: v_dual_mov_b32 v3, v1
	.p2align	6
.LBB36_53:                              ; =>This Inner Loop Header: Depth=1
	scratch_load_b128 v[15:18], v9, off offset:-8
	ds_load_b128 v[19:22], v8
	v_add_nc_u32_e32 v7, 1, v7
	v_add_nc_u32_e32 v8, 16, v8
	;; [unrolled: 1-line block ×3, first 2 shown]
	s_delay_alu instid0(VALU_DEP_3) | instskip(SKIP_4) | instid1(VALU_DEP_2)
	v_cmp_lt_u32_e32 vcc_lo, 8, v7
	s_or_b32 s3, vcc_lo, s3
	s_waitcnt vmcnt(0) lgkmcnt(0)
	v_mul_f64 v[10:11], v[21:22], v[17:18]
	v_mul_f64 v[17:18], v[19:20], v[17:18]
	v_fma_f64 v[10:11], v[19:20], v[15:16], -v[10:11]
	s_delay_alu instid0(VALU_DEP_2) | instskip(NEXT) | instid1(VALU_DEP_2)
	v_fma_f64 v[15:16], v[21:22], v[15:16], v[17:18]
	v_add_f64 v[3:4], v[3:4], v[10:11]
	s_delay_alu instid0(VALU_DEP_2)
	v_add_f64 v[1:2], v[1:2], v[15:16]
	s_and_not1_b32 exec_lo, exec_lo, s3
	s_cbranch_execnz .LBB36_53
; %bb.54:
	s_or_b32 exec_lo, exec_lo, s3
	v_mov_b32_e32 v7, 0
	ds_load_b128 v[7:10], v7 offset:160
	s_waitcnt lgkmcnt(0)
	v_mul_f64 v[11:12], v[1:2], v[9:10]
	v_mul_f64 v[15:16], v[3:4], v[9:10]
	s_delay_alu instid0(VALU_DEP_2) | instskip(NEXT) | instid1(VALU_DEP_2)
	v_fma_f64 v[9:10], v[3:4], v[7:8], -v[11:12]
	v_fma_f64 v[11:12], v[1:2], v[7:8], v[15:16]
	scratch_store_b128 off, v[9:12], off offset:160
.LBB36_55:
	s_or_b32 exec_lo, exec_lo, s2
	s_waitcnt_vscnt null, 0x0
	s_barrier
	buffer_gl0_inv
	scratch_load_b128 v[1:4], v144, off
	s_mov_b32 s2, exec_lo
	s_waitcnt vmcnt(0)
	ds_store_b128 v5, v[1:4]
	s_waitcnt lgkmcnt(0)
	s_barrier
	buffer_gl0_inv
	v_cmpx_gt_u32_e32 11, v120
	s_cbranch_execz .LBB36_59
; %bb.56:
	v_dual_mov_b32 v1, 0 :: v_dual_add_nc_u32 v8, 0x250, v13
	v_dual_mov_b32 v2, 0 :: v_dual_add_nc_u32 v7, -1, v120
	v_or_b32_e32 v9, 8, v14
	s_mov_b32 s3, 0
	s_delay_alu instid0(VALU_DEP_2)
	v_dual_mov_b32 v4, v2 :: v_dual_mov_b32 v3, v1
	.p2align	6
.LBB36_57:                              ; =>This Inner Loop Header: Depth=1
	scratch_load_b128 v[15:18], v9, off offset:-8
	ds_load_b128 v[19:22], v8
	v_add_nc_u32_e32 v7, 1, v7
	v_add_nc_u32_e32 v8, 16, v8
	;; [unrolled: 1-line block ×3, first 2 shown]
	s_delay_alu instid0(VALU_DEP_3) | instskip(SKIP_4) | instid1(VALU_DEP_2)
	v_cmp_lt_u32_e32 vcc_lo, 9, v7
	s_or_b32 s3, vcc_lo, s3
	s_waitcnt vmcnt(0) lgkmcnt(0)
	v_mul_f64 v[10:11], v[21:22], v[17:18]
	v_mul_f64 v[17:18], v[19:20], v[17:18]
	v_fma_f64 v[10:11], v[19:20], v[15:16], -v[10:11]
	s_delay_alu instid0(VALU_DEP_2) | instskip(NEXT) | instid1(VALU_DEP_2)
	v_fma_f64 v[15:16], v[21:22], v[15:16], v[17:18]
	v_add_f64 v[3:4], v[3:4], v[10:11]
	s_delay_alu instid0(VALU_DEP_2)
	v_add_f64 v[1:2], v[1:2], v[15:16]
	s_and_not1_b32 exec_lo, exec_lo, s3
	s_cbranch_execnz .LBB36_57
; %bb.58:
	s_or_b32 exec_lo, exec_lo, s3
	v_mov_b32_e32 v7, 0
	ds_load_b128 v[7:10], v7 offset:176
	s_waitcnt lgkmcnt(0)
	v_mul_f64 v[11:12], v[1:2], v[9:10]
	v_mul_f64 v[15:16], v[3:4], v[9:10]
	s_delay_alu instid0(VALU_DEP_2) | instskip(NEXT) | instid1(VALU_DEP_2)
	v_fma_f64 v[9:10], v[3:4], v[7:8], -v[11:12]
	v_fma_f64 v[11:12], v[1:2], v[7:8], v[15:16]
	scratch_store_b128 off, v[9:12], off offset:176
.LBB36_59:
	s_or_b32 exec_lo, exec_lo, s2
	s_waitcnt_vscnt null, 0x0
	s_barrier
	buffer_gl0_inv
	scratch_load_b128 v[1:4], v141, off
	s_mov_b32 s2, exec_lo
	s_waitcnt vmcnt(0)
	ds_store_b128 v5, v[1:4]
	s_waitcnt lgkmcnt(0)
	s_barrier
	buffer_gl0_inv
	v_cmpx_gt_u32_e32 12, v120
	s_cbranch_execz .LBB36_63
; %bb.60:
	v_dual_mov_b32 v1, 0 :: v_dual_add_nc_u32 v8, 0x250, v13
	v_dual_mov_b32 v2, 0 :: v_dual_add_nc_u32 v7, -1, v120
	v_or_b32_e32 v9, 8, v14
	s_mov_b32 s3, 0
	s_delay_alu instid0(VALU_DEP_2)
	v_dual_mov_b32 v4, v2 :: v_dual_mov_b32 v3, v1
	.p2align	6
.LBB36_61:                              ; =>This Inner Loop Header: Depth=1
	scratch_load_b128 v[15:18], v9, off offset:-8
	ds_load_b128 v[19:22], v8
	v_add_nc_u32_e32 v7, 1, v7
	v_add_nc_u32_e32 v8, 16, v8
	;; [unrolled: 1-line block ×3, first 2 shown]
	s_delay_alu instid0(VALU_DEP_3) | instskip(SKIP_4) | instid1(VALU_DEP_2)
	v_cmp_lt_u32_e32 vcc_lo, 10, v7
	s_or_b32 s3, vcc_lo, s3
	s_waitcnt vmcnt(0) lgkmcnt(0)
	v_mul_f64 v[10:11], v[21:22], v[17:18]
	v_mul_f64 v[17:18], v[19:20], v[17:18]
	v_fma_f64 v[10:11], v[19:20], v[15:16], -v[10:11]
	s_delay_alu instid0(VALU_DEP_2) | instskip(NEXT) | instid1(VALU_DEP_2)
	v_fma_f64 v[15:16], v[21:22], v[15:16], v[17:18]
	v_add_f64 v[3:4], v[3:4], v[10:11]
	s_delay_alu instid0(VALU_DEP_2)
	v_add_f64 v[1:2], v[1:2], v[15:16]
	s_and_not1_b32 exec_lo, exec_lo, s3
	s_cbranch_execnz .LBB36_61
; %bb.62:
	s_or_b32 exec_lo, exec_lo, s3
	v_mov_b32_e32 v7, 0
	ds_load_b128 v[7:10], v7 offset:192
	s_waitcnt lgkmcnt(0)
	v_mul_f64 v[11:12], v[1:2], v[9:10]
	v_mul_f64 v[15:16], v[3:4], v[9:10]
	s_delay_alu instid0(VALU_DEP_2) | instskip(NEXT) | instid1(VALU_DEP_2)
	v_fma_f64 v[9:10], v[3:4], v[7:8], -v[11:12]
	v_fma_f64 v[11:12], v[1:2], v[7:8], v[15:16]
	scratch_store_b128 off, v[9:12], off offset:192
.LBB36_63:
	s_or_b32 exec_lo, exec_lo, s2
	s_waitcnt_vscnt null, 0x0
	s_barrier
	buffer_gl0_inv
	scratch_load_b128 v[1:4], v143, off
	s_mov_b32 s2, exec_lo
	s_waitcnt vmcnt(0)
	ds_store_b128 v5, v[1:4]
	s_waitcnt lgkmcnt(0)
	s_barrier
	buffer_gl0_inv
	v_cmpx_gt_u32_e32 13, v120
	s_cbranch_execz .LBB36_67
; %bb.64:
	v_dual_mov_b32 v1, 0 :: v_dual_add_nc_u32 v8, 0x250, v13
	v_dual_mov_b32 v2, 0 :: v_dual_add_nc_u32 v7, -1, v120
	v_or_b32_e32 v9, 8, v14
	s_mov_b32 s3, 0
	s_delay_alu instid0(VALU_DEP_2)
	v_dual_mov_b32 v4, v2 :: v_dual_mov_b32 v3, v1
	.p2align	6
.LBB36_65:                              ; =>This Inner Loop Header: Depth=1
	scratch_load_b128 v[15:18], v9, off offset:-8
	ds_load_b128 v[19:22], v8
	v_add_nc_u32_e32 v7, 1, v7
	v_add_nc_u32_e32 v8, 16, v8
	;; [unrolled: 1-line block ×3, first 2 shown]
	s_delay_alu instid0(VALU_DEP_3) | instskip(SKIP_4) | instid1(VALU_DEP_2)
	v_cmp_lt_u32_e32 vcc_lo, 11, v7
	s_or_b32 s3, vcc_lo, s3
	s_waitcnt vmcnt(0) lgkmcnt(0)
	v_mul_f64 v[10:11], v[21:22], v[17:18]
	v_mul_f64 v[17:18], v[19:20], v[17:18]
	v_fma_f64 v[10:11], v[19:20], v[15:16], -v[10:11]
	s_delay_alu instid0(VALU_DEP_2) | instskip(NEXT) | instid1(VALU_DEP_2)
	v_fma_f64 v[15:16], v[21:22], v[15:16], v[17:18]
	v_add_f64 v[3:4], v[3:4], v[10:11]
	s_delay_alu instid0(VALU_DEP_2)
	v_add_f64 v[1:2], v[1:2], v[15:16]
	s_and_not1_b32 exec_lo, exec_lo, s3
	s_cbranch_execnz .LBB36_65
; %bb.66:
	s_or_b32 exec_lo, exec_lo, s3
	v_mov_b32_e32 v7, 0
	ds_load_b128 v[7:10], v7 offset:208
	s_waitcnt lgkmcnt(0)
	v_mul_f64 v[11:12], v[1:2], v[9:10]
	v_mul_f64 v[15:16], v[3:4], v[9:10]
	s_delay_alu instid0(VALU_DEP_2) | instskip(NEXT) | instid1(VALU_DEP_2)
	v_fma_f64 v[9:10], v[3:4], v[7:8], -v[11:12]
	v_fma_f64 v[11:12], v[1:2], v[7:8], v[15:16]
	scratch_store_b128 off, v[9:12], off offset:208
.LBB36_67:
	s_or_b32 exec_lo, exec_lo, s2
	s_waitcnt_vscnt null, 0x0
	s_barrier
	buffer_gl0_inv
	scratch_load_b128 v[1:4], v140, off
	s_mov_b32 s2, exec_lo
	s_waitcnt vmcnt(0)
	ds_store_b128 v5, v[1:4]
	s_waitcnt lgkmcnt(0)
	s_barrier
	buffer_gl0_inv
	v_cmpx_gt_u32_e32 14, v120
	s_cbranch_execz .LBB36_71
; %bb.68:
	v_dual_mov_b32 v1, 0 :: v_dual_add_nc_u32 v8, 0x250, v13
	v_dual_mov_b32 v2, 0 :: v_dual_add_nc_u32 v7, -1, v120
	v_or_b32_e32 v9, 8, v14
	s_mov_b32 s3, 0
	s_delay_alu instid0(VALU_DEP_2)
	v_dual_mov_b32 v4, v2 :: v_dual_mov_b32 v3, v1
	.p2align	6
.LBB36_69:                              ; =>This Inner Loop Header: Depth=1
	scratch_load_b128 v[15:18], v9, off offset:-8
	ds_load_b128 v[19:22], v8
	v_add_nc_u32_e32 v7, 1, v7
	v_add_nc_u32_e32 v8, 16, v8
	;; [unrolled: 1-line block ×3, first 2 shown]
	s_delay_alu instid0(VALU_DEP_3) | instskip(SKIP_4) | instid1(VALU_DEP_2)
	v_cmp_lt_u32_e32 vcc_lo, 12, v7
	s_or_b32 s3, vcc_lo, s3
	s_waitcnt vmcnt(0) lgkmcnt(0)
	v_mul_f64 v[10:11], v[21:22], v[17:18]
	v_mul_f64 v[17:18], v[19:20], v[17:18]
	v_fma_f64 v[10:11], v[19:20], v[15:16], -v[10:11]
	s_delay_alu instid0(VALU_DEP_2) | instskip(NEXT) | instid1(VALU_DEP_2)
	v_fma_f64 v[15:16], v[21:22], v[15:16], v[17:18]
	v_add_f64 v[3:4], v[3:4], v[10:11]
	s_delay_alu instid0(VALU_DEP_2)
	v_add_f64 v[1:2], v[1:2], v[15:16]
	s_and_not1_b32 exec_lo, exec_lo, s3
	s_cbranch_execnz .LBB36_69
; %bb.70:
	s_or_b32 exec_lo, exec_lo, s3
	v_mov_b32_e32 v7, 0
	ds_load_b128 v[7:10], v7 offset:224
	s_waitcnt lgkmcnt(0)
	v_mul_f64 v[11:12], v[1:2], v[9:10]
	v_mul_f64 v[15:16], v[3:4], v[9:10]
	s_delay_alu instid0(VALU_DEP_2) | instskip(NEXT) | instid1(VALU_DEP_2)
	v_fma_f64 v[9:10], v[3:4], v[7:8], -v[11:12]
	v_fma_f64 v[11:12], v[1:2], v[7:8], v[15:16]
	scratch_store_b128 off, v[9:12], off offset:224
.LBB36_71:
	s_or_b32 exec_lo, exec_lo, s2
	s_waitcnt_vscnt null, 0x0
	s_barrier
	buffer_gl0_inv
	scratch_load_b128 v[1:4], v138, off
	s_mov_b32 s2, exec_lo
	s_waitcnt vmcnt(0)
	ds_store_b128 v5, v[1:4]
	s_waitcnt lgkmcnt(0)
	s_barrier
	buffer_gl0_inv
	v_cmpx_gt_u32_e32 15, v120
	s_cbranch_execz .LBB36_75
; %bb.72:
	v_dual_mov_b32 v1, 0 :: v_dual_add_nc_u32 v8, 0x250, v13
	v_dual_mov_b32 v2, 0 :: v_dual_add_nc_u32 v7, -1, v120
	v_or_b32_e32 v9, 8, v14
	s_mov_b32 s3, 0
	s_delay_alu instid0(VALU_DEP_2)
	v_dual_mov_b32 v4, v2 :: v_dual_mov_b32 v3, v1
	.p2align	6
.LBB36_73:                              ; =>This Inner Loop Header: Depth=1
	scratch_load_b128 v[15:18], v9, off offset:-8
	ds_load_b128 v[19:22], v8
	v_add_nc_u32_e32 v7, 1, v7
	v_add_nc_u32_e32 v8, 16, v8
	;; [unrolled: 1-line block ×3, first 2 shown]
	s_delay_alu instid0(VALU_DEP_3) | instskip(SKIP_4) | instid1(VALU_DEP_2)
	v_cmp_lt_u32_e32 vcc_lo, 13, v7
	s_or_b32 s3, vcc_lo, s3
	s_waitcnt vmcnt(0) lgkmcnt(0)
	v_mul_f64 v[10:11], v[21:22], v[17:18]
	v_mul_f64 v[17:18], v[19:20], v[17:18]
	v_fma_f64 v[10:11], v[19:20], v[15:16], -v[10:11]
	s_delay_alu instid0(VALU_DEP_2) | instskip(NEXT) | instid1(VALU_DEP_2)
	v_fma_f64 v[15:16], v[21:22], v[15:16], v[17:18]
	v_add_f64 v[3:4], v[3:4], v[10:11]
	s_delay_alu instid0(VALU_DEP_2)
	v_add_f64 v[1:2], v[1:2], v[15:16]
	s_and_not1_b32 exec_lo, exec_lo, s3
	s_cbranch_execnz .LBB36_73
; %bb.74:
	s_or_b32 exec_lo, exec_lo, s3
	v_mov_b32_e32 v7, 0
	ds_load_b128 v[7:10], v7 offset:240
	s_waitcnt lgkmcnt(0)
	v_mul_f64 v[11:12], v[1:2], v[9:10]
	v_mul_f64 v[15:16], v[3:4], v[9:10]
	s_delay_alu instid0(VALU_DEP_2) | instskip(NEXT) | instid1(VALU_DEP_2)
	v_fma_f64 v[9:10], v[3:4], v[7:8], -v[11:12]
	v_fma_f64 v[11:12], v[1:2], v[7:8], v[15:16]
	scratch_store_b128 off, v[9:12], off offset:240
.LBB36_75:
	s_or_b32 exec_lo, exec_lo, s2
	s_waitcnt_vscnt null, 0x0
	s_barrier
	buffer_gl0_inv
	scratch_load_b128 v[1:4], v136, off
	s_mov_b32 s2, exec_lo
	s_waitcnt vmcnt(0)
	ds_store_b128 v5, v[1:4]
	s_waitcnt lgkmcnt(0)
	s_barrier
	buffer_gl0_inv
	v_cmpx_gt_u32_e32 16, v120
	s_cbranch_execz .LBB36_79
; %bb.76:
	v_dual_mov_b32 v1, 0 :: v_dual_add_nc_u32 v8, 0x250, v13
	v_dual_mov_b32 v2, 0 :: v_dual_add_nc_u32 v7, -1, v120
	v_or_b32_e32 v9, 8, v14
	s_mov_b32 s3, 0
	s_delay_alu instid0(VALU_DEP_2)
	v_dual_mov_b32 v4, v2 :: v_dual_mov_b32 v3, v1
	.p2align	6
.LBB36_77:                              ; =>This Inner Loop Header: Depth=1
	scratch_load_b128 v[15:18], v9, off offset:-8
	ds_load_b128 v[19:22], v8
	v_add_nc_u32_e32 v7, 1, v7
	v_add_nc_u32_e32 v8, 16, v8
	;; [unrolled: 1-line block ×3, first 2 shown]
	s_delay_alu instid0(VALU_DEP_3) | instskip(SKIP_4) | instid1(VALU_DEP_2)
	v_cmp_lt_u32_e32 vcc_lo, 14, v7
	s_or_b32 s3, vcc_lo, s3
	s_waitcnt vmcnt(0) lgkmcnt(0)
	v_mul_f64 v[10:11], v[21:22], v[17:18]
	v_mul_f64 v[17:18], v[19:20], v[17:18]
	v_fma_f64 v[10:11], v[19:20], v[15:16], -v[10:11]
	s_delay_alu instid0(VALU_DEP_2) | instskip(NEXT) | instid1(VALU_DEP_2)
	v_fma_f64 v[15:16], v[21:22], v[15:16], v[17:18]
	v_add_f64 v[3:4], v[3:4], v[10:11]
	s_delay_alu instid0(VALU_DEP_2)
	v_add_f64 v[1:2], v[1:2], v[15:16]
	s_and_not1_b32 exec_lo, exec_lo, s3
	s_cbranch_execnz .LBB36_77
; %bb.78:
	s_or_b32 exec_lo, exec_lo, s3
	v_mov_b32_e32 v7, 0
	ds_load_b128 v[7:10], v7 offset:256
	s_waitcnt lgkmcnt(0)
	v_mul_f64 v[11:12], v[1:2], v[9:10]
	v_mul_f64 v[15:16], v[3:4], v[9:10]
	s_delay_alu instid0(VALU_DEP_2) | instskip(NEXT) | instid1(VALU_DEP_2)
	v_fma_f64 v[9:10], v[3:4], v[7:8], -v[11:12]
	v_fma_f64 v[11:12], v[1:2], v[7:8], v[15:16]
	scratch_store_b128 off, v[9:12], off offset:256
.LBB36_79:
	s_or_b32 exec_lo, exec_lo, s2
	s_waitcnt_vscnt null, 0x0
	s_barrier
	buffer_gl0_inv
	scratch_load_b128 v[1:4], v137, off
	s_mov_b32 s2, exec_lo
	s_waitcnt vmcnt(0)
	ds_store_b128 v5, v[1:4]
	s_waitcnt lgkmcnt(0)
	s_barrier
	buffer_gl0_inv
	v_cmpx_gt_u32_e32 17, v120
	s_cbranch_execz .LBB36_83
; %bb.80:
	v_dual_mov_b32 v1, 0 :: v_dual_add_nc_u32 v8, 0x250, v13
	v_dual_mov_b32 v2, 0 :: v_dual_add_nc_u32 v7, -1, v120
	v_or_b32_e32 v9, 8, v14
	s_mov_b32 s3, 0
	s_delay_alu instid0(VALU_DEP_2)
	v_dual_mov_b32 v4, v2 :: v_dual_mov_b32 v3, v1
	.p2align	6
.LBB36_81:                              ; =>This Inner Loop Header: Depth=1
	scratch_load_b128 v[15:18], v9, off offset:-8
	ds_load_b128 v[19:22], v8
	v_add_nc_u32_e32 v7, 1, v7
	v_add_nc_u32_e32 v8, 16, v8
	;; [unrolled: 1-line block ×3, first 2 shown]
	s_delay_alu instid0(VALU_DEP_3) | instskip(SKIP_4) | instid1(VALU_DEP_2)
	v_cmp_lt_u32_e32 vcc_lo, 15, v7
	s_or_b32 s3, vcc_lo, s3
	s_waitcnt vmcnt(0) lgkmcnt(0)
	v_mul_f64 v[10:11], v[21:22], v[17:18]
	v_mul_f64 v[17:18], v[19:20], v[17:18]
	v_fma_f64 v[10:11], v[19:20], v[15:16], -v[10:11]
	s_delay_alu instid0(VALU_DEP_2) | instskip(NEXT) | instid1(VALU_DEP_2)
	v_fma_f64 v[15:16], v[21:22], v[15:16], v[17:18]
	v_add_f64 v[3:4], v[3:4], v[10:11]
	s_delay_alu instid0(VALU_DEP_2)
	v_add_f64 v[1:2], v[1:2], v[15:16]
	s_and_not1_b32 exec_lo, exec_lo, s3
	s_cbranch_execnz .LBB36_81
; %bb.82:
	s_or_b32 exec_lo, exec_lo, s3
	v_mov_b32_e32 v7, 0
	ds_load_b128 v[7:10], v7 offset:272
	s_waitcnt lgkmcnt(0)
	v_mul_f64 v[11:12], v[1:2], v[9:10]
	v_mul_f64 v[15:16], v[3:4], v[9:10]
	s_delay_alu instid0(VALU_DEP_2) | instskip(NEXT) | instid1(VALU_DEP_2)
	v_fma_f64 v[9:10], v[3:4], v[7:8], -v[11:12]
	v_fma_f64 v[11:12], v[1:2], v[7:8], v[15:16]
	scratch_store_b128 off, v[9:12], off offset:272
.LBB36_83:
	s_or_b32 exec_lo, exec_lo, s2
	s_waitcnt_vscnt null, 0x0
	s_barrier
	buffer_gl0_inv
	scratch_load_b128 v[1:4], v135, off
	s_mov_b32 s2, exec_lo
	s_waitcnt vmcnt(0)
	ds_store_b128 v5, v[1:4]
	s_waitcnt lgkmcnt(0)
	s_barrier
	buffer_gl0_inv
	v_cmpx_gt_u32_e32 18, v120
	s_cbranch_execz .LBB36_87
; %bb.84:
	v_dual_mov_b32 v1, 0 :: v_dual_add_nc_u32 v8, 0x250, v13
	v_dual_mov_b32 v2, 0 :: v_dual_add_nc_u32 v7, -1, v120
	v_or_b32_e32 v9, 8, v14
	s_mov_b32 s3, 0
	s_delay_alu instid0(VALU_DEP_2)
	v_dual_mov_b32 v4, v2 :: v_dual_mov_b32 v3, v1
	.p2align	6
.LBB36_85:                              ; =>This Inner Loop Header: Depth=1
	scratch_load_b128 v[15:18], v9, off offset:-8
	ds_load_b128 v[19:22], v8
	v_add_nc_u32_e32 v7, 1, v7
	v_add_nc_u32_e32 v8, 16, v8
	;; [unrolled: 1-line block ×3, first 2 shown]
	s_delay_alu instid0(VALU_DEP_3) | instskip(SKIP_4) | instid1(VALU_DEP_2)
	v_cmp_lt_u32_e32 vcc_lo, 16, v7
	s_or_b32 s3, vcc_lo, s3
	s_waitcnt vmcnt(0) lgkmcnt(0)
	v_mul_f64 v[10:11], v[21:22], v[17:18]
	v_mul_f64 v[17:18], v[19:20], v[17:18]
	v_fma_f64 v[10:11], v[19:20], v[15:16], -v[10:11]
	s_delay_alu instid0(VALU_DEP_2) | instskip(NEXT) | instid1(VALU_DEP_2)
	v_fma_f64 v[15:16], v[21:22], v[15:16], v[17:18]
	v_add_f64 v[3:4], v[3:4], v[10:11]
	s_delay_alu instid0(VALU_DEP_2)
	v_add_f64 v[1:2], v[1:2], v[15:16]
	s_and_not1_b32 exec_lo, exec_lo, s3
	s_cbranch_execnz .LBB36_85
; %bb.86:
	s_or_b32 exec_lo, exec_lo, s3
	v_mov_b32_e32 v7, 0
	ds_load_b128 v[7:10], v7 offset:288
	s_waitcnt lgkmcnt(0)
	v_mul_f64 v[11:12], v[1:2], v[9:10]
	v_mul_f64 v[15:16], v[3:4], v[9:10]
	s_delay_alu instid0(VALU_DEP_2) | instskip(NEXT) | instid1(VALU_DEP_2)
	v_fma_f64 v[9:10], v[3:4], v[7:8], -v[11:12]
	v_fma_f64 v[11:12], v[1:2], v[7:8], v[15:16]
	scratch_store_b128 off, v[9:12], off offset:288
.LBB36_87:
	s_or_b32 exec_lo, exec_lo, s2
	s_waitcnt_vscnt null, 0x0
	s_barrier
	buffer_gl0_inv
	scratch_load_b128 v[1:4], v133, off
	s_mov_b32 s2, exec_lo
	s_waitcnt vmcnt(0)
	ds_store_b128 v5, v[1:4]
	s_waitcnt lgkmcnt(0)
	s_barrier
	buffer_gl0_inv
	v_cmpx_gt_u32_e32 19, v120
	s_cbranch_execz .LBB36_91
; %bb.88:
	v_dual_mov_b32 v1, 0 :: v_dual_add_nc_u32 v8, 0x250, v13
	v_dual_mov_b32 v2, 0 :: v_dual_add_nc_u32 v7, -1, v120
	v_or_b32_e32 v9, 8, v14
	s_mov_b32 s3, 0
	s_delay_alu instid0(VALU_DEP_2)
	v_dual_mov_b32 v4, v2 :: v_dual_mov_b32 v3, v1
	.p2align	6
.LBB36_89:                              ; =>This Inner Loop Header: Depth=1
	scratch_load_b128 v[15:18], v9, off offset:-8
	ds_load_b128 v[19:22], v8
	v_add_nc_u32_e32 v7, 1, v7
	v_add_nc_u32_e32 v8, 16, v8
	;; [unrolled: 1-line block ×3, first 2 shown]
	s_delay_alu instid0(VALU_DEP_3) | instskip(SKIP_4) | instid1(VALU_DEP_2)
	v_cmp_lt_u32_e32 vcc_lo, 17, v7
	s_or_b32 s3, vcc_lo, s3
	s_waitcnt vmcnt(0) lgkmcnt(0)
	v_mul_f64 v[10:11], v[21:22], v[17:18]
	v_mul_f64 v[17:18], v[19:20], v[17:18]
	v_fma_f64 v[10:11], v[19:20], v[15:16], -v[10:11]
	s_delay_alu instid0(VALU_DEP_2) | instskip(NEXT) | instid1(VALU_DEP_2)
	v_fma_f64 v[15:16], v[21:22], v[15:16], v[17:18]
	v_add_f64 v[3:4], v[3:4], v[10:11]
	s_delay_alu instid0(VALU_DEP_2)
	v_add_f64 v[1:2], v[1:2], v[15:16]
	s_and_not1_b32 exec_lo, exec_lo, s3
	s_cbranch_execnz .LBB36_89
; %bb.90:
	s_or_b32 exec_lo, exec_lo, s3
	v_mov_b32_e32 v7, 0
	ds_load_b128 v[7:10], v7 offset:304
	s_waitcnt lgkmcnt(0)
	v_mul_f64 v[11:12], v[1:2], v[9:10]
	v_mul_f64 v[15:16], v[3:4], v[9:10]
	s_delay_alu instid0(VALU_DEP_2) | instskip(NEXT) | instid1(VALU_DEP_2)
	v_fma_f64 v[9:10], v[3:4], v[7:8], -v[11:12]
	v_fma_f64 v[11:12], v[1:2], v[7:8], v[15:16]
	scratch_store_b128 off, v[9:12], off offset:304
.LBB36_91:
	s_or_b32 exec_lo, exec_lo, s2
	s_waitcnt_vscnt null, 0x0
	s_barrier
	buffer_gl0_inv
	scratch_load_b128 v[1:4], v131, off
	s_mov_b32 s2, exec_lo
	s_waitcnt vmcnt(0)
	ds_store_b128 v5, v[1:4]
	s_waitcnt lgkmcnt(0)
	s_barrier
	buffer_gl0_inv
	v_cmpx_gt_u32_e32 20, v120
	s_cbranch_execz .LBB36_95
; %bb.92:
	v_dual_mov_b32 v1, 0 :: v_dual_add_nc_u32 v8, 0x250, v13
	v_dual_mov_b32 v2, 0 :: v_dual_add_nc_u32 v7, -1, v120
	v_or_b32_e32 v9, 8, v14
	s_mov_b32 s3, 0
	s_delay_alu instid0(VALU_DEP_2)
	v_dual_mov_b32 v4, v2 :: v_dual_mov_b32 v3, v1
	.p2align	6
.LBB36_93:                              ; =>This Inner Loop Header: Depth=1
	scratch_load_b128 v[15:18], v9, off offset:-8
	ds_load_b128 v[19:22], v8
	v_add_nc_u32_e32 v7, 1, v7
	v_add_nc_u32_e32 v8, 16, v8
	;; [unrolled: 1-line block ×3, first 2 shown]
	s_delay_alu instid0(VALU_DEP_3) | instskip(SKIP_4) | instid1(VALU_DEP_2)
	v_cmp_lt_u32_e32 vcc_lo, 18, v7
	s_or_b32 s3, vcc_lo, s3
	s_waitcnt vmcnt(0) lgkmcnt(0)
	v_mul_f64 v[10:11], v[21:22], v[17:18]
	v_mul_f64 v[17:18], v[19:20], v[17:18]
	v_fma_f64 v[10:11], v[19:20], v[15:16], -v[10:11]
	s_delay_alu instid0(VALU_DEP_2) | instskip(NEXT) | instid1(VALU_DEP_2)
	v_fma_f64 v[15:16], v[21:22], v[15:16], v[17:18]
	v_add_f64 v[3:4], v[3:4], v[10:11]
	s_delay_alu instid0(VALU_DEP_2)
	v_add_f64 v[1:2], v[1:2], v[15:16]
	s_and_not1_b32 exec_lo, exec_lo, s3
	s_cbranch_execnz .LBB36_93
; %bb.94:
	s_or_b32 exec_lo, exec_lo, s3
	v_mov_b32_e32 v7, 0
	ds_load_b128 v[7:10], v7 offset:320
	s_waitcnt lgkmcnt(0)
	v_mul_f64 v[11:12], v[1:2], v[9:10]
	v_mul_f64 v[15:16], v[3:4], v[9:10]
	s_delay_alu instid0(VALU_DEP_2) | instskip(NEXT) | instid1(VALU_DEP_2)
	v_fma_f64 v[9:10], v[3:4], v[7:8], -v[11:12]
	v_fma_f64 v[11:12], v[1:2], v[7:8], v[15:16]
	scratch_store_b128 off, v[9:12], off offset:320
.LBB36_95:
	s_or_b32 exec_lo, exec_lo, s2
	s_waitcnt_vscnt null, 0x0
	s_barrier
	buffer_gl0_inv
	scratch_load_b128 v[1:4], v130, off
	s_mov_b32 s2, exec_lo
	s_waitcnt vmcnt(0)
	ds_store_b128 v5, v[1:4]
	s_waitcnt lgkmcnt(0)
	s_barrier
	buffer_gl0_inv
	v_cmpx_gt_u32_e32 21, v120
	s_cbranch_execz .LBB36_99
; %bb.96:
	v_dual_mov_b32 v1, 0 :: v_dual_add_nc_u32 v8, 0x250, v13
	v_dual_mov_b32 v2, 0 :: v_dual_add_nc_u32 v7, -1, v120
	v_or_b32_e32 v9, 8, v14
	s_mov_b32 s3, 0
	s_delay_alu instid0(VALU_DEP_2)
	v_dual_mov_b32 v4, v2 :: v_dual_mov_b32 v3, v1
	.p2align	6
.LBB36_97:                              ; =>This Inner Loop Header: Depth=1
	scratch_load_b128 v[15:18], v9, off offset:-8
	ds_load_b128 v[19:22], v8
	v_add_nc_u32_e32 v7, 1, v7
	v_add_nc_u32_e32 v8, 16, v8
	;; [unrolled: 1-line block ×3, first 2 shown]
	s_delay_alu instid0(VALU_DEP_3) | instskip(SKIP_4) | instid1(VALU_DEP_2)
	v_cmp_lt_u32_e32 vcc_lo, 19, v7
	s_or_b32 s3, vcc_lo, s3
	s_waitcnt vmcnt(0) lgkmcnt(0)
	v_mul_f64 v[10:11], v[21:22], v[17:18]
	v_mul_f64 v[17:18], v[19:20], v[17:18]
	v_fma_f64 v[10:11], v[19:20], v[15:16], -v[10:11]
	s_delay_alu instid0(VALU_DEP_2) | instskip(NEXT) | instid1(VALU_DEP_2)
	v_fma_f64 v[15:16], v[21:22], v[15:16], v[17:18]
	v_add_f64 v[3:4], v[3:4], v[10:11]
	s_delay_alu instid0(VALU_DEP_2)
	v_add_f64 v[1:2], v[1:2], v[15:16]
	s_and_not1_b32 exec_lo, exec_lo, s3
	s_cbranch_execnz .LBB36_97
; %bb.98:
	s_or_b32 exec_lo, exec_lo, s3
	v_mov_b32_e32 v7, 0
	ds_load_b128 v[7:10], v7 offset:336
	s_waitcnt lgkmcnt(0)
	v_mul_f64 v[11:12], v[1:2], v[9:10]
	v_mul_f64 v[15:16], v[3:4], v[9:10]
	s_delay_alu instid0(VALU_DEP_2) | instskip(NEXT) | instid1(VALU_DEP_2)
	v_fma_f64 v[9:10], v[3:4], v[7:8], -v[11:12]
	v_fma_f64 v[11:12], v[1:2], v[7:8], v[15:16]
	scratch_store_b128 off, v[9:12], off offset:336
.LBB36_99:
	s_or_b32 exec_lo, exec_lo, s2
	s_waitcnt_vscnt null, 0x0
	s_barrier
	buffer_gl0_inv
	scratch_load_b128 v[1:4], v129, off
	s_mov_b32 s2, exec_lo
	s_waitcnt vmcnt(0)
	ds_store_b128 v5, v[1:4]
	s_waitcnt lgkmcnt(0)
	s_barrier
	buffer_gl0_inv
	v_cmpx_gt_u32_e32 22, v120
	s_cbranch_execz .LBB36_103
; %bb.100:
	v_dual_mov_b32 v1, 0 :: v_dual_add_nc_u32 v8, 0x250, v13
	v_dual_mov_b32 v2, 0 :: v_dual_add_nc_u32 v7, -1, v120
	v_or_b32_e32 v9, 8, v14
	s_mov_b32 s3, 0
	s_delay_alu instid0(VALU_DEP_2)
	v_dual_mov_b32 v4, v2 :: v_dual_mov_b32 v3, v1
	.p2align	6
.LBB36_101:                             ; =>This Inner Loop Header: Depth=1
	scratch_load_b128 v[15:18], v9, off offset:-8
	ds_load_b128 v[19:22], v8
	v_add_nc_u32_e32 v7, 1, v7
	v_add_nc_u32_e32 v8, 16, v8
	;; [unrolled: 1-line block ×3, first 2 shown]
	s_delay_alu instid0(VALU_DEP_3) | instskip(SKIP_4) | instid1(VALU_DEP_2)
	v_cmp_lt_u32_e32 vcc_lo, 20, v7
	s_or_b32 s3, vcc_lo, s3
	s_waitcnt vmcnt(0) lgkmcnt(0)
	v_mul_f64 v[10:11], v[21:22], v[17:18]
	v_mul_f64 v[17:18], v[19:20], v[17:18]
	v_fma_f64 v[10:11], v[19:20], v[15:16], -v[10:11]
	s_delay_alu instid0(VALU_DEP_2) | instskip(NEXT) | instid1(VALU_DEP_2)
	v_fma_f64 v[15:16], v[21:22], v[15:16], v[17:18]
	v_add_f64 v[3:4], v[3:4], v[10:11]
	s_delay_alu instid0(VALU_DEP_2)
	v_add_f64 v[1:2], v[1:2], v[15:16]
	s_and_not1_b32 exec_lo, exec_lo, s3
	s_cbranch_execnz .LBB36_101
; %bb.102:
	s_or_b32 exec_lo, exec_lo, s3
	v_mov_b32_e32 v7, 0
	ds_load_b128 v[7:10], v7 offset:352
	s_waitcnt lgkmcnt(0)
	v_mul_f64 v[11:12], v[1:2], v[9:10]
	v_mul_f64 v[15:16], v[3:4], v[9:10]
	s_delay_alu instid0(VALU_DEP_2) | instskip(NEXT) | instid1(VALU_DEP_2)
	v_fma_f64 v[9:10], v[3:4], v[7:8], -v[11:12]
	v_fma_f64 v[11:12], v[1:2], v[7:8], v[15:16]
	scratch_store_b128 off, v[9:12], off offset:352
.LBB36_103:
	s_or_b32 exec_lo, exec_lo, s2
	s_waitcnt_vscnt null, 0x0
	s_barrier
	buffer_gl0_inv
	scratch_load_b128 v[1:4], v127, off
	s_mov_b32 s2, exec_lo
	s_waitcnt vmcnt(0)
	ds_store_b128 v5, v[1:4]
	s_waitcnt lgkmcnt(0)
	s_barrier
	buffer_gl0_inv
	v_cmpx_gt_u32_e32 23, v120
	s_cbranch_execz .LBB36_107
; %bb.104:
	v_dual_mov_b32 v1, 0 :: v_dual_add_nc_u32 v8, 0x250, v13
	v_dual_mov_b32 v2, 0 :: v_dual_add_nc_u32 v7, -1, v120
	v_or_b32_e32 v9, 8, v14
	s_mov_b32 s3, 0
	s_delay_alu instid0(VALU_DEP_2)
	v_dual_mov_b32 v4, v2 :: v_dual_mov_b32 v3, v1
	.p2align	6
.LBB36_105:                             ; =>This Inner Loop Header: Depth=1
	scratch_load_b128 v[15:18], v9, off offset:-8
	ds_load_b128 v[19:22], v8
	v_add_nc_u32_e32 v7, 1, v7
	v_add_nc_u32_e32 v8, 16, v8
	;; [unrolled: 1-line block ×3, first 2 shown]
	s_delay_alu instid0(VALU_DEP_3) | instskip(SKIP_4) | instid1(VALU_DEP_2)
	v_cmp_lt_u32_e32 vcc_lo, 21, v7
	s_or_b32 s3, vcc_lo, s3
	s_waitcnt vmcnt(0) lgkmcnt(0)
	v_mul_f64 v[10:11], v[21:22], v[17:18]
	v_mul_f64 v[17:18], v[19:20], v[17:18]
	v_fma_f64 v[10:11], v[19:20], v[15:16], -v[10:11]
	s_delay_alu instid0(VALU_DEP_2) | instskip(NEXT) | instid1(VALU_DEP_2)
	v_fma_f64 v[15:16], v[21:22], v[15:16], v[17:18]
	v_add_f64 v[3:4], v[3:4], v[10:11]
	s_delay_alu instid0(VALU_DEP_2)
	v_add_f64 v[1:2], v[1:2], v[15:16]
	s_and_not1_b32 exec_lo, exec_lo, s3
	s_cbranch_execnz .LBB36_105
; %bb.106:
	s_or_b32 exec_lo, exec_lo, s3
	v_mov_b32_e32 v7, 0
	ds_load_b128 v[7:10], v7 offset:368
	s_waitcnt lgkmcnt(0)
	v_mul_f64 v[11:12], v[1:2], v[9:10]
	v_mul_f64 v[15:16], v[3:4], v[9:10]
	s_delay_alu instid0(VALU_DEP_2) | instskip(NEXT) | instid1(VALU_DEP_2)
	v_fma_f64 v[9:10], v[3:4], v[7:8], -v[11:12]
	v_fma_f64 v[11:12], v[1:2], v[7:8], v[15:16]
	scratch_store_b128 off, v[9:12], off offset:368
.LBB36_107:
	s_or_b32 exec_lo, exec_lo, s2
	s_waitcnt_vscnt null, 0x0
	s_barrier
	buffer_gl0_inv
	scratch_load_b128 v[1:4], v125, off
	s_mov_b32 s2, exec_lo
	s_waitcnt vmcnt(0)
	ds_store_b128 v5, v[1:4]
	s_waitcnt lgkmcnt(0)
	s_barrier
	buffer_gl0_inv
	v_cmpx_gt_u32_e32 24, v120
	s_cbranch_execz .LBB36_111
; %bb.108:
	v_dual_mov_b32 v1, 0 :: v_dual_add_nc_u32 v8, 0x250, v13
	v_dual_mov_b32 v2, 0 :: v_dual_add_nc_u32 v7, -1, v120
	v_or_b32_e32 v9, 8, v14
	s_mov_b32 s3, 0
	s_delay_alu instid0(VALU_DEP_2)
	v_dual_mov_b32 v4, v2 :: v_dual_mov_b32 v3, v1
	.p2align	6
.LBB36_109:                             ; =>This Inner Loop Header: Depth=1
	scratch_load_b128 v[15:18], v9, off offset:-8
	ds_load_b128 v[19:22], v8
	v_add_nc_u32_e32 v7, 1, v7
	v_add_nc_u32_e32 v8, 16, v8
	;; [unrolled: 1-line block ×3, first 2 shown]
	s_delay_alu instid0(VALU_DEP_3) | instskip(SKIP_4) | instid1(VALU_DEP_2)
	v_cmp_lt_u32_e32 vcc_lo, 22, v7
	s_or_b32 s3, vcc_lo, s3
	s_waitcnt vmcnt(0) lgkmcnt(0)
	v_mul_f64 v[10:11], v[21:22], v[17:18]
	v_mul_f64 v[17:18], v[19:20], v[17:18]
	v_fma_f64 v[10:11], v[19:20], v[15:16], -v[10:11]
	s_delay_alu instid0(VALU_DEP_2) | instskip(NEXT) | instid1(VALU_DEP_2)
	v_fma_f64 v[15:16], v[21:22], v[15:16], v[17:18]
	v_add_f64 v[3:4], v[3:4], v[10:11]
	s_delay_alu instid0(VALU_DEP_2)
	v_add_f64 v[1:2], v[1:2], v[15:16]
	s_and_not1_b32 exec_lo, exec_lo, s3
	s_cbranch_execnz .LBB36_109
; %bb.110:
	s_or_b32 exec_lo, exec_lo, s3
	v_mov_b32_e32 v7, 0
	ds_load_b128 v[7:10], v7 offset:384
	s_waitcnt lgkmcnt(0)
	v_mul_f64 v[11:12], v[1:2], v[9:10]
	v_mul_f64 v[15:16], v[3:4], v[9:10]
	s_delay_alu instid0(VALU_DEP_2) | instskip(NEXT) | instid1(VALU_DEP_2)
	v_fma_f64 v[9:10], v[3:4], v[7:8], -v[11:12]
	v_fma_f64 v[11:12], v[1:2], v[7:8], v[15:16]
	scratch_store_b128 off, v[9:12], off offset:384
.LBB36_111:
	s_or_b32 exec_lo, exec_lo, s2
	s_waitcnt_vscnt null, 0x0
	s_barrier
	buffer_gl0_inv
	scratch_load_b128 v[1:4], v156, off
	s_mov_b32 s2, exec_lo
	s_waitcnt vmcnt(0)
	ds_store_b128 v5, v[1:4]
	s_waitcnt lgkmcnt(0)
	s_barrier
	buffer_gl0_inv
	v_cmpx_gt_u32_e32 25, v120
	s_cbranch_execz .LBB36_115
; %bb.112:
	v_dual_mov_b32 v1, 0 :: v_dual_add_nc_u32 v8, 0x250, v13
	v_dual_mov_b32 v2, 0 :: v_dual_add_nc_u32 v7, -1, v120
	v_or_b32_e32 v9, 8, v14
	s_mov_b32 s3, 0
	s_delay_alu instid0(VALU_DEP_2)
	v_dual_mov_b32 v4, v2 :: v_dual_mov_b32 v3, v1
	.p2align	6
.LBB36_113:                             ; =>This Inner Loop Header: Depth=1
	scratch_load_b128 v[15:18], v9, off offset:-8
	ds_load_b128 v[19:22], v8
	v_add_nc_u32_e32 v7, 1, v7
	v_add_nc_u32_e32 v8, 16, v8
	;; [unrolled: 1-line block ×3, first 2 shown]
	s_delay_alu instid0(VALU_DEP_3) | instskip(SKIP_4) | instid1(VALU_DEP_2)
	v_cmp_lt_u32_e32 vcc_lo, 23, v7
	s_or_b32 s3, vcc_lo, s3
	s_waitcnt vmcnt(0) lgkmcnt(0)
	v_mul_f64 v[10:11], v[21:22], v[17:18]
	v_mul_f64 v[17:18], v[19:20], v[17:18]
	v_fma_f64 v[10:11], v[19:20], v[15:16], -v[10:11]
	s_delay_alu instid0(VALU_DEP_2) | instskip(NEXT) | instid1(VALU_DEP_2)
	v_fma_f64 v[15:16], v[21:22], v[15:16], v[17:18]
	v_add_f64 v[3:4], v[3:4], v[10:11]
	s_delay_alu instid0(VALU_DEP_2)
	v_add_f64 v[1:2], v[1:2], v[15:16]
	s_and_not1_b32 exec_lo, exec_lo, s3
	s_cbranch_execnz .LBB36_113
; %bb.114:
	s_or_b32 exec_lo, exec_lo, s3
	v_mov_b32_e32 v7, 0
	ds_load_b128 v[7:10], v7 offset:400
	s_waitcnt lgkmcnt(0)
	v_mul_f64 v[11:12], v[1:2], v[9:10]
	v_mul_f64 v[15:16], v[3:4], v[9:10]
	s_delay_alu instid0(VALU_DEP_2) | instskip(NEXT) | instid1(VALU_DEP_2)
	v_fma_f64 v[9:10], v[3:4], v[7:8], -v[11:12]
	v_fma_f64 v[11:12], v[1:2], v[7:8], v[15:16]
	scratch_store_b128 off, v[9:12], off offset:400
.LBB36_115:
	s_or_b32 exec_lo, exec_lo, s2
	s_waitcnt_vscnt null, 0x0
	s_barrier
	buffer_gl0_inv
	scratch_load_b128 v[1:4], v155, off
	s_mov_b32 s2, exec_lo
	s_waitcnt vmcnt(0)
	ds_store_b128 v5, v[1:4]
	s_waitcnt lgkmcnt(0)
	s_barrier
	buffer_gl0_inv
	v_cmpx_gt_u32_e32 26, v120
	s_cbranch_execz .LBB36_119
; %bb.116:
	v_dual_mov_b32 v1, 0 :: v_dual_add_nc_u32 v8, 0x250, v13
	v_dual_mov_b32 v2, 0 :: v_dual_add_nc_u32 v7, -1, v120
	v_or_b32_e32 v9, 8, v14
	s_mov_b32 s3, 0
	s_delay_alu instid0(VALU_DEP_2)
	v_dual_mov_b32 v4, v2 :: v_dual_mov_b32 v3, v1
	.p2align	6
.LBB36_117:                             ; =>This Inner Loop Header: Depth=1
	scratch_load_b128 v[15:18], v9, off offset:-8
	ds_load_b128 v[19:22], v8
	v_add_nc_u32_e32 v7, 1, v7
	v_add_nc_u32_e32 v8, 16, v8
	;; [unrolled: 1-line block ×3, first 2 shown]
	s_delay_alu instid0(VALU_DEP_3) | instskip(SKIP_4) | instid1(VALU_DEP_2)
	v_cmp_lt_u32_e32 vcc_lo, 24, v7
	s_or_b32 s3, vcc_lo, s3
	s_waitcnt vmcnt(0) lgkmcnt(0)
	v_mul_f64 v[10:11], v[21:22], v[17:18]
	v_mul_f64 v[17:18], v[19:20], v[17:18]
	v_fma_f64 v[10:11], v[19:20], v[15:16], -v[10:11]
	s_delay_alu instid0(VALU_DEP_2) | instskip(NEXT) | instid1(VALU_DEP_2)
	v_fma_f64 v[15:16], v[21:22], v[15:16], v[17:18]
	v_add_f64 v[3:4], v[3:4], v[10:11]
	s_delay_alu instid0(VALU_DEP_2)
	v_add_f64 v[1:2], v[1:2], v[15:16]
	s_and_not1_b32 exec_lo, exec_lo, s3
	s_cbranch_execnz .LBB36_117
; %bb.118:
	s_or_b32 exec_lo, exec_lo, s3
	v_mov_b32_e32 v7, 0
	ds_load_b128 v[7:10], v7 offset:416
	s_waitcnt lgkmcnt(0)
	v_mul_f64 v[11:12], v[1:2], v[9:10]
	v_mul_f64 v[15:16], v[3:4], v[9:10]
	s_delay_alu instid0(VALU_DEP_2) | instskip(NEXT) | instid1(VALU_DEP_2)
	v_fma_f64 v[9:10], v[3:4], v[7:8], -v[11:12]
	v_fma_f64 v[11:12], v[1:2], v[7:8], v[15:16]
	scratch_store_b128 off, v[9:12], off offset:416
.LBB36_119:
	s_or_b32 exec_lo, exec_lo, s2
	s_waitcnt_vscnt null, 0x0
	s_barrier
	buffer_gl0_inv
	scratch_load_b128 v[1:4], v154, off
	s_mov_b32 s2, exec_lo
	s_waitcnt vmcnt(0)
	ds_store_b128 v5, v[1:4]
	s_waitcnt lgkmcnt(0)
	s_barrier
	buffer_gl0_inv
	v_cmpx_gt_u32_e32 27, v120
	s_cbranch_execz .LBB36_123
; %bb.120:
	v_dual_mov_b32 v1, 0 :: v_dual_add_nc_u32 v8, 0x250, v13
	v_dual_mov_b32 v2, 0 :: v_dual_add_nc_u32 v7, -1, v120
	v_or_b32_e32 v9, 8, v14
	s_mov_b32 s3, 0
	s_delay_alu instid0(VALU_DEP_2)
	v_dual_mov_b32 v4, v2 :: v_dual_mov_b32 v3, v1
	.p2align	6
.LBB36_121:                             ; =>This Inner Loop Header: Depth=1
	scratch_load_b128 v[15:18], v9, off offset:-8
	ds_load_b128 v[19:22], v8
	v_add_nc_u32_e32 v7, 1, v7
	v_add_nc_u32_e32 v8, 16, v8
	;; [unrolled: 1-line block ×3, first 2 shown]
	s_delay_alu instid0(VALU_DEP_3) | instskip(SKIP_4) | instid1(VALU_DEP_2)
	v_cmp_lt_u32_e32 vcc_lo, 25, v7
	s_or_b32 s3, vcc_lo, s3
	s_waitcnt vmcnt(0) lgkmcnt(0)
	v_mul_f64 v[10:11], v[21:22], v[17:18]
	v_mul_f64 v[17:18], v[19:20], v[17:18]
	v_fma_f64 v[10:11], v[19:20], v[15:16], -v[10:11]
	s_delay_alu instid0(VALU_DEP_2) | instskip(NEXT) | instid1(VALU_DEP_2)
	v_fma_f64 v[15:16], v[21:22], v[15:16], v[17:18]
	v_add_f64 v[3:4], v[3:4], v[10:11]
	s_delay_alu instid0(VALU_DEP_2)
	v_add_f64 v[1:2], v[1:2], v[15:16]
	s_and_not1_b32 exec_lo, exec_lo, s3
	s_cbranch_execnz .LBB36_121
; %bb.122:
	s_or_b32 exec_lo, exec_lo, s3
	v_mov_b32_e32 v7, 0
	ds_load_b128 v[7:10], v7 offset:432
	s_waitcnt lgkmcnt(0)
	v_mul_f64 v[11:12], v[1:2], v[9:10]
	v_mul_f64 v[15:16], v[3:4], v[9:10]
	s_delay_alu instid0(VALU_DEP_2) | instskip(NEXT) | instid1(VALU_DEP_2)
	v_fma_f64 v[9:10], v[3:4], v[7:8], -v[11:12]
	v_fma_f64 v[11:12], v[1:2], v[7:8], v[15:16]
	scratch_store_b128 off, v[9:12], off offset:432
.LBB36_123:
	s_or_b32 exec_lo, exec_lo, s2
	s_waitcnt_vscnt null, 0x0
	s_barrier
	buffer_gl0_inv
	scratch_load_b128 v[1:4], v153, off
	s_mov_b32 s2, exec_lo
	s_waitcnt vmcnt(0)
	ds_store_b128 v5, v[1:4]
	s_waitcnt lgkmcnt(0)
	s_barrier
	buffer_gl0_inv
	v_cmpx_gt_u32_e32 28, v120
	s_cbranch_execz .LBB36_127
; %bb.124:
	v_dual_mov_b32 v1, 0 :: v_dual_add_nc_u32 v8, 0x250, v13
	v_dual_mov_b32 v2, 0 :: v_dual_add_nc_u32 v7, -1, v120
	v_or_b32_e32 v9, 8, v14
	s_mov_b32 s3, 0
	s_delay_alu instid0(VALU_DEP_2)
	v_dual_mov_b32 v4, v2 :: v_dual_mov_b32 v3, v1
	.p2align	6
.LBB36_125:                             ; =>This Inner Loop Header: Depth=1
	scratch_load_b128 v[15:18], v9, off offset:-8
	ds_load_b128 v[19:22], v8
	v_add_nc_u32_e32 v7, 1, v7
	v_add_nc_u32_e32 v8, 16, v8
	;; [unrolled: 1-line block ×3, first 2 shown]
	s_delay_alu instid0(VALU_DEP_3) | instskip(SKIP_4) | instid1(VALU_DEP_2)
	v_cmp_lt_u32_e32 vcc_lo, 26, v7
	s_or_b32 s3, vcc_lo, s3
	s_waitcnt vmcnt(0) lgkmcnt(0)
	v_mul_f64 v[10:11], v[21:22], v[17:18]
	v_mul_f64 v[17:18], v[19:20], v[17:18]
	v_fma_f64 v[10:11], v[19:20], v[15:16], -v[10:11]
	s_delay_alu instid0(VALU_DEP_2) | instskip(NEXT) | instid1(VALU_DEP_2)
	v_fma_f64 v[15:16], v[21:22], v[15:16], v[17:18]
	v_add_f64 v[3:4], v[3:4], v[10:11]
	s_delay_alu instid0(VALU_DEP_2)
	v_add_f64 v[1:2], v[1:2], v[15:16]
	s_and_not1_b32 exec_lo, exec_lo, s3
	s_cbranch_execnz .LBB36_125
; %bb.126:
	s_or_b32 exec_lo, exec_lo, s3
	v_mov_b32_e32 v7, 0
	ds_load_b128 v[7:10], v7 offset:448
	s_waitcnt lgkmcnt(0)
	v_mul_f64 v[11:12], v[1:2], v[9:10]
	v_mul_f64 v[15:16], v[3:4], v[9:10]
	s_delay_alu instid0(VALU_DEP_2) | instskip(NEXT) | instid1(VALU_DEP_2)
	v_fma_f64 v[9:10], v[3:4], v[7:8], -v[11:12]
	v_fma_f64 v[11:12], v[1:2], v[7:8], v[15:16]
	scratch_store_b128 off, v[9:12], off offset:448
.LBB36_127:
	s_or_b32 exec_lo, exec_lo, s2
	s_waitcnt_vscnt null, 0x0
	s_barrier
	buffer_gl0_inv
	scratch_load_b128 v[1:4], v150, off
	s_mov_b32 s2, exec_lo
	s_waitcnt vmcnt(0)
	ds_store_b128 v5, v[1:4]
	s_waitcnt lgkmcnt(0)
	s_barrier
	buffer_gl0_inv
	v_cmpx_gt_u32_e32 29, v120
	s_cbranch_execz .LBB36_131
; %bb.128:
	v_dual_mov_b32 v1, 0 :: v_dual_add_nc_u32 v8, 0x250, v13
	v_dual_mov_b32 v2, 0 :: v_dual_add_nc_u32 v7, -1, v120
	v_or_b32_e32 v9, 8, v14
	s_mov_b32 s3, 0
	s_delay_alu instid0(VALU_DEP_2)
	v_dual_mov_b32 v4, v2 :: v_dual_mov_b32 v3, v1
	.p2align	6
.LBB36_129:                             ; =>This Inner Loop Header: Depth=1
	scratch_load_b128 v[15:18], v9, off offset:-8
	ds_load_b128 v[19:22], v8
	v_add_nc_u32_e32 v7, 1, v7
	v_add_nc_u32_e32 v8, 16, v8
	;; [unrolled: 1-line block ×3, first 2 shown]
	s_delay_alu instid0(VALU_DEP_3) | instskip(SKIP_4) | instid1(VALU_DEP_2)
	v_cmp_lt_u32_e32 vcc_lo, 27, v7
	s_or_b32 s3, vcc_lo, s3
	s_waitcnt vmcnt(0) lgkmcnt(0)
	v_mul_f64 v[10:11], v[21:22], v[17:18]
	v_mul_f64 v[17:18], v[19:20], v[17:18]
	v_fma_f64 v[10:11], v[19:20], v[15:16], -v[10:11]
	s_delay_alu instid0(VALU_DEP_2) | instskip(NEXT) | instid1(VALU_DEP_2)
	v_fma_f64 v[15:16], v[21:22], v[15:16], v[17:18]
	v_add_f64 v[3:4], v[3:4], v[10:11]
	s_delay_alu instid0(VALU_DEP_2)
	v_add_f64 v[1:2], v[1:2], v[15:16]
	s_and_not1_b32 exec_lo, exec_lo, s3
	s_cbranch_execnz .LBB36_129
; %bb.130:
	s_or_b32 exec_lo, exec_lo, s3
	v_mov_b32_e32 v7, 0
	ds_load_b128 v[7:10], v7 offset:464
	s_waitcnt lgkmcnt(0)
	v_mul_f64 v[11:12], v[1:2], v[9:10]
	v_mul_f64 v[15:16], v[3:4], v[9:10]
	s_delay_alu instid0(VALU_DEP_2) | instskip(NEXT) | instid1(VALU_DEP_2)
	v_fma_f64 v[9:10], v[3:4], v[7:8], -v[11:12]
	v_fma_f64 v[11:12], v[1:2], v[7:8], v[15:16]
	scratch_store_b128 off, v[9:12], off offset:464
.LBB36_131:
	s_or_b32 exec_lo, exec_lo, s2
	s_waitcnt_vscnt null, 0x0
	s_barrier
	buffer_gl0_inv
	scratch_load_b128 v[1:4], v147, off
	s_mov_b32 s2, exec_lo
	s_waitcnt vmcnt(0)
	ds_store_b128 v5, v[1:4]
	s_waitcnt lgkmcnt(0)
	s_barrier
	buffer_gl0_inv
	v_cmpx_gt_u32_e32 30, v120
	s_cbranch_execz .LBB36_135
; %bb.132:
	v_dual_mov_b32 v1, 0 :: v_dual_add_nc_u32 v8, 0x250, v13
	v_dual_mov_b32 v2, 0 :: v_dual_add_nc_u32 v7, -1, v120
	v_or_b32_e32 v9, 8, v14
	s_mov_b32 s3, 0
	s_delay_alu instid0(VALU_DEP_2)
	v_dual_mov_b32 v4, v2 :: v_dual_mov_b32 v3, v1
	.p2align	6
.LBB36_133:                             ; =>This Inner Loop Header: Depth=1
	scratch_load_b128 v[15:18], v9, off offset:-8
	ds_load_b128 v[19:22], v8
	v_add_nc_u32_e32 v7, 1, v7
	v_add_nc_u32_e32 v8, 16, v8
	;; [unrolled: 1-line block ×3, first 2 shown]
	s_delay_alu instid0(VALU_DEP_3) | instskip(SKIP_4) | instid1(VALU_DEP_2)
	v_cmp_lt_u32_e32 vcc_lo, 28, v7
	s_or_b32 s3, vcc_lo, s3
	s_waitcnt vmcnt(0) lgkmcnt(0)
	v_mul_f64 v[10:11], v[21:22], v[17:18]
	v_mul_f64 v[17:18], v[19:20], v[17:18]
	v_fma_f64 v[10:11], v[19:20], v[15:16], -v[10:11]
	s_delay_alu instid0(VALU_DEP_2) | instskip(NEXT) | instid1(VALU_DEP_2)
	v_fma_f64 v[15:16], v[21:22], v[15:16], v[17:18]
	v_add_f64 v[3:4], v[3:4], v[10:11]
	s_delay_alu instid0(VALU_DEP_2)
	v_add_f64 v[1:2], v[1:2], v[15:16]
	s_and_not1_b32 exec_lo, exec_lo, s3
	s_cbranch_execnz .LBB36_133
; %bb.134:
	s_or_b32 exec_lo, exec_lo, s3
	v_mov_b32_e32 v7, 0
	ds_load_b128 v[7:10], v7 offset:480
	s_waitcnt lgkmcnt(0)
	v_mul_f64 v[11:12], v[1:2], v[9:10]
	v_mul_f64 v[15:16], v[3:4], v[9:10]
	s_delay_alu instid0(VALU_DEP_2) | instskip(NEXT) | instid1(VALU_DEP_2)
	v_fma_f64 v[9:10], v[3:4], v[7:8], -v[11:12]
	v_fma_f64 v[11:12], v[1:2], v[7:8], v[15:16]
	scratch_store_b128 off, v[9:12], off offset:480
.LBB36_135:
	s_or_b32 exec_lo, exec_lo, s2
	s_waitcnt_vscnt null, 0x0
	s_barrier
	buffer_gl0_inv
	scratch_load_b128 v[1:4], v142, off
	s_mov_b32 s2, exec_lo
	s_waitcnt vmcnt(0)
	ds_store_b128 v5, v[1:4]
	s_waitcnt lgkmcnt(0)
	s_barrier
	buffer_gl0_inv
	v_cmpx_gt_u32_e32 31, v120
	s_cbranch_execz .LBB36_139
; %bb.136:
	v_dual_mov_b32 v1, 0 :: v_dual_add_nc_u32 v8, 0x250, v13
	v_dual_mov_b32 v2, 0 :: v_dual_add_nc_u32 v7, -1, v120
	v_or_b32_e32 v9, 8, v14
	s_mov_b32 s3, 0
	s_delay_alu instid0(VALU_DEP_2)
	v_dual_mov_b32 v4, v2 :: v_dual_mov_b32 v3, v1
	.p2align	6
.LBB36_137:                             ; =>This Inner Loop Header: Depth=1
	scratch_load_b128 v[15:18], v9, off offset:-8
	ds_load_b128 v[19:22], v8
	v_add_nc_u32_e32 v7, 1, v7
	v_add_nc_u32_e32 v8, 16, v8
	;; [unrolled: 1-line block ×3, first 2 shown]
	s_delay_alu instid0(VALU_DEP_3) | instskip(SKIP_4) | instid1(VALU_DEP_2)
	v_cmp_lt_u32_e32 vcc_lo, 29, v7
	s_or_b32 s3, vcc_lo, s3
	s_waitcnt vmcnt(0) lgkmcnt(0)
	v_mul_f64 v[10:11], v[21:22], v[17:18]
	v_mul_f64 v[17:18], v[19:20], v[17:18]
	v_fma_f64 v[10:11], v[19:20], v[15:16], -v[10:11]
	s_delay_alu instid0(VALU_DEP_2) | instskip(NEXT) | instid1(VALU_DEP_2)
	v_fma_f64 v[15:16], v[21:22], v[15:16], v[17:18]
	v_add_f64 v[3:4], v[3:4], v[10:11]
	s_delay_alu instid0(VALU_DEP_2)
	v_add_f64 v[1:2], v[1:2], v[15:16]
	s_and_not1_b32 exec_lo, exec_lo, s3
	s_cbranch_execnz .LBB36_137
; %bb.138:
	s_or_b32 exec_lo, exec_lo, s3
	v_mov_b32_e32 v7, 0
	ds_load_b128 v[7:10], v7 offset:496
	s_waitcnt lgkmcnt(0)
	v_mul_f64 v[11:12], v[1:2], v[9:10]
	v_mul_f64 v[15:16], v[3:4], v[9:10]
	s_delay_alu instid0(VALU_DEP_2) | instskip(NEXT) | instid1(VALU_DEP_2)
	v_fma_f64 v[9:10], v[3:4], v[7:8], -v[11:12]
	v_fma_f64 v[11:12], v[1:2], v[7:8], v[15:16]
	scratch_store_b128 off, v[9:12], off offset:496
.LBB36_139:
	s_or_b32 exec_lo, exec_lo, s2
	s_waitcnt_vscnt null, 0x0
	s_barrier
	buffer_gl0_inv
	scratch_load_b128 v[1:4], v139, off
	s_mov_b32 s2, exec_lo
	s_waitcnt vmcnt(0)
	ds_store_b128 v5, v[1:4]
	s_waitcnt lgkmcnt(0)
	s_barrier
	buffer_gl0_inv
	v_cmpx_gt_u32_e32 32, v120
	s_cbranch_execz .LBB36_143
; %bb.140:
	v_dual_mov_b32 v1, 0 :: v_dual_add_nc_u32 v8, 0x250, v13
	v_dual_mov_b32 v2, 0 :: v_dual_add_nc_u32 v7, -1, v120
	v_or_b32_e32 v9, 8, v14
	s_mov_b32 s3, 0
	s_delay_alu instid0(VALU_DEP_2)
	v_dual_mov_b32 v4, v2 :: v_dual_mov_b32 v3, v1
	.p2align	6
.LBB36_141:                             ; =>This Inner Loop Header: Depth=1
	scratch_load_b128 v[15:18], v9, off offset:-8
	ds_load_b128 v[19:22], v8
	v_add_nc_u32_e32 v7, 1, v7
	v_add_nc_u32_e32 v8, 16, v8
	;; [unrolled: 1-line block ×3, first 2 shown]
	s_delay_alu instid0(VALU_DEP_3) | instskip(SKIP_4) | instid1(VALU_DEP_2)
	v_cmp_lt_u32_e32 vcc_lo, 30, v7
	s_or_b32 s3, vcc_lo, s3
	s_waitcnt vmcnt(0) lgkmcnt(0)
	v_mul_f64 v[10:11], v[21:22], v[17:18]
	v_mul_f64 v[17:18], v[19:20], v[17:18]
	v_fma_f64 v[10:11], v[19:20], v[15:16], -v[10:11]
	s_delay_alu instid0(VALU_DEP_2) | instskip(NEXT) | instid1(VALU_DEP_2)
	v_fma_f64 v[15:16], v[21:22], v[15:16], v[17:18]
	v_add_f64 v[3:4], v[3:4], v[10:11]
	s_delay_alu instid0(VALU_DEP_2)
	v_add_f64 v[1:2], v[1:2], v[15:16]
	s_and_not1_b32 exec_lo, exec_lo, s3
	s_cbranch_execnz .LBB36_141
; %bb.142:
	s_or_b32 exec_lo, exec_lo, s3
	v_mov_b32_e32 v7, 0
	ds_load_b128 v[7:10], v7 offset:512
	s_waitcnt lgkmcnt(0)
	v_mul_f64 v[11:12], v[1:2], v[9:10]
	v_mul_f64 v[15:16], v[3:4], v[9:10]
	s_delay_alu instid0(VALU_DEP_2) | instskip(NEXT) | instid1(VALU_DEP_2)
	v_fma_f64 v[9:10], v[3:4], v[7:8], -v[11:12]
	v_fma_f64 v[11:12], v[1:2], v[7:8], v[15:16]
	scratch_store_b128 off, v[9:12], off offset:512
.LBB36_143:
	s_or_b32 exec_lo, exec_lo, s2
	s_waitcnt_vscnt null, 0x0
	s_barrier
	buffer_gl0_inv
	scratch_load_b128 v[1:4], v134, off
	s_mov_b32 s2, exec_lo
	s_waitcnt vmcnt(0)
	ds_store_b128 v5, v[1:4]
	s_waitcnt lgkmcnt(0)
	s_barrier
	buffer_gl0_inv
	v_cmpx_gt_u32_e32 33, v120
	s_cbranch_execz .LBB36_147
; %bb.144:
	v_dual_mov_b32 v1, 0 :: v_dual_add_nc_u32 v8, 0x250, v13
	v_dual_mov_b32 v2, 0 :: v_dual_add_nc_u32 v7, -1, v120
	v_or_b32_e32 v9, 8, v14
	s_mov_b32 s3, 0
	s_delay_alu instid0(VALU_DEP_2)
	v_dual_mov_b32 v4, v2 :: v_dual_mov_b32 v3, v1
	.p2align	6
.LBB36_145:                             ; =>This Inner Loop Header: Depth=1
	scratch_load_b128 v[15:18], v9, off offset:-8
	ds_load_b128 v[19:22], v8
	v_add_nc_u32_e32 v7, 1, v7
	v_add_nc_u32_e32 v8, 16, v8
	;; [unrolled: 1-line block ×3, first 2 shown]
	s_delay_alu instid0(VALU_DEP_3) | instskip(SKIP_4) | instid1(VALU_DEP_2)
	v_cmp_lt_u32_e32 vcc_lo, 31, v7
	s_or_b32 s3, vcc_lo, s3
	s_waitcnt vmcnt(0) lgkmcnt(0)
	v_mul_f64 v[10:11], v[21:22], v[17:18]
	v_mul_f64 v[17:18], v[19:20], v[17:18]
	v_fma_f64 v[10:11], v[19:20], v[15:16], -v[10:11]
	s_delay_alu instid0(VALU_DEP_2) | instskip(NEXT) | instid1(VALU_DEP_2)
	v_fma_f64 v[15:16], v[21:22], v[15:16], v[17:18]
	v_add_f64 v[3:4], v[3:4], v[10:11]
	s_delay_alu instid0(VALU_DEP_2)
	v_add_f64 v[1:2], v[1:2], v[15:16]
	s_and_not1_b32 exec_lo, exec_lo, s3
	s_cbranch_execnz .LBB36_145
; %bb.146:
	s_or_b32 exec_lo, exec_lo, s3
	v_mov_b32_e32 v7, 0
	ds_load_b128 v[7:10], v7 offset:528
	s_waitcnt lgkmcnt(0)
	v_mul_f64 v[11:12], v[1:2], v[9:10]
	v_mul_f64 v[15:16], v[3:4], v[9:10]
	s_delay_alu instid0(VALU_DEP_2) | instskip(NEXT) | instid1(VALU_DEP_2)
	v_fma_f64 v[9:10], v[3:4], v[7:8], -v[11:12]
	v_fma_f64 v[11:12], v[1:2], v[7:8], v[15:16]
	scratch_store_b128 off, v[9:12], off offset:528
.LBB36_147:
	s_or_b32 exec_lo, exec_lo, s2
	s_waitcnt_vscnt null, 0x0
	s_barrier
	buffer_gl0_inv
	scratch_load_b128 v[1:4], v132, off
	s_mov_b32 s2, exec_lo
	s_waitcnt vmcnt(0)
	ds_store_b128 v5, v[1:4]
	s_waitcnt lgkmcnt(0)
	s_barrier
	buffer_gl0_inv
	v_cmpx_gt_u32_e32 34, v120
	s_cbranch_execz .LBB36_151
; %bb.148:
	v_dual_mov_b32 v1, 0 :: v_dual_add_nc_u32 v8, 0x250, v13
	v_dual_mov_b32 v2, 0 :: v_dual_add_nc_u32 v7, -1, v120
	v_or_b32_e32 v9, 8, v14
	s_mov_b32 s3, 0
	s_delay_alu instid0(VALU_DEP_2)
	v_dual_mov_b32 v4, v2 :: v_dual_mov_b32 v3, v1
	.p2align	6
.LBB36_149:                             ; =>This Inner Loop Header: Depth=1
	scratch_load_b128 v[15:18], v9, off offset:-8
	ds_load_b128 v[19:22], v8
	v_add_nc_u32_e32 v7, 1, v7
	v_add_nc_u32_e32 v8, 16, v8
	;; [unrolled: 1-line block ×3, first 2 shown]
	s_delay_alu instid0(VALU_DEP_3) | instskip(SKIP_4) | instid1(VALU_DEP_2)
	v_cmp_lt_u32_e32 vcc_lo, 32, v7
	s_or_b32 s3, vcc_lo, s3
	s_waitcnt vmcnt(0) lgkmcnt(0)
	v_mul_f64 v[10:11], v[21:22], v[17:18]
	v_mul_f64 v[17:18], v[19:20], v[17:18]
	v_fma_f64 v[10:11], v[19:20], v[15:16], -v[10:11]
	s_delay_alu instid0(VALU_DEP_2) | instskip(NEXT) | instid1(VALU_DEP_2)
	v_fma_f64 v[15:16], v[21:22], v[15:16], v[17:18]
	v_add_f64 v[3:4], v[3:4], v[10:11]
	s_delay_alu instid0(VALU_DEP_2)
	v_add_f64 v[1:2], v[1:2], v[15:16]
	s_and_not1_b32 exec_lo, exec_lo, s3
	s_cbranch_execnz .LBB36_149
; %bb.150:
	s_or_b32 exec_lo, exec_lo, s3
	v_mov_b32_e32 v7, 0
	ds_load_b128 v[7:10], v7 offset:544
	s_waitcnt lgkmcnt(0)
	v_mul_f64 v[11:12], v[1:2], v[9:10]
	v_mul_f64 v[15:16], v[3:4], v[9:10]
	s_delay_alu instid0(VALU_DEP_2) | instskip(NEXT) | instid1(VALU_DEP_2)
	v_fma_f64 v[9:10], v[3:4], v[7:8], -v[11:12]
	v_fma_f64 v[11:12], v[1:2], v[7:8], v[15:16]
	scratch_store_b128 off, v[9:12], off offset:544
.LBB36_151:
	s_or_b32 exec_lo, exec_lo, s2
	s_waitcnt_vscnt null, 0x0
	s_barrier
	buffer_gl0_inv
	scratch_load_b128 v[1:4], v128, off
	s_mov_b32 s2, exec_lo
	s_waitcnt vmcnt(0)
	ds_store_b128 v5, v[1:4]
	s_waitcnt lgkmcnt(0)
	s_barrier
	buffer_gl0_inv
	v_cmpx_gt_u32_e32 35, v120
	s_cbranch_execz .LBB36_155
; %bb.152:
	v_dual_mov_b32 v1, 0 :: v_dual_add_nc_u32 v8, 0x250, v13
	v_dual_mov_b32 v2, 0 :: v_dual_add_nc_u32 v7, -1, v120
	v_or_b32_e32 v9, 8, v14
	s_mov_b32 s3, 0
	s_delay_alu instid0(VALU_DEP_2)
	v_dual_mov_b32 v4, v2 :: v_dual_mov_b32 v3, v1
	.p2align	6
.LBB36_153:                             ; =>This Inner Loop Header: Depth=1
	scratch_load_b128 v[10:13], v9, off offset:-8
	ds_load_b128 v[15:18], v8
	v_add_nc_u32_e32 v7, 1, v7
	v_add_nc_u32_e32 v8, 16, v8
	;; [unrolled: 1-line block ×3, first 2 shown]
	s_delay_alu instid0(VALU_DEP_3) | instskip(SKIP_4) | instid1(VALU_DEP_2)
	v_cmp_lt_u32_e32 vcc_lo, 33, v7
	s_or_b32 s3, vcc_lo, s3
	s_waitcnt vmcnt(0) lgkmcnt(0)
	v_mul_f64 v[19:20], v[17:18], v[12:13]
	v_mul_f64 v[12:13], v[15:16], v[12:13]
	v_fma_f64 v[15:16], v[15:16], v[10:11], -v[19:20]
	s_delay_alu instid0(VALU_DEP_2) | instskip(NEXT) | instid1(VALU_DEP_2)
	v_fma_f64 v[10:11], v[17:18], v[10:11], v[12:13]
	v_add_f64 v[3:4], v[3:4], v[15:16]
	s_delay_alu instid0(VALU_DEP_2)
	v_add_f64 v[1:2], v[1:2], v[10:11]
	s_and_not1_b32 exec_lo, exec_lo, s3
	s_cbranch_execnz .LBB36_153
; %bb.154:
	s_or_b32 exec_lo, exec_lo, s3
	v_mov_b32_e32 v7, 0
	ds_load_b128 v[7:10], v7 offset:560
	s_waitcnt lgkmcnt(0)
	v_mul_f64 v[11:12], v[1:2], v[9:10]
	v_mul_f64 v[15:16], v[3:4], v[9:10]
	s_delay_alu instid0(VALU_DEP_2) | instskip(NEXT) | instid1(VALU_DEP_2)
	v_fma_f64 v[9:10], v[3:4], v[7:8], -v[11:12]
	v_fma_f64 v[11:12], v[1:2], v[7:8], v[15:16]
	scratch_store_b128 off, v[9:12], off offset:560
.LBB36_155:
	s_or_b32 exec_lo, exec_lo, s2
	s_waitcnt_vscnt null, 0x0
	s_barrier
	buffer_gl0_inv
	scratch_load_b128 v[1:4], v126, off
	s_mov_b32 s2, exec_lo
	s_waitcnt vmcnt(0)
	ds_store_b128 v5, v[1:4]
	s_waitcnt lgkmcnt(0)
	s_barrier
	buffer_gl0_inv
	v_cmpx_ne_u32_e32 36, v120
	s_cbranch_execz .LBB36_159
; %bb.156:
	v_mov_b32_e32 v1, 0
	v_mov_b32_e32 v2, 0
	v_or_b32_e32 v7, 8, v14
	s_mov_b32 s3, 0
	s_delay_alu instid0(VALU_DEP_2)
	v_dual_mov_b32 v4, v2 :: v_dual_mov_b32 v3, v1
	.p2align	6
.LBB36_157:                             ; =>This Inner Loop Header: Depth=1
	scratch_load_b128 v[8:11], v7, off offset:-8
	ds_load_b128 v[12:15], v5
	v_add_nc_u32_e32 v6, 1, v6
	v_add_nc_u32_e32 v5, 16, v5
	;; [unrolled: 1-line block ×3, first 2 shown]
	s_delay_alu instid0(VALU_DEP_3) | instskip(SKIP_4) | instid1(VALU_DEP_2)
	v_cmp_lt_u32_e32 vcc_lo, 34, v6
	s_or_b32 s3, vcc_lo, s3
	s_waitcnt vmcnt(0) lgkmcnt(0)
	v_mul_f64 v[16:17], v[14:15], v[10:11]
	v_mul_f64 v[10:11], v[12:13], v[10:11]
	v_fma_f64 v[12:13], v[12:13], v[8:9], -v[16:17]
	s_delay_alu instid0(VALU_DEP_2) | instskip(NEXT) | instid1(VALU_DEP_2)
	v_fma_f64 v[8:9], v[14:15], v[8:9], v[10:11]
	v_add_f64 v[3:4], v[3:4], v[12:13]
	s_delay_alu instid0(VALU_DEP_2)
	v_add_f64 v[1:2], v[1:2], v[8:9]
	s_and_not1_b32 exec_lo, exec_lo, s3
	s_cbranch_execnz .LBB36_157
; %bb.158:
	s_or_b32 exec_lo, exec_lo, s3
	v_mov_b32_e32 v5, 0
	ds_load_b128 v[5:8], v5 offset:576
	s_waitcnt lgkmcnt(0)
	v_mul_f64 v[9:10], v[1:2], v[7:8]
	v_mul_f64 v[7:8], v[3:4], v[7:8]
	s_delay_alu instid0(VALU_DEP_2) | instskip(NEXT) | instid1(VALU_DEP_2)
	v_fma_f64 v[3:4], v[3:4], v[5:6], -v[9:10]
	v_fma_f64 v[5:6], v[1:2], v[5:6], v[7:8]
	scratch_store_b128 off, v[3:6], off offset:576
.LBB36_159:
	s_or_b32 exec_lo, exec_lo, s2
	s_mov_b32 s3, -1
	s_waitcnt_vscnt null, 0x0
	s_barrier
	buffer_gl0_inv
.LBB36_160:
	s_and_b32 vcc_lo, exec_lo, s3
	s_cbranch_vccz .LBB36_162
; %bb.161:
	s_lshl_b64 s[2:3], s[18:19], 2
	v_mov_b32_e32 v1, 0
	s_add_u32 s2, s6, s2
	s_addc_u32 s3, s7, s3
	global_load_b32 v1, v1, s[2:3]
	s_waitcnt vmcnt(0)
	v_cmp_ne_u32_e32 vcc_lo, 0, v1
	s_cbranch_vccz .LBB36_163
.LBB36_162:
	s_endpgm
.LBB36_163:
	v_lshl_add_u32 v157, v120, 4, 0x250
	s_mov_b32 s2, exec_lo
	v_cmpx_eq_u32_e32 36, v120
	s_cbranch_execz .LBB36_165
; %bb.164:
	scratch_load_b128 v[1:4], v128, off
	v_mov_b32_e32 v5, 0
	s_delay_alu instid0(VALU_DEP_1)
	v_mov_b32_e32 v6, v5
	v_mov_b32_e32 v7, v5
	;; [unrolled: 1-line block ×3, first 2 shown]
	scratch_store_b128 off, v[5:8], off offset:560
	s_waitcnt vmcnt(0)
	ds_store_b128 v157, v[1:4]
.LBB36_165:
	s_or_b32 exec_lo, exec_lo, s2
	s_waitcnt lgkmcnt(0)
	s_waitcnt_vscnt null, 0x0
	s_barrier
	buffer_gl0_inv
	s_clause 0x1
	scratch_load_b128 v[2:5], off, off offset:576
	scratch_load_b128 v[6:9], off, off offset:560
	v_mov_b32_e32 v1, 0
	s_mov_b32 s2, exec_lo
	ds_load_b128 v[10:13], v1 offset:1168
	s_waitcnt vmcnt(1) lgkmcnt(0)
	v_mul_f64 v[14:15], v[12:13], v[4:5]
	v_mul_f64 v[4:5], v[10:11], v[4:5]
	s_delay_alu instid0(VALU_DEP_2) | instskip(NEXT) | instid1(VALU_DEP_2)
	v_fma_f64 v[10:11], v[10:11], v[2:3], -v[14:15]
	v_fma_f64 v[2:3], v[12:13], v[2:3], v[4:5]
	s_delay_alu instid0(VALU_DEP_2) | instskip(NEXT) | instid1(VALU_DEP_2)
	v_add_f64 v[4:5], v[10:11], 0
	v_add_f64 v[10:11], v[2:3], 0
	s_waitcnt vmcnt(0)
	s_delay_alu instid0(VALU_DEP_2) | instskip(NEXT) | instid1(VALU_DEP_2)
	v_add_f64 v[2:3], v[6:7], -v[4:5]
	v_add_f64 v[4:5], v[8:9], -v[10:11]
	scratch_store_b128 off, v[2:5], off offset:560
	v_cmpx_lt_u32_e32 34, v120
	s_cbranch_execz .LBB36_167
; %bb.166:
	scratch_load_b128 v[5:8], v132, off
	v_mov_b32_e32 v2, v1
	v_mov_b32_e32 v3, v1
	;; [unrolled: 1-line block ×3, first 2 shown]
	scratch_store_b128 off, v[1:4], off offset:544
	s_waitcnt vmcnt(0)
	ds_store_b128 v157, v[5:8]
.LBB36_167:
	s_or_b32 exec_lo, exec_lo, s2
	s_waitcnt lgkmcnt(0)
	s_waitcnt_vscnt null, 0x0
	s_barrier
	buffer_gl0_inv
	s_clause 0x2
	scratch_load_b128 v[2:5], off, off offset:560
	scratch_load_b128 v[6:9], off, off offset:576
	;; [unrolled: 1-line block ×3, first 2 shown]
	ds_load_b128 v[14:17], v1 offset:1152
	ds_load_b128 v[18:21], v1 offset:1168
	s_mov_b32 s2, exec_lo
	s_waitcnt vmcnt(2) lgkmcnt(1)
	v_mul_f64 v[22:23], v[16:17], v[4:5]
	v_mul_f64 v[4:5], v[14:15], v[4:5]
	s_waitcnt vmcnt(1) lgkmcnt(0)
	v_mul_f64 v[24:25], v[18:19], v[8:9]
	v_mul_f64 v[8:9], v[20:21], v[8:9]
	s_delay_alu instid0(VALU_DEP_4) | instskip(NEXT) | instid1(VALU_DEP_4)
	v_fma_f64 v[14:15], v[14:15], v[2:3], -v[22:23]
	v_fma_f64 v[1:2], v[16:17], v[2:3], v[4:5]
	s_delay_alu instid0(VALU_DEP_4) | instskip(NEXT) | instid1(VALU_DEP_4)
	v_fma_f64 v[3:4], v[20:21], v[6:7], v[24:25]
	v_fma_f64 v[5:6], v[18:19], v[6:7], -v[8:9]
	s_delay_alu instid0(VALU_DEP_4) | instskip(NEXT) | instid1(VALU_DEP_4)
	v_add_f64 v[7:8], v[14:15], 0
	v_add_f64 v[1:2], v[1:2], 0
	s_delay_alu instid0(VALU_DEP_2) | instskip(NEXT) | instid1(VALU_DEP_2)
	v_add_f64 v[5:6], v[7:8], v[5:6]
	v_add_f64 v[3:4], v[1:2], v[3:4]
	s_waitcnt vmcnt(0)
	s_delay_alu instid0(VALU_DEP_2) | instskip(NEXT) | instid1(VALU_DEP_2)
	v_add_f64 v[1:2], v[10:11], -v[5:6]
	v_add_f64 v[3:4], v[12:13], -v[3:4]
	scratch_store_b128 off, v[1:4], off offset:544
	v_cmpx_lt_u32_e32 33, v120
	s_cbranch_execz .LBB36_169
; %bb.168:
	scratch_load_b128 v[1:4], v134, off
	v_mov_b32_e32 v5, 0
	s_delay_alu instid0(VALU_DEP_1)
	v_mov_b32_e32 v6, v5
	v_mov_b32_e32 v7, v5
	v_mov_b32_e32 v8, v5
	scratch_store_b128 off, v[5:8], off offset:528
	s_waitcnt vmcnt(0)
	ds_store_b128 v157, v[1:4]
.LBB36_169:
	s_or_b32 exec_lo, exec_lo, s2
	s_waitcnt lgkmcnt(0)
	s_waitcnt_vscnt null, 0x0
	s_barrier
	buffer_gl0_inv
	s_clause 0x3
	scratch_load_b128 v[2:5], off, off offset:544
	scratch_load_b128 v[6:9], off, off offset:560
	;; [unrolled: 1-line block ×4, first 2 shown]
	v_mov_b32_e32 v1, 0
	ds_load_b128 v[18:21], v1 offset:1136
	ds_load_b128 v[22:25], v1 offset:1152
	s_mov_b32 s2, exec_lo
	s_waitcnt vmcnt(3) lgkmcnt(1)
	v_mul_f64 v[26:27], v[20:21], v[4:5]
	v_mul_f64 v[4:5], v[18:19], v[4:5]
	s_waitcnt vmcnt(2) lgkmcnt(0)
	v_mul_f64 v[28:29], v[22:23], v[8:9]
	v_mul_f64 v[8:9], v[24:25], v[8:9]
	s_delay_alu instid0(VALU_DEP_4) | instskip(NEXT) | instid1(VALU_DEP_4)
	v_fma_f64 v[18:19], v[18:19], v[2:3], -v[26:27]
	v_fma_f64 v[20:21], v[20:21], v[2:3], v[4:5]
	ds_load_b128 v[2:5], v1 offset:1168
	v_fma_f64 v[24:25], v[24:25], v[6:7], v[28:29]
	v_fma_f64 v[6:7], v[22:23], v[6:7], -v[8:9]
	s_waitcnt vmcnt(1) lgkmcnt(0)
	v_mul_f64 v[26:27], v[2:3], v[12:13]
	v_mul_f64 v[12:13], v[4:5], v[12:13]
	v_add_f64 v[8:9], v[18:19], 0
	v_add_f64 v[18:19], v[20:21], 0
	s_delay_alu instid0(VALU_DEP_4) | instskip(NEXT) | instid1(VALU_DEP_4)
	v_fma_f64 v[4:5], v[4:5], v[10:11], v[26:27]
	v_fma_f64 v[2:3], v[2:3], v[10:11], -v[12:13]
	s_delay_alu instid0(VALU_DEP_4) | instskip(NEXT) | instid1(VALU_DEP_4)
	v_add_f64 v[6:7], v[8:9], v[6:7]
	v_add_f64 v[8:9], v[18:19], v[24:25]
	s_delay_alu instid0(VALU_DEP_2) | instskip(NEXT) | instid1(VALU_DEP_2)
	v_add_f64 v[2:3], v[6:7], v[2:3]
	v_add_f64 v[4:5], v[8:9], v[4:5]
	s_waitcnt vmcnt(0)
	s_delay_alu instid0(VALU_DEP_2) | instskip(NEXT) | instid1(VALU_DEP_2)
	v_add_f64 v[2:3], v[14:15], -v[2:3]
	v_add_f64 v[4:5], v[16:17], -v[4:5]
	scratch_store_b128 off, v[2:5], off offset:528
	v_cmpx_lt_u32_e32 32, v120
	s_cbranch_execz .LBB36_171
; %bb.170:
	scratch_load_b128 v[5:8], v139, off
	v_mov_b32_e32 v2, v1
	v_mov_b32_e32 v3, v1
	;; [unrolled: 1-line block ×3, first 2 shown]
	scratch_store_b128 off, v[1:4], off offset:512
	s_waitcnt vmcnt(0)
	ds_store_b128 v157, v[5:8]
.LBB36_171:
	s_or_b32 exec_lo, exec_lo, s2
	s_waitcnt lgkmcnt(0)
	s_waitcnt_vscnt null, 0x0
	s_barrier
	buffer_gl0_inv
	s_clause 0x4
	scratch_load_b128 v[2:5], off, off offset:528
	scratch_load_b128 v[6:9], off, off offset:544
	;; [unrolled: 1-line block ×5, first 2 shown]
	ds_load_b128 v[22:25], v1 offset:1120
	ds_load_b128 v[26:29], v1 offset:1136
	s_mov_b32 s2, exec_lo
	s_waitcnt vmcnt(4) lgkmcnt(1)
	v_mul_f64 v[30:31], v[24:25], v[4:5]
	v_mul_f64 v[4:5], v[22:23], v[4:5]
	s_waitcnt vmcnt(3) lgkmcnt(0)
	v_mul_f64 v[32:33], v[26:27], v[8:9]
	v_mul_f64 v[8:9], v[28:29], v[8:9]
	s_delay_alu instid0(VALU_DEP_4) | instskip(NEXT) | instid1(VALU_DEP_4)
	v_fma_f64 v[30:31], v[22:23], v[2:3], -v[30:31]
	v_fma_f64 v[34:35], v[24:25], v[2:3], v[4:5]
	ds_load_b128 v[2:5], v1 offset:1152
	ds_load_b128 v[22:25], v1 offset:1168
	v_fma_f64 v[28:29], v[28:29], v[6:7], v[32:33]
	v_fma_f64 v[6:7], v[26:27], v[6:7], -v[8:9]
	s_waitcnt vmcnt(2) lgkmcnt(1)
	v_mul_f64 v[36:37], v[2:3], v[12:13]
	v_mul_f64 v[12:13], v[4:5], v[12:13]
	v_add_f64 v[8:9], v[30:31], 0
	v_add_f64 v[26:27], v[34:35], 0
	s_waitcnt vmcnt(1) lgkmcnt(0)
	v_mul_f64 v[30:31], v[22:23], v[16:17]
	v_mul_f64 v[16:17], v[24:25], v[16:17]
	v_fma_f64 v[4:5], v[4:5], v[10:11], v[36:37]
	v_fma_f64 v[1:2], v[2:3], v[10:11], -v[12:13]
	v_add_f64 v[6:7], v[8:9], v[6:7]
	v_add_f64 v[8:9], v[26:27], v[28:29]
	v_fma_f64 v[10:11], v[24:25], v[14:15], v[30:31]
	v_fma_f64 v[12:13], v[22:23], v[14:15], -v[16:17]
	s_delay_alu instid0(VALU_DEP_4) | instskip(NEXT) | instid1(VALU_DEP_4)
	v_add_f64 v[1:2], v[6:7], v[1:2]
	v_add_f64 v[3:4], v[8:9], v[4:5]
	s_delay_alu instid0(VALU_DEP_2) | instskip(NEXT) | instid1(VALU_DEP_2)
	v_add_f64 v[1:2], v[1:2], v[12:13]
	v_add_f64 v[3:4], v[3:4], v[10:11]
	s_waitcnt vmcnt(0)
	s_delay_alu instid0(VALU_DEP_2) | instskip(NEXT) | instid1(VALU_DEP_2)
	v_add_f64 v[1:2], v[18:19], -v[1:2]
	v_add_f64 v[3:4], v[20:21], -v[3:4]
	scratch_store_b128 off, v[1:4], off offset:512
	v_cmpx_lt_u32_e32 31, v120
	s_cbranch_execz .LBB36_173
; %bb.172:
	scratch_load_b128 v[1:4], v142, off
	v_mov_b32_e32 v5, 0
	s_delay_alu instid0(VALU_DEP_1)
	v_mov_b32_e32 v6, v5
	v_mov_b32_e32 v7, v5
	;; [unrolled: 1-line block ×3, first 2 shown]
	scratch_store_b128 off, v[5:8], off offset:496
	s_waitcnt vmcnt(0)
	ds_store_b128 v157, v[1:4]
.LBB36_173:
	s_or_b32 exec_lo, exec_lo, s2
	s_waitcnt lgkmcnt(0)
	s_waitcnt_vscnt null, 0x0
	s_barrier
	buffer_gl0_inv
	s_clause 0x5
	scratch_load_b128 v[2:5], off, off offset:512
	scratch_load_b128 v[6:9], off, off offset:528
	;; [unrolled: 1-line block ×6, first 2 shown]
	v_mov_b32_e32 v1, 0
	ds_load_b128 v[26:29], v1 offset:1104
	ds_load_b128 v[30:33], v1 offset:1120
	s_mov_b32 s2, exec_lo
	s_waitcnt vmcnt(5) lgkmcnt(1)
	v_mul_f64 v[34:35], v[28:29], v[4:5]
	v_mul_f64 v[4:5], v[26:27], v[4:5]
	s_waitcnt vmcnt(4) lgkmcnt(0)
	v_mul_f64 v[36:37], v[30:31], v[8:9]
	v_mul_f64 v[8:9], v[32:33], v[8:9]
	s_delay_alu instid0(VALU_DEP_4) | instskip(NEXT) | instid1(VALU_DEP_4)
	v_fma_f64 v[34:35], v[26:27], v[2:3], -v[34:35]
	v_fma_f64 v[38:39], v[28:29], v[2:3], v[4:5]
	ds_load_b128 v[2:5], v1 offset:1136
	ds_load_b128 v[26:29], v1 offset:1152
	v_fma_f64 v[32:33], v[32:33], v[6:7], v[36:37]
	v_fma_f64 v[6:7], v[30:31], v[6:7], -v[8:9]
	s_waitcnt vmcnt(3) lgkmcnt(1)
	v_mul_f64 v[40:41], v[2:3], v[12:13]
	v_mul_f64 v[12:13], v[4:5], v[12:13]
	v_add_f64 v[8:9], v[34:35], 0
	v_add_f64 v[30:31], v[38:39], 0
	s_waitcnt vmcnt(2) lgkmcnt(0)
	v_mul_f64 v[34:35], v[26:27], v[16:17]
	v_mul_f64 v[16:17], v[28:29], v[16:17]
	v_fma_f64 v[36:37], v[4:5], v[10:11], v[40:41]
	v_fma_f64 v[10:11], v[2:3], v[10:11], -v[12:13]
	ds_load_b128 v[2:5], v1 offset:1168
	v_add_f64 v[6:7], v[8:9], v[6:7]
	v_add_f64 v[8:9], v[30:31], v[32:33]
	v_fma_f64 v[28:29], v[28:29], v[14:15], v[34:35]
	v_fma_f64 v[14:15], v[26:27], v[14:15], -v[16:17]
	s_waitcnt vmcnt(1) lgkmcnt(0)
	v_mul_f64 v[12:13], v[2:3], v[20:21]
	v_mul_f64 v[20:21], v[4:5], v[20:21]
	v_add_f64 v[6:7], v[6:7], v[10:11]
	v_add_f64 v[8:9], v[8:9], v[36:37]
	s_delay_alu instid0(VALU_DEP_4) | instskip(NEXT) | instid1(VALU_DEP_4)
	v_fma_f64 v[4:5], v[4:5], v[18:19], v[12:13]
	v_fma_f64 v[2:3], v[2:3], v[18:19], -v[20:21]
	s_delay_alu instid0(VALU_DEP_4) | instskip(NEXT) | instid1(VALU_DEP_4)
	v_add_f64 v[6:7], v[6:7], v[14:15]
	v_add_f64 v[8:9], v[8:9], v[28:29]
	s_delay_alu instid0(VALU_DEP_2) | instskip(NEXT) | instid1(VALU_DEP_2)
	v_add_f64 v[2:3], v[6:7], v[2:3]
	v_add_f64 v[4:5], v[8:9], v[4:5]
	s_waitcnt vmcnt(0)
	s_delay_alu instid0(VALU_DEP_2) | instskip(NEXT) | instid1(VALU_DEP_2)
	v_add_f64 v[2:3], v[22:23], -v[2:3]
	v_add_f64 v[4:5], v[24:25], -v[4:5]
	scratch_store_b128 off, v[2:5], off offset:496
	v_cmpx_lt_u32_e32 30, v120
	s_cbranch_execz .LBB36_175
; %bb.174:
	scratch_load_b128 v[5:8], v147, off
	v_mov_b32_e32 v2, v1
	v_mov_b32_e32 v3, v1
	v_mov_b32_e32 v4, v1
	scratch_store_b128 off, v[1:4], off offset:480
	s_waitcnt vmcnt(0)
	ds_store_b128 v157, v[5:8]
.LBB36_175:
	s_or_b32 exec_lo, exec_lo, s2
	s_waitcnt lgkmcnt(0)
	s_waitcnt_vscnt null, 0x0
	s_barrier
	buffer_gl0_inv
	s_clause 0x5
	scratch_load_b128 v[2:5], off, off offset:496
	scratch_load_b128 v[6:9], off, off offset:512
	;; [unrolled: 1-line block ×6, first 2 shown]
	ds_load_b128 v[26:29], v1 offset:1088
	ds_load_b128 v[34:37], v1 offset:1104
	scratch_load_b128 v[30:33], off, off offset:480
	s_mov_b32 s2, exec_lo
	s_waitcnt vmcnt(6) lgkmcnt(1)
	v_mul_f64 v[38:39], v[28:29], v[4:5]
	v_mul_f64 v[4:5], v[26:27], v[4:5]
	s_waitcnt vmcnt(5) lgkmcnt(0)
	v_mul_f64 v[40:41], v[34:35], v[8:9]
	v_mul_f64 v[8:9], v[36:37], v[8:9]
	s_delay_alu instid0(VALU_DEP_4) | instskip(NEXT) | instid1(VALU_DEP_4)
	v_fma_f64 v[38:39], v[26:27], v[2:3], -v[38:39]
	v_fma_f64 v[42:43], v[28:29], v[2:3], v[4:5]
	ds_load_b128 v[2:5], v1 offset:1120
	ds_load_b128 v[26:29], v1 offset:1136
	v_fma_f64 v[36:37], v[36:37], v[6:7], v[40:41]
	v_fma_f64 v[6:7], v[34:35], v[6:7], -v[8:9]
	s_waitcnt vmcnt(4) lgkmcnt(1)
	v_mul_f64 v[44:45], v[2:3], v[12:13]
	v_mul_f64 v[12:13], v[4:5], v[12:13]
	v_add_f64 v[8:9], v[38:39], 0
	v_add_f64 v[34:35], v[42:43], 0
	s_waitcnt vmcnt(3) lgkmcnt(0)
	v_mul_f64 v[38:39], v[26:27], v[16:17]
	v_mul_f64 v[16:17], v[28:29], v[16:17]
	v_fma_f64 v[40:41], v[4:5], v[10:11], v[44:45]
	v_fma_f64 v[10:11], v[2:3], v[10:11], -v[12:13]
	v_add_f64 v[12:13], v[8:9], v[6:7]
	v_add_f64 v[34:35], v[34:35], v[36:37]
	ds_load_b128 v[2:5], v1 offset:1152
	ds_load_b128 v[6:9], v1 offset:1168
	v_fma_f64 v[28:29], v[28:29], v[14:15], v[38:39]
	v_fma_f64 v[14:15], v[26:27], v[14:15], -v[16:17]
	s_waitcnt vmcnt(2) lgkmcnt(1)
	v_mul_f64 v[36:37], v[2:3], v[20:21]
	v_mul_f64 v[20:21], v[4:5], v[20:21]
	s_waitcnt vmcnt(1) lgkmcnt(0)
	v_mul_f64 v[16:17], v[6:7], v[24:25]
	v_mul_f64 v[24:25], v[8:9], v[24:25]
	v_add_f64 v[10:11], v[12:13], v[10:11]
	v_add_f64 v[12:13], v[34:35], v[40:41]
	v_fma_f64 v[4:5], v[4:5], v[18:19], v[36:37]
	v_fma_f64 v[1:2], v[2:3], v[18:19], -v[20:21]
	v_fma_f64 v[8:9], v[8:9], v[22:23], v[16:17]
	v_fma_f64 v[6:7], v[6:7], v[22:23], -v[24:25]
	v_add_f64 v[10:11], v[10:11], v[14:15]
	v_add_f64 v[12:13], v[12:13], v[28:29]
	s_delay_alu instid0(VALU_DEP_2) | instskip(NEXT) | instid1(VALU_DEP_2)
	v_add_f64 v[1:2], v[10:11], v[1:2]
	v_add_f64 v[3:4], v[12:13], v[4:5]
	s_delay_alu instid0(VALU_DEP_2) | instskip(NEXT) | instid1(VALU_DEP_2)
	v_add_f64 v[1:2], v[1:2], v[6:7]
	v_add_f64 v[3:4], v[3:4], v[8:9]
	s_waitcnt vmcnt(0)
	s_delay_alu instid0(VALU_DEP_2) | instskip(NEXT) | instid1(VALU_DEP_2)
	v_add_f64 v[1:2], v[30:31], -v[1:2]
	v_add_f64 v[3:4], v[32:33], -v[3:4]
	scratch_store_b128 off, v[1:4], off offset:480
	v_cmpx_lt_u32_e32 29, v120
	s_cbranch_execz .LBB36_177
; %bb.176:
	scratch_load_b128 v[1:4], v150, off
	v_mov_b32_e32 v5, 0
	s_delay_alu instid0(VALU_DEP_1)
	v_mov_b32_e32 v6, v5
	v_mov_b32_e32 v7, v5
	;; [unrolled: 1-line block ×3, first 2 shown]
	scratch_store_b128 off, v[5:8], off offset:464
	s_waitcnt vmcnt(0)
	ds_store_b128 v157, v[1:4]
.LBB36_177:
	s_or_b32 exec_lo, exec_lo, s2
	s_waitcnt lgkmcnt(0)
	s_waitcnt_vscnt null, 0x0
	s_barrier
	buffer_gl0_inv
	s_clause 0x6
	scratch_load_b128 v[2:5], off, off offset:480
	scratch_load_b128 v[6:9], off, off offset:496
	;; [unrolled: 1-line block ×7, first 2 shown]
	v_mov_b32_e32 v1, 0
	scratch_load_b128 v[34:37], off, off offset:464
	s_mov_b32 s2, exec_lo
	ds_load_b128 v[30:33], v1 offset:1072
	ds_load_b128 v[38:41], v1 offset:1088
	s_waitcnt vmcnt(7) lgkmcnt(1)
	v_mul_f64 v[42:43], v[32:33], v[4:5]
	v_mul_f64 v[4:5], v[30:31], v[4:5]
	s_waitcnt vmcnt(6) lgkmcnt(0)
	v_mul_f64 v[44:45], v[38:39], v[8:9]
	v_mul_f64 v[8:9], v[40:41], v[8:9]
	s_delay_alu instid0(VALU_DEP_4) | instskip(NEXT) | instid1(VALU_DEP_4)
	v_fma_f64 v[42:43], v[30:31], v[2:3], -v[42:43]
	v_fma_f64 v[158:159], v[32:33], v[2:3], v[4:5]
	ds_load_b128 v[2:5], v1 offset:1104
	ds_load_b128 v[30:33], v1 offset:1120
	v_fma_f64 v[40:41], v[40:41], v[6:7], v[44:45]
	v_fma_f64 v[6:7], v[38:39], v[6:7], -v[8:9]
	s_waitcnt vmcnt(5) lgkmcnt(1)
	v_mul_f64 v[160:161], v[2:3], v[12:13]
	v_mul_f64 v[12:13], v[4:5], v[12:13]
	v_add_f64 v[8:9], v[42:43], 0
	v_add_f64 v[38:39], v[158:159], 0
	s_waitcnt vmcnt(4) lgkmcnt(0)
	v_mul_f64 v[42:43], v[30:31], v[16:17]
	v_mul_f64 v[16:17], v[32:33], v[16:17]
	v_fma_f64 v[44:45], v[4:5], v[10:11], v[160:161]
	v_fma_f64 v[10:11], v[2:3], v[10:11], -v[12:13]
	v_add_f64 v[12:13], v[8:9], v[6:7]
	v_add_f64 v[38:39], v[38:39], v[40:41]
	ds_load_b128 v[2:5], v1 offset:1136
	ds_load_b128 v[6:9], v1 offset:1152
	v_fma_f64 v[32:33], v[32:33], v[14:15], v[42:43]
	v_fma_f64 v[14:15], v[30:31], v[14:15], -v[16:17]
	s_waitcnt vmcnt(3) lgkmcnt(1)
	v_mul_f64 v[40:41], v[2:3], v[20:21]
	v_mul_f64 v[20:21], v[4:5], v[20:21]
	s_waitcnt vmcnt(2) lgkmcnt(0)
	v_mul_f64 v[16:17], v[6:7], v[24:25]
	v_mul_f64 v[24:25], v[8:9], v[24:25]
	v_add_f64 v[10:11], v[12:13], v[10:11]
	v_add_f64 v[12:13], v[38:39], v[44:45]
	v_fma_f64 v[30:31], v[4:5], v[18:19], v[40:41]
	v_fma_f64 v[18:19], v[2:3], v[18:19], -v[20:21]
	ds_load_b128 v[2:5], v1 offset:1168
	v_fma_f64 v[8:9], v[8:9], v[22:23], v[16:17]
	v_fma_f64 v[6:7], v[6:7], v[22:23], -v[24:25]
	v_add_f64 v[10:11], v[10:11], v[14:15]
	v_add_f64 v[12:13], v[12:13], v[32:33]
	s_waitcnt vmcnt(1) lgkmcnt(0)
	v_mul_f64 v[14:15], v[2:3], v[28:29]
	v_mul_f64 v[20:21], v[4:5], v[28:29]
	s_delay_alu instid0(VALU_DEP_4) | instskip(NEXT) | instid1(VALU_DEP_4)
	v_add_f64 v[10:11], v[10:11], v[18:19]
	v_add_f64 v[12:13], v[12:13], v[30:31]
	s_delay_alu instid0(VALU_DEP_4) | instskip(NEXT) | instid1(VALU_DEP_4)
	v_fma_f64 v[4:5], v[4:5], v[26:27], v[14:15]
	v_fma_f64 v[2:3], v[2:3], v[26:27], -v[20:21]
	s_delay_alu instid0(VALU_DEP_4) | instskip(NEXT) | instid1(VALU_DEP_4)
	v_add_f64 v[6:7], v[10:11], v[6:7]
	v_add_f64 v[8:9], v[12:13], v[8:9]
	s_delay_alu instid0(VALU_DEP_2) | instskip(NEXT) | instid1(VALU_DEP_2)
	v_add_f64 v[2:3], v[6:7], v[2:3]
	v_add_f64 v[4:5], v[8:9], v[4:5]
	s_waitcnt vmcnt(0)
	s_delay_alu instid0(VALU_DEP_2) | instskip(NEXT) | instid1(VALU_DEP_2)
	v_add_f64 v[2:3], v[34:35], -v[2:3]
	v_add_f64 v[4:5], v[36:37], -v[4:5]
	scratch_store_b128 off, v[2:5], off offset:464
	v_cmpx_lt_u32_e32 28, v120
	s_cbranch_execz .LBB36_179
; %bb.178:
	scratch_load_b128 v[5:8], v153, off
	v_mov_b32_e32 v2, v1
	v_mov_b32_e32 v3, v1
	;; [unrolled: 1-line block ×3, first 2 shown]
	scratch_store_b128 off, v[1:4], off offset:448
	s_waitcnt vmcnt(0)
	ds_store_b128 v157, v[5:8]
.LBB36_179:
	s_or_b32 exec_lo, exec_lo, s2
	s_waitcnt lgkmcnt(0)
	s_waitcnt_vscnt null, 0x0
	s_barrier
	buffer_gl0_inv
	s_clause 0x7
	scratch_load_b128 v[2:5], off, off offset:464
	scratch_load_b128 v[6:9], off, off offset:480
	;; [unrolled: 1-line block ×8, first 2 shown]
	ds_load_b128 v[34:37], v1 offset:1056
	ds_load_b128 v[38:41], v1 offset:1072
	scratch_load_b128 v[42:45], off, off offset:448
	s_mov_b32 s2, exec_lo
	s_waitcnt vmcnt(8) lgkmcnt(1)
	v_mul_f64 v[158:159], v[36:37], v[4:5]
	v_mul_f64 v[4:5], v[34:35], v[4:5]
	s_waitcnt vmcnt(7) lgkmcnt(0)
	v_mul_f64 v[160:161], v[38:39], v[8:9]
	v_mul_f64 v[8:9], v[40:41], v[8:9]
	s_delay_alu instid0(VALU_DEP_4) | instskip(NEXT) | instid1(VALU_DEP_4)
	v_fma_f64 v[158:159], v[34:35], v[2:3], -v[158:159]
	v_fma_f64 v[162:163], v[36:37], v[2:3], v[4:5]
	ds_load_b128 v[2:5], v1 offset:1088
	ds_load_b128 v[34:37], v1 offset:1104
	v_fma_f64 v[40:41], v[40:41], v[6:7], v[160:161]
	v_fma_f64 v[6:7], v[38:39], v[6:7], -v[8:9]
	s_waitcnt vmcnt(6) lgkmcnt(1)
	v_mul_f64 v[164:165], v[2:3], v[12:13]
	v_mul_f64 v[12:13], v[4:5], v[12:13]
	v_add_f64 v[8:9], v[158:159], 0
	v_add_f64 v[38:39], v[162:163], 0
	s_waitcnt vmcnt(5) lgkmcnt(0)
	v_mul_f64 v[158:159], v[34:35], v[16:17]
	v_mul_f64 v[16:17], v[36:37], v[16:17]
	v_fma_f64 v[160:161], v[4:5], v[10:11], v[164:165]
	v_fma_f64 v[10:11], v[2:3], v[10:11], -v[12:13]
	v_add_f64 v[12:13], v[8:9], v[6:7]
	v_add_f64 v[38:39], v[38:39], v[40:41]
	ds_load_b128 v[2:5], v1 offset:1120
	ds_load_b128 v[6:9], v1 offset:1136
	v_fma_f64 v[36:37], v[36:37], v[14:15], v[158:159]
	v_fma_f64 v[14:15], v[34:35], v[14:15], -v[16:17]
	s_waitcnt vmcnt(4) lgkmcnt(1)
	v_mul_f64 v[40:41], v[2:3], v[20:21]
	v_mul_f64 v[20:21], v[4:5], v[20:21]
	s_waitcnt vmcnt(3) lgkmcnt(0)
	v_mul_f64 v[16:17], v[6:7], v[24:25]
	v_mul_f64 v[24:25], v[8:9], v[24:25]
	v_add_f64 v[10:11], v[12:13], v[10:11]
	v_add_f64 v[12:13], v[38:39], v[160:161]
	v_fma_f64 v[34:35], v[4:5], v[18:19], v[40:41]
	v_fma_f64 v[18:19], v[2:3], v[18:19], -v[20:21]
	v_fma_f64 v[8:9], v[8:9], v[22:23], v[16:17]
	v_fma_f64 v[6:7], v[6:7], v[22:23], -v[24:25]
	v_add_f64 v[14:15], v[10:11], v[14:15]
	v_add_f64 v[20:21], v[12:13], v[36:37]
	ds_load_b128 v[2:5], v1 offset:1152
	ds_load_b128 v[10:13], v1 offset:1168
	s_waitcnt vmcnt(2) lgkmcnt(1)
	v_mul_f64 v[36:37], v[2:3], v[28:29]
	v_mul_f64 v[28:29], v[4:5], v[28:29]
	v_add_f64 v[14:15], v[14:15], v[18:19]
	v_add_f64 v[16:17], v[20:21], v[34:35]
	s_waitcnt vmcnt(1) lgkmcnt(0)
	v_mul_f64 v[18:19], v[10:11], v[32:33]
	v_mul_f64 v[20:21], v[12:13], v[32:33]
	v_fma_f64 v[4:5], v[4:5], v[26:27], v[36:37]
	v_fma_f64 v[1:2], v[2:3], v[26:27], -v[28:29]
	v_add_f64 v[6:7], v[14:15], v[6:7]
	v_add_f64 v[8:9], v[16:17], v[8:9]
	v_fma_f64 v[12:13], v[12:13], v[30:31], v[18:19]
	v_fma_f64 v[10:11], v[10:11], v[30:31], -v[20:21]
	s_delay_alu instid0(VALU_DEP_4) | instskip(NEXT) | instid1(VALU_DEP_4)
	v_add_f64 v[1:2], v[6:7], v[1:2]
	v_add_f64 v[3:4], v[8:9], v[4:5]
	s_delay_alu instid0(VALU_DEP_2) | instskip(NEXT) | instid1(VALU_DEP_2)
	v_add_f64 v[1:2], v[1:2], v[10:11]
	v_add_f64 v[3:4], v[3:4], v[12:13]
	s_waitcnt vmcnt(0)
	s_delay_alu instid0(VALU_DEP_2) | instskip(NEXT) | instid1(VALU_DEP_2)
	v_add_f64 v[1:2], v[42:43], -v[1:2]
	v_add_f64 v[3:4], v[44:45], -v[3:4]
	scratch_store_b128 off, v[1:4], off offset:448
	v_cmpx_lt_u32_e32 27, v120
	s_cbranch_execz .LBB36_181
; %bb.180:
	scratch_load_b128 v[1:4], v154, off
	v_mov_b32_e32 v5, 0
	s_delay_alu instid0(VALU_DEP_1)
	v_mov_b32_e32 v6, v5
	v_mov_b32_e32 v7, v5
	;; [unrolled: 1-line block ×3, first 2 shown]
	scratch_store_b128 off, v[5:8], off offset:432
	s_waitcnt vmcnt(0)
	ds_store_b128 v157, v[1:4]
.LBB36_181:
	s_or_b32 exec_lo, exec_lo, s2
	s_waitcnt lgkmcnt(0)
	s_waitcnt_vscnt null, 0x0
	s_barrier
	buffer_gl0_inv
	s_clause 0x7
	scratch_load_b128 v[2:5], off, off offset:448
	scratch_load_b128 v[6:9], off, off offset:464
	;; [unrolled: 1-line block ×8, first 2 shown]
	v_mov_b32_e32 v1, 0
	scratch_load_b128 v[38:41], off, off offset:576
	s_mov_b32 s2, exec_lo
	ds_load_b128 v[34:37], v1 offset:1040
	ds_load_b128 v[42:45], v1 offset:1056
	s_waitcnt vmcnt(8) lgkmcnt(1)
	v_mul_f64 v[158:159], v[36:37], v[4:5]
	v_mul_f64 v[4:5], v[34:35], v[4:5]
	s_waitcnt vmcnt(7) lgkmcnt(0)
	v_mul_f64 v[160:161], v[42:43], v[8:9]
	v_mul_f64 v[8:9], v[44:45], v[8:9]
	s_delay_alu instid0(VALU_DEP_4) | instskip(NEXT) | instid1(VALU_DEP_4)
	v_fma_f64 v[34:35], v[34:35], v[2:3], -v[158:159]
	v_fma_f64 v[36:37], v[36:37], v[2:3], v[4:5]
	ds_load_b128 v[2:5], v1 offset:1072
	v_fma_f64 v[44:45], v[44:45], v[6:7], v[160:161]
	v_fma_f64 v[42:43], v[42:43], v[6:7], -v[8:9]
	ds_load_b128 v[6:9], v1 offset:1088
	s_waitcnt vmcnt(6) lgkmcnt(1)
	v_mul_f64 v[158:159], v[2:3], v[12:13]
	v_mul_f64 v[12:13], v[4:5], v[12:13]
	s_waitcnt vmcnt(5) lgkmcnt(0)
	v_mul_f64 v[164:165], v[6:7], v[16:17]
	v_mul_f64 v[16:17], v[8:9], v[16:17]
	v_add_f64 v[160:161], v[34:35], 0
	v_add_f64 v[162:163], v[36:37], 0
	scratch_load_b128 v[34:37], off, off offset:432
	v_fma_f64 v[158:159], v[4:5], v[10:11], v[158:159]
	v_fma_f64 v[10:11], v[2:3], v[10:11], -v[12:13]
	ds_load_b128 v[2:5], v1 offset:1104
	v_add_f64 v[12:13], v[160:161], v[42:43]
	v_add_f64 v[42:43], v[162:163], v[44:45]
	v_fma_f64 v[160:161], v[8:9], v[14:15], v[164:165]
	v_fma_f64 v[14:15], v[6:7], v[14:15], -v[16:17]
	ds_load_b128 v[6:9], v1 offset:1120
	s_waitcnt vmcnt(5) lgkmcnt(1)
	v_mul_f64 v[44:45], v[2:3], v[20:21]
	v_mul_f64 v[20:21], v[4:5], v[20:21]
	s_waitcnt vmcnt(4) lgkmcnt(0)
	v_mul_f64 v[16:17], v[6:7], v[24:25]
	v_mul_f64 v[24:25], v[8:9], v[24:25]
	v_add_f64 v[10:11], v[12:13], v[10:11]
	v_add_f64 v[12:13], v[42:43], v[158:159]
	v_fma_f64 v[42:43], v[4:5], v[18:19], v[44:45]
	v_fma_f64 v[18:19], v[2:3], v[18:19], -v[20:21]
	ds_load_b128 v[2:5], v1 offset:1136
	v_fma_f64 v[16:17], v[8:9], v[22:23], v[16:17]
	v_fma_f64 v[22:23], v[6:7], v[22:23], -v[24:25]
	ds_load_b128 v[6:9], v1 offset:1152
	s_waitcnt vmcnt(3) lgkmcnt(1)
	v_mul_f64 v[20:21], v[4:5], v[28:29]
	v_add_f64 v[10:11], v[10:11], v[14:15]
	v_add_f64 v[12:13], v[12:13], v[160:161]
	v_mul_f64 v[14:15], v[2:3], v[28:29]
	s_waitcnt vmcnt(2) lgkmcnt(0)
	v_mul_f64 v[24:25], v[8:9], v[32:33]
	v_fma_f64 v[20:21], v[2:3], v[26:27], -v[20:21]
	v_add_f64 v[10:11], v[10:11], v[18:19]
	v_add_f64 v[12:13], v[12:13], v[42:43]
	v_mul_f64 v[18:19], v[6:7], v[32:33]
	v_fma_f64 v[14:15], v[4:5], v[26:27], v[14:15]
	ds_load_b128 v[2:5], v1 offset:1168
	v_fma_f64 v[6:7], v[6:7], v[30:31], -v[24:25]
	v_add_f64 v[10:11], v[10:11], v[22:23]
	v_add_f64 v[12:13], v[12:13], v[16:17]
	s_waitcnt vmcnt(1) lgkmcnt(0)
	v_mul_f64 v[16:17], v[2:3], v[40:41]
	v_mul_f64 v[22:23], v[4:5], v[40:41]
	v_fma_f64 v[8:9], v[8:9], v[30:31], v[18:19]
	v_add_f64 v[10:11], v[10:11], v[20:21]
	v_add_f64 v[12:13], v[12:13], v[14:15]
	v_fma_f64 v[4:5], v[4:5], v[38:39], v[16:17]
	v_fma_f64 v[2:3], v[2:3], v[38:39], -v[22:23]
	s_delay_alu instid0(VALU_DEP_4) | instskip(NEXT) | instid1(VALU_DEP_4)
	v_add_f64 v[6:7], v[10:11], v[6:7]
	v_add_f64 v[8:9], v[12:13], v[8:9]
	s_delay_alu instid0(VALU_DEP_2) | instskip(NEXT) | instid1(VALU_DEP_2)
	v_add_f64 v[2:3], v[6:7], v[2:3]
	v_add_f64 v[4:5], v[8:9], v[4:5]
	s_waitcnt vmcnt(0)
	s_delay_alu instid0(VALU_DEP_2) | instskip(NEXT) | instid1(VALU_DEP_2)
	v_add_f64 v[2:3], v[34:35], -v[2:3]
	v_add_f64 v[4:5], v[36:37], -v[4:5]
	scratch_store_b128 off, v[2:5], off offset:432
	v_cmpx_lt_u32_e32 26, v120
	s_cbranch_execz .LBB36_183
; %bb.182:
	scratch_load_b128 v[5:8], v155, off
	v_mov_b32_e32 v2, v1
	v_mov_b32_e32 v3, v1
	;; [unrolled: 1-line block ×3, first 2 shown]
	scratch_store_b128 off, v[1:4], off offset:416
	s_waitcnt vmcnt(0)
	ds_store_b128 v157, v[5:8]
.LBB36_183:
	s_or_b32 exec_lo, exec_lo, s2
	s_waitcnt lgkmcnt(0)
	s_waitcnt_vscnt null, 0x0
	s_barrier
	buffer_gl0_inv
	s_clause 0x7
	scratch_load_b128 v[2:5], off, off offset:432
	scratch_load_b128 v[6:9], off, off offset:448
	;; [unrolled: 1-line block ×8, first 2 shown]
	ds_load_b128 v[34:37], v1 offset:1024
	ds_load_b128 v[42:45], v1 offset:1040
	s_clause 0x1
	scratch_load_b128 v[38:41], off, off offset:560
	scratch_load_b128 v[158:161], off, off offset:576
	s_mov_b32 s2, exec_lo
	s_waitcnt vmcnt(9) lgkmcnt(1)
	v_mul_f64 v[162:163], v[36:37], v[4:5]
	v_mul_f64 v[4:5], v[34:35], v[4:5]
	s_waitcnt vmcnt(8) lgkmcnt(0)
	v_mul_f64 v[164:165], v[42:43], v[8:9]
	v_mul_f64 v[8:9], v[44:45], v[8:9]
	s_delay_alu instid0(VALU_DEP_4) | instskip(NEXT) | instid1(VALU_DEP_4)
	v_fma_f64 v[34:35], v[34:35], v[2:3], -v[162:163]
	v_fma_f64 v[36:37], v[36:37], v[2:3], v[4:5]
	ds_load_b128 v[2:5], v1 offset:1056
	v_fma_f64 v[44:45], v[44:45], v[6:7], v[164:165]
	v_fma_f64 v[42:43], v[42:43], v[6:7], -v[8:9]
	ds_load_b128 v[6:9], v1 offset:1072
	s_waitcnt vmcnt(7) lgkmcnt(1)
	v_mul_f64 v[162:163], v[2:3], v[12:13]
	v_mul_f64 v[12:13], v[4:5], v[12:13]
	s_waitcnt vmcnt(6) lgkmcnt(0)
	v_mul_f64 v[164:165], v[6:7], v[16:17]
	v_mul_f64 v[16:17], v[8:9], v[16:17]
	v_add_f64 v[34:35], v[34:35], 0
	v_add_f64 v[36:37], v[36:37], 0
	v_fma_f64 v[162:163], v[4:5], v[10:11], v[162:163]
	v_fma_f64 v[166:167], v[2:3], v[10:11], -v[12:13]
	ds_load_b128 v[2:5], v1 offset:1088
	scratch_load_b128 v[10:13], off, off offset:416
	v_add_f64 v[34:35], v[34:35], v[42:43]
	v_add_f64 v[36:37], v[36:37], v[44:45]
	v_fma_f64 v[44:45], v[8:9], v[14:15], v[164:165]
	v_fma_f64 v[14:15], v[6:7], v[14:15], -v[16:17]
	ds_load_b128 v[6:9], v1 offset:1104
	s_waitcnt vmcnt(6) lgkmcnt(1)
	v_mul_f64 v[42:43], v[2:3], v[20:21]
	v_mul_f64 v[20:21], v[4:5], v[20:21]
	v_add_f64 v[16:17], v[34:35], v[166:167]
	v_add_f64 v[34:35], v[36:37], v[162:163]
	s_waitcnt vmcnt(5) lgkmcnt(0)
	v_mul_f64 v[36:37], v[6:7], v[24:25]
	v_mul_f64 v[24:25], v[8:9], v[24:25]
	v_fma_f64 v[42:43], v[4:5], v[18:19], v[42:43]
	v_fma_f64 v[18:19], v[2:3], v[18:19], -v[20:21]
	ds_load_b128 v[2:5], v1 offset:1120
	v_add_f64 v[14:15], v[16:17], v[14:15]
	v_add_f64 v[16:17], v[34:35], v[44:45]
	v_fma_f64 v[34:35], v[8:9], v[22:23], v[36:37]
	v_fma_f64 v[22:23], v[6:7], v[22:23], -v[24:25]
	ds_load_b128 v[6:9], v1 offset:1136
	s_waitcnt vmcnt(4) lgkmcnt(1)
	v_mul_f64 v[20:21], v[2:3], v[28:29]
	v_mul_f64 v[28:29], v[4:5], v[28:29]
	s_waitcnt vmcnt(3) lgkmcnt(0)
	v_mul_f64 v[24:25], v[8:9], v[32:33]
	v_add_f64 v[14:15], v[14:15], v[18:19]
	v_add_f64 v[16:17], v[16:17], v[42:43]
	v_mul_f64 v[18:19], v[6:7], v[32:33]
	v_fma_f64 v[20:21], v[4:5], v[26:27], v[20:21]
	v_fma_f64 v[26:27], v[2:3], v[26:27], -v[28:29]
	ds_load_b128 v[2:5], v1 offset:1152
	v_fma_f64 v[24:25], v[6:7], v[30:31], -v[24:25]
	v_add_f64 v[14:15], v[14:15], v[22:23]
	v_add_f64 v[16:17], v[16:17], v[34:35]
	v_fma_f64 v[18:19], v[8:9], v[30:31], v[18:19]
	ds_load_b128 v[6:9], v1 offset:1168
	s_waitcnt vmcnt(2) lgkmcnt(1)
	v_mul_f64 v[22:23], v[2:3], v[40:41]
	v_mul_f64 v[28:29], v[4:5], v[40:41]
	v_add_f64 v[14:15], v[14:15], v[26:27]
	v_add_f64 v[16:17], v[16:17], v[20:21]
	s_waitcnt vmcnt(1) lgkmcnt(0)
	v_mul_f64 v[20:21], v[6:7], v[160:161]
	v_mul_f64 v[26:27], v[8:9], v[160:161]
	v_fma_f64 v[4:5], v[4:5], v[38:39], v[22:23]
	v_fma_f64 v[1:2], v[2:3], v[38:39], -v[28:29]
	v_add_f64 v[14:15], v[14:15], v[24:25]
	v_add_f64 v[16:17], v[16:17], v[18:19]
	v_fma_f64 v[8:9], v[8:9], v[158:159], v[20:21]
	v_fma_f64 v[6:7], v[6:7], v[158:159], -v[26:27]
	s_delay_alu instid0(VALU_DEP_4) | instskip(NEXT) | instid1(VALU_DEP_4)
	v_add_f64 v[1:2], v[14:15], v[1:2]
	v_add_f64 v[3:4], v[16:17], v[4:5]
	s_delay_alu instid0(VALU_DEP_2) | instskip(NEXT) | instid1(VALU_DEP_2)
	v_add_f64 v[1:2], v[1:2], v[6:7]
	v_add_f64 v[3:4], v[3:4], v[8:9]
	s_waitcnt vmcnt(0)
	s_delay_alu instid0(VALU_DEP_2) | instskip(NEXT) | instid1(VALU_DEP_2)
	v_add_f64 v[1:2], v[10:11], -v[1:2]
	v_add_f64 v[3:4], v[12:13], -v[3:4]
	scratch_store_b128 off, v[1:4], off offset:416
	v_cmpx_lt_u32_e32 25, v120
	s_cbranch_execz .LBB36_185
; %bb.184:
	scratch_load_b128 v[1:4], v156, off
	v_mov_b32_e32 v5, 0
	s_delay_alu instid0(VALU_DEP_1)
	v_mov_b32_e32 v6, v5
	v_mov_b32_e32 v7, v5
	;; [unrolled: 1-line block ×3, first 2 shown]
	scratch_store_b128 off, v[5:8], off offset:400
	s_waitcnt vmcnt(0)
	ds_store_b128 v157, v[1:4]
.LBB36_185:
	s_or_b32 exec_lo, exec_lo, s2
	s_waitcnt lgkmcnt(0)
	s_waitcnt_vscnt null, 0x0
	s_barrier
	buffer_gl0_inv
	s_clause 0x7
	scratch_load_b128 v[2:5], off, off offset:416
	scratch_load_b128 v[6:9], off, off offset:432
	;; [unrolled: 1-line block ×8, first 2 shown]
	v_mov_b32_e32 v1, 0
	s_clause 0x1
	scratch_load_b128 v[38:41], off, off offset:544
	scratch_load_b128 v[158:161], off, off offset:560
	s_mov_b32 s2, exec_lo
	ds_load_b128 v[34:37], v1 offset:1008
	ds_load_b128 v[42:45], v1 offset:1024
	s_waitcnt vmcnt(9) lgkmcnt(1)
	v_mul_f64 v[162:163], v[36:37], v[4:5]
	v_mul_f64 v[4:5], v[34:35], v[4:5]
	s_waitcnt vmcnt(8) lgkmcnt(0)
	v_mul_f64 v[164:165], v[42:43], v[8:9]
	v_mul_f64 v[8:9], v[44:45], v[8:9]
	s_delay_alu instid0(VALU_DEP_4) | instskip(NEXT) | instid1(VALU_DEP_4)
	v_fma_f64 v[162:163], v[34:35], v[2:3], -v[162:163]
	v_fma_f64 v[166:167], v[36:37], v[2:3], v[4:5]
	ds_load_b128 v[2:5], v1 offset:1040
	scratch_load_b128 v[34:37], off, off offset:576
	v_fma_f64 v[44:45], v[44:45], v[6:7], v[164:165]
	v_fma_f64 v[42:43], v[42:43], v[6:7], -v[8:9]
	ds_load_b128 v[6:9], v1 offset:1056
	s_waitcnt vmcnt(8) lgkmcnt(1)
	v_mul_f64 v[168:169], v[2:3], v[12:13]
	v_mul_f64 v[12:13], v[4:5], v[12:13]
	v_add_f64 v[162:163], v[162:163], 0
	v_add_f64 v[164:165], v[166:167], 0
	s_waitcnt vmcnt(7) lgkmcnt(0)
	v_mul_f64 v[166:167], v[6:7], v[16:17]
	v_mul_f64 v[16:17], v[8:9], v[16:17]
	v_fma_f64 v[168:169], v[4:5], v[10:11], v[168:169]
	v_fma_f64 v[10:11], v[2:3], v[10:11], -v[12:13]
	ds_load_b128 v[2:5], v1 offset:1072
	v_add_f64 v[12:13], v[162:163], v[42:43]
	v_add_f64 v[42:43], v[164:165], v[44:45]
	v_fma_f64 v[162:163], v[8:9], v[14:15], v[166:167]
	v_fma_f64 v[14:15], v[6:7], v[14:15], -v[16:17]
	ds_load_b128 v[6:9], v1 offset:1088
	s_waitcnt vmcnt(6) lgkmcnt(1)
	v_mul_f64 v[44:45], v[2:3], v[20:21]
	v_mul_f64 v[20:21], v[4:5], v[20:21]
	s_waitcnt vmcnt(5) lgkmcnt(0)
	v_mul_f64 v[164:165], v[6:7], v[24:25]
	v_mul_f64 v[24:25], v[8:9], v[24:25]
	v_add_f64 v[16:17], v[12:13], v[10:11]
	v_add_f64 v[42:43], v[42:43], v[168:169]
	scratch_load_b128 v[10:13], off, off offset:400
	v_fma_f64 v[44:45], v[4:5], v[18:19], v[44:45]
	v_fma_f64 v[18:19], v[2:3], v[18:19], -v[20:21]
	ds_load_b128 v[2:5], v1 offset:1104
	v_add_f64 v[14:15], v[16:17], v[14:15]
	v_add_f64 v[16:17], v[42:43], v[162:163]
	v_fma_f64 v[42:43], v[8:9], v[22:23], v[164:165]
	v_fma_f64 v[22:23], v[6:7], v[22:23], -v[24:25]
	ds_load_b128 v[6:9], v1 offset:1120
	s_waitcnt vmcnt(5) lgkmcnt(1)
	v_mul_f64 v[20:21], v[2:3], v[28:29]
	v_mul_f64 v[28:29], v[4:5], v[28:29]
	s_waitcnt vmcnt(4) lgkmcnt(0)
	v_mul_f64 v[24:25], v[8:9], v[32:33]
	v_add_f64 v[14:15], v[14:15], v[18:19]
	v_add_f64 v[16:17], v[16:17], v[44:45]
	v_mul_f64 v[18:19], v[6:7], v[32:33]
	v_fma_f64 v[20:21], v[4:5], v[26:27], v[20:21]
	v_fma_f64 v[26:27], v[2:3], v[26:27], -v[28:29]
	ds_load_b128 v[2:5], v1 offset:1136
	v_fma_f64 v[24:25], v[6:7], v[30:31], -v[24:25]
	v_add_f64 v[14:15], v[14:15], v[22:23]
	v_add_f64 v[16:17], v[16:17], v[42:43]
	v_fma_f64 v[18:19], v[8:9], v[30:31], v[18:19]
	ds_load_b128 v[6:9], v1 offset:1152
	s_waitcnt vmcnt(3) lgkmcnt(1)
	v_mul_f64 v[22:23], v[2:3], v[40:41]
	v_mul_f64 v[28:29], v[4:5], v[40:41]
	v_add_f64 v[14:15], v[14:15], v[26:27]
	v_add_f64 v[16:17], v[16:17], v[20:21]
	s_waitcnt vmcnt(2) lgkmcnt(0)
	v_mul_f64 v[20:21], v[6:7], v[160:161]
	v_mul_f64 v[26:27], v[8:9], v[160:161]
	v_fma_f64 v[22:23], v[4:5], v[38:39], v[22:23]
	v_fma_f64 v[28:29], v[2:3], v[38:39], -v[28:29]
	ds_load_b128 v[2:5], v1 offset:1168
	v_add_f64 v[14:15], v[14:15], v[24:25]
	v_add_f64 v[16:17], v[16:17], v[18:19]
	v_fma_f64 v[8:9], v[8:9], v[158:159], v[20:21]
	v_fma_f64 v[6:7], v[6:7], v[158:159], -v[26:27]
	s_waitcnt vmcnt(1) lgkmcnt(0)
	v_mul_f64 v[18:19], v[2:3], v[36:37]
	v_mul_f64 v[24:25], v[4:5], v[36:37]
	v_add_f64 v[14:15], v[14:15], v[28:29]
	v_add_f64 v[16:17], v[16:17], v[22:23]
	s_delay_alu instid0(VALU_DEP_4) | instskip(NEXT) | instid1(VALU_DEP_4)
	v_fma_f64 v[4:5], v[4:5], v[34:35], v[18:19]
	v_fma_f64 v[2:3], v[2:3], v[34:35], -v[24:25]
	s_delay_alu instid0(VALU_DEP_4) | instskip(NEXT) | instid1(VALU_DEP_4)
	v_add_f64 v[6:7], v[14:15], v[6:7]
	v_add_f64 v[8:9], v[16:17], v[8:9]
	s_delay_alu instid0(VALU_DEP_2) | instskip(NEXT) | instid1(VALU_DEP_2)
	v_add_f64 v[2:3], v[6:7], v[2:3]
	v_add_f64 v[4:5], v[8:9], v[4:5]
	s_waitcnt vmcnt(0)
	s_delay_alu instid0(VALU_DEP_2) | instskip(NEXT) | instid1(VALU_DEP_2)
	v_add_f64 v[2:3], v[10:11], -v[2:3]
	v_add_f64 v[4:5], v[12:13], -v[4:5]
	scratch_store_b128 off, v[2:5], off offset:400
	v_cmpx_lt_u32_e32 24, v120
	s_cbranch_execz .LBB36_187
; %bb.186:
	scratch_load_b128 v[5:8], v125, off
	v_mov_b32_e32 v2, v1
	v_mov_b32_e32 v3, v1
	;; [unrolled: 1-line block ×3, first 2 shown]
	scratch_store_b128 off, v[1:4], off offset:384
	s_waitcnt vmcnt(0)
	ds_store_b128 v157, v[5:8]
.LBB36_187:
	s_or_b32 exec_lo, exec_lo, s2
	s_waitcnt lgkmcnt(0)
	s_waitcnt_vscnt null, 0x0
	s_barrier
	buffer_gl0_inv
	s_clause 0x8
	scratch_load_b128 v[2:5], off, off offset:400
	scratch_load_b128 v[6:9], off, off offset:416
	;; [unrolled: 1-line block ×9, first 2 shown]
	ds_load_b128 v[38:41], v1 offset:992
	ds_load_b128 v[42:45], v1 offset:1008
	s_clause 0x1
	scratch_load_b128 v[158:161], off, off offset:384
	scratch_load_b128 v[162:165], off, off offset:544
	s_mov_b32 s2, exec_lo
	s_waitcnt vmcnt(10) lgkmcnt(1)
	v_mul_f64 v[166:167], v[40:41], v[4:5]
	v_mul_f64 v[4:5], v[38:39], v[4:5]
	s_waitcnt vmcnt(9) lgkmcnt(0)
	v_mul_f64 v[170:171], v[42:43], v[8:9]
	v_mul_f64 v[8:9], v[44:45], v[8:9]
	s_delay_alu instid0(VALU_DEP_4) | instskip(NEXT) | instid1(VALU_DEP_4)
	v_fma_f64 v[172:173], v[38:39], v[2:3], -v[166:167]
	v_fma_f64 v[174:175], v[40:41], v[2:3], v[4:5]
	ds_load_b128 v[2:5], v1 offset:1024
	ds_load_b128 v[166:169], v1 offset:1040
	scratch_load_b128 v[38:41], off, off offset:560
	v_fma_f64 v[44:45], v[44:45], v[6:7], v[170:171]
	v_fma_f64 v[42:43], v[42:43], v[6:7], -v[8:9]
	scratch_load_b128 v[6:9], off, off offset:576
	s_waitcnt vmcnt(10) lgkmcnt(1)
	v_mul_f64 v[176:177], v[2:3], v[12:13]
	v_mul_f64 v[12:13], v[4:5], v[12:13]
	v_add_f64 v[170:171], v[172:173], 0
	v_add_f64 v[172:173], v[174:175], 0
	s_waitcnt vmcnt(9) lgkmcnt(0)
	v_mul_f64 v[174:175], v[166:167], v[16:17]
	v_mul_f64 v[16:17], v[168:169], v[16:17]
	v_fma_f64 v[176:177], v[4:5], v[10:11], v[176:177]
	v_fma_f64 v[178:179], v[2:3], v[10:11], -v[12:13]
	ds_load_b128 v[2:5], v1 offset:1056
	ds_load_b128 v[10:13], v1 offset:1072
	v_add_f64 v[42:43], v[170:171], v[42:43]
	v_add_f64 v[44:45], v[172:173], v[44:45]
	v_fma_f64 v[168:169], v[168:169], v[14:15], v[174:175]
	v_fma_f64 v[14:15], v[166:167], v[14:15], -v[16:17]
	s_waitcnt vmcnt(8) lgkmcnt(1)
	v_mul_f64 v[170:171], v[2:3], v[20:21]
	v_mul_f64 v[20:21], v[4:5], v[20:21]
	v_add_f64 v[16:17], v[42:43], v[178:179]
	v_add_f64 v[42:43], v[44:45], v[176:177]
	s_waitcnt vmcnt(7) lgkmcnt(0)
	v_mul_f64 v[44:45], v[10:11], v[24:25]
	v_mul_f64 v[24:25], v[12:13], v[24:25]
	v_fma_f64 v[166:167], v[4:5], v[18:19], v[170:171]
	v_fma_f64 v[18:19], v[2:3], v[18:19], -v[20:21]
	v_add_f64 v[20:21], v[16:17], v[14:15]
	v_add_f64 v[42:43], v[42:43], v[168:169]
	ds_load_b128 v[2:5], v1 offset:1088
	ds_load_b128 v[14:17], v1 offset:1104
	v_fma_f64 v[12:13], v[12:13], v[22:23], v[44:45]
	v_fma_f64 v[10:11], v[10:11], v[22:23], -v[24:25]
	s_waitcnt vmcnt(6) lgkmcnt(1)
	v_mul_f64 v[168:169], v[2:3], v[28:29]
	v_mul_f64 v[28:29], v[4:5], v[28:29]
	s_waitcnt vmcnt(5) lgkmcnt(0)
	v_mul_f64 v[22:23], v[14:15], v[32:33]
	v_mul_f64 v[24:25], v[16:17], v[32:33]
	v_add_f64 v[18:19], v[20:21], v[18:19]
	v_add_f64 v[20:21], v[42:43], v[166:167]
	v_fma_f64 v[32:33], v[4:5], v[26:27], v[168:169]
	v_fma_f64 v[26:27], v[2:3], v[26:27], -v[28:29]
	v_fma_f64 v[16:17], v[16:17], v[30:31], v[22:23]
	v_fma_f64 v[14:15], v[14:15], v[30:31], -v[24:25]
	v_add_f64 v[18:19], v[18:19], v[10:11]
	v_add_f64 v[20:21], v[20:21], v[12:13]
	ds_load_b128 v[2:5], v1 offset:1120
	ds_load_b128 v[10:13], v1 offset:1136
	s_waitcnt vmcnt(4) lgkmcnt(1)
	v_mul_f64 v[28:29], v[2:3], v[36:37]
	v_mul_f64 v[36:37], v[4:5], v[36:37]
	s_waitcnt vmcnt(2) lgkmcnt(0)
	v_mul_f64 v[22:23], v[10:11], v[164:165]
	v_mul_f64 v[24:25], v[12:13], v[164:165]
	v_add_f64 v[18:19], v[18:19], v[26:27]
	v_add_f64 v[20:21], v[20:21], v[32:33]
	v_fma_f64 v[26:27], v[4:5], v[34:35], v[28:29]
	v_fma_f64 v[28:29], v[2:3], v[34:35], -v[36:37]
	v_fma_f64 v[12:13], v[12:13], v[162:163], v[22:23]
	v_fma_f64 v[10:11], v[10:11], v[162:163], -v[24:25]
	v_add_f64 v[18:19], v[18:19], v[14:15]
	v_add_f64 v[20:21], v[20:21], v[16:17]
	ds_load_b128 v[2:5], v1 offset:1152
	ds_load_b128 v[14:17], v1 offset:1168
	s_waitcnt vmcnt(1) lgkmcnt(1)
	v_mul_f64 v[30:31], v[2:3], v[40:41]
	v_mul_f64 v[32:33], v[4:5], v[40:41]
	s_waitcnt vmcnt(0) lgkmcnt(0)
	v_mul_f64 v[22:23], v[14:15], v[8:9]
	v_mul_f64 v[8:9], v[16:17], v[8:9]
	v_add_f64 v[18:19], v[18:19], v[28:29]
	v_add_f64 v[20:21], v[20:21], v[26:27]
	v_fma_f64 v[4:5], v[4:5], v[38:39], v[30:31]
	v_fma_f64 v[1:2], v[2:3], v[38:39], -v[32:33]
	v_fma_f64 v[16:17], v[16:17], v[6:7], v[22:23]
	v_fma_f64 v[6:7], v[14:15], v[6:7], -v[8:9]
	v_add_f64 v[10:11], v[18:19], v[10:11]
	v_add_f64 v[12:13], v[20:21], v[12:13]
	s_delay_alu instid0(VALU_DEP_2) | instskip(NEXT) | instid1(VALU_DEP_2)
	v_add_f64 v[1:2], v[10:11], v[1:2]
	v_add_f64 v[3:4], v[12:13], v[4:5]
	s_delay_alu instid0(VALU_DEP_2) | instskip(NEXT) | instid1(VALU_DEP_2)
	;; [unrolled: 3-line block ×3, first 2 shown]
	v_add_f64 v[1:2], v[158:159], -v[1:2]
	v_add_f64 v[3:4], v[160:161], -v[3:4]
	scratch_store_b128 off, v[1:4], off offset:384
	v_cmpx_lt_u32_e32 23, v120
	s_cbranch_execz .LBB36_189
; %bb.188:
	scratch_load_b128 v[1:4], v127, off
	v_mov_b32_e32 v5, 0
	s_delay_alu instid0(VALU_DEP_1)
	v_mov_b32_e32 v6, v5
	v_mov_b32_e32 v7, v5
	;; [unrolled: 1-line block ×3, first 2 shown]
	scratch_store_b128 off, v[5:8], off offset:368
	s_waitcnt vmcnt(0)
	ds_store_b128 v157, v[1:4]
.LBB36_189:
	s_or_b32 exec_lo, exec_lo, s2
	s_waitcnt lgkmcnt(0)
	s_waitcnt_vscnt null, 0x0
	s_barrier
	buffer_gl0_inv
	s_clause 0x7
	scratch_load_b128 v[2:5], off, off offset:384
	scratch_load_b128 v[6:9], off, off offset:400
	scratch_load_b128 v[10:13], off, off offset:416
	scratch_load_b128 v[14:17], off, off offset:432
	scratch_load_b128 v[18:21], off, off offset:448
	scratch_load_b128 v[22:25], off, off offset:464
	scratch_load_b128 v[26:29], off, off offset:480
	scratch_load_b128 v[30:33], off, off offset:496
	v_mov_b32_e32 v1, 0
	s_mov_b32 s2, exec_lo
	ds_load_b128 v[34:37], v1 offset:976
	s_clause 0x1
	scratch_load_b128 v[38:41], off, off offset:512
	scratch_load_b128 v[42:45], off, off offset:368
	ds_load_b128 v[158:161], v1 offset:992
	scratch_load_b128 v[162:165], off, off offset:528
	s_waitcnt vmcnt(10) lgkmcnt(1)
	v_mul_f64 v[166:167], v[36:37], v[4:5]
	v_mul_f64 v[4:5], v[34:35], v[4:5]
	s_delay_alu instid0(VALU_DEP_2) | instskip(NEXT) | instid1(VALU_DEP_2)
	v_fma_f64 v[172:173], v[34:35], v[2:3], -v[166:167]
	v_fma_f64 v[174:175], v[36:37], v[2:3], v[4:5]
	scratch_load_b128 v[34:37], off, off offset:544
	ds_load_b128 v[2:5], v1 offset:1008
	s_waitcnt vmcnt(10) lgkmcnt(1)
	v_mul_f64 v[170:171], v[158:159], v[8:9]
	v_mul_f64 v[8:9], v[160:161], v[8:9]
	ds_load_b128 v[166:169], v1 offset:1024
	s_waitcnt vmcnt(9) lgkmcnt(1)
	v_mul_f64 v[176:177], v[2:3], v[12:13]
	v_mul_f64 v[12:13], v[4:5], v[12:13]
	v_fma_f64 v[160:161], v[160:161], v[6:7], v[170:171]
	v_fma_f64 v[158:159], v[158:159], v[6:7], -v[8:9]
	v_add_f64 v[170:171], v[172:173], 0
	v_add_f64 v[172:173], v[174:175], 0
	scratch_load_b128 v[6:9], off, off offset:560
	v_fma_f64 v[176:177], v[4:5], v[10:11], v[176:177]
	v_fma_f64 v[178:179], v[2:3], v[10:11], -v[12:13]
	scratch_load_b128 v[10:13], off, off offset:576
	ds_load_b128 v[2:5], v1 offset:1040
	s_waitcnt vmcnt(10) lgkmcnt(1)
	v_mul_f64 v[174:175], v[166:167], v[16:17]
	v_mul_f64 v[16:17], v[168:169], v[16:17]
	v_add_f64 v[170:171], v[170:171], v[158:159]
	v_add_f64 v[172:173], v[172:173], v[160:161]
	s_waitcnt vmcnt(9) lgkmcnt(0)
	v_mul_f64 v[180:181], v[2:3], v[20:21]
	v_mul_f64 v[20:21], v[4:5], v[20:21]
	ds_load_b128 v[158:161], v1 offset:1056
	v_fma_f64 v[168:169], v[168:169], v[14:15], v[174:175]
	v_fma_f64 v[14:15], v[166:167], v[14:15], -v[16:17]
	v_add_f64 v[16:17], v[170:171], v[178:179]
	v_add_f64 v[166:167], v[172:173], v[176:177]
	s_waitcnt vmcnt(8) lgkmcnt(0)
	v_mul_f64 v[170:171], v[158:159], v[24:25]
	v_mul_f64 v[24:25], v[160:161], v[24:25]
	v_fma_f64 v[172:173], v[4:5], v[18:19], v[180:181]
	v_fma_f64 v[18:19], v[2:3], v[18:19], -v[20:21]
	v_add_f64 v[20:21], v[16:17], v[14:15]
	v_add_f64 v[166:167], v[166:167], v[168:169]
	ds_load_b128 v[2:5], v1 offset:1072
	ds_load_b128 v[14:17], v1 offset:1088
	v_fma_f64 v[160:161], v[160:161], v[22:23], v[170:171]
	v_fma_f64 v[22:23], v[158:159], v[22:23], -v[24:25]
	s_waitcnt vmcnt(7) lgkmcnt(1)
	v_mul_f64 v[168:169], v[2:3], v[28:29]
	v_mul_f64 v[28:29], v[4:5], v[28:29]
	s_waitcnt vmcnt(6) lgkmcnt(0)
	v_mul_f64 v[24:25], v[14:15], v[32:33]
	v_mul_f64 v[32:33], v[16:17], v[32:33]
	v_add_f64 v[18:19], v[20:21], v[18:19]
	v_add_f64 v[20:21], v[166:167], v[172:173]
	v_fma_f64 v[158:159], v[4:5], v[26:27], v[168:169]
	v_fma_f64 v[26:27], v[2:3], v[26:27], -v[28:29]
	v_fma_f64 v[16:17], v[16:17], v[30:31], v[24:25]
	v_fma_f64 v[14:15], v[14:15], v[30:31], -v[32:33]
	v_add_f64 v[22:23], v[18:19], v[22:23]
	v_add_f64 v[28:29], v[20:21], v[160:161]
	ds_load_b128 v[2:5], v1 offset:1104
	ds_load_b128 v[18:21], v1 offset:1120
	s_waitcnt vmcnt(5) lgkmcnt(1)
	v_mul_f64 v[160:161], v[2:3], v[40:41]
	v_mul_f64 v[40:41], v[4:5], v[40:41]
	v_add_f64 v[22:23], v[22:23], v[26:27]
	v_add_f64 v[24:25], v[28:29], v[158:159]
	s_waitcnt vmcnt(3) lgkmcnt(0)
	v_mul_f64 v[26:27], v[18:19], v[164:165]
	v_mul_f64 v[28:29], v[20:21], v[164:165]
	v_fma_f64 v[30:31], v[4:5], v[38:39], v[160:161]
	v_fma_f64 v[32:33], v[2:3], v[38:39], -v[40:41]
	v_add_f64 v[22:23], v[22:23], v[14:15]
	v_add_f64 v[24:25], v[24:25], v[16:17]
	ds_load_b128 v[2:5], v1 offset:1136
	ds_load_b128 v[14:17], v1 offset:1152
	v_fma_f64 v[20:21], v[20:21], v[162:163], v[26:27]
	v_fma_f64 v[18:19], v[18:19], v[162:163], -v[28:29]
	s_waitcnt vmcnt(2) lgkmcnt(1)
	v_mul_f64 v[38:39], v[2:3], v[36:37]
	v_mul_f64 v[36:37], v[4:5], v[36:37]
	v_add_f64 v[22:23], v[22:23], v[32:33]
	v_add_f64 v[24:25], v[24:25], v[30:31]
	s_waitcnt vmcnt(1) lgkmcnt(0)
	v_mul_f64 v[26:27], v[14:15], v[8:9]
	v_mul_f64 v[8:9], v[16:17], v[8:9]
	v_fma_f64 v[28:29], v[4:5], v[34:35], v[38:39]
	v_fma_f64 v[30:31], v[2:3], v[34:35], -v[36:37]
	ds_load_b128 v[2:5], v1 offset:1168
	v_add_f64 v[18:19], v[22:23], v[18:19]
	v_add_f64 v[20:21], v[24:25], v[20:21]
	s_waitcnt vmcnt(0) lgkmcnt(0)
	v_mul_f64 v[22:23], v[2:3], v[12:13]
	v_mul_f64 v[12:13], v[4:5], v[12:13]
	v_fma_f64 v[16:17], v[16:17], v[6:7], v[26:27]
	v_fma_f64 v[6:7], v[14:15], v[6:7], -v[8:9]
	v_add_f64 v[8:9], v[18:19], v[30:31]
	v_add_f64 v[14:15], v[20:21], v[28:29]
	v_fma_f64 v[4:5], v[4:5], v[10:11], v[22:23]
	v_fma_f64 v[2:3], v[2:3], v[10:11], -v[12:13]
	s_delay_alu instid0(VALU_DEP_4) | instskip(NEXT) | instid1(VALU_DEP_4)
	v_add_f64 v[6:7], v[8:9], v[6:7]
	v_add_f64 v[8:9], v[14:15], v[16:17]
	s_delay_alu instid0(VALU_DEP_2) | instskip(NEXT) | instid1(VALU_DEP_2)
	v_add_f64 v[2:3], v[6:7], v[2:3]
	v_add_f64 v[4:5], v[8:9], v[4:5]
	s_delay_alu instid0(VALU_DEP_2) | instskip(NEXT) | instid1(VALU_DEP_2)
	v_add_f64 v[2:3], v[42:43], -v[2:3]
	v_add_f64 v[4:5], v[44:45], -v[4:5]
	scratch_store_b128 off, v[2:5], off offset:368
	v_cmpx_lt_u32_e32 22, v120
	s_cbranch_execz .LBB36_191
; %bb.190:
	scratch_load_b128 v[5:8], v129, off
	v_mov_b32_e32 v2, v1
	v_mov_b32_e32 v3, v1
	;; [unrolled: 1-line block ×3, first 2 shown]
	scratch_store_b128 off, v[1:4], off offset:352
	s_waitcnt vmcnt(0)
	ds_store_b128 v157, v[5:8]
.LBB36_191:
	s_or_b32 exec_lo, exec_lo, s2
	s_waitcnt lgkmcnt(0)
	s_waitcnt_vscnt null, 0x0
	s_barrier
	buffer_gl0_inv
	s_clause 0x8
	scratch_load_b128 v[2:5], off, off offset:368
	scratch_load_b128 v[6:9], off, off offset:384
	scratch_load_b128 v[10:13], off, off offset:400
	scratch_load_b128 v[14:17], off, off offset:416
	scratch_load_b128 v[18:21], off, off offset:432
	scratch_load_b128 v[22:25], off, off offset:448
	scratch_load_b128 v[26:29], off, off offset:464
	scratch_load_b128 v[30:33], off, off offset:480
	scratch_load_b128 v[34:37], off, off offset:496
	ds_load_b128 v[38:41], v1 offset:960
	ds_load_b128 v[42:45], v1 offset:976
	s_clause 0x1
	scratch_load_b128 v[158:161], off, off offset:352
	scratch_load_b128 v[162:165], off, off offset:512
	s_mov_b32 s2, exec_lo
	s_waitcnt vmcnt(10) lgkmcnt(1)
	v_mul_f64 v[166:167], v[40:41], v[4:5]
	v_mul_f64 v[4:5], v[38:39], v[4:5]
	s_waitcnt vmcnt(9) lgkmcnt(0)
	v_mul_f64 v[170:171], v[42:43], v[8:9]
	v_mul_f64 v[8:9], v[44:45], v[8:9]
	s_delay_alu instid0(VALU_DEP_4) | instskip(NEXT) | instid1(VALU_DEP_4)
	v_fma_f64 v[172:173], v[38:39], v[2:3], -v[166:167]
	v_fma_f64 v[174:175], v[40:41], v[2:3], v[4:5]
	ds_load_b128 v[2:5], v1 offset:992
	ds_load_b128 v[166:169], v1 offset:1008
	scratch_load_b128 v[38:41], off, off offset:528
	v_fma_f64 v[44:45], v[44:45], v[6:7], v[170:171]
	v_fma_f64 v[42:43], v[42:43], v[6:7], -v[8:9]
	scratch_load_b128 v[6:9], off, off offset:544
	s_waitcnt vmcnt(10) lgkmcnt(1)
	v_mul_f64 v[176:177], v[2:3], v[12:13]
	v_mul_f64 v[12:13], v[4:5], v[12:13]
	v_add_f64 v[170:171], v[172:173], 0
	v_add_f64 v[172:173], v[174:175], 0
	s_waitcnt vmcnt(9) lgkmcnt(0)
	v_mul_f64 v[174:175], v[166:167], v[16:17]
	v_mul_f64 v[16:17], v[168:169], v[16:17]
	v_fma_f64 v[176:177], v[4:5], v[10:11], v[176:177]
	v_fma_f64 v[178:179], v[2:3], v[10:11], -v[12:13]
	ds_load_b128 v[2:5], v1 offset:1024
	scratch_load_b128 v[10:13], off, off offset:560
	v_add_f64 v[170:171], v[170:171], v[42:43]
	v_add_f64 v[172:173], v[172:173], v[44:45]
	ds_load_b128 v[42:45], v1 offset:1040
	v_fma_f64 v[168:169], v[168:169], v[14:15], v[174:175]
	v_fma_f64 v[166:167], v[166:167], v[14:15], -v[16:17]
	scratch_load_b128 v[14:17], off, off offset:576
	s_waitcnt vmcnt(10) lgkmcnt(1)
	v_mul_f64 v[180:181], v[2:3], v[20:21]
	v_mul_f64 v[20:21], v[4:5], v[20:21]
	s_waitcnt vmcnt(9) lgkmcnt(0)
	v_mul_f64 v[174:175], v[42:43], v[24:25]
	v_mul_f64 v[24:25], v[44:45], v[24:25]
	v_add_f64 v[170:171], v[170:171], v[178:179]
	v_add_f64 v[172:173], v[172:173], v[176:177]
	v_fma_f64 v[176:177], v[4:5], v[18:19], v[180:181]
	v_fma_f64 v[178:179], v[2:3], v[18:19], -v[20:21]
	ds_load_b128 v[2:5], v1 offset:1056
	ds_load_b128 v[18:21], v1 offset:1072
	v_fma_f64 v[44:45], v[44:45], v[22:23], v[174:175]
	v_fma_f64 v[22:23], v[42:43], v[22:23], -v[24:25]
	v_add_f64 v[166:167], v[170:171], v[166:167]
	v_add_f64 v[168:169], v[172:173], v[168:169]
	s_waitcnt vmcnt(8) lgkmcnt(1)
	v_mul_f64 v[170:171], v[2:3], v[28:29]
	v_mul_f64 v[28:29], v[4:5], v[28:29]
	s_delay_alu instid0(VALU_DEP_4) | instskip(NEXT) | instid1(VALU_DEP_4)
	v_add_f64 v[24:25], v[166:167], v[178:179]
	v_add_f64 v[42:43], v[168:169], v[176:177]
	s_waitcnt vmcnt(7) lgkmcnt(0)
	v_mul_f64 v[166:167], v[18:19], v[32:33]
	v_mul_f64 v[32:33], v[20:21], v[32:33]
	v_fma_f64 v[168:169], v[4:5], v[26:27], v[170:171]
	v_fma_f64 v[26:27], v[2:3], v[26:27], -v[28:29]
	v_add_f64 v[28:29], v[24:25], v[22:23]
	v_add_f64 v[42:43], v[42:43], v[44:45]
	ds_load_b128 v[2:5], v1 offset:1088
	ds_load_b128 v[22:25], v1 offset:1104
	v_fma_f64 v[20:21], v[20:21], v[30:31], v[166:167]
	v_fma_f64 v[18:19], v[18:19], v[30:31], -v[32:33]
	s_waitcnt vmcnt(6) lgkmcnt(1)
	v_mul_f64 v[44:45], v[2:3], v[36:37]
	v_mul_f64 v[36:37], v[4:5], v[36:37]
	s_waitcnt vmcnt(4) lgkmcnt(0)
	v_mul_f64 v[30:31], v[22:23], v[164:165]
	v_mul_f64 v[32:33], v[24:25], v[164:165]
	v_add_f64 v[26:27], v[28:29], v[26:27]
	v_add_f64 v[28:29], v[42:43], v[168:169]
	v_fma_f64 v[42:43], v[4:5], v[34:35], v[44:45]
	v_fma_f64 v[34:35], v[2:3], v[34:35], -v[36:37]
	v_fma_f64 v[24:25], v[24:25], v[162:163], v[30:31]
	v_fma_f64 v[22:23], v[22:23], v[162:163], -v[32:33]
	v_add_f64 v[26:27], v[26:27], v[18:19]
	v_add_f64 v[28:29], v[28:29], v[20:21]
	ds_load_b128 v[2:5], v1 offset:1120
	ds_load_b128 v[18:21], v1 offset:1136
	s_waitcnt vmcnt(3) lgkmcnt(1)
	v_mul_f64 v[36:37], v[2:3], v[40:41]
	v_mul_f64 v[40:41], v[4:5], v[40:41]
	s_waitcnt vmcnt(2) lgkmcnt(0)
	v_mul_f64 v[30:31], v[18:19], v[8:9]
	v_mul_f64 v[8:9], v[20:21], v[8:9]
	v_add_f64 v[26:27], v[26:27], v[34:35]
	v_add_f64 v[28:29], v[28:29], v[42:43]
	v_fma_f64 v[32:33], v[4:5], v[38:39], v[36:37]
	v_fma_f64 v[34:35], v[2:3], v[38:39], -v[40:41]
	v_fma_f64 v[20:21], v[20:21], v[6:7], v[30:31]
	v_fma_f64 v[6:7], v[18:19], v[6:7], -v[8:9]
	v_add_f64 v[26:27], v[26:27], v[22:23]
	v_add_f64 v[28:29], v[28:29], v[24:25]
	ds_load_b128 v[2:5], v1 offset:1152
	ds_load_b128 v[22:25], v1 offset:1168
	s_waitcnt vmcnt(1) lgkmcnt(1)
	v_mul_f64 v[36:37], v[2:3], v[12:13]
	v_mul_f64 v[12:13], v[4:5], v[12:13]
	v_add_f64 v[8:9], v[26:27], v[34:35]
	v_add_f64 v[18:19], v[28:29], v[32:33]
	s_waitcnt vmcnt(0) lgkmcnt(0)
	v_mul_f64 v[26:27], v[22:23], v[16:17]
	v_mul_f64 v[16:17], v[24:25], v[16:17]
	v_fma_f64 v[4:5], v[4:5], v[10:11], v[36:37]
	v_fma_f64 v[1:2], v[2:3], v[10:11], -v[12:13]
	v_add_f64 v[6:7], v[8:9], v[6:7]
	v_add_f64 v[8:9], v[18:19], v[20:21]
	v_fma_f64 v[10:11], v[24:25], v[14:15], v[26:27]
	v_fma_f64 v[12:13], v[22:23], v[14:15], -v[16:17]
	s_delay_alu instid0(VALU_DEP_4) | instskip(NEXT) | instid1(VALU_DEP_4)
	v_add_f64 v[1:2], v[6:7], v[1:2]
	v_add_f64 v[3:4], v[8:9], v[4:5]
	s_delay_alu instid0(VALU_DEP_2) | instskip(NEXT) | instid1(VALU_DEP_2)
	v_add_f64 v[1:2], v[1:2], v[12:13]
	v_add_f64 v[3:4], v[3:4], v[10:11]
	s_delay_alu instid0(VALU_DEP_2) | instskip(NEXT) | instid1(VALU_DEP_2)
	v_add_f64 v[1:2], v[158:159], -v[1:2]
	v_add_f64 v[3:4], v[160:161], -v[3:4]
	scratch_store_b128 off, v[1:4], off offset:352
	v_cmpx_lt_u32_e32 21, v120
	s_cbranch_execz .LBB36_193
; %bb.192:
	scratch_load_b128 v[1:4], v130, off
	v_mov_b32_e32 v5, 0
	s_delay_alu instid0(VALU_DEP_1)
	v_mov_b32_e32 v6, v5
	v_mov_b32_e32 v7, v5
	v_mov_b32_e32 v8, v5
	scratch_store_b128 off, v[5:8], off offset:336
	s_waitcnt vmcnt(0)
	ds_store_b128 v157, v[1:4]
.LBB36_193:
	s_or_b32 exec_lo, exec_lo, s2
	s_waitcnt lgkmcnt(0)
	s_waitcnt_vscnt null, 0x0
	s_barrier
	buffer_gl0_inv
	s_clause 0x7
	scratch_load_b128 v[2:5], off, off offset:352
	scratch_load_b128 v[6:9], off, off offset:368
	;; [unrolled: 1-line block ×8, first 2 shown]
	v_mov_b32_e32 v1, 0
	s_mov_b32 s2, exec_lo
	ds_load_b128 v[34:37], v1 offset:944
	s_clause 0x1
	scratch_load_b128 v[38:41], off, off offset:480
	scratch_load_b128 v[42:45], off, off offset:336
	ds_load_b128 v[158:161], v1 offset:960
	scratch_load_b128 v[162:165], off, off offset:496
	s_waitcnt vmcnt(10) lgkmcnt(1)
	v_mul_f64 v[166:167], v[36:37], v[4:5]
	v_mul_f64 v[4:5], v[34:35], v[4:5]
	s_delay_alu instid0(VALU_DEP_2) | instskip(NEXT) | instid1(VALU_DEP_2)
	v_fma_f64 v[172:173], v[34:35], v[2:3], -v[166:167]
	v_fma_f64 v[174:175], v[36:37], v[2:3], v[4:5]
	scratch_load_b128 v[34:37], off, off offset:512
	ds_load_b128 v[2:5], v1 offset:976
	s_waitcnt vmcnt(10) lgkmcnt(1)
	v_mul_f64 v[170:171], v[158:159], v[8:9]
	v_mul_f64 v[8:9], v[160:161], v[8:9]
	ds_load_b128 v[166:169], v1 offset:992
	s_waitcnt vmcnt(9) lgkmcnt(1)
	v_mul_f64 v[176:177], v[2:3], v[12:13]
	v_mul_f64 v[12:13], v[4:5], v[12:13]
	v_fma_f64 v[160:161], v[160:161], v[6:7], v[170:171]
	v_fma_f64 v[158:159], v[158:159], v[6:7], -v[8:9]
	v_add_f64 v[170:171], v[172:173], 0
	v_add_f64 v[172:173], v[174:175], 0
	scratch_load_b128 v[6:9], off, off offset:528
	v_fma_f64 v[176:177], v[4:5], v[10:11], v[176:177]
	v_fma_f64 v[178:179], v[2:3], v[10:11], -v[12:13]
	scratch_load_b128 v[10:13], off, off offset:544
	ds_load_b128 v[2:5], v1 offset:1008
	s_waitcnt vmcnt(10) lgkmcnt(1)
	v_mul_f64 v[174:175], v[166:167], v[16:17]
	v_mul_f64 v[16:17], v[168:169], v[16:17]
	v_add_f64 v[170:171], v[170:171], v[158:159]
	v_add_f64 v[172:173], v[172:173], v[160:161]
	s_waitcnt vmcnt(9) lgkmcnt(0)
	v_mul_f64 v[180:181], v[2:3], v[20:21]
	v_mul_f64 v[20:21], v[4:5], v[20:21]
	ds_load_b128 v[158:161], v1 offset:1024
	v_fma_f64 v[168:169], v[168:169], v[14:15], v[174:175]
	v_fma_f64 v[166:167], v[166:167], v[14:15], -v[16:17]
	scratch_load_b128 v[14:17], off, off offset:560
	v_add_f64 v[170:171], v[170:171], v[178:179]
	v_add_f64 v[172:173], v[172:173], v[176:177]
	v_fma_f64 v[176:177], v[4:5], v[18:19], v[180:181]
	v_fma_f64 v[178:179], v[2:3], v[18:19], -v[20:21]
	scratch_load_b128 v[18:21], off, off offset:576
	ds_load_b128 v[2:5], v1 offset:1040
	s_waitcnt vmcnt(10) lgkmcnt(1)
	v_mul_f64 v[174:175], v[158:159], v[24:25]
	v_mul_f64 v[24:25], v[160:161], v[24:25]
	s_waitcnt vmcnt(9) lgkmcnt(0)
	v_mul_f64 v[180:181], v[2:3], v[28:29]
	v_mul_f64 v[28:29], v[4:5], v[28:29]
	v_add_f64 v[170:171], v[170:171], v[166:167]
	v_add_f64 v[172:173], v[172:173], v[168:169]
	ds_load_b128 v[166:169], v1 offset:1056
	v_fma_f64 v[160:161], v[160:161], v[22:23], v[174:175]
	v_fma_f64 v[22:23], v[158:159], v[22:23], -v[24:25]
	v_add_f64 v[24:25], v[170:171], v[178:179]
	v_add_f64 v[158:159], v[172:173], v[176:177]
	s_waitcnt vmcnt(8) lgkmcnt(0)
	v_mul_f64 v[170:171], v[166:167], v[32:33]
	v_mul_f64 v[32:33], v[168:169], v[32:33]
	v_fma_f64 v[172:173], v[4:5], v[26:27], v[180:181]
	v_fma_f64 v[26:27], v[2:3], v[26:27], -v[28:29]
	v_add_f64 v[28:29], v[24:25], v[22:23]
	v_add_f64 v[158:159], v[158:159], v[160:161]
	ds_load_b128 v[2:5], v1 offset:1072
	ds_load_b128 v[22:25], v1 offset:1088
	v_fma_f64 v[168:169], v[168:169], v[30:31], v[170:171]
	v_fma_f64 v[30:31], v[166:167], v[30:31], -v[32:33]
	s_waitcnt vmcnt(7) lgkmcnt(1)
	v_mul_f64 v[160:161], v[2:3], v[40:41]
	v_mul_f64 v[40:41], v[4:5], v[40:41]
	s_waitcnt vmcnt(5) lgkmcnt(0)
	v_mul_f64 v[32:33], v[22:23], v[164:165]
	v_add_f64 v[26:27], v[28:29], v[26:27]
	v_add_f64 v[28:29], v[158:159], v[172:173]
	v_mul_f64 v[158:159], v[24:25], v[164:165]
	v_fma_f64 v[160:161], v[4:5], v[38:39], v[160:161]
	v_fma_f64 v[38:39], v[2:3], v[38:39], -v[40:41]
	v_fma_f64 v[24:25], v[24:25], v[162:163], v[32:33]
	v_add_f64 v[30:31], v[26:27], v[30:31]
	v_add_f64 v[40:41], v[28:29], v[168:169]
	ds_load_b128 v[2:5], v1 offset:1104
	ds_load_b128 v[26:29], v1 offset:1120
	v_fma_f64 v[22:23], v[22:23], v[162:163], -v[158:159]
	s_waitcnt vmcnt(4) lgkmcnt(1)
	v_mul_f64 v[164:165], v[2:3], v[36:37]
	v_mul_f64 v[36:37], v[4:5], v[36:37]
	v_add_f64 v[30:31], v[30:31], v[38:39]
	v_add_f64 v[32:33], v[40:41], v[160:161]
	s_waitcnt vmcnt(3) lgkmcnt(0)
	v_mul_f64 v[38:39], v[26:27], v[8:9]
	v_mul_f64 v[8:9], v[28:29], v[8:9]
	v_fma_f64 v[40:41], v[4:5], v[34:35], v[164:165]
	v_fma_f64 v[34:35], v[2:3], v[34:35], -v[36:37]
	v_add_f64 v[30:31], v[30:31], v[22:23]
	v_add_f64 v[32:33], v[32:33], v[24:25]
	ds_load_b128 v[2:5], v1 offset:1136
	ds_load_b128 v[22:25], v1 offset:1152
	v_fma_f64 v[28:29], v[28:29], v[6:7], v[38:39]
	v_fma_f64 v[6:7], v[26:27], v[6:7], -v[8:9]
	s_waitcnt vmcnt(2) lgkmcnt(1)
	v_mul_f64 v[36:37], v[2:3], v[12:13]
	v_mul_f64 v[12:13], v[4:5], v[12:13]
	v_add_f64 v[8:9], v[30:31], v[34:35]
	v_add_f64 v[26:27], v[32:33], v[40:41]
	s_waitcnt vmcnt(1) lgkmcnt(0)
	v_mul_f64 v[30:31], v[22:23], v[16:17]
	v_mul_f64 v[16:17], v[24:25], v[16:17]
	v_fma_f64 v[32:33], v[4:5], v[10:11], v[36:37]
	v_fma_f64 v[10:11], v[2:3], v[10:11], -v[12:13]
	ds_load_b128 v[2:5], v1 offset:1168
	v_add_f64 v[6:7], v[8:9], v[6:7]
	v_add_f64 v[8:9], v[26:27], v[28:29]
	v_fma_f64 v[24:25], v[24:25], v[14:15], v[30:31]
	v_fma_f64 v[14:15], v[22:23], v[14:15], -v[16:17]
	s_waitcnt vmcnt(0) lgkmcnt(0)
	v_mul_f64 v[12:13], v[2:3], v[20:21]
	v_mul_f64 v[20:21], v[4:5], v[20:21]
	v_add_f64 v[6:7], v[6:7], v[10:11]
	v_add_f64 v[8:9], v[8:9], v[32:33]
	s_delay_alu instid0(VALU_DEP_4) | instskip(NEXT) | instid1(VALU_DEP_4)
	v_fma_f64 v[4:5], v[4:5], v[18:19], v[12:13]
	v_fma_f64 v[2:3], v[2:3], v[18:19], -v[20:21]
	s_delay_alu instid0(VALU_DEP_4) | instskip(NEXT) | instid1(VALU_DEP_4)
	v_add_f64 v[6:7], v[6:7], v[14:15]
	v_add_f64 v[8:9], v[8:9], v[24:25]
	s_delay_alu instid0(VALU_DEP_2) | instskip(NEXT) | instid1(VALU_DEP_2)
	v_add_f64 v[2:3], v[6:7], v[2:3]
	v_add_f64 v[4:5], v[8:9], v[4:5]
	s_delay_alu instid0(VALU_DEP_2) | instskip(NEXT) | instid1(VALU_DEP_2)
	v_add_f64 v[2:3], v[42:43], -v[2:3]
	v_add_f64 v[4:5], v[44:45], -v[4:5]
	scratch_store_b128 off, v[2:5], off offset:336
	v_cmpx_lt_u32_e32 20, v120
	s_cbranch_execz .LBB36_195
; %bb.194:
	scratch_load_b128 v[5:8], v131, off
	v_mov_b32_e32 v2, v1
	v_mov_b32_e32 v3, v1
	;; [unrolled: 1-line block ×3, first 2 shown]
	scratch_store_b128 off, v[1:4], off offset:320
	s_waitcnt vmcnt(0)
	ds_store_b128 v157, v[5:8]
.LBB36_195:
	s_or_b32 exec_lo, exec_lo, s2
	s_waitcnt lgkmcnt(0)
	s_waitcnt_vscnt null, 0x0
	s_barrier
	buffer_gl0_inv
	s_clause 0x8
	scratch_load_b128 v[2:5], off, off offset:336
	scratch_load_b128 v[6:9], off, off offset:352
	;; [unrolled: 1-line block ×9, first 2 shown]
	ds_load_b128 v[38:41], v1 offset:928
	ds_load_b128 v[42:45], v1 offset:944
	s_clause 0x1
	scratch_load_b128 v[158:161], off, off offset:320
	scratch_load_b128 v[162:165], off, off offset:480
	s_mov_b32 s2, exec_lo
	s_waitcnt vmcnt(10) lgkmcnt(1)
	v_mul_f64 v[166:167], v[40:41], v[4:5]
	v_mul_f64 v[4:5], v[38:39], v[4:5]
	s_waitcnt vmcnt(9) lgkmcnt(0)
	v_mul_f64 v[170:171], v[42:43], v[8:9]
	v_mul_f64 v[8:9], v[44:45], v[8:9]
	s_delay_alu instid0(VALU_DEP_4) | instskip(NEXT) | instid1(VALU_DEP_4)
	v_fma_f64 v[172:173], v[38:39], v[2:3], -v[166:167]
	v_fma_f64 v[174:175], v[40:41], v[2:3], v[4:5]
	ds_load_b128 v[2:5], v1 offset:960
	ds_load_b128 v[166:169], v1 offset:976
	scratch_load_b128 v[38:41], off, off offset:496
	v_fma_f64 v[44:45], v[44:45], v[6:7], v[170:171]
	v_fma_f64 v[42:43], v[42:43], v[6:7], -v[8:9]
	scratch_load_b128 v[6:9], off, off offset:512
	s_waitcnt vmcnt(10) lgkmcnt(1)
	v_mul_f64 v[176:177], v[2:3], v[12:13]
	v_mul_f64 v[12:13], v[4:5], v[12:13]
	v_add_f64 v[170:171], v[172:173], 0
	v_add_f64 v[172:173], v[174:175], 0
	s_waitcnt vmcnt(9) lgkmcnt(0)
	v_mul_f64 v[174:175], v[166:167], v[16:17]
	v_mul_f64 v[16:17], v[168:169], v[16:17]
	v_fma_f64 v[176:177], v[4:5], v[10:11], v[176:177]
	v_fma_f64 v[178:179], v[2:3], v[10:11], -v[12:13]
	ds_load_b128 v[2:5], v1 offset:992
	scratch_load_b128 v[10:13], off, off offset:528
	v_add_f64 v[170:171], v[170:171], v[42:43]
	v_add_f64 v[172:173], v[172:173], v[44:45]
	ds_load_b128 v[42:45], v1 offset:1008
	v_fma_f64 v[168:169], v[168:169], v[14:15], v[174:175]
	v_fma_f64 v[166:167], v[166:167], v[14:15], -v[16:17]
	scratch_load_b128 v[14:17], off, off offset:544
	s_waitcnt vmcnt(10) lgkmcnt(1)
	v_mul_f64 v[180:181], v[2:3], v[20:21]
	v_mul_f64 v[20:21], v[4:5], v[20:21]
	s_waitcnt vmcnt(9) lgkmcnt(0)
	v_mul_f64 v[174:175], v[42:43], v[24:25]
	v_mul_f64 v[24:25], v[44:45], v[24:25]
	v_add_f64 v[170:171], v[170:171], v[178:179]
	v_add_f64 v[172:173], v[172:173], v[176:177]
	v_fma_f64 v[176:177], v[4:5], v[18:19], v[180:181]
	v_fma_f64 v[178:179], v[2:3], v[18:19], -v[20:21]
	ds_load_b128 v[2:5], v1 offset:1024
	scratch_load_b128 v[18:21], off, off offset:560
	v_fma_f64 v[44:45], v[44:45], v[22:23], v[174:175]
	v_fma_f64 v[42:43], v[42:43], v[22:23], -v[24:25]
	scratch_load_b128 v[22:25], off, off offset:576
	v_add_f64 v[170:171], v[170:171], v[166:167]
	v_add_f64 v[172:173], v[172:173], v[168:169]
	ds_load_b128 v[166:169], v1 offset:1040
	s_waitcnt vmcnt(10) lgkmcnt(1)
	v_mul_f64 v[180:181], v[2:3], v[28:29]
	v_mul_f64 v[28:29], v[4:5], v[28:29]
	s_waitcnt vmcnt(9) lgkmcnt(0)
	v_mul_f64 v[174:175], v[166:167], v[32:33]
	v_mul_f64 v[32:33], v[168:169], v[32:33]
	v_add_f64 v[170:171], v[170:171], v[178:179]
	v_add_f64 v[172:173], v[172:173], v[176:177]
	v_fma_f64 v[176:177], v[4:5], v[26:27], v[180:181]
	v_fma_f64 v[178:179], v[2:3], v[26:27], -v[28:29]
	ds_load_b128 v[2:5], v1 offset:1056
	ds_load_b128 v[26:29], v1 offset:1072
	v_fma_f64 v[168:169], v[168:169], v[30:31], v[174:175]
	v_fma_f64 v[30:31], v[166:167], v[30:31], -v[32:33]
	v_add_f64 v[42:43], v[170:171], v[42:43]
	v_add_f64 v[44:45], v[172:173], v[44:45]
	s_waitcnt vmcnt(8) lgkmcnt(1)
	v_mul_f64 v[170:171], v[2:3], v[36:37]
	v_mul_f64 v[36:37], v[4:5], v[36:37]
	s_delay_alu instid0(VALU_DEP_4) | instskip(NEXT) | instid1(VALU_DEP_4)
	v_add_f64 v[32:33], v[42:43], v[178:179]
	v_add_f64 v[42:43], v[44:45], v[176:177]
	s_waitcnt vmcnt(6) lgkmcnt(0)
	v_mul_f64 v[44:45], v[26:27], v[164:165]
	v_mul_f64 v[164:165], v[28:29], v[164:165]
	v_fma_f64 v[166:167], v[4:5], v[34:35], v[170:171]
	v_fma_f64 v[34:35], v[2:3], v[34:35], -v[36:37]
	v_add_f64 v[36:37], v[32:33], v[30:31]
	v_add_f64 v[42:43], v[42:43], v[168:169]
	ds_load_b128 v[2:5], v1 offset:1088
	ds_load_b128 v[30:33], v1 offset:1104
	v_fma_f64 v[28:29], v[28:29], v[162:163], v[44:45]
	v_fma_f64 v[26:27], v[26:27], v[162:163], -v[164:165]
	s_waitcnt vmcnt(5) lgkmcnt(1)
	v_mul_f64 v[168:169], v[2:3], v[40:41]
	v_mul_f64 v[40:41], v[4:5], v[40:41]
	v_add_f64 v[34:35], v[36:37], v[34:35]
	v_add_f64 v[36:37], v[42:43], v[166:167]
	s_waitcnt vmcnt(4) lgkmcnt(0)
	v_mul_f64 v[42:43], v[30:31], v[8:9]
	v_mul_f64 v[8:9], v[32:33], v[8:9]
	v_fma_f64 v[44:45], v[4:5], v[38:39], v[168:169]
	v_fma_f64 v[38:39], v[2:3], v[38:39], -v[40:41]
	v_add_f64 v[34:35], v[34:35], v[26:27]
	v_add_f64 v[36:37], v[36:37], v[28:29]
	ds_load_b128 v[2:5], v1 offset:1120
	ds_load_b128 v[26:29], v1 offset:1136
	v_fma_f64 v[32:33], v[32:33], v[6:7], v[42:43]
	v_fma_f64 v[6:7], v[30:31], v[6:7], -v[8:9]
	s_waitcnt vmcnt(3) lgkmcnt(1)
	v_mul_f64 v[40:41], v[2:3], v[12:13]
	v_mul_f64 v[12:13], v[4:5], v[12:13]
	v_add_f64 v[8:9], v[34:35], v[38:39]
	v_add_f64 v[30:31], v[36:37], v[44:45]
	s_waitcnt vmcnt(2) lgkmcnt(0)
	v_mul_f64 v[34:35], v[26:27], v[16:17]
	v_mul_f64 v[16:17], v[28:29], v[16:17]
	v_fma_f64 v[36:37], v[4:5], v[10:11], v[40:41]
	v_fma_f64 v[10:11], v[2:3], v[10:11], -v[12:13]
	v_add_f64 v[12:13], v[8:9], v[6:7]
	v_add_f64 v[30:31], v[30:31], v[32:33]
	ds_load_b128 v[2:5], v1 offset:1152
	ds_load_b128 v[6:9], v1 offset:1168
	v_fma_f64 v[28:29], v[28:29], v[14:15], v[34:35]
	v_fma_f64 v[14:15], v[26:27], v[14:15], -v[16:17]
	s_waitcnt vmcnt(1) lgkmcnt(1)
	v_mul_f64 v[32:33], v[2:3], v[20:21]
	v_mul_f64 v[20:21], v[4:5], v[20:21]
	s_waitcnt vmcnt(0) lgkmcnt(0)
	v_mul_f64 v[16:17], v[6:7], v[24:25]
	v_mul_f64 v[24:25], v[8:9], v[24:25]
	v_add_f64 v[10:11], v[12:13], v[10:11]
	v_add_f64 v[12:13], v[30:31], v[36:37]
	v_fma_f64 v[4:5], v[4:5], v[18:19], v[32:33]
	v_fma_f64 v[1:2], v[2:3], v[18:19], -v[20:21]
	v_fma_f64 v[8:9], v[8:9], v[22:23], v[16:17]
	v_fma_f64 v[6:7], v[6:7], v[22:23], -v[24:25]
	v_add_f64 v[10:11], v[10:11], v[14:15]
	v_add_f64 v[12:13], v[12:13], v[28:29]
	s_delay_alu instid0(VALU_DEP_2) | instskip(NEXT) | instid1(VALU_DEP_2)
	v_add_f64 v[1:2], v[10:11], v[1:2]
	v_add_f64 v[3:4], v[12:13], v[4:5]
	s_delay_alu instid0(VALU_DEP_2) | instskip(NEXT) | instid1(VALU_DEP_2)
	;; [unrolled: 3-line block ×3, first 2 shown]
	v_add_f64 v[1:2], v[158:159], -v[1:2]
	v_add_f64 v[3:4], v[160:161], -v[3:4]
	scratch_store_b128 off, v[1:4], off offset:320
	v_cmpx_lt_u32_e32 19, v120
	s_cbranch_execz .LBB36_197
; %bb.196:
	scratch_load_b128 v[1:4], v133, off
	v_mov_b32_e32 v5, 0
	s_delay_alu instid0(VALU_DEP_1)
	v_mov_b32_e32 v6, v5
	v_mov_b32_e32 v7, v5
	;; [unrolled: 1-line block ×3, first 2 shown]
	scratch_store_b128 off, v[5:8], off offset:304
	s_waitcnt vmcnt(0)
	ds_store_b128 v157, v[1:4]
.LBB36_197:
	s_or_b32 exec_lo, exec_lo, s2
	s_waitcnt lgkmcnt(0)
	s_waitcnt_vscnt null, 0x0
	s_barrier
	buffer_gl0_inv
	s_clause 0x7
	scratch_load_b128 v[2:5], off, off offset:320
	scratch_load_b128 v[6:9], off, off offset:336
	;; [unrolled: 1-line block ×8, first 2 shown]
	v_mov_b32_e32 v1, 0
	s_mov_b32 s2, exec_lo
	ds_load_b128 v[34:37], v1 offset:912
	s_clause 0x1
	scratch_load_b128 v[38:41], off, off offset:448
	scratch_load_b128 v[42:45], off, off offset:304
	ds_load_b128 v[158:161], v1 offset:928
	scratch_load_b128 v[162:165], off, off offset:464
	s_waitcnt vmcnt(10) lgkmcnt(1)
	v_mul_f64 v[166:167], v[36:37], v[4:5]
	v_mul_f64 v[4:5], v[34:35], v[4:5]
	s_delay_alu instid0(VALU_DEP_2) | instskip(NEXT) | instid1(VALU_DEP_2)
	v_fma_f64 v[172:173], v[34:35], v[2:3], -v[166:167]
	v_fma_f64 v[174:175], v[36:37], v[2:3], v[4:5]
	scratch_load_b128 v[34:37], off, off offset:480
	ds_load_b128 v[2:5], v1 offset:944
	s_waitcnt vmcnt(10) lgkmcnt(1)
	v_mul_f64 v[170:171], v[158:159], v[8:9]
	v_mul_f64 v[8:9], v[160:161], v[8:9]
	ds_load_b128 v[166:169], v1 offset:960
	s_waitcnt vmcnt(9) lgkmcnt(1)
	v_mul_f64 v[176:177], v[2:3], v[12:13]
	v_mul_f64 v[12:13], v[4:5], v[12:13]
	v_fma_f64 v[160:161], v[160:161], v[6:7], v[170:171]
	v_fma_f64 v[158:159], v[158:159], v[6:7], -v[8:9]
	v_add_f64 v[170:171], v[172:173], 0
	v_add_f64 v[172:173], v[174:175], 0
	scratch_load_b128 v[6:9], off, off offset:496
	v_fma_f64 v[176:177], v[4:5], v[10:11], v[176:177]
	v_fma_f64 v[178:179], v[2:3], v[10:11], -v[12:13]
	scratch_load_b128 v[10:13], off, off offset:512
	ds_load_b128 v[2:5], v1 offset:976
	s_waitcnt vmcnt(10) lgkmcnt(1)
	v_mul_f64 v[174:175], v[166:167], v[16:17]
	v_mul_f64 v[16:17], v[168:169], v[16:17]
	v_add_f64 v[170:171], v[170:171], v[158:159]
	v_add_f64 v[172:173], v[172:173], v[160:161]
	s_waitcnt vmcnt(9) lgkmcnt(0)
	v_mul_f64 v[180:181], v[2:3], v[20:21]
	v_mul_f64 v[20:21], v[4:5], v[20:21]
	ds_load_b128 v[158:161], v1 offset:992
	v_fma_f64 v[168:169], v[168:169], v[14:15], v[174:175]
	v_fma_f64 v[166:167], v[166:167], v[14:15], -v[16:17]
	scratch_load_b128 v[14:17], off, off offset:528
	v_add_f64 v[170:171], v[170:171], v[178:179]
	v_add_f64 v[172:173], v[172:173], v[176:177]
	v_fma_f64 v[176:177], v[4:5], v[18:19], v[180:181]
	v_fma_f64 v[178:179], v[2:3], v[18:19], -v[20:21]
	scratch_load_b128 v[18:21], off, off offset:544
	ds_load_b128 v[2:5], v1 offset:1008
	s_waitcnt vmcnt(10) lgkmcnt(1)
	v_mul_f64 v[174:175], v[158:159], v[24:25]
	v_mul_f64 v[24:25], v[160:161], v[24:25]
	s_waitcnt vmcnt(9) lgkmcnt(0)
	v_mul_f64 v[180:181], v[2:3], v[28:29]
	v_mul_f64 v[28:29], v[4:5], v[28:29]
	v_add_f64 v[170:171], v[170:171], v[166:167]
	v_add_f64 v[172:173], v[172:173], v[168:169]
	ds_load_b128 v[166:169], v1 offset:1024
	v_fma_f64 v[160:161], v[160:161], v[22:23], v[174:175]
	v_fma_f64 v[158:159], v[158:159], v[22:23], -v[24:25]
	scratch_load_b128 v[22:25], off, off offset:560
	v_add_f64 v[170:171], v[170:171], v[178:179]
	v_add_f64 v[172:173], v[172:173], v[176:177]
	v_fma_f64 v[176:177], v[4:5], v[26:27], v[180:181]
	v_fma_f64 v[178:179], v[2:3], v[26:27], -v[28:29]
	scratch_load_b128 v[26:29], off, off offset:576
	ds_load_b128 v[2:5], v1 offset:1040
	s_waitcnt vmcnt(10) lgkmcnt(1)
	v_mul_f64 v[174:175], v[166:167], v[32:33]
	v_mul_f64 v[32:33], v[168:169], v[32:33]
	s_waitcnt vmcnt(9) lgkmcnt(0)
	v_mul_f64 v[180:181], v[2:3], v[40:41]
	v_mul_f64 v[40:41], v[4:5], v[40:41]
	v_add_f64 v[170:171], v[170:171], v[158:159]
	v_add_f64 v[172:173], v[172:173], v[160:161]
	ds_load_b128 v[158:161], v1 offset:1056
	v_fma_f64 v[168:169], v[168:169], v[30:31], v[174:175]
	v_fma_f64 v[30:31], v[166:167], v[30:31], -v[32:33]
	v_add_f64 v[32:33], v[170:171], v[178:179]
	v_add_f64 v[166:167], v[172:173], v[176:177]
	s_waitcnt vmcnt(7) lgkmcnt(0)
	v_mul_f64 v[170:171], v[158:159], v[164:165]
	v_mul_f64 v[164:165], v[160:161], v[164:165]
	v_fma_f64 v[172:173], v[4:5], v[38:39], v[180:181]
	v_fma_f64 v[38:39], v[2:3], v[38:39], -v[40:41]
	v_add_f64 v[40:41], v[32:33], v[30:31]
	v_add_f64 v[166:167], v[166:167], v[168:169]
	ds_load_b128 v[2:5], v1 offset:1072
	ds_load_b128 v[30:33], v1 offset:1088
	v_fma_f64 v[160:161], v[160:161], v[162:163], v[170:171]
	v_fma_f64 v[158:159], v[158:159], v[162:163], -v[164:165]
	s_waitcnt vmcnt(6) lgkmcnt(1)
	v_mul_f64 v[168:169], v[2:3], v[36:37]
	v_mul_f64 v[36:37], v[4:5], v[36:37]
	v_add_f64 v[38:39], v[40:41], v[38:39]
	v_add_f64 v[40:41], v[166:167], v[172:173]
	s_waitcnt vmcnt(5) lgkmcnt(0)
	v_mul_f64 v[162:163], v[30:31], v[8:9]
	v_mul_f64 v[8:9], v[32:33], v[8:9]
	v_fma_f64 v[164:165], v[4:5], v[34:35], v[168:169]
	v_fma_f64 v[166:167], v[2:3], v[34:35], -v[36:37]
	ds_load_b128 v[2:5], v1 offset:1104
	ds_load_b128 v[34:37], v1 offset:1120
	v_add_f64 v[38:39], v[38:39], v[158:159]
	v_add_f64 v[40:41], v[40:41], v[160:161]
	s_waitcnt vmcnt(4) lgkmcnt(1)
	v_mul_f64 v[158:159], v[2:3], v[12:13]
	v_mul_f64 v[12:13], v[4:5], v[12:13]
	v_fma_f64 v[32:33], v[32:33], v[6:7], v[162:163]
	v_fma_f64 v[6:7], v[30:31], v[6:7], -v[8:9]
	v_add_f64 v[8:9], v[38:39], v[166:167]
	v_add_f64 v[30:31], v[40:41], v[164:165]
	s_waitcnt vmcnt(3) lgkmcnt(0)
	v_mul_f64 v[38:39], v[34:35], v[16:17]
	v_mul_f64 v[16:17], v[36:37], v[16:17]
	v_fma_f64 v[40:41], v[4:5], v[10:11], v[158:159]
	v_fma_f64 v[10:11], v[2:3], v[10:11], -v[12:13]
	v_add_f64 v[12:13], v[8:9], v[6:7]
	v_add_f64 v[30:31], v[30:31], v[32:33]
	ds_load_b128 v[2:5], v1 offset:1136
	ds_load_b128 v[6:9], v1 offset:1152
	v_fma_f64 v[36:37], v[36:37], v[14:15], v[38:39]
	v_fma_f64 v[14:15], v[34:35], v[14:15], -v[16:17]
	s_waitcnt vmcnt(2) lgkmcnt(1)
	v_mul_f64 v[32:33], v[2:3], v[20:21]
	v_mul_f64 v[20:21], v[4:5], v[20:21]
	s_waitcnt vmcnt(1) lgkmcnt(0)
	v_mul_f64 v[16:17], v[6:7], v[24:25]
	v_mul_f64 v[24:25], v[8:9], v[24:25]
	v_add_f64 v[10:11], v[12:13], v[10:11]
	v_add_f64 v[12:13], v[30:31], v[40:41]
	v_fma_f64 v[30:31], v[4:5], v[18:19], v[32:33]
	v_fma_f64 v[18:19], v[2:3], v[18:19], -v[20:21]
	ds_load_b128 v[2:5], v1 offset:1168
	v_fma_f64 v[8:9], v[8:9], v[22:23], v[16:17]
	v_fma_f64 v[6:7], v[6:7], v[22:23], -v[24:25]
	v_add_f64 v[10:11], v[10:11], v[14:15]
	v_add_f64 v[12:13], v[12:13], v[36:37]
	s_waitcnt vmcnt(0) lgkmcnt(0)
	v_mul_f64 v[14:15], v[2:3], v[28:29]
	v_mul_f64 v[20:21], v[4:5], v[28:29]
	s_delay_alu instid0(VALU_DEP_4) | instskip(NEXT) | instid1(VALU_DEP_4)
	v_add_f64 v[10:11], v[10:11], v[18:19]
	v_add_f64 v[12:13], v[12:13], v[30:31]
	s_delay_alu instid0(VALU_DEP_4) | instskip(NEXT) | instid1(VALU_DEP_4)
	v_fma_f64 v[4:5], v[4:5], v[26:27], v[14:15]
	v_fma_f64 v[2:3], v[2:3], v[26:27], -v[20:21]
	s_delay_alu instid0(VALU_DEP_4) | instskip(NEXT) | instid1(VALU_DEP_4)
	v_add_f64 v[6:7], v[10:11], v[6:7]
	v_add_f64 v[8:9], v[12:13], v[8:9]
	s_delay_alu instid0(VALU_DEP_2) | instskip(NEXT) | instid1(VALU_DEP_2)
	v_add_f64 v[2:3], v[6:7], v[2:3]
	v_add_f64 v[4:5], v[8:9], v[4:5]
	s_delay_alu instid0(VALU_DEP_2) | instskip(NEXT) | instid1(VALU_DEP_2)
	v_add_f64 v[2:3], v[42:43], -v[2:3]
	v_add_f64 v[4:5], v[44:45], -v[4:5]
	scratch_store_b128 off, v[2:5], off offset:304
	v_cmpx_lt_u32_e32 18, v120
	s_cbranch_execz .LBB36_199
; %bb.198:
	scratch_load_b128 v[5:8], v135, off
	v_mov_b32_e32 v2, v1
	v_mov_b32_e32 v3, v1
	;; [unrolled: 1-line block ×3, first 2 shown]
	scratch_store_b128 off, v[1:4], off offset:288
	s_waitcnt vmcnt(0)
	ds_store_b128 v157, v[5:8]
.LBB36_199:
	s_or_b32 exec_lo, exec_lo, s2
	s_waitcnt lgkmcnt(0)
	s_waitcnt_vscnt null, 0x0
	s_barrier
	buffer_gl0_inv
	s_clause 0x8
	scratch_load_b128 v[2:5], off, off offset:304
	scratch_load_b128 v[6:9], off, off offset:320
	;; [unrolled: 1-line block ×9, first 2 shown]
	ds_load_b128 v[38:41], v1 offset:896
	ds_load_b128 v[42:45], v1 offset:912
	s_clause 0x1
	scratch_load_b128 v[158:161], off, off offset:288
	scratch_load_b128 v[162:165], off, off offset:448
	s_mov_b32 s2, exec_lo
	s_waitcnt vmcnt(10) lgkmcnt(1)
	v_mul_f64 v[166:167], v[40:41], v[4:5]
	v_mul_f64 v[4:5], v[38:39], v[4:5]
	s_waitcnt vmcnt(9) lgkmcnt(0)
	v_mul_f64 v[170:171], v[42:43], v[8:9]
	v_mul_f64 v[8:9], v[44:45], v[8:9]
	s_delay_alu instid0(VALU_DEP_4) | instskip(NEXT) | instid1(VALU_DEP_4)
	v_fma_f64 v[172:173], v[38:39], v[2:3], -v[166:167]
	v_fma_f64 v[174:175], v[40:41], v[2:3], v[4:5]
	ds_load_b128 v[2:5], v1 offset:928
	ds_load_b128 v[166:169], v1 offset:944
	scratch_load_b128 v[38:41], off, off offset:464
	v_fma_f64 v[44:45], v[44:45], v[6:7], v[170:171]
	v_fma_f64 v[42:43], v[42:43], v[6:7], -v[8:9]
	scratch_load_b128 v[6:9], off, off offset:480
	s_waitcnt vmcnt(10) lgkmcnt(1)
	v_mul_f64 v[176:177], v[2:3], v[12:13]
	v_mul_f64 v[12:13], v[4:5], v[12:13]
	v_add_f64 v[170:171], v[172:173], 0
	v_add_f64 v[172:173], v[174:175], 0
	s_waitcnt vmcnt(9) lgkmcnt(0)
	v_mul_f64 v[174:175], v[166:167], v[16:17]
	v_mul_f64 v[16:17], v[168:169], v[16:17]
	v_fma_f64 v[176:177], v[4:5], v[10:11], v[176:177]
	v_fma_f64 v[178:179], v[2:3], v[10:11], -v[12:13]
	ds_load_b128 v[2:5], v1 offset:960
	scratch_load_b128 v[10:13], off, off offset:496
	v_add_f64 v[170:171], v[170:171], v[42:43]
	v_add_f64 v[172:173], v[172:173], v[44:45]
	ds_load_b128 v[42:45], v1 offset:976
	v_fma_f64 v[168:169], v[168:169], v[14:15], v[174:175]
	v_fma_f64 v[166:167], v[166:167], v[14:15], -v[16:17]
	scratch_load_b128 v[14:17], off, off offset:512
	s_waitcnt vmcnt(10) lgkmcnt(1)
	v_mul_f64 v[180:181], v[2:3], v[20:21]
	v_mul_f64 v[20:21], v[4:5], v[20:21]
	s_waitcnt vmcnt(9) lgkmcnt(0)
	v_mul_f64 v[174:175], v[42:43], v[24:25]
	v_mul_f64 v[24:25], v[44:45], v[24:25]
	v_add_f64 v[170:171], v[170:171], v[178:179]
	v_add_f64 v[172:173], v[172:173], v[176:177]
	v_fma_f64 v[176:177], v[4:5], v[18:19], v[180:181]
	v_fma_f64 v[178:179], v[2:3], v[18:19], -v[20:21]
	ds_load_b128 v[2:5], v1 offset:992
	scratch_load_b128 v[18:21], off, off offset:528
	v_fma_f64 v[44:45], v[44:45], v[22:23], v[174:175]
	v_fma_f64 v[42:43], v[42:43], v[22:23], -v[24:25]
	scratch_load_b128 v[22:25], off, off offset:544
	v_add_f64 v[170:171], v[170:171], v[166:167]
	v_add_f64 v[172:173], v[172:173], v[168:169]
	ds_load_b128 v[166:169], v1 offset:1008
	s_waitcnt vmcnt(10) lgkmcnt(1)
	v_mul_f64 v[180:181], v[2:3], v[28:29]
	v_mul_f64 v[28:29], v[4:5], v[28:29]
	s_waitcnt vmcnt(9) lgkmcnt(0)
	v_mul_f64 v[174:175], v[166:167], v[32:33]
	v_mul_f64 v[32:33], v[168:169], v[32:33]
	v_add_f64 v[170:171], v[170:171], v[178:179]
	v_add_f64 v[172:173], v[172:173], v[176:177]
	v_fma_f64 v[176:177], v[4:5], v[26:27], v[180:181]
	v_fma_f64 v[178:179], v[2:3], v[26:27], -v[28:29]
	ds_load_b128 v[2:5], v1 offset:1024
	scratch_load_b128 v[26:29], off, off offset:560
	v_fma_f64 v[168:169], v[168:169], v[30:31], v[174:175]
	v_fma_f64 v[166:167], v[166:167], v[30:31], -v[32:33]
	scratch_load_b128 v[30:33], off, off offset:576
	v_add_f64 v[170:171], v[170:171], v[42:43]
	v_add_f64 v[172:173], v[172:173], v[44:45]
	ds_load_b128 v[42:45], v1 offset:1040
	s_waitcnt vmcnt(10) lgkmcnt(1)
	v_mul_f64 v[180:181], v[2:3], v[36:37]
	v_mul_f64 v[36:37], v[4:5], v[36:37]
	s_waitcnt vmcnt(8) lgkmcnt(0)
	v_mul_f64 v[174:175], v[42:43], v[164:165]
	v_mul_f64 v[164:165], v[44:45], v[164:165]
	v_add_f64 v[170:171], v[170:171], v[178:179]
	v_add_f64 v[172:173], v[172:173], v[176:177]
	v_fma_f64 v[176:177], v[4:5], v[34:35], v[180:181]
	v_fma_f64 v[178:179], v[2:3], v[34:35], -v[36:37]
	ds_load_b128 v[2:5], v1 offset:1056
	ds_load_b128 v[34:37], v1 offset:1072
	v_fma_f64 v[44:45], v[44:45], v[162:163], v[174:175]
	v_fma_f64 v[42:43], v[42:43], v[162:163], -v[164:165]
	v_add_f64 v[166:167], v[170:171], v[166:167]
	v_add_f64 v[168:169], v[172:173], v[168:169]
	s_waitcnt vmcnt(7) lgkmcnt(1)
	v_mul_f64 v[170:171], v[2:3], v[40:41]
	v_mul_f64 v[40:41], v[4:5], v[40:41]
	s_delay_alu instid0(VALU_DEP_4) | instskip(NEXT) | instid1(VALU_DEP_4)
	v_add_f64 v[162:163], v[166:167], v[178:179]
	v_add_f64 v[164:165], v[168:169], v[176:177]
	s_waitcnt vmcnt(6) lgkmcnt(0)
	v_mul_f64 v[166:167], v[34:35], v[8:9]
	v_mul_f64 v[8:9], v[36:37], v[8:9]
	v_fma_f64 v[168:169], v[4:5], v[38:39], v[170:171]
	v_fma_f64 v[170:171], v[2:3], v[38:39], -v[40:41]
	ds_load_b128 v[2:5], v1 offset:1088
	ds_load_b128 v[38:41], v1 offset:1104
	v_add_f64 v[42:43], v[162:163], v[42:43]
	v_add_f64 v[44:45], v[164:165], v[44:45]
	v_fma_f64 v[36:37], v[36:37], v[6:7], v[166:167]
	s_waitcnt vmcnt(5) lgkmcnt(1)
	v_mul_f64 v[162:163], v[2:3], v[12:13]
	v_mul_f64 v[12:13], v[4:5], v[12:13]
	v_fma_f64 v[6:7], v[34:35], v[6:7], -v[8:9]
	v_add_f64 v[8:9], v[42:43], v[170:171]
	v_add_f64 v[34:35], v[44:45], v[168:169]
	s_waitcnt vmcnt(4) lgkmcnt(0)
	v_mul_f64 v[42:43], v[38:39], v[16:17]
	v_mul_f64 v[16:17], v[40:41], v[16:17]
	v_fma_f64 v[44:45], v[4:5], v[10:11], v[162:163]
	v_fma_f64 v[10:11], v[2:3], v[10:11], -v[12:13]
	v_add_f64 v[12:13], v[8:9], v[6:7]
	v_add_f64 v[34:35], v[34:35], v[36:37]
	ds_load_b128 v[2:5], v1 offset:1120
	ds_load_b128 v[6:9], v1 offset:1136
	v_fma_f64 v[40:41], v[40:41], v[14:15], v[42:43]
	v_fma_f64 v[14:15], v[38:39], v[14:15], -v[16:17]
	s_waitcnt vmcnt(3) lgkmcnt(1)
	v_mul_f64 v[36:37], v[2:3], v[20:21]
	v_mul_f64 v[20:21], v[4:5], v[20:21]
	s_waitcnt vmcnt(2) lgkmcnt(0)
	v_mul_f64 v[16:17], v[6:7], v[24:25]
	v_mul_f64 v[24:25], v[8:9], v[24:25]
	v_add_f64 v[10:11], v[12:13], v[10:11]
	v_add_f64 v[12:13], v[34:35], v[44:45]
	v_fma_f64 v[34:35], v[4:5], v[18:19], v[36:37]
	v_fma_f64 v[18:19], v[2:3], v[18:19], -v[20:21]
	v_fma_f64 v[8:9], v[8:9], v[22:23], v[16:17]
	v_fma_f64 v[6:7], v[6:7], v[22:23], -v[24:25]
	v_add_f64 v[14:15], v[10:11], v[14:15]
	v_add_f64 v[20:21], v[12:13], v[40:41]
	ds_load_b128 v[2:5], v1 offset:1152
	ds_load_b128 v[10:13], v1 offset:1168
	s_waitcnt vmcnt(1) lgkmcnt(1)
	v_mul_f64 v[36:37], v[2:3], v[28:29]
	v_mul_f64 v[28:29], v[4:5], v[28:29]
	v_add_f64 v[14:15], v[14:15], v[18:19]
	v_add_f64 v[16:17], v[20:21], v[34:35]
	s_waitcnt vmcnt(0) lgkmcnt(0)
	v_mul_f64 v[18:19], v[10:11], v[32:33]
	v_mul_f64 v[20:21], v[12:13], v[32:33]
	v_fma_f64 v[4:5], v[4:5], v[26:27], v[36:37]
	v_fma_f64 v[1:2], v[2:3], v[26:27], -v[28:29]
	v_add_f64 v[6:7], v[14:15], v[6:7]
	v_add_f64 v[8:9], v[16:17], v[8:9]
	v_fma_f64 v[12:13], v[12:13], v[30:31], v[18:19]
	v_fma_f64 v[10:11], v[10:11], v[30:31], -v[20:21]
	s_delay_alu instid0(VALU_DEP_4) | instskip(NEXT) | instid1(VALU_DEP_4)
	v_add_f64 v[1:2], v[6:7], v[1:2]
	v_add_f64 v[3:4], v[8:9], v[4:5]
	s_delay_alu instid0(VALU_DEP_2) | instskip(NEXT) | instid1(VALU_DEP_2)
	v_add_f64 v[1:2], v[1:2], v[10:11]
	v_add_f64 v[3:4], v[3:4], v[12:13]
	s_delay_alu instid0(VALU_DEP_2) | instskip(NEXT) | instid1(VALU_DEP_2)
	v_add_f64 v[1:2], v[158:159], -v[1:2]
	v_add_f64 v[3:4], v[160:161], -v[3:4]
	scratch_store_b128 off, v[1:4], off offset:288
	v_cmpx_lt_u32_e32 17, v120
	s_cbranch_execz .LBB36_201
; %bb.200:
	scratch_load_b128 v[1:4], v137, off
	v_mov_b32_e32 v5, 0
	s_delay_alu instid0(VALU_DEP_1)
	v_mov_b32_e32 v6, v5
	v_mov_b32_e32 v7, v5
	;; [unrolled: 1-line block ×3, first 2 shown]
	scratch_store_b128 off, v[5:8], off offset:272
	s_waitcnt vmcnt(0)
	ds_store_b128 v157, v[1:4]
.LBB36_201:
	s_or_b32 exec_lo, exec_lo, s2
	s_waitcnt lgkmcnt(0)
	s_waitcnt_vscnt null, 0x0
	s_barrier
	buffer_gl0_inv
	s_clause 0x7
	scratch_load_b128 v[2:5], off, off offset:288
	scratch_load_b128 v[6:9], off, off offset:304
	;; [unrolled: 1-line block ×8, first 2 shown]
	v_mov_b32_e32 v1, 0
	s_mov_b32 s2, exec_lo
	ds_load_b128 v[34:37], v1 offset:880
	s_clause 0x1
	scratch_load_b128 v[38:41], off, off offset:416
	scratch_load_b128 v[42:45], off, off offset:272
	ds_load_b128 v[158:161], v1 offset:896
	scratch_load_b128 v[162:165], off, off offset:432
	s_waitcnt vmcnt(10) lgkmcnt(1)
	v_mul_f64 v[166:167], v[36:37], v[4:5]
	v_mul_f64 v[4:5], v[34:35], v[4:5]
	s_delay_alu instid0(VALU_DEP_2) | instskip(NEXT) | instid1(VALU_DEP_2)
	v_fma_f64 v[172:173], v[34:35], v[2:3], -v[166:167]
	v_fma_f64 v[174:175], v[36:37], v[2:3], v[4:5]
	scratch_load_b128 v[34:37], off, off offset:448
	ds_load_b128 v[2:5], v1 offset:912
	s_waitcnt vmcnt(10) lgkmcnt(1)
	v_mul_f64 v[170:171], v[158:159], v[8:9]
	v_mul_f64 v[8:9], v[160:161], v[8:9]
	ds_load_b128 v[166:169], v1 offset:928
	s_waitcnt vmcnt(9) lgkmcnt(1)
	v_mul_f64 v[176:177], v[2:3], v[12:13]
	v_mul_f64 v[12:13], v[4:5], v[12:13]
	v_fma_f64 v[160:161], v[160:161], v[6:7], v[170:171]
	v_fma_f64 v[158:159], v[158:159], v[6:7], -v[8:9]
	v_add_f64 v[170:171], v[172:173], 0
	v_add_f64 v[172:173], v[174:175], 0
	scratch_load_b128 v[6:9], off, off offset:464
	v_fma_f64 v[176:177], v[4:5], v[10:11], v[176:177]
	v_fma_f64 v[178:179], v[2:3], v[10:11], -v[12:13]
	scratch_load_b128 v[10:13], off, off offset:480
	ds_load_b128 v[2:5], v1 offset:944
	s_waitcnt vmcnt(10) lgkmcnt(1)
	v_mul_f64 v[174:175], v[166:167], v[16:17]
	v_mul_f64 v[16:17], v[168:169], v[16:17]
	v_add_f64 v[170:171], v[170:171], v[158:159]
	v_add_f64 v[172:173], v[172:173], v[160:161]
	s_waitcnt vmcnt(9) lgkmcnt(0)
	v_mul_f64 v[180:181], v[2:3], v[20:21]
	v_mul_f64 v[20:21], v[4:5], v[20:21]
	ds_load_b128 v[158:161], v1 offset:960
	v_fma_f64 v[168:169], v[168:169], v[14:15], v[174:175]
	v_fma_f64 v[166:167], v[166:167], v[14:15], -v[16:17]
	scratch_load_b128 v[14:17], off, off offset:496
	v_add_f64 v[170:171], v[170:171], v[178:179]
	v_add_f64 v[172:173], v[172:173], v[176:177]
	v_fma_f64 v[176:177], v[4:5], v[18:19], v[180:181]
	v_fma_f64 v[178:179], v[2:3], v[18:19], -v[20:21]
	scratch_load_b128 v[18:21], off, off offset:512
	ds_load_b128 v[2:5], v1 offset:976
	s_waitcnt vmcnt(10) lgkmcnt(1)
	v_mul_f64 v[174:175], v[158:159], v[24:25]
	v_mul_f64 v[24:25], v[160:161], v[24:25]
	s_waitcnt vmcnt(9) lgkmcnt(0)
	v_mul_f64 v[180:181], v[2:3], v[28:29]
	v_mul_f64 v[28:29], v[4:5], v[28:29]
	v_add_f64 v[170:171], v[170:171], v[166:167]
	v_add_f64 v[172:173], v[172:173], v[168:169]
	ds_load_b128 v[166:169], v1 offset:992
	v_fma_f64 v[160:161], v[160:161], v[22:23], v[174:175]
	v_fma_f64 v[158:159], v[158:159], v[22:23], -v[24:25]
	scratch_load_b128 v[22:25], off, off offset:528
	v_add_f64 v[170:171], v[170:171], v[178:179]
	v_add_f64 v[172:173], v[172:173], v[176:177]
	v_fma_f64 v[176:177], v[4:5], v[26:27], v[180:181]
	v_fma_f64 v[178:179], v[2:3], v[26:27], -v[28:29]
	scratch_load_b128 v[26:29], off, off offset:544
	ds_load_b128 v[2:5], v1 offset:1008
	s_waitcnt vmcnt(10) lgkmcnt(1)
	v_mul_f64 v[174:175], v[166:167], v[32:33]
	v_mul_f64 v[32:33], v[168:169], v[32:33]
	s_waitcnt vmcnt(9) lgkmcnt(0)
	v_mul_f64 v[180:181], v[2:3], v[40:41]
	v_mul_f64 v[40:41], v[4:5], v[40:41]
	v_add_f64 v[170:171], v[170:171], v[158:159]
	v_add_f64 v[172:173], v[172:173], v[160:161]
	ds_load_b128 v[158:161], v1 offset:1024
	v_fma_f64 v[168:169], v[168:169], v[30:31], v[174:175]
	v_fma_f64 v[166:167], v[166:167], v[30:31], -v[32:33]
	scratch_load_b128 v[30:33], off, off offset:560
	v_add_f64 v[170:171], v[170:171], v[178:179]
	v_add_f64 v[172:173], v[172:173], v[176:177]
	v_fma_f64 v[178:179], v[4:5], v[38:39], v[180:181]
	v_fma_f64 v[180:181], v[2:3], v[38:39], -v[40:41]
	scratch_load_b128 v[38:41], off, off offset:576
	ds_load_b128 v[2:5], v1 offset:1040
	s_waitcnt vmcnt(9) lgkmcnt(1)
	v_mul_f64 v[174:175], v[158:159], v[164:165]
	v_mul_f64 v[176:177], v[160:161], v[164:165]
	v_add_f64 v[170:171], v[170:171], v[166:167]
	v_add_f64 v[168:169], v[172:173], v[168:169]
	ds_load_b128 v[164:167], v1 offset:1056
	v_fma_f64 v[160:161], v[160:161], v[162:163], v[174:175]
	v_fma_f64 v[158:159], v[158:159], v[162:163], -v[176:177]
	s_waitcnt vmcnt(8) lgkmcnt(1)
	v_mul_f64 v[172:173], v[2:3], v[36:37]
	v_mul_f64 v[36:37], v[4:5], v[36:37]
	v_add_f64 v[162:163], v[170:171], v[180:181]
	v_add_f64 v[168:169], v[168:169], v[178:179]
	s_delay_alu instid0(VALU_DEP_4) | instskip(NEXT) | instid1(VALU_DEP_4)
	v_fma_f64 v[172:173], v[4:5], v[34:35], v[172:173]
	v_fma_f64 v[174:175], v[2:3], v[34:35], -v[36:37]
	ds_load_b128 v[2:5], v1 offset:1072
	ds_load_b128 v[34:37], v1 offset:1088
	s_waitcnt vmcnt(7) lgkmcnt(2)
	v_mul_f64 v[170:171], v[164:165], v[8:9]
	v_mul_f64 v[8:9], v[166:167], v[8:9]
	v_add_f64 v[158:159], v[162:163], v[158:159]
	v_add_f64 v[160:161], v[168:169], v[160:161]
	s_waitcnt vmcnt(6) lgkmcnt(1)
	v_mul_f64 v[162:163], v[2:3], v[12:13]
	v_mul_f64 v[12:13], v[4:5], v[12:13]
	v_fma_f64 v[166:167], v[166:167], v[6:7], v[170:171]
	v_fma_f64 v[6:7], v[164:165], v[6:7], -v[8:9]
	v_add_f64 v[8:9], v[158:159], v[174:175]
	v_add_f64 v[158:159], v[160:161], v[172:173]
	s_waitcnt vmcnt(5) lgkmcnt(0)
	v_mul_f64 v[160:161], v[34:35], v[16:17]
	v_mul_f64 v[16:17], v[36:37], v[16:17]
	v_fma_f64 v[162:163], v[4:5], v[10:11], v[162:163]
	v_fma_f64 v[10:11], v[2:3], v[10:11], -v[12:13]
	v_add_f64 v[12:13], v[8:9], v[6:7]
	v_add_f64 v[158:159], v[158:159], v[166:167]
	ds_load_b128 v[2:5], v1 offset:1104
	ds_load_b128 v[6:9], v1 offset:1120
	v_fma_f64 v[36:37], v[36:37], v[14:15], v[160:161]
	v_fma_f64 v[14:15], v[34:35], v[14:15], -v[16:17]
	s_waitcnt vmcnt(4) lgkmcnt(1)
	v_mul_f64 v[164:165], v[2:3], v[20:21]
	v_mul_f64 v[20:21], v[4:5], v[20:21]
	s_waitcnt vmcnt(3) lgkmcnt(0)
	v_mul_f64 v[16:17], v[6:7], v[24:25]
	v_mul_f64 v[24:25], v[8:9], v[24:25]
	v_add_f64 v[10:11], v[12:13], v[10:11]
	v_add_f64 v[12:13], v[158:159], v[162:163]
	v_fma_f64 v[34:35], v[4:5], v[18:19], v[164:165]
	v_fma_f64 v[18:19], v[2:3], v[18:19], -v[20:21]
	v_fma_f64 v[8:9], v[8:9], v[22:23], v[16:17]
	v_fma_f64 v[6:7], v[6:7], v[22:23], -v[24:25]
	v_add_f64 v[14:15], v[10:11], v[14:15]
	v_add_f64 v[20:21], v[12:13], v[36:37]
	ds_load_b128 v[2:5], v1 offset:1136
	ds_load_b128 v[10:13], v1 offset:1152
	s_waitcnt vmcnt(2) lgkmcnt(1)
	v_mul_f64 v[36:37], v[2:3], v[28:29]
	v_mul_f64 v[28:29], v[4:5], v[28:29]
	v_add_f64 v[14:15], v[14:15], v[18:19]
	v_add_f64 v[16:17], v[20:21], v[34:35]
	s_waitcnt vmcnt(1) lgkmcnt(0)
	v_mul_f64 v[18:19], v[10:11], v[32:33]
	v_mul_f64 v[20:21], v[12:13], v[32:33]
	v_fma_f64 v[22:23], v[4:5], v[26:27], v[36:37]
	v_fma_f64 v[24:25], v[2:3], v[26:27], -v[28:29]
	ds_load_b128 v[2:5], v1 offset:1168
	v_add_f64 v[6:7], v[14:15], v[6:7]
	v_add_f64 v[8:9], v[16:17], v[8:9]
	v_fma_f64 v[12:13], v[12:13], v[30:31], v[18:19]
	v_fma_f64 v[10:11], v[10:11], v[30:31], -v[20:21]
	s_waitcnt vmcnt(0) lgkmcnt(0)
	v_mul_f64 v[14:15], v[2:3], v[40:41]
	v_mul_f64 v[16:17], v[4:5], v[40:41]
	v_add_f64 v[6:7], v[6:7], v[24:25]
	v_add_f64 v[8:9], v[8:9], v[22:23]
	s_delay_alu instid0(VALU_DEP_4) | instskip(NEXT) | instid1(VALU_DEP_4)
	v_fma_f64 v[4:5], v[4:5], v[38:39], v[14:15]
	v_fma_f64 v[2:3], v[2:3], v[38:39], -v[16:17]
	s_delay_alu instid0(VALU_DEP_4) | instskip(NEXT) | instid1(VALU_DEP_4)
	v_add_f64 v[6:7], v[6:7], v[10:11]
	v_add_f64 v[8:9], v[8:9], v[12:13]
	s_delay_alu instid0(VALU_DEP_2) | instskip(NEXT) | instid1(VALU_DEP_2)
	v_add_f64 v[2:3], v[6:7], v[2:3]
	v_add_f64 v[4:5], v[8:9], v[4:5]
	s_delay_alu instid0(VALU_DEP_2) | instskip(NEXT) | instid1(VALU_DEP_2)
	v_add_f64 v[2:3], v[42:43], -v[2:3]
	v_add_f64 v[4:5], v[44:45], -v[4:5]
	scratch_store_b128 off, v[2:5], off offset:272
	v_cmpx_lt_u32_e32 16, v120
	s_cbranch_execz .LBB36_203
; %bb.202:
	scratch_load_b128 v[5:8], v136, off
	v_mov_b32_e32 v2, v1
	v_mov_b32_e32 v3, v1
	;; [unrolled: 1-line block ×3, first 2 shown]
	scratch_store_b128 off, v[1:4], off offset:256
	s_waitcnt vmcnt(0)
	ds_store_b128 v157, v[5:8]
.LBB36_203:
	s_or_b32 exec_lo, exec_lo, s2
	s_waitcnt lgkmcnt(0)
	s_waitcnt_vscnt null, 0x0
	s_barrier
	buffer_gl0_inv
	s_clause 0x8
	scratch_load_b128 v[2:5], off, off offset:272
	scratch_load_b128 v[6:9], off, off offset:288
	scratch_load_b128 v[10:13], off, off offset:304
	scratch_load_b128 v[14:17], off, off offset:320
	scratch_load_b128 v[18:21], off, off offset:336
	scratch_load_b128 v[22:25], off, off offset:352
	scratch_load_b128 v[26:29], off, off offset:368
	scratch_load_b128 v[30:33], off, off offset:384
	scratch_load_b128 v[34:37], off, off offset:400
	ds_load_b128 v[38:41], v1 offset:864
	ds_load_b128 v[42:45], v1 offset:880
	s_clause 0x1
	scratch_load_b128 v[158:161], off, off offset:256
	scratch_load_b128 v[162:165], off, off offset:416
	s_mov_b32 s2, exec_lo
	s_waitcnt vmcnt(10) lgkmcnt(1)
	v_mul_f64 v[166:167], v[40:41], v[4:5]
	v_mul_f64 v[4:5], v[38:39], v[4:5]
	s_waitcnt vmcnt(9) lgkmcnt(0)
	v_mul_f64 v[170:171], v[42:43], v[8:9]
	v_mul_f64 v[8:9], v[44:45], v[8:9]
	s_delay_alu instid0(VALU_DEP_4) | instskip(NEXT) | instid1(VALU_DEP_4)
	v_fma_f64 v[172:173], v[38:39], v[2:3], -v[166:167]
	v_fma_f64 v[174:175], v[40:41], v[2:3], v[4:5]
	ds_load_b128 v[2:5], v1 offset:896
	ds_load_b128 v[166:169], v1 offset:912
	scratch_load_b128 v[38:41], off, off offset:432
	v_fma_f64 v[44:45], v[44:45], v[6:7], v[170:171]
	v_fma_f64 v[42:43], v[42:43], v[6:7], -v[8:9]
	scratch_load_b128 v[6:9], off, off offset:448
	s_waitcnt vmcnt(10) lgkmcnt(1)
	v_mul_f64 v[176:177], v[2:3], v[12:13]
	v_mul_f64 v[12:13], v[4:5], v[12:13]
	v_add_f64 v[170:171], v[172:173], 0
	v_add_f64 v[172:173], v[174:175], 0
	s_waitcnt vmcnt(9) lgkmcnt(0)
	v_mul_f64 v[174:175], v[166:167], v[16:17]
	v_mul_f64 v[16:17], v[168:169], v[16:17]
	v_fma_f64 v[176:177], v[4:5], v[10:11], v[176:177]
	v_fma_f64 v[178:179], v[2:3], v[10:11], -v[12:13]
	ds_load_b128 v[2:5], v1 offset:928
	scratch_load_b128 v[10:13], off, off offset:464
	v_add_f64 v[170:171], v[170:171], v[42:43]
	v_add_f64 v[172:173], v[172:173], v[44:45]
	ds_load_b128 v[42:45], v1 offset:944
	v_fma_f64 v[168:169], v[168:169], v[14:15], v[174:175]
	v_fma_f64 v[166:167], v[166:167], v[14:15], -v[16:17]
	scratch_load_b128 v[14:17], off, off offset:480
	s_waitcnt vmcnt(10) lgkmcnt(1)
	v_mul_f64 v[180:181], v[2:3], v[20:21]
	v_mul_f64 v[20:21], v[4:5], v[20:21]
	s_waitcnt vmcnt(9) lgkmcnt(0)
	v_mul_f64 v[174:175], v[42:43], v[24:25]
	v_mul_f64 v[24:25], v[44:45], v[24:25]
	v_add_f64 v[170:171], v[170:171], v[178:179]
	v_add_f64 v[172:173], v[172:173], v[176:177]
	v_fma_f64 v[176:177], v[4:5], v[18:19], v[180:181]
	v_fma_f64 v[178:179], v[2:3], v[18:19], -v[20:21]
	ds_load_b128 v[2:5], v1 offset:960
	scratch_load_b128 v[18:21], off, off offset:496
	v_fma_f64 v[44:45], v[44:45], v[22:23], v[174:175]
	v_fma_f64 v[42:43], v[42:43], v[22:23], -v[24:25]
	scratch_load_b128 v[22:25], off, off offset:512
	v_add_f64 v[170:171], v[170:171], v[166:167]
	v_add_f64 v[172:173], v[172:173], v[168:169]
	ds_load_b128 v[166:169], v1 offset:976
	s_waitcnt vmcnt(10) lgkmcnt(1)
	v_mul_f64 v[180:181], v[2:3], v[28:29]
	v_mul_f64 v[28:29], v[4:5], v[28:29]
	s_waitcnt vmcnt(9) lgkmcnt(0)
	v_mul_f64 v[174:175], v[166:167], v[32:33]
	v_mul_f64 v[32:33], v[168:169], v[32:33]
	v_add_f64 v[170:171], v[170:171], v[178:179]
	v_add_f64 v[172:173], v[172:173], v[176:177]
	v_fma_f64 v[176:177], v[4:5], v[26:27], v[180:181]
	v_fma_f64 v[178:179], v[2:3], v[26:27], -v[28:29]
	ds_load_b128 v[2:5], v1 offset:992
	scratch_load_b128 v[26:29], off, off offset:528
	v_fma_f64 v[168:169], v[168:169], v[30:31], v[174:175]
	v_fma_f64 v[166:167], v[166:167], v[30:31], -v[32:33]
	scratch_load_b128 v[30:33], off, off offset:544
	v_add_f64 v[170:171], v[170:171], v[42:43]
	v_add_f64 v[172:173], v[172:173], v[44:45]
	ds_load_b128 v[42:45], v1 offset:1008
	s_waitcnt vmcnt(10) lgkmcnt(1)
	v_mul_f64 v[180:181], v[2:3], v[36:37]
	v_mul_f64 v[36:37], v[4:5], v[36:37]
	s_waitcnt vmcnt(8) lgkmcnt(0)
	v_mul_f64 v[174:175], v[42:43], v[164:165]
	v_add_f64 v[170:171], v[170:171], v[178:179]
	v_add_f64 v[172:173], v[172:173], v[176:177]
	v_mul_f64 v[176:177], v[44:45], v[164:165]
	v_fma_f64 v[178:179], v[4:5], v[34:35], v[180:181]
	v_fma_f64 v[180:181], v[2:3], v[34:35], -v[36:37]
	ds_load_b128 v[2:5], v1 offset:1024
	scratch_load_b128 v[34:37], off, off offset:560
	v_fma_f64 v[44:45], v[44:45], v[162:163], v[174:175]
	v_add_f64 v[170:171], v[170:171], v[166:167]
	v_add_f64 v[168:169], v[172:173], v[168:169]
	ds_load_b128 v[164:167], v1 offset:1040
	v_fma_f64 v[162:163], v[42:43], v[162:163], -v[176:177]
	s_waitcnt vmcnt(8) lgkmcnt(1)
	v_mul_f64 v[172:173], v[2:3], v[40:41]
	v_mul_f64 v[182:183], v[4:5], v[40:41]
	scratch_load_b128 v[40:43], off, off offset:576
	s_waitcnt vmcnt(8) lgkmcnt(0)
	v_mul_f64 v[174:175], v[164:165], v[8:9]
	v_mul_f64 v[8:9], v[166:167], v[8:9]
	v_add_f64 v[170:171], v[170:171], v[180:181]
	v_add_f64 v[168:169], v[168:169], v[178:179]
	v_fma_f64 v[172:173], v[4:5], v[38:39], v[172:173]
	v_fma_f64 v[38:39], v[2:3], v[38:39], -v[182:183]
	v_fma_f64 v[166:167], v[166:167], v[6:7], v[174:175]
	v_fma_f64 v[6:7], v[164:165], v[6:7], -v[8:9]
	v_add_f64 v[162:163], v[170:171], v[162:163]
	v_add_f64 v[44:45], v[168:169], v[44:45]
	ds_load_b128 v[2:5], v1 offset:1056
	ds_load_b128 v[168:171], v1 offset:1072
	s_waitcnt vmcnt(7) lgkmcnt(1)
	v_mul_f64 v[176:177], v[2:3], v[12:13]
	v_mul_f64 v[12:13], v[4:5], v[12:13]
	v_add_f64 v[8:9], v[162:163], v[38:39]
	v_add_f64 v[38:39], v[44:45], v[172:173]
	s_waitcnt vmcnt(6) lgkmcnt(0)
	v_mul_f64 v[44:45], v[168:169], v[16:17]
	v_mul_f64 v[16:17], v[170:171], v[16:17]
	v_fma_f64 v[162:163], v[4:5], v[10:11], v[176:177]
	v_fma_f64 v[10:11], v[2:3], v[10:11], -v[12:13]
	v_add_f64 v[12:13], v[8:9], v[6:7]
	v_add_f64 v[38:39], v[38:39], v[166:167]
	ds_load_b128 v[2:5], v1 offset:1088
	ds_load_b128 v[6:9], v1 offset:1104
	v_fma_f64 v[44:45], v[170:171], v[14:15], v[44:45]
	v_fma_f64 v[14:15], v[168:169], v[14:15], -v[16:17]
	s_waitcnt vmcnt(5) lgkmcnt(1)
	v_mul_f64 v[164:165], v[2:3], v[20:21]
	v_mul_f64 v[20:21], v[4:5], v[20:21]
	s_waitcnt vmcnt(4) lgkmcnt(0)
	v_mul_f64 v[16:17], v[6:7], v[24:25]
	v_mul_f64 v[24:25], v[8:9], v[24:25]
	v_add_f64 v[10:11], v[12:13], v[10:11]
	v_add_f64 v[12:13], v[38:39], v[162:163]
	v_fma_f64 v[38:39], v[4:5], v[18:19], v[164:165]
	v_fma_f64 v[18:19], v[2:3], v[18:19], -v[20:21]
	v_fma_f64 v[8:9], v[8:9], v[22:23], v[16:17]
	v_fma_f64 v[6:7], v[6:7], v[22:23], -v[24:25]
	v_add_f64 v[14:15], v[10:11], v[14:15]
	v_add_f64 v[20:21], v[12:13], v[44:45]
	ds_load_b128 v[2:5], v1 offset:1120
	ds_load_b128 v[10:13], v1 offset:1136
	s_waitcnt vmcnt(3) lgkmcnt(1)
	v_mul_f64 v[44:45], v[2:3], v[28:29]
	v_mul_f64 v[28:29], v[4:5], v[28:29]
	v_add_f64 v[14:15], v[14:15], v[18:19]
	v_add_f64 v[16:17], v[20:21], v[38:39]
	s_waitcnt vmcnt(2) lgkmcnt(0)
	v_mul_f64 v[18:19], v[10:11], v[32:33]
	v_mul_f64 v[20:21], v[12:13], v[32:33]
	v_fma_f64 v[22:23], v[4:5], v[26:27], v[44:45]
	v_fma_f64 v[24:25], v[2:3], v[26:27], -v[28:29]
	v_add_f64 v[14:15], v[14:15], v[6:7]
	v_add_f64 v[16:17], v[16:17], v[8:9]
	ds_load_b128 v[2:5], v1 offset:1152
	ds_load_b128 v[6:9], v1 offset:1168
	v_fma_f64 v[12:13], v[12:13], v[30:31], v[18:19]
	v_fma_f64 v[10:11], v[10:11], v[30:31], -v[20:21]
	s_waitcnt vmcnt(1) lgkmcnt(1)
	v_mul_f64 v[26:27], v[2:3], v[36:37]
	v_mul_f64 v[28:29], v[4:5], v[36:37]
	s_waitcnt vmcnt(0) lgkmcnt(0)
	v_mul_f64 v[18:19], v[6:7], v[42:43]
	v_add_f64 v[14:15], v[14:15], v[24:25]
	v_add_f64 v[16:17], v[16:17], v[22:23]
	v_mul_f64 v[20:21], v[8:9], v[42:43]
	v_fma_f64 v[4:5], v[4:5], v[34:35], v[26:27]
	v_fma_f64 v[1:2], v[2:3], v[34:35], -v[28:29]
	v_fma_f64 v[8:9], v[8:9], v[40:41], v[18:19]
	v_add_f64 v[10:11], v[14:15], v[10:11]
	v_add_f64 v[12:13], v[16:17], v[12:13]
	v_fma_f64 v[6:7], v[6:7], v[40:41], -v[20:21]
	s_delay_alu instid0(VALU_DEP_3) | instskip(NEXT) | instid1(VALU_DEP_3)
	v_add_f64 v[1:2], v[10:11], v[1:2]
	v_add_f64 v[3:4], v[12:13], v[4:5]
	s_delay_alu instid0(VALU_DEP_2) | instskip(NEXT) | instid1(VALU_DEP_2)
	v_add_f64 v[1:2], v[1:2], v[6:7]
	v_add_f64 v[3:4], v[3:4], v[8:9]
	s_delay_alu instid0(VALU_DEP_2) | instskip(NEXT) | instid1(VALU_DEP_2)
	v_add_f64 v[1:2], v[158:159], -v[1:2]
	v_add_f64 v[3:4], v[160:161], -v[3:4]
	scratch_store_b128 off, v[1:4], off offset:256
	v_cmpx_lt_u32_e32 15, v120
	s_cbranch_execz .LBB36_205
; %bb.204:
	scratch_load_b128 v[1:4], v138, off
	v_mov_b32_e32 v5, 0
	s_delay_alu instid0(VALU_DEP_1)
	v_mov_b32_e32 v6, v5
	v_mov_b32_e32 v7, v5
	;; [unrolled: 1-line block ×3, first 2 shown]
	scratch_store_b128 off, v[5:8], off offset:240
	s_waitcnt vmcnt(0)
	ds_store_b128 v157, v[1:4]
.LBB36_205:
	s_or_b32 exec_lo, exec_lo, s2
	s_waitcnt lgkmcnt(0)
	s_waitcnt_vscnt null, 0x0
	s_barrier
	buffer_gl0_inv
	s_clause 0x7
	scratch_load_b128 v[2:5], off, off offset:256
	scratch_load_b128 v[6:9], off, off offset:272
	;; [unrolled: 1-line block ×8, first 2 shown]
	v_mov_b32_e32 v1, 0
	s_mov_b32 s2, exec_lo
	ds_load_b128 v[34:37], v1 offset:848
	s_clause 0x1
	scratch_load_b128 v[38:41], off, off offset:384
	scratch_load_b128 v[42:45], off, off offset:240
	ds_load_b128 v[158:161], v1 offset:864
	scratch_load_b128 v[162:165], off, off offset:400
	s_waitcnt vmcnt(10) lgkmcnt(1)
	v_mul_f64 v[166:167], v[36:37], v[4:5]
	v_mul_f64 v[4:5], v[34:35], v[4:5]
	s_delay_alu instid0(VALU_DEP_2) | instskip(NEXT) | instid1(VALU_DEP_2)
	v_fma_f64 v[172:173], v[34:35], v[2:3], -v[166:167]
	v_fma_f64 v[174:175], v[36:37], v[2:3], v[4:5]
	scratch_load_b128 v[34:37], off, off offset:416
	ds_load_b128 v[2:5], v1 offset:880
	s_waitcnt vmcnt(10) lgkmcnt(1)
	v_mul_f64 v[170:171], v[158:159], v[8:9]
	v_mul_f64 v[8:9], v[160:161], v[8:9]
	ds_load_b128 v[166:169], v1 offset:896
	s_waitcnt vmcnt(9) lgkmcnt(1)
	v_mul_f64 v[176:177], v[2:3], v[12:13]
	v_mul_f64 v[12:13], v[4:5], v[12:13]
	v_fma_f64 v[160:161], v[160:161], v[6:7], v[170:171]
	v_fma_f64 v[158:159], v[158:159], v[6:7], -v[8:9]
	v_add_f64 v[170:171], v[172:173], 0
	v_add_f64 v[172:173], v[174:175], 0
	scratch_load_b128 v[6:9], off, off offset:432
	v_fma_f64 v[176:177], v[4:5], v[10:11], v[176:177]
	v_fma_f64 v[178:179], v[2:3], v[10:11], -v[12:13]
	scratch_load_b128 v[10:13], off, off offset:448
	ds_load_b128 v[2:5], v1 offset:912
	s_waitcnt vmcnt(10) lgkmcnt(1)
	v_mul_f64 v[174:175], v[166:167], v[16:17]
	v_mul_f64 v[16:17], v[168:169], v[16:17]
	v_add_f64 v[170:171], v[170:171], v[158:159]
	v_add_f64 v[172:173], v[172:173], v[160:161]
	s_waitcnt vmcnt(9) lgkmcnt(0)
	v_mul_f64 v[180:181], v[2:3], v[20:21]
	v_mul_f64 v[20:21], v[4:5], v[20:21]
	ds_load_b128 v[158:161], v1 offset:928
	v_fma_f64 v[168:169], v[168:169], v[14:15], v[174:175]
	v_fma_f64 v[166:167], v[166:167], v[14:15], -v[16:17]
	scratch_load_b128 v[14:17], off, off offset:464
	v_add_f64 v[170:171], v[170:171], v[178:179]
	v_add_f64 v[172:173], v[172:173], v[176:177]
	v_fma_f64 v[176:177], v[4:5], v[18:19], v[180:181]
	v_fma_f64 v[178:179], v[2:3], v[18:19], -v[20:21]
	scratch_load_b128 v[18:21], off, off offset:480
	ds_load_b128 v[2:5], v1 offset:944
	s_waitcnt vmcnt(10) lgkmcnt(1)
	v_mul_f64 v[174:175], v[158:159], v[24:25]
	v_mul_f64 v[24:25], v[160:161], v[24:25]
	s_waitcnt vmcnt(9) lgkmcnt(0)
	v_mul_f64 v[180:181], v[2:3], v[28:29]
	v_mul_f64 v[28:29], v[4:5], v[28:29]
	v_add_f64 v[170:171], v[170:171], v[166:167]
	v_add_f64 v[172:173], v[172:173], v[168:169]
	ds_load_b128 v[166:169], v1 offset:960
	v_fma_f64 v[160:161], v[160:161], v[22:23], v[174:175]
	v_fma_f64 v[158:159], v[158:159], v[22:23], -v[24:25]
	scratch_load_b128 v[22:25], off, off offset:496
	v_add_f64 v[170:171], v[170:171], v[178:179]
	v_add_f64 v[172:173], v[172:173], v[176:177]
	v_fma_f64 v[176:177], v[4:5], v[26:27], v[180:181]
	v_fma_f64 v[178:179], v[2:3], v[26:27], -v[28:29]
	scratch_load_b128 v[26:29], off, off offset:512
	ds_load_b128 v[2:5], v1 offset:976
	s_waitcnt vmcnt(10) lgkmcnt(1)
	v_mul_f64 v[174:175], v[166:167], v[32:33]
	v_mul_f64 v[32:33], v[168:169], v[32:33]
	s_waitcnt vmcnt(9) lgkmcnt(0)
	v_mul_f64 v[180:181], v[2:3], v[40:41]
	v_mul_f64 v[40:41], v[4:5], v[40:41]
	v_add_f64 v[170:171], v[170:171], v[158:159]
	v_add_f64 v[172:173], v[172:173], v[160:161]
	ds_load_b128 v[158:161], v1 offset:992
	v_fma_f64 v[168:169], v[168:169], v[30:31], v[174:175]
	v_fma_f64 v[166:167], v[166:167], v[30:31], -v[32:33]
	scratch_load_b128 v[30:33], off, off offset:528
	v_add_f64 v[170:171], v[170:171], v[178:179]
	v_add_f64 v[172:173], v[172:173], v[176:177]
	v_fma_f64 v[178:179], v[4:5], v[38:39], v[180:181]
	v_fma_f64 v[180:181], v[2:3], v[38:39], -v[40:41]
	scratch_load_b128 v[38:41], off, off offset:544
	ds_load_b128 v[2:5], v1 offset:1008
	s_waitcnt vmcnt(9) lgkmcnt(1)
	v_mul_f64 v[174:175], v[158:159], v[164:165]
	v_mul_f64 v[176:177], v[160:161], v[164:165]
	v_add_f64 v[170:171], v[170:171], v[166:167]
	v_add_f64 v[168:169], v[172:173], v[168:169]
	ds_load_b128 v[164:167], v1 offset:1024
	v_fma_f64 v[174:175], v[160:161], v[162:163], v[174:175]
	v_fma_f64 v[162:163], v[158:159], v[162:163], -v[176:177]
	scratch_load_b128 v[158:161], off, off offset:560
	s_waitcnt vmcnt(9) lgkmcnt(1)
	v_mul_f64 v[172:173], v[2:3], v[36:37]
	v_mul_f64 v[36:37], v[4:5], v[36:37]
	v_add_f64 v[170:171], v[170:171], v[180:181]
	v_add_f64 v[168:169], v[168:169], v[178:179]
	s_delay_alu instid0(VALU_DEP_4) | instskip(NEXT) | instid1(VALU_DEP_4)
	v_fma_f64 v[172:173], v[4:5], v[34:35], v[172:173]
	v_fma_f64 v[178:179], v[2:3], v[34:35], -v[36:37]
	scratch_load_b128 v[34:37], off, off offset:576
	ds_load_b128 v[2:5], v1 offset:1040
	s_waitcnt vmcnt(9) lgkmcnt(1)
	v_mul_f64 v[176:177], v[164:165], v[8:9]
	v_mul_f64 v[8:9], v[166:167], v[8:9]
	s_waitcnt vmcnt(8) lgkmcnt(0)
	v_mul_f64 v[180:181], v[2:3], v[12:13]
	v_mul_f64 v[12:13], v[4:5], v[12:13]
	v_add_f64 v[162:163], v[170:171], v[162:163]
	v_add_f64 v[174:175], v[168:169], v[174:175]
	ds_load_b128 v[168:171], v1 offset:1056
	v_fma_f64 v[166:167], v[166:167], v[6:7], v[176:177]
	v_fma_f64 v[6:7], v[164:165], v[6:7], -v[8:9]
	v_add_f64 v[8:9], v[162:163], v[178:179]
	v_add_f64 v[162:163], v[174:175], v[172:173]
	s_waitcnt vmcnt(7) lgkmcnt(0)
	v_mul_f64 v[164:165], v[168:169], v[16:17]
	v_mul_f64 v[16:17], v[170:171], v[16:17]
	v_fma_f64 v[172:173], v[4:5], v[10:11], v[180:181]
	v_fma_f64 v[10:11], v[2:3], v[10:11], -v[12:13]
	v_add_f64 v[12:13], v[8:9], v[6:7]
	v_add_f64 v[162:163], v[162:163], v[166:167]
	ds_load_b128 v[2:5], v1 offset:1072
	ds_load_b128 v[6:9], v1 offset:1088
	v_fma_f64 v[164:165], v[170:171], v[14:15], v[164:165]
	v_fma_f64 v[14:15], v[168:169], v[14:15], -v[16:17]
	s_waitcnt vmcnt(6) lgkmcnt(1)
	v_mul_f64 v[166:167], v[2:3], v[20:21]
	v_mul_f64 v[20:21], v[4:5], v[20:21]
	s_waitcnt vmcnt(5) lgkmcnt(0)
	v_mul_f64 v[16:17], v[6:7], v[24:25]
	v_mul_f64 v[24:25], v[8:9], v[24:25]
	v_add_f64 v[10:11], v[12:13], v[10:11]
	v_add_f64 v[12:13], v[162:163], v[172:173]
	v_fma_f64 v[162:163], v[4:5], v[18:19], v[166:167]
	v_fma_f64 v[18:19], v[2:3], v[18:19], -v[20:21]
	v_fma_f64 v[8:9], v[8:9], v[22:23], v[16:17]
	v_fma_f64 v[6:7], v[6:7], v[22:23], -v[24:25]
	v_add_f64 v[14:15], v[10:11], v[14:15]
	v_add_f64 v[20:21], v[12:13], v[164:165]
	ds_load_b128 v[2:5], v1 offset:1104
	ds_load_b128 v[10:13], v1 offset:1120
	s_waitcnt vmcnt(4) lgkmcnt(1)
	v_mul_f64 v[164:165], v[2:3], v[28:29]
	v_mul_f64 v[28:29], v[4:5], v[28:29]
	v_add_f64 v[14:15], v[14:15], v[18:19]
	v_add_f64 v[16:17], v[20:21], v[162:163]
	s_waitcnt vmcnt(3) lgkmcnt(0)
	v_mul_f64 v[18:19], v[10:11], v[32:33]
	v_mul_f64 v[20:21], v[12:13], v[32:33]
	v_fma_f64 v[22:23], v[4:5], v[26:27], v[164:165]
	v_fma_f64 v[24:25], v[2:3], v[26:27], -v[28:29]
	v_add_f64 v[14:15], v[14:15], v[6:7]
	v_add_f64 v[16:17], v[16:17], v[8:9]
	ds_load_b128 v[2:5], v1 offset:1136
	ds_load_b128 v[6:9], v1 offset:1152
	v_fma_f64 v[12:13], v[12:13], v[30:31], v[18:19]
	v_fma_f64 v[10:11], v[10:11], v[30:31], -v[20:21]
	s_waitcnt vmcnt(2) lgkmcnt(1)
	v_mul_f64 v[26:27], v[2:3], v[40:41]
	v_mul_f64 v[28:29], v[4:5], v[40:41]
	s_waitcnt vmcnt(1) lgkmcnt(0)
	v_mul_f64 v[18:19], v[6:7], v[160:161]
	v_mul_f64 v[20:21], v[8:9], v[160:161]
	v_add_f64 v[14:15], v[14:15], v[24:25]
	v_add_f64 v[16:17], v[16:17], v[22:23]
	v_fma_f64 v[22:23], v[4:5], v[38:39], v[26:27]
	v_fma_f64 v[24:25], v[2:3], v[38:39], -v[28:29]
	ds_load_b128 v[2:5], v1 offset:1168
	v_fma_f64 v[8:9], v[8:9], v[158:159], v[18:19]
	v_fma_f64 v[6:7], v[6:7], v[158:159], -v[20:21]
	v_add_f64 v[10:11], v[14:15], v[10:11]
	v_add_f64 v[12:13], v[16:17], v[12:13]
	s_waitcnt vmcnt(0) lgkmcnt(0)
	v_mul_f64 v[14:15], v[2:3], v[36:37]
	v_mul_f64 v[16:17], v[4:5], v[36:37]
	s_delay_alu instid0(VALU_DEP_4) | instskip(NEXT) | instid1(VALU_DEP_4)
	v_add_f64 v[10:11], v[10:11], v[24:25]
	v_add_f64 v[12:13], v[12:13], v[22:23]
	s_delay_alu instid0(VALU_DEP_4) | instskip(NEXT) | instid1(VALU_DEP_4)
	v_fma_f64 v[4:5], v[4:5], v[34:35], v[14:15]
	v_fma_f64 v[2:3], v[2:3], v[34:35], -v[16:17]
	s_delay_alu instid0(VALU_DEP_4) | instskip(NEXT) | instid1(VALU_DEP_4)
	v_add_f64 v[6:7], v[10:11], v[6:7]
	v_add_f64 v[8:9], v[12:13], v[8:9]
	s_delay_alu instid0(VALU_DEP_2) | instskip(NEXT) | instid1(VALU_DEP_2)
	v_add_f64 v[2:3], v[6:7], v[2:3]
	v_add_f64 v[4:5], v[8:9], v[4:5]
	s_delay_alu instid0(VALU_DEP_2) | instskip(NEXT) | instid1(VALU_DEP_2)
	v_add_f64 v[2:3], v[42:43], -v[2:3]
	v_add_f64 v[4:5], v[44:45], -v[4:5]
	scratch_store_b128 off, v[2:5], off offset:240
	v_cmpx_lt_u32_e32 14, v120
	s_cbranch_execz .LBB36_207
; %bb.206:
	scratch_load_b128 v[5:8], v140, off
	v_mov_b32_e32 v2, v1
	v_mov_b32_e32 v3, v1
	;; [unrolled: 1-line block ×3, first 2 shown]
	scratch_store_b128 off, v[1:4], off offset:224
	s_waitcnt vmcnt(0)
	ds_store_b128 v157, v[5:8]
.LBB36_207:
	s_or_b32 exec_lo, exec_lo, s2
	s_waitcnt lgkmcnt(0)
	s_waitcnt_vscnt null, 0x0
	s_barrier
	buffer_gl0_inv
	s_clause 0x8
	scratch_load_b128 v[2:5], off, off offset:240
	scratch_load_b128 v[6:9], off, off offset:256
	;; [unrolled: 1-line block ×9, first 2 shown]
	ds_load_b128 v[38:41], v1 offset:832
	ds_load_b128 v[42:45], v1 offset:848
	s_clause 0x1
	scratch_load_b128 v[158:161], off, off offset:224
	scratch_load_b128 v[162:165], off, off offset:384
	s_mov_b32 s2, exec_lo
	s_waitcnt vmcnt(10) lgkmcnt(1)
	v_mul_f64 v[166:167], v[40:41], v[4:5]
	v_mul_f64 v[4:5], v[38:39], v[4:5]
	s_waitcnt vmcnt(9) lgkmcnt(0)
	v_mul_f64 v[170:171], v[42:43], v[8:9]
	v_mul_f64 v[8:9], v[44:45], v[8:9]
	s_delay_alu instid0(VALU_DEP_4) | instskip(NEXT) | instid1(VALU_DEP_4)
	v_fma_f64 v[172:173], v[38:39], v[2:3], -v[166:167]
	v_fma_f64 v[174:175], v[40:41], v[2:3], v[4:5]
	ds_load_b128 v[2:5], v1 offset:864
	ds_load_b128 v[166:169], v1 offset:880
	scratch_load_b128 v[38:41], off, off offset:400
	v_fma_f64 v[44:45], v[44:45], v[6:7], v[170:171]
	v_fma_f64 v[42:43], v[42:43], v[6:7], -v[8:9]
	scratch_load_b128 v[6:9], off, off offset:416
	s_waitcnt vmcnt(10) lgkmcnt(1)
	v_mul_f64 v[176:177], v[2:3], v[12:13]
	v_mul_f64 v[12:13], v[4:5], v[12:13]
	v_add_f64 v[170:171], v[172:173], 0
	v_add_f64 v[172:173], v[174:175], 0
	s_waitcnt vmcnt(9) lgkmcnt(0)
	v_mul_f64 v[174:175], v[166:167], v[16:17]
	v_mul_f64 v[16:17], v[168:169], v[16:17]
	v_fma_f64 v[176:177], v[4:5], v[10:11], v[176:177]
	v_fma_f64 v[178:179], v[2:3], v[10:11], -v[12:13]
	ds_load_b128 v[2:5], v1 offset:896
	scratch_load_b128 v[10:13], off, off offset:432
	v_add_f64 v[170:171], v[170:171], v[42:43]
	v_add_f64 v[172:173], v[172:173], v[44:45]
	ds_load_b128 v[42:45], v1 offset:912
	v_fma_f64 v[168:169], v[168:169], v[14:15], v[174:175]
	v_fma_f64 v[166:167], v[166:167], v[14:15], -v[16:17]
	scratch_load_b128 v[14:17], off, off offset:448
	s_waitcnt vmcnt(10) lgkmcnt(1)
	v_mul_f64 v[180:181], v[2:3], v[20:21]
	v_mul_f64 v[20:21], v[4:5], v[20:21]
	s_waitcnt vmcnt(9) lgkmcnt(0)
	v_mul_f64 v[174:175], v[42:43], v[24:25]
	v_mul_f64 v[24:25], v[44:45], v[24:25]
	v_add_f64 v[170:171], v[170:171], v[178:179]
	v_add_f64 v[172:173], v[172:173], v[176:177]
	v_fma_f64 v[176:177], v[4:5], v[18:19], v[180:181]
	v_fma_f64 v[178:179], v[2:3], v[18:19], -v[20:21]
	ds_load_b128 v[2:5], v1 offset:928
	scratch_load_b128 v[18:21], off, off offset:464
	v_fma_f64 v[44:45], v[44:45], v[22:23], v[174:175]
	v_fma_f64 v[42:43], v[42:43], v[22:23], -v[24:25]
	scratch_load_b128 v[22:25], off, off offset:480
	v_add_f64 v[170:171], v[170:171], v[166:167]
	v_add_f64 v[172:173], v[172:173], v[168:169]
	ds_load_b128 v[166:169], v1 offset:944
	s_waitcnt vmcnt(10) lgkmcnt(1)
	v_mul_f64 v[180:181], v[2:3], v[28:29]
	v_mul_f64 v[28:29], v[4:5], v[28:29]
	s_waitcnt vmcnt(9) lgkmcnt(0)
	v_mul_f64 v[174:175], v[166:167], v[32:33]
	v_mul_f64 v[32:33], v[168:169], v[32:33]
	v_add_f64 v[170:171], v[170:171], v[178:179]
	v_add_f64 v[172:173], v[172:173], v[176:177]
	v_fma_f64 v[176:177], v[4:5], v[26:27], v[180:181]
	v_fma_f64 v[178:179], v[2:3], v[26:27], -v[28:29]
	ds_load_b128 v[2:5], v1 offset:960
	scratch_load_b128 v[26:29], off, off offset:496
	v_fma_f64 v[168:169], v[168:169], v[30:31], v[174:175]
	v_fma_f64 v[166:167], v[166:167], v[30:31], -v[32:33]
	scratch_load_b128 v[30:33], off, off offset:512
	v_add_f64 v[170:171], v[170:171], v[42:43]
	v_add_f64 v[172:173], v[172:173], v[44:45]
	ds_load_b128 v[42:45], v1 offset:976
	s_waitcnt vmcnt(10) lgkmcnt(1)
	v_mul_f64 v[180:181], v[2:3], v[36:37]
	v_mul_f64 v[36:37], v[4:5], v[36:37]
	s_waitcnt vmcnt(8) lgkmcnt(0)
	v_mul_f64 v[174:175], v[42:43], v[164:165]
	v_add_f64 v[170:171], v[170:171], v[178:179]
	v_add_f64 v[172:173], v[172:173], v[176:177]
	v_mul_f64 v[176:177], v[44:45], v[164:165]
	v_fma_f64 v[178:179], v[4:5], v[34:35], v[180:181]
	v_fma_f64 v[180:181], v[2:3], v[34:35], -v[36:37]
	ds_load_b128 v[2:5], v1 offset:992
	scratch_load_b128 v[34:37], off, off offset:528
	v_fma_f64 v[44:45], v[44:45], v[162:163], v[174:175]
	v_add_f64 v[170:171], v[170:171], v[166:167]
	v_add_f64 v[168:169], v[172:173], v[168:169]
	ds_load_b128 v[164:167], v1 offset:1008
	v_fma_f64 v[162:163], v[42:43], v[162:163], -v[176:177]
	s_waitcnt vmcnt(8) lgkmcnt(1)
	v_mul_f64 v[172:173], v[2:3], v[40:41]
	v_mul_f64 v[182:183], v[4:5], v[40:41]
	scratch_load_b128 v[40:43], off, off offset:544
	s_waitcnt vmcnt(8) lgkmcnt(0)
	v_mul_f64 v[176:177], v[164:165], v[8:9]
	v_mul_f64 v[8:9], v[166:167], v[8:9]
	v_add_f64 v[170:171], v[170:171], v[180:181]
	v_add_f64 v[168:169], v[168:169], v[178:179]
	v_fma_f64 v[178:179], v[4:5], v[38:39], v[172:173]
	v_fma_f64 v[38:39], v[2:3], v[38:39], -v[182:183]
	ds_load_b128 v[2:5], v1 offset:1024
	ds_load_b128 v[172:175], v1 offset:1040
	v_fma_f64 v[166:167], v[166:167], v[6:7], v[176:177]
	v_fma_f64 v[164:165], v[164:165], v[6:7], -v[8:9]
	scratch_load_b128 v[6:9], off, off offset:576
	v_add_f64 v[162:163], v[170:171], v[162:163]
	v_add_f64 v[44:45], v[168:169], v[44:45]
	scratch_load_b128 v[168:171], off, off offset:560
	s_waitcnt vmcnt(9) lgkmcnt(1)
	v_mul_f64 v[180:181], v[2:3], v[12:13]
	v_mul_f64 v[12:13], v[4:5], v[12:13]
	v_add_f64 v[38:39], v[162:163], v[38:39]
	v_add_f64 v[44:45], v[44:45], v[178:179]
	s_waitcnt vmcnt(8) lgkmcnt(0)
	v_mul_f64 v[162:163], v[172:173], v[16:17]
	v_mul_f64 v[16:17], v[174:175], v[16:17]
	v_fma_f64 v[176:177], v[4:5], v[10:11], v[180:181]
	v_fma_f64 v[178:179], v[2:3], v[10:11], -v[12:13]
	ds_load_b128 v[2:5], v1 offset:1056
	ds_load_b128 v[10:13], v1 offset:1072
	v_add_f64 v[38:39], v[38:39], v[164:165]
	v_add_f64 v[44:45], v[44:45], v[166:167]
	s_waitcnt vmcnt(7) lgkmcnt(1)
	v_mul_f64 v[164:165], v[2:3], v[20:21]
	v_mul_f64 v[20:21], v[4:5], v[20:21]
	v_fma_f64 v[162:163], v[174:175], v[14:15], v[162:163]
	v_fma_f64 v[14:15], v[172:173], v[14:15], -v[16:17]
	v_add_f64 v[16:17], v[38:39], v[178:179]
	v_add_f64 v[38:39], v[44:45], v[176:177]
	s_waitcnt vmcnt(6) lgkmcnt(0)
	v_mul_f64 v[44:45], v[10:11], v[24:25]
	v_mul_f64 v[24:25], v[12:13], v[24:25]
	v_fma_f64 v[164:165], v[4:5], v[18:19], v[164:165]
	v_fma_f64 v[18:19], v[2:3], v[18:19], -v[20:21]
	v_add_f64 v[20:21], v[16:17], v[14:15]
	v_add_f64 v[38:39], v[38:39], v[162:163]
	ds_load_b128 v[2:5], v1 offset:1088
	ds_load_b128 v[14:17], v1 offset:1104
	v_fma_f64 v[12:13], v[12:13], v[22:23], v[44:45]
	v_fma_f64 v[10:11], v[10:11], v[22:23], -v[24:25]
	s_waitcnt vmcnt(5) lgkmcnt(1)
	v_mul_f64 v[162:163], v[2:3], v[28:29]
	v_mul_f64 v[28:29], v[4:5], v[28:29]
	s_waitcnt vmcnt(4) lgkmcnt(0)
	v_mul_f64 v[22:23], v[14:15], v[32:33]
	v_mul_f64 v[24:25], v[16:17], v[32:33]
	v_add_f64 v[18:19], v[20:21], v[18:19]
	v_add_f64 v[20:21], v[38:39], v[164:165]
	v_fma_f64 v[32:33], v[4:5], v[26:27], v[162:163]
	v_fma_f64 v[26:27], v[2:3], v[26:27], -v[28:29]
	v_fma_f64 v[16:17], v[16:17], v[30:31], v[22:23]
	v_fma_f64 v[14:15], v[14:15], v[30:31], -v[24:25]
	v_add_f64 v[18:19], v[18:19], v[10:11]
	v_add_f64 v[20:21], v[20:21], v[12:13]
	ds_load_b128 v[2:5], v1 offset:1120
	ds_load_b128 v[10:13], v1 offset:1136
	s_waitcnt vmcnt(3) lgkmcnt(1)
	v_mul_f64 v[28:29], v[2:3], v[36:37]
	v_mul_f64 v[36:37], v[4:5], v[36:37]
	s_waitcnt vmcnt(2) lgkmcnt(0)
	v_mul_f64 v[22:23], v[10:11], v[42:43]
	v_add_f64 v[18:19], v[18:19], v[26:27]
	v_add_f64 v[20:21], v[20:21], v[32:33]
	v_mul_f64 v[24:25], v[12:13], v[42:43]
	v_fma_f64 v[26:27], v[4:5], v[34:35], v[28:29]
	v_fma_f64 v[28:29], v[2:3], v[34:35], -v[36:37]
	v_fma_f64 v[12:13], v[12:13], v[40:41], v[22:23]
	v_add_f64 v[18:19], v[18:19], v[14:15]
	v_add_f64 v[20:21], v[20:21], v[16:17]
	ds_load_b128 v[2:5], v1 offset:1152
	ds_load_b128 v[14:17], v1 offset:1168
	v_fma_f64 v[10:11], v[10:11], v[40:41], -v[24:25]
	s_waitcnt vmcnt(0) lgkmcnt(1)
	v_mul_f64 v[30:31], v[2:3], v[170:171]
	v_mul_f64 v[32:33], v[4:5], v[170:171]
	s_waitcnt lgkmcnt(0)
	v_mul_f64 v[22:23], v[14:15], v[8:9]
	v_mul_f64 v[8:9], v[16:17], v[8:9]
	v_add_f64 v[18:19], v[18:19], v[28:29]
	v_add_f64 v[20:21], v[20:21], v[26:27]
	v_fma_f64 v[4:5], v[4:5], v[168:169], v[30:31]
	v_fma_f64 v[1:2], v[2:3], v[168:169], -v[32:33]
	v_fma_f64 v[16:17], v[16:17], v[6:7], v[22:23]
	v_fma_f64 v[6:7], v[14:15], v[6:7], -v[8:9]
	v_add_f64 v[10:11], v[18:19], v[10:11]
	v_add_f64 v[12:13], v[20:21], v[12:13]
	s_delay_alu instid0(VALU_DEP_2) | instskip(NEXT) | instid1(VALU_DEP_2)
	v_add_f64 v[1:2], v[10:11], v[1:2]
	v_add_f64 v[3:4], v[12:13], v[4:5]
	s_delay_alu instid0(VALU_DEP_2) | instskip(NEXT) | instid1(VALU_DEP_2)
	;; [unrolled: 3-line block ×3, first 2 shown]
	v_add_f64 v[1:2], v[158:159], -v[1:2]
	v_add_f64 v[3:4], v[160:161], -v[3:4]
	scratch_store_b128 off, v[1:4], off offset:224
	v_cmpx_lt_u32_e32 13, v120
	s_cbranch_execz .LBB36_209
; %bb.208:
	scratch_load_b128 v[1:4], v143, off
	v_mov_b32_e32 v5, 0
	s_delay_alu instid0(VALU_DEP_1)
	v_mov_b32_e32 v6, v5
	v_mov_b32_e32 v7, v5
	;; [unrolled: 1-line block ×3, first 2 shown]
	scratch_store_b128 off, v[5:8], off offset:208
	s_waitcnt vmcnt(0)
	ds_store_b128 v157, v[1:4]
.LBB36_209:
	s_or_b32 exec_lo, exec_lo, s2
	s_waitcnt lgkmcnt(0)
	s_waitcnt_vscnt null, 0x0
	s_barrier
	buffer_gl0_inv
	s_clause 0x7
	scratch_load_b128 v[2:5], off, off offset:224
	scratch_load_b128 v[6:9], off, off offset:240
	;; [unrolled: 1-line block ×8, first 2 shown]
	v_mov_b32_e32 v1, 0
	s_mov_b32 s2, exec_lo
	ds_load_b128 v[34:37], v1 offset:816
	s_clause 0x1
	scratch_load_b128 v[38:41], off, off offset:352
	scratch_load_b128 v[42:45], off, off offset:208
	ds_load_b128 v[158:161], v1 offset:832
	scratch_load_b128 v[162:165], off, off offset:368
	s_waitcnt vmcnt(10) lgkmcnt(1)
	v_mul_f64 v[166:167], v[36:37], v[4:5]
	v_mul_f64 v[4:5], v[34:35], v[4:5]
	s_delay_alu instid0(VALU_DEP_2) | instskip(NEXT) | instid1(VALU_DEP_2)
	v_fma_f64 v[172:173], v[34:35], v[2:3], -v[166:167]
	v_fma_f64 v[174:175], v[36:37], v[2:3], v[4:5]
	scratch_load_b128 v[34:37], off, off offset:384
	ds_load_b128 v[2:5], v1 offset:848
	s_waitcnt vmcnt(10) lgkmcnt(1)
	v_mul_f64 v[170:171], v[158:159], v[8:9]
	v_mul_f64 v[8:9], v[160:161], v[8:9]
	ds_load_b128 v[166:169], v1 offset:864
	s_waitcnt vmcnt(9) lgkmcnt(1)
	v_mul_f64 v[176:177], v[2:3], v[12:13]
	v_mul_f64 v[12:13], v[4:5], v[12:13]
	v_fma_f64 v[160:161], v[160:161], v[6:7], v[170:171]
	v_fma_f64 v[158:159], v[158:159], v[6:7], -v[8:9]
	v_add_f64 v[170:171], v[172:173], 0
	v_add_f64 v[172:173], v[174:175], 0
	scratch_load_b128 v[6:9], off, off offset:400
	v_fma_f64 v[176:177], v[4:5], v[10:11], v[176:177]
	v_fma_f64 v[178:179], v[2:3], v[10:11], -v[12:13]
	scratch_load_b128 v[10:13], off, off offset:416
	ds_load_b128 v[2:5], v1 offset:880
	s_waitcnt vmcnt(10) lgkmcnt(1)
	v_mul_f64 v[174:175], v[166:167], v[16:17]
	v_mul_f64 v[16:17], v[168:169], v[16:17]
	v_add_f64 v[170:171], v[170:171], v[158:159]
	v_add_f64 v[172:173], v[172:173], v[160:161]
	s_waitcnt vmcnt(9) lgkmcnt(0)
	v_mul_f64 v[180:181], v[2:3], v[20:21]
	v_mul_f64 v[20:21], v[4:5], v[20:21]
	ds_load_b128 v[158:161], v1 offset:896
	v_fma_f64 v[168:169], v[168:169], v[14:15], v[174:175]
	v_fma_f64 v[166:167], v[166:167], v[14:15], -v[16:17]
	scratch_load_b128 v[14:17], off, off offset:432
	v_add_f64 v[170:171], v[170:171], v[178:179]
	v_add_f64 v[172:173], v[172:173], v[176:177]
	v_fma_f64 v[176:177], v[4:5], v[18:19], v[180:181]
	v_fma_f64 v[178:179], v[2:3], v[18:19], -v[20:21]
	scratch_load_b128 v[18:21], off, off offset:448
	ds_load_b128 v[2:5], v1 offset:912
	s_waitcnt vmcnt(10) lgkmcnt(1)
	v_mul_f64 v[174:175], v[158:159], v[24:25]
	v_mul_f64 v[24:25], v[160:161], v[24:25]
	s_waitcnt vmcnt(9) lgkmcnt(0)
	v_mul_f64 v[180:181], v[2:3], v[28:29]
	v_mul_f64 v[28:29], v[4:5], v[28:29]
	v_add_f64 v[170:171], v[170:171], v[166:167]
	v_add_f64 v[172:173], v[172:173], v[168:169]
	ds_load_b128 v[166:169], v1 offset:928
	v_fma_f64 v[160:161], v[160:161], v[22:23], v[174:175]
	v_fma_f64 v[158:159], v[158:159], v[22:23], -v[24:25]
	scratch_load_b128 v[22:25], off, off offset:464
	v_add_f64 v[170:171], v[170:171], v[178:179]
	v_add_f64 v[172:173], v[172:173], v[176:177]
	v_fma_f64 v[176:177], v[4:5], v[26:27], v[180:181]
	v_fma_f64 v[178:179], v[2:3], v[26:27], -v[28:29]
	scratch_load_b128 v[26:29], off, off offset:480
	ds_load_b128 v[2:5], v1 offset:944
	s_waitcnt vmcnt(10) lgkmcnt(1)
	v_mul_f64 v[174:175], v[166:167], v[32:33]
	v_mul_f64 v[32:33], v[168:169], v[32:33]
	s_waitcnt vmcnt(9) lgkmcnt(0)
	v_mul_f64 v[180:181], v[2:3], v[40:41]
	v_mul_f64 v[40:41], v[4:5], v[40:41]
	v_add_f64 v[170:171], v[170:171], v[158:159]
	v_add_f64 v[172:173], v[172:173], v[160:161]
	ds_load_b128 v[158:161], v1 offset:960
	v_fma_f64 v[168:169], v[168:169], v[30:31], v[174:175]
	v_fma_f64 v[166:167], v[166:167], v[30:31], -v[32:33]
	scratch_load_b128 v[30:33], off, off offset:496
	v_add_f64 v[170:171], v[170:171], v[178:179]
	v_add_f64 v[172:173], v[172:173], v[176:177]
	v_fma_f64 v[178:179], v[4:5], v[38:39], v[180:181]
	v_fma_f64 v[180:181], v[2:3], v[38:39], -v[40:41]
	scratch_load_b128 v[38:41], off, off offset:512
	ds_load_b128 v[2:5], v1 offset:976
	s_waitcnt vmcnt(9) lgkmcnt(1)
	v_mul_f64 v[174:175], v[158:159], v[164:165]
	v_mul_f64 v[176:177], v[160:161], v[164:165]
	v_add_f64 v[170:171], v[170:171], v[166:167]
	v_add_f64 v[168:169], v[172:173], v[168:169]
	ds_load_b128 v[164:167], v1 offset:992
	v_fma_f64 v[174:175], v[160:161], v[162:163], v[174:175]
	v_fma_f64 v[162:163], v[158:159], v[162:163], -v[176:177]
	scratch_load_b128 v[158:161], off, off offset:528
	s_waitcnt vmcnt(9) lgkmcnt(1)
	v_mul_f64 v[172:173], v[2:3], v[36:37]
	v_mul_f64 v[36:37], v[4:5], v[36:37]
	v_add_f64 v[170:171], v[170:171], v[180:181]
	v_add_f64 v[168:169], v[168:169], v[178:179]
	s_delay_alu instid0(VALU_DEP_4) | instskip(NEXT) | instid1(VALU_DEP_4)
	v_fma_f64 v[172:173], v[4:5], v[34:35], v[172:173]
	v_fma_f64 v[178:179], v[2:3], v[34:35], -v[36:37]
	scratch_load_b128 v[34:37], off, off offset:544
	ds_load_b128 v[2:5], v1 offset:1008
	s_waitcnt vmcnt(9) lgkmcnt(1)
	v_mul_f64 v[176:177], v[164:165], v[8:9]
	v_mul_f64 v[8:9], v[166:167], v[8:9]
	s_waitcnt vmcnt(8) lgkmcnt(0)
	v_mul_f64 v[180:181], v[2:3], v[12:13]
	v_mul_f64 v[12:13], v[4:5], v[12:13]
	v_add_f64 v[162:163], v[170:171], v[162:163]
	v_add_f64 v[174:175], v[168:169], v[174:175]
	ds_load_b128 v[168:171], v1 offset:1024
	v_fma_f64 v[166:167], v[166:167], v[6:7], v[176:177]
	v_fma_f64 v[164:165], v[164:165], v[6:7], -v[8:9]
	scratch_load_b128 v[6:9], off, off offset:560
	v_fma_f64 v[176:177], v[4:5], v[10:11], v[180:181]
	v_add_f64 v[162:163], v[162:163], v[178:179]
	v_add_f64 v[172:173], v[174:175], v[172:173]
	v_fma_f64 v[178:179], v[2:3], v[10:11], -v[12:13]
	scratch_load_b128 v[10:13], off, off offset:576
	ds_load_b128 v[2:5], v1 offset:1040
	s_waitcnt vmcnt(9) lgkmcnt(1)
	v_mul_f64 v[174:175], v[168:169], v[16:17]
	v_mul_f64 v[16:17], v[170:171], v[16:17]
	v_add_f64 v[180:181], v[162:163], v[164:165]
	v_add_f64 v[166:167], v[172:173], v[166:167]
	s_waitcnt vmcnt(8) lgkmcnt(0)
	v_mul_f64 v[172:173], v[2:3], v[20:21]
	v_mul_f64 v[20:21], v[4:5], v[20:21]
	ds_load_b128 v[162:165], v1 offset:1056
	v_fma_f64 v[170:171], v[170:171], v[14:15], v[174:175]
	v_fma_f64 v[14:15], v[168:169], v[14:15], -v[16:17]
	s_waitcnt vmcnt(7) lgkmcnt(0)
	v_mul_f64 v[168:169], v[162:163], v[24:25]
	v_mul_f64 v[24:25], v[164:165], v[24:25]
	v_add_f64 v[16:17], v[180:181], v[178:179]
	v_add_f64 v[166:167], v[166:167], v[176:177]
	v_fma_f64 v[172:173], v[4:5], v[18:19], v[172:173]
	v_fma_f64 v[18:19], v[2:3], v[18:19], -v[20:21]
	v_fma_f64 v[164:165], v[164:165], v[22:23], v[168:169]
	v_fma_f64 v[22:23], v[162:163], v[22:23], -v[24:25]
	v_add_f64 v[20:21], v[16:17], v[14:15]
	v_add_f64 v[166:167], v[166:167], v[170:171]
	ds_load_b128 v[2:5], v1 offset:1072
	ds_load_b128 v[14:17], v1 offset:1088
	s_waitcnt vmcnt(6) lgkmcnt(1)
	v_mul_f64 v[170:171], v[2:3], v[28:29]
	v_mul_f64 v[28:29], v[4:5], v[28:29]
	s_waitcnt vmcnt(5) lgkmcnt(0)
	v_mul_f64 v[24:25], v[14:15], v[32:33]
	v_mul_f64 v[32:33], v[16:17], v[32:33]
	v_add_f64 v[18:19], v[20:21], v[18:19]
	v_add_f64 v[20:21], v[166:167], v[172:173]
	v_fma_f64 v[162:163], v[4:5], v[26:27], v[170:171]
	v_fma_f64 v[26:27], v[2:3], v[26:27], -v[28:29]
	v_fma_f64 v[16:17], v[16:17], v[30:31], v[24:25]
	v_fma_f64 v[14:15], v[14:15], v[30:31], -v[32:33]
	v_add_f64 v[22:23], v[18:19], v[22:23]
	v_add_f64 v[28:29], v[20:21], v[164:165]
	ds_load_b128 v[2:5], v1 offset:1104
	ds_load_b128 v[18:21], v1 offset:1120
	s_waitcnt vmcnt(4) lgkmcnt(1)
	v_mul_f64 v[164:165], v[2:3], v[40:41]
	v_mul_f64 v[40:41], v[4:5], v[40:41]
	v_add_f64 v[22:23], v[22:23], v[26:27]
	v_add_f64 v[24:25], v[28:29], v[162:163]
	s_waitcnt vmcnt(3) lgkmcnt(0)
	v_mul_f64 v[26:27], v[18:19], v[160:161]
	v_mul_f64 v[28:29], v[20:21], v[160:161]
	v_fma_f64 v[30:31], v[4:5], v[38:39], v[164:165]
	v_fma_f64 v[32:33], v[2:3], v[38:39], -v[40:41]
	v_add_f64 v[22:23], v[22:23], v[14:15]
	v_add_f64 v[24:25], v[24:25], v[16:17]
	ds_load_b128 v[2:5], v1 offset:1136
	ds_load_b128 v[14:17], v1 offset:1152
	v_fma_f64 v[20:21], v[20:21], v[158:159], v[26:27]
	v_fma_f64 v[18:19], v[18:19], v[158:159], -v[28:29]
	s_waitcnt vmcnt(2) lgkmcnt(1)
	v_mul_f64 v[38:39], v[2:3], v[36:37]
	v_mul_f64 v[36:37], v[4:5], v[36:37]
	s_waitcnt vmcnt(1) lgkmcnt(0)
	v_mul_f64 v[26:27], v[14:15], v[8:9]
	v_mul_f64 v[8:9], v[16:17], v[8:9]
	v_add_f64 v[22:23], v[22:23], v[32:33]
	v_add_f64 v[24:25], v[24:25], v[30:31]
	v_fma_f64 v[28:29], v[4:5], v[34:35], v[38:39]
	v_fma_f64 v[30:31], v[2:3], v[34:35], -v[36:37]
	ds_load_b128 v[2:5], v1 offset:1168
	v_fma_f64 v[16:17], v[16:17], v[6:7], v[26:27]
	v_fma_f64 v[6:7], v[14:15], v[6:7], -v[8:9]
	v_add_f64 v[18:19], v[22:23], v[18:19]
	v_add_f64 v[20:21], v[24:25], v[20:21]
	s_waitcnt vmcnt(0) lgkmcnt(0)
	v_mul_f64 v[22:23], v[2:3], v[12:13]
	v_mul_f64 v[12:13], v[4:5], v[12:13]
	s_delay_alu instid0(VALU_DEP_4) | instskip(NEXT) | instid1(VALU_DEP_4)
	v_add_f64 v[8:9], v[18:19], v[30:31]
	v_add_f64 v[14:15], v[20:21], v[28:29]
	s_delay_alu instid0(VALU_DEP_4) | instskip(NEXT) | instid1(VALU_DEP_4)
	v_fma_f64 v[4:5], v[4:5], v[10:11], v[22:23]
	v_fma_f64 v[2:3], v[2:3], v[10:11], -v[12:13]
	s_delay_alu instid0(VALU_DEP_4) | instskip(NEXT) | instid1(VALU_DEP_4)
	v_add_f64 v[6:7], v[8:9], v[6:7]
	v_add_f64 v[8:9], v[14:15], v[16:17]
	s_delay_alu instid0(VALU_DEP_2) | instskip(NEXT) | instid1(VALU_DEP_2)
	v_add_f64 v[2:3], v[6:7], v[2:3]
	v_add_f64 v[4:5], v[8:9], v[4:5]
	s_delay_alu instid0(VALU_DEP_2) | instskip(NEXT) | instid1(VALU_DEP_2)
	v_add_f64 v[2:3], v[42:43], -v[2:3]
	v_add_f64 v[4:5], v[44:45], -v[4:5]
	scratch_store_b128 off, v[2:5], off offset:208
	v_cmpx_lt_u32_e32 12, v120
	s_cbranch_execz .LBB36_211
; %bb.210:
	scratch_load_b128 v[5:8], v141, off
	v_mov_b32_e32 v2, v1
	v_mov_b32_e32 v3, v1
	;; [unrolled: 1-line block ×3, first 2 shown]
	scratch_store_b128 off, v[1:4], off offset:192
	s_waitcnt vmcnt(0)
	ds_store_b128 v157, v[5:8]
.LBB36_211:
	s_or_b32 exec_lo, exec_lo, s2
	s_waitcnt lgkmcnt(0)
	s_waitcnt_vscnt null, 0x0
	s_barrier
	buffer_gl0_inv
	s_clause 0x8
	scratch_load_b128 v[2:5], off, off offset:208
	scratch_load_b128 v[6:9], off, off offset:224
	;; [unrolled: 1-line block ×9, first 2 shown]
	ds_load_b128 v[38:41], v1 offset:800
	ds_load_b128 v[42:45], v1 offset:816
	s_clause 0x1
	scratch_load_b128 v[158:161], off, off offset:192
	scratch_load_b128 v[162:165], off, off offset:352
	s_mov_b32 s2, exec_lo
	s_waitcnt vmcnt(10) lgkmcnt(1)
	v_mul_f64 v[166:167], v[40:41], v[4:5]
	v_mul_f64 v[4:5], v[38:39], v[4:5]
	s_waitcnt vmcnt(9) lgkmcnt(0)
	v_mul_f64 v[170:171], v[42:43], v[8:9]
	v_mul_f64 v[8:9], v[44:45], v[8:9]
	s_delay_alu instid0(VALU_DEP_4) | instskip(NEXT) | instid1(VALU_DEP_4)
	v_fma_f64 v[172:173], v[38:39], v[2:3], -v[166:167]
	v_fma_f64 v[174:175], v[40:41], v[2:3], v[4:5]
	ds_load_b128 v[2:5], v1 offset:832
	ds_load_b128 v[166:169], v1 offset:848
	scratch_load_b128 v[38:41], off, off offset:368
	v_fma_f64 v[44:45], v[44:45], v[6:7], v[170:171]
	v_fma_f64 v[42:43], v[42:43], v[6:7], -v[8:9]
	scratch_load_b128 v[6:9], off, off offset:384
	s_waitcnt vmcnt(10) lgkmcnt(1)
	v_mul_f64 v[176:177], v[2:3], v[12:13]
	v_mul_f64 v[12:13], v[4:5], v[12:13]
	v_add_f64 v[170:171], v[172:173], 0
	v_add_f64 v[172:173], v[174:175], 0
	s_waitcnt vmcnt(9) lgkmcnt(0)
	v_mul_f64 v[174:175], v[166:167], v[16:17]
	v_mul_f64 v[16:17], v[168:169], v[16:17]
	v_fma_f64 v[176:177], v[4:5], v[10:11], v[176:177]
	v_fma_f64 v[178:179], v[2:3], v[10:11], -v[12:13]
	ds_load_b128 v[2:5], v1 offset:864
	scratch_load_b128 v[10:13], off, off offset:400
	v_add_f64 v[170:171], v[170:171], v[42:43]
	v_add_f64 v[172:173], v[172:173], v[44:45]
	ds_load_b128 v[42:45], v1 offset:880
	v_fma_f64 v[168:169], v[168:169], v[14:15], v[174:175]
	v_fma_f64 v[166:167], v[166:167], v[14:15], -v[16:17]
	scratch_load_b128 v[14:17], off, off offset:416
	s_waitcnt vmcnt(10) lgkmcnt(1)
	v_mul_f64 v[180:181], v[2:3], v[20:21]
	v_mul_f64 v[20:21], v[4:5], v[20:21]
	s_waitcnt vmcnt(9) lgkmcnt(0)
	v_mul_f64 v[174:175], v[42:43], v[24:25]
	v_mul_f64 v[24:25], v[44:45], v[24:25]
	v_add_f64 v[170:171], v[170:171], v[178:179]
	v_add_f64 v[172:173], v[172:173], v[176:177]
	v_fma_f64 v[176:177], v[4:5], v[18:19], v[180:181]
	v_fma_f64 v[178:179], v[2:3], v[18:19], -v[20:21]
	ds_load_b128 v[2:5], v1 offset:896
	scratch_load_b128 v[18:21], off, off offset:432
	v_fma_f64 v[44:45], v[44:45], v[22:23], v[174:175]
	v_fma_f64 v[42:43], v[42:43], v[22:23], -v[24:25]
	scratch_load_b128 v[22:25], off, off offset:448
	v_add_f64 v[170:171], v[170:171], v[166:167]
	v_add_f64 v[172:173], v[172:173], v[168:169]
	ds_load_b128 v[166:169], v1 offset:912
	s_waitcnt vmcnt(10) lgkmcnt(1)
	v_mul_f64 v[180:181], v[2:3], v[28:29]
	v_mul_f64 v[28:29], v[4:5], v[28:29]
	s_waitcnt vmcnt(9) lgkmcnt(0)
	v_mul_f64 v[174:175], v[166:167], v[32:33]
	v_mul_f64 v[32:33], v[168:169], v[32:33]
	v_add_f64 v[170:171], v[170:171], v[178:179]
	v_add_f64 v[172:173], v[172:173], v[176:177]
	v_fma_f64 v[176:177], v[4:5], v[26:27], v[180:181]
	v_fma_f64 v[178:179], v[2:3], v[26:27], -v[28:29]
	ds_load_b128 v[2:5], v1 offset:928
	scratch_load_b128 v[26:29], off, off offset:464
	v_fma_f64 v[168:169], v[168:169], v[30:31], v[174:175]
	v_fma_f64 v[166:167], v[166:167], v[30:31], -v[32:33]
	scratch_load_b128 v[30:33], off, off offset:480
	v_add_f64 v[170:171], v[170:171], v[42:43]
	v_add_f64 v[172:173], v[172:173], v[44:45]
	ds_load_b128 v[42:45], v1 offset:944
	s_waitcnt vmcnt(10) lgkmcnt(1)
	v_mul_f64 v[180:181], v[2:3], v[36:37]
	v_mul_f64 v[36:37], v[4:5], v[36:37]
	s_waitcnt vmcnt(8) lgkmcnt(0)
	v_mul_f64 v[174:175], v[42:43], v[164:165]
	v_add_f64 v[170:171], v[170:171], v[178:179]
	v_add_f64 v[172:173], v[172:173], v[176:177]
	v_mul_f64 v[176:177], v[44:45], v[164:165]
	v_fma_f64 v[178:179], v[4:5], v[34:35], v[180:181]
	v_fma_f64 v[180:181], v[2:3], v[34:35], -v[36:37]
	ds_load_b128 v[2:5], v1 offset:960
	scratch_load_b128 v[34:37], off, off offset:496
	v_fma_f64 v[44:45], v[44:45], v[162:163], v[174:175]
	v_add_f64 v[170:171], v[170:171], v[166:167]
	v_add_f64 v[168:169], v[172:173], v[168:169]
	ds_load_b128 v[164:167], v1 offset:976
	v_fma_f64 v[162:163], v[42:43], v[162:163], -v[176:177]
	s_waitcnt vmcnt(8) lgkmcnt(1)
	v_mul_f64 v[172:173], v[2:3], v[40:41]
	v_mul_f64 v[182:183], v[4:5], v[40:41]
	scratch_load_b128 v[40:43], off, off offset:512
	s_waitcnt vmcnt(8) lgkmcnt(0)
	v_mul_f64 v[176:177], v[164:165], v[8:9]
	v_mul_f64 v[8:9], v[166:167], v[8:9]
	v_add_f64 v[170:171], v[170:171], v[180:181]
	v_add_f64 v[168:169], v[168:169], v[178:179]
	v_fma_f64 v[178:179], v[4:5], v[38:39], v[172:173]
	v_fma_f64 v[38:39], v[2:3], v[38:39], -v[182:183]
	ds_load_b128 v[2:5], v1 offset:992
	ds_load_b128 v[172:175], v1 offset:1008
	v_fma_f64 v[166:167], v[166:167], v[6:7], v[176:177]
	v_fma_f64 v[164:165], v[164:165], v[6:7], -v[8:9]
	scratch_load_b128 v[6:9], off, off offset:544
	v_add_f64 v[162:163], v[170:171], v[162:163]
	v_add_f64 v[44:45], v[168:169], v[44:45]
	scratch_load_b128 v[168:171], off, off offset:528
	s_waitcnt vmcnt(9) lgkmcnt(1)
	v_mul_f64 v[180:181], v[2:3], v[12:13]
	v_mul_f64 v[12:13], v[4:5], v[12:13]
	s_waitcnt vmcnt(8) lgkmcnt(0)
	v_mul_f64 v[176:177], v[172:173], v[16:17]
	v_mul_f64 v[16:17], v[174:175], v[16:17]
	v_add_f64 v[38:39], v[162:163], v[38:39]
	v_add_f64 v[44:45], v[44:45], v[178:179]
	v_fma_f64 v[178:179], v[4:5], v[10:11], v[180:181]
	v_fma_f64 v[180:181], v[2:3], v[10:11], -v[12:13]
	ds_load_b128 v[2:5], v1 offset:1024
	scratch_load_b128 v[10:13], off, off offset:560
	v_fma_f64 v[174:175], v[174:175], v[14:15], v[176:177]
	v_fma_f64 v[172:173], v[172:173], v[14:15], -v[16:17]
	scratch_load_b128 v[14:17], off, off offset:576
	v_add_f64 v[38:39], v[38:39], v[164:165]
	v_add_f64 v[44:45], v[44:45], v[166:167]
	ds_load_b128 v[162:165], v1 offset:1040
	s_waitcnt vmcnt(9) lgkmcnt(1)
	v_mul_f64 v[166:167], v[2:3], v[20:21]
	v_mul_f64 v[20:21], v[4:5], v[20:21]
	s_waitcnt vmcnt(8) lgkmcnt(0)
	v_mul_f64 v[176:177], v[162:163], v[24:25]
	v_mul_f64 v[24:25], v[164:165], v[24:25]
	v_add_f64 v[38:39], v[38:39], v[180:181]
	v_add_f64 v[44:45], v[44:45], v[178:179]
	v_fma_f64 v[166:167], v[4:5], v[18:19], v[166:167]
	v_fma_f64 v[178:179], v[2:3], v[18:19], -v[20:21]
	ds_load_b128 v[2:5], v1 offset:1056
	ds_load_b128 v[18:21], v1 offset:1072
	v_fma_f64 v[164:165], v[164:165], v[22:23], v[176:177]
	v_fma_f64 v[22:23], v[162:163], v[22:23], -v[24:25]
	v_add_f64 v[38:39], v[38:39], v[172:173]
	v_add_f64 v[44:45], v[44:45], v[174:175]
	s_waitcnt vmcnt(7) lgkmcnt(1)
	v_mul_f64 v[172:173], v[2:3], v[28:29]
	v_mul_f64 v[28:29], v[4:5], v[28:29]
	s_delay_alu instid0(VALU_DEP_4) | instskip(NEXT) | instid1(VALU_DEP_4)
	v_add_f64 v[24:25], v[38:39], v[178:179]
	v_add_f64 v[38:39], v[44:45], v[166:167]
	s_waitcnt vmcnt(6) lgkmcnt(0)
	v_mul_f64 v[44:45], v[18:19], v[32:33]
	v_mul_f64 v[32:33], v[20:21], v[32:33]
	v_fma_f64 v[162:163], v[4:5], v[26:27], v[172:173]
	v_fma_f64 v[26:27], v[2:3], v[26:27], -v[28:29]
	v_add_f64 v[28:29], v[24:25], v[22:23]
	v_add_f64 v[38:39], v[38:39], v[164:165]
	ds_load_b128 v[2:5], v1 offset:1088
	ds_load_b128 v[22:25], v1 offset:1104
	v_fma_f64 v[20:21], v[20:21], v[30:31], v[44:45]
	v_fma_f64 v[18:19], v[18:19], v[30:31], -v[32:33]
	s_waitcnt vmcnt(5) lgkmcnt(1)
	v_mul_f64 v[164:165], v[2:3], v[36:37]
	v_mul_f64 v[36:37], v[4:5], v[36:37]
	s_waitcnt vmcnt(4) lgkmcnt(0)
	v_mul_f64 v[30:31], v[22:23], v[42:43]
	v_add_f64 v[26:27], v[28:29], v[26:27]
	v_add_f64 v[28:29], v[38:39], v[162:163]
	v_mul_f64 v[32:33], v[24:25], v[42:43]
	v_fma_f64 v[38:39], v[4:5], v[34:35], v[164:165]
	v_fma_f64 v[34:35], v[2:3], v[34:35], -v[36:37]
	v_fma_f64 v[24:25], v[24:25], v[40:41], v[30:31]
	v_add_f64 v[26:27], v[26:27], v[18:19]
	v_add_f64 v[28:29], v[28:29], v[20:21]
	ds_load_b128 v[2:5], v1 offset:1120
	ds_load_b128 v[18:21], v1 offset:1136
	v_fma_f64 v[22:23], v[22:23], v[40:41], -v[32:33]
	s_waitcnt vmcnt(2) lgkmcnt(1)
	v_mul_f64 v[36:37], v[2:3], v[170:171]
	v_mul_f64 v[42:43], v[4:5], v[170:171]
	s_waitcnt lgkmcnt(0)
	v_mul_f64 v[30:31], v[18:19], v[8:9]
	v_mul_f64 v[8:9], v[20:21], v[8:9]
	v_add_f64 v[26:27], v[26:27], v[34:35]
	v_add_f64 v[28:29], v[28:29], v[38:39]
	v_fma_f64 v[32:33], v[4:5], v[168:169], v[36:37]
	v_fma_f64 v[34:35], v[2:3], v[168:169], -v[42:43]
	v_fma_f64 v[20:21], v[20:21], v[6:7], v[30:31]
	v_fma_f64 v[6:7], v[18:19], v[6:7], -v[8:9]
	v_add_f64 v[26:27], v[26:27], v[22:23]
	v_add_f64 v[28:29], v[28:29], v[24:25]
	ds_load_b128 v[2:5], v1 offset:1152
	ds_load_b128 v[22:25], v1 offset:1168
	s_waitcnt vmcnt(1) lgkmcnt(1)
	v_mul_f64 v[36:37], v[2:3], v[12:13]
	v_mul_f64 v[12:13], v[4:5], v[12:13]
	v_add_f64 v[8:9], v[26:27], v[34:35]
	v_add_f64 v[18:19], v[28:29], v[32:33]
	s_waitcnt vmcnt(0) lgkmcnt(0)
	v_mul_f64 v[26:27], v[22:23], v[16:17]
	v_mul_f64 v[16:17], v[24:25], v[16:17]
	v_fma_f64 v[4:5], v[4:5], v[10:11], v[36:37]
	v_fma_f64 v[1:2], v[2:3], v[10:11], -v[12:13]
	v_add_f64 v[6:7], v[8:9], v[6:7]
	v_add_f64 v[8:9], v[18:19], v[20:21]
	v_fma_f64 v[10:11], v[24:25], v[14:15], v[26:27]
	v_fma_f64 v[12:13], v[22:23], v[14:15], -v[16:17]
	s_delay_alu instid0(VALU_DEP_4) | instskip(NEXT) | instid1(VALU_DEP_4)
	v_add_f64 v[1:2], v[6:7], v[1:2]
	v_add_f64 v[3:4], v[8:9], v[4:5]
	s_delay_alu instid0(VALU_DEP_2) | instskip(NEXT) | instid1(VALU_DEP_2)
	v_add_f64 v[1:2], v[1:2], v[12:13]
	v_add_f64 v[3:4], v[3:4], v[10:11]
	s_delay_alu instid0(VALU_DEP_2) | instskip(NEXT) | instid1(VALU_DEP_2)
	v_add_f64 v[1:2], v[158:159], -v[1:2]
	v_add_f64 v[3:4], v[160:161], -v[3:4]
	scratch_store_b128 off, v[1:4], off offset:192
	v_cmpx_lt_u32_e32 11, v120
	s_cbranch_execz .LBB36_213
; %bb.212:
	scratch_load_b128 v[1:4], v144, off
	v_mov_b32_e32 v5, 0
	s_delay_alu instid0(VALU_DEP_1)
	v_mov_b32_e32 v6, v5
	v_mov_b32_e32 v7, v5
	;; [unrolled: 1-line block ×3, first 2 shown]
	scratch_store_b128 off, v[5:8], off offset:176
	s_waitcnt vmcnt(0)
	ds_store_b128 v157, v[1:4]
.LBB36_213:
	s_or_b32 exec_lo, exec_lo, s2
	s_waitcnt lgkmcnt(0)
	s_waitcnt_vscnt null, 0x0
	s_barrier
	buffer_gl0_inv
	s_clause 0x7
	scratch_load_b128 v[2:5], off, off offset:192
	scratch_load_b128 v[6:9], off, off offset:208
	;; [unrolled: 1-line block ×8, first 2 shown]
	v_mov_b32_e32 v1, 0
	s_mov_b32 s2, exec_lo
	ds_load_b128 v[34:37], v1 offset:784
	s_clause 0x1
	scratch_load_b128 v[38:41], off, off offset:320
	scratch_load_b128 v[42:45], off, off offset:176
	ds_load_b128 v[158:161], v1 offset:800
	scratch_load_b128 v[162:165], off, off offset:336
	s_waitcnt vmcnt(10) lgkmcnt(1)
	v_mul_f64 v[166:167], v[36:37], v[4:5]
	v_mul_f64 v[4:5], v[34:35], v[4:5]
	s_delay_alu instid0(VALU_DEP_2) | instskip(NEXT) | instid1(VALU_DEP_2)
	v_fma_f64 v[172:173], v[34:35], v[2:3], -v[166:167]
	v_fma_f64 v[174:175], v[36:37], v[2:3], v[4:5]
	scratch_load_b128 v[34:37], off, off offset:352
	ds_load_b128 v[2:5], v1 offset:816
	s_waitcnt vmcnt(10) lgkmcnt(1)
	v_mul_f64 v[170:171], v[158:159], v[8:9]
	v_mul_f64 v[8:9], v[160:161], v[8:9]
	ds_load_b128 v[166:169], v1 offset:832
	s_waitcnt vmcnt(9) lgkmcnt(1)
	v_mul_f64 v[176:177], v[2:3], v[12:13]
	v_mul_f64 v[12:13], v[4:5], v[12:13]
	v_fma_f64 v[160:161], v[160:161], v[6:7], v[170:171]
	v_fma_f64 v[158:159], v[158:159], v[6:7], -v[8:9]
	v_add_f64 v[170:171], v[172:173], 0
	v_add_f64 v[172:173], v[174:175], 0
	scratch_load_b128 v[6:9], off, off offset:368
	v_fma_f64 v[176:177], v[4:5], v[10:11], v[176:177]
	v_fma_f64 v[178:179], v[2:3], v[10:11], -v[12:13]
	scratch_load_b128 v[10:13], off, off offset:384
	ds_load_b128 v[2:5], v1 offset:848
	s_waitcnt vmcnt(10) lgkmcnt(1)
	v_mul_f64 v[174:175], v[166:167], v[16:17]
	v_mul_f64 v[16:17], v[168:169], v[16:17]
	v_add_f64 v[170:171], v[170:171], v[158:159]
	v_add_f64 v[172:173], v[172:173], v[160:161]
	s_waitcnt vmcnt(9) lgkmcnt(0)
	v_mul_f64 v[180:181], v[2:3], v[20:21]
	v_mul_f64 v[20:21], v[4:5], v[20:21]
	ds_load_b128 v[158:161], v1 offset:864
	v_fma_f64 v[168:169], v[168:169], v[14:15], v[174:175]
	v_fma_f64 v[166:167], v[166:167], v[14:15], -v[16:17]
	scratch_load_b128 v[14:17], off, off offset:400
	v_add_f64 v[170:171], v[170:171], v[178:179]
	v_add_f64 v[172:173], v[172:173], v[176:177]
	v_fma_f64 v[176:177], v[4:5], v[18:19], v[180:181]
	v_fma_f64 v[178:179], v[2:3], v[18:19], -v[20:21]
	scratch_load_b128 v[18:21], off, off offset:416
	ds_load_b128 v[2:5], v1 offset:880
	s_waitcnt vmcnt(10) lgkmcnt(1)
	v_mul_f64 v[174:175], v[158:159], v[24:25]
	v_mul_f64 v[24:25], v[160:161], v[24:25]
	s_waitcnt vmcnt(9) lgkmcnt(0)
	v_mul_f64 v[180:181], v[2:3], v[28:29]
	v_mul_f64 v[28:29], v[4:5], v[28:29]
	v_add_f64 v[170:171], v[170:171], v[166:167]
	v_add_f64 v[172:173], v[172:173], v[168:169]
	ds_load_b128 v[166:169], v1 offset:896
	v_fma_f64 v[160:161], v[160:161], v[22:23], v[174:175]
	v_fma_f64 v[158:159], v[158:159], v[22:23], -v[24:25]
	scratch_load_b128 v[22:25], off, off offset:432
	v_add_f64 v[170:171], v[170:171], v[178:179]
	v_add_f64 v[172:173], v[172:173], v[176:177]
	v_fma_f64 v[176:177], v[4:5], v[26:27], v[180:181]
	v_fma_f64 v[178:179], v[2:3], v[26:27], -v[28:29]
	scratch_load_b128 v[26:29], off, off offset:448
	ds_load_b128 v[2:5], v1 offset:912
	s_waitcnt vmcnt(10) lgkmcnt(1)
	v_mul_f64 v[174:175], v[166:167], v[32:33]
	v_mul_f64 v[32:33], v[168:169], v[32:33]
	s_waitcnt vmcnt(9) lgkmcnt(0)
	v_mul_f64 v[180:181], v[2:3], v[40:41]
	v_mul_f64 v[40:41], v[4:5], v[40:41]
	v_add_f64 v[170:171], v[170:171], v[158:159]
	v_add_f64 v[172:173], v[172:173], v[160:161]
	ds_load_b128 v[158:161], v1 offset:928
	v_fma_f64 v[168:169], v[168:169], v[30:31], v[174:175]
	v_fma_f64 v[166:167], v[166:167], v[30:31], -v[32:33]
	scratch_load_b128 v[30:33], off, off offset:464
	v_add_f64 v[170:171], v[170:171], v[178:179]
	v_add_f64 v[172:173], v[172:173], v[176:177]
	v_fma_f64 v[178:179], v[4:5], v[38:39], v[180:181]
	v_fma_f64 v[180:181], v[2:3], v[38:39], -v[40:41]
	scratch_load_b128 v[38:41], off, off offset:480
	ds_load_b128 v[2:5], v1 offset:944
	s_waitcnt vmcnt(9) lgkmcnt(1)
	v_mul_f64 v[174:175], v[158:159], v[164:165]
	v_mul_f64 v[176:177], v[160:161], v[164:165]
	v_add_f64 v[170:171], v[170:171], v[166:167]
	v_add_f64 v[168:169], v[172:173], v[168:169]
	ds_load_b128 v[164:167], v1 offset:960
	v_fma_f64 v[174:175], v[160:161], v[162:163], v[174:175]
	v_fma_f64 v[162:163], v[158:159], v[162:163], -v[176:177]
	scratch_load_b128 v[158:161], off, off offset:496
	s_waitcnt vmcnt(9) lgkmcnt(1)
	v_mul_f64 v[172:173], v[2:3], v[36:37]
	v_mul_f64 v[36:37], v[4:5], v[36:37]
	v_add_f64 v[170:171], v[170:171], v[180:181]
	v_add_f64 v[168:169], v[168:169], v[178:179]
	s_delay_alu instid0(VALU_DEP_4) | instskip(NEXT) | instid1(VALU_DEP_4)
	v_fma_f64 v[172:173], v[4:5], v[34:35], v[172:173]
	v_fma_f64 v[178:179], v[2:3], v[34:35], -v[36:37]
	scratch_load_b128 v[34:37], off, off offset:512
	ds_load_b128 v[2:5], v1 offset:976
	s_waitcnt vmcnt(9) lgkmcnt(1)
	v_mul_f64 v[176:177], v[164:165], v[8:9]
	v_mul_f64 v[8:9], v[166:167], v[8:9]
	s_waitcnt vmcnt(8) lgkmcnt(0)
	v_mul_f64 v[180:181], v[2:3], v[12:13]
	v_mul_f64 v[12:13], v[4:5], v[12:13]
	v_add_f64 v[162:163], v[170:171], v[162:163]
	v_add_f64 v[174:175], v[168:169], v[174:175]
	ds_load_b128 v[168:171], v1 offset:992
	v_fma_f64 v[166:167], v[166:167], v[6:7], v[176:177]
	v_fma_f64 v[164:165], v[164:165], v[6:7], -v[8:9]
	scratch_load_b128 v[6:9], off, off offset:528
	v_fma_f64 v[176:177], v[4:5], v[10:11], v[180:181]
	v_add_f64 v[162:163], v[162:163], v[178:179]
	v_add_f64 v[172:173], v[174:175], v[172:173]
	v_fma_f64 v[178:179], v[2:3], v[10:11], -v[12:13]
	scratch_load_b128 v[10:13], off, off offset:544
	ds_load_b128 v[2:5], v1 offset:1008
	s_waitcnt vmcnt(9) lgkmcnt(1)
	v_mul_f64 v[174:175], v[168:169], v[16:17]
	v_mul_f64 v[16:17], v[170:171], v[16:17]
	v_add_f64 v[180:181], v[162:163], v[164:165]
	v_add_f64 v[166:167], v[172:173], v[166:167]
	s_waitcnt vmcnt(8) lgkmcnt(0)
	v_mul_f64 v[172:173], v[2:3], v[20:21]
	v_mul_f64 v[20:21], v[4:5], v[20:21]
	ds_load_b128 v[162:165], v1 offset:1024
	v_fma_f64 v[170:171], v[170:171], v[14:15], v[174:175]
	v_fma_f64 v[168:169], v[168:169], v[14:15], -v[16:17]
	scratch_load_b128 v[14:17], off, off offset:560
	v_add_f64 v[174:175], v[180:181], v[178:179]
	v_add_f64 v[166:167], v[166:167], v[176:177]
	v_fma_f64 v[172:173], v[4:5], v[18:19], v[172:173]
	v_fma_f64 v[178:179], v[2:3], v[18:19], -v[20:21]
	scratch_load_b128 v[18:21], off, off offset:576
	ds_load_b128 v[2:5], v1 offset:1040
	s_waitcnt vmcnt(9) lgkmcnt(1)
	v_mul_f64 v[176:177], v[162:163], v[24:25]
	v_mul_f64 v[24:25], v[164:165], v[24:25]
	s_waitcnt vmcnt(8) lgkmcnt(0)
	v_mul_f64 v[180:181], v[2:3], v[28:29]
	v_mul_f64 v[28:29], v[4:5], v[28:29]
	v_add_f64 v[174:175], v[174:175], v[168:169]
	v_add_f64 v[170:171], v[166:167], v[170:171]
	ds_load_b128 v[166:169], v1 offset:1056
	v_fma_f64 v[164:165], v[164:165], v[22:23], v[176:177]
	v_fma_f64 v[22:23], v[162:163], v[22:23], -v[24:25]
	v_add_f64 v[24:25], v[174:175], v[178:179]
	v_add_f64 v[162:163], v[170:171], v[172:173]
	s_waitcnt vmcnt(7) lgkmcnt(0)
	v_mul_f64 v[170:171], v[166:167], v[32:33]
	v_mul_f64 v[32:33], v[168:169], v[32:33]
	v_fma_f64 v[172:173], v[4:5], v[26:27], v[180:181]
	v_fma_f64 v[26:27], v[2:3], v[26:27], -v[28:29]
	v_add_f64 v[28:29], v[24:25], v[22:23]
	v_add_f64 v[162:163], v[162:163], v[164:165]
	ds_load_b128 v[2:5], v1 offset:1072
	ds_load_b128 v[22:25], v1 offset:1088
	v_fma_f64 v[168:169], v[168:169], v[30:31], v[170:171]
	v_fma_f64 v[30:31], v[166:167], v[30:31], -v[32:33]
	s_waitcnt vmcnt(6) lgkmcnt(1)
	v_mul_f64 v[164:165], v[2:3], v[40:41]
	v_mul_f64 v[40:41], v[4:5], v[40:41]
	s_waitcnt vmcnt(5) lgkmcnt(0)
	v_mul_f64 v[32:33], v[22:23], v[160:161]
	v_mul_f64 v[160:161], v[24:25], v[160:161]
	v_add_f64 v[26:27], v[28:29], v[26:27]
	v_add_f64 v[28:29], v[162:163], v[172:173]
	v_fma_f64 v[162:163], v[4:5], v[38:39], v[164:165]
	v_fma_f64 v[38:39], v[2:3], v[38:39], -v[40:41]
	v_fma_f64 v[24:25], v[24:25], v[158:159], v[32:33]
	v_fma_f64 v[22:23], v[22:23], v[158:159], -v[160:161]
	v_add_f64 v[30:31], v[26:27], v[30:31]
	v_add_f64 v[40:41], v[28:29], v[168:169]
	ds_load_b128 v[2:5], v1 offset:1104
	ds_load_b128 v[26:29], v1 offset:1120
	s_waitcnt vmcnt(4) lgkmcnt(1)
	v_mul_f64 v[164:165], v[2:3], v[36:37]
	v_mul_f64 v[36:37], v[4:5], v[36:37]
	v_add_f64 v[30:31], v[30:31], v[38:39]
	v_add_f64 v[32:33], v[40:41], v[162:163]
	s_waitcnt vmcnt(3) lgkmcnt(0)
	v_mul_f64 v[38:39], v[26:27], v[8:9]
	v_mul_f64 v[8:9], v[28:29], v[8:9]
	v_fma_f64 v[40:41], v[4:5], v[34:35], v[164:165]
	v_fma_f64 v[34:35], v[2:3], v[34:35], -v[36:37]
	v_add_f64 v[30:31], v[30:31], v[22:23]
	v_add_f64 v[32:33], v[32:33], v[24:25]
	ds_load_b128 v[2:5], v1 offset:1136
	ds_load_b128 v[22:25], v1 offset:1152
	v_fma_f64 v[28:29], v[28:29], v[6:7], v[38:39]
	v_fma_f64 v[6:7], v[26:27], v[6:7], -v[8:9]
	s_waitcnt vmcnt(2) lgkmcnt(1)
	v_mul_f64 v[36:37], v[2:3], v[12:13]
	v_mul_f64 v[12:13], v[4:5], v[12:13]
	v_add_f64 v[8:9], v[30:31], v[34:35]
	v_add_f64 v[26:27], v[32:33], v[40:41]
	s_waitcnt vmcnt(1) lgkmcnt(0)
	v_mul_f64 v[30:31], v[22:23], v[16:17]
	v_mul_f64 v[16:17], v[24:25], v[16:17]
	v_fma_f64 v[32:33], v[4:5], v[10:11], v[36:37]
	v_fma_f64 v[10:11], v[2:3], v[10:11], -v[12:13]
	ds_load_b128 v[2:5], v1 offset:1168
	v_add_f64 v[6:7], v[8:9], v[6:7]
	v_add_f64 v[8:9], v[26:27], v[28:29]
	v_fma_f64 v[24:25], v[24:25], v[14:15], v[30:31]
	v_fma_f64 v[14:15], v[22:23], v[14:15], -v[16:17]
	s_waitcnt vmcnt(0) lgkmcnt(0)
	v_mul_f64 v[12:13], v[2:3], v[20:21]
	v_mul_f64 v[20:21], v[4:5], v[20:21]
	v_add_f64 v[6:7], v[6:7], v[10:11]
	v_add_f64 v[8:9], v[8:9], v[32:33]
	s_delay_alu instid0(VALU_DEP_4) | instskip(NEXT) | instid1(VALU_DEP_4)
	v_fma_f64 v[4:5], v[4:5], v[18:19], v[12:13]
	v_fma_f64 v[2:3], v[2:3], v[18:19], -v[20:21]
	s_delay_alu instid0(VALU_DEP_4) | instskip(NEXT) | instid1(VALU_DEP_4)
	v_add_f64 v[6:7], v[6:7], v[14:15]
	v_add_f64 v[8:9], v[8:9], v[24:25]
	s_delay_alu instid0(VALU_DEP_2) | instskip(NEXT) | instid1(VALU_DEP_2)
	v_add_f64 v[2:3], v[6:7], v[2:3]
	v_add_f64 v[4:5], v[8:9], v[4:5]
	s_delay_alu instid0(VALU_DEP_2) | instskip(NEXT) | instid1(VALU_DEP_2)
	v_add_f64 v[2:3], v[42:43], -v[2:3]
	v_add_f64 v[4:5], v[44:45], -v[4:5]
	scratch_store_b128 off, v[2:5], off offset:176
	v_cmpx_lt_u32_e32 10, v120
	s_cbranch_execz .LBB36_215
; %bb.214:
	scratch_load_b128 v[5:8], v145, off
	v_mov_b32_e32 v2, v1
	v_mov_b32_e32 v3, v1
	;; [unrolled: 1-line block ×3, first 2 shown]
	scratch_store_b128 off, v[1:4], off offset:160
	s_waitcnt vmcnt(0)
	ds_store_b128 v157, v[5:8]
.LBB36_215:
	s_or_b32 exec_lo, exec_lo, s2
	s_waitcnt lgkmcnt(0)
	s_waitcnt_vscnt null, 0x0
	s_barrier
	buffer_gl0_inv
	s_clause 0x8
	scratch_load_b128 v[2:5], off, off offset:176
	scratch_load_b128 v[6:9], off, off offset:192
	;; [unrolled: 1-line block ×9, first 2 shown]
	ds_load_b128 v[38:41], v1 offset:768
	ds_load_b128 v[42:45], v1 offset:784
	s_clause 0x1
	scratch_load_b128 v[158:161], off, off offset:160
	scratch_load_b128 v[162:165], off, off offset:320
	s_mov_b32 s2, exec_lo
	s_waitcnt vmcnt(10) lgkmcnt(1)
	v_mul_f64 v[166:167], v[40:41], v[4:5]
	v_mul_f64 v[4:5], v[38:39], v[4:5]
	s_waitcnt vmcnt(9) lgkmcnt(0)
	v_mul_f64 v[170:171], v[42:43], v[8:9]
	v_mul_f64 v[8:9], v[44:45], v[8:9]
	s_delay_alu instid0(VALU_DEP_4) | instskip(NEXT) | instid1(VALU_DEP_4)
	v_fma_f64 v[172:173], v[38:39], v[2:3], -v[166:167]
	v_fma_f64 v[174:175], v[40:41], v[2:3], v[4:5]
	ds_load_b128 v[2:5], v1 offset:800
	ds_load_b128 v[166:169], v1 offset:816
	scratch_load_b128 v[38:41], off, off offset:336
	v_fma_f64 v[44:45], v[44:45], v[6:7], v[170:171]
	v_fma_f64 v[42:43], v[42:43], v[6:7], -v[8:9]
	scratch_load_b128 v[6:9], off, off offset:352
	s_waitcnt vmcnt(10) lgkmcnt(1)
	v_mul_f64 v[176:177], v[2:3], v[12:13]
	v_mul_f64 v[12:13], v[4:5], v[12:13]
	v_add_f64 v[170:171], v[172:173], 0
	v_add_f64 v[172:173], v[174:175], 0
	s_waitcnt vmcnt(9) lgkmcnt(0)
	v_mul_f64 v[174:175], v[166:167], v[16:17]
	v_mul_f64 v[16:17], v[168:169], v[16:17]
	v_fma_f64 v[176:177], v[4:5], v[10:11], v[176:177]
	v_fma_f64 v[178:179], v[2:3], v[10:11], -v[12:13]
	ds_load_b128 v[2:5], v1 offset:832
	scratch_load_b128 v[10:13], off, off offset:368
	v_add_f64 v[170:171], v[170:171], v[42:43]
	v_add_f64 v[172:173], v[172:173], v[44:45]
	ds_load_b128 v[42:45], v1 offset:848
	v_fma_f64 v[168:169], v[168:169], v[14:15], v[174:175]
	v_fma_f64 v[166:167], v[166:167], v[14:15], -v[16:17]
	scratch_load_b128 v[14:17], off, off offset:384
	s_waitcnt vmcnt(10) lgkmcnt(1)
	v_mul_f64 v[180:181], v[2:3], v[20:21]
	v_mul_f64 v[20:21], v[4:5], v[20:21]
	s_waitcnt vmcnt(9) lgkmcnt(0)
	v_mul_f64 v[174:175], v[42:43], v[24:25]
	v_mul_f64 v[24:25], v[44:45], v[24:25]
	v_add_f64 v[170:171], v[170:171], v[178:179]
	v_add_f64 v[172:173], v[172:173], v[176:177]
	v_fma_f64 v[176:177], v[4:5], v[18:19], v[180:181]
	v_fma_f64 v[178:179], v[2:3], v[18:19], -v[20:21]
	ds_load_b128 v[2:5], v1 offset:864
	scratch_load_b128 v[18:21], off, off offset:400
	v_fma_f64 v[44:45], v[44:45], v[22:23], v[174:175]
	v_fma_f64 v[42:43], v[42:43], v[22:23], -v[24:25]
	scratch_load_b128 v[22:25], off, off offset:416
	v_add_f64 v[170:171], v[170:171], v[166:167]
	v_add_f64 v[172:173], v[172:173], v[168:169]
	ds_load_b128 v[166:169], v1 offset:880
	s_waitcnt vmcnt(10) lgkmcnt(1)
	v_mul_f64 v[180:181], v[2:3], v[28:29]
	v_mul_f64 v[28:29], v[4:5], v[28:29]
	s_waitcnt vmcnt(9) lgkmcnt(0)
	v_mul_f64 v[174:175], v[166:167], v[32:33]
	v_mul_f64 v[32:33], v[168:169], v[32:33]
	v_add_f64 v[170:171], v[170:171], v[178:179]
	v_add_f64 v[172:173], v[172:173], v[176:177]
	v_fma_f64 v[176:177], v[4:5], v[26:27], v[180:181]
	v_fma_f64 v[178:179], v[2:3], v[26:27], -v[28:29]
	ds_load_b128 v[2:5], v1 offset:896
	scratch_load_b128 v[26:29], off, off offset:432
	v_fma_f64 v[168:169], v[168:169], v[30:31], v[174:175]
	v_fma_f64 v[166:167], v[166:167], v[30:31], -v[32:33]
	scratch_load_b128 v[30:33], off, off offset:448
	v_add_f64 v[170:171], v[170:171], v[42:43]
	v_add_f64 v[172:173], v[172:173], v[44:45]
	ds_load_b128 v[42:45], v1 offset:912
	s_waitcnt vmcnt(10) lgkmcnt(1)
	v_mul_f64 v[180:181], v[2:3], v[36:37]
	v_mul_f64 v[36:37], v[4:5], v[36:37]
	s_waitcnt vmcnt(8) lgkmcnt(0)
	v_mul_f64 v[174:175], v[42:43], v[164:165]
	v_add_f64 v[170:171], v[170:171], v[178:179]
	v_add_f64 v[172:173], v[172:173], v[176:177]
	v_mul_f64 v[176:177], v[44:45], v[164:165]
	v_fma_f64 v[178:179], v[4:5], v[34:35], v[180:181]
	v_fma_f64 v[180:181], v[2:3], v[34:35], -v[36:37]
	ds_load_b128 v[2:5], v1 offset:928
	scratch_load_b128 v[34:37], off, off offset:464
	v_fma_f64 v[44:45], v[44:45], v[162:163], v[174:175]
	v_add_f64 v[170:171], v[170:171], v[166:167]
	v_add_f64 v[168:169], v[172:173], v[168:169]
	ds_load_b128 v[164:167], v1 offset:944
	v_fma_f64 v[162:163], v[42:43], v[162:163], -v[176:177]
	s_waitcnt vmcnt(8) lgkmcnt(1)
	v_mul_f64 v[172:173], v[2:3], v[40:41]
	v_mul_f64 v[182:183], v[4:5], v[40:41]
	scratch_load_b128 v[40:43], off, off offset:480
	s_waitcnt vmcnt(8) lgkmcnt(0)
	v_mul_f64 v[176:177], v[164:165], v[8:9]
	v_mul_f64 v[8:9], v[166:167], v[8:9]
	v_add_f64 v[170:171], v[170:171], v[180:181]
	v_add_f64 v[168:169], v[168:169], v[178:179]
	v_fma_f64 v[178:179], v[4:5], v[38:39], v[172:173]
	v_fma_f64 v[38:39], v[2:3], v[38:39], -v[182:183]
	ds_load_b128 v[2:5], v1 offset:960
	ds_load_b128 v[172:175], v1 offset:976
	v_fma_f64 v[166:167], v[166:167], v[6:7], v[176:177]
	v_fma_f64 v[164:165], v[164:165], v[6:7], -v[8:9]
	scratch_load_b128 v[6:9], off, off offset:512
	v_add_f64 v[162:163], v[170:171], v[162:163]
	v_add_f64 v[44:45], v[168:169], v[44:45]
	scratch_load_b128 v[168:171], off, off offset:496
	s_waitcnt vmcnt(9) lgkmcnt(1)
	v_mul_f64 v[180:181], v[2:3], v[12:13]
	v_mul_f64 v[12:13], v[4:5], v[12:13]
	s_waitcnt vmcnt(8) lgkmcnt(0)
	v_mul_f64 v[176:177], v[172:173], v[16:17]
	v_mul_f64 v[16:17], v[174:175], v[16:17]
	v_add_f64 v[38:39], v[162:163], v[38:39]
	v_add_f64 v[44:45], v[44:45], v[178:179]
	v_fma_f64 v[178:179], v[4:5], v[10:11], v[180:181]
	v_fma_f64 v[180:181], v[2:3], v[10:11], -v[12:13]
	ds_load_b128 v[2:5], v1 offset:992
	scratch_load_b128 v[10:13], off, off offset:528
	v_fma_f64 v[174:175], v[174:175], v[14:15], v[176:177]
	v_fma_f64 v[172:173], v[172:173], v[14:15], -v[16:17]
	scratch_load_b128 v[14:17], off, off offset:544
	v_add_f64 v[38:39], v[38:39], v[164:165]
	v_add_f64 v[44:45], v[44:45], v[166:167]
	ds_load_b128 v[162:165], v1 offset:1008
	s_waitcnt vmcnt(9) lgkmcnt(1)
	v_mul_f64 v[166:167], v[2:3], v[20:21]
	v_mul_f64 v[20:21], v[4:5], v[20:21]
	s_waitcnt vmcnt(8) lgkmcnt(0)
	v_mul_f64 v[176:177], v[162:163], v[24:25]
	v_mul_f64 v[24:25], v[164:165], v[24:25]
	v_add_f64 v[38:39], v[38:39], v[180:181]
	v_add_f64 v[44:45], v[44:45], v[178:179]
	v_fma_f64 v[166:167], v[4:5], v[18:19], v[166:167]
	v_fma_f64 v[178:179], v[2:3], v[18:19], -v[20:21]
	ds_load_b128 v[2:5], v1 offset:1024
	scratch_load_b128 v[18:21], off, off offset:560
	v_fma_f64 v[164:165], v[164:165], v[22:23], v[176:177]
	v_fma_f64 v[162:163], v[162:163], v[22:23], -v[24:25]
	scratch_load_b128 v[22:25], off, off offset:576
	v_add_f64 v[38:39], v[38:39], v[172:173]
	v_add_f64 v[44:45], v[44:45], v[174:175]
	ds_load_b128 v[172:175], v1 offset:1040
	s_waitcnt vmcnt(9) lgkmcnt(1)
	v_mul_f64 v[180:181], v[2:3], v[28:29]
	v_mul_f64 v[28:29], v[4:5], v[28:29]
	v_add_f64 v[38:39], v[38:39], v[178:179]
	v_add_f64 v[44:45], v[44:45], v[166:167]
	s_waitcnt vmcnt(8) lgkmcnt(0)
	v_mul_f64 v[166:167], v[172:173], v[32:33]
	v_mul_f64 v[32:33], v[174:175], v[32:33]
	v_fma_f64 v[176:177], v[4:5], v[26:27], v[180:181]
	v_fma_f64 v[178:179], v[2:3], v[26:27], -v[28:29]
	ds_load_b128 v[2:5], v1 offset:1056
	ds_load_b128 v[26:29], v1 offset:1072
	v_add_f64 v[38:39], v[38:39], v[162:163]
	v_add_f64 v[44:45], v[44:45], v[164:165]
	s_waitcnt vmcnt(7) lgkmcnt(1)
	v_mul_f64 v[162:163], v[2:3], v[36:37]
	v_mul_f64 v[36:37], v[4:5], v[36:37]
	v_fma_f64 v[164:165], v[174:175], v[30:31], v[166:167]
	v_fma_f64 v[30:31], v[172:173], v[30:31], -v[32:33]
	v_add_f64 v[32:33], v[38:39], v[178:179]
	v_add_f64 v[38:39], v[44:45], v[176:177]
	s_waitcnt vmcnt(6) lgkmcnt(0)
	v_mul_f64 v[44:45], v[26:27], v[42:43]
	v_mul_f64 v[42:43], v[28:29], v[42:43]
	v_fma_f64 v[162:163], v[4:5], v[34:35], v[162:163]
	v_fma_f64 v[34:35], v[2:3], v[34:35], -v[36:37]
	v_add_f64 v[36:37], v[32:33], v[30:31]
	v_add_f64 v[38:39], v[38:39], v[164:165]
	ds_load_b128 v[2:5], v1 offset:1088
	ds_load_b128 v[30:33], v1 offset:1104
	v_fma_f64 v[28:29], v[28:29], v[40:41], v[44:45]
	v_fma_f64 v[26:27], v[26:27], v[40:41], -v[42:43]
	s_waitcnt vmcnt(4) lgkmcnt(1)
	v_mul_f64 v[164:165], v[2:3], v[170:171]
	v_mul_f64 v[166:167], v[4:5], v[170:171]
	v_add_f64 v[34:35], v[36:37], v[34:35]
	v_add_f64 v[36:37], v[38:39], v[162:163]
	s_waitcnt lgkmcnt(0)
	v_mul_f64 v[38:39], v[30:31], v[8:9]
	v_mul_f64 v[8:9], v[32:33], v[8:9]
	v_fma_f64 v[40:41], v[4:5], v[168:169], v[164:165]
	v_fma_f64 v[42:43], v[2:3], v[168:169], -v[166:167]
	v_add_f64 v[34:35], v[34:35], v[26:27]
	v_add_f64 v[36:37], v[36:37], v[28:29]
	ds_load_b128 v[2:5], v1 offset:1120
	ds_load_b128 v[26:29], v1 offset:1136
	v_fma_f64 v[32:33], v[32:33], v[6:7], v[38:39]
	v_fma_f64 v[6:7], v[30:31], v[6:7], -v[8:9]
	s_waitcnt vmcnt(3) lgkmcnt(1)
	v_mul_f64 v[44:45], v[2:3], v[12:13]
	v_mul_f64 v[12:13], v[4:5], v[12:13]
	v_add_f64 v[8:9], v[34:35], v[42:43]
	v_add_f64 v[30:31], v[36:37], v[40:41]
	s_waitcnt vmcnt(2) lgkmcnt(0)
	v_mul_f64 v[34:35], v[26:27], v[16:17]
	v_mul_f64 v[16:17], v[28:29], v[16:17]
	v_fma_f64 v[36:37], v[4:5], v[10:11], v[44:45]
	v_fma_f64 v[10:11], v[2:3], v[10:11], -v[12:13]
	v_add_f64 v[12:13], v[8:9], v[6:7]
	v_add_f64 v[30:31], v[30:31], v[32:33]
	ds_load_b128 v[2:5], v1 offset:1152
	ds_load_b128 v[6:9], v1 offset:1168
	v_fma_f64 v[28:29], v[28:29], v[14:15], v[34:35]
	v_fma_f64 v[14:15], v[26:27], v[14:15], -v[16:17]
	s_waitcnt vmcnt(1) lgkmcnt(1)
	v_mul_f64 v[32:33], v[2:3], v[20:21]
	v_mul_f64 v[20:21], v[4:5], v[20:21]
	s_waitcnt vmcnt(0) lgkmcnt(0)
	v_mul_f64 v[16:17], v[6:7], v[24:25]
	v_mul_f64 v[24:25], v[8:9], v[24:25]
	v_add_f64 v[10:11], v[12:13], v[10:11]
	v_add_f64 v[12:13], v[30:31], v[36:37]
	v_fma_f64 v[4:5], v[4:5], v[18:19], v[32:33]
	v_fma_f64 v[1:2], v[2:3], v[18:19], -v[20:21]
	v_fma_f64 v[8:9], v[8:9], v[22:23], v[16:17]
	v_fma_f64 v[6:7], v[6:7], v[22:23], -v[24:25]
	v_add_f64 v[10:11], v[10:11], v[14:15]
	v_add_f64 v[12:13], v[12:13], v[28:29]
	s_delay_alu instid0(VALU_DEP_2) | instskip(NEXT) | instid1(VALU_DEP_2)
	v_add_f64 v[1:2], v[10:11], v[1:2]
	v_add_f64 v[3:4], v[12:13], v[4:5]
	s_delay_alu instid0(VALU_DEP_2) | instskip(NEXT) | instid1(VALU_DEP_2)
	;; [unrolled: 3-line block ×3, first 2 shown]
	v_add_f64 v[1:2], v[158:159], -v[1:2]
	v_add_f64 v[3:4], v[160:161], -v[3:4]
	scratch_store_b128 off, v[1:4], off offset:160
	v_cmpx_lt_u32_e32 9, v120
	s_cbranch_execz .LBB36_217
; %bb.216:
	scratch_load_b128 v[1:4], v148, off
	v_mov_b32_e32 v5, 0
	s_delay_alu instid0(VALU_DEP_1)
	v_mov_b32_e32 v6, v5
	v_mov_b32_e32 v7, v5
	;; [unrolled: 1-line block ×3, first 2 shown]
	scratch_store_b128 off, v[5:8], off offset:144
	s_waitcnt vmcnt(0)
	ds_store_b128 v157, v[1:4]
.LBB36_217:
	s_or_b32 exec_lo, exec_lo, s2
	s_waitcnt lgkmcnt(0)
	s_waitcnt_vscnt null, 0x0
	s_barrier
	buffer_gl0_inv
	s_clause 0x7
	scratch_load_b128 v[2:5], off, off offset:160
	scratch_load_b128 v[6:9], off, off offset:176
	;; [unrolled: 1-line block ×8, first 2 shown]
	v_mov_b32_e32 v1, 0
	s_mov_b32 s2, exec_lo
	ds_load_b128 v[38:41], v1 offset:752
	s_clause 0x1
	scratch_load_b128 v[34:37], off, off offset:288
	scratch_load_b128 v[42:45], off, off offset:144
	ds_load_b128 v[158:161], v1 offset:768
	scratch_load_b128 v[162:165], off, off offset:304
	s_waitcnt vmcnt(10) lgkmcnt(1)
	v_mul_f64 v[166:167], v[40:41], v[4:5]
	v_mul_f64 v[4:5], v[38:39], v[4:5]
	s_delay_alu instid0(VALU_DEP_2) | instskip(NEXT) | instid1(VALU_DEP_2)
	v_fma_f64 v[172:173], v[38:39], v[2:3], -v[166:167]
	v_fma_f64 v[174:175], v[40:41], v[2:3], v[4:5]
	scratch_load_b128 v[38:41], off, off offset:320
	ds_load_b128 v[2:5], v1 offset:784
	s_waitcnt vmcnt(10) lgkmcnt(1)
	v_mul_f64 v[170:171], v[158:159], v[8:9]
	v_mul_f64 v[8:9], v[160:161], v[8:9]
	ds_load_b128 v[166:169], v1 offset:800
	s_waitcnt vmcnt(9) lgkmcnt(1)
	v_mul_f64 v[176:177], v[2:3], v[12:13]
	v_mul_f64 v[12:13], v[4:5], v[12:13]
	v_fma_f64 v[160:161], v[160:161], v[6:7], v[170:171]
	v_fma_f64 v[158:159], v[158:159], v[6:7], -v[8:9]
	v_add_f64 v[170:171], v[172:173], 0
	v_add_f64 v[172:173], v[174:175], 0
	scratch_load_b128 v[6:9], off, off offset:336
	v_fma_f64 v[176:177], v[4:5], v[10:11], v[176:177]
	v_fma_f64 v[178:179], v[2:3], v[10:11], -v[12:13]
	scratch_load_b128 v[10:13], off, off offset:352
	ds_load_b128 v[2:5], v1 offset:816
	s_waitcnt vmcnt(10) lgkmcnt(1)
	v_mul_f64 v[174:175], v[166:167], v[16:17]
	v_mul_f64 v[16:17], v[168:169], v[16:17]
	v_add_f64 v[170:171], v[170:171], v[158:159]
	v_add_f64 v[172:173], v[172:173], v[160:161]
	s_waitcnt vmcnt(9) lgkmcnt(0)
	v_mul_f64 v[180:181], v[2:3], v[20:21]
	v_mul_f64 v[20:21], v[4:5], v[20:21]
	ds_load_b128 v[158:161], v1 offset:832
	v_fma_f64 v[168:169], v[168:169], v[14:15], v[174:175]
	v_fma_f64 v[166:167], v[166:167], v[14:15], -v[16:17]
	scratch_load_b128 v[14:17], off, off offset:368
	v_add_f64 v[170:171], v[170:171], v[178:179]
	v_add_f64 v[172:173], v[172:173], v[176:177]
	v_fma_f64 v[176:177], v[4:5], v[18:19], v[180:181]
	v_fma_f64 v[178:179], v[2:3], v[18:19], -v[20:21]
	scratch_load_b128 v[18:21], off, off offset:384
	ds_load_b128 v[2:5], v1 offset:848
	s_waitcnt vmcnt(10) lgkmcnt(1)
	v_mul_f64 v[174:175], v[158:159], v[24:25]
	v_mul_f64 v[24:25], v[160:161], v[24:25]
	s_waitcnt vmcnt(9) lgkmcnt(0)
	v_mul_f64 v[180:181], v[2:3], v[28:29]
	v_mul_f64 v[28:29], v[4:5], v[28:29]
	v_add_f64 v[170:171], v[170:171], v[166:167]
	v_add_f64 v[172:173], v[172:173], v[168:169]
	ds_load_b128 v[166:169], v1 offset:864
	v_fma_f64 v[160:161], v[160:161], v[22:23], v[174:175]
	v_fma_f64 v[158:159], v[158:159], v[22:23], -v[24:25]
	scratch_load_b128 v[22:25], off, off offset:400
	v_add_f64 v[170:171], v[170:171], v[178:179]
	v_add_f64 v[172:173], v[172:173], v[176:177]
	v_fma_f64 v[176:177], v[4:5], v[26:27], v[180:181]
	v_fma_f64 v[178:179], v[2:3], v[26:27], -v[28:29]
	scratch_load_b128 v[26:29], off, off offset:416
	ds_load_b128 v[2:5], v1 offset:880
	s_waitcnt vmcnt(10) lgkmcnt(1)
	v_mul_f64 v[174:175], v[166:167], v[32:33]
	v_mul_f64 v[32:33], v[168:169], v[32:33]
	s_waitcnt vmcnt(9) lgkmcnt(0)
	v_mul_f64 v[180:181], v[2:3], v[36:37]
	v_mul_f64 v[36:37], v[4:5], v[36:37]
	v_add_f64 v[170:171], v[170:171], v[158:159]
	v_add_f64 v[172:173], v[172:173], v[160:161]
	ds_load_b128 v[158:161], v1 offset:896
	v_fma_f64 v[168:169], v[168:169], v[30:31], v[174:175]
	v_fma_f64 v[166:167], v[166:167], v[30:31], -v[32:33]
	scratch_load_b128 v[30:33], off, off offset:432
	v_add_f64 v[170:171], v[170:171], v[178:179]
	v_add_f64 v[172:173], v[172:173], v[176:177]
	v_fma_f64 v[178:179], v[4:5], v[34:35], v[180:181]
	v_fma_f64 v[180:181], v[2:3], v[34:35], -v[36:37]
	scratch_load_b128 v[34:37], off, off offset:448
	ds_load_b128 v[2:5], v1 offset:912
	s_waitcnt vmcnt(9) lgkmcnt(1)
	v_mul_f64 v[174:175], v[158:159], v[164:165]
	v_mul_f64 v[176:177], v[160:161], v[164:165]
	v_add_f64 v[170:171], v[170:171], v[166:167]
	v_add_f64 v[168:169], v[172:173], v[168:169]
	ds_load_b128 v[164:167], v1 offset:928
	v_fma_f64 v[174:175], v[160:161], v[162:163], v[174:175]
	v_fma_f64 v[162:163], v[158:159], v[162:163], -v[176:177]
	scratch_load_b128 v[158:161], off, off offset:464
	s_waitcnt vmcnt(9) lgkmcnt(1)
	v_mul_f64 v[172:173], v[2:3], v[40:41]
	v_mul_f64 v[40:41], v[4:5], v[40:41]
	v_add_f64 v[170:171], v[170:171], v[180:181]
	v_add_f64 v[168:169], v[168:169], v[178:179]
	s_delay_alu instid0(VALU_DEP_4) | instskip(NEXT) | instid1(VALU_DEP_4)
	v_fma_f64 v[172:173], v[4:5], v[38:39], v[172:173]
	v_fma_f64 v[178:179], v[2:3], v[38:39], -v[40:41]
	scratch_load_b128 v[38:41], off, off offset:480
	ds_load_b128 v[2:5], v1 offset:944
	s_waitcnt vmcnt(9) lgkmcnt(1)
	v_mul_f64 v[176:177], v[164:165], v[8:9]
	v_mul_f64 v[8:9], v[166:167], v[8:9]
	s_waitcnt vmcnt(8) lgkmcnt(0)
	v_mul_f64 v[180:181], v[2:3], v[12:13]
	v_mul_f64 v[12:13], v[4:5], v[12:13]
	v_add_f64 v[162:163], v[170:171], v[162:163]
	v_add_f64 v[174:175], v[168:169], v[174:175]
	ds_load_b128 v[168:171], v1 offset:960
	v_fma_f64 v[166:167], v[166:167], v[6:7], v[176:177]
	v_fma_f64 v[164:165], v[164:165], v[6:7], -v[8:9]
	scratch_load_b128 v[6:9], off, off offset:496
	v_fma_f64 v[176:177], v[4:5], v[10:11], v[180:181]
	v_add_f64 v[162:163], v[162:163], v[178:179]
	v_add_f64 v[172:173], v[174:175], v[172:173]
	v_fma_f64 v[178:179], v[2:3], v[10:11], -v[12:13]
	scratch_load_b128 v[10:13], off, off offset:512
	ds_load_b128 v[2:5], v1 offset:976
	s_waitcnt vmcnt(9) lgkmcnt(1)
	v_mul_f64 v[174:175], v[168:169], v[16:17]
	v_mul_f64 v[16:17], v[170:171], v[16:17]
	v_add_f64 v[180:181], v[162:163], v[164:165]
	v_add_f64 v[166:167], v[172:173], v[166:167]
	s_waitcnt vmcnt(8) lgkmcnt(0)
	v_mul_f64 v[172:173], v[2:3], v[20:21]
	v_mul_f64 v[20:21], v[4:5], v[20:21]
	ds_load_b128 v[162:165], v1 offset:992
	v_fma_f64 v[170:171], v[170:171], v[14:15], v[174:175]
	v_fma_f64 v[168:169], v[168:169], v[14:15], -v[16:17]
	scratch_load_b128 v[14:17], off, off offset:528
	v_add_f64 v[174:175], v[180:181], v[178:179]
	v_add_f64 v[166:167], v[166:167], v[176:177]
	v_fma_f64 v[172:173], v[4:5], v[18:19], v[172:173]
	v_fma_f64 v[178:179], v[2:3], v[18:19], -v[20:21]
	scratch_load_b128 v[18:21], off, off offset:544
	ds_load_b128 v[2:5], v1 offset:1008
	s_waitcnt vmcnt(9) lgkmcnt(1)
	v_mul_f64 v[176:177], v[162:163], v[24:25]
	v_mul_f64 v[24:25], v[164:165], v[24:25]
	s_waitcnt vmcnt(8) lgkmcnt(0)
	v_mul_f64 v[180:181], v[2:3], v[28:29]
	v_mul_f64 v[28:29], v[4:5], v[28:29]
	v_add_f64 v[174:175], v[174:175], v[168:169]
	v_add_f64 v[170:171], v[166:167], v[170:171]
	ds_load_b128 v[166:169], v1 offset:1024
	v_fma_f64 v[164:165], v[164:165], v[22:23], v[176:177]
	v_fma_f64 v[162:163], v[162:163], v[22:23], -v[24:25]
	scratch_load_b128 v[22:25], off, off offset:560
	v_fma_f64 v[176:177], v[4:5], v[26:27], v[180:181]
	v_add_f64 v[174:175], v[174:175], v[178:179]
	v_add_f64 v[170:171], v[170:171], v[172:173]
	v_fma_f64 v[178:179], v[2:3], v[26:27], -v[28:29]
	scratch_load_b128 v[26:29], off, off offset:576
	ds_load_b128 v[2:5], v1 offset:1040
	s_waitcnt vmcnt(9) lgkmcnt(1)
	v_mul_f64 v[172:173], v[166:167], v[32:33]
	v_mul_f64 v[32:33], v[168:169], v[32:33]
	s_waitcnt vmcnt(8) lgkmcnt(0)
	v_mul_f64 v[180:181], v[2:3], v[36:37]
	v_mul_f64 v[36:37], v[4:5], v[36:37]
	v_add_f64 v[174:175], v[174:175], v[162:163]
	v_add_f64 v[170:171], v[170:171], v[164:165]
	ds_load_b128 v[162:165], v1 offset:1056
	v_fma_f64 v[168:169], v[168:169], v[30:31], v[172:173]
	v_fma_f64 v[30:31], v[166:167], v[30:31], -v[32:33]
	v_fma_f64 v[172:173], v[4:5], v[34:35], v[180:181]
	v_fma_f64 v[34:35], v[2:3], v[34:35], -v[36:37]
	v_add_f64 v[32:33], v[174:175], v[178:179]
	v_add_f64 v[166:167], v[170:171], v[176:177]
	s_waitcnt vmcnt(7) lgkmcnt(0)
	v_mul_f64 v[170:171], v[162:163], v[160:161]
	v_mul_f64 v[160:161], v[164:165], v[160:161]
	s_delay_alu instid0(VALU_DEP_4) | instskip(NEXT) | instid1(VALU_DEP_4)
	v_add_f64 v[36:37], v[32:33], v[30:31]
	v_add_f64 v[166:167], v[166:167], v[168:169]
	ds_load_b128 v[2:5], v1 offset:1072
	ds_load_b128 v[30:33], v1 offset:1088
	v_fma_f64 v[164:165], v[164:165], v[158:159], v[170:171]
	v_fma_f64 v[158:159], v[162:163], v[158:159], -v[160:161]
	s_waitcnt vmcnt(6) lgkmcnt(1)
	v_mul_f64 v[168:169], v[2:3], v[40:41]
	v_mul_f64 v[40:41], v[4:5], v[40:41]
	s_waitcnt vmcnt(5) lgkmcnt(0)
	v_mul_f64 v[160:161], v[30:31], v[8:9]
	v_mul_f64 v[8:9], v[32:33], v[8:9]
	v_add_f64 v[34:35], v[36:37], v[34:35]
	v_add_f64 v[36:37], v[166:167], v[172:173]
	v_fma_f64 v[162:163], v[4:5], v[38:39], v[168:169]
	v_fma_f64 v[38:39], v[2:3], v[38:39], -v[40:41]
	v_fma_f64 v[32:33], v[32:33], v[6:7], v[160:161]
	v_fma_f64 v[6:7], v[30:31], v[6:7], -v[8:9]
	v_add_f64 v[40:41], v[34:35], v[158:159]
	v_add_f64 v[158:159], v[36:37], v[164:165]
	ds_load_b128 v[2:5], v1 offset:1104
	ds_load_b128 v[34:37], v1 offset:1120
	s_waitcnt vmcnt(4) lgkmcnt(1)
	v_mul_f64 v[164:165], v[2:3], v[12:13]
	v_mul_f64 v[12:13], v[4:5], v[12:13]
	v_add_f64 v[8:9], v[40:41], v[38:39]
	v_add_f64 v[30:31], v[158:159], v[162:163]
	s_waitcnt vmcnt(3) lgkmcnt(0)
	v_mul_f64 v[38:39], v[34:35], v[16:17]
	v_mul_f64 v[16:17], v[36:37], v[16:17]
	v_fma_f64 v[40:41], v[4:5], v[10:11], v[164:165]
	v_fma_f64 v[10:11], v[2:3], v[10:11], -v[12:13]
	v_add_f64 v[12:13], v[8:9], v[6:7]
	v_add_f64 v[30:31], v[30:31], v[32:33]
	ds_load_b128 v[2:5], v1 offset:1136
	ds_load_b128 v[6:9], v1 offset:1152
	v_fma_f64 v[36:37], v[36:37], v[14:15], v[38:39]
	v_fma_f64 v[14:15], v[34:35], v[14:15], -v[16:17]
	s_waitcnt vmcnt(2) lgkmcnt(1)
	v_mul_f64 v[32:33], v[2:3], v[20:21]
	v_mul_f64 v[20:21], v[4:5], v[20:21]
	s_waitcnt vmcnt(1) lgkmcnt(0)
	v_mul_f64 v[16:17], v[6:7], v[24:25]
	v_mul_f64 v[24:25], v[8:9], v[24:25]
	v_add_f64 v[10:11], v[12:13], v[10:11]
	v_add_f64 v[12:13], v[30:31], v[40:41]
	v_fma_f64 v[30:31], v[4:5], v[18:19], v[32:33]
	v_fma_f64 v[18:19], v[2:3], v[18:19], -v[20:21]
	ds_load_b128 v[2:5], v1 offset:1168
	v_fma_f64 v[8:9], v[8:9], v[22:23], v[16:17]
	v_fma_f64 v[6:7], v[6:7], v[22:23], -v[24:25]
	v_add_f64 v[10:11], v[10:11], v[14:15]
	v_add_f64 v[12:13], v[12:13], v[36:37]
	s_waitcnt vmcnt(0) lgkmcnt(0)
	v_mul_f64 v[14:15], v[2:3], v[28:29]
	v_mul_f64 v[20:21], v[4:5], v[28:29]
	s_delay_alu instid0(VALU_DEP_4) | instskip(NEXT) | instid1(VALU_DEP_4)
	v_add_f64 v[10:11], v[10:11], v[18:19]
	v_add_f64 v[12:13], v[12:13], v[30:31]
	s_delay_alu instid0(VALU_DEP_4) | instskip(NEXT) | instid1(VALU_DEP_4)
	v_fma_f64 v[4:5], v[4:5], v[26:27], v[14:15]
	v_fma_f64 v[2:3], v[2:3], v[26:27], -v[20:21]
	s_delay_alu instid0(VALU_DEP_4) | instskip(NEXT) | instid1(VALU_DEP_4)
	v_add_f64 v[6:7], v[10:11], v[6:7]
	v_add_f64 v[8:9], v[12:13], v[8:9]
	s_delay_alu instid0(VALU_DEP_2) | instskip(NEXT) | instid1(VALU_DEP_2)
	v_add_f64 v[2:3], v[6:7], v[2:3]
	v_add_f64 v[4:5], v[8:9], v[4:5]
	s_delay_alu instid0(VALU_DEP_2) | instskip(NEXT) | instid1(VALU_DEP_2)
	v_add_f64 v[2:3], v[42:43], -v[2:3]
	v_add_f64 v[4:5], v[44:45], -v[4:5]
	scratch_store_b128 off, v[2:5], off offset:144
	v_cmpx_lt_u32_e32 8, v120
	s_cbranch_execz .LBB36_219
; %bb.218:
	scratch_load_b128 v[5:8], v146, off
	v_mov_b32_e32 v2, v1
	v_mov_b32_e32 v3, v1
	;; [unrolled: 1-line block ×3, first 2 shown]
	scratch_store_b128 off, v[1:4], off offset:128
	s_waitcnt vmcnt(0)
	ds_store_b128 v157, v[5:8]
.LBB36_219:
	s_or_b32 exec_lo, exec_lo, s2
	s_waitcnt lgkmcnt(0)
	s_waitcnt_vscnt null, 0x0
	s_barrier
	buffer_gl0_inv
	s_clause 0x8
	scratch_load_b128 v[2:5], off, off offset:144
	scratch_load_b128 v[6:9], off, off offset:160
	;; [unrolled: 1-line block ×9, first 2 shown]
	ds_load_b128 v[42:45], v1 offset:736
	ds_load_b128 v[38:41], v1 offset:752
	s_clause 0x1
	scratch_load_b128 v[158:161], off, off offset:128
	scratch_load_b128 v[162:165], off, off offset:288
	s_mov_b32 s2, exec_lo
	s_waitcnt vmcnt(10) lgkmcnt(1)
	v_mul_f64 v[166:167], v[44:45], v[4:5]
	v_mul_f64 v[4:5], v[42:43], v[4:5]
	s_waitcnt vmcnt(9) lgkmcnt(0)
	v_mul_f64 v[170:171], v[38:39], v[8:9]
	v_mul_f64 v[8:9], v[40:41], v[8:9]
	s_delay_alu instid0(VALU_DEP_4) | instskip(NEXT) | instid1(VALU_DEP_4)
	v_fma_f64 v[172:173], v[42:43], v[2:3], -v[166:167]
	v_fma_f64 v[174:175], v[44:45], v[2:3], v[4:5]
	ds_load_b128 v[2:5], v1 offset:768
	ds_load_b128 v[166:169], v1 offset:784
	scratch_load_b128 v[42:45], off, off offset:304
	v_fma_f64 v[40:41], v[40:41], v[6:7], v[170:171]
	v_fma_f64 v[38:39], v[38:39], v[6:7], -v[8:9]
	scratch_load_b128 v[6:9], off, off offset:320
	s_waitcnt vmcnt(10) lgkmcnt(1)
	v_mul_f64 v[176:177], v[2:3], v[12:13]
	v_mul_f64 v[12:13], v[4:5], v[12:13]
	v_add_f64 v[170:171], v[172:173], 0
	v_add_f64 v[172:173], v[174:175], 0
	s_waitcnt vmcnt(9) lgkmcnt(0)
	v_mul_f64 v[174:175], v[166:167], v[16:17]
	v_mul_f64 v[16:17], v[168:169], v[16:17]
	v_fma_f64 v[176:177], v[4:5], v[10:11], v[176:177]
	v_fma_f64 v[178:179], v[2:3], v[10:11], -v[12:13]
	ds_load_b128 v[2:5], v1 offset:800
	scratch_load_b128 v[10:13], off, off offset:336
	v_add_f64 v[170:171], v[170:171], v[38:39]
	v_add_f64 v[172:173], v[172:173], v[40:41]
	ds_load_b128 v[38:41], v1 offset:816
	v_fma_f64 v[168:169], v[168:169], v[14:15], v[174:175]
	v_fma_f64 v[166:167], v[166:167], v[14:15], -v[16:17]
	scratch_load_b128 v[14:17], off, off offset:352
	s_waitcnt vmcnt(10) lgkmcnt(1)
	v_mul_f64 v[180:181], v[2:3], v[20:21]
	v_mul_f64 v[20:21], v[4:5], v[20:21]
	s_waitcnt vmcnt(9) lgkmcnt(0)
	v_mul_f64 v[174:175], v[38:39], v[24:25]
	v_mul_f64 v[24:25], v[40:41], v[24:25]
	v_add_f64 v[170:171], v[170:171], v[178:179]
	v_add_f64 v[172:173], v[172:173], v[176:177]
	v_fma_f64 v[176:177], v[4:5], v[18:19], v[180:181]
	v_fma_f64 v[178:179], v[2:3], v[18:19], -v[20:21]
	ds_load_b128 v[2:5], v1 offset:832
	scratch_load_b128 v[18:21], off, off offset:368
	v_fma_f64 v[40:41], v[40:41], v[22:23], v[174:175]
	v_fma_f64 v[38:39], v[38:39], v[22:23], -v[24:25]
	scratch_load_b128 v[22:25], off, off offset:384
	v_add_f64 v[170:171], v[170:171], v[166:167]
	v_add_f64 v[172:173], v[172:173], v[168:169]
	ds_load_b128 v[166:169], v1 offset:848
	s_waitcnt vmcnt(10) lgkmcnt(1)
	v_mul_f64 v[180:181], v[2:3], v[28:29]
	v_mul_f64 v[28:29], v[4:5], v[28:29]
	s_waitcnt vmcnt(9) lgkmcnt(0)
	v_mul_f64 v[174:175], v[166:167], v[32:33]
	v_mul_f64 v[32:33], v[168:169], v[32:33]
	v_add_f64 v[170:171], v[170:171], v[178:179]
	v_add_f64 v[172:173], v[172:173], v[176:177]
	v_fma_f64 v[176:177], v[4:5], v[26:27], v[180:181]
	v_fma_f64 v[178:179], v[2:3], v[26:27], -v[28:29]
	ds_load_b128 v[2:5], v1 offset:864
	scratch_load_b128 v[26:29], off, off offset:400
	v_fma_f64 v[168:169], v[168:169], v[30:31], v[174:175]
	v_fma_f64 v[166:167], v[166:167], v[30:31], -v[32:33]
	scratch_load_b128 v[30:33], off, off offset:416
	v_add_f64 v[170:171], v[170:171], v[38:39]
	v_add_f64 v[172:173], v[172:173], v[40:41]
	ds_load_b128 v[38:41], v1 offset:880
	s_waitcnt vmcnt(10) lgkmcnt(1)
	v_mul_f64 v[180:181], v[2:3], v[36:37]
	v_mul_f64 v[36:37], v[4:5], v[36:37]
	s_waitcnt vmcnt(8) lgkmcnt(0)
	v_mul_f64 v[174:175], v[38:39], v[164:165]
	v_add_f64 v[170:171], v[170:171], v[178:179]
	v_add_f64 v[172:173], v[172:173], v[176:177]
	v_mul_f64 v[176:177], v[40:41], v[164:165]
	v_fma_f64 v[178:179], v[4:5], v[34:35], v[180:181]
	v_fma_f64 v[180:181], v[2:3], v[34:35], -v[36:37]
	ds_load_b128 v[2:5], v1 offset:896
	scratch_load_b128 v[34:37], off, off offset:432
	v_fma_f64 v[174:175], v[40:41], v[162:163], v[174:175]
	v_add_f64 v[170:171], v[170:171], v[166:167]
	v_add_f64 v[168:169], v[172:173], v[168:169]
	ds_load_b128 v[164:167], v1 offset:912
	v_fma_f64 v[162:163], v[38:39], v[162:163], -v[176:177]
	scratch_load_b128 v[38:41], off, off offset:448
	s_waitcnt vmcnt(9) lgkmcnt(1)
	v_mul_f64 v[172:173], v[2:3], v[44:45]
	v_mul_f64 v[44:45], v[4:5], v[44:45]
	s_waitcnt vmcnt(8) lgkmcnt(0)
	v_mul_f64 v[176:177], v[164:165], v[8:9]
	v_mul_f64 v[8:9], v[166:167], v[8:9]
	v_add_f64 v[170:171], v[170:171], v[180:181]
	v_add_f64 v[168:169], v[168:169], v[178:179]
	v_fma_f64 v[172:173], v[4:5], v[42:43], v[172:173]
	v_fma_f64 v[178:179], v[2:3], v[42:43], -v[44:45]
	ds_load_b128 v[2:5], v1 offset:928
	scratch_load_b128 v[42:45], off, off offset:464
	v_fma_f64 v[166:167], v[166:167], v[6:7], v[176:177]
	v_fma_f64 v[164:165], v[164:165], v[6:7], -v[8:9]
	scratch_load_b128 v[6:9], off, off offset:480
	v_add_f64 v[162:163], v[170:171], v[162:163]
	v_add_f64 v[174:175], v[168:169], v[174:175]
	ds_load_b128 v[168:171], v1 offset:944
	s_waitcnt vmcnt(9) lgkmcnt(1)
	v_mul_f64 v[180:181], v[2:3], v[12:13]
	v_mul_f64 v[12:13], v[4:5], v[12:13]
	v_add_f64 v[162:163], v[162:163], v[178:179]
	v_add_f64 v[172:173], v[174:175], v[172:173]
	s_waitcnt vmcnt(8) lgkmcnt(0)
	v_mul_f64 v[174:175], v[168:169], v[16:17]
	v_mul_f64 v[16:17], v[170:171], v[16:17]
	v_fma_f64 v[176:177], v[4:5], v[10:11], v[180:181]
	v_fma_f64 v[178:179], v[2:3], v[10:11], -v[12:13]
	ds_load_b128 v[2:5], v1 offset:960
	scratch_load_b128 v[10:13], off, off offset:496
	v_add_f64 v[180:181], v[162:163], v[164:165]
	v_add_f64 v[166:167], v[172:173], v[166:167]
	ds_load_b128 v[162:165], v1 offset:976
	s_waitcnt vmcnt(8) lgkmcnt(1)
	v_mul_f64 v[172:173], v[2:3], v[20:21]
	v_mul_f64 v[20:21], v[4:5], v[20:21]
	v_fma_f64 v[170:171], v[170:171], v[14:15], v[174:175]
	v_fma_f64 v[168:169], v[168:169], v[14:15], -v[16:17]
	scratch_load_b128 v[14:17], off, off offset:512
	v_add_f64 v[174:175], v[180:181], v[178:179]
	v_add_f64 v[166:167], v[166:167], v[176:177]
	s_waitcnt vmcnt(8) lgkmcnt(0)
	v_mul_f64 v[176:177], v[162:163], v[24:25]
	v_mul_f64 v[24:25], v[164:165], v[24:25]
	v_fma_f64 v[172:173], v[4:5], v[18:19], v[172:173]
	v_fma_f64 v[178:179], v[2:3], v[18:19], -v[20:21]
	ds_load_b128 v[2:5], v1 offset:992
	scratch_load_b128 v[18:21], off, off offset:528
	v_add_f64 v[174:175], v[174:175], v[168:169]
	v_add_f64 v[170:171], v[166:167], v[170:171]
	ds_load_b128 v[166:169], v1 offset:1008
	s_waitcnt vmcnt(8) lgkmcnt(1)
	v_mul_f64 v[180:181], v[2:3], v[28:29]
	v_mul_f64 v[28:29], v[4:5], v[28:29]
	v_fma_f64 v[164:165], v[164:165], v[22:23], v[176:177]
	v_fma_f64 v[162:163], v[162:163], v[22:23], -v[24:25]
	scratch_load_b128 v[22:25], off, off offset:544
	;; [unrolled: 18-line block ×3, first 2 shown]
	v_add_f64 v[172:173], v[174:175], v[178:179]
	v_add_f64 v[170:171], v[170:171], v[176:177]
	s_waitcnt vmcnt(8) lgkmcnt(0)
	v_mul_f64 v[174:175], v[162:163], v[40:41]
	v_mul_f64 v[40:41], v[164:165], v[40:41]
	v_fma_f64 v[176:177], v[4:5], v[34:35], v[180:181]
	v_fma_f64 v[178:179], v[2:3], v[34:35], -v[36:37]
	ds_load_b128 v[2:5], v1 offset:1056
	ds_load_b128 v[34:37], v1 offset:1072
	v_add_f64 v[166:167], v[172:173], v[166:167]
	v_add_f64 v[168:169], v[170:171], v[168:169]
	s_waitcnt vmcnt(7) lgkmcnt(1)
	v_mul_f64 v[170:171], v[2:3], v[44:45]
	v_mul_f64 v[44:45], v[4:5], v[44:45]
	v_fma_f64 v[164:165], v[164:165], v[38:39], v[174:175]
	v_fma_f64 v[38:39], v[162:163], v[38:39], -v[40:41]
	v_add_f64 v[40:41], v[166:167], v[178:179]
	v_add_f64 v[162:163], v[168:169], v[176:177]
	s_waitcnt vmcnt(6) lgkmcnt(0)
	v_mul_f64 v[166:167], v[34:35], v[8:9]
	v_mul_f64 v[8:9], v[36:37], v[8:9]
	v_fma_f64 v[168:169], v[4:5], v[42:43], v[170:171]
	v_fma_f64 v[42:43], v[2:3], v[42:43], -v[44:45]
	v_add_f64 v[44:45], v[40:41], v[38:39]
	v_add_f64 v[162:163], v[162:163], v[164:165]
	ds_load_b128 v[2:5], v1 offset:1088
	ds_load_b128 v[38:41], v1 offset:1104
	v_fma_f64 v[36:37], v[36:37], v[6:7], v[166:167]
	v_fma_f64 v[6:7], v[34:35], v[6:7], -v[8:9]
	s_waitcnt vmcnt(5) lgkmcnt(1)
	v_mul_f64 v[164:165], v[2:3], v[12:13]
	v_mul_f64 v[12:13], v[4:5], v[12:13]
	v_add_f64 v[8:9], v[44:45], v[42:43]
	v_add_f64 v[34:35], v[162:163], v[168:169]
	s_waitcnt vmcnt(4) lgkmcnt(0)
	v_mul_f64 v[42:43], v[38:39], v[16:17]
	v_mul_f64 v[16:17], v[40:41], v[16:17]
	v_fma_f64 v[44:45], v[4:5], v[10:11], v[164:165]
	v_fma_f64 v[10:11], v[2:3], v[10:11], -v[12:13]
	v_add_f64 v[12:13], v[8:9], v[6:7]
	v_add_f64 v[34:35], v[34:35], v[36:37]
	ds_load_b128 v[2:5], v1 offset:1120
	ds_load_b128 v[6:9], v1 offset:1136
	v_fma_f64 v[40:41], v[40:41], v[14:15], v[42:43]
	v_fma_f64 v[14:15], v[38:39], v[14:15], -v[16:17]
	s_waitcnt vmcnt(3) lgkmcnt(1)
	v_mul_f64 v[36:37], v[2:3], v[20:21]
	v_mul_f64 v[20:21], v[4:5], v[20:21]
	s_waitcnt vmcnt(2) lgkmcnt(0)
	v_mul_f64 v[16:17], v[6:7], v[24:25]
	v_mul_f64 v[24:25], v[8:9], v[24:25]
	v_add_f64 v[10:11], v[12:13], v[10:11]
	v_add_f64 v[12:13], v[34:35], v[44:45]
	v_fma_f64 v[34:35], v[4:5], v[18:19], v[36:37]
	v_fma_f64 v[18:19], v[2:3], v[18:19], -v[20:21]
	v_fma_f64 v[8:9], v[8:9], v[22:23], v[16:17]
	v_fma_f64 v[6:7], v[6:7], v[22:23], -v[24:25]
	v_add_f64 v[14:15], v[10:11], v[14:15]
	v_add_f64 v[20:21], v[12:13], v[40:41]
	ds_load_b128 v[2:5], v1 offset:1152
	ds_load_b128 v[10:13], v1 offset:1168
	s_waitcnt vmcnt(1) lgkmcnt(1)
	v_mul_f64 v[36:37], v[2:3], v[28:29]
	v_mul_f64 v[28:29], v[4:5], v[28:29]
	v_add_f64 v[14:15], v[14:15], v[18:19]
	v_add_f64 v[16:17], v[20:21], v[34:35]
	s_waitcnt vmcnt(0) lgkmcnt(0)
	v_mul_f64 v[18:19], v[10:11], v[32:33]
	v_mul_f64 v[20:21], v[12:13], v[32:33]
	v_fma_f64 v[4:5], v[4:5], v[26:27], v[36:37]
	v_fma_f64 v[1:2], v[2:3], v[26:27], -v[28:29]
	v_add_f64 v[6:7], v[14:15], v[6:7]
	v_add_f64 v[8:9], v[16:17], v[8:9]
	v_fma_f64 v[12:13], v[12:13], v[30:31], v[18:19]
	v_fma_f64 v[10:11], v[10:11], v[30:31], -v[20:21]
	s_delay_alu instid0(VALU_DEP_4) | instskip(NEXT) | instid1(VALU_DEP_4)
	v_add_f64 v[1:2], v[6:7], v[1:2]
	v_add_f64 v[3:4], v[8:9], v[4:5]
	s_delay_alu instid0(VALU_DEP_2) | instskip(NEXT) | instid1(VALU_DEP_2)
	v_add_f64 v[1:2], v[1:2], v[10:11]
	v_add_f64 v[3:4], v[3:4], v[12:13]
	s_delay_alu instid0(VALU_DEP_2) | instskip(NEXT) | instid1(VALU_DEP_2)
	v_add_f64 v[1:2], v[158:159], -v[1:2]
	v_add_f64 v[3:4], v[160:161], -v[3:4]
	scratch_store_b128 off, v[1:4], off offset:128
	v_cmpx_lt_u32_e32 7, v120
	s_cbranch_execz .LBB36_221
; %bb.220:
	scratch_load_b128 v[1:4], v149, off
	v_mov_b32_e32 v5, 0
	s_delay_alu instid0(VALU_DEP_1)
	v_mov_b32_e32 v6, v5
	v_mov_b32_e32 v7, v5
	;; [unrolled: 1-line block ×3, first 2 shown]
	scratch_store_b128 off, v[5:8], off offset:112
	s_waitcnt vmcnt(0)
	ds_store_b128 v157, v[1:4]
.LBB36_221:
	s_or_b32 exec_lo, exec_lo, s2
	s_waitcnt lgkmcnt(0)
	s_waitcnt_vscnt null, 0x0
	s_barrier
	buffer_gl0_inv
	s_clause 0x7
	scratch_load_b128 v[2:5], off, off offset:128
	scratch_load_b128 v[6:9], off, off offset:144
	;; [unrolled: 1-line block ×8, first 2 shown]
	v_mov_b32_e32 v1, 0
	s_mov_b32 s2, exec_lo
	ds_load_b128 v[38:41], v1 offset:720
	s_clause 0x1
	scratch_load_b128 v[34:37], off, off offset:256
	scratch_load_b128 v[42:45], off, off offset:112
	ds_load_b128 v[158:161], v1 offset:736
	scratch_load_b128 v[162:165], off, off offset:272
	s_waitcnt vmcnt(10) lgkmcnt(1)
	v_mul_f64 v[166:167], v[40:41], v[4:5]
	v_mul_f64 v[4:5], v[38:39], v[4:5]
	s_delay_alu instid0(VALU_DEP_2) | instskip(NEXT) | instid1(VALU_DEP_2)
	v_fma_f64 v[172:173], v[38:39], v[2:3], -v[166:167]
	v_fma_f64 v[174:175], v[40:41], v[2:3], v[4:5]
	scratch_load_b128 v[38:41], off, off offset:288
	ds_load_b128 v[2:5], v1 offset:752
	s_waitcnt vmcnt(10) lgkmcnt(1)
	v_mul_f64 v[170:171], v[158:159], v[8:9]
	v_mul_f64 v[8:9], v[160:161], v[8:9]
	ds_load_b128 v[166:169], v1 offset:768
	s_waitcnt vmcnt(9) lgkmcnt(1)
	v_mul_f64 v[176:177], v[2:3], v[12:13]
	v_mul_f64 v[12:13], v[4:5], v[12:13]
	v_fma_f64 v[160:161], v[160:161], v[6:7], v[170:171]
	v_fma_f64 v[158:159], v[158:159], v[6:7], -v[8:9]
	v_add_f64 v[170:171], v[172:173], 0
	v_add_f64 v[172:173], v[174:175], 0
	scratch_load_b128 v[6:9], off, off offset:304
	v_fma_f64 v[176:177], v[4:5], v[10:11], v[176:177]
	v_fma_f64 v[178:179], v[2:3], v[10:11], -v[12:13]
	scratch_load_b128 v[10:13], off, off offset:320
	ds_load_b128 v[2:5], v1 offset:784
	s_waitcnt vmcnt(10) lgkmcnt(1)
	v_mul_f64 v[174:175], v[166:167], v[16:17]
	v_mul_f64 v[16:17], v[168:169], v[16:17]
	v_add_f64 v[170:171], v[170:171], v[158:159]
	v_add_f64 v[172:173], v[172:173], v[160:161]
	s_waitcnt vmcnt(9) lgkmcnt(0)
	v_mul_f64 v[180:181], v[2:3], v[20:21]
	v_mul_f64 v[20:21], v[4:5], v[20:21]
	ds_load_b128 v[158:161], v1 offset:800
	v_fma_f64 v[168:169], v[168:169], v[14:15], v[174:175]
	v_fma_f64 v[166:167], v[166:167], v[14:15], -v[16:17]
	scratch_load_b128 v[14:17], off, off offset:336
	v_add_f64 v[170:171], v[170:171], v[178:179]
	v_add_f64 v[172:173], v[172:173], v[176:177]
	v_fma_f64 v[176:177], v[4:5], v[18:19], v[180:181]
	v_fma_f64 v[178:179], v[2:3], v[18:19], -v[20:21]
	scratch_load_b128 v[18:21], off, off offset:352
	ds_load_b128 v[2:5], v1 offset:816
	s_waitcnt vmcnt(10) lgkmcnt(1)
	v_mul_f64 v[174:175], v[158:159], v[24:25]
	v_mul_f64 v[24:25], v[160:161], v[24:25]
	s_waitcnt vmcnt(9) lgkmcnt(0)
	v_mul_f64 v[180:181], v[2:3], v[28:29]
	v_mul_f64 v[28:29], v[4:5], v[28:29]
	v_add_f64 v[170:171], v[170:171], v[166:167]
	v_add_f64 v[172:173], v[172:173], v[168:169]
	ds_load_b128 v[166:169], v1 offset:832
	v_fma_f64 v[160:161], v[160:161], v[22:23], v[174:175]
	v_fma_f64 v[158:159], v[158:159], v[22:23], -v[24:25]
	scratch_load_b128 v[22:25], off, off offset:368
	v_add_f64 v[170:171], v[170:171], v[178:179]
	v_add_f64 v[172:173], v[172:173], v[176:177]
	v_fma_f64 v[176:177], v[4:5], v[26:27], v[180:181]
	v_fma_f64 v[178:179], v[2:3], v[26:27], -v[28:29]
	scratch_load_b128 v[26:29], off, off offset:384
	ds_load_b128 v[2:5], v1 offset:848
	s_waitcnt vmcnt(10) lgkmcnt(1)
	v_mul_f64 v[174:175], v[166:167], v[32:33]
	v_mul_f64 v[32:33], v[168:169], v[32:33]
	s_waitcnt vmcnt(9) lgkmcnt(0)
	v_mul_f64 v[180:181], v[2:3], v[36:37]
	v_mul_f64 v[36:37], v[4:5], v[36:37]
	v_add_f64 v[170:171], v[170:171], v[158:159]
	v_add_f64 v[172:173], v[172:173], v[160:161]
	ds_load_b128 v[158:161], v1 offset:864
	v_fma_f64 v[168:169], v[168:169], v[30:31], v[174:175]
	v_fma_f64 v[166:167], v[166:167], v[30:31], -v[32:33]
	scratch_load_b128 v[30:33], off, off offset:400
	v_add_f64 v[170:171], v[170:171], v[178:179]
	v_add_f64 v[172:173], v[172:173], v[176:177]
	v_fma_f64 v[178:179], v[4:5], v[34:35], v[180:181]
	v_fma_f64 v[180:181], v[2:3], v[34:35], -v[36:37]
	scratch_load_b128 v[34:37], off, off offset:416
	ds_load_b128 v[2:5], v1 offset:880
	s_waitcnt vmcnt(9) lgkmcnt(1)
	v_mul_f64 v[174:175], v[158:159], v[164:165]
	v_mul_f64 v[176:177], v[160:161], v[164:165]
	v_add_f64 v[170:171], v[170:171], v[166:167]
	v_add_f64 v[168:169], v[172:173], v[168:169]
	ds_load_b128 v[164:167], v1 offset:896
	v_fma_f64 v[174:175], v[160:161], v[162:163], v[174:175]
	v_fma_f64 v[162:163], v[158:159], v[162:163], -v[176:177]
	scratch_load_b128 v[158:161], off, off offset:432
	s_waitcnt vmcnt(9) lgkmcnt(1)
	v_mul_f64 v[172:173], v[2:3], v[40:41]
	v_mul_f64 v[40:41], v[4:5], v[40:41]
	v_add_f64 v[170:171], v[170:171], v[180:181]
	v_add_f64 v[168:169], v[168:169], v[178:179]
	s_delay_alu instid0(VALU_DEP_4) | instskip(NEXT) | instid1(VALU_DEP_4)
	v_fma_f64 v[172:173], v[4:5], v[38:39], v[172:173]
	v_fma_f64 v[178:179], v[2:3], v[38:39], -v[40:41]
	scratch_load_b128 v[38:41], off, off offset:448
	ds_load_b128 v[2:5], v1 offset:912
	s_waitcnt vmcnt(9) lgkmcnt(1)
	v_mul_f64 v[176:177], v[164:165], v[8:9]
	v_mul_f64 v[8:9], v[166:167], v[8:9]
	s_waitcnt vmcnt(8) lgkmcnt(0)
	v_mul_f64 v[180:181], v[2:3], v[12:13]
	v_mul_f64 v[12:13], v[4:5], v[12:13]
	v_add_f64 v[162:163], v[170:171], v[162:163]
	v_add_f64 v[174:175], v[168:169], v[174:175]
	ds_load_b128 v[168:171], v1 offset:928
	v_fma_f64 v[166:167], v[166:167], v[6:7], v[176:177]
	v_fma_f64 v[164:165], v[164:165], v[6:7], -v[8:9]
	scratch_load_b128 v[6:9], off, off offset:464
	v_fma_f64 v[176:177], v[4:5], v[10:11], v[180:181]
	v_add_f64 v[162:163], v[162:163], v[178:179]
	v_add_f64 v[172:173], v[174:175], v[172:173]
	v_fma_f64 v[178:179], v[2:3], v[10:11], -v[12:13]
	scratch_load_b128 v[10:13], off, off offset:480
	ds_load_b128 v[2:5], v1 offset:944
	s_waitcnt vmcnt(9) lgkmcnt(1)
	v_mul_f64 v[174:175], v[168:169], v[16:17]
	v_mul_f64 v[16:17], v[170:171], v[16:17]
	v_add_f64 v[180:181], v[162:163], v[164:165]
	v_add_f64 v[166:167], v[172:173], v[166:167]
	s_waitcnt vmcnt(8) lgkmcnt(0)
	v_mul_f64 v[172:173], v[2:3], v[20:21]
	v_mul_f64 v[20:21], v[4:5], v[20:21]
	ds_load_b128 v[162:165], v1 offset:960
	v_fma_f64 v[170:171], v[170:171], v[14:15], v[174:175]
	v_fma_f64 v[168:169], v[168:169], v[14:15], -v[16:17]
	scratch_load_b128 v[14:17], off, off offset:496
	v_add_f64 v[174:175], v[180:181], v[178:179]
	v_add_f64 v[166:167], v[166:167], v[176:177]
	v_fma_f64 v[172:173], v[4:5], v[18:19], v[172:173]
	v_fma_f64 v[178:179], v[2:3], v[18:19], -v[20:21]
	scratch_load_b128 v[18:21], off, off offset:512
	ds_load_b128 v[2:5], v1 offset:976
	s_waitcnt vmcnt(9) lgkmcnt(1)
	v_mul_f64 v[176:177], v[162:163], v[24:25]
	v_mul_f64 v[24:25], v[164:165], v[24:25]
	s_waitcnt vmcnt(8) lgkmcnt(0)
	v_mul_f64 v[180:181], v[2:3], v[28:29]
	v_mul_f64 v[28:29], v[4:5], v[28:29]
	v_add_f64 v[174:175], v[174:175], v[168:169]
	v_add_f64 v[170:171], v[166:167], v[170:171]
	ds_load_b128 v[166:169], v1 offset:992
	v_fma_f64 v[164:165], v[164:165], v[22:23], v[176:177]
	v_fma_f64 v[162:163], v[162:163], v[22:23], -v[24:25]
	scratch_load_b128 v[22:25], off, off offset:528
	v_fma_f64 v[176:177], v[4:5], v[26:27], v[180:181]
	v_add_f64 v[174:175], v[174:175], v[178:179]
	v_add_f64 v[170:171], v[170:171], v[172:173]
	v_fma_f64 v[178:179], v[2:3], v[26:27], -v[28:29]
	scratch_load_b128 v[26:29], off, off offset:544
	ds_load_b128 v[2:5], v1 offset:1008
	s_waitcnt vmcnt(9) lgkmcnt(1)
	v_mul_f64 v[172:173], v[166:167], v[32:33]
	v_mul_f64 v[32:33], v[168:169], v[32:33]
	s_waitcnt vmcnt(8) lgkmcnt(0)
	v_mul_f64 v[180:181], v[2:3], v[36:37]
	v_mul_f64 v[36:37], v[4:5], v[36:37]
	v_add_f64 v[174:175], v[174:175], v[162:163]
	v_add_f64 v[170:171], v[170:171], v[164:165]
	ds_load_b128 v[162:165], v1 offset:1024
	v_fma_f64 v[168:169], v[168:169], v[30:31], v[172:173]
	v_fma_f64 v[166:167], v[166:167], v[30:31], -v[32:33]
	scratch_load_b128 v[30:33], off, off offset:560
	v_add_f64 v[172:173], v[174:175], v[178:179]
	v_add_f64 v[170:171], v[170:171], v[176:177]
	v_fma_f64 v[176:177], v[4:5], v[34:35], v[180:181]
	v_fma_f64 v[178:179], v[2:3], v[34:35], -v[36:37]
	scratch_load_b128 v[34:37], off, off offset:576
	ds_load_b128 v[2:5], v1 offset:1040
	s_waitcnt vmcnt(9) lgkmcnt(1)
	v_mul_f64 v[174:175], v[162:163], v[160:161]
	v_mul_f64 v[160:161], v[164:165], v[160:161]
	s_waitcnt vmcnt(8) lgkmcnt(0)
	v_mul_f64 v[180:181], v[2:3], v[40:41]
	v_mul_f64 v[40:41], v[4:5], v[40:41]
	v_add_f64 v[172:173], v[172:173], v[166:167]
	v_add_f64 v[170:171], v[170:171], v[168:169]
	ds_load_b128 v[166:169], v1 offset:1056
	v_fma_f64 v[164:165], v[164:165], v[158:159], v[174:175]
	v_fma_f64 v[158:159], v[162:163], v[158:159], -v[160:161]
	v_fma_f64 v[174:175], v[2:3], v[38:39], -v[40:41]
	v_add_f64 v[160:161], v[172:173], v[178:179]
	v_add_f64 v[162:163], v[170:171], v[176:177]
	s_waitcnt vmcnt(7) lgkmcnt(0)
	v_mul_f64 v[170:171], v[166:167], v[8:9]
	v_mul_f64 v[8:9], v[168:169], v[8:9]
	v_fma_f64 v[172:173], v[4:5], v[38:39], v[180:181]
	ds_load_b128 v[2:5], v1 offset:1072
	ds_load_b128 v[38:41], v1 offset:1088
	v_add_f64 v[158:159], v[160:161], v[158:159]
	v_add_f64 v[160:161], v[162:163], v[164:165]
	s_waitcnt vmcnt(6) lgkmcnt(1)
	v_mul_f64 v[162:163], v[2:3], v[12:13]
	v_mul_f64 v[12:13], v[4:5], v[12:13]
	v_fma_f64 v[164:165], v[168:169], v[6:7], v[170:171]
	v_fma_f64 v[6:7], v[166:167], v[6:7], -v[8:9]
	v_add_f64 v[8:9], v[158:159], v[174:175]
	v_add_f64 v[158:159], v[160:161], v[172:173]
	s_waitcnt vmcnt(5) lgkmcnt(0)
	v_mul_f64 v[160:161], v[38:39], v[16:17]
	v_mul_f64 v[16:17], v[40:41], v[16:17]
	v_fma_f64 v[162:163], v[4:5], v[10:11], v[162:163]
	v_fma_f64 v[10:11], v[2:3], v[10:11], -v[12:13]
	v_add_f64 v[12:13], v[8:9], v[6:7]
	v_add_f64 v[158:159], v[158:159], v[164:165]
	ds_load_b128 v[2:5], v1 offset:1104
	ds_load_b128 v[6:9], v1 offset:1120
	v_fma_f64 v[40:41], v[40:41], v[14:15], v[160:161]
	v_fma_f64 v[14:15], v[38:39], v[14:15], -v[16:17]
	s_waitcnt vmcnt(4) lgkmcnt(1)
	v_mul_f64 v[164:165], v[2:3], v[20:21]
	v_mul_f64 v[20:21], v[4:5], v[20:21]
	s_waitcnt vmcnt(3) lgkmcnt(0)
	v_mul_f64 v[16:17], v[6:7], v[24:25]
	v_mul_f64 v[24:25], v[8:9], v[24:25]
	v_add_f64 v[10:11], v[12:13], v[10:11]
	v_add_f64 v[12:13], v[158:159], v[162:163]
	v_fma_f64 v[38:39], v[4:5], v[18:19], v[164:165]
	v_fma_f64 v[18:19], v[2:3], v[18:19], -v[20:21]
	v_fma_f64 v[8:9], v[8:9], v[22:23], v[16:17]
	v_fma_f64 v[6:7], v[6:7], v[22:23], -v[24:25]
	v_add_f64 v[14:15], v[10:11], v[14:15]
	v_add_f64 v[20:21], v[12:13], v[40:41]
	ds_load_b128 v[2:5], v1 offset:1136
	ds_load_b128 v[10:13], v1 offset:1152
	s_waitcnt vmcnt(2) lgkmcnt(1)
	v_mul_f64 v[40:41], v[2:3], v[28:29]
	v_mul_f64 v[28:29], v[4:5], v[28:29]
	v_add_f64 v[14:15], v[14:15], v[18:19]
	v_add_f64 v[16:17], v[20:21], v[38:39]
	s_waitcnt vmcnt(1) lgkmcnt(0)
	v_mul_f64 v[18:19], v[10:11], v[32:33]
	v_mul_f64 v[20:21], v[12:13], v[32:33]
	v_fma_f64 v[22:23], v[4:5], v[26:27], v[40:41]
	v_fma_f64 v[24:25], v[2:3], v[26:27], -v[28:29]
	ds_load_b128 v[2:5], v1 offset:1168
	v_add_f64 v[6:7], v[14:15], v[6:7]
	v_add_f64 v[8:9], v[16:17], v[8:9]
	v_fma_f64 v[12:13], v[12:13], v[30:31], v[18:19]
	v_fma_f64 v[10:11], v[10:11], v[30:31], -v[20:21]
	s_waitcnt vmcnt(0) lgkmcnt(0)
	v_mul_f64 v[14:15], v[2:3], v[36:37]
	v_mul_f64 v[16:17], v[4:5], v[36:37]
	v_add_f64 v[6:7], v[6:7], v[24:25]
	v_add_f64 v[8:9], v[8:9], v[22:23]
	s_delay_alu instid0(VALU_DEP_4) | instskip(NEXT) | instid1(VALU_DEP_4)
	v_fma_f64 v[4:5], v[4:5], v[34:35], v[14:15]
	v_fma_f64 v[2:3], v[2:3], v[34:35], -v[16:17]
	s_delay_alu instid0(VALU_DEP_4) | instskip(NEXT) | instid1(VALU_DEP_4)
	v_add_f64 v[6:7], v[6:7], v[10:11]
	v_add_f64 v[8:9], v[8:9], v[12:13]
	s_delay_alu instid0(VALU_DEP_2) | instskip(NEXT) | instid1(VALU_DEP_2)
	v_add_f64 v[2:3], v[6:7], v[2:3]
	v_add_f64 v[4:5], v[8:9], v[4:5]
	s_delay_alu instid0(VALU_DEP_2) | instskip(NEXT) | instid1(VALU_DEP_2)
	v_add_f64 v[2:3], v[42:43], -v[2:3]
	v_add_f64 v[4:5], v[44:45], -v[4:5]
	scratch_store_b128 off, v[2:5], off offset:112
	v_cmpx_lt_u32_e32 6, v120
	s_cbranch_execz .LBB36_223
; %bb.222:
	scratch_load_b128 v[5:8], v151, off
	v_mov_b32_e32 v2, v1
	v_mov_b32_e32 v3, v1
	;; [unrolled: 1-line block ×3, first 2 shown]
	scratch_store_b128 off, v[1:4], off offset:96
	s_waitcnt vmcnt(0)
	ds_store_b128 v157, v[5:8]
.LBB36_223:
	s_or_b32 exec_lo, exec_lo, s2
	s_waitcnt lgkmcnt(0)
	s_waitcnt_vscnt null, 0x0
	s_barrier
	buffer_gl0_inv
	s_clause 0x8
	scratch_load_b128 v[2:5], off, off offset:112
	scratch_load_b128 v[6:9], off, off offset:128
	;; [unrolled: 1-line block ×9, first 2 shown]
	ds_load_b128 v[42:45], v1 offset:704
	ds_load_b128 v[38:41], v1 offset:720
	s_clause 0x1
	scratch_load_b128 v[158:161], off, off offset:96
	scratch_load_b128 v[162:165], off, off offset:256
	s_mov_b32 s2, exec_lo
	s_waitcnt vmcnt(10) lgkmcnt(1)
	v_mul_f64 v[166:167], v[44:45], v[4:5]
	v_mul_f64 v[4:5], v[42:43], v[4:5]
	s_waitcnt vmcnt(9) lgkmcnt(0)
	v_mul_f64 v[170:171], v[38:39], v[8:9]
	v_mul_f64 v[8:9], v[40:41], v[8:9]
	s_delay_alu instid0(VALU_DEP_4) | instskip(NEXT) | instid1(VALU_DEP_4)
	v_fma_f64 v[172:173], v[42:43], v[2:3], -v[166:167]
	v_fma_f64 v[174:175], v[44:45], v[2:3], v[4:5]
	ds_load_b128 v[2:5], v1 offset:736
	ds_load_b128 v[166:169], v1 offset:752
	scratch_load_b128 v[42:45], off, off offset:272
	v_fma_f64 v[40:41], v[40:41], v[6:7], v[170:171]
	v_fma_f64 v[38:39], v[38:39], v[6:7], -v[8:9]
	scratch_load_b128 v[6:9], off, off offset:288
	s_waitcnt vmcnt(10) lgkmcnt(1)
	v_mul_f64 v[176:177], v[2:3], v[12:13]
	v_mul_f64 v[12:13], v[4:5], v[12:13]
	v_add_f64 v[170:171], v[172:173], 0
	v_add_f64 v[172:173], v[174:175], 0
	s_waitcnt vmcnt(9) lgkmcnt(0)
	v_mul_f64 v[174:175], v[166:167], v[16:17]
	v_mul_f64 v[16:17], v[168:169], v[16:17]
	v_fma_f64 v[176:177], v[4:5], v[10:11], v[176:177]
	v_fma_f64 v[178:179], v[2:3], v[10:11], -v[12:13]
	ds_load_b128 v[2:5], v1 offset:768
	scratch_load_b128 v[10:13], off, off offset:304
	v_add_f64 v[170:171], v[170:171], v[38:39]
	v_add_f64 v[172:173], v[172:173], v[40:41]
	ds_load_b128 v[38:41], v1 offset:784
	v_fma_f64 v[168:169], v[168:169], v[14:15], v[174:175]
	v_fma_f64 v[166:167], v[166:167], v[14:15], -v[16:17]
	scratch_load_b128 v[14:17], off, off offset:320
	s_waitcnt vmcnt(10) lgkmcnt(1)
	v_mul_f64 v[180:181], v[2:3], v[20:21]
	v_mul_f64 v[20:21], v[4:5], v[20:21]
	s_waitcnt vmcnt(9) lgkmcnt(0)
	v_mul_f64 v[174:175], v[38:39], v[24:25]
	v_mul_f64 v[24:25], v[40:41], v[24:25]
	v_add_f64 v[170:171], v[170:171], v[178:179]
	v_add_f64 v[172:173], v[172:173], v[176:177]
	v_fma_f64 v[176:177], v[4:5], v[18:19], v[180:181]
	v_fma_f64 v[178:179], v[2:3], v[18:19], -v[20:21]
	ds_load_b128 v[2:5], v1 offset:800
	scratch_load_b128 v[18:21], off, off offset:336
	v_fma_f64 v[40:41], v[40:41], v[22:23], v[174:175]
	v_fma_f64 v[38:39], v[38:39], v[22:23], -v[24:25]
	scratch_load_b128 v[22:25], off, off offset:352
	v_add_f64 v[170:171], v[170:171], v[166:167]
	v_add_f64 v[172:173], v[172:173], v[168:169]
	ds_load_b128 v[166:169], v1 offset:816
	s_waitcnt vmcnt(10) lgkmcnt(1)
	v_mul_f64 v[180:181], v[2:3], v[28:29]
	v_mul_f64 v[28:29], v[4:5], v[28:29]
	s_waitcnt vmcnt(9) lgkmcnt(0)
	v_mul_f64 v[174:175], v[166:167], v[32:33]
	v_mul_f64 v[32:33], v[168:169], v[32:33]
	v_add_f64 v[170:171], v[170:171], v[178:179]
	v_add_f64 v[172:173], v[172:173], v[176:177]
	v_fma_f64 v[176:177], v[4:5], v[26:27], v[180:181]
	v_fma_f64 v[178:179], v[2:3], v[26:27], -v[28:29]
	ds_load_b128 v[2:5], v1 offset:832
	scratch_load_b128 v[26:29], off, off offset:368
	v_fma_f64 v[168:169], v[168:169], v[30:31], v[174:175]
	v_fma_f64 v[166:167], v[166:167], v[30:31], -v[32:33]
	scratch_load_b128 v[30:33], off, off offset:384
	v_add_f64 v[170:171], v[170:171], v[38:39]
	v_add_f64 v[172:173], v[172:173], v[40:41]
	ds_load_b128 v[38:41], v1 offset:848
	s_waitcnt vmcnt(10) lgkmcnt(1)
	v_mul_f64 v[180:181], v[2:3], v[36:37]
	v_mul_f64 v[36:37], v[4:5], v[36:37]
	s_waitcnt vmcnt(8) lgkmcnt(0)
	v_mul_f64 v[174:175], v[38:39], v[164:165]
	v_add_f64 v[170:171], v[170:171], v[178:179]
	v_add_f64 v[172:173], v[172:173], v[176:177]
	v_mul_f64 v[176:177], v[40:41], v[164:165]
	v_fma_f64 v[178:179], v[4:5], v[34:35], v[180:181]
	v_fma_f64 v[180:181], v[2:3], v[34:35], -v[36:37]
	ds_load_b128 v[2:5], v1 offset:864
	scratch_load_b128 v[34:37], off, off offset:400
	v_fma_f64 v[174:175], v[40:41], v[162:163], v[174:175]
	v_add_f64 v[170:171], v[170:171], v[166:167]
	v_add_f64 v[168:169], v[172:173], v[168:169]
	ds_load_b128 v[164:167], v1 offset:880
	v_fma_f64 v[162:163], v[38:39], v[162:163], -v[176:177]
	scratch_load_b128 v[38:41], off, off offset:416
	s_waitcnt vmcnt(9) lgkmcnt(1)
	v_mul_f64 v[172:173], v[2:3], v[44:45]
	v_mul_f64 v[44:45], v[4:5], v[44:45]
	s_waitcnt vmcnt(8) lgkmcnt(0)
	v_mul_f64 v[176:177], v[164:165], v[8:9]
	v_mul_f64 v[8:9], v[166:167], v[8:9]
	v_add_f64 v[170:171], v[170:171], v[180:181]
	v_add_f64 v[168:169], v[168:169], v[178:179]
	v_fma_f64 v[172:173], v[4:5], v[42:43], v[172:173]
	v_fma_f64 v[178:179], v[2:3], v[42:43], -v[44:45]
	ds_load_b128 v[2:5], v1 offset:896
	scratch_load_b128 v[42:45], off, off offset:432
	v_fma_f64 v[166:167], v[166:167], v[6:7], v[176:177]
	v_fma_f64 v[164:165], v[164:165], v[6:7], -v[8:9]
	scratch_load_b128 v[6:9], off, off offset:448
	v_add_f64 v[162:163], v[170:171], v[162:163]
	v_add_f64 v[174:175], v[168:169], v[174:175]
	ds_load_b128 v[168:171], v1 offset:912
	s_waitcnt vmcnt(9) lgkmcnt(1)
	v_mul_f64 v[180:181], v[2:3], v[12:13]
	v_mul_f64 v[12:13], v[4:5], v[12:13]
	v_add_f64 v[162:163], v[162:163], v[178:179]
	v_add_f64 v[172:173], v[174:175], v[172:173]
	s_waitcnt vmcnt(8) lgkmcnt(0)
	v_mul_f64 v[174:175], v[168:169], v[16:17]
	v_mul_f64 v[16:17], v[170:171], v[16:17]
	v_fma_f64 v[176:177], v[4:5], v[10:11], v[180:181]
	v_fma_f64 v[178:179], v[2:3], v[10:11], -v[12:13]
	ds_load_b128 v[2:5], v1 offset:928
	scratch_load_b128 v[10:13], off, off offset:464
	v_add_f64 v[180:181], v[162:163], v[164:165]
	v_add_f64 v[166:167], v[172:173], v[166:167]
	ds_load_b128 v[162:165], v1 offset:944
	s_waitcnt vmcnt(8) lgkmcnt(1)
	v_mul_f64 v[172:173], v[2:3], v[20:21]
	v_mul_f64 v[20:21], v[4:5], v[20:21]
	v_fma_f64 v[170:171], v[170:171], v[14:15], v[174:175]
	v_fma_f64 v[168:169], v[168:169], v[14:15], -v[16:17]
	scratch_load_b128 v[14:17], off, off offset:480
	v_add_f64 v[174:175], v[180:181], v[178:179]
	v_add_f64 v[166:167], v[166:167], v[176:177]
	s_waitcnt vmcnt(8) lgkmcnt(0)
	v_mul_f64 v[176:177], v[162:163], v[24:25]
	v_mul_f64 v[24:25], v[164:165], v[24:25]
	v_fma_f64 v[172:173], v[4:5], v[18:19], v[172:173]
	v_fma_f64 v[178:179], v[2:3], v[18:19], -v[20:21]
	ds_load_b128 v[2:5], v1 offset:960
	scratch_load_b128 v[18:21], off, off offset:496
	v_add_f64 v[174:175], v[174:175], v[168:169]
	v_add_f64 v[170:171], v[166:167], v[170:171]
	ds_load_b128 v[166:169], v1 offset:976
	s_waitcnt vmcnt(8) lgkmcnt(1)
	v_mul_f64 v[180:181], v[2:3], v[28:29]
	v_mul_f64 v[28:29], v[4:5], v[28:29]
	v_fma_f64 v[164:165], v[164:165], v[22:23], v[176:177]
	v_fma_f64 v[162:163], v[162:163], v[22:23], -v[24:25]
	scratch_load_b128 v[22:25], off, off offset:512
	;; [unrolled: 18-line block ×4, first 2 shown]
	s_waitcnt vmcnt(8) lgkmcnt(0)
	v_mul_f64 v[174:175], v[166:167], v[8:9]
	v_mul_f64 v[8:9], v[168:169], v[8:9]
	v_add_f64 v[172:173], v[172:173], v[178:179]
	v_add_f64 v[170:171], v[170:171], v[176:177]
	v_fma_f64 v[176:177], v[4:5], v[42:43], v[180:181]
	v_fma_f64 v[178:179], v[2:3], v[42:43], -v[44:45]
	ds_load_b128 v[2:5], v1 offset:1056
	ds_load_b128 v[42:45], v1 offset:1072
	v_fma_f64 v[168:169], v[168:169], v[6:7], v[174:175]
	v_fma_f64 v[6:7], v[166:167], v[6:7], -v[8:9]
	v_add_f64 v[162:163], v[172:173], v[162:163]
	v_add_f64 v[164:165], v[170:171], v[164:165]
	s_waitcnt vmcnt(7) lgkmcnt(1)
	v_mul_f64 v[170:171], v[2:3], v[12:13]
	v_mul_f64 v[12:13], v[4:5], v[12:13]
	s_delay_alu instid0(VALU_DEP_4) | instskip(NEXT) | instid1(VALU_DEP_4)
	v_add_f64 v[8:9], v[162:163], v[178:179]
	v_add_f64 v[162:163], v[164:165], v[176:177]
	s_waitcnt vmcnt(6) lgkmcnt(0)
	v_mul_f64 v[164:165], v[42:43], v[16:17]
	v_mul_f64 v[16:17], v[44:45], v[16:17]
	v_fma_f64 v[166:167], v[4:5], v[10:11], v[170:171]
	v_fma_f64 v[10:11], v[2:3], v[10:11], -v[12:13]
	v_add_f64 v[12:13], v[8:9], v[6:7]
	v_add_f64 v[162:163], v[162:163], v[168:169]
	ds_load_b128 v[2:5], v1 offset:1088
	ds_load_b128 v[6:9], v1 offset:1104
	v_fma_f64 v[44:45], v[44:45], v[14:15], v[164:165]
	v_fma_f64 v[14:15], v[42:43], v[14:15], -v[16:17]
	s_waitcnt vmcnt(5) lgkmcnt(1)
	v_mul_f64 v[168:169], v[2:3], v[20:21]
	v_mul_f64 v[20:21], v[4:5], v[20:21]
	s_waitcnt vmcnt(4) lgkmcnt(0)
	v_mul_f64 v[16:17], v[6:7], v[24:25]
	v_mul_f64 v[24:25], v[8:9], v[24:25]
	v_add_f64 v[10:11], v[12:13], v[10:11]
	v_add_f64 v[12:13], v[162:163], v[166:167]
	v_fma_f64 v[42:43], v[4:5], v[18:19], v[168:169]
	v_fma_f64 v[18:19], v[2:3], v[18:19], -v[20:21]
	v_fma_f64 v[8:9], v[8:9], v[22:23], v[16:17]
	v_fma_f64 v[6:7], v[6:7], v[22:23], -v[24:25]
	v_add_f64 v[14:15], v[10:11], v[14:15]
	v_add_f64 v[20:21], v[12:13], v[44:45]
	ds_load_b128 v[2:5], v1 offset:1120
	ds_load_b128 v[10:13], v1 offset:1136
	s_waitcnt vmcnt(3) lgkmcnt(1)
	v_mul_f64 v[44:45], v[2:3], v[28:29]
	v_mul_f64 v[28:29], v[4:5], v[28:29]
	v_add_f64 v[14:15], v[14:15], v[18:19]
	v_add_f64 v[16:17], v[20:21], v[42:43]
	s_waitcnt vmcnt(2) lgkmcnt(0)
	v_mul_f64 v[18:19], v[10:11], v[32:33]
	v_mul_f64 v[20:21], v[12:13], v[32:33]
	v_fma_f64 v[22:23], v[4:5], v[26:27], v[44:45]
	v_fma_f64 v[24:25], v[2:3], v[26:27], -v[28:29]
	v_add_f64 v[14:15], v[14:15], v[6:7]
	v_add_f64 v[16:17], v[16:17], v[8:9]
	ds_load_b128 v[2:5], v1 offset:1152
	ds_load_b128 v[6:9], v1 offset:1168
	v_fma_f64 v[12:13], v[12:13], v[30:31], v[18:19]
	v_fma_f64 v[10:11], v[10:11], v[30:31], -v[20:21]
	s_waitcnt vmcnt(1) lgkmcnt(1)
	v_mul_f64 v[26:27], v[2:3], v[36:37]
	v_mul_f64 v[28:29], v[4:5], v[36:37]
	s_waitcnt vmcnt(0) lgkmcnt(0)
	v_mul_f64 v[18:19], v[6:7], v[40:41]
	v_mul_f64 v[20:21], v[8:9], v[40:41]
	v_add_f64 v[14:15], v[14:15], v[24:25]
	v_add_f64 v[16:17], v[16:17], v[22:23]
	v_fma_f64 v[4:5], v[4:5], v[34:35], v[26:27]
	v_fma_f64 v[1:2], v[2:3], v[34:35], -v[28:29]
	v_fma_f64 v[8:9], v[8:9], v[38:39], v[18:19]
	v_fma_f64 v[6:7], v[6:7], v[38:39], -v[20:21]
	v_add_f64 v[10:11], v[14:15], v[10:11]
	v_add_f64 v[12:13], v[16:17], v[12:13]
	s_delay_alu instid0(VALU_DEP_2) | instskip(NEXT) | instid1(VALU_DEP_2)
	v_add_f64 v[1:2], v[10:11], v[1:2]
	v_add_f64 v[3:4], v[12:13], v[4:5]
	s_delay_alu instid0(VALU_DEP_2) | instskip(NEXT) | instid1(VALU_DEP_2)
	;; [unrolled: 3-line block ×3, first 2 shown]
	v_add_f64 v[1:2], v[158:159], -v[1:2]
	v_add_f64 v[3:4], v[160:161], -v[3:4]
	scratch_store_b128 off, v[1:4], off offset:96
	v_cmpx_lt_u32_e32 5, v120
	s_cbranch_execz .LBB36_225
; %bb.224:
	scratch_load_b128 v[1:4], v152, off
	v_mov_b32_e32 v5, 0
	s_delay_alu instid0(VALU_DEP_1)
	v_mov_b32_e32 v6, v5
	v_mov_b32_e32 v7, v5
	;; [unrolled: 1-line block ×3, first 2 shown]
	scratch_store_b128 off, v[5:8], off offset:80
	s_waitcnt vmcnt(0)
	ds_store_b128 v157, v[1:4]
.LBB36_225:
	s_or_b32 exec_lo, exec_lo, s2
	s_waitcnt lgkmcnt(0)
	s_waitcnt_vscnt null, 0x0
	s_barrier
	buffer_gl0_inv
	s_clause 0x7
	scratch_load_b128 v[2:5], off, off offset:96
	scratch_load_b128 v[6:9], off, off offset:112
	;; [unrolled: 1-line block ×8, first 2 shown]
	v_mov_b32_e32 v1, 0
	s_mov_b32 s2, exec_lo
	ds_load_b128 v[38:41], v1 offset:688
	s_clause 0x1
	scratch_load_b128 v[34:37], off, off offset:224
	scratch_load_b128 v[42:45], off, off offset:80
	ds_load_b128 v[158:161], v1 offset:704
	scratch_load_b128 v[162:165], off, off offset:240
	s_waitcnt vmcnt(10) lgkmcnt(1)
	v_mul_f64 v[166:167], v[40:41], v[4:5]
	v_mul_f64 v[4:5], v[38:39], v[4:5]
	s_delay_alu instid0(VALU_DEP_2) | instskip(NEXT) | instid1(VALU_DEP_2)
	v_fma_f64 v[172:173], v[38:39], v[2:3], -v[166:167]
	v_fma_f64 v[174:175], v[40:41], v[2:3], v[4:5]
	scratch_load_b128 v[38:41], off, off offset:256
	ds_load_b128 v[2:5], v1 offset:720
	s_waitcnt vmcnt(10) lgkmcnt(1)
	v_mul_f64 v[170:171], v[158:159], v[8:9]
	v_mul_f64 v[8:9], v[160:161], v[8:9]
	ds_load_b128 v[166:169], v1 offset:736
	s_waitcnt vmcnt(9) lgkmcnt(1)
	v_mul_f64 v[176:177], v[2:3], v[12:13]
	v_mul_f64 v[12:13], v[4:5], v[12:13]
	v_fma_f64 v[160:161], v[160:161], v[6:7], v[170:171]
	v_fma_f64 v[158:159], v[158:159], v[6:7], -v[8:9]
	v_add_f64 v[170:171], v[172:173], 0
	v_add_f64 v[172:173], v[174:175], 0
	scratch_load_b128 v[6:9], off, off offset:272
	v_fma_f64 v[176:177], v[4:5], v[10:11], v[176:177]
	v_fma_f64 v[178:179], v[2:3], v[10:11], -v[12:13]
	scratch_load_b128 v[10:13], off, off offset:288
	ds_load_b128 v[2:5], v1 offset:752
	s_waitcnt vmcnt(10) lgkmcnt(1)
	v_mul_f64 v[174:175], v[166:167], v[16:17]
	v_mul_f64 v[16:17], v[168:169], v[16:17]
	v_add_f64 v[170:171], v[170:171], v[158:159]
	v_add_f64 v[172:173], v[172:173], v[160:161]
	s_waitcnt vmcnt(9) lgkmcnt(0)
	v_mul_f64 v[180:181], v[2:3], v[20:21]
	v_mul_f64 v[20:21], v[4:5], v[20:21]
	ds_load_b128 v[158:161], v1 offset:768
	v_fma_f64 v[168:169], v[168:169], v[14:15], v[174:175]
	v_fma_f64 v[166:167], v[166:167], v[14:15], -v[16:17]
	scratch_load_b128 v[14:17], off, off offset:304
	v_add_f64 v[170:171], v[170:171], v[178:179]
	v_add_f64 v[172:173], v[172:173], v[176:177]
	v_fma_f64 v[176:177], v[4:5], v[18:19], v[180:181]
	v_fma_f64 v[178:179], v[2:3], v[18:19], -v[20:21]
	scratch_load_b128 v[18:21], off, off offset:320
	ds_load_b128 v[2:5], v1 offset:784
	s_waitcnt vmcnt(10) lgkmcnt(1)
	v_mul_f64 v[174:175], v[158:159], v[24:25]
	v_mul_f64 v[24:25], v[160:161], v[24:25]
	s_waitcnt vmcnt(9) lgkmcnt(0)
	v_mul_f64 v[180:181], v[2:3], v[28:29]
	v_mul_f64 v[28:29], v[4:5], v[28:29]
	v_add_f64 v[170:171], v[170:171], v[166:167]
	v_add_f64 v[172:173], v[172:173], v[168:169]
	ds_load_b128 v[166:169], v1 offset:800
	v_fma_f64 v[160:161], v[160:161], v[22:23], v[174:175]
	v_fma_f64 v[158:159], v[158:159], v[22:23], -v[24:25]
	scratch_load_b128 v[22:25], off, off offset:336
	v_add_f64 v[170:171], v[170:171], v[178:179]
	v_add_f64 v[172:173], v[172:173], v[176:177]
	v_fma_f64 v[176:177], v[4:5], v[26:27], v[180:181]
	v_fma_f64 v[178:179], v[2:3], v[26:27], -v[28:29]
	scratch_load_b128 v[26:29], off, off offset:352
	ds_load_b128 v[2:5], v1 offset:816
	s_waitcnt vmcnt(10) lgkmcnt(1)
	v_mul_f64 v[174:175], v[166:167], v[32:33]
	v_mul_f64 v[32:33], v[168:169], v[32:33]
	s_waitcnt vmcnt(9) lgkmcnt(0)
	v_mul_f64 v[180:181], v[2:3], v[36:37]
	v_mul_f64 v[36:37], v[4:5], v[36:37]
	v_add_f64 v[170:171], v[170:171], v[158:159]
	v_add_f64 v[172:173], v[172:173], v[160:161]
	ds_load_b128 v[158:161], v1 offset:832
	v_fma_f64 v[168:169], v[168:169], v[30:31], v[174:175]
	v_fma_f64 v[166:167], v[166:167], v[30:31], -v[32:33]
	scratch_load_b128 v[30:33], off, off offset:368
	v_add_f64 v[170:171], v[170:171], v[178:179]
	v_add_f64 v[172:173], v[172:173], v[176:177]
	v_fma_f64 v[178:179], v[4:5], v[34:35], v[180:181]
	v_fma_f64 v[180:181], v[2:3], v[34:35], -v[36:37]
	scratch_load_b128 v[34:37], off, off offset:384
	ds_load_b128 v[2:5], v1 offset:848
	s_waitcnt vmcnt(9) lgkmcnt(1)
	v_mul_f64 v[174:175], v[158:159], v[164:165]
	v_mul_f64 v[176:177], v[160:161], v[164:165]
	v_add_f64 v[170:171], v[170:171], v[166:167]
	v_add_f64 v[168:169], v[172:173], v[168:169]
	ds_load_b128 v[164:167], v1 offset:864
	v_fma_f64 v[174:175], v[160:161], v[162:163], v[174:175]
	v_fma_f64 v[162:163], v[158:159], v[162:163], -v[176:177]
	scratch_load_b128 v[158:161], off, off offset:400
	s_waitcnt vmcnt(9) lgkmcnt(1)
	v_mul_f64 v[172:173], v[2:3], v[40:41]
	v_mul_f64 v[40:41], v[4:5], v[40:41]
	v_add_f64 v[170:171], v[170:171], v[180:181]
	v_add_f64 v[168:169], v[168:169], v[178:179]
	s_delay_alu instid0(VALU_DEP_4) | instskip(NEXT) | instid1(VALU_DEP_4)
	v_fma_f64 v[172:173], v[4:5], v[38:39], v[172:173]
	v_fma_f64 v[178:179], v[2:3], v[38:39], -v[40:41]
	scratch_load_b128 v[38:41], off, off offset:416
	ds_load_b128 v[2:5], v1 offset:880
	s_waitcnt vmcnt(9) lgkmcnt(1)
	v_mul_f64 v[176:177], v[164:165], v[8:9]
	v_mul_f64 v[8:9], v[166:167], v[8:9]
	s_waitcnt vmcnt(8) lgkmcnt(0)
	v_mul_f64 v[180:181], v[2:3], v[12:13]
	v_mul_f64 v[12:13], v[4:5], v[12:13]
	v_add_f64 v[162:163], v[170:171], v[162:163]
	v_add_f64 v[174:175], v[168:169], v[174:175]
	ds_load_b128 v[168:171], v1 offset:896
	v_fma_f64 v[166:167], v[166:167], v[6:7], v[176:177]
	v_fma_f64 v[164:165], v[164:165], v[6:7], -v[8:9]
	scratch_load_b128 v[6:9], off, off offset:432
	v_fma_f64 v[176:177], v[4:5], v[10:11], v[180:181]
	v_add_f64 v[162:163], v[162:163], v[178:179]
	v_add_f64 v[172:173], v[174:175], v[172:173]
	v_fma_f64 v[178:179], v[2:3], v[10:11], -v[12:13]
	scratch_load_b128 v[10:13], off, off offset:448
	ds_load_b128 v[2:5], v1 offset:912
	s_waitcnt vmcnt(9) lgkmcnt(1)
	v_mul_f64 v[174:175], v[168:169], v[16:17]
	v_mul_f64 v[16:17], v[170:171], v[16:17]
	v_add_f64 v[180:181], v[162:163], v[164:165]
	v_add_f64 v[166:167], v[172:173], v[166:167]
	s_waitcnt vmcnt(8) lgkmcnt(0)
	v_mul_f64 v[172:173], v[2:3], v[20:21]
	v_mul_f64 v[20:21], v[4:5], v[20:21]
	ds_load_b128 v[162:165], v1 offset:928
	v_fma_f64 v[170:171], v[170:171], v[14:15], v[174:175]
	v_fma_f64 v[168:169], v[168:169], v[14:15], -v[16:17]
	scratch_load_b128 v[14:17], off, off offset:464
	v_add_f64 v[174:175], v[180:181], v[178:179]
	v_add_f64 v[166:167], v[166:167], v[176:177]
	v_fma_f64 v[172:173], v[4:5], v[18:19], v[172:173]
	v_fma_f64 v[178:179], v[2:3], v[18:19], -v[20:21]
	scratch_load_b128 v[18:21], off, off offset:480
	ds_load_b128 v[2:5], v1 offset:944
	s_waitcnt vmcnt(9) lgkmcnt(1)
	v_mul_f64 v[176:177], v[162:163], v[24:25]
	v_mul_f64 v[24:25], v[164:165], v[24:25]
	s_waitcnt vmcnt(8) lgkmcnt(0)
	v_mul_f64 v[180:181], v[2:3], v[28:29]
	v_mul_f64 v[28:29], v[4:5], v[28:29]
	v_add_f64 v[174:175], v[174:175], v[168:169]
	v_add_f64 v[170:171], v[166:167], v[170:171]
	ds_load_b128 v[166:169], v1 offset:960
	v_fma_f64 v[164:165], v[164:165], v[22:23], v[176:177]
	v_fma_f64 v[162:163], v[162:163], v[22:23], -v[24:25]
	scratch_load_b128 v[22:25], off, off offset:496
	v_fma_f64 v[176:177], v[4:5], v[26:27], v[180:181]
	v_add_f64 v[174:175], v[174:175], v[178:179]
	v_add_f64 v[170:171], v[170:171], v[172:173]
	v_fma_f64 v[178:179], v[2:3], v[26:27], -v[28:29]
	scratch_load_b128 v[26:29], off, off offset:512
	ds_load_b128 v[2:5], v1 offset:976
	s_waitcnt vmcnt(9) lgkmcnt(1)
	v_mul_f64 v[172:173], v[166:167], v[32:33]
	v_mul_f64 v[32:33], v[168:169], v[32:33]
	s_waitcnt vmcnt(8) lgkmcnt(0)
	v_mul_f64 v[180:181], v[2:3], v[36:37]
	v_mul_f64 v[36:37], v[4:5], v[36:37]
	v_add_f64 v[174:175], v[174:175], v[162:163]
	v_add_f64 v[170:171], v[170:171], v[164:165]
	ds_load_b128 v[162:165], v1 offset:992
	v_fma_f64 v[168:169], v[168:169], v[30:31], v[172:173]
	v_fma_f64 v[166:167], v[166:167], v[30:31], -v[32:33]
	scratch_load_b128 v[30:33], off, off offset:528
	v_add_f64 v[172:173], v[174:175], v[178:179]
	v_add_f64 v[170:171], v[170:171], v[176:177]
	v_fma_f64 v[176:177], v[4:5], v[34:35], v[180:181]
	v_fma_f64 v[178:179], v[2:3], v[34:35], -v[36:37]
	scratch_load_b128 v[34:37], off, off offset:544
	ds_load_b128 v[2:5], v1 offset:1008
	s_waitcnt vmcnt(9) lgkmcnt(1)
	v_mul_f64 v[174:175], v[162:163], v[160:161]
	v_mul_f64 v[160:161], v[164:165], v[160:161]
	s_waitcnt vmcnt(8) lgkmcnt(0)
	v_mul_f64 v[180:181], v[2:3], v[40:41]
	v_mul_f64 v[40:41], v[4:5], v[40:41]
	v_add_f64 v[172:173], v[172:173], v[166:167]
	v_add_f64 v[170:171], v[170:171], v[168:169]
	ds_load_b128 v[166:169], v1 offset:1024
	v_fma_f64 v[164:165], v[164:165], v[158:159], v[174:175]
	v_fma_f64 v[162:163], v[162:163], v[158:159], -v[160:161]
	scratch_load_b128 v[158:161], off, off offset:560
	v_add_f64 v[172:173], v[172:173], v[178:179]
	v_add_f64 v[170:171], v[170:171], v[176:177]
	v_fma_f64 v[176:177], v[4:5], v[38:39], v[180:181]
	v_fma_f64 v[178:179], v[2:3], v[38:39], -v[40:41]
	scratch_load_b128 v[38:41], off, off offset:576
	ds_load_b128 v[2:5], v1 offset:1040
	s_waitcnt vmcnt(9) lgkmcnt(1)
	v_mul_f64 v[174:175], v[166:167], v[8:9]
	v_mul_f64 v[8:9], v[168:169], v[8:9]
	s_waitcnt vmcnt(8) lgkmcnt(0)
	v_mul_f64 v[180:181], v[2:3], v[12:13]
	v_mul_f64 v[12:13], v[4:5], v[12:13]
	v_add_f64 v[172:173], v[172:173], v[162:163]
	v_add_f64 v[170:171], v[170:171], v[164:165]
	ds_load_b128 v[162:165], v1 offset:1056
	v_fma_f64 v[168:169], v[168:169], v[6:7], v[174:175]
	v_fma_f64 v[6:7], v[166:167], v[6:7], -v[8:9]
	v_add_f64 v[8:9], v[172:173], v[178:179]
	v_add_f64 v[166:167], v[170:171], v[176:177]
	s_waitcnt vmcnt(7) lgkmcnt(0)
	v_mul_f64 v[170:171], v[162:163], v[16:17]
	v_mul_f64 v[16:17], v[164:165], v[16:17]
	v_fma_f64 v[172:173], v[4:5], v[10:11], v[180:181]
	v_fma_f64 v[10:11], v[2:3], v[10:11], -v[12:13]
	v_add_f64 v[12:13], v[8:9], v[6:7]
	v_add_f64 v[166:167], v[166:167], v[168:169]
	ds_load_b128 v[2:5], v1 offset:1072
	ds_load_b128 v[6:9], v1 offset:1088
	v_fma_f64 v[164:165], v[164:165], v[14:15], v[170:171]
	v_fma_f64 v[14:15], v[162:163], v[14:15], -v[16:17]
	s_waitcnt vmcnt(6) lgkmcnt(1)
	v_mul_f64 v[168:169], v[2:3], v[20:21]
	v_mul_f64 v[20:21], v[4:5], v[20:21]
	s_waitcnt vmcnt(5) lgkmcnt(0)
	v_mul_f64 v[16:17], v[6:7], v[24:25]
	v_mul_f64 v[24:25], v[8:9], v[24:25]
	v_add_f64 v[10:11], v[12:13], v[10:11]
	v_add_f64 v[12:13], v[166:167], v[172:173]
	v_fma_f64 v[162:163], v[4:5], v[18:19], v[168:169]
	v_fma_f64 v[18:19], v[2:3], v[18:19], -v[20:21]
	v_fma_f64 v[8:9], v[8:9], v[22:23], v[16:17]
	v_fma_f64 v[6:7], v[6:7], v[22:23], -v[24:25]
	v_add_f64 v[14:15], v[10:11], v[14:15]
	v_add_f64 v[20:21], v[12:13], v[164:165]
	ds_load_b128 v[2:5], v1 offset:1104
	ds_load_b128 v[10:13], v1 offset:1120
	s_waitcnt vmcnt(4) lgkmcnt(1)
	v_mul_f64 v[164:165], v[2:3], v[28:29]
	v_mul_f64 v[28:29], v[4:5], v[28:29]
	v_add_f64 v[14:15], v[14:15], v[18:19]
	v_add_f64 v[16:17], v[20:21], v[162:163]
	s_waitcnt vmcnt(3) lgkmcnt(0)
	v_mul_f64 v[18:19], v[10:11], v[32:33]
	v_mul_f64 v[20:21], v[12:13], v[32:33]
	v_fma_f64 v[22:23], v[4:5], v[26:27], v[164:165]
	v_fma_f64 v[24:25], v[2:3], v[26:27], -v[28:29]
	v_add_f64 v[14:15], v[14:15], v[6:7]
	v_add_f64 v[16:17], v[16:17], v[8:9]
	ds_load_b128 v[2:5], v1 offset:1136
	ds_load_b128 v[6:9], v1 offset:1152
	v_fma_f64 v[12:13], v[12:13], v[30:31], v[18:19]
	v_fma_f64 v[10:11], v[10:11], v[30:31], -v[20:21]
	s_waitcnt vmcnt(2) lgkmcnt(1)
	v_mul_f64 v[26:27], v[2:3], v[36:37]
	v_mul_f64 v[28:29], v[4:5], v[36:37]
	s_waitcnt vmcnt(1) lgkmcnt(0)
	v_mul_f64 v[18:19], v[6:7], v[160:161]
	v_mul_f64 v[20:21], v[8:9], v[160:161]
	v_add_f64 v[14:15], v[14:15], v[24:25]
	v_add_f64 v[16:17], v[16:17], v[22:23]
	v_fma_f64 v[22:23], v[4:5], v[34:35], v[26:27]
	v_fma_f64 v[24:25], v[2:3], v[34:35], -v[28:29]
	ds_load_b128 v[2:5], v1 offset:1168
	v_fma_f64 v[8:9], v[8:9], v[158:159], v[18:19]
	v_fma_f64 v[6:7], v[6:7], v[158:159], -v[20:21]
	v_add_f64 v[10:11], v[14:15], v[10:11]
	v_add_f64 v[12:13], v[16:17], v[12:13]
	s_waitcnt vmcnt(0) lgkmcnt(0)
	v_mul_f64 v[14:15], v[2:3], v[40:41]
	v_mul_f64 v[16:17], v[4:5], v[40:41]
	s_delay_alu instid0(VALU_DEP_4) | instskip(NEXT) | instid1(VALU_DEP_4)
	v_add_f64 v[10:11], v[10:11], v[24:25]
	v_add_f64 v[12:13], v[12:13], v[22:23]
	s_delay_alu instid0(VALU_DEP_4) | instskip(NEXT) | instid1(VALU_DEP_4)
	v_fma_f64 v[4:5], v[4:5], v[38:39], v[14:15]
	v_fma_f64 v[2:3], v[2:3], v[38:39], -v[16:17]
	s_delay_alu instid0(VALU_DEP_4) | instskip(NEXT) | instid1(VALU_DEP_4)
	v_add_f64 v[6:7], v[10:11], v[6:7]
	v_add_f64 v[8:9], v[12:13], v[8:9]
	s_delay_alu instid0(VALU_DEP_2) | instskip(NEXT) | instid1(VALU_DEP_2)
	v_add_f64 v[2:3], v[6:7], v[2:3]
	v_add_f64 v[4:5], v[8:9], v[4:5]
	s_delay_alu instid0(VALU_DEP_2) | instskip(NEXT) | instid1(VALU_DEP_2)
	v_add_f64 v[2:3], v[42:43], -v[2:3]
	v_add_f64 v[4:5], v[44:45], -v[4:5]
	scratch_store_b128 off, v[2:5], off offset:80
	v_cmpx_lt_u32_e32 4, v120
	s_cbranch_execz .LBB36_227
; %bb.226:
	scratch_load_b128 v[5:8], v121, off
	v_mov_b32_e32 v2, v1
	v_mov_b32_e32 v3, v1
	;; [unrolled: 1-line block ×3, first 2 shown]
	scratch_store_b128 off, v[1:4], off offset:64
	s_waitcnt vmcnt(0)
	ds_store_b128 v157, v[5:8]
.LBB36_227:
	s_or_b32 exec_lo, exec_lo, s2
	s_waitcnt lgkmcnt(0)
	s_waitcnt_vscnt null, 0x0
	s_barrier
	buffer_gl0_inv
	s_clause 0x8
	scratch_load_b128 v[2:5], off, off offset:80
	scratch_load_b128 v[6:9], off, off offset:96
	;; [unrolled: 1-line block ×9, first 2 shown]
	ds_load_b128 v[42:45], v1 offset:672
	ds_load_b128 v[38:41], v1 offset:688
	s_clause 0x1
	scratch_load_b128 v[158:161], off, off offset:64
	scratch_load_b128 v[162:165], off, off offset:224
	s_mov_b32 s2, exec_lo
	s_waitcnt vmcnt(10) lgkmcnt(1)
	v_mul_f64 v[166:167], v[44:45], v[4:5]
	v_mul_f64 v[4:5], v[42:43], v[4:5]
	s_waitcnt vmcnt(9) lgkmcnt(0)
	v_mul_f64 v[170:171], v[38:39], v[8:9]
	v_mul_f64 v[8:9], v[40:41], v[8:9]
	s_delay_alu instid0(VALU_DEP_4) | instskip(NEXT) | instid1(VALU_DEP_4)
	v_fma_f64 v[172:173], v[42:43], v[2:3], -v[166:167]
	v_fma_f64 v[174:175], v[44:45], v[2:3], v[4:5]
	ds_load_b128 v[2:5], v1 offset:704
	ds_load_b128 v[166:169], v1 offset:720
	scratch_load_b128 v[42:45], off, off offset:240
	v_fma_f64 v[40:41], v[40:41], v[6:7], v[170:171]
	v_fma_f64 v[38:39], v[38:39], v[6:7], -v[8:9]
	scratch_load_b128 v[6:9], off, off offset:256
	s_waitcnt vmcnt(10) lgkmcnt(1)
	v_mul_f64 v[176:177], v[2:3], v[12:13]
	v_mul_f64 v[12:13], v[4:5], v[12:13]
	v_add_f64 v[170:171], v[172:173], 0
	v_add_f64 v[172:173], v[174:175], 0
	s_waitcnt vmcnt(9) lgkmcnt(0)
	v_mul_f64 v[174:175], v[166:167], v[16:17]
	v_mul_f64 v[16:17], v[168:169], v[16:17]
	v_fma_f64 v[176:177], v[4:5], v[10:11], v[176:177]
	v_fma_f64 v[178:179], v[2:3], v[10:11], -v[12:13]
	ds_load_b128 v[2:5], v1 offset:736
	scratch_load_b128 v[10:13], off, off offset:272
	v_add_f64 v[170:171], v[170:171], v[38:39]
	v_add_f64 v[172:173], v[172:173], v[40:41]
	ds_load_b128 v[38:41], v1 offset:752
	v_fma_f64 v[168:169], v[168:169], v[14:15], v[174:175]
	v_fma_f64 v[166:167], v[166:167], v[14:15], -v[16:17]
	scratch_load_b128 v[14:17], off, off offset:288
	s_waitcnt vmcnt(10) lgkmcnt(1)
	v_mul_f64 v[180:181], v[2:3], v[20:21]
	v_mul_f64 v[20:21], v[4:5], v[20:21]
	s_waitcnt vmcnt(9) lgkmcnt(0)
	v_mul_f64 v[174:175], v[38:39], v[24:25]
	v_mul_f64 v[24:25], v[40:41], v[24:25]
	v_add_f64 v[170:171], v[170:171], v[178:179]
	v_add_f64 v[172:173], v[172:173], v[176:177]
	v_fma_f64 v[176:177], v[4:5], v[18:19], v[180:181]
	v_fma_f64 v[178:179], v[2:3], v[18:19], -v[20:21]
	ds_load_b128 v[2:5], v1 offset:768
	scratch_load_b128 v[18:21], off, off offset:304
	v_fma_f64 v[40:41], v[40:41], v[22:23], v[174:175]
	v_fma_f64 v[38:39], v[38:39], v[22:23], -v[24:25]
	scratch_load_b128 v[22:25], off, off offset:320
	v_add_f64 v[170:171], v[170:171], v[166:167]
	v_add_f64 v[172:173], v[172:173], v[168:169]
	ds_load_b128 v[166:169], v1 offset:784
	s_waitcnt vmcnt(10) lgkmcnt(1)
	v_mul_f64 v[180:181], v[2:3], v[28:29]
	v_mul_f64 v[28:29], v[4:5], v[28:29]
	s_waitcnt vmcnt(9) lgkmcnt(0)
	v_mul_f64 v[174:175], v[166:167], v[32:33]
	v_mul_f64 v[32:33], v[168:169], v[32:33]
	v_add_f64 v[170:171], v[170:171], v[178:179]
	v_add_f64 v[172:173], v[172:173], v[176:177]
	v_fma_f64 v[176:177], v[4:5], v[26:27], v[180:181]
	v_fma_f64 v[178:179], v[2:3], v[26:27], -v[28:29]
	ds_load_b128 v[2:5], v1 offset:800
	scratch_load_b128 v[26:29], off, off offset:336
	v_fma_f64 v[168:169], v[168:169], v[30:31], v[174:175]
	v_fma_f64 v[166:167], v[166:167], v[30:31], -v[32:33]
	scratch_load_b128 v[30:33], off, off offset:352
	v_add_f64 v[170:171], v[170:171], v[38:39]
	v_add_f64 v[172:173], v[172:173], v[40:41]
	ds_load_b128 v[38:41], v1 offset:816
	s_waitcnt vmcnt(10) lgkmcnt(1)
	v_mul_f64 v[180:181], v[2:3], v[36:37]
	v_mul_f64 v[36:37], v[4:5], v[36:37]
	s_waitcnt vmcnt(8) lgkmcnt(0)
	v_mul_f64 v[174:175], v[38:39], v[164:165]
	v_add_f64 v[170:171], v[170:171], v[178:179]
	v_add_f64 v[172:173], v[172:173], v[176:177]
	v_mul_f64 v[176:177], v[40:41], v[164:165]
	v_fma_f64 v[178:179], v[4:5], v[34:35], v[180:181]
	v_fma_f64 v[180:181], v[2:3], v[34:35], -v[36:37]
	ds_load_b128 v[2:5], v1 offset:832
	scratch_load_b128 v[34:37], off, off offset:368
	v_fma_f64 v[174:175], v[40:41], v[162:163], v[174:175]
	v_add_f64 v[170:171], v[170:171], v[166:167]
	v_add_f64 v[168:169], v[172:173], v[168:169]
	ds_load_b128 v[164:167], v1 offset:848
	v_fma_f64 v[162:163], v[38:39], v[162:163], -v[176:177]
	scratch_load_b128 v[38:41], off, off offset:384
	s_waitcnt vmcnt(9) lgkmcnt(1)
	v_mul_f64 v[172:173], v[2:3], v[44:45]
	v_mul_f64 v[44:45], v[4:5], v[44:45]
	s_waitcnt vmcnt(8) lgkmcnt(0)
	v_mul_f64 v[176:177], v[164:165], v[8:9]
	v_mul_f64 v[8:9], v[166:167], v[8:9]
	v_add_f64 v[170:171], v[170:171], v[180:181]
	v_add_f64 v[168:169], v[168:169], v[178:179]
	v_fma_f64 v[172:173], v[4:5], v[42:43], v[172:173]
	v_fma_f64 v[178:179], v[2:3], v[42:43], -v[44:45]
	ds_load_b128 v[2:5], v1 offset:864
	scratch_load_b128 v[42:45], off, off offset:400
	v_fma_f64 v[166:167], v[166:167], v[6:7], v[176:177]
	v_fma_f64 v[164:165], v[164:165], v[6:7], -v[8:9]
	scratch_load_b128 v[6:9], off, off offset:416
	v_add_f64 v[162:163], v[170:171], v[162:163]
	v_add_f64 v[174:175], v[168:169], v[174:175]
	ds_load_b128 v[168:171], v1 offset:880
	s_waitcnt vmcnt(9) lgkmcnt(1)
	v_mul_f64 v[180:181], v[2:3], v[12:13]
	v_mul_f64 v[12:13], v[4:5], v[12:13]
	v_add_f64 v[162:163], v[162:163], v[178:179]
	v_add_f64 v[172:173], v[174:175], v[172:173]
	s_waitcnt vmcnt(8) lgkmcnt(0)
	v_mul_f64 v[174:175], v[168:169], v[16:17]
	v_mul_f64 v[16:17], v[170:171], v[16:17]
	v_fma_f64 v[176:177], v[4:5], v[10:11], v[180:181]
	v_fma_f64 v[178:179], v[2:3], v[10:11], -v[12:13]
	ds_load_b128 v[2:5], v1 offset:896
	scratch_load_b128 v[10:13], off, off offset:432
	v_add_f64 v[180:181], v[162:163], v[164:165]
	v_add_f64 v[166:167], v[172:173], v[166:167]
	ds_load_b128 v[162:165], v1 offset:912
	s_waitcnt vmcnt(8) lgkmcnt(1)
	v_mul_f64 v[172:173], v[2:3], v[20:21]
	v_mul_f64 v[20:21], v[4:5], v[20:21]
	v_fma_f64 v[170:171], v[170:171], v[14:15], v[174:175]
	v_fma_f64 v[168:169], v[168:169], v[14:15], -v[16:17]
	scratch_load_b128 v[14:17], off, off offset:448
	v_add_f64 v[174:175], v[180:181], v[178:179]
	v_add_f64 v[166:167], v[166:167], v[176:177]
	s_waitcnt vmcnt(8) lgkmcnt(0)
	v_mul_f64 v[176:177], v[162:163], v[24:25]
	v_mul_f64 v[24:25], v[164:165], v[24:25]
	v_fma_f64 v[172:173], v[4:5], v[18:19], v[172:173]
	v_fma_f64 v[178:179], v[2:3], v[18:19], -v[20:21]
	ds_load_b128 v[2:5], v1 offset:928
	scratch_load_b128 v[18:21], off, off offset:464
	v_add_f64 v[174:175], v[174:175], v[168:169]
	v_add_f64 v[170:171], v[166:167], v[170:171]
	ds_load_b128 v[166:169], v1 offset:944
	s_waitcnt vmcnt(8) lgkmcnt(1)
	v_mul_f64 v[180:181], v[2:3], v[28:29]
	v_mul_f64 v[28:29], v[4:5], v[28:29]
	v_fma_f64 v[164:165], v[164:165], v[22:23], v[176:177]
	v_fma_f64 v[162:163], v[162:163], v[22:23], -v[24:25]
	scratch_load_b128 v[22:25], off, off offset:480
	;; [unrolled: 18-line block ×4, first 2 shown]
	s_waitcnt vmcnt(8) lgkmcnt(0)
	v_mul_f64 v[174:175], v[166:167], v[8:9]
	v_mul_f64 v[8:9], v[168:169], v[8:9]
	v_add_f64 v[172:173], v[172:173], v[178:179]
	v_add_f64 v[170:171], v[170:171], v[176:177]
	v_fma_f64 v[176:177], v[4:5], v[42:43], v[180:181]
	v_fma_f64 v[178:179], v[2:3], v[42:43], -v[44:45]
	ds_load_b128 v[2:5], v1 offset:1024
	scratch_load_b128 v[42:45], off, off offset:560
	v_fma_f64 v[168:169], v[168:169], v[6:7], v[174:175]
	v_fma_f64 v[166:167], v[166:167], v[6:7], -v[8:9]
	scratch_load_b128 v[6:9], off, off offset:576
	v_add_f64 v[172:173], v[172:173], v[162:163]
	v_add_f64 v[170:171], v[170:171], v[164:165]
	ds_load_b128 v[162:165], v1 offset:1040
	s_waitcnt vmcnt(9) lgkmcnt(1)
	v_mul_f64 v[180:181], v[2:3], v[12:13]
	v_mul_f64 v[12:13], v[4:5], v[12:13]
	s_waitcnt vmcnt(8) lgkmcnt(0)
	v_mul_f64 v[174:175], v[162:163], v[16:17]
	v_mul_f64 v[16:17], v[164:165], v[16:17]
	v_add_f64 v[172:173], v[172:173], v[178:179]
	v_add_f64 v[170:171], v[170:171], v[176:177]
	v_fma_f64 v[176:177], v[4:5], v[10:11], v[180:181]
	v_fma_f64 v[178:179], v[2:3], v[10:11], -v[12:13]
	ds_load_b128 v[2:5], v1 offset:1056
	ds_load_b128 v[10:13], v1 offset:1072
	v_fma_f64 v[164:165], v[164:165], v[14:15], v[174:175]
	v_fma_f64 v[14:15], v[162:163], v[14:15], -v[16:17]
	v_add_f64 v[166:167], v[172:173], v[166:167]
	v_add_f64 v[168:169], v[170:171], v[168:169]
	s_waitcnt vmcnt(7) lgkmcnt(1)
	v_mul_f64 v[170:171], v[2:3], v[20:21]
	v_mul_f64 v[20:21], v[4:5], v[20:21]
	s_delay_alu instid0(VALU_DEP_4) | instskip(NEXT) | instid1(VALU_DEP_4)
	v_add_f64 v[16:17], v[166:167], v[178:179]
	v_add_f64 v[162:163], v[168:169], v[176:177]
	s_waitcnt vmcnt(6) lgkmcnt(0)
	v_mul_f64 v[166:167], v[10:11], v[24:25]
	v_mul_f64 v[24:25], v[12:13], v[24:25]
	v_fma_f64 v[168:169], v[4:5], v[18:19], v[170:171]
	v_fma_f64 v[18:19], v[2:3], v[18:19], -v[20:21]
	v_add_f64 v[20:21], v[16:17], v[14:15]
	v_add_f64 v[162:163], v[162:163], v[164:165]
	ds_load_b128 v[2:5], v1 offset:1088
	ds_load_b128 v[14:17], v1 offset:1104
	v_fma_f64 v[12:13], v[12:13], v[22:23], v[166:167]
	v_fma_f64 v[10:11], v[10:11], v[22:23], -v[24:25]
	s_waitcnt vmcnt(5) lgkmcnt(1)
	v_mul_f64 v[164:165], v[2:3], v[28:29]
	v_mul_f64 v[28:29], v[4:5], v[28:29]
	s_waitcnt vmcnt(4) lgkmcnt(0)
	v_mul_f64 v[22:23], v[14:15], v[32:33]
	v_mul_f64 v[24:25], v[16:17], v[32:33]
	v_add_f64 v[18:19], v[20:21], v[18:19]
	v_add_f64 v[20:21], v[162:163], v[168:169]
	v_fma_f64 v[32:33], v[4:5], v[26:27], v[164:165]
	v_fma_f64 v[26:27], v[2:3], v[26:27], -v[28:29]
	v_fma_f64 v[16:17], v[16:17], v[30:31], v[22:23]
	v_fma_f64 v[14:15], v[14:15], v[30:31], -v[24:25]
	v_add_f64 v[18:19], v[18:19], v[10:11]
	v_add_f64 v[20:21], v[20:21], v[12:13]
	ds_load_b128 v[2:5], v1 offset:1120
	ds_load_b128 v[10:13], v1 offset:1136
	s_waitcnt vmcnt(3) lgkmcnt(1)
	v_mul_f64 v[28:29], v[2:3], v[36:37]
	v_mul_f64 v[36:37], v[4:5], v[36:37]
	s_waitcnt vmcnt(2) lgkmcnt(0)
	v_mul_f64 v[22:23], v[10:11], v[40:41]
	v_mul_f64 v[24:25], v[12:13], v[40:41]
	v_add_f64 v[18:19], v[18:19], v[26:27]
	v_add_f64 v[20:21], v[20:21], v[32:33]
	v_fma_f64 v[26:27], v[4:5], v[34:35], v[28:29]
	v_fma_f64 v[28:29], v[2:3], v[34:35], -v[36:37]
	v_fma_f64 v[12:13], v[12:13], v[38:39], v[22:23]
	v_fma_f64 v[10:11], v[10:11], v[38:39], -v[24:25]
	v_add_f64 v[18:19], v[18:19], v[14:15]
	v_add_f64 v[20:21], v[20:21], v[16:17]
	ds_load_b128 v[2:5], v1 offset:1152
	ds_load_b128 v[14:17], v1 offset:1168
	s_waitcnt vmcnt(1) lgkmcnt(1)
	v_mul_f64 v[30:31], v[2:3], v[44:45]
	v_mul_f64 v[32:33], v[4:5], v[44:45]
	s_waitcnt vmcnt(0) lgkmcnt(0)
	v_mul_f64 v[22:23], v[14:15], v[8:9]
	v_mul_f64 v[8:9], v[16:17], v[8:9]
	v_add_f64 v[18:19], v[18:19], v[28:29]
	v_add_f64 v[20:21], v[20:21], v[26:27]
	v_fma_f64 v[4:5], v[4:5], v[42:43], v[30:31]
	v_fma_f64 v[1:2], v[2:3], v[42:43], -v[32:33]
	v_fma_f64 v[16:17], v[16:17], v[6:7], v[22:23]
	v_fma_f64 v[6:7], v[14:15], v[6:7], -v[8:9]
	v_add_f64 v[10:11], v[18:19], v[10:11]
	v_add_f64 v[12:13], v[20:21], v[12:13]
	s_delay_alu instid0(VALU_DEP_2) | instskip(NEXT) | instid1(VALU_DEP_2)
	v_add_f64 v[1:2], v[10:11], v[1:2]
	v_add_f64 v[3:4], v[12:13], v[4:5]
	s_delay_alu instid0(VALU_DEP_2) | instskip(NEXT) | instid1(VALU_DEP_2)
	;; [unrolled: 3-line block ×3, first 2 shown]
	v_add_f64 v[1:2], v[158:159], -v[1:2]
	v_add_f64 v[3:4], v[160:161], -v[3:4]
	scratch_store_b128 off, v[1:4], off offset:64
	v_cmpx_lt_u32_e32 3, v120
	s_cbranch_execz .LBB36_229
; %bb.228:
	scratch_load_b128 v[1:4], v122, off
	v_mov_b32_e32 v5, 0
	s_delay_alu instid0(VALU_DEP_1)
	v_mov_b32_e32 v6, v5
	v_mov_b32_e32 v7, v5
	;; [unrolled: 1-line block ×3, first 2 shown]
	scratch_store_b128 off, v[5:8], off offset:48
	s_waitcnt vmcnt(0)
	ds_store_b128 v157, v[1:4]
.LBB36_229:
	s_or_b32 exec_lo, exec_lo, s2
	s_waitcnt lgkmcnt(0)
	s_waitcnt_vscnt null, 0x0
	s_barrier
	buffer_gl0_inv
	s_clause 0x7
	scratch_load_b128 v[2:5], off, off offset:64
	scratch_load_b128 v[6:9], off, off offset:80
	;; [unrolled: 1-line block ×8, first 2 shown]
	v_mov_b32_e32 v1, 0
	s_mov_b32 s2, exec_lo
	ds_load_b128 v[38:41], v1 offset:656
	s_clause 0x1
	scratch_load_b128 v[34:37], off, off offset:192
	scratch_load_b128 v[42:45], off, off offset:48
	ds_load_b128 v[158:161], v1 offset:672
	scratch_load_b128 v[162:165], off, off offset:208
	s_waitcnt vmcnt(10) lgkmcnt(1)
	v_mul_f64 v[166:167], v[40:41], v[4:5]
	v_mul_f64 v[4:5], v[38:39], v[4:5]
	s_delay_alu instid0(VALU_DEP_2) | instskip(NEXT) | instid1(VALU_DEP_2)
	v_fma_f64 v[172:173], v[38:39], v[2:3], -v[166:167]
	v_fma_f64 v[174:175], v[40:41], v[2:3], v[4:5]
	scratch_load_b128 v[38:41], off, off offset:224
	ds_load_b128 v[2:5], v1 offset:688
	s_waitcnt vmcnt(10) lgkmcnt(1)
	v_mul_f64 v[170:171], v[158:159], v[8:9]
	v_mul_f64 v[8:9], v[160:161], v[8:9]
	ds_load_b128 v[166:169], v1 offset:704
	s_waitcnt vmcnt(9) lgkmcnt(1)
	v_mul_f64 v[176:177], v[2:3], v[12:13]
	v_mul_f64 v[12:13], v[4:5], v[12:13]
	v_fma_f64 v[160:161], v[160:161], v[6:7], v[170:171]
	v_fma_f64 v[158:159], v[158:159], v[6:7], -v[8:9]
	v_add_f64 v[170:171], v[172:173], 0
	v_add_f64 v[172:173], v[174:175], 0
	scratch_load_b128 v[6:9], off, off offset:240
	v_fma_f64 v[176:177], v[4:5], v[10:11], v[176:177]
	v_fma_f64 v[178:179], v[2:3], v[10:11], -v[12:13]
	scratch_load_b128 v[10:13], off, off offset:256
	ds_load_b128 v[2:5], v1 offset:720
	s_waitcnt vmcnt(10) lgkmcnt(1)
	v_mul_f64 v[174:175], v[166:167], v[16:17]
	v_mul_f64 v[16:17], v[168:169], v[16:17]
	v_add_f64 v[170:171], v[170:171], v[158:159]
	v_add_f64 v[172:173], v[172:173], v[160:161]
	s_waitcnt vmcnt(9) lgkmcnt(0)
	v_mul_f64 v[180:181], v[2:3], v[20:21]
	v_mul_f64 v[20:21], v[4:5], v[20:21]
	ds_load_b128 v[158:161], v1 offset:736
	v_fma_f64 v[168:169], v[168:169], v[14:15], v[174:175]
	v_fma_f64 v[166:167], v[166:167], v[14:15], -v[16:17]
	scratch_load_b128 v[14:17], off, off offset:272
	v_add_f64 v[170:171], v[170:171], v[178:179]
	v_add_f64 v[172:173], v[172:173], v[176:177]
	v_fma_f64 v[176:177], v[4:5], v[18:19], v[180:181]
	v_fma_f64 v[178:179], v[2:3], v[18:19], -v[20:21]
	scratch_load_b128 v[18:21], off, off offset:288
	ds_load_b128 v[2:5], v1 offset:752
	s_waitcnt vmcnt(10) lgkmcnt(1)
	v_mul_f64 v[174:175], v[158:159], v[24:25]
	v_mul_f64 v[24:25], v[160:161], v[24:25]
	s_waitcnt vmcnt(9) lgkmcnt(0)
	v_mul_f64 v[180:181], v[2:3], v[28:29]
	v_mul_f64 v[28:29], v[4:5], v[28:29]
	v_add_f64 v[170:171], v[170:171], v[166:167]
	v_add_f64 v[172:173], v[172:173], v[168:169]
	ds_load_b128 v[166:169], v1 offset:768
	v_fma_f64 v[160:161], v[160:161], v[22:23], v[174:175]
	v_fma_f64 v[158:159], v[158:159], v[22:23], -v[24:25]
	scratch_load_b128 v[22:25], off, off offset:304
	v_add_f64 v[170:171], v[170:171], v[178:179]
	v_add_f64 v[172:173], v[172:173], v[176:177]
	v_fma_f64 v[176:177], v[4:5], v[26:27], v[180:181]
	v_fma_f64 v[178:179], v[2:3], v[26:27], -v[28:29]
	scratch_load_b128 v[26:29], off, off offset:320
	ds_load_b128 v[2:5], v1 offset:784
	s_waitcnt vmcnt(10) lgkmcnt(1)
	v_mul_f64 v[174:175], v[166:167], v[32:33]
	v_mul_f64 v[32:33], v[168:169], v[32:33]
	s_waitcnt vmcnt(9) lgkmcnt(0)
	v_mul_f64 v[180:181], v[2:3], v[36:37]
	v_mul_f64 v[36:37], v[4:5], v[36:37]
	v_add_f64 v[170:171], v[170:171], v[158:159]
	v_add_f64 v[172:173], v[172:173], v[160:161]
	ds_load_b128 v[158:161], v1 offset:800
	v_fma_f64 v[168:169], v[168:169], v[30:31], v[174:175]
	v_fma_f64 v[166:167], v[166:167], v[30:31], -v[32:33]
	scratch_load_b128 v[30:33], off, off offset:336
	v_add_f64 v[170:171], v[170:171], v[178:179]
	v_add_f64 v[172:173], v[172:173], v[176:177]
	v_fma_f64 v[178:179], v[4:5], v[34:35], v[180:181]
	v_fma_f64 v[180:181], v[2:3], v[34:35], -v[36:37]
	scratch_load_b128 v[34:37], off, off offset:352
	ds_load_b128 v[2:5], v1 offset:816
	s_waitcnt vmcnt(9) lgkmcnt(1)
	v_mul_f64 v[174:175], v[158:159], v[164:165]
	v_mul_f64 v[176:177], v[160:161], v[164:165]
	v_add_f64 v[170:171], v[170:171], v[166:167]
	v_add_f64 v[168:169], v[172:173], v[168:169]
	ds_load_b128 v[164:167], v1 offset:832
	v_fma_f64 v[174:175], v[160:161], v[162:163], v[174:175]
	v_fma_f64 v[162:163], v[158:159], v[162:163], -v[176:177]
	scratch_load_b128 v[158:161], off, off offset:368
	s_waitcnt vmcnt(9) lgkmcnt(1)
	v_mul_f64 v[172:173], v[2:3], v[40:41]
	v_mul_f64 v[40:41], v[4:5], v[40:41]
	v_add_f64 v[170:171], v[170:171], v[180:181]
	v_add_f64 v[168:169], v[168:169], v[178:179]
	s_delay_alu instid0(VALU_DEP_4) | instskip(NEXT) | instid1(VALU_DEP_4)
	v_fma_f64 v[172:173], v[4:5], v[38:39], v[172:173]
	v_fma_f64 v[178:179], v[2:3], v[38:39], -v[40:41]
	scratch_load_b128 v[38:41], off, off offset:384
	ds_load_b128 v[2:5], v1 offset:848
	s_waitcnt vmcnt(9) lgkmcnt(1)
	v_mul_f64 v[176:177], v[164:165], v[8:9]
	v_mul_f64 v[8:9], v[166:167], v[8:9]
	s_waitcnt vmcnt(8) lgkmcnt(0)
	v_mul_f64 v[180:181], v[2:3], v[12:13]
	v_mul_f64 v[12:13], v[4:5], v[12:13]
	v_add_f64 v[162:163], v[170:171], v[162:163]
	v_add_f64 v[174:175], v[168:169], v[174:175]
	ds_load_b128 v[168:171], v1 offset:864
	v_fma_f64 v[166:167], v[166:167], v[6:7], v[176:177]
	v_fma_f64 v[164:165], v[164:165], v[6:7], -v[8:9]
	scratch_load_b128 v[6:9], off, off offset:400
	v_fma_f64 v[176:177], v[4:5], v[10:11], v[180:181]
	v_add_f64 v[162:163], v[162:163], v[178:179]
	v_add_f64 v[172:173], v[174:175], v[172:173]
	v_fma_f64 v[178:179], v[2:3], v[10:11], -v[12:13]
	scratch_load_b128 v[10:13], off, off offset:416
	ds_load_b128 v[2:5], v1 offset:880
	s_waitcnt vmcnt(9) lgkmcnt(1)
	v_mul_f64 v[174:175], v[168:169], v[16:17]
	v_mul_f64 v[16:17], v[170:171], v[16:17]
	v_add_f64 v[180:181], v[162:163], v[164:165]
	v_add_f64 v[166:167], v[172:173], v[166:167]
	s_waitcnt vmcnt(8) lgkmcnt(0)
	v_mul_f64 v[172:173], v[2:3], v[20:21]
	v_mul_f64 v[20:21], v[4:5], v[20:21]
	ds_load_b128 v[162:165], v1 offset:896
	v_fma_f64 v[170:171], v[170:171], v[14:15], v[174:175]
	v_fma_f64 v[168:169], v[168:169], v[14:15], -v[16:17]
	scratch_load_b128 v[14:17], off, off offset:432
	v_add_f64 v[174:175], v[180:181], v[178:179]
	v_add_f64 v[166:167], v[166:167], v[176:177]
	v_fma_f64 v[172:173], v[4:5], v[18:19], v[172:173]
	v_fma_f64 v[178:179], v[2:3], v[18:19], -v[20:21]
	scratch_load_b128 v[18:21], off, off offset:448
	ds_load_b128 v[2:5], v1 offset:912
	s_waitcnt vmcnt(9) lgkmcnt(1)
	v_mul_f64 v[176:177], v[162:163], v[24:25]
	v_mul_f64 v[24:25], v[164:165], v[24:25]
	s_waitcnt vmcnt(8) lgkmcnt(0)
	v_mul_f64 v[180:181], v[2:3], v[28:29]
	v_mul_f64 v[28:29], v[4:5], v[28:29]
	v_add_f64 v[174:175], v[174:175], v[168:169]
	v_add_f64 v[170:171], v[166:167], v[170:171]
	ds_load_b128 v[166:169], v1 offset:928
	v_fma_f64 v[164:165], v[164:165], v[22:23], v[176:177]
	v_fma_f64 v[162:163], v[162:163], v[22:23], -v[24:25]
	scratch_load_b128 v[22:25], off, off offset:464
	v_fma_f64 v[176:177], v[4:5], v[26:27], v[180:181]
	v_add_f64 v[174:175], v[174:175], v[178:179]
	v_add_f64 v[170:171], v[170:171], v[172:173]
	v_fma_f64 v[178:179], v[2:3], v[26:27], -v[28:29]
	scratch_load_b128 v[26:29], off, off offset:480
	ds_load_b128 v[2:5], v1 offset:944
	s_waitcnt vmcnt(9) lgkmcnt(1)
	v_mul_f64 v[172:173], v[166:167], v[32:33]
	v_mul_f64 v[32:33], v[168:169], v[32:33]
	s_waitcnt vmcnt(8) lgkmcnt(0)
	v_mul_f64 v[180:181], v[2:3], v[36:37]
	v_mul_f64 v[36:37], v[4:5], v[36:37]
	v_add_f64 v[174:175], v[174:175], v[162:163]
	v_add_f64 v[170:171], v[170:171], v[164:165]
	ds_load_b128 v[162:165], v1 offset:960
	v_fma_f64 v[168:169], v[168:169], v[30:31], v[172:173]
	v_fma_f64 v[166:167], v[166:167], v[30:31], -v[32:33]
	scratch_load_b128 v[30:33], off, off offset:496
	v_add_f64 v[172:173], v[174:175], v[178:179]
	v_add_f64 v[170:171], v[170:171], v[176:177]
	v_fma_f64 v[176:177], v[4:5], v[34:35], v[180:181]
	v_fma_f64 v[178:179], v[2:3], v[34:35], -v[36:37]
	scratch_load_b128 v[34:37], off, off offset:512
	ds_load_b128 v[2:5], v1 offset:976
	s_waitcnt vmcnt(9) lgkmcnt(1)
	v_mul_f64 v[174:175], v[162:163], v[160:161]
	v_mul_f64 v[160:161], v[164:165], v[160:161]
	s_waitcnt vmcnt(8) lgkmcnt(0)
	v_mul_f64 v[180:181], v[2:3], v[40:41]
	v_mul_f64 v[40:41], v[4:5], v[40:41]
	v_add_f64 v[172:173], v[172:173], v[166:167]
	v_add_f64 v[170:171], v[170:171], v[168:169]
	ds_load_b128 v[166:169], v1 offset:992
	v_fma_f64 v[164:165], v[164:165], v[158:159], v[174:175]
	v_fma_f64 v[162:163], v[162:163], v[158:159], -v[160:161]
	scratch_load_b128 v[158:161], off, off offset:528
	v_add_f64 v[172:173], v[172:173], v[178:179]
	v_add_f64 v[170:171], v[170:171], v[176:177]
	v_fma_f64 v[176:177], v[4:5], v[38:39], v[180:181]
	;; [unrolled: 18-line block ×3, first 2 shown]
	v_fma_f64 v[178:179], v[2:3], v[10:11], -v[12:13]
	scratch_load_b128 v[10:13], off, off offset:576
	ds_load_b128 v[2:5], v1 offset:1040
	s_waitcnt vmcnt(9) lgkmcnt(1)
	v_mul_f64 v[174:175], v[162:163], v[16:17]
	v_mul_f64 v[16:17], v[164:165], v[16:17]
	s_waitcnt vmcnt(8) lgkmcnt(0)
	v_mul_f64 v[180:181], v[2:3], v[20:21]
	v_mul_f64 v[20:21], v[4:5], v[20:21]
	v_add_f64 v[172:173], v[172:173], v[166:167]
	v_add_f64 v[170:171], v[170:171], v[168:169]
	ds_load_b128 v[166:169], v1 offset:1056
	v_fma_f64 v[164:165], v[164:165], v[14:15], v[174:175]
	v_fma_f64 v[14:15], v[162:163], v[14:15], -v[16:17]
	v_add_f64 v[16:17], v[172:173], v[178:179]
	v_add_f64 v[162:163], v[170:171], v[176:177]
	s_waitcnt vmcnt(7) lgkmcnt(0)
	v_mul_f64 v[170:171], v[166:167], v[24:25]
	v_mul_f64 v[24:25], v[168:169], v[24:25]
	v_fma_f64 v[172:173], v[4:5], v[18:19], v[180:181]
	v_fma_f64 v[18:19], v[2:3], v[18:19], -v[20:21]
	v_add_f64 v[20:21], v[16:17], v[14:15]
	v_add_f64 v[162:163], v[162:163], v[164:165]
	ds_load_b128 v[2:5], v1 offset:1072
	ds_load_b128 v[14:17], v1 offset:1088
	v_fma_f64 v[168:169], v[168:169], v[22:23], v[170:171]
	v_fma_f64 v[22:23], v[166:167], v[22:23], -v[24:25]
	s_waitcnt vmcnt(6) lgkmcnt(1)
	v_mul_f64 v[164:165], v[2:3], v[28:29]
	v_mul_f64 v[28:29], v[4:5], v[28:29]
	s_waitcnt vmcnt(5) lgkmcnt(0)
	v_mul_f64 v[24:25], v[14:15], v[32:33]
	v_mul_f64 v[32:33], v[16:17], v[32:33]
	v_add_f64 v[18:19], v[20:21], v[18:19]
	v_add_f64 v[20:21], v[162:163], v[172:173]
	v_fma_f64 v[162:163], v[4:5], v[26:27], v[164:165]
	v_fma_f64 v[26:27], v[2:3], v[26:27], -v[28:29]
	v_fma_f64 v[16:17], v[16:17], v[30:31], v[24:25]
	v_fma_f64 v[14:15], v[14:15], v[30:31], -v[32:33]
	v_add_f64 v[22:23], v[18:19], v[22:23]
	v_add_f64 v[28:29], v[20:21], v[168:169]
	ds_load_b128 v[2:5], v1 offset:1104
	ds_load_b128 v[18:21], v1 offset:1120
	s_waitcnt vmcnt(4) lgkmcnt(1)
	v_mul_f64 v[164:165], v[2:3], v[36:37]
	v_mul_f64 v[36:37], v[4:5], v[36:37]
	v_add_f64 v[22:23], v[22:23], v[26:27]
	v_add_f64 v[24:25], v[28:29], v[162:163]
	s_waitcnt vmcnt(3) lgkmcnt(0)
	v_mul_f64 v[26:27], v[18:19], v[160:161]
	v_mul_f64 v[28:29], v[20:21], v[160:161]
	v_fma_f64 v[30:31], v[4:5], v[34:35], v[164:165]
	v_fma_f64 v[32:33], v[2:3], v[34:35], -v[36:37]
	v_add_f64 v[22:23], v[22:23], v[14:15]
	v_add_f64 v[24:25], v[24:25], v[16:17]
	ds_load_b128 v[2:5], v1 offset:1136
	ds_load_b128 v[14:17], v1 offset:1152
	v_fma_f64 v[20:21], v[20:21], v[158:159], v[26:27]
	v_fma_f64 v[18:19], v[18:19], v[158:159], -v[28:29]
	s_waitcnt vmcnt(2) lgkmcnt(1)
	v_mul_f64 v[34:35], v[2:3], v[40:41]
	v_mul_f64 v[36:37], v[4:5], v[40:41]
	s_waitcnt vmcnt(1) lgkmcnt(0)
	v_mul_f64 v[26:27], v[14:15], v[8:9]
	v_mul_f64 v[8:9], v[16:17], v[8:9]
	v_add_f64 v[22:23], v[22:23], v[32:33]
	v_add_f64 v[24:25], v[24:25], v[30:31]
	v_fma_f64 v[28:29], v[4:5], v[38:39], v[34:35]
	v_fma_f64 v[30:31], v[2:3], v[38:39], -v[36:37]
	ds_load_b128 v[2:5], v1 offset:1168
	v_fma_f64 v[16:17], v[16:17], v[6:7], v[26:27]
	v_fma_f64 v[6:7], v[14:15], v[6:7], -v[8:9]
	v_add_f64 v[18:19], v[22:23], v[18:19]
	v_add_f64 v[20:21], v[24:25], v[20:21]
	s_waitcnt vmcnt(0) lgkmcnt(0)
	v_mul_f64 v[22:23], v[2:3], v[12:13]
	v_mul_f64 v[12:13], v[4:5], v[12:13]
	s_delay_alu instid0(VALU_DEP_4) | instskip(NEXT) | instid1(VALU_DEP_4)
	v_add_f64 v[8:9], v[18:19], v[30:31]
	v_add_f64 v[14:15], v[20:21], v[28:29]
	s_delay_alu instid0(VALU_DEP_4) | instskip(NEXT) | instid1(VALU_DEP_4)
	v_fma_f64 v[4:5], v[4:5], v[10:11], v[22:23]
	v_fma_f64 v[2:3], v[2:3], v[10:11], -v[12:13]
	s_delay_alu instid0(VALU_DEP_4) | instskip(NEXT) | instid1(VALU_DEP_4)
	v_add_f64 v[6:7], v[8:9], v[6:7]
	v_add_f64 v[8:9], v[14:15], v[16:17]
	s_delay_alu instid0(VALU_DEP_2) | instskip(NEXT) | instid1(VALU_DEP_2)
	v_add_f64 v[2:3], v[6:7], v[2:3]
	v_add_f64 v[4:5], v[8:9], v[4:5]
	s_delay_alu instid0(VALU_DEP_2) | instskip(NEXT) | instid1(VALU_DEP_2)
	v_add_f64 v[2:3], v[42:43], -v[2:3]
	v_add_f64 v[4:5], v[44:45], -v[4:5]
	scratch_store_b128 off, v[2:5], off offset:48
	v_cmpx_lt_u32_e32 2, v120
	s_cbranch_execz .LBB36_231
; %bb.230:
	scratch_load_b128 v[5:8], v123, off
	v_mov_b32_e32 v2, v1
	v_mov_b32_e32 v3, v1
	;; [unrolled: 1-line block ×3, first 2 shown]
	scratch_store_b128 off, v[1:4], off offset:32
	s_waitcnt vmcnt(0)
	ds_store_b128 v157, v[5:8]
.LBB36_231:
	s_or_b32 exec_lo, exec_lo, s2
	s_waitcnt lgkmcnt(0)
	s_waitcnt_vscnt null, 0x0
	s_barrier
	buffer_gl0_inv
	s_clause 0x8
	scratch_load_b128 v[2:5], off, off offset:48
	scratch_load_b128 v[6:9], off, off offset:64
	;; [unrolled: 1-line block ×9, first 2 shown]
	ds_load_b128 v[42:45], v1 offset:640
	ds_load_b128 v[38:41], v1 offset:656
	s_clause 0x1
	scratch_load_b128 v[158:161], off, off offset:32
	scratch_load_b128 v[162:165], off, off offset:192
	s_mov_b32 s2, exec_lo
	s_waitcnt vmcnt(10) lgkmcnt(1)
	v_mul_f64 v[166:167], v[44:45], v[4:5]
	v_mul_f64 v[4:5], v[42:43], v[4:5]
	s_waitcnt vmcnt(9) lgkmcnt(0)
	v_mul_f64 v[170:171], v[38:39], v[8:9]
	v_mul_f64 v[8:9], v[40:41], v[8:9]
	s_delay_alu instid0(VALU_DEP_4) | instskip(NEXT) | instid1(VALU_DEP_4)
	v_fma_f64 v[172:173], v[42:43], v[2:3], -v[166:167]
	v_fma_f64 v[174:175], v[44:45], v[2:3], v[4:5]
	ds_load_b128 v[2:5], v1 offset:672
	ds_load_b128 v[166:169], v1 offset:688
	scratch_load_b128 v[42:45], off, off offset:208
	v_fma_f64 v[40:41], v[40:41], v[6:7], v[170:171]
	v_fma_f64 v[38:39], v[38:39], v[6:7], -v[8:9]
	scratch_load_b128 v[6:9], off, off offset:224
	s_waitcnt vmcnt(10) lgkmcnt(1)
	v_mul_f64 v[176:177], v[2:3], v[12:13]
	v_mul_f64 v[12:13], v[4:5], v[12:13]
	v_add_f64 v[170:171], v[172:173], 0
	v_add_f64 v[172:173], v[174:175], 0
	s_waitcnt vmcnt(9) lgkmcnt(0)
	v_mul_f64 v[174:175], v[166:167], v[16:17]
	v_mul_f64 v[16:17], v[168:169], v[16:17]
	v_fma_f64 v[176:177], v[4:5], v[10:11], v[176:177]
	v_fma_f64 v[178:179], v[2:3], v[10:11], -v[12:13]
	ds_load_b128 v[2:5], v1 offset:704
	scratch_load_b128 v[10:13], off, off offset:240
	v_add_f64 v[170:171], v[170:171], v[38:39]
	v_add_f64 v[172:173], v[172:173], v[40:41]
	ds_load_b128 v[38:41], v1 offset:720
	v_fma_f64 v[168:169], v[168:169], v[14:15], v[174:175]
	v_fma_f64 v[166:167], v[166:167], v[14:15], -v[16:17]
	scratch_load_b128 v[14:17], off, off offset:256
	s_waitcnt vmcnt(10) lgkmcnt(1)
	v_mul_f64 v[180:181], v[2:3], v[20:21]
	v_mul_f64 v[20:21], v[4:5], v[20:21]
	s_waitcnt vmcnt(9) lgkmcnt(0)
	v_mul_f64 v[174:175], v[38:39], v[24:25]
	v_mul_f64 v[24:25], v[40:41], v[24:25]
	v_add_f64 v[170:171], v[170:171], v[178:179]
	v_add_f64 v[172:173], v[172:173], v[176:177]
	v_fma_f64 v[176:177], v[4:5], v[18:19], v[180:181]
	v_fma_f64 v[178:179], v[2:3], v[18:19], -v[20:21]
	ds_load_b128 v[2:5], v1 offset:736
	scratch_load_b128 v[18:21], off, off offset:272
	v_fma_f64 v[40:41], v[40:41], v[22:23], v[174:175]
	v_fma_f64 v[38:39], v[38:39], v[22:23], -v[24:25]
	scratch_load_b128 v[22:25], off, off offset:288
	v_add_f64 v[170:171], v[170:171], v[166:167]
	v_add_f64 v[172:173], v[172:173], v[168:169]
	ds_load_b128 v[166:169], v1 offset:752
	s_waitcnt vmcnt(10) lgkmcnt(1)
	v_mul_f64 v[180:181], v[2:3], v[28:29]
	v_mul_f64 v[28:29], v[4:5], v[28:29]
	s_waitcnt vmcnt(9) lgkmcnt(0)
	v_mul_f64 v[174:175], v[166:167], v[32:33]
	v_mul_f64 v[32:33], v[168:169], v[32:33]
	v_add_f64 v[170:171], v[170:171], v[178:179]
	v_add_f64 v[172:173], v[172:173], v[176:177]
	v_fma_f64 v[176:177], v[4:5], v[26:27], v[180:181]
	v_fma_f64 v[178:179], v[2:3], v[26:27], -v[28:29]
	ds_load_b128 v[2:5], v1 offset:768
	scratch_load_b128 v[26:29], off, off offset:304
	v_fma_f64 v[168:169], v[168:169], v[30:31], v[174:175]
	v_fma_f64 v[166:167], v[166:167], v[30:31], -v[32:33]
	scratch_load_b128 v[30:33], off, off offset:320
	v_add_f64 v[170:171], v[170:171], v[38:39]
	v_add_f64 v[172:173], v[172:173], v[40:41]
	ds_load_b128 v[38:41], v1 offset:784
	s_waitcnt vmcnt(10) lgkmcnt(1)
	v_mul_f64 v[180:181], v[2:3], v[36:37]
	v_mul_f64 v[36:37], v[4:5], v[36:37]
	s_waitcnt vmcnt(8) lgkmcnt(0)
	v_mul_f64 v[174:175], v[38:39], v[164:165]
	v_add_f64 v[170:171], v[170:171], v[178:179]
	v_add_f64 v[172:173], v[172:173], v[176:177]
	v_mul_f64 v[176:177], v[40:41], v[164:165]
	v_fma_f64 v[178:179], v[4:5], v[34:35], v[180:181]
	v_fma_f64 v[180:181], v[2:3], v[34:35], -v[36:37]
	ds_load_b128 v[2:5], v1 offset:800
	scratch_load_b128 v[34:37], off, off offset:336
	v_fma_f64 v[174:175], v[40:41], v[162:163], v[174:175]
	v_add_f64 v[170:171], v[170:171], v[166:167]
	v_add_f64 v[168:169], v[172:173], v[168:169]
	ds_load_b128 v[164:167], v1 offset:816
	v_fma_f64 v[162:163], v[38:39], v[162:163], -v[176:177]
	scratch_load_b128 v[38:41], off, off offset:352
	s_waitcnt vmcnt(9) lgkmcnt(1)
	v_mul_f64 v[172:173], v[2:3], v[44:45]
	v_mul_f64 v[44:45], v[4:5], v[44:45]
	s_waitcnt vmcnt(8) lgkmcnt(0)
	v_mul_f64 v[176:177], v[164:165], v[8:9]
	v_mul_f64 v[8:9], v[166:167], v[8:9]
	v_add_f64 v[170:171], v[170:171], v[180:181]
	v_add_f64 v[168:169], v[168:169], v[178:179]
	v_fma_f64 v[172:173], v[4:5], v[42:43], v[172:173]
	v_fma_f64 v[178:179], v[2:3], v[42:43], -v[44:45]
	ds_load_b128 v[2:5], v1 offset:832
	scratch_load_b128 v[42:45], off, off offset:368
	v_fma_f64 v[166:167], v[166:167], v[6:7], v[176:177]
	v_fma_f64 v[164:165], v[164:165], v[6:7], -v[8:9]
	scratch_load_b128 v[6:9], off, off offset:384
	v_add_f64 v[162:163], v[170:171], v[162:163]
	v_add_f64 v[174:175], v[168:169], v[174:175]
	ds_load_b128 v[168:171], v1 offset:848
	s_waitcnt vmcnt(9) lgkmcnt(1)
	v_mul_f64 v[180:181], v[2:3], v[12:13]
	v_mul_f64 v[12:13], v[4:5], v[12:13]
	v_add_f64 v[162:163], v[162:163], v[178:179]
	v_add_f64 v[172:173], v[174:175], v[172:173]
	s_waitcnt vmcnt(8) lgkmcnt(0)
	v_mul_f64 v[174:175], v[168:169], v[16:17]
	v_mul_f64 v[16:17], v[170:171], v[16:17]
	v_fma_f64 v[176:177], v[4:5], v[10:11], v[180:181]
	v_fma_f64 v[178:179], v[2:3], v[10:11], -v[12:13]
	ds_load_b128 v[2:5], v1 offset:864
	scratch_load_b128 v[10:13], off, off offset:400
	v_add_f64 v[180:181], v[162:163], v[164:165]
	v_add_f64 v[166:167], v[172:173], v[166:167]
	ds_load_b128 v[162:165], v1 offset:880
	s_waitcnt vmcnt(8) lgkmcnt(1)
	v_mul_f64 v[172:173], v[2:3], v[20:21]
	v_mul_f64 v[20:21], v[4:5], v[20:21]
	v_fma_f64 v[170:171], v[170:171], v[14:15], v[174:175]
	v_fma_f64 v[168:169], v[168:169], v[14:15], -v[16:17]
	scratch_load_b128 v[14:17], off, off offset:416
	v_add_f64 v[174:175], v[180:181], v[178:179]
	v_add_f64 v[166:167], v[166:167], v[176:177]
	s_waitcnt vmcnt(8) lgkmcnt(0)
	v_mul_f64 v[176:177], v[162:163], v[24:25]
	v_mul_f64 v[24:25], v[164:165], v[24:25]
	v_fma_f64 v[172:173], v[4:5], v[18:19], v[172:173]
	v_fma_f64 v[178:179], v[2:3], v[18:19], -v[20:21]
	ds_load_b128 v[2:5], v1 offset:896
	scratch_load_b128 v[18:21], off, off offset:432
	v_add_f64 v[174:175], v[174:175], v[168:169]
	v_add_f64 v[170:171], v[166:167], v[170:171]
	ds_load_b128 v[166:169], v1 offset:912
	s_waitcnt vmcnt(8) lgkmcnt(1)
	v_mul_f64 v[180:181], v[2:3], v[28:29]
	v_mul_f64 v[28:29], v[4:5], v[28:29]
	v_fma_f64 v[164:165], v[164:165], v[22:23], v[176:177]
	v_fma_f64 v[162:163], v[162:163], v[22:23], -v[24:25]
	scratch_load_b128 v[22:25], off, off offset:448
	v_add_f64 v[174:175], v[174:175], v[178:179]
	v_add_f64 v[170:171], v[170:171], v[172:173]
	s_waitcnt vmcnt(8) lgkmcnt(0)
	v_mul_f64 v[172:173], v[166:167], v[32:33]
	v_mul_f64 v[32:33], v[168:169], v[32:33]
	v_fma_f64 v[176:177], v[4:5], v[26:27], v[180:181]
	v_fma_f64 v[178:179], v[2:3], v[26:27], -v[28:29]
	ds_load_b128 v[2:5], v1 offset:928
	scratch_load_b128 v[26:29], off, off offset:464
	v_add_f64 v[174:175], v[174:175], v[162:163]
	v_add_f64 v[170:171], v[170:171], v[164:165]
	ds_load_b128 v[162:165], v1 offset:944
	s_waitcnt vmcnt(8) lgkmcnt(1)
	v_mul_f64 v[180:181], v[2:3], v[36:37]
	v_mul_f64 v[36:37], v[4:5], v[36:37]
	v_fma_f64 v[168:169], v[168:169], v[30:31], v[172:173]
	v_fma_f64 v[166:167], v[166:167], v[30:31], -v[32:33]
	scratch_load_b128 v[30:33], off, off offset:480
	v_add_f64 v[172:173], v[174:175], v[178:179]
	v_add_f64 v[170:171], v[170:171], v[176:177]
	s_waitcnt vmcnt(8) lgkmcnt(0)
	v_mul_f64 v[174:175], v[162:163], v[40:41]
	v_mul_f64 v[40:41], v[164:165], v[40:41]
	v_fma_f64 v[176:177], v[4:5], v[34:35], v[180:181]
	v_fma_f64 v[178:179], v[2:3], v[34:35], -v[36:37]
	ds_load_b128 v[2:5], v1 offset:960
	scratch_load_b128 v[34:37], off, off offset:496
	v_add_f64 v[172:173], v[172:173], v[166:167]
	v_add_f64 v[170:171], v[170:171], v[168:169]
	ds_load_b128 v[166:169], v1 offset:976
	s_waitcnt vmcnt(8) lgkmcnt(1)
	v_mul_f64 v[180:181], v[2:3], v[44:45]
	v_mul_f64 v[44:45], v[4:5], v[44:45]
	v_fma_f64 v[164:165], v[164:165], v[38:39], v[174:175]
	v_fma_f64 v[162:163], v[162:163], v[38:39], -v[40:41]
	scratch_load_b128 v[38:41], off, off offset:512
	s_waitcnt vmcnt(8) lgkmcnt(0)
	v_mul_f64 v[174:175], v[166:167], v[8:9]
	v_mul_f64 v[8:9], v[168:169], v[8:9]
	v_add_f64 v[172:173], v[172:173], v[178:179]
	v_add_f64 v[170:171], v[170:171], v[176:177]
	v_fma_f64 v[176:177], v[4:5], v[42:43], v[180:181]
	v_fma_f64 v[178:179], v[2:3], v[42:43], -v[44:45]
	ds_load_b128 v[2:5], v1 offset:992
	scratch_load_b128 v[42:45], off, off offset:528
	v_fma_f64 v[168:169], v[168:169], v[6:7], v[174:175]
	v_fma_f64 v[166:167], v[166:167], v[6:7], -v[8:9]
	scratch_load_b128 v[6:9], off, off offset:544
	v_add_f64 v[172:173], v[172:173], v[162:163]
	v_add_f64 v[170:171], v[170:171], v[164:165]
	ds_load_b128 v[162:165], v1 offset:1008
	s_waitcnt vmcnt(9) lgkmcnt(1)
	v_mul_f64 v[180:181], v[2:3], v[12:13]
	v_mul_f64 v[12:13], v[4:5], v[12:13]
	s_waitcnt vmcnt(8) lgkmcnt(0)
	v_mul_f64 v[174:175], v[162:163], v[16:17]
	v_mul_f64 v[16:17], v[164:165], v[16:17]
	v_add_f64 v[172:173], v[172:173], v[178:179]
	v_add_f64 v[170:171], v[170:171], v[176:177]
	v_fma_f64 v[176:177], v[4:5], v[10:11], v[180:181]
	v_fma_f64 v[178:179], v[2:3], v[10:11], -v[12:13]
	ds_load_b128 v[2:5], v1 offset:1024
	scratch_load_b128 v[10:13], off, off offset:560
	v_fma_f64 v[164:165], v[164:165], v[14:15], v[174:175]
	v_fma_f64 v[162:163], v[162:163], v[14:15], -v[16:17]
	scratch_load_b128 v[14:17], off, off offset:576
	v_add_f64 v[172:173], v[172:173], v[166:167]
	v_add_f64 v[170:171], v[170:171], v[168:169]
	ds_load_b128 v[166:169], v1 offset:1040
	s_waitcnt vmcnt(9) lgkmcnt(1)
	v_mul_f64 v[180:181], v[2:3], v[20:21]
	v_mul_f64 v[20:21], v[4:5], v[20:21]
	s_waitcnt vmcnt(8) lgkmcnt(0)
	v_mul_f64 v[174:175], v[166:167], v[24:25]
	v_mul_f64 v[24:25], v[168:169], v[24:25]
	v_add_f64 v[172:173], v[172:173], v[178:179]
	v_add_f64 v[170:171], v[170:171], v[176:177]
	v_fma_f64 v[176:177], v[4:5], v[18:19], v[180:181]
	v_fma_f64 v[178:179], v[2:3], v[18:19], -v[20:21]
	ds_load_b128 v[2:5], v1 offset:1056
	ds_load_b128 v[18:21], v1 offset:1072
	v_fma_f64 v[168:169], v[168:169], v[22:23], v[174:175]
	v_fma_f64 v[22:23], v[166:167], v[22:23], -v[24:25]
	v_add_f64 v[162:163], v[172:173], v[162:163]
	v_add_f64 v[164:165], v[170:171], v[164:165]
	s_waitcnt vmcnt(7) lgkmcnt(1)
	v_mul_f64 v[170:171], v[2:3], v[28:29]
	v_mul_f64 v[28:29], v[4:5], v[28:29]
	s_delay_alu instid0(VALU_DEP_4) | instskip(NEXT) | instid1(VALU_DEP_4)
	v_add_f64 v[24:25], v[162:163], v[178:179]
	v_add_f64 v[162:163], v[164:165], v[176:177]
	s_waitcnt vmcnt(6) lgkmcnt(0)
	v_mul_f64 v[164:165], v[18:19], v[32:33]
	v_mul_f64 v[32:33], v[20:21], v[32:33]
	v_fma_f64 v[166:167], v[4:5], v[26:27], v[170:171]
	v_fma_f64 v[26:27], v[2:3], v[26:27], -v[28:29]
	v_add_f64 v[28:29], v[24:25], v[22:23]
	v_add_f64 v[162:163], v[162:163], v[168:169]
	ds_load_b128 v[2:5], v1 offset:1088
	ds_load_b128 v[22:25], v1 offset:1104
	v_fma_f64 v[20:21], v[20:21], v[30:31], v[164:165]
	v_fma_f64 v[18:19], v[18:19], v[30:31], -v[32:33]
	s_waitcnt vmcnt(5) lgkmcnt(1)
	v_mul_f64 v[168:169], v[2:3], v[36:37]
	v_mul_f64 v[36:37], v[4:5], v[36:37]
	s_waitcnt vmcnt(4) lgkmcnt(0)
	v_mul_f64 v[30:31], v[22:23], v[40:41]
	v_mul_f64 v[32:33], v[24:25], v[40:41]
	v_add_f64 v[26:27], v[28:29], v[26:27]
	v_add_f64 v[28:29], v[162:163], v[166:167]
	v_fma_f64 v[40:41], v[4:5], v[34:35], v[168:169]
	v_fma_f64 v[34:35], v[2:3], v[34:35], -v[36:37]
	v_fma_f64 v[24:25], v[24:25], v[38:39], v[30:31]
	v_fma_f64 v[22:23], v[22:23], v[38:39], -v[32:33]
	v_add_f64 v[26:27], v[26:27], v[18:19]
	v_add_f64 v[28:29], v[28:29], v[20:21]
	ds_load_b128 v[2:5], v1 offset:1120
	ds_load_b128 v[18:21], v1 offset:1136
	s_waitcnt vmcnt(3) lgkmcnt(1)
	v_mul_f64 v[36:37], v[2:3], v[44:45]
	v_mul_f64 v[44:45], v[4:5], v[44:45]
	s_waitcnt vmcnt(2) lgkmcnt(0)
	v_mul_f64 v[30:31], v[18:19], v[8:9]
	v_mul_f64 v[8:9], v[20:21], v[8:9]
	v_add_f64 v[26:27], v[26:27], v[34:35]
	v_add_f64 v[28:29], v[28:29], v[40:41]
	v_fma_f64 v[32:33], v[4:5], v[42:43], v[36:37]
	v_fma_f64 v[34:35], v[2:3], v[42:43], -v[44:45]
	v_fma_f64 v[20:21], v[20:21], v[6:7], v[30:31]
	v_fma_f64 v[6:7], v[18:19], v[6:7], -v[8:9]
	v_add_f64 v[26:27], v[26:27], v[22:23]
	v_add_f64 v[28:29], v[28:29], v[24:25]
	ds_load_b128 v[2:5], v1 offset:1152
	ds_load_b128 v[22:25], v1 offset:1168
	s_waitcnt vmcnt(1) lgkmcnt(1)
	v_mul_f64 v[36:37], v[2:3], v[12:13]
	v_mul_f64 v[12:13], v[4:5], v[12:13]
	v_add_f64 v[8:9], v[26:27], v[34:35]
	v_add_f64 v[18:19], v[28:29], v[32:33]
	s_waitcnt vmcnt(0) lgkmcnt(0)
	v_mul_f64 v[26:27], v[22:23], v[16:17]
	v_mul_f64 v[16:17], v[24:25], v[16:17]
	v_fma_f64 v[4:5], v[4:5], v[10:11], v[36:37]
	v_fma_f64 v[1:2], v[2:3], v[10:11], -v[12:13]
	v_add_f64 v[6:7], v[8:9], v[6:7]
	v_add_f64 v[8:9], v[18:19], v[20:21]
	v_fma_f64 v[10:11], v[24:25], v[14:15], v[26:27]
	v_fma_f64 v[12:13], v[22:23], v[14:15], -v[16:17]
	s_delay_alu instid0(VALU_DEP_4) | instskip(NEXT) | instid1(VALU_DEP_4)
	v_add_f64 v[1:2], v[6:7], v[1:2]
	v_add_f64 v[3:4], v[8:9], v[4:5]
	s_delay_alu instid0(VALU_DEP_2) | instskip(NEXT) | instid1(VALU_DEP_2)
	v_add_f64 v[1:2], v[1:2], v[12:13]
	v_add_f64 v[3:4], v[3:4], v[10:11]
	s_delay_alu instid0(VALU_DEP_2) | instskip(NEXT) | instid1(VALU_DEP_2)
	v_add_f64 v[1:2], v[158:159], -v[1:2]
	v_add_f64 v[3:4], v[160:161], -v[3:4]
	scratch_store_b128 off, v[1:4], off offset:32
	v_cmpx_lt_u32_e32 1, v120
	s_cbranch_execz .LBB36_233
; %bb.232:
	scratch_load_b128 v[1:4], v124, off
	v_mov_b32_e32 v5, 0
	s_delay_alu instid0(VALU_DEP_1)
	v_mov_b32_e32 v6, v5
	v_mov_b32_e32 v7, v5
	;; [unrolled: 1-line block ×3, first 2 shown]
	scratch_store_b128 off, v[5:8], off offset:16
	s_waitcnt vmcnt(0)
	ds_store_b128 v157, v[1:4]
.LBB36_233:
	s_or_b32 exec_lo, exec_lo, s2
	s_waitcnt lgkmcnt(0)
	s_waitcnt_vscnt null, 0x0
	s_barrier
	buffer_gl0_inv
	s_clause 0x7
	scratch_load_b128 v[2:5], off, off offset:32
	scratch_load_b128 v[6:9], off, off offset:48
	;; [unrolled: 1-line block ×8, first 2 shown]
	v_mov_b32_e32 v1, 0
	s_mov_b32 s2, exec_lo
	ds_load_b128 v[38:41], v1 offset:624
	s_clause 0x1
	scratch_load_b128 v[34:37], off, off offset:160
	scratch_load_b128 v[42:45], off, off offset:16
	ds_load_b128 v[158:161], v1 offset:640
	scratch_load_b128 v[162:165], off, off offset:176
	s_waitcnt vmcnt(10) lgkmcnt(1)
	v_mul_f64 v[166:167], v[40:41], v[4:5]
	v_mul_f64 v[4:5], v[38:39], v[4:5]
	s_delay_alu instid0(VALU_DEP_2) | instskip(NEXT) | instid1(VALU_DEP_2)
	v_fma_f64 v[172:173], v[38:39], v[2:3], -v[166:167]
	v_fma_f64 v[174:175], v[40:41], v[2:3], v[4:5]
	scratch_load_b128 v[38:41], off, off offset:192
	ds_load_b128 v[2:5], v1 offset:656
	s_waitcnt vmcnt(10) lgkmcnt(1)
	v_mul_f64 v[170:171], v[158:159], v[8:9]
	v_mul_f64 v[8:9], v[160:161], v[8:9]
	ds_load_b128 v[166:169], v1 offset:672
	s_waitcnt vmcnt(9) lgkmcnt(1)
	v_mul_f64 v[176:177], v[2:3], v[12:13]
	v_mul_f64 v[12:13], v[4:5], v[12:13]
	v_fma_f64 v[160:161], v[160:161], v[6:7], v[170:171]
	v_fma_f64 v[158:159], v[158:159], v[6:7], -v[8:9]
	v_add_f64 v[170:171], v[172:173], 0
	v_add_f64 v[172:173], v[174:175], 0
	scratch_load_b128 v[6:9], off, off offset:208
	v_fma_f64 v[176:177], v[4:5], v[10:11], v[176:177]
	v_fma_f64 v[178:179], v[2:3], v[10:11], -v[12:13]
	scratch_load_b128 v[10:13], off, off offset:224
	ds_load_b128 v[2:5], v1 offset:688
	s_waitcnt vmcnt(10) lgkmcnt(1)
	v_mul_f64 v[174:175], v[166:167], v[16:17]
	v_mul_f64 v[16:17], v[168:169], v[16:17]
	v_add_f64 v[170:171], v[170:171], v[158:159]
	v_add_f64 v[172:173], v[172:173], v[160:161]
	s_waitcnt vmcnt(9) lgkmcnt(0)
	v_mul_f64 v[180:181], v[2:3], v[20:21]
	v_mul_f64 v[20:21], v[4:5], v[20:21]
	ds_load_b128 v[158:161], v1 offset:704
	v_fma_f64 v[168:169], v[168:169], v[14:15], v[174:175]
	v_fma_f64 v[166:167], v[166:167], v[14:15], -v[16:17]
	scratch_load_b128 v[14:17], off, off offset:240
	v_add_f64 v[170:171], v[170:171], v[178:179]
	v_add_f64 v[172:173], v[172:173], v[176:177]
	v_fma_f64 v[176:177], v[4:5], v[18:19], v[180:181]
	v_fma_f64 v[178:179], v[2:3], v[18:19], -v[20:21]
	scratch_load_b128 v[18:21], off, off offset:256
	ds_load_b128 v[2:5], v1 offset:720
	s_waitcnt vmcnt(10) lgkmcnt(1)
	v_mul_f64 v[174:175], v[158:159], v[24:25]
	v_mul_f64 v[24:25], v[160:161], v[24:25]
	s_waitcnt vmcnt(9) lgkmcnt(0)
	v_mul_f64 v[180:181], v[2:3], v[28:29]
	v_mul_f64 v[28:29], v[4:5], v[28:29]
	v_add_f64 v[170:171], v[170:171], v[166:167]
	v_add_f64 v[172:173], v[172:173], v[168:169]
	ds_load_b128 v[166:169], v1 offset:736
	v_fma_f64 v[160:161], v[160:161], v[22:23], v[174:175]
	v_fma_f64 v[158:159], v[158:159], v[22:23], -v[24:25]
	scratch_load_b128 v[22:25], off, off offset:272
	v_add_f64 v[170:171], v[170:171], v[178:179]
	v_add_f64 v[172:173], v[172:173], v[176:177]
	v_fma_f64 v[176:177], v[4:5], v[26:27], v[180:181]
	v_fma_f64 v[178:179], v[2:3], v[26:27], -v[28:29]
	scratch_load_b128 v[26:29], off, off offset:288
	ds_load_b128 v[2:5], v1 offset:752
	s_waitcnt vmcnt(10) lgkmcnt(1)
	v_mul_f64 v[174:175], v[166:167], v[32:33]
	v_mul_f64 v[32:33], v[168:169], v[32:33]
	s_waitcnt vmcnt(9) lgkmcnt(0)
	v_mul_f64 v[180:181], v[2:3], v[36:37]
	v_mul_f64 v[36:37], v[4:5], v[36:37]
	v_add_f64 v[170:171], v[170:171], v[158:159]
	v_add_f64 v[172:173], v[172:173], v[160:161]
	ds_load_b128 v[158:161], v1 offset:768
	v_fma_f64 v[168:169], v[168:169], v[30:31], v[174:175]
	v_fma_f64 v[166:167], v[166:167], v[30:31], -v[32:33]
	scratch_load_b128 v[30:33], off, off offset:304
	v_add_f64 v[170:171], v[170:171], v[178:179]
	v_add_f64 v[172:173], v[172:173], v[176:177]
	v_fma_f64 v[178:179], v[4:5], v[34:35], v[180:181]
	v_fma_f64 v[180:181], v[2:3], v[34:35], -v[36:37]
	scratch_load_b128 v[34:37], off, off offset:320
	ds_load_b128 v[2:5], v1 offset:784
	s_waitcnt vmcnt(9) lgkmcnt(1)
	v_mul_f64 v[174:175], v[158:159], v[164:165]
	v_mul_f64 v[176:177], v[160:161], v[164:165]
	v_add_f64 v[170:171], v[170:171], v[166:167]
	v_add_f64 v[168:169], v[172:173], v[168:169]
	ds_load_b128 v[164:167], v1 offset:800
	v_fma_f64 v[174:175], v[160:161], v[162:163], v[174:175]
	v_fma_f64 v[162:163], v[158:159], v[162:163], -v[176:177]
	scratch_load_b128 v[158:161], off, off offset:336
	s_waitcnt vmcnt(9) lgkmcnt(1)
	v_mul_f64 v[172:173], v[2:3], v[40:41]
	v_mul_f64 v[40:41], v[4:5], v[40:41]
	v_add_f64 v[170:171], v[170:171], v[180:181]
	v_add_f64 v[168:169], v[168:169], v[178:179]
	s_delay_alu instid0(VALU_DEP_4) | instskip(NEXT) | instid1(VALU_DEP_4)
	v_fma_f64 v[172:173], v[4:5], v[38:39], v[172:173]
	v_fma_f64 v[178:179], v[2:3], v[38:39], -v[40:41]
	scratch_load_b128 v[38:41], off, off offset:352
	ds_load_b128 v[2:5], v1 offset:816
	s_waitcnt vmcnt(9) lgkmcnt(1)
	v_mul_f64 v[176:177], v[164:165], v[8:9]
	v_mul_f64 v[8:9], v[166:167], v[8:9]
	s_waitcnt vmcnt(8) lgkmcnt(0)
	v_mul_f64 v[180:181], v[2:3], v[12:13]
	v_mul_f64 v[12:13], v[4:5], v[12:13]
	v_add_f64 v[162:163], v[170:171], v[162:163]
	v_add_f64 v[174:175], v[168:169], v[174:175]
	ds_load_b128 v[168:171], v1 offset:832
	v_fma_f64 v[166:167], v[166:167], v[6:7], v[176:177]
	v_fma_f64 v[164:165], v[164:165], v[6:7], -v[8:9]
	scratch_load_b128 v[6:9], off, off offset:368
	v_fma_f64 v[176:177], v[4:5], v[10:11], v[180:181]
	v_add_f64 v[162:163], v[162:163], v[178:179]
	v_add_f64 v[172:173], v[174:175], v[172:173]
	v_fma_f64 v[178:179], v[2:3], v[10:11], -v[12:13]
	scratch_load_b128 v[10:13], off, off offset:384
	ds_load_b128 v[2:5], v1 offset:848
	s_waitcnt vmcnt(9) lgkmcnt(1)
	v_mul_f64 v[174:175], v[168:169], v[16:17]
	v_mul_f64 v[16:17], v[170:171], v[16:17]
	v_add_f64 v[180:181], v[162:163], v[164:165]
	v_add_f64 v[166:167], v[172:173], v[166:167]
	s_waitcnt vmcnt(8) lgkmcnt(0)
	v_mul_f64 v[172:173], v[2:3], v[20:21]
	v_mul_f64 v[20:21], v[4:5], v[20:21]
	ds_load_b128 v[162:165], v1 offset:864
	v_fma_f64 v[170:171], v[170:171], v[14:15], v[174:175]
	v_fma_f64 v[168:169], v[168:169], v[14:15], -v[16:17]
	scratch_load_b128 v[14:17], off, off offset:400
	v_add_f64 v[174:175], v[180:181], v[178:179]
	v_add_f64 v[166:167], v[166:167], v[176:177]
	v_fma_f64 v[172:173], v[4:5], v[18:19], v[172:173]
	v_fma_f64 v[178:179], v[2:3], v[18:19], -v[20:21]
	scratch_load_b128 v[18:21], off, off offset:416
	ds_load_b128 v[2:5], v1 offset:880
	s_waitcnt vmcnt(9) lgkmcnt(1)
	v_mul_f64 v[176:177], v[162:163], v[24:25]
	v_mul_f64 v[24:25], v[164:165], v[24:25]
	s_waitcnt vmcnt(8) lgkmcnt(0)
	v_mul_f64 v[180:181], v[2:3], v[28:29]
	v_mul_f64 v[28:29], v[4:5], v[28:29]
	v_add_f64 v[174:175], v[174:175], v[168:169]
	v_add_f64 v[170:171], v[166:167], v[170:171]
	ds_load_b128 v[166:169], v1 offset:896
	v_fma_f64 v[164:165], v[164:165], v[22:23], v[176:177]
	v_fma_f64 v[162:163], v[162:163], v[22:23], -v[24:25]
	scratch_load_b128 v[22:25], off, off offset:432
	v_fma_f64 v[176:177], v[4:5], v[26:27], v[180:181]
	v_add_f64 v[174:175], v[174:175], v[178:179]
	v_add_f64 v[170:171], v[170:171], v[172:173]
	v_fma_f64 v[178:179], v[2:3], v[26:27], -v[28:29]
	scratch_load_b128 v[26:29], off, off offset:448
	ds_load_b128 v[2:5], v1 offset:912
	s_waitcnt vmcnt(9) lgkmcnt(1)
	v_mul_f64 v[172:173], v[166:167], v[32:33]
	v_mul_f64 v[32:33], v[168:169], v[32:33]
	s_waitcnt vmcnt(8) lgkmcnt(0)
	v_mul_f64 v[180:181], v[2:3], v[36:37]
	v_mul_f64 v[36:37], v[4:5], v[36:37]
	v_add_f64 v[174:175], v[174:175], v[162:163]
	v_add_f64 v[170:171], v[170:171], v[164:165]
	ds_load_b128 v[162:165], v1 offset:928
	v_fma_f64 v[168:169], v[168:169], v[30:31], v[172:173]
	v_fma_f64 v[166:167], v[166:167], v[30:31], -v[32:33]
	scratch_load_b128 v[30:33], off, off offset:464
	v_add_f64 v[172:173], v[174:175], v[178:179]
	v_add_f64 v[170:171], v[170:171], v[176:177]
	v_fma_f64 v[176:177], v[4:5], v[34:35], v[180:181]
	v_fma_f64 v[178:179], v[2:3], v[34:35], -v[36:37]
	scratch_load_b128 v[34:37], off, off offset:480
	ds_load_b128 v[2:5], v1 offset:944
	s_waitcnt vmcnt(9) lgkmcnt(1)
	v_mul_f64 v[174:175], v[162:163], v[160:161]
	v_mul_f64 v[160:161], v[164:165], v[160:161]
	s_waitcnt vmcnt(8) lgkmcnt(0)
	v_mul_f64 v[180:181], v[2:3], v[40:41]
	v_mul_f64 v[40:41], v[4:5], v[40:41]
	v_add_f64 v[172:173], v[172:173], v[166:167]
	v_add_f64 v[170:171], v[170:171], v[168:169]
	ds_load_b128 v[166:169], v1 offset:960
	v_fma_f64 v[164:165], v[164:165], v[158:159], v[174:175]
	v_fma_f64 v[162:163], v[162:163], v[158:159], -v[160:161]
	scratch_load_b128 v[158:161], off, off offset:496
	v_add_f64 v[172:173], v[172:173], v[178:179]
	v_add_f64 v[170:171], v[170:171], v[176:177]
	v_fma_f64 v[176:177], v[4:5], v[38:39], v[180:181]
	;; [unrolled: 18-line block ×4, first 2 shown]
	v_fma_f64 v[178:179], v[2:3], v[18:19], -v[20:21]
	scratch_load_b128 v[18:21], off, off offset:576
	ds_load_b128 v[2:5], v1 offset:1040
	s_waitcnt vmcnt(9) lgkmcnt(1)
	v_mul_f64 v[174:175], v[166:167], v[24:25]
	v_mul_f64 v[24:25], v[168:169], v[24:25]
	s_waitcnt vmcnt(8) lgkmcnt(0)
	v_mul_f64 v[180:181], v[2:3], v[28:29]
	v_mul_f64 v[28:29], v[4:5], v[28:29]
	v_add_f64 v[172:173], v[172:173], v[162:163]
	v_add_f64 v[170:171], v[170:171], v[164:165]
	ds_load_b128 v[162:165], v1 offset:1056
	v_fma_f64 v[168:169], v[168:169], v[22:23], v[174:175]
	v_fma_f64 v[22:23], v[166:167], v[22:23], -v[24:25]
	v_add_f64 v[24:25], v[172:173], v[178:179]
	v_add_f64 v[166:167], v[170:171], v[176:177]
	s_waitcnt vmcnt(7) lgkmcnt(0)
	v_mul_f64 v[170:171], v[162:163], v[32:33]
	v_mul_f64 v[32:33], v[164:165], v[32:33]
	v_fma_f64 v[172:173], v[4:5], v[26:27], v[180:181]
	v_fma_f64 v[26:27], v[2:3], v[26:27], -v[28:29]
	v_add_f64 v[28:29], v[24:25], v[22:23]
	v_add_f64 v[166:167], v[166:167], v[168:169]
	ds_load_b128 v[2:5], v1 offset:1072
	ds_load_b128 v[22:25], v1 offset:1088
	v_fma_f64 v[164:165], v[164:165], v[30:31], v[170:171]
	v_fma_f64 v[30:31], v[162:163], v[30:31], -v[32:33]
	s_waitcnt vmcnt(6) lgkmcnt(1)
	v_mul_f64 v[168:169], v[2:3], v[36:37]
	v_mul_f64 v[36:37], v[4:5], v[36:37]
	s_waitcnt vmcnt(5) lgkmcnt(0)
	v_mul_f64 v[32:33], v[22:23], v[160:161]
	v_mul_f64 v[160:161], v[24:25], v[160:161]
	v_add_f64 v[26:27], v[28:29], v[26:27]
	v_add_f64 v[28:29], v[166:167], v[172:173]
	v_fma_f64 v[162:163], v[4:5], v[34:35], v[168:169]
	v_fma_f64 v[34:35], v[2:3], v[34:35], -v[36:37]
	v_fma_f64 v[24:25], v[24:25], v[158:159], v[32:33]
	v_fma_f64 v[22:23], v[22:23], v[158:159], -v[160:161]
	v_add_f64 v[30:31], v[26:27], v[30:31]
	v_add_f64 v[36:37], v[28:29], v[164:165]
	ds_load_b128 v[2:5], v1 offset:1104
	ds_load_b128 v[26:29], v1 offset:1120
	s_waitcnt vmcnt(4) lgkmcnt(1)
	v_mul_f64 v[164:165], v[2:3], v[40:41]
	v_mul_f64 v[40:41], v[4:5], v[40:41]
	v_add_f64 v[30:31], v[30:31], v[34:35]
	v_add_f64 v[32:33], v[36:37], v[162:163]
	s_waitcnt vmcnt(3) lgkmcnt(0)
	v_mul_f64 v[34:35], v[26:27], v[8:9]
	v_mul_f64 v[8:9], v[28:29], v[8:9]
	v_fma_f64 v[36:37], v[4:5], v[38:39], v[164:165]
	v_fma_f64 v[38:39], v[2:3], v[38:39], -v[40:41]
	v_add_f64 v[30:31], v[30:31], v[22:23]
	v_add_f64 v[32:33], v[32:33], v[24:25]
	ds_load_b128 v[2:5], v1 offset:1136
	ds_load_b128 v[22:25], v1 offset:1152
	v_fma_f64 v[28:29], v[28:29], v[6:7], v[34:35]
	v_fma_f64 v[6:7], v[26:27], v[6:7], -v[8:9]
	s_waitcnt vmcnt(2) lgkmcnt(1)
	v_mul_f64 v[40:41], v[2:3], v[12:13]
	v_mul_f64 v[12:13], v[4:5], v[12:13]
	v_add_f64 v[8:9], v[30:31], v[38:39]
	v_add_f64 v[26:27], v[32:33], v[36:37]
	s_waitcnt vmcnt(1) lgkmcnt(0)
	v_mul_f64 v[30:31], v[22:23], v[16:17]
	v_mul_f64 v[16:17], v[24:25], v[16:17]
	v_fma_f64 v[32:33], v[4:5], v[10:11], v[40:41]
	v_fma_f64 v[10:11], v[2:3], v[10:11], -v[12:13]
	ds_load_b128 v[2:5], v1 offset:1168
	v_add_f64 v[6:7], v[8:9], v[6:7]
	v_add_f64 v[8:9], v[26:27], v[28:29]
	v_fma_f64 v[24:25], v[24:25], v[14:15], v[30:31]
	v_fma_f64 v[14:15], v[22:23], v[14:15], -v[16:17]
	s_waitcnt vmcnt(0) lgkmcnt(0)
	v_mul_f64 v[12:13], v[2:3], v[20:21]
	v_mul_f64 v[20:21], v[4:5], v[20:21]
	v_add_f64 v[6:7], v[6:7], v[10:11]
	v_add_f64 v[8:9], v[8:9], v[32:33]
	s_delay_alu instid0(VALU_DEP_4) | instskip(NEXT) | instid1(VALU_DEP_4)
	v_fma_f64 v[4:5], v[4:5], v[18:19], v[12:13]
	v_fma_f64 v[2:3], v[2:3], v[18:19], -v[20:21]
	s_delay_alu instid0(VALU_DEP_4) | instskip(NEXT) | instid1(VALU_DEP_4)
	v_add_f64 v[6:7], v[6:7], v[14:15]
	v_add_f64 v[8:9], v[8:9], v[24:25]
	s_delay_alu instid0(VALU_DEP_2) | instskip(NEXT) | instid1(VALU_DEP_2)
	v_add_f64 v[2:3], v[6:7], v[2:3]
	v_add_f64 v[4:5], v[8:9], v[4:5]
	s_delay_alu instid0(VALU_DEP_2) | instskip(NEXT) | instid1(VALU_DEP_2)
	v_add_f64 v[2:3], v[42:43], -v[2:3]
	v_add_f64 v[4:5], v[44:45], -v[4:5]
	scratch_store_b128 off, v[2:5], off offset:16
	v_cmpx_ne_u32_e32 0, v120
	s_cbranch_execz .LBB36_235
; %bb.234:
	scratch_load_b128 v[5:8], off, off
	v_mov_b32_e32 v2, v1
	v_mov_b32_e32 v3, v1
	;; [unrolled: 1-line block ×3, first 2 shown]
	scratch_store_b128 off, v[1:4], off
	s_waitcnt vmcnt(0)
	ds_store_b128 v157, v[5:8]
.LBB36_235:
	s_or_b32 exec_lo, exec_lo, s2
	s_waitcnt lgkmcnt(0)
	s_waitcnt_vscnt null, 0x0
	s_barrier
	buffer_gl0_inv
	s_clause 0x8
	scratch_load_b128 v[2:5], off, off offset:16
	scratch_load_b128 v[6:9], off, off offset:32
	;; [unrolled: 1-line block ×9, first 2 shown]
	ds_load_b128 v[42:45], v1 offset:608
	ds_load_b128 v[38:41], v1 offset:624
	s_clause 0x1
	scratch_load_b128 v[157:160], off, off
	scratch_load_b128 v[161:164], off, off offset:160
	s_and_b32 vcc_lo, exec_lo, s20
	s_waitcnt vmcnt(10) lgkmcnt(1)
	v_mul_f64 v[165:166], v[44:45], v[4:5]
	v_mul_f64 v[4:5], v[42:43], v[4:5]
	s_waitcnt vmcnt(9) lgkmcnt(0)
	v_mul_f64 v[169:170], v[38:39], v[8:9]
	v_mul_f64 v[8:9], v[40:41], v[8:9]
	s_delay_alu instid0(VALU_DEP_4) | instskip(NEXT) | instid1(VALU_DEP_4)
	v_fma_f64 v[171:172], v[42:43], v[2:3], -v[165:166]
	v_fma_f64 v[173:174], v[44:45], v[2:3], v[4:5]
	ds_load_b128 v[2:5], v1 offset:640
	ds_load_b128 v[165:168], v1 offset:656
	scratch_load_b128 v[42:45], off, off offset:176
	v_fma_f64 v[40:41], v[40:41], v[6:7], v[169:170]
	v_fma_f64 v[38:39], v[38:39], v[6:7], -v[8:9]
	scratch_load_b128 v[6:9], off, off offset:192
	s_waitcnt vmcnt(10) lgkmcnt(1)
	v_mul_f64 v[175:176], v[2:3], v[12:13]
	v_mul_f64 v[12:13], v[4:5], v[12:13]
	v_add_f64 v[169:170], v[171:172], 0
	v_add_f64 v[171:172], v[173:174], 0
	s_waitcnt vmcnt(9) lgkmcnt(0)
	v_mul_f64 v[173:174], v[165:166], v[16:17]
	v_mul_f64 v[16:17], v[167:168], v[16:17]
	v_fma_f64 v[175:176], v[4:5], v[10:11], v[175:176]
	v_fma_f64 v[177:178], v[2:3], v[10:11], -v[12:13]
	ds_load_b128 v[2:5], v1 offset:672
	scratch_load_b128 v[10:13], off, off offset:208
	v_add_f64 v[169:170], v[169:170], v[38:39]
	v_add_f64 v[171:172], v[171:172], v[40:41]
	ds_load_b128 v[38:41], v1 offset:688
	v_fma_f64 v[167:168], v[167:168], v[14:15], v[173:174]
	v_fma_f64 v[165:166], v[165:166], v[14:15], -v[16:17]
	scratch_load_b128 v[14:17], off, off offset:224
	s_waitcnt vmcnt(10) lgkmcnt(1)
	v_mul_f64 v[179:180], v[2:3], v[20:21]
	v_mul_f64 v[20:21], v[4:5], v[20:21]
	s_waitcnt vmcnt(9) lgkmcnt(0)
	v_mul_f64 v[173:174], v[38:39], v[24:25]
	v_mul_f64 v[24:25], v[40:41], v[24:25]
	v_add_f64 v[169:170], v[169:170], v[177:178]
	v_add_f64 v[171:172], v[171:172], v[175:176]
	v_fma_f64 v[175:176], v[4:5], v[18:19], v[179:180]
	v_fma_f64 v[177:178], v[2:3], v[18:19], -v[20:21]
	ds_load_b128 v[2:5], v1 offset:704
	scratch_load_b128 v[18:21], off, off offset:240
	v_fma_f64 v[40:41], v[40:41], v[22:23], v[173:174]
	v_fma_f64 v[38:39], v[38:39], v[22:23], -v[24:25]
	scratch_load_b128 v[22:25], off, off offset:256
	v_add_f64 v[169:170], v[169:170], v[165:166]
	v_add_f64 v[171:172], v[171:172], v[167:168]
	ds_load_b128 v[165:168], v1 offset:720
	s_waitcnt vmcnt(10) lgkmcnt(1)
	v_mul_f64 v[179:180], v[2:3], v[28:29]
	v_mul_f64 v[28:29], v[4:5], v[28:29]
	s_waitcnt vmcnt(9) lgkmcnt(0)
	v_mul_f64 v[173:174], v[165:166], v[32:33]
	v_mul_f64 v[32:33], v[167:168], v[32:33]
	v_add_f64 v[169:170], v[169:170], v[177:178]
	v_add_f64 v[171:172], v[171:172], v[175:176]
	v_fma_f64 v[175:176], v[4:5], v[26:27], v[179:180]
	v_fma_f64 v[177:178], v[2:3], v[26:27], -v[28:29]
	ds_load_b128 v[2:5], v1 offset:736
	scratch_load_b128 v[26:29], off, off offset:272
	v_fma_f64 v[167:168], v[167:168], v[30:31], v[173:174]
	v_fma_f64 v[165:166], v[165:166], v[30:31], -v[32:33]
	scratch_load_b128 v[30:33], off, off offset:288
	v_add_f64 v[169:170], v[169:170], v[38:39]
	v_add_f64 v[171:172], v[171:172], v[40:41]
	ds_load_b128 v[38:41], v1 offset:752
	s_waitcnt vmcnt(10) lgkmcnt(1)
	v_mul_f64 v[179:180], v[2:3], v[36:37]
	v_mul_f64 v[36:37], v[4:5], v[36:37]
	s_waitcnt vmcnt(8) lgkmcnt(0)
	v_mul_f64 v[173:174], v[38:39], v[163:164]
	v_add_f64 v[169:170], v[169:170], v[177:178]
	v_add_f64 v[171:172], v[171:172], v[175:176]
	v_mul_f64 v[175:176], v[40:41], v[163:164]
	v_fma_f64 v[177:178], v[4:5], v[34:35], v[179:180]
	v_fma_f64 v[179:180], v[2:3], v[34:35], -v[36:37]
	ds_load_b128 v[2:5], v1 offset:768
	scratch_load_b128 v[34:37], off, off offset:304
	v_fma_f64 v[173:174], v[40:41], v[161:162], v[173:174]
	v_add_f64 v[169:170], v[169:170], v[165:166]
	v_add_f64 v[167:168], v[171:172], v[167:168]
	ds_load_b128 v[163:166], v1 offset:784
	v_fma_f64 v[161:162], v[38:39], v[161:162], -v[175:176]
	scratch_load_b128 v[38:41], off, off offset:320
	s_waitcnt vmcnt(9) lgkmcnt(1)
	v_mul_f64 v[171:172], v[2:3], v[44:45]
	v_mul_f64 v[44:45], v[4:5], v[44:45]
	s_waitcnt vmcnt(8) lgkmcnt(0)
	v_mul_f64 v[175:176], v[163:164], v[8:9]
	v_mul_f64 v[8:9], v[165:166], v[8:9]
	v_add_f64 v[169:170], v[169:170], v[179:180]
	v_add_f64 v[167:168], v[167:168], v[177:178]
	v_fma_f64 v[171:172], v[4:5], v[42:43], v[171:172]
	v_fma_f64 v[177:178], v[2:3], v[42:43], -v[44:45]
	ds_load_b128 v[2:5], v1 offset:800
	scratch_load_b128 v[42:45], off, off offset:336
	v_fma_f64 v[165:166], v[165:166], v[6:7], v[175:176]
	v_fma_f64 v[163:164], v[163:164], v[6:7], -v[8:9]
	scratch_load_b128 v[6:9], off, off offset:352
	v_add_f64 v[161:162], v[169:170], v[161:162]
	v_add_f64 v[173:174], v[167:168], v[173:174]
	ds_load_b128 v[167:170], v1 offset:816
	s_waitcnt vmcnt(9) lgkmcnt(1)
	v_mul_f64 v[179:180], v[2:3], v[12:13]
	v_mul_f64 v[12:13], v[4:5], v[12:13]
	v_add_f64 v[161:162], v[161:162], v[177:178]
	v_add_f64 v[171:172], v[173:174], v[171:172]
	s_waitcnt vmcnt(8) lgkmcnt(0)
	v_mul_f64 v[173:174], v[167:168], v[16:17]
	v_mul_f64 v[16:17], v[169:170], v[16:17]
	v_fma_f64 v[175:176], v[4:5], v[10:11], v[179:180]
	v_fma_f64 v[177:178], v[2:3], v[10:11], -v[12:13]
	ds_load_b128 v[2:5], v1 offset:832
	scratch_load_b128 v[10:13], off, off offset:368
	v_add_f64 v[179:180], v[161:162], v[163:164]
	v_add_f64 v[165:166], v[171:172], v[165:166]
	ds_load_b128 v[161:164], v1 offset:848
	s_waitcnt vmcnt(8) lgkmcnt(1)
	v_mul_f64 v[171:172], v[2:3], v[20:21]
	v_mul_f64 v[20:21], v[4:5], v[20:21]
	v_fma_f64 v[169:170], v[169:170], v[14:15], v[173:174]
	v_fma_f64 v[167:168], v[167:168], v[14:15], -v[16:17]
	scratch_load_b128 v[14:17], off, off offset:384
	v_add_f64 v[173:174], v[179:180], v[177:178]
	v_add_f64 v[165:166], v[165:166], v[175:176]
	s_waitcnt vmcnt(8) lgkmcnt(0)
	v_mul_f64 v[175:176], v[161:162], v[24:25]
	v_mul_f64 v[24:25], v[163:164], v[24:25]
	v_fma_f64 v[171:172], v[4:5], v[18:19], v[171:172]
	v_fma_f64 v[177:178], v[2:3], v[18:19], -v[20:21]
	ds_load_b128 v[2:5], v1 offset:864
	scratch_load_b128 v[18:21], off, off offset:400
	v_add_f64 v[173:174], v[173:174], v[167:168]
	v_add_f64 v[169:170], v[165:166], v[169:170]
	ds_load_b128 v[165:168], v1 offset:880
	s_waitcnt vmcnt(8) lgkmcnt(1)
	v_mul_f64 v[179:180], v[2:3], v[28:29]
	v_mul_f64 v[28:29], v[4:5], v[28:29]
	v_fma_f64 v[163:164], v[163:164], v[22:23], v[175:176]
	v_fma_f64 v[161:162], v[161:162], v[22:23], -v[24:25]
	scratch_load_b128 v[22:25], off, off offset:416
	v_add_f64 v[173:174], v[173:174], v[177:178]
	v_add_f64 v[169:170], v[169:170], v[171:172]
	s_waitcnt vmcnt(8) lgkmcnt(0)
	v_mul_f64 v[171:172], v[165:166], v[32:33]
	v_mul_f64 v[32:33], v[167:168], v[32:33]
	v_fma_f64 v[175:176], v[4:5], v[26:27], v[179:180]
	v_fma_f64 v[177:178], v[2:3], v[26:27], -v[28:29]
	ds_load_b128 v[2:5], v1 offset:896
	scratch_load_b128 v[26:29], off, off offset:432
	v_add_f64 v[173:174], v[173:174], v[161:162]
	v_add_f64 v[169:170], v[169:170], v[163:164]
	ds_load_b128 v[161:164], v1 offset:912
	s_waitcnt vmcnt(8) lgkmcnt(1)
	v_mul_f64 v[179:180], v[2:3], v[36:37]
	v_mul_f64 v[36:37], v[4:5], v[36:37]
	v_fma_f64 v[167:168], v[167:168], v[30:31], v[171:172]
	v_fma_f64 v[165:166], v[165:166], v[30:31], -v[32:33]
	scratch_load_b128 v[30:33], off, off offset:448
	v_add_f64 v[171:172], v[173:174], v[177:178]
	v_add_f64 v[169:170], v[169:170], v[175:176]
	s_waitcnt vmcnt(8) lgkmcnt(0)
	v_mul_f64 v[173:174], v[161:162], v[40:41]
	v_mul_f64 v[40:41], v[163:164], v[40:41]
	v_fma_f64 v[175:176], v[4:5], v[34:35], v[179:180]
	v_fma_f64 v[177:178], v[2:3], v[34:35], -v[36:37]
	ds_load_b128 v[2:5], v1 offset:928
	scratch_load_b128 v[34:37], off, off offset:464
	v_add_f64 v[171:172], v[171:172], v[165:166]
	v_add_f64 v[169:170], v[169:170], v[167:168]
	ds_load_b128 v[165:168], v1 offset:944
	s_waitcnt vmcnt(8) lgkmcnt(1)
	v_mul_f64 v[179:180], v[2:3], v[44:45]
	v_mul_f64 v[44:45], v[4:5], v[44:45]
	v_fma_f64 v[163:164], v[163:164], v[38:39], v[173:174]
	v_fma_f64 v[161:162], v[161:162], v[38:39], -v[40:41]
	scratch_load_b128 v[38:41], off, off offset:480
	s_waitcnt vmcnt(8) lgkmcnt(0)
	v_mul_f64 v[173:174], v[165:166], v[8:9]
	v_mul_f64 v[8:9], v[167:168], v[8:9]
	v_add_f64 v[171:172], v[171:172], v[177:178]
	v_add_f64 v[169:170], v[169:170], v[175:176]
	v_fma_f64 v[175:176], v[4:5], v[42:43], v[179:180]
	v_fma_f64 v[177:178], v[2:3], v[42:43], -v[44:45]
	ds_load_b128 v[2:5], v1 offset:960
	scratch_load_b128 v[42:45], off, off offset:496
	v_fma_f64 v[167:168], v[167:168], v[6:7], v[173:174]
	v_fma_f64 v[165:166], v[165:166], v[6:7], -v[8:9]
	scratch_load_b128 v[6:9], off, off offset:512
	v_add_f64 v[171:172], v[171:172], v[161:162]
	v_add_f64 v[169:170], v[169:170], v[163:164]
	ds_load_b128 v[161:164], v1 offset:976
	s_waitcnt vmcnt(9) lgkmcnt(1)
	v_mul_f64 v[179:180], v[2:3], v[12:13]
	v_mul_f64 v[12:13], v[4:5], v[12:13]
	s_waitcnt vmcnt(8) lgkmcnt(0)
	v_mul_f64 v[173:174], v[161:162], v[16:17]
	v_mul_f64 v[16:17], v[163:164], v[16:17]
	v_add_f64 v[171:172], v[171:172], v[177:178]
	v_add_f64 v[169:170], v[169:170], v[175:176]
	v_fma_f64 v[175:176], v[4:5], v[10:11], v[179:180]
	v_fma_f64 v[177:178], v[2:3], v[10:11], -v[12:13]
	ds_load_b128 v[2:5], v1 offset:992
	scratch_load_b128 v[10:13], off, off offset:528
	v_fma_f64 v[163:164], v[163:164], v[14:15], v[173:174]
	v_fma_f64 v[161:162], v[161:162], v[14:15], -v[16:17]
	scratch_load_b128 v[14:17], off, off offset:544
	v_add_f64 v[171:172], v[171:172], v[165:166]
	v_add_f64 v[169:170], v[169:170], v[167:168]
	ds_load_b128 v[165:168], v1 offset:1008
	s_waitcnt vmcnt(9) lgkmcnt(1)
	v_mul_f64 v[179:180], v[2:3], v[20:21]
	v_mul_f64 v[20:21], v[4:5], v[20:21]
	;; [unrolled: 18-line block ×3, first 2 shown]
	s_waitcnt vmcnt(8) lgkmcnt(0)
	v_mul_f64 v[173:174], v[161:162], v[32:33]
	v_mul_f64 v[32:33], v[163:164], v[32:33]
	v_add_f64 v[171:172], v[171:172], v[177:178]
	v_add_f64 v[169:170], v[169:170], v[175:176]
	v_fma_f64 v[175:176], v[4:5], v[26:27], v[179:180]
	v_fma_f64 v[177:178], v[2:3], v[26:27], -v[28:29]
	ds_load_b128 v[2:5], v1 offset:1056
	ds_load_b128 v[26:29], v1 offset:1072
	v_fma_f64 v[163:164], v[163:164], v[30:31], v[173:174]
	v_fma_f64 v[30:31], v[161:162], v[30:31], -v[32:33]
	v_add_f64 v[165:166], v[171:172], v[165:166]
	v_add_f64 v[167:168], v[169:170], v[167:168]
	s_waitcnt vmcnt(7) lgkmcnt(1)
	v_mul_f64 v[169:170], v[2:3], v[36:37]
	v_mul_f64 v[36:37], v[4:5], v[36:37]
	s_delay_alu instid0(VALU_DEP_4) | instskip(NEXT) | instid1(VALU_DEP_4)
	v_add_f64 v[32:33], v[165:166], v[177:178]
	v_add_f64 v[161:162], v[167:168], v[175:176]
	s_waitcnt vmcnt(6) lgkmcnt(0)
	v_mul_f64 v[165:166], v[26:27], v[40:41]
	v_mul_f64 v[40:41], v[28:29], v[40:41]
	v_fma_f64 v[167:168], v[4:5], v[34:35], v[169:170]
	v_fma_f64 v[34:35], v[2:3], v[34:35], -v[36:37]
	v_add_f64 v[36:37], v[32:33], v[30:31]
	v_add_f64 v[161:162], v[161:162], v[163:164]
	ds_load_b128 v[2:5], v1 offset:1088
	ds_load_b128 v[30:33], v1 offset:1104
	v_fma_f64 v[28:29], v[28:29], v[38:39], v[165:166]
	v_fma_f64 v[26:27], v[26:27], v[38:39], -v[40:41]
	s_waitcnt vmcnt(5) lgkmcnt(1)
	v_mul_f64 v[163:164], v[2:3], v[44:45]
	v_mul_f64 v[44:45], v[4:5], v[44:45]
	s_waitcnt vmcnt(4) lgkmcnt(0)
	v_mul_f64 v[38:39], v[30:31], v[8:9]
	v_mul_f64 v[8:9], v[32:33], v[8:9]
	v_add_f64 v[34:35], v[36:37], v[34:35]
	v_add_f64 v[36:37], v[161:162], v[167:168]
	v_fma_f64 v[40:41], v[4:5], v[42:43], v[163:164]
	v_fma_f64 v[42:43], v[2:3], v[42:43], -v[44:45]
	v_fma_f64 v[32:33], v[32:33], v[6:7], v[38:39]
	v_fma_f64 v[6:7], v[30:31], v[6:7], -v[8:9]
	v_add_f64 v[34:35], v[34:35], v[26:27]
	v_add_f64 v[36:37], v[36:37], v[28:29]
	ds_load_b128 v[2:5], v1 offset:1120
	ds_load_b128 v[26:29], v1 offset:1136
	s_waitcnt vmcnt(3) lgkmcnt(1)
	v_mul_f64 v[44:45], v[2:3], v[12:13]
	v_mul_f64 v[12:13], v[4:5], v[12:13]
	v_add_f64 v[8:9], v[34:35], v[42:43]
	v_add_f64 v[30:31], v[36:37], v[40:41]
	s_waitcnt vmcnt(2) lgkmcnt(0)
	v_mul_f64 v[34:35], v[26:27], v[16:17]
	v_mul_f64 v[16:17], v[28:29], v[16:17]
	v_fma_f64 v[36:37], v[4:5], v[10:11], v[44:45]
	v_fma_f64 v[10:11], v[2:3], v[10:11], -v[12:13]
	v_add_f64 v[12:13], v[8:9], v[6:7]
	v_add_f64 v[30:31], v[30:31], v[32:33]
	ds_load_b128 v[2:5], v1 offset:1152
	ds_load_b128 v[6:9], v1 offset:1168
	v_fma_f64 v[28:29], v[28:29], v[14:15], v[34:35]
	v_fma_f64 v[14:15], v[26:27], v[14:15], -v[16:17]
	s_waitcnt vmcnt(1) lgkmcnt(1)
	v_mul_f64 v[32:33], v[2:3], v[20:21]
	v_mul_f64 v[20:21], v[4:5], v[20:21]
	s_waitcnt vmcnt(0) lgkmcnt(0)
	v_mul_f64 v[16:17], v[6:7], v[24:25]
	v_mul_f64 v[24:25], v[8:9], v[24:25]
	v_add_f64 v[10:11], v[12:13], v[10:11]
	v_add_f64 v[12:13], v[30:31], v[36:37]
	v_fma_f64 v[4:5], v[4:5], v[18:19], v[32:33]
	v_fma_f64 v[1:2], v[2:3], v[18:19], -v[20:21]
	v_fma_f64 v[8:9], v[8:9], v[22:23], v[16:17]
	v_fma_f64 v[6:7], v[6:7], v[22:23], -v[24:25]
	v_add_f64 v[10:11], v[10:11], v[14:15]
	v_add_f64 v[12:13], v[12:13], v[28:29]
	s_delay_alu instid0(VALU_DEP_2) | instskip(NEXT) | instid1(VALU_DEP_2)
	v_add_f64 v[1:2], v[10:11], v[1:2]
	v_add_f64 v[3:4], v[12:13], v[4:5]
	s_delay_alu instid0(VALU_DEP_2) | instskip(NEXT) | instid1(VALU_DEP_2)
	;; [unrolled: 3-line block ×3, first 2 shown]
	v_add_f64 v[1:2], v[157:158], -v[1:2]
	v_add_f64 v[3:4], v[159:160], -v[3:4]
	scratch_store_b128 off, v[1:4], off
	s_cbranch_vccz .LBB36_309
; %bb.236:
	v_dual_mov_b32 v1, s16 :: v_dual_mov_b32 v2, s17
	s_load_b64 s[0:1], s[0:1], 0x4
	flat_load_b32 v1, v[1:2] offset:140
	v_bfe_u32 v2, v0, 10, 10
	v_bfe_u32 v0, v0, 20, 10
	s_waitcnt lgkmcnt(0)
	s_lshr_b32 s0, s0, 16
	s_delay_alu instid0(VALU_DEP_2) | instskip(SKIP_1) | instid1(SALU_CYCLE_1)
	v_mul_u32_u24_e32 v2, s1, v2
	s_mul_i32 s0, s0, s1
	v_mul_u32_u24_e32 v3, s0, v120
	s_mov_b32 s0, exec_lo
	s_delay_alu instid0(VALU_DEP_1) | instskip(NEXT) | instid1(VALU_DEP_1)
	v_add3_u32 v0, v3, v2, v0
	v_lshl_add_u32 v0, v0, 4, 0x4a8
	s_waitcnt vmcnt(0)
	v_cmpx_ne_u32_e32 36, v1
	s_cbranch_execz .LBB36_238
; %bb.237:
	v_lshl_add_u32 v9, v1, 4, 0
	s_clause 0x1
	scratch_load_b128 v[1:4], v128, off
	scratch_load_b128 v[5:8], v9, off offset:-16
	s_waitcnt vmcnt(1)
	ds_store_2addr_b64 v0, v[1:2], v[3:4] offset1:1
	s_waitcnt vmcnt(0)
	s_clause 0x1
	scratch_store_b128 v128, v[5:8], off
	scratch_store_b128 v9, v[1:4], off offset:-16
.LBB36_238:
	s_or_b32 exec_lo, exec_lo, s0
	v_dual_mov_b32 v1, s16 :: v_dual_mov_b32 v2, s17
	s_mov_b32 s0, exec_lo
	flat_load_b32 v1, v[1:2] offset:136
	s_waitcnt vmcnt(0) lgkmcnt(0)
	v_cmpx_ne_u32_e32 35, v1
	s_cbranch_execz .LBB36_240
; %bb.239:
	v_lshl_add_u32 v9, v1, 4, 0
	s_clause 0x1
	scratch_load_b128 v[1:4], v132, off
	scratch_load_b128 v[5:8], v9, off offset:-16
	s_waitcnt vmcnt(1)
	ds_store_2addr_b64 v0, v[1:2], v[3:4] offset1:1
	s_waitcnt vmcnt(0)
	s_clause 0x1
	scratch_store_b128 v132, v[5:8], off
	scratch_store_b128 v9, v[1:4], off offset:-16
.LBB36_240:
	s_or_b32 exec_lo, exec_lo, s0
	v_dual_mov_b32 v1, s16 :: v_dual_mov_b32 v2, s17
	s_mov_b32 s0, exec_lo
	flat_load_b32 v1, v[1:2] offset:132
	s_waitcnt vmcnt(0) lgkmcnt(0)
	;; [unrolled: 19-line block ×34, first 2 shown]
	v_cmpx_ne_u32_e32 2, v1
	s_cbranch_execz .LBB36_306
; %bb.305:
	v_lshl_add_u32 v9, v1, 4, 0
	s_clause 0x1
	scratch_load_b128 v[1:4], v124, off
	scratch_load_b128 v[5:8], v9, off offset:-16
	s_waitcnt vmcnt(1)
	ds_store_2addr_b64 v0, v[1:2], v[3:4] offset1:1
	s_waitcnt vmcnt(0)
	s_clause 0x1
	scratch_store_b128 v124, v[5:8], off
	scratch_store_b128 v9, v[1:4], off offset:-16
.LBB36_306:
	s_or_b32 exec_lo, exec_lo, s0
	v_dual_mov_b32 v1, s16 :: v_dual_mov_b32 v2, s17
	s_mov_b32 s0, exec_lo
	flat_load_b32 v1, v[1:2]
	s_waitcnt vmcnt(0) lgkmcnt(0)
	v_cmpx_ne_u32_e32 1, v1
	s_cbranch_execz .LBB36_308
; %bb.307:
	v_lshl_add_u32 v9, v1, 4, 0
	scratch_load_b128 v[1:4], off, off
	scratch_load_b128 v[5:8], v9, off offset:-16
	s_waitcnt vmcnt(1)
	ds_store_2addr_b64 v0, v[1:2], v[3:4] offset1:1
	s_waitcnt vmcnt(0)
	scratch_store_b128 off, v[5:8], off
	scratch_store_b128 v9, v[1:4], off offset:-16
.LBB36_308:
	s_or_b32 exec_lo, exec_lo, s0
.LBB36_309:
	scratch_load_b128 v[0:3], off, off
	s_clause 0x17
	scratch_load_b128 v[4:7], v124, off
	scratch_load_b128 v[8:11], v123, off
	;; [unrolled: 1-line block ×24, first 2 shown]
	s_waitcnt vmcnt(24)
	global_store_b128 v[46:47], v[0:3], off
	s_clause 0x1
	scratch_load_b128 v[0:3], v156, off
	scratch_load_b128 v[44:47], v155, off
	s_waitcnt vmcnt(25)
	global_store_b128 v[48:49], v[4:7], off
	s_clause 0x1
	scratch_load_b128 v[4:7], v154, off
	scratch_load_b128 v[151:154], v153, off
	;; [unrolled: 5-line block ×6, first 2 shown]
	s_waitcnt vmcnt(30)
	global_store_b128 v[58:59], v[24:27], off
	s_waitcnt vmcnt(29)
	global_store_b128 v[60:61], v[28:31], off
	;; [unrolled: 2-line block ×31, first 2 shown]
	s_endpgm
	.section	.rodata,"a",@progbits
	.p2align	6, 0x0
	.amdhsa_kernel _ZN9rocsolver6v33100L18getri_kernel_smallILi37E19rocblas_complex_numIdEPS3_EEvT1_iilPiilS6_bb
		.amdhsa_group_segment_fixed_size 2216
		.amdhsa_private_segment_fixed_size 608
		.amdhsa_kernarg_size 60
		.amdhsa_user_sgpr_count 15
		.amdhsa_user_sgpr_dispatch_ptr 1
		.amdhsa_user_sgpr_queue_ptr 0
		.amdhsa_user_sgpr_kernarg_segment_ptr 1
		.amdhsa_user_sgpr_dispatch_id 0
		.amdhsa_user_sgpr_private_segment_size 0
		.amdhsa_wavefront_size32 1
		.amdhsa_uses_dynamic_stack 0
		.amdhsa_enable_private_segment 1
		.amdhsa_system_sgpr_workgroup_id_x 1
		.amdhsa_system_sgpr_workgroup_id_y 0
		.amdhsa_system_sgpr_workgroup_id_z 0
		.amdhsa_system_sgpr_workgroup_info 0
		.amdhsa_system_vgpr_workitem_id 2
		.amdhsa_next_free_vgpr 213
		.amdhsa_next_free_sgpr 44
		.amdhsa_reserve_vcc 1
		.amdhsa_float_round_mode_32 0
		.amdhsa_float_round_mode_16_64 0
		.amdhsa_float_denorm_mode_32 3
		.amdhsa_float_denorm_mode_16_64 3
		.amdhsa_dx10_clamp 1
		.amdhsa_ieee_mode 1
		.amdhsa_fp16_overflow 0
		.amdhsa_workgroup_processor_mode 1
		.amdhsa_memory_ordered 1
		.amdhsa_forward_progress 0
		.amdhsa_shared_vgpr_count 0
		.amdhsa_exception_fp_ieee_invalid_op 0
		.amdhsa_exception_fp_denorm_src 0
		.amdhsa_exception_fp_ieee_div_zero 0
		.amdhsa_exception_fp_ieee_overflow 0
		.amdhsa_exception_fp_ieee_underflow 0
		.amdhsa_exception_fp_ieee_inexact 0
		.amdhsa_exception_int_div_zero 0
	.end_amdhsa_kernel
	.section	.text._ZN9rocsolver6v33100L18getri_kernel_smallILi37E19rocblas_complex_numIdEPS3_EEvT1_iilPiilS6_bb,"axG",@progbits,_ZN9rocsolver6v33100L18getri_kernel_smallILi37E19rocblas_complex_numIdEPS3_EEvT1_iilPiilS6_bb,comdat
.Lfunc_end36:
	.size	_ZN9rocsolver6v33100L18getri_kernel_smallILi37E19rocblas_complex_numIdEPS3_EEvT1_iilPiilS6_bb, .Lfunc_end36-_ZN9rocsolver6v33100L18getri_kernel_smallILi37E19rocblas_complex_numIdEPS3_EEvT1_iilPiilS6_bb
                                        ; -- End function
	.section	.AMDGPU.csdata,"",@progbits
; Kernel info:
; codeLenInByte = 68388
; NumSgprs: 46
; NumVgprs: 213
; ScratchSize: 608
; MemoryBound: 0
; FloatMode: 240
; IeeeMode: 1
; LDSByteSize: 2216 bytes/workgroup (compile time only)
; SGPRBlocks: 5
; VGPRBlocks: 26
; NumSGPRsForWavesPerEU: 46
; NumVGPRsForWavesPerEU: 213
; Occupancy: 7
; WaveLimiterHint : 1
; COMPUTE_PGM_RSRC2:SCRATCH_EN: 1
; COMPUTE_PGM_RSRC2:USER_SGPR: 15
; COMPUTE_PGM_RSRC2:TRAP_HANDLER: 0
; COMPUTE_PGM_RSRC2:TGID_X_EN: 1
; COMPUTE_PGM_RSRC2:TGID_Y_EN: 0
; COMPUTE_PGM_RSRC2:TGID_Z_EN: 0
; COMPUTE_PGM_RSRC2:TIDIG_COMP_CNT: 2
	.section	.text._ZN9rocsolver6v33100L18getri_kernel_smallILi38E19rocblas_complex_numIdEPS3_EEvT1_iilPiilS6_bb,"axG",@progbits,_ZN9rocsolver6v33100L18getri_kernel_smallILi38E19rocblas_complex_numIdEPS3_EEvT1_iilPiilS6_bb,comdat
	.globl	_ZN9rocsolver6v33100L18getri_kernel_smallILi38E19rocblas_complex_numIdEPS3_EEvT1_iilPiilS6_bb ; -- Begin function _ZN9rocsolver6v33100L18getri_kernel_smallILi38E19rocblas_complex_numIdEPS3_EEvT1_iilPiilS6_bb
	.p2align	8
	.type	_ZN9rocsolver6v33100L18getri_kernel_smallILi38E19rocblas_complex_numIdEPS3_EEvT1_iilPiilS6_bb,@function
_ZN9rocsolver6v33100L18getri_kernel_smallILi38E19rocblas_complex_numIdEPS3_EEvT1_iilPiilS6_bb: ; @_ZN9rocsolver6v33100L18getri_kernel_smallILi38E19rocblas_complex_numIdEPS3_EEvT1_iilPiilS6_bb
; %bb.0:
	v_and_b32_e32 v122, 0x3ff, v0
	s_mov_b32 s4, exec_lo
	s_delay_alu instid0(VALU_DEP_1)
	v_cmpx_gt_u32_e32 38, v122
	s_cbranch_execz .LBB37_166
; %bb.1:
	s_mov_b32 s18, s15
	s_clause 0x2
	s_load_b32 s21, s[2:3], 0x38
	s_load_b128 s[12:15], s[2:3], 0x10
	s_load_b128 s[4:7], s[2:3], 0x28
                                        ; implicit-def: $sgpr16_sgpr17
	s_waitcnt lgkmcnt(0)
	s_bitcmp1_b32 s21, 8
	s_cselect_b32 s20, -1, 0
	s_bfe_u32 s8, s21, 0x10008
	s_ashr_i32 s19, s18, 31
	s_cmp_eq_u32 s8, 0
	s_cbranch_scc1 .LBB37_3
; %bb.2:
	s_load_b32 s8, s[2:3], 0x20
	s_mul_i32 s5, s18, s5
	s_mul_hi_u32 s9, s18, s4
	s_mul_i32 s10, s19, s4
	s_add_i32 s5, s9, s5
	s_mul_i32 s4, s18, s4
	s_add_i32 s5, s5, s10
	s_delay_alu instid0(SALU_CYCLE_1)
	s_lshl_b64 s[4:5], s[4:5], 2
	s_waitcnt lgkmcnt(0)
	s_ashr_i32 s9, s8, 31
	s_add_u32 s10, s14, s4
	s_addc_u32 s11, s15, s5
	s_lshl_b64 s[4:5], s[8:9], 2
	s_delay_alu instid0(SALU_CYCLE_1)
	s_add_u32 s16, s10, s4
	s_addc_u32 s17, s11, s5
.LBB37_3:
	s_load_b128 s[8:11], s[2:3], 0x0
	s_mul_i32 s2, s18, s13
	s_mul_hi_u32 s3, s18, s12
	s_mul_i32 s4, s19, s12
	s_add_i32 s3, s3, s2
	s_mul_i32 s2, s18, s12
	s_add_i32 s3, s3, s4
	v_lshlrev_b32_e32 v13, 4, v122
	s_lshl_b64 s[2:3], s[2:3], 4
	s_movk_i32 s12, 0xd0
	s_movk_i32 s13, 0xe0
	;; [unrolled: 1-line block ×11, first 2 shown]
	s_waitcnt lgkmcnt(0)
	v_add3_u32 v5, s11, s11, v122
	s_ashr_i32 s5, s10, 31
	s_mov_b32 s4, s10
	s_add_u32 s8, s8, s2
	s_addc_u32 s9, s9, s3
	v_add_nc_u32_e32 v7, s11, v5
	s_lshl_b64 s[2:3], s[4:5], 4
	v_ashrrev_i32_e32 v6, 31, v5
	s_add_u32 s2, s8, s2
	s_addc_u32 s3, s9, s3
	v_add_nc_u32_e32 v14, s11, v7
	v_add_co_u32 v46, s8, s2, v13
	v_ashrrev_i32_e32 v8, 31, v7
	s_mov_b32 s4, s11
	s_delay_alu instid0(VALU_DEP_3) | instskip(SKIP_3) | instid1(VALU_DEP_3)
	v_add_nc_u32_e32 v16, s11, v14
	s_ashr_i32 s5, s11, 31
	v_add_co_ci_u32_e64 v47, null, s3, 0, s8
	v_lshlrev_b64 v[5:6], 4, v[5:6]
	v_add_nc_u32_e32 v22, s11, v16
	s_lshl_b64 s[4:5], s[4:5], 4
	v_ashrrev_i32_e32 v15, 31, v14
	v_add_co_u32 v50, vcc_lo, v46, s4
	s_delay_alu instid0(VALU_DEP_3) | instskip(SKIP_3) | instid1(VALU_DEP_4)
	v_add_nc_u32_e32 v24, s11, v22
	v_lshlrev_b64 v[18:19], 4, v[7:8]
	v_ashrrev_i32_e32 v17, 31, v16
	v_add_co_ci_u32_e32 v51, vcc_lo, s5, v47, vcc_lo
	v_add_nc_u32_e32 v30, s11, v24
	v_add_co_u32 v48, vcc_lo, s2, v5
	v_lshlrev_b64 v[14:15], 4, v[14:15]
	v_ashrrev_i32_e32 v23, 31, v22
	v_add_co_ci_u32_e32 v49, vcc_lo, s3, v6, vcc_lo
	v_add_co_u32 v54, vcc_lo, s2, v18
	v_lshlrev_b64 v[26:27], 4, v[16:17]
	v_add_nc_u32_e32 v32, s11, v30
	v_ashrrev_i32_e32 v25, 31, v24
	v_add_co_ci_u32_e32 v55, vcc_lo, s3, v19, vcc_lo
	v_add_co_u32 v52, vcc_lo, s2, v14
	v_lshlrev_b64 v[22:23], 4, v[22:23]
	v_ashrrev_i32_e32 v31, 31, v30
	v_add_co_ci_u32_e32 v53, vcc_lo, s3, v15, vcc_lo
	v_add_nc_u32_e32 v68, s11, v32
	v_add_co_u32 v58, vcc_lo, s2, v26
	v_lshlrev_b64 v[34:35], 4, v[24:25]
	v_ashrrev_i32_e32 v33, 31, v32
	v_add_co_ci_u32_e32 v59, vcc_lo, s3, v27, vcc_lo
	v_add_co_u32 v56, vcc_lo, s2, v22
	v_lshlrev_b64 v[30:31], 4, v[30:31]
	v_ashrrev_i32_e32 v69, 31, v68
	v_add_co_ci_u32_e32 v57, vcc_lo, s3, v23, vcc_lo
	v_add_co_u32 v60, vcc_lo, s2, v34
	v_lshlrev_b64 v[32:33], 4, v[32:33]
	v_add_co_ci_u32_e32 v61, vcc_lo, s3, v35, vcc_lo
	v_add_co_u32 v62, vcc_lo, s2, v30
	v_lshlrev_b64 v[42:43], 4, v[68:69]
	v_add_co_ci_u32_e32 v63, vcc_lo, s3, v31, vcc_lo
	v_add_co_u32 v64, vcc_lo, s2, v32
	v_add_co_ci_u32_e32 v65, vcc_lo, s3, v33, vcc_lo
	s_delay_alu instid0(VALU_DEP_4)
	v_add_co_u32 v66, vcc_lo, s2, v42
	global_load_b128 v[1:4], v13, s[2:3]
	v_add_co_ci_u32_e32 v67, vcc_lo, s3, v43, vcc_lo
	s_clause 0x9
	global_load_b128 v[5:8], v[50:51], off
	global_load_b128 v[9:12], v[48:49], off
	;; [unrolled: 1-line block ×10, first 2 shown]
	v_add_nc_u32_e32 v68, s11, v68
	s_movk_i32 s4, 0x70
	s_movk_i32 s5, 0x80
	;; [unrolled: 1-line block ×4, first 2 shown]
	v_add_nc_u32_e32 v70, s11, v68
	v_ashrrev_i32_e32 v69, 31, v68
	s_movk_i32 s10, 0xb0
	s_movk_i32 s29, 0x180
	;; [unrolled: 1-line block ×3, first 2 shown]
	v_add_nc_u32_e32 v72, s11, v70
	v_ashrrev_i32_e32 v71, 31, v70
	v_lshlrev_b64 v[68:69], 4, v[68:69]
	s_movk_i32 s31, 0x1a0
	s_movk_i32 s33, 0x1b0
	v_add_nc_u32_e32 v74, s11, v72
	v_ashrrev_i32_e32 v73, 31, v72
	v_lshlrev_b64 v[70:71], 4, v[70:71]
	v_add_co_u32 v68, vcc_lo, s2, v68
	s_delay_alu instid0(VALU_DEP_4) | instskip(SKIP_3) | instid1(VALU_DEP_4)
	v_add_nc_u32_e32 v76, s11, v74
	v_ashrrev_i32_e32 v75, 31, v74
	v_lshlrev_b64 v[72:73], 4, v[72:73]
	v_add_co_ci_u32_e32 v69, vcc_lo, s3, v69, vcc_lo
	v_add_nc_u32_e32 v78, s11, v76
	v_ashrrev_i32_e32 v77, 31, v76
	v_add_co_u32 v70, vcc_lo, s2, v70
	v_lshlrev_b64 v[74:75], 4, v[74:75]
	s_delay_alu instid0(VALU_DEP_4) | instskip(SKIP_3) | instid1(VALU_DEP_4)
	v_add_nc_u32_e32 v80, s11, v78
	v_ashrrev_i32_e32 v79, 31, v78
	v_add_co_ci_u32_e32 v71, vcc_lo, s3, v71, vcc_lo
	v_add_co_u32 v72, vcc_lo, s2, v72
	v_add_nc_u32_e32 v82, s11, v80
	v_lshlrev_b64 v[76:77], 4, v[76:77]
	v_ashrrev_i32_e32 v81, 31, v80
	v_add_co_ci_u32_e32 v73, vcc_lo, s3, v73, vcc_lo
	s_delay_alu instid0(VALU_DEP_4) | instskip(SKIP_3) | instid1(VALU_DEP_4)
	v_add_nc_u32_e32 v84, s11, v82
	v_add_co_u32 v74, vcc_lo, s2, v74
	v_lshlrev_b64 v[78:79], 4, v[78:79]
	v_ashrrev_i32_e32 v83, 31, v82
	v_add_nc_u32_e32 v86, s11, v84
	v_add_co_ci_u32_e32 v75, vcc_lo, s3, v75, vcc_lo
	v_add_co_u32 v76, vcc_lo, s2, v76
	s_delay_alu instid0(VALU_DEP_3) | instskip(SKIP_3) | instid1(VALU_DEP_4)
	v_add_nc_u32_e32 v88, s11, v86
	v_lshlrev_b64 v[80:81], 4, v[80:81]
	v_ashrrev_i32_e32 v85, 31, v84
	v_add_co_ci_u32_e32 v77, vcc_lo, s3, v77, vcc_lo
	v_add_nc_u32_e32 v90, s11, v88
	v_add_co_u32 v78, vcc_lo, s2, v78
	v_lshlrev_b64 v[82:83], 4, v[82:83]
	v_ashrrev_i32_e32 v87, 31, v86
	s_delay_alu instid0(VALU_DEP_4) | instskip(SKIP_2) | instid1(VALU_DEP_3)
	v_add_nc_u32_e32 v92, s11, v90
	v_add_co_ci_u32_e32 v79, vcc_lo, s3, v79, vcc_lo
	v_add_co_u32 v80, vcc_lo, s2, v80
	v_add_nc_u32_e32 v94, s11, v92
	v_lshlrev_b64 v[84:85], 4, v[84:85]
	v_ashrrev_i32_e32 v89, 31, v88
	v_add_co_ci_u32_e32 v81, vcc_lo, s3, v81, vcc_lo
	s_delay_alu instid0(VALU_DEP_4) | instskip(SKIP_3) | instid1(VALU_DEP_4)
	v_add_nc_u32_e32 v96, s11, v94
	v_add_co_u32 v82, vcc_lo, s2, v82
	v_lshlrev_b64 v[86:87], 4, v[86:87]
	v_ashrrev_i32_e32 v91, 31, v90
	v_add_nc_u32_e32 v98, s11, v96
	v_add_co_ci_u32_e32 v83, vcc_lo, s3, v83, vcc_lo
	v_add_co_u32 v84, vcc_lo, s2, v84
	s_delay_alu instid0(VALU_DEP_3) | instskip(SKIP_3) | instid1(VALU_DEP_4)
	v_add_nc_u32_e32 v100, s11, v98
	v_lshlrev_b64 v[88:89], 4, v[88:89]
	v_ashrrev_i32_e32 v93, 31, v92
	v_add_co_ci_u32_e32 v85, vcc_lo, s3, v85, vcc_lo
	v_add_nc_u32_e32 v102, s11, v100
	v_add_co_u32 v86, vcc_lo, s2, v86
	v_lshlrev_b64 v[90:91], 4, v[90:91]
	v_ashrrev_i32_e32 v95, 31, v94
	s_delay_alu instid0(VALU_DEP_4) | instskip(SKIP_2) | instid1(VALU_DEP_3)
	v_add_nc_u32_e32 v104, s11, v102
	v_add_co_ci_u32_e32 v87, vcc_lo, s3, v87, vcc_lo
	v_add_co_u32 v88, vcc_lo, s2, v88
	v_add_nc_u32_e32 v106, s11, v104
	v_lshlrev_b64 v[92:93], 4, v[92:93]
	v_ashrrev_i32_e32 v97, 31, v96
	v_add_co_ci_u32_e32 v89, vcc_lo, s3, v89, vcc_lo
	s_delay_alu instid0(VALU_DEP_4) | instskip(SKIP_3) | instid1(VALU_DEP_4)
	v_add_nc_u32_e32 v108, s11, v106
	v_add_co_u32 v90, vcc_lo, s2, v90
	v_lshlrev_b64 v[94:95], 4, v[94:95]
	v_add_co_ci_u32_e32 v91, vcc_lo, s3, v91, vcc_lo
	v_add_nc_u32_e32 v110, s11, v108
	v_add_co_u32 v92, vcc_lo, s2, v92
	v_lshlrev_b64 v[96:97], 4, v[96:97]
	v_ashrrev_i32_e32 v99, 31, v98
	s_delay_alu instid0(VALU_DEP_4) | instskip(SKIP_2) | instid1(VALU_DEP_3)
	v_add_nc_u32_e32 v112, s11, v110
	v_add_co_ci_u32_e32 v93, vcc_lo, s3, v93, vcc_lo
	v_add_co_u32 v94, vcc_lo, s2, v94
	v_add_nc_u32_e32 v114, s11, v112
	v_ashrrev_i32_e32 v101, 31, v100
	v_add_co_ci_u32_e32 v95, vcc_lo, s3, v95, vcc_lo
	v_lshlrev_b64 v[123:124], 4, v[98:99]
	s_delay_alu instid0(VALU_DEP_4) | instskip(SKIP_3) | instid1(VALU_DEP_4)
	v_add_nc_u32_e32 v116, s11, v114
	v_add_co_u32 v98, vcc_lo, s2, v96
	v_ashrrev_i32_e32 v103, 31, v102
	v_add_co_ci_u32_e32 v99, vcc_lo, s3, v97, vcc_lo
	v_add_nc_u32_e32 v118, s11, v116
	v_lshlrev_b64 v[125:126], 4, v[100:101]
	v_ashrrev_i32_e32 v105, 31, v104
	v_ashrrev_i32_e32 v107, 31, v106
	;; [unrolled: 1-line block ×3, first 2 shown]
	v_add_nc_u32_e32 v119, s11, v118
	v_ashrrev_i32_e32 v111, 31, v110
	v_ashrrev_i32_e32 v113, 31, v112
	;; [unrolled: 1-line block ×5, first 2 shown]
	s_clause 0x7
	global_load_b128 v[127:130], v[68:69], off
	global_load_b128 v[131:134], v[70:71], off
	;; [unrolled: 1-line block ×8, first 2 shown]
	v_lshlrev_b64 v[119:120], 4, v[119:120]
	s_clause 0x5
	global_load_b128 v[176:179], v[84:85], off
	global_load_b128 v[180:183], v[86:87], off
	;; [unrolled: 1-line block ×6, first 2 shown]
	s_movk_i32 s11, 0xc0
	s_movk_i32 s34, 0x1c0
	v_add_co_u32 v96, vcc_lo, s2, v119
	v_add_co_ci_u32_e32 v97, vcc_lo, s3, v120, vcc_lo
	v_add_co_u32 v100, vcc_lo, s2, v123
	v_lshlrev_b64 v[119:120], 4, v[102:103]
	v_add_co_ci_u32_e32 v101, vcc_lo, s3, v124, vcc_lo
	v_add_co_u32 v102, vcc_lo, s2, v125
	v_add_co_ci_u32_e32 v103, vcc_lo, s3, v126, vcc_lo
	v_lshlrev_b64 v[123:124], 4, v[104:105]
	v_add_co_u32 v104, vcc_lo, s2, v119
	v_add_co_ci_u32_e32 v105, vcc_lo, s3, v120, vcc_lo
	v_lshlrev_b64 v[119:120], 4, v[106:107]
	s_delay_alu instid0(VALU_DEP_4) | instskip(SKIP_2) | instid1(VALU_DEP_4)
	v_add_co_u32 v106, vcc_lo, s2, v123
	v_add_co_ci_u32_e32 v107, vcc_lo, s3, v124, vcc_lo
	v_lshlrev_b64 v[123:124], 4, v[108:109]
	v_add_co_u32 v108, vcc_lo, s2, v119
	v_add_co_ci_u32_e32 v109, vcc_lo, s3, v120, vcc_lo
	v_lshlrev_b64 v[119:120], 4, v[110:111]
	s_delay_alu instid0(VALU_DEP_4) | instskip(SKIP_2) | instid1(VALU_DEP_4)
	v_add_co_u32 v110, vcc_lo, s2, v123
	v_add_co_ci_u32_e32 v111, vcc_lo, s3, v124, vcc_lo
	v_lshlrev_b64 v[123:124], 4, v[112:113]
	v_add_co_u32 v112, vcc_lo, s2, v119
	v_add_co_ci_u32_e32 v113, vcc_lo, s3, v120, vcc_lo
	v_lshlrev_b64 v[120:121], 4, v[114:115]
	s_delay_alu instid0(VALU_DEP_4)
	v_add_co_u32 v114, vcc_lo, s2, v123
	v_ashrrev_i32_e32 v119, 31, v118
	v_add_co_ci_u32_e32 v115, vcc_lo, s3, v124, vcc_lo
	v_lshlrev_b64 v[123:124], 4, v[116:117]
	v_add_co_u32 v116, vcc_lo, s2, v120
	v_add_co_ci_u32_e32 v117, vcc_lo, s3, v121, vcc_lo
	v_lshlrev_b64 v[120:121], 4, v[118:119]
	s_delay_alu instid0(VALU_DEP_4)
	v_add_co_u32 v118, vcc_lo, s2, v123
	v_add_co_ci_u32_e32 v119, vcc_lo, s3, v124, vcc_lo
	global_load_b128 v[200:203], v[96:97], off
	v_add_co_u32 v120, vcc_lo, s2, v120
	v_add_co_ci_u32_e32 v121, vcc_lo, s3, v121, vcc_lo
	s_movk_i32 s2, 0x50
	s_movk_i32 s3, 0x60
	s_movk_i32 s35, 0x1d0
	s_movk_i32 s36, 0x1e0
	s_movk_i32 s37, 0x1f0
	s_movk_i32 s38, 0x200
	s_movk_i32 s39, 0x210
	s_movk_i32 s40, 0x220
	s_movk_i32 s41, 0x230
	s_movk_i32 s42, 0x240
	s_movk_i32 s43, 0x250
	v_add_nc_u32_e64 v126, 0, 16
	v_add_nc_u32_e64 v124, 0, 32
	;; [unrolled: 1-line block ×21, first 2 shown]
	s_mov_b32 s3, -1
	s_bitcmp0_b32 s21, 0
	s_waitcnt vmcnt(25)
	scratch_store_b128 off, v[1:4], off
	s_clause 0x1
	global_load_b128 v[1:4], v[98:99], off
	global_load_b128 v[204:207], v[100:101], off
	s_waitcnt vmcnt(26)
	scratch_store_b128 off, v[5:8], off offset:16
	s_waitcnt vmcnt(25)
	scratch_store_b128 off, v[9:12], off offset:32
	s_clause 0x1
	global_load_b128 v[5:8], v[102:103], off
	global_load_b128 v[9:12], v[104:105], off
	s_waitcnt vmcnt(26)
	scratch_store_b128 off, v[14:17], off offset:48
	s_waitcnt vmcnt(25)
	scratch_store_b128 off, v[18:21], off offset:64
	;; [unrolled: 7-line block ×6, first 2 shown]
	s_waitcnt vmcnt(24)
	scratch_store_b128 off, v[135:138], off offset:208
	s_waitcnt vmcnt(23)
	scratch_store_b128 off, v[139:142], off offset:224
	v_add_nc_u32_e64 v142, s24, 0
	v_add_nc_u32_e64 v141, s25, 0
	;; [unrolled: 1-line block ×16, first 2 shown]
	s_waitcnt vmcnt(22)
	scratch_store_b128 off, v[160:163], off offset:240
	s_waitcnt vmcnt(21)
	scratch_store_b128 off, v[164:167], off offset:256
	;; [unrolled: 2-line block ×21, first 2 shown]
	s_waitcnt vmcnt(0)
	s_clause 0x1
	scratch_store_b128 off, v[42:45], off offset:576
	scratch_store_b128 off, v[200:203], off offset:592
	s_cbranch_scc1 .LBB37_164
; %bb.4:
	v_cmp_eq_u32_e64 s2, 0, v122
	s_delay_alu instid0(VALU_DEP_1)
	s_and_saveexec_b32 s3, s2
	s_cbranch_execz .LBB37_6
; %bb.5:
	v_mov_b32_e32 v1, 0
	ds_store_b32 v1, v1 offset:1216
.LBB37_6:
	s_or_b32 exec_lo, exec_lo, s3
	s_waitcnt lgkmcnt(0)
	s_waitcnt_vscnt null, 0x0
	s_barrier
	buffer_gl0_inv
	scratch_load_b128 v[1:4], v13, off
	s_waitcnt vmcnt(0)
	v_cmp_eq_f64_e32 vcc_lo, 0, v[1:2]
	v_cmp_eq_f64_e64 s3, 0, v[3:4]
	s_delay_alu instid0(VALU_DEP_1) | instskip(NEXT) | instid1(SALU_CYCLE_1)
	s_and_b32 s3, vcc_lo, s3
	s_and_saveexec_b32 s4, s3
	s_cbranch_execz .LBB37_10
; %bb.7:
	v_mov_b32_e32 v1, 0
	s_mov_b32 s5, 0
	ds_load_b32 v2, v1 offset:1216
	s_waitcnt lgkmcnt(0)
	v_readfirstlane_b32 s3, v2
	v_add_nc_u32_e32 v2, 1, v122
	s_delay_alu instid0(VALU_DEP_2) | instskip(NEXT) | instid1(VALU_DEP_1)
	s_cmp_eq_u32 s3, 0
	v_cmp_gt_i32_e32 vcc_lo, s3, v2
	s_cselect_b32 s8, -1, 0
	s_delay_alu instid0(SALU_CYCLE_1) | instskip(NEXT) | instid1(SALU_CYCLE_1)
	s_or_b32 s8, s8, vcc_lo
	s_and_b32 exec_lo, exec_lo, s8
	s_cbranch_execz .LBB37_10
; %bb.8:
	v_mov_b32_e32 v3, s3
.LBB37_9:                               ; =>This Inner Loop Header: Depth=1
	ds_cmpstore_rtn_b32 v3, v1, v2, v3 offset:1216
	s_waitcnt lgkmcnt(0)
	v_cmp_ne_u32_e32 vcc_lo, 0, v3
	v_cmp_le_i32_e64 s3, v3, v2
	s_delay_alu instid0(VALU_DEP_1) | instskip(NEXT) | instid1(SALU_CYCLE_1)
	s_and_b32 s3, vcc_lo, s3
	s_and_b32 s3, exec_lo, s3
	s_delay_alu instid0(SALU_CYCLE_1) | instskip(NEXT) | instid1(SALU_CYCLE_1)
	s_or_b32 s5, s3, s5
	s_and_not1_b32 exec_lo, exec_lo, s5
	s_cbranch_execnz .LBB37_9
.LBB37_10:
	s_or_b32 exec_lo, exec_lo, s4
	v_mov_b32_e32 v1, 0
	s_barrier
	buffer_gl0_inv
	ds_load_b32 v2, v1 offset:1216
	s_and_saveexec_b32 s3, s2
	s_cbranch_execz .LBB37_12
; %bb.11:
	s_lshl_b64 s[4:5], s[18:19], 2
	s_delay_alu instid0(SALU_CYCLE_1)
	s_add_u32 s4, s6, s4
	s_addc_u32 s5, s7, s5
	s_waitcnt lgkmcnt(0)
	global_store_b32 v1, v2, s[4:5]
.LBB37_12:
	s_or_b32 exec_lo, exec_lo, s3
	s_waitcnt lgkmcnt(0)
	v_cmp_ne_u32_e32 vcc_lo, 0, v2
	s_mov_b32 s3, 0
	s_cbranch_vccnz .LBB37_164
; %bb.13:
	v_add_nc_u32_e32 v14, 0, v13
                                        ; implicit-def: $vgpr9_vgpr10
	scratch_load_b128 v[1:4], v14, off
	s_waitcnt vmcnt(0)
	v_mov_b32_e32 v5, v1
	v_cmp_gt_f64_e32 vcc_lo, 0, v[1:2]
	v_xor_b32_e32 v6, 0x80000000, v2
	v_xor_b32_e32 v7, 0x80000000, v4
	s_delay_alu instid0(VALU_DEP_2) | instskip(SKIP_1) | instid1(VALU_DEP_3)
	v_cndmask_b32_e32 v6, v2, v6, vcc_lo
	v_cmp_gt_f64_e32 vcc_lo, 0, v[3:4]
	v_dual_cndmask_b32 v8, v4, v7 :: v_dual_mov_b32 v7, v3
	s_delay_alu instid0(VALU_DEP_1) | instskip(SKIP_1) | instid1(SALU_CYCLE_1)
	v_cmp_ngt_f64_e32 vcc_lo, v[5:6], v[7:8]
                                        ; implicit-def: $vgpr5_vgpr6
	s_and_saveexec_b32 s3, vcc_lo
	s_xor_b32 s3, exec_lo, s3
	s_cbranch_execz .LBB37_15
; %bb.14:
	v_div_scale_f64 v[5:6], null, v[3:4], v[3:4], v[1:2]
	v_div_scale_f64 v[11:12], vcc_lo, v[1:2], v[3:4], v[1:2]
	s_delay_alu instid0(VALU_DEP_2) | instskip(SKIP_2) | instid1(VALU_DEP_1)
	v_rcp_f64_e32 v[7:8], v[5:6]
	s_waitcnt_depctr 0xfff
	v_fma_f64 v[9:10], -v[5:6], v[7:8], 1.0
	v_fma_f64 v[7:8], v[7:8], v[9:10], v[7:8]
	s_delay_alu instid0(VALU_DEP_1) | instskip(NEXT) | instid1(VALU_DEP_1)
	v_fma_f64 v[9:10], -v[5:6], v[7:8], 1.0
	v_fma_f64 v[7:8], v[7:8], v[9:10], v[7:8]
	s_delay_alu instid0(VALU_DEP_1) | instskip(NEXT) | instid1(VALU_DEP_1)
	v_mul_f64 v[9:10], v[11:12], v[7:8]
	v_fma_f64 v[5:6], -v[5:6], v[9:10], v[11:12]
	s_delay_alu instid0(VALU_DEP_1) | instskip(NEXT) | instid1(VALU_DEP_1)
	v_div_fmas_f64 v[5:6], v[5:6], v[7:8], v[9:10]
	v_div_fixup_f64 v[5:6], v[5:6], v[3:4], v[1:2]
	s_delay_alu instid0(VALU_DEP_1) | instskip(NEXT) | instid1(VALU_DEP_1)
	v_fma_f64 v[1:2], v[1:2], v[5:6], v[3:4]
	v_div_scale_f64 v[3:4], null, v[1:2], v[1:2], 1.0
	v_div_scale_f64 v[11:12], vcc_lo, 1.0, v[1:2], 1.0
	s_delay_alu instid0(VALU_DEP_2) | instskip(SKIP_2) | instid1(VALU_DEP_1)
	v_rcp_f64_e32 v[7:8], v[3:4]
	s_waitcnt_depctr 0xfff
	v_fma_f64 v[9:10], -v[3:4], v[7:8], 1.0
	v_fma_f64 v[7:8], v[7:8], v[9:10], v[7:8]
	s_delay_alu instid0(VALU_DEP_1) | instskip(NEXT) | instid1(VALU_DEP_1)
	v_fma_f64 v[9:10], -v[3:4], v[7:8], 1.0
	v_fma_f64 v[7:8], v[7:8], v[9:10], v[7:8]
	s_delay_alu instid0(VALU_DEP_1) | instskip(NEXT) | instid1(VALU_DEP_1)
	v_mul_f64 v[9:10], v[11:12], v[7:8]
	v_fma_f64 v[3:4], -v[3:4], v[9:10], v[11:12]
	s_delay_alu instid0(VALU_DEP_1) | instskip(NEXT) | instid1(VALU_DEP_1)
	v_div_fmas_f64 v[3:4], v[3:4], v[7:8], v[9:10]
	v_div_fixup_f64 v[7:8], v[3:4], v[1:2], 1.0
                                        ; implicit-def: $vgpr1_vgpr2
	s_delay_alu instid0(VALU_DEP_1) | instskip(SKIP_1) | instid1(VALU_DEP_2)
	v_mul_f64 v[5:6], v[5:6], v[7:8]
	v_xor_b32_e32 v8, 0x80000000, v8
	v_xor_b32_e32 v10, 0x80000000, v6
	s_delay_alu instid0(VALU_DEP_3)
	v_mov_b32_e32 v9, v5
.LBB37_15:
	s_and_not1_saveexec_b32 s3, s3
	s_cbranch_execz .LBB37_17
; %bb.16:
	v_div_scale_f64 v[5:6], null, v[1:2], v[1:2], v[3:4]
	v_div_scale_f64 v[11:12], vcc_lo, v[3:4], v[1:2], v[3:4]
	s_delay_alu instid0(VALU_DEP_2) | instskip(SKIP_2) | instid1(VALU_DEP_1)
	v_rcp_f64_e32 v[7:8], v[5:6]
	s_waitcnt_depctr 0xfff
	v_fma_f64 v[9:10], -v[5:6], v[7:8], 1.0
	v_fma_f64 v[7:8], v[7:8], v[9:10], v[7:8]
	s_delay_alu instid0(VALU_DEP_1) | instskip(NEXT) | instid1(VALU_DEP_1)
	v_fma_f64 v[9:10], -v[5:6], v[7:8], 1.0
	v_fma_f64 v[7:8], v[7:8], v[9:10], v[7:8]
	s_delay_alu instid0(VALU_DEP_1) | instskip(NEXT) | instid1(VALU_DEP_1)
	v_mul_f64 v[9:10], v[11:12], v[7:8]
	v_fma_f64 v[5:6], -v[5:6], v[9:10], v[11:12]
	s_delay_alu instid0(VALU_DEP_1) | instskip(NEXT) | instid1(VALU_DEP_1)
	v_div_fmas_f64 v[5:6], v[5:6], v[7:8], v[9:10]
	v_div_fixup_f64 v[7:8], v[5:6], v[1:2], v[3:4]
	s_delay_alu instid0(VALU_DEP_1) | instskip(NEXT) | instid1(VALU_DEP_1)
	v_fma_f64 v[1:2], v[3:4], v[7:8], v[1:2]
	v_div_scale_f64 v[3:4], null, v[1:2], v[1:2], 1.0
	s_delay_alu instid0(VALU_DEP_1) | instskip(SKIP_2) | instid1(VALU_DEP_1)
	v_rcp_f64_e32 v[5:6], v[3:4]
	s_waitcnt_depctr 0xfff
	v_fma_f64 v[9:10], -v[3:4], v[5:6], 1.0
	v_fma_f64 v[5:6], v[5:6], v[9:10], v[5:6]
	s_delay_alu instid0(VALU_DEP_1) | instskip(NEXT) | instid1(VALU_DEP_1)
	v_fma_f64 v[9:10], -v[3:4], v[5:6], 1.0
	v_fma_f64 v[5:6], v[5:6], v[9:10], v[5:6]
	v_div_scale_f64 v[9:10], vcc_lo, 1.0, v[1:2], 1.0
	s_delay_alu instid0(VALU_DEP_1) | instskip(NEXT) | instid1(VALU_DEP_1)
	v_mul_f64 v[11:12], v[9:10], v[5:6]
	v_fma_f64 v[3:4], -v[3:4], v[11:12], v[9:10]
	s_delay_alu instid0(VALU_DEP_1) | instskip(NEXT) | instid1(VALU_DEP_1)
	v_div_fmas_f64 v[3:4], v[3:4], v[5:6], v[11:12]
	v_div_fixup_f64 v[5:6], v[3:4], v[1:2], 1.0
	s_delay_alu instid0(VALU_DEP_1)
	v_mul_f64 v[7:8], v[7:8], -v[5:6]
	v_xor_b32_e32 v10, 0x80000000, v6
	v_mov_b32_e32 v9, v5
.LBB37_17:
	s_or_b32 exec_lo, exec_lo, s3
	scratch_store_b128 v14, v[5:8], off
	scratch_load_b128 v[1:4], v126, off
	v_xor_b32_e32 v12, 0x80000000, v8
	v_mov_b32_e32 v11, v7
	v_add_nc_u32_e32 v5, 0x260, v13
	ds_store_b128 v13, v[9:12]
	s_waitcnt vmcnt(0)
	ds_store_b128 v13, v[1:4] offset:608
	s_waitcnt lgkmcnt(0)
	s_waitcnt_vscnt null, 0x0
	s_barrier
	buffer_gl0_inv
	s_and_saveexec_b32 s3, s2
	s_cbranch_execz .LBB37_19
; %bb.18:
	scratch_load_b128 v[1:4], v14, off
	ds_load_b128 v[6:9], v5
	v_mov_b32_e32 v10, 0
	ds_load_b128 v[15:18], v10 offset:16
	s_waitcnt vmcnt(0) lgkmcnt(1)
	v_mul_f64 v[10:11], v[6:7], v[3:4]
	v_mul_f64 v[3:4], v[8:9], v[3:4]
	s_delay_alu instid0(VALU_DEP_2) | instskip(NEXT) | instid1(VALU_DEP_2)
	v_fma_f64 v[8:9], v[8:9], v[1:2], v[10:11]
	v_fma_f64 v[1:2], v[6:7], v[1:2], -v[3:4]
	s_delay_alu instid0(VALU_DEP_2) | instskip(NEXT) | instid1(VALU_DEP_2)
	v_add_f64 v[3:4], v[8:9], 0
	v_add_f64 v[1:2], v[1:2], 0
	s_waitcnt lgkmcnt(0)
	s_delay_alu instid0(VALU_DEP_2) | instskip(NEXT) | instid1(VALU_DEP_2)
	v_mul_f64 v[6:7], v[3:4], v[17:18]
	v_mul_f64 v[8:9], v[1:2], v[17:18]
	s_delay_alu instid0(VALU_DEP_2) | instskip(NEXT) | instid1(VALU_DEP_2)
	v_fma_f64 v[1:2], v[1:2], v[15:16], -v[6:7]
	v_fma_f64 v[3:4], v[3:4], v[15:16], v[8:9]
	scratch_store_b128 off, v[1:4], off offset:16
.LBB37_19:
	s_or_b32 exec_lo, exec_lo, s3
	s_waitcnt_vscnt null, 0x0
	s_barrier
	buffer_gl0_inv
	scratch_load_b128 v[1:4], v124, off
	s_mov_b32 s3, exec_lo
	s_waitcnt vmcnt(0)
	ds_store_b128 v5, v[1:4]
	s_waitcnt lgkmcnt(0)
	s_barrier
	buffer_gl0_inv
	v_cmpx_gt_u32_e32 2, v122
	s_cbranch_execz .LBB37_23
; %bb.20:
	scratch_load_b128 v[1:4], v14, off
	ds_load_b128 v[6:9], v5
	s_waitcnt vmcnt(0) lgkmcnt(0)
	v_mul_f64 v[10:11], v[8:9], v[3:4]
	v_mul_f64 v[3:4], v[6:7], v[3:4]
	s_delay_alu instid0(VALU_DEP_2) | instskip(NEXT) | instid1(VALU_DEP_2)
	v_fma_f64 v[6:7], v[6:7], v[1:2], -v[10:11]
	v_fma_f64 v[3:4], v[8:9], v[1:2], v[3:4]
	s_delay_alu instid0(VALU_DEP_2) | instskip(NEXT) | instid1(VALU_DEP_2)
	v_add_f64 v[1:2], v[6:7], 0
	v_add_f64 v[3:4], v[3:4], 0
	s_and_saveexec_b32 s4, s2
	s_cbranch_execz .LBB37_22
; %bb.21:
	scratch_load_b128 v[6:9], off, off offset:16
	v_mov_b32_e32 v10, 0
	ds_load_b128 v[15:18], v10 offset:624
	s_waitcnt vmcnt(0) lgkmcnt(0)
	v_mul_f64 v[10:11], v[15:16], v[8:9]
	v_mul_f64 v[8:9], v[17:18], v[8:9]
	s_delay_alu instid0(VALU_DEP_2) | instskip(NEXT) | instid1(VALU_DEP_2)
	v_fma_f64 v[10:11], v[17:18], v[6:7], v[10:11]
	v_fma_f64 v[6:7], v[15:16], v[6:7], -v[8:9]
	s_delay_alu instid0(VALU_DEP_2) | instskip(NEXT) | instid1(VALU_DEP_2)
	v_add_f64 v[3:4], v[3:4], v[10:11]
	v_add_f64 v[1:2], v[1:2], v[6:7]
.LBB37_22:
	s_or_b32 exec_lo, exec_lo, s4
	v_mov_b32_e32 v6, 0
	ds_load_b128 v[6:9], v6 offset:32
	s_waitcnt lgkmcnt(0)
	v_mul_f64 v[10:11], v[3:4], v[8:9]
	v_mul_f64 v[8:9], v[1:2], v[8:9]
	s_delay_alu instid0(VALU_DEP_2) | instskip(NEXT) | instid1(VALU_DEP_2)
	v_fma_f64 v[1:2], v[1:2], v[6:7], -v[10:11]
	v_fma_f64 v[3:4], v[3:4], v[6:7], v[8:9]
	scratch_store_b128 off, v[1:4], off offset:32
.LBB37_23:
	s_or_b32 exec_lo, exec_lo, s3
	s_waitcnt_vscnt null, 0x0
	s_barrier
	buffer_gl0_inv
	scratch_load_b128 v[1:4], v125, off
	v_add_nc_u32_e32 v6, -1, v122
	s_mov_b32 s2, exec_lo
	s_waitcnt vmcnt(0)
	ds_store_b128 v5, v[1:4]
	s_waitcnt lgkmcnt(0)
	s_barrier
	buffer_gl0_inv
	v_cmpx_gt_u32_e32 3, v122
	s_cbranch_execz .LBB37_27
; %bb.24:
	v_dual_mov_b32 v1, 0 :: v_dual_add_nc_u32 v8, 0x260, v13
	v_dual_mov_b32 v2, 0 :: v_dual_add_nc_u32 v7, -1, v122
	v_or_b32_e32 v9, 8, v14
	s_mov_b32 s3, 0
	s_delay_alu instid0(VALU_DEP_2)
	v_dual_mov_b32 v4, v2 :: v_dual_mov_b32 v3, v1
	.p2align	6
.LBB37_25:                              ; =>This Inner Loop Header: Depth=1
	scratch_load_b128 v[15:18], v9, off offset:-8
	ds_load_b128 v[19:22], v8
	v_add_nc_u32_e32 v7, 1, v7
	v_add_nc_u32_e32 v8, 16, v8
	;; [unrolled: 1-line block ×3, first 2 shown]
	s_delay_alu instid0(VALU_DEP_3) | instskip(SKIP_4) | instid1(VALU_DEP_2)
	v_cmp_lt_u32_e32 vcc_lo, 1, v7
	s_or_b32 s3, vcc_lo, s3
	s_waitcnt vmcnt(0) lgkmcnt(0)
	v_mul_f64 v[10:11], v[21:22], v[17:18]
	v_mul_f64 v[17:18], v[19:20], v[17:18]
	v_fma_f64 v[10:11], v[19:20], v[15:16], -v[10:11]
	s_delay_alu instid0(VALU_DEP_2) | instskip(NEXT) | instid1(VALU_DEP_2)
	v_fma_f64 v[15:16], v[21:22], v[15:16], v[17:18]
	v_add_f64 v[3:4], v[3:4], v[10:11]
	s_delay_alu instid0(VALU_DEP_2)
	v_add_f64 v[1:2], v[1:2], v[15:16]
	s_and_not1_b32 exec_lo, exec_lo, s3
	s_cbranch_execnz .LBB37_25
; %bb.26:
	s_or_b32 exec_lo, exec_lo, s3
	v_mov_b32_e32 v7, 0
	ds_load_b128 v[7:10], v7 offset:48
	s_waitcnt lgkmcnt(0)
	v_mul_f64 v[11:12], v[1:2], v[9:10]
	v_mul_f64 v[15:16], v[3:4], v[9:10]
	s_delay_alu instid0(VALU_DEP_2) | instskip(NEXT) | instid1(VALU_DEP_2)
	v_fma_f64 v[9:10], v[3:4], v[7:8], -v[11:12]
	v_fma_f64 v[11:12], v[1:2], v[7:8], v[15:16]
	scratch_store_b128 off, v[9:12], off offset:48
.LBB37_27:
	s_or_b32 exec_lo, exec_lo, s2
	s_waitcnt_vscnt null, 0x0
	s_barrier
	buffer_gl0_inv
	scratch_load_b128 v[1:4], v123, off
	s_mov_b32 s2, exec_lo
	s_waitcnt vmcnt(0)
	ds_store_b128 v5, v[1:4]
	s_waitcnt lgkmcnt(0)
	s_barrier
	buffer_gl0_inv
	v_cmpx_gt_u32_e32 4, v122
	s_cbranch_execz .LBB37_31
; %bb.28:
	v_dual_mov_b32 v1, 0 :: v_dual_add_nc_u32 v8, 0x260, v13
	v_dual_mov_b32 v2, 0 :: v_dual_add_nc_u32 v7, -1, v122
	v_or_b32_e32 v9, 8, v14
	s_mov_b32 s3, 0
	s_delay_alu instid0(VALU_DEP_2)
	v_dual_mov_b32 v4, v2 :: v_dual_mov_b32 v3, v1
	.p2align	6
.LBB37_29:                              ; =>This Inner Loop Header: Depth=1
	scratch_load_b128 v[15:18], v9, off offset:-8
	ds_load_b128 v[19:22], v8
	v_add_nc_u32_e32 v7, 1, v7
	v_add_nc_u32_e32 v8, 16, v8
	;; [unrolled: 1-line block ×3, first 2 shown]
	s_delay_alu instid0(VALU_DEP_3) | instskip(SKIP_4) | instid1(VALU_DEP_2)
	v_cmp_lt_u32_e32 vcc_lo, 2, v7
	s_or_b32 s3, vcc_lo, s3
	s_waitcnt vmcnt(0) lgkmcnt(0)
	v_mul_f64 v[10:11], v[21:22], v[17:18]
	v_mul_f64 v[17:18], v[19:20], v[17:18]
	v_fma_f64 v[10:11], v[19:20], v[15:16], -v[10:11]
	s_delay_alu instid0(VALU_DEP_2) | instskip(NEXT) | instid1(VALU_DEP_2)
	v_fma_f64 v[15:16], v[21:22], v[15:16], v[17:18]
	v_add_f64 v[3:4], v[3:4], v[10:11]
	s_delay_alu instid0(VALU_DEP_2)
	v_add_f64 v[1:2], v[1:2], v[15:16]
	s_and_not1_b32 exec_lo, exec_lo, s3
	s_cbranch_execnz .LBB37_29
; %bb.30:
	s_or_b32 exec_lo, exec_lo, s3
	v_mov_b32_e32 v7, 0
	ds_load_b128 v[7:10], v7 offset:64
	s_waitcnt lgkmcnt(0)
	v_mul_f64 v[11:12], v[1:2], v[9:10]
	v_mul_f64 v[15:16], v[3:4], v[9:10]
	s_delay_alu instid0(VALU_DEP_2) | instskip(NEXT) | instid1(VALU_DEP_2)
	v_fma_f64 v[9:10], v[3:4], v[7:8], -v[11:12]
	v_fma_f64 v[11:12], v[1:2], v[7:8], v[15:16]
	scratch_store_b128 off, v[9:12], off offset:64
.LBB37_31:
	s_or_b32 exec_lo, exec_lo, s2
	s_waitcnt_vscnt null, 0x0
	s_barrier
	buffer_gl0_inv
	scratch_load_b128 v[1:4], v159, off
	s_mov_b32 s2, exec_lo
	s_waitcnt vmcnt(0)
	ds_store_b128 v5, v[1:4]
	s_waitcnt lgkmcnt(0)
	s_barrier
	buffer_gl0_inv
	v_cmpx_gt_u32_e32 5, v122
	s_cbranch_execz .LBB37_35
; %bb.32:
	v_dual_mov_b32 v1, 0 :: v_dual_add_nc_u32 v8, 0x260, v13
	v_dual_mov_b32 v2, 0 :: v_dual_add_nc_u32 v7, -1, v122
	v_or_b32_e32 v9, 8, v14
	s_mov_b32 s3, 0
	s_delay_alu instid0(VALU_DEP_2)
	v_dual_mov_b32 v4, v2 :: v_dual_mov_b32 v3, v1
	.p2align	6
.LBB37_33:                              ; =>This Inner Loop Header: Depth=1
	scratch_load_b128 v[15:18], v9, off offset:-8
	ds_load_b128 v[19:22], v8
	v_add_nc_u32_e32 v7, 1, v7
	v_add_nc_u32_e32 v8, 16, v8
	;; [unrolled: 1-line block ×3, first 2 shown]
	s_delay_alu instid0(VALU_DEP_3) | instskip(SKIP_4) | instid1(VALU_DEP_2)
	v_cmp_lt_u32_e32 vcc_lo, 3, v7
	s_or_b32 s3, vcc_lo, s3
	s_waitcnt vmcnt(0) lgkmcnt(0)
	v_mul_f64 v[10:11], v[21:22], v[17:18]
	v_mul_f64 v[17:18], v[19:20], v[17:18]
	v_fma_f64 v[10:11], v[19:20], v[15:16], -v[10:11]
	s_delay_alu instid0(VALU_DEP_2) | instskip(NEXT) | instid1(VALU_DEP_2)
	v_fma_f64 v[15:16], v[21:22], v[15:16], v[17:18]
	v_add_f64 v[3:4], v[3:4], v[10:11]
	s_delay_alu instid0(VALU_DEP_2)
	v_add_f64 v[1:2], v[1:2], v[15:16]
	s_and_not1_b32 exec_lo, exec_lo, s3
	s_cbranch_execnz .LBB37_33
; %bb.34:
	s_or_b32 exec_lo, exec_lo, s3
	v_mov_b32_e32 v7, 0
	ds_load_b128 v[7:10], v7 offset:80
	s_waitcnt lgkmcnt(0)
	v_mul_f64 v[11:12], v[1:2], v[9:10]
	v_mul_f64 v[15:16], v[3:4], v[9:10]
	s_delay_alu instid0(VALU_DEP_2) | instskip(NEXT) | instid1(VALU_DEP_2)
	v_fma_f64 v[9:10], v[3:4], v[7:8], -v[11:12]
	v_fma_f64 v[11:12], v[1:2], v[7:8], v[15:16]
	scratch_store_b128 off, v[9:12], off offset:80
.LBB37_35:
	s_or_b32 exec_lo, exec_lo, s2
	s_waitcnt_vscnt null, 0x0
	s_barrier
	buffer_gl0_inv
	scratch_load_b128 v[1:4], v157, off
	s_mov_b32 s2, exec_lo
	s_waitcnt vmcnt(0)
	ds_store_b128 v5, v[1:4]
	s_waitcnt lgkmcnt(0)
	s_barrier
	buffer_gl0_inv
	v_cmpx_gt_u32_e32 6, v122
	s_cbranch_execz .LBB37_39
; %bb.36:
	v_dual_mov_b32 v1, 0 :: v_dual_add_nc_u32 v8, 0x260, v13
	v_dual_mov_b32 v2, 0 :: v_dual_add_nc_u32 v7, -1, v122
	v_or_b32_e32 v9, 8, v14
	s_mov_b32 s3, 0
	s_delay_alu instid0(VALU_DEP_2)
	v_dual_mov_b32 v4, v2 :: v_dual_mov_b32 v3, v1
	.p2align	6
.LBB37_37:                              ; =>This Inner Loop Header: Depth=1
	scratch_load_b128 v[15:18], v9, off offset:-8
	ds_load_b128 v[19:22], v8
	v_add_nc_u32_e32 v7, 1, v7
	v_add_nc_u32_e32 v8, 16, v8
	;; [unrolled: 1-line block ×3, first 2 shown]
	s_delay_alu instid0(VALU_DEP_3) | instskip(SKIP_4) | instid1(VALU_DEP_2)
	v_cmp_lt_u32_e32 vcc_lo, 4, v7
	s_or_b32 s3, vcc_lo, s3
	s_waitcnt vmcnt(0) lgkmcnt(0)
	v_mul_f64 v[10:11], v[21:22], v[17:18]
	v_mul_f64 v[17:18], v[19:20], v[17:18]
	v_fma_f64 v[10:11], v[19:20], v[15:16], -v[10:11]
	s_delay_alu instid0(VALU_DEP_2) | instskip(NEXT) | instid1(VALU_DEP_2)
	v_fma_f64 v[15:16], v[21:22], v[15:16], v[17:18]
	v_add_f64 v[3:4], v[3:4], v[10:11]
	s_delay_alu instid0(VALU_DEP_2)
	v_add_f64 v[1:2], v[1:2], v[15:16]
	s_and_not1_b32 exec_lo, exec_lo, s3
	s_cbranch_execnz .LBB37_37
; %bb.38:
	s_or_b32 exec_lo, exec_lo, s3
	v_mov_b32_e32 v7, 0
	ds_load_b128 v[7:10], v7 offset:96
	s_waitcnt lgkmcnt(0)
	v_mul_f64 v[11:12], v[1:2], v[9:10]
	v_mul_f64 v[15:16], v[3:4], v[9:10]
	s_delay_alu instid0(VALU_DEP_2) | instskip(NEXT) | instid1(VALU_DEP_2)
	v_fma_f64 v[9:10], v[3:4], v[7:8], -v[11:12]
	v_fma_f64 v[11:12], v[1:2], v[7:8], v[15:16]
	scratch_store_b128 off, v[9:12], off offset:96
.LBB37_39:
	s_or_b32 exec_lo, exec_lo, s2
	s_waitcnt_vscnt null, 0x0
	s_barrier
	buffer_gl0_inv
	scratch_load_b128 v[1:4], v158, off
	s_mov_b32 s2, exec_lo
	s_waitcnt vmcnt(0)
	ds_store_b128 v5, v[1:4]
	s_waitcnt lgkmcnt(0)
	s_barrier
	buffer_gl0_inv
	v_cmpx_gt_u32_e32 7, v122
	s_cbranch_execz .LBB37_43
; %bb.40:
	v_dual_mov_b32 v1, 0 :: v_dual_add_nc_u32 v8, 0x260, v13
	v_dual_mov_b32 v2, 0 :: v_dual_add_nc_u32 v7, -1, v122
	v_or_b32_e32 v9, 8, v14
	s_mov_b32 s3, 0
	s_delay_alu instid0(VALU_DEP_2)
	v_dual_mov_b32 v4, v2 :: v_dual_mov_b32 v3, v1
	.p2align	6
.LBB37_41:                              ; =>This Inner Loop Header: Depth=1
	scratch_load_b128 v[15:18], v9, off offset:-8
	ds_load_b128 v[19:22], v8
	v_add_nc_u32_e32 v7, 1, v7
	v_add_nc_u32_e32 v8, 16, v8
	;; [unrolled: 1-line block ×3, first 2 shown]
	s_delay_alu instid0(VALU_DEP_3) | instskip(SKIP_4) | instid1(VALU_DEP_2)
	v_cmp_lt_u32_e32 vcc_lo, 5, v7
	s_or_b32 s3, vcc_lo, s3
	s_waitcnt vmcnt(0) lgkmcnt(0)
	v_mul_f64 v[10:11], v[21:22], v[17:18]
	v_mul_f64 v[17:18], v[19:20], v[17:18]
	v_fma_f64 v[10:11], v[19:20], v[15:16], -v[10:11]
	s_delay_alu instid0(VALU_DEP_2) | instskip(NEXT) | instid1(VALU_DEP_2)
	v_fma_f64 v[15:16], v[21:22], v[15:16], v[17:18]
	v_add_f64 v[3:4], v[3:4], v[10:11]
	s_delay_alu instid0(VALU_DEP_2)
	v_add_f64 v[1:2], v[1:2], v[15:16]
	s_and_not1_b32 exec_lo, exec_lo, s3
	s_cbranch_execnz .LBB37_41
; %bb.42:
	s_or_b32 exec_lo, exec_lo, s3
	v_mov_b32_e32 v7, 0
	ds_load_b128 v[7:10], v7 offset:112
	s_waitcnt lgkmcnt(0)
	v_mul_f64 v[11:12], v[1:2], v[9:10]
	v_mul_f64 v[15:16], v[3:4], v[9:10]
	s_delay_alu instid0(VALU_DEP_2) | instskip(NEXT) | instid1(VALU_DEP_2)
	v_fma_f64 v[9:10], v[3:4], v[7:8], -v[11:12]
	v_fma_f64 v[11:12], v[1:2], v[7:8], v[15:16]
	scratch_store_b128 off, v[9:12], off offset:112
.LBB37_43:
	s_or_b32 exec_lo, exec_lo, s2
	s_waitcnt_vscnt null, 0x0
	s_barrier
	buffer_gl0_inv
	scratch_load_b128 v[1:4], v156, off
	s_mov_b32 s2, exec_lo
	s_waitcnt vmcnt(0)
	ds_store_b128 v5, v[1:4]
	s_waitcnt lgkmcnt(0)
	s_barrier
	buffer_gl0_inv
	v_cmpx_gt_u32_e32 8, v122
	s_cbranch_execz .LBB37_47
; %bb.44:
	v_dual_mov_b32 v1, 0 :: v_dual_add_nc_u32 v8, 0x260, v13
	v_dual_mov_b32 v2, 0 :: v_dual_add_nc_u32 v7, -1, v122
	v_or_b32_e32 v9, 8, v14
	s_mov_b32 s3, 0
	s_delay_alu instid0(VALU_DEP_2)
	v_dual_mov_b32 v4, v2 :: v_dual_mov_b32 v3, v1
	.p2align	6
.LBB37_45:                              ; =>This Inner Loop Header: Depth=1
	scratch_load_b128 v[15:18], v9, off offset:-8
	ds_load_b128 v[19:22], v8
	v_add_nc_u32_e32 v7, 1, v7
	v_add_nc_u32_e32 v8, 16, v8
	;; [unrolled: 1-line block ×3, first 2 shown]
	s_delay_alu instid0(VALU_DEP_3) | instskip(SKIP_4) | instid1(VALU_DEP_2)
	v_cmp_lt_u32_e32 vcc_lo, 6, v7
	s_or_b32 s3, vcc_lo, s3
	s_waitcnt vmcnt(0) lgkmcnt(0)
	v_mul_f64 v[10:11], v[21:22], v[17:18]
	v_mul_f64 v[17:18], v[19:20], v[17:18]
	v_fma_f64 v[10:11], v[19:20], v[15:16], -v[10:11]
	s_delay_alu instid0(VALU_DEP_2) | instskip(NEXT) | instid1(VALU_DEP_2)
	v_fma_f64 v[15:16], v[21:22], v[15:16], v[17:18]
	v_add_f64 v[3:4], v[3:4], v[10:11]
	s_delay_alu instid0(VALU_DEP_2)
	v_add_f64 v[1:2], v[1:2], v[15:16]
	s_and_not1_b32 exec_lo, exec_lo, s3
	s_cbranch_execnz .LBB37_45
; %bb.46:
	s_or_b32 exec_lo, exec_lo, s3
	v_mov_b32_e32 v7, 0
	ds_load_b128 v[7:10], v7 offset:128
	s_waitcnt lgkmcnt(0)
	v_mul_f64 v[11:12], v[1:2], v[9:10]
	v_mul_f64 v[15:16], v[3:4], v[9:10]
	s_delay_alu instid0(VALU_DEP_2) | instskip(NEXT) | instid1(VALU_DEP_2)
	v_fma_f64 v[9:10], v[3:4], v[7:8], -v[11:12]
	v_fma_f64 v[11:12], v[1:2], v[7:8], v[15:16]
	scratch_store_b128 off, v[9:12], off offset:128
.LBB37_47:
	s_or_b32 exec_lo, exec_lo, s2
	s_waitcnt_vscnt null, 0x0
	s_barrier
	buffer_gl0_inv
	scratch_load_b128 v[1:4], v155, off
	s_mov_b32 s2, exec_lo
	s_waitcnt vmcnt(0)
	ds_store_b128 v5, v[1:4]
	s_waitcnt lgkmcnt(0)
	s_barrier
	buffer_gl0_inv
	v_cmpx_gt_u32_e32 9, v122
	s_cbranch_execz .LBB37_51
; %bb.48:
	v_dual_mov_b32 v1, 0 :: v_dual_add_nc_u32 v8, 0x260, v13
	v_dual_mov_b32 v2, 0 :: v_dual_add_nc_u32 v7, -1, v122
	v_or_b32_e32 v9, 8, v14
	s_mov_b32 s3, 0
	s_delay_alu instid0(VALU_DEP_2)
	v_dual_mov_b32 v4, v2 :: v_dual_mov_b32 v3, v1
	.p2align	6
.LBB37_49:                              ; =>This Inner Loop Header: Depth=1
	scratch_load_b128 v[15:18], v9, off offset:-8
	ds_load_b128 v[19:22], v8
	v_add_nc_u32_e32 v7, 1, v7
	v_add_nc_u32_e32 v8, 16, v8
	;; [unrolled: 1-line block ×3, first 2 shown]
	s_delay_alu instid0(VALU_DEP_3) | instskip(SKIP_4) | instid1(VALU_DEP_2)
	v_cmp_lt_u32_e32 vcc_lo, 7, v7
	s_or_b32 s3, vcc_lo, s3
	s_waitcnt vmcnt(0) lgkmcnt(0)
	v_mul_f64 v[10:11], v[21:22], v[17:18]
	v_mul_f64 v[17:18], v[19:20], v[17:18]
	v_fma_f64 v[10:11], v[19:20], v[15:16], -v[10:11]
	s_delay_alu instid0(VALU_DEP_2) | instskip(NEXT) | instid1(VALU_DEP_2)
	v_fma_f64 v[15:16], v[21:22], v[15:16], v[17:18]
	v_add_f64 v[3:4], v[3:4], v[10:11]
	s_delay_alu instid0(VALU_DEP_2)
	v_add_f64 v[1:2], v[1:2], v[15:16]
	s_and_not1_b32 exec_lo, exec_lo, s3
	s_cbranch_execnz .LBB37_49
; %bb.50:
	s_or_b32 exec_lo, exec_lo, s3
	v_mov_b32_e32 v7, 0
	ds_load_b128 v[7:10], v7 offset:144
	s_waitcnt lgkmcnt(0)
	v_mul_f64 v[11:12], v[1:2], v[9:10]
	v_mul_f64 v[15:16], v[3:4], v[9:10]
	s_delay_alu instid0(VALU_DEP_2) | instskip(NEXT) | instid1(VALU_DEP_2)
	v_fma_f64 v[9:10], v[3:4], v[7:8], -v[11:12]
	v_fma_f64 v[11:12], v[1:2], v[7:8], v[15:16]
	scratch_store_b128 off, v[9:12], off offset:144
.LBB37_51:
	s_or_b32 exec_lo, exec_lo, s2
	s_waitcnt_vscnt null, 0x0
	s_barrier
	buffer_gl0_inv
	scratch_load_b128 v[1:4], v153, off
	s_mov_b32 s2, exec_lo
	s_waitcnt vmcnt(0)
	ds_store_b128 v5, v[1:4]
	s_waitcnt lgkmcnt(0)
	s_barrier
	buffer_gl0_inv
	v_cmpx_gt_u32_e32 10, v122
	s_cbranch_execz .LBB37_55
; %bb.52:
	v_dual_mov_b32 v1, 0 :: v_dual_add_nc_u32 v8, 0x260, v13
	v_dual_mov_b32 v2, 0 :: v_dual_add_nc_u32 v7, -1, v122
	v_or_b32_e32 v9, 8, v14
	s_mov_b32 s3, 0
	s_delay_alu instid0(VALU_DEP_2)
	v_dual_mov_b32 v4, v2 :: v_dual_mov_b32 v3, v1
	.p2align	6
.LBB37_53:                              ; =>This Inner Loop Header: Depth=1
	scratch_load_b128 v[15:18], v9, off offset:-8
	ds_load_b128 v[19:22], v8
	v_add_nc_u32_e32 v7, 1, v7
	v_add_nc_u32_e32 v8, 16, v8
	v_add_nc_u32_e32 v9, 16, v9
	s_delay_alu instid0(VALU_DEP_3) | instskip(SKIP_4) | instid1(VALU_DEP_2)
	v_cmp_lt_u32_e32 vcc_lo, 8, v7
	s_or_b32 s3, vcc_lo, s3
	s_waitcnt vmcnt(0) lgkmcnt(0)
	v_mul_f64 v[10:11], v[21:22], v[17:18]
	v_mul_f64 v[17:18], v[19:20], v[17:18]
	v_fma_f64 v[10:11], v[19:20], v[15:16], -v[10:11]
	s_delay_alu instid0(VALU_DEP_2) | instskip(NEXT) | instid1(VALU_DEP_2)
	v_fma_f64 v[15:16], v[21:22], v[15:16], v[17:18]
	v_add_f64 v[3:4], v[3:4], v[10:11]
	s_delay_alu instid0(VALU_DEP_2)
	v_add_f64 v[1:2], v[1:2], v[15:16]
	s_and_not1_b32 exec_lo, exec_lo, s3
	s_cbranch_execnz .LBB37_53
; %bb.54:
	s_or_b32 exec_lo, exec_lo, s3
	v_mov_b32_e32 v7, 0
	ds_load_b128 v[7:10], v7 offset:160
	s_waitcnt lgkmcnt(0)
	v_mul_f64 v[11:12], v[1:2], v[9:10]
	v_mul_f64 v[15:16], v[3:4], v[9:10]
	s_delay_alu instid0(VALU_DEP_2) | instskip(NEXT) | instid1(VALU_DEP_2)
	v_fma_f64 v[9:10], v[3:4], v[7:8], -v[11:12]
	v_fma_f64 v[11:12], v[1:2], v[7:8], v[15:16]
	scratch_store_b128 off, v[9:12], off offset:160
.LBB37_55:
	s_or_b32 exec_lo, exec_lo, s2
	s_waitcnt_vscnt null, 0x0
	s_barrier
	buffer_gl0_inv
	scratch_load_b128 v[1:4], v154, off
	s_mov_b32 s2, exec_lo
	s_waitcnt vmcnt(0)
	ds_store_b128 v5, v[1:4]
	s_waitcnt lgkmcnt(0)
	s_barrier
	buffer_gl0_inv
	v_cmpx_gt_u32_e32 11, v122
	s_cbranch_execz .LBB37_59
; %bb.56:
	v_dual_mov_b32 v1, 0 :: v_dual_add_nc_u32 v8, 0x260, v13
	v_dual_mov_b32 v2, 0 :: v_dual_add_nc_u32 v7, -1, v122
	v_or_b32_e32 v9, 8, v14
	s_mov_b32 s3, 0
	s_delay_alu instid0(VALU_DEP_2)
	v_dual_mov_b32 v4, v2 :: v_dual_mov_b32 v3, v1
	.p2align	6
.LBB37_57:                              ; =>This Inner Loop Header: Depth=1
	scratch_load_b128 v[15:18], v9, off offset:-8
	ds_load_b128 v[19:22], v8
	v_add_nc_u32_e32 v7, 1, v7
	v_add_nc_u32_e32 v8, 16, v8
	;; [unrolled: 1-line block ×3, first 2 shown]
	s_delay_alu instid0(VALU_DEP_3) | instskip(SKIP_4) | instid1(VALU_DEP_2)
	v_cmp_lt_u32_e32 vcc_lo, 9, v7
	s_or_b32 s3, vcc_lo, s3
	s_waitcnt vmcnt(0) lgkmcnt(0)
	v_mul_f64 v[10:11], v[21:22], v[17:18]
	v_mul_f64 v[17:18], v[19:20], v[17:18]
	v_fma_f64 v[10:11], v[19:20], v[15:16], -v[10:11]
	s_delay_alu instid0(VALU_DEP_2) | instskip(NEXT) | instid1(VALU_DEP_2)
	v_fma_f64 v[15:16], v[21:22], v[15:16], v[17:18]
	v_add_f64 v[3:4], v[3:4], v[10:11]
	s_delay_alu instid0(VALU_DEP_2)
	v_add_f64 v[1:2], v[1:2], v[15:16]
	s_and_not1_b32 exec_lo, exec_lo, s3
	s_cbranch_execnz .LBB37_57
; %bb.58:
	s_or_b32 exec_lo, exec_lo, s3
	v_mov_b32_e32 v7, 0
	ds_load_b128 v[7:10], v7 offset:176
	s_waitcnt lgkmcnt(0)
	v_mul_f64 v[11:12], v[1:2], v[9:10]
	v_mul_f64 v[15:16], v[3:4], v[9:10]
	s_delay_alu instid0(VALU_DEP_2) | instskip(NEXT) | instid1(VALU_DEP_2)
	v_fma_f64 v[9:10], v[3:4], v[7:8], -v[11:12]
	v_fma_f64 v[11:12], v[1:2], v[7:8], v[15:16]
	scratch_store_b128 off, v[9:12], off offset:176
.LBB37_59:
	s_or_b32 exec_lo, exec_lo, s2
	s_waitcnt_vscnt null, 0x0
	s_barrier
	buffer_gl0_inv
	scratch_load_b128 v[1:4], v152, off
	s_mov_b32 s2, exec_lo
	s_waitcnt vmcnt(0)
	ds_store_b128 v5, v[1:4]
	s_waitcnt lgkmcnt(0)
	s_barrier
	buffer_gl0_inv
	v_cmpx_gt_u32_e32 12, v122
	s_cbranch_execz .LBB37_63
; %bb.60:
	v_dual_mov_b32 v1, 0 :: v_dual_add_nc_u32 v8, 0x260, v13
	v_dual_mov_b32 v2, 0 :: v_dual_add_nc_u32 v7, -1, v122
	v_or_b32_e32 v9, 8, v14
	s_mov_b32 s3, 0
	s_delay_alu instid0(VALU_DEP_2)
	v_dual_mov_b32 v4, v2 :: v_dual_mov_b32 v3, v1
	.p2align	6
.LBB37_61:                              ; =>This Inner Loop Header: Depth=1
	scratch_load_b128 v[15:18], v9, off offset:-8
	ds_load_b128 v[19:22], v8
	v_add_nc_u32_e32 v7, 1, v7
	v_add_nc_u32_e32 v8, 16, v8
	;; [unrolled: 1-line block ×3, first 2 shown]
	s_delay_alu instid0(VALU_DEP_3) | instskip(SKIP_4) | instid1(VALU_DEP_2)
	v_cmp_lt_u32_e32 vcc_lo, 10, v7
	s_or_b32 s3, vcc_lo, s3
	s_waitcnt vmcnt(0) lgkmcnt(0)
	v_mul_f64 v[10:11], v[21:22], v[17:18]
	v_mul_f64 v[17:18], v[19:20], v[17:18]
	v_fma_f64 v[10:11], v[19:20], v[15:16], -v[10:11]
	s_delay_alu instid0(VALU_DEP_2) | instskip(NEXT) | instid1(VALU_DEP_2)
	v_fma_f64 v[15:16], v[21:22], v[15:16], v[17:18]
	v_add_f64 v[3:4], v[3:4], v[10:11]
	s_delay_alu instid0(VALU_DEP_2)
	v_add_f64 v[1:2], v[1:2], v[15:16]
	s_and_not1_b32 exec_lo, exec_lo, s3
	s_cbranch_execnz .LBB37_61
; %bb.62:
	s_or_b32 exec_lo, exec_lo, s3
	v_mov_b32_e32 v7, 0
	ds_load_b128 v[7:10], v7 offset:192
	s_waitcnt lgkmcnt(0)
	v_mul_f64 v[11:12], v[1:2], v[9:10]
	v_mul_f64 v[15:16], v[3:4], v[9:10]
	s_delay_alu instid0(VALU_DEP_2) | instskip(NEXT) | instid1(VALU_DEP_2)
	v_fma_f64 v[9:10], v[3:4], v[7:8], -v[11:12]
	v_fma_f64 v[11:12], v[1:2], v[7:8], v[15:16]
	scratch_store_b128 off, v[9:12], off offset:192
.LBB37_63:
	s_or_b32 exec_lo, exec_lo, s2
	s_waitcnt_vscnt null, 0x0
	s_barrier
	buffer_gl0_inv
	scratch_load_b128 v[1:4], v150, off
	s_mov_b32 s2, exec_lo
	s_waitcnt vmcnt(0)
	ds_store_b128 v5, v[1:4]
	s_waitcnt lgkmcnt(0)
	s_barrier
	buffer_gl0_inv
	v_cmpx_gt_u32_e32 13, v122
	s_cbranch_execz .LBB37_67
; %bb.64:
	v_dual_mov_b32 v1, 0 :: v_dual_add_nc_u32 v8, 0x260, v13
	v_dual_mov_b32 v2, 0 :: v_dual_add_nc_u32 v7, -1, v122
	v_or_b32_e32 v9, 8, v14
	s_mov_b32 s3, 0
	s_delay_alu instid0(VALU_DEP_2)
	v_dual_mov_b32 v4, v2 :: v_dual_mov_b32 v3, v1
	.p2align	6
.LBB37_65:                              ; =>This Inner Loop Header: Depth=1
	scratch_load_b128 v[15:18], v9, off offset:-8
	ds_load_b128 v[19:22], v8
	v_add_nc_u32_e32 v7, 1, v7
	v_add_nc_u32_e32 v8, 16, v8
	;; [unrolled: 1-line block ×3, first 2 shown]
	s_delay_alu instid0(VALU_DEP_3) | instskip(SKIP_4) | instid1(VALU_DEP_2)
	v_cmp_lt_u32_e32 vcc_lo, 11, v7
	s_or_b32 s3, vcc_lo, s3
	s_waitcnt vmcnt(0) lgkmcnt(0)
	v_mul_f64 v[10:11], v[21:22], v[17:18]
	v_mul_f64 v[17:18], v[19:20], v[17:18]
	v_fma_f64 v[10:11], v[19:20], v[15:16], -v[10:11]
	s_delay_alu instid0(VALU_DEP_2) | instskip(NEXT) | instid1(VALU_DEP_2)
	v_fma_f64 v[15:16], v[21:22], v[15:16], v[17:18]
	v_add_f64 v[3:4], v[3:4], v[10:11]
	s_delay_alu instid0(VALU_DEP_2)
	v_add_f64 v[1:2], v[1:2], v[15:16]
	s_and_not1_b32 exec_lo, exec_lo, s3
	s_cbranch_execnz .LBB37_65
; %bb.66:
	s_or_b32 exec_lo, exec_lo, s3
	v_mov_b32_e32 v7, 0
	ds_load_b128 v[7:10], v7 offset:208
	s_waitcnt lgkmcnt(0)
	v_mul_f64 v[11:12], v[1:2], v[9:10]
	v_mul_f64 v[15:16], v[3:4], v[9:10]
	s_delay_alu instid0(VALU_DEP_2) | instskip(NEXT) | instid1(VALU_DEP_2)
	v_fma_f64 v[9:10], v[3:4], v[7:8], -v[11:12]
	v_fma_f64 v[11:12], v[1:2], v[7:8], v[15:16]
	scratch_store_b128 off, v[9:12], off offset:208
.LBB37_67:
	s_or_b32 exec_lo, exec_lo, s2
	s_waitcnt_vscnt null, 0x0
	s_barrier
	buffer_gl0_inv
	scratch_load_b128 v[1:4], v148, off
	s_mov_b32 s2, exec_lo
	s_waitcnt vmcnt(0)
	ds_store_b128 v5, v[1:4]
	s_waitcnt lgkmcnt(0)
	s_barrier
	buffer_gl0_inv
	v_cmpx_gt_u32_e32 14, v122
	s_cbranch_execz .LBB37_71
; %bb.68:
	v_dual_mov_b32 v1, 0 :: v_dual_add_nc_u32 v8, 0x260, v13
	v_dual_mov_b32 v2, 0 :: v_dual_add_nc_u32 v7, -1, v122
	v_or_b32_e32 v9, 8, v14
	s_mov_b32 s3, 0
	s_delay_alu instid0(VALU_DEP_2)
	v_dual_mov_b32 v4, v2 :: v_dual_mov_b32 v3, v1
	.p2align	6
.LBB37_69:                              ; =>This Inner Loop Header: Depth=1
	scratch_load_b128 v[15:18], v9, off offset:-8
	ds_load_b128 v[19:22], v8
	v_add_nc_u32_e32 v7, 1, v7
	v_add_nc_u32_e32 v8, 16, v8
	;; [unrolled: 1-line block ×3, first 2 shown]
	s_delay_alu instid0(VALU_DEP_3) | instskip(SKIP_4) | instid1(VALU_DEP_2)
	v_cmp_lt_u32_e32 vcc_lo, 12, v7
	s_or_b32 s3, vcc_lo, s3
	s_waitcnt vmcnt(0) lgkmcnt(0)
	v_mul_f64 v[10:11], v[21:22], v[17:18]
	v_mul_f64 v[17:18], v[19:20], v[17:18]
	v_fma_f64 v[10:11], v[19:20], v[15:16], -v[10:11]
	s_delay_alu instid0(VALU_DEP_2) | instskip(NEXT) | instid1(VALU_DEP_2)
	v_fma_f64 v[15:16], v[21:22], v[15:16], v[17:18]
	v_add_f64 v[3:4], v[3:4], v[10:11]
	s_delay_alu instid0(VALU_DEP_2)
	v_add_f64 v[1:2], v[1:2], v[15:16]
	s_and_not1_b32 exec_lo, exec_lo, s3
	s_cbranch_execnz .LBB37_69
; %bb.70:
	s_or_b32 exec_lo, exec_lo, s3
	v_mov_b32_e32 v7, 0
	ds_load_b128 v[7:10], v7 offset:224
	s_waitcnt lgkmcnt(0)
	v_mul_f64 v[11:12], v[1:2], v[9:10]
	v_mul_f64 v[15:16], v[3:4], v[9:10]
	s_delay_alu instid0(VALU_DEP_2) | instskip(NEXT) | instid1(VALU_DEP_2)
	v_fma_f64 v[9:10], v[3:4], v[7:8], -v[11:12]
	v_fma_f64 v[11:12], v[1:2], v[7:8], v[15:16]
	scratch_store_b128 off, v[9:12], off offset:224
.LBB37_71:
	s_or_b32 exec_lo, exec_lo, s2
	s_waitcnt_vscnt null, 0x0
	s_barrier
	buffer_gl0_inv
	scratch_load_b128 v[1:4], v149, off
	s_mov_b32 s2, exec_lo
	s_waitcnt vmcnt(0)
	ds_store_b128 v5, v[1:4]
	s_waitcnt lgkmcnt(0)
	s_barrier
	buffer_gl0_inv
	v_cmpx_gt_u32_e32 15, v122
	s_cbranch_execz .LBB37_75
; %bb.72:
	v_dual_mov_b32 v1, 0 :: v_dual_add_nc_u32 v8, 0x260, v13
	v_dual_mov_b32 v2, 0 :: v_dual_add_nc_u32 v7, -1, v122
	v_or_b32_e32 v9, 8, v14
	s_mov_b32 s3, 0
	s_delay_alu instid0(VALU_DEP_2)
	v_dual_mov_b32 v4, v2 :: v_dual_mov_b32 v3, v1
	.p2align	6
.LBB37_73:                              ; =>This Inner Loop Header: Depth=1
	scratch_load_b128 v[15:18], v9, off offset:-8
	ds_load_b128 v[19:22], v8
	v_add_nc_u32_e32 v7, 1, v7
	v_add_nc_u32_e32 v8, 16, v8
	;; [unrolled: 1-line block ×3, first 2 shown]
	s_delay_alu instid0(VALU_DEP_3) | instskip(SKIP_4) | instid1(VALU_DEP_2)
	v_cmp_lt_u32_e32 vcc_lo, 13, v7
	s_or_b32 s3, vcc_lo, s3
	s_waitcnt vmcnt(0) lgkmcnt(0)
	v_mul_f64 v[10:11], v[21:22], v[17:18]
	v_mul_f64 v[17:18], v[19:20], v[17:18]
	v_fma_f64 v[10:11], v[19:20], v[15:16], -v[10:11]
	s_delay_alu instid0(VALU_DEP_2) | instskip(NEXT) | instid1(VALU_DEP_2)
	v_fma_f64 v[15:16], v[21:22], v[15:16], v[17:18]
	v_add_f64 v[3:4], v[3:4], v[10:11]
	s_delay_alu instid0(VALU_DEP_2)
	v_add_f64 v[1:2], v[1:2], v[15:16]
	s_and_not1_b32 exec_lo, exec_lo, s3
	s_cbranch_execnz .LBB37_73
; %bb.74:
	s_or_b32 exec_lo, exec_lo, s3
	v_mov_b32_e32 v7, 0
	ds_load_b128 v[7:10], v7 offset:240
	s_waitcnt lgkmcnt(0)
	v_mul_f64 v[11:12], v[1:2], v[9:10]
	v_mul_f64 v[15:16], v[3:4], v[9:10]
	s_delay_alu instid0(VALU_DEP_2) | instskip(NEXT) | instid1(VALU_DEP_2)
	v_fma_f64 v[9:10], v[3:4], v[7:8], -v[11:12]
	v_fma_f64 v[11:12], v[1:2], v[7:8], v[15:16]
	scratch_store_b128 off, v[9:12], off offset:240
.LBB37_75:
	s_or_b32 exec_lo, exec_lo, s2
	s_waitcnt_vscnt null, 0x0
	s_barrier
	buffer_gl0_inv
	scratch_load_b128 v[1:4], v147, off
	s_mov_b32 s2, exec_lo
	s_waitcnt vmcnt(0)
	ds_store_b128 v5, v[1:4]
	s_waitcnt lgkmcnt(0)
	s_barrier
	buffer_gl0_inv
	v_cmpx_gt_u32_e32 16, v122
	s_cbranch_execz .LBB37_79
; %bb.76:
	v_dual_mov_b32 v1, 0 :: v_dual_add_nc_u32 v8, 0x260, v13
	v_dual_mov_b32 v2, 0 :: v_dual_add_nc_u32 v7, -1, v122
	v_or_b32_e32 v9, 8, v14
	s_mov_b32 s3, 0
	s_delay_alu instid0(VALU_DEP_2)
	v_dual_mov_b32 v4, v2 :: v_dual_mov_b32 v3, v1
	.p2align	6
.LBB37_77:                              ; =>This Inner Loop Header: Depth=1
	scratch_load_b128 v[15:18], v9, off offset:-8
	ds_load_b128 v[19:22], v8
	v_add_nc_u32_e32 v7, 1, v7
	v_add_nc_u32_e32 v8, 16, v8
	;; [unrolled: 1-line block ×3, first 2 shown]
	s_delay_alu instid0(VALU_DEP_3) | instskip(SKIP_4) | instid1(VALU_DEP_2)
	v_cmp_lt_u32_e32 vcc_lo, 14, v7
	s_or_b32 s3, vcc_lo, s3
	s_waitcnt vmcnt(0) lgkmcnt(0)
	v_mul_f64 v[10:11], v[21:22], v[17:18]
	v_mul_f64 v[17:18], v[19:20], v[17:18]
	v_fma_f64 v[10:11], v[19:20], v[15:16], -v[10:11]
	s_delay_alu instid0(VALU_DEP_2) | instskip(NEXT) | instid1(VALU_DEP_2)
	v_fma_f64 v[15:16], v[21:22], v[15:16], v[17:18]
	v_add_f64 v[3:4], v[3:4], v[10:11]
	s_delay_alu instid0(VALU_DEP_2)
	v_add_f64 v[1:2], v[1:2], v[15:16]
	s_and_not1_b32 exec_lo, exec_lo, s3
	s_cbranch_execnz .LBB37_77
; %bb.78:
	s_or_b32 exec_lo, exec_lo, s3
	v_mov_b32_e32 v7, 0
	ds_load_b128 v[7:10], v7 offset:256
	s_waitcnt lgkmcnt(0)
	v_mul_f64 v[11:12], v[1:2], v[9:10]
	v_mul_f64 v[15:16], v[3:4], v[9:10]
	s_delay_alu instid0(VALU_DEP_2) | instskip(NEXT) | instid1(VALU_DEP_2)
	v_fma_f64 v[9:10], v[3:4], v[7:8], -v[11:12]
	v_fma_f64 v[11:12], v[1:2], v[7:8], v[15:16]
	scratch_store_b128 off, v[9:12], off offset:256
.LBB37_79:
	s_or_b32 exec_lo, exec_lo, s2
	s_waitcnt_vscnt null, 0x0
	s_barrier
	buffer_gl0_inv
	scratch_load_b128 v[1:4], v145, off
	s_mov_b32 s2, exec_lo
	s_waitcnt vmcnt(0)
	ds_store_b128 v5, v[1:4]
	s_waitcnt lgkmcnt(0)
	s_barrier
	buffer_gl0_inv
	v_cmpx_gt_u32_e32 17, v122
	s_cbranch_execz .LBB37_83
; %bb.80:
	v_dual_mov_b32 v1, 0 :: v_dual_add_nc_u32 v8, 0x260, v13
	v_dual_mov_b32 v2, 0 :: v_dual_add_nc_u32 v7, -1, v122
	v_or_b32_e32 v9, 8, v14
	s_mov_b32 s3, 0
	s_delay_alu instid0(VALU_DEP_2)
	v_dual_mov_b32 v4, v2 :: v_dual_mov_b32 v3, v1
	.p2align	6
.LBB37_81:                              ; =>This Inner Loop Header: Depth=1
	scratch_load_b128 v[15:18], v9, off offset:-8
	ds_load_b128 v[19:22], v8
	v_add_nc_u32_e32 v7, 1, v7
	v_add_nc_u32_e32 v8, 16, v8
	;; [unrolled: 1-line block ×3, first 2 shown]
	s_delay_alu instid0(VALU_DEP_3) | instskip(SKIP_4) | instid1(VALU_DEP_2)
	v_cmp_lt_u32_e32 vcc_lo, 15, v7
	s_or_b32 s3, vcc_lo, s3
	s_waitcnt vmcnt(0) lgkmcnt(0)
	v_mul_f64 v[10:11], v[21:22], v[17:18]
	v_mul_f64 v[17:18], v[19:20], v[17:18]
	v_fma_f64 v[10:11], v[19:20], v[15:16], -v[10:11]
	s_delay_alu instid0(VALU_DEP_2) | instskip(NEXT) | instid1(VALU_DEP_2)
	v_fma_f64 v[15:16], v[21:22], v[15:16], v[17:18]
	v_add_f64 v[3:4], v[3:4], v[10:11]
	s_delay_alu instid0(VALU_DEP_2)
	v_add_f64 v[1:2], v[1:2], v[15:16]
	s_and_not1_b32 exec_lo, exec_lo, s3
	s_cbranch_execnz .LBB37_81
; %bb.82:
	s_or_b32 exec_lo, exec_lo, s3
	v_mov_b32_e32 v7, 0
	ds_load_b128 v[7:10], v7 offset:272
	s_waitcnt lgkmcnt(0)
	v_mul_f64 v[11:12], v[1:2], v[9:10]
	v_mul_f64 v[15:16], v[3:4], v[9:10]
	s_delay_alu instid0(VALU_DEP_2) | instskip(NEXT) | instid1(VALU_DEP_2)
	v_fma_f64 v[9:10], v[3:4], v[7:8], -v[11:12]
	v_fma_f64 v[11:12], v[1:2], v[7:8], v[15:16]
	scratch_store_b128 off, v[9:12], off offset:272
.LBB37_83:
	s_or_b32 exec_lo, exec_lo, s2
	s_waitcnt_vscnt null, 0x0
	s_barrier
	buffer_gl0_inv
	scratch_load_b128 v[1:4], v143, off
	s_mov_b32 s2, exec_lo
	s_waitcnt vmcnt(0)
	ds_store_b128 v5, v[1:4]
	s_waitcnt lgkmcnt(0)
	s_barrier
	buffer_gl0_inv
	v_cmpx_gt_u32_e32 18, v122
	s_cbranch_execz .LBB37_87
; %bb.84:
	v_dual_mov_b32 v1, 0 :: v_dual_add_nc_u32 v8, 0x260, v13
	v_dual_mov_b32 v2, 0 :: v_dual_add_nc_u32 v7, -1, v122
	v_or_b32_e32 v9, 8, v14
	s_mov_b32 s3, 0
	s_delay_alu instid0(VALU_DEP_2)
	v_dual_mov_b32 v4, v2 :: v_dual_mov_b32 v3, v1
	.p2align	6
.LBB37_85:                              ; =>This Inner Loop Header: Depth=1
	scratch_load_b128 v[15:18], v9, off offset:-8
	ds_load_b128 v[19:22], v8
	v_add_nc_u32_e32 v7, 1, v7
	v_add_nc_u32_e32 v8, 16, v8
	;; [unrolled: 1-line block ×3, first 2 shown]
	s_delay_alu instid0(VALU_DEP_3) | instskip(SKIP_4) | instid1(VALU_DEP_2)
	v_cmp_lt_u32_e32 vcc_lo, 16, v7
	s_or_b32 s3, vcc_lo, s3
	s_waitcnt vmcnt(0) lgkmcnt(0)
	v_mul_f64 v[10:11], v[21:22], v[17:18]
	v_mul_f64 v[17:18], v[19:20], v[17:18]
	v_fma_f64 v[10:11], v[19:20], v[15:16], -v[10:11]
	s_delay_alu instid0(VALU_DEP_2) | instskip(NEXT) | instid1(VALU_DEP_2)
	v_fma_f64 v[15:16], v[21:22], v[15:16], v[17:18]
	v_add_f64 v[3:4], v[3:4], v[10:11]
	s_delay_alu instid0(VALU_DEP_2)
	v_add_f64 v[1:2], v[1:2], v[15:16]
	s_and_not1_b32 exec_lo, exec_lo, s3
	s_cbranch_execnz .LBB37_85
; %bb.86:
	s_or_b32 exec_lo, exec_lo, s3
	v_mov_b32_e32 v7, 0
	ds_load_b128 v[7:10], v7 offset:288
	s_waitcnt lgkmcnt(0)
	v_mul_f64 v[11:12], v[1:2], v[9:10]
	v_mul_f64 v[15:16], v[3:4], v[9:10]
	s_delay_alu instid0(VALU_DEP_2) | instskip(NEXT) | instid1(VALU_DEP_2)
	v_fma_f64 v[9:10], v[3:4], v[7:8], -v[11:12]
	v_fma_f64 v[11:12], v[1:2], v[7:8], v[15:16]
	scratch_store_b128 off, v[9:12], off offset:288
.LBB37_87:
	s_or_b32 exec_lo, exec_lo, s2
	s_waitcnt_vscnt null, 0x0
	s_barrier
	buffer_gl0_inv
	scratch_load_b128 v[1:4], v142, off
	s_mov_b32 s2, exec_lo
	s_waitcnt vmcnt(0)
	ds_store_b128 v5, v[1:4]
	s_waitcnt lgkmcnt(0)
	s_barrier
	buffer_gl0_inv
	v_cmpx_gt_u32_e32 19, v122
	s_cbranch_execz .LBB37_91
; %bb.88:
	v_dual_mov_b32 v1, 0 :: v_dual_add_nc_u32 v8, 0x260, v13
	v_dual_mov_b32 v2, 0 :: v_dual_add_nc_u32 v7, -1, v122
	v_or_b32_e32 v9, 8, v14
	s_mov_b32 s3, 0
	s_delay_alu instid0(VALU_DEP_2)
	v_dual_mov_b32 v4, v2 :: v_dual_mov_b32 v3, v1
	.p2align	6
.LBB37_89:                              ; =>This Inner Loop Header: Depth=1
	scratch_load_b128 v[15:18], v9, off offset:-8
	ds_load_b128 v[19:22], v8
	v_add_nc_u32_e32 v7, 1, v7
	v_add_nc_u32_e32 v8, 16, v8
	;; [unrolled: 1-line block ×3, first 2 shown]
	s_delay_alu instid0(VALU_DEP_3) | instskip(SKIP_4) | instid1(VALU_DEP_2)
	v_cmp_lt_u32_e32 vcc_lo, 17, v7
	s_or_b32 s3, vcc_lo, s3
	s_waitcnt vmcnt(0) lgkmcnt(0)
	v_mul_f64 v[10:11], v[21:22], v[17:18]
	v_mul_f64 v[17:18], v[19:20], v[17:18]
	v_fma_f64 v[10:11], v[19:20], v[15:16], -v[10:11]
	s_delay_alu instid0(VALU_DEP_2) | instskip(NEXT) | instid1(VALU_DEP_2)
	v_fma_f64 v[15:16], v[21:22], v[15:16], v[17:18]
	v_add_f64 v[3:4], v[3:4], v[10:11]
	s_delay_alu instid0(VALU_DEP_2)
	v_add_f64 v[1:2], v[1:2], v[15:16]
	s_and_not1_b32 exec_lo, exec_lo, s3
	s_cbranch_execnz .LBB37_89
; %bb.90:
	s_or_b32 exec_lo, exec_lo, s3
	v_mov_b32_e32 v7, 0
	ds_load_b128 v[7:10], v7 offset:304
	s_waitcnt lgkmcnt(0)
	v_mul_f64 v[11:12], v[1:2], v[9:10]
	v_mul_f64 v[15:16], v[3:4], v[9:10]
	s_delay_alu instid0(VALU_DEP_2) | instskip(NEXT) | instid1(VALU_DEP_2)
	v_fma_f64 v[9:10], v[3:4], v[7:8], -v[11:12]
	v_fma_f64 v[11:12], v[1:2], v[7:8], v[15:16]
	scratch_store_b128 off, v[9:12], off offset:304
.LBB37_91:
	s_or_b32 exec_lo, exec_lo, s2
	s_waitcnt_vscnt null, 0x0
	s_barrier
	buffer_gl0_inv
	scratch_load_b128 v[1:4], v141, off
	s_mov_b32 s2, exec_lo
	s_waitcnt vmcnt(0)
	ds_store_b128 v5, v[1:4]
	s_waitcnt lgkmcnt(0)
	s_barrier
	buffer_gl0_inv
	v_cmpx_gt_u32_e32 20, v122
	s_cbranch_execz .LBB37_95
; %bb.92:
	v_dual_mov_b32 v1, 0 :: v_dual_add_nc_u32 v8, 0x260, v13
	v_dual_mov_b32 v2, 0 :: v_dual_add_nc_u32 v7, -1, v122
	v_or_b32_e32 v9, 8, v14
	s_mov_b32 s3, 0
	s_delay_alu instid0(VALU_DEP_2)
	v_dual_mov_b32 v4, v2 :: v_dual_mov_b32 v3, v1
	.p2align	6
.LBB37_93:                              ; =>This Inner Loop Header: Depth=1
	scratch_load_b128 v[15:18], v9, off offset:-8
	ds_load_b128 v[19:22], v8
	v_add_nc_u32_e32 v7, 1, v7
	v_add_nc_u32_e32 v8, 16, v8
	;; [unrolled: 1-line block ×3, first 2 shown]
	s_delay_alu instid0(VALU_DEP_3) | instskip(SKIP_4) | instid1(VALU_DEP_2)
	v_cmp_lt_u32_e32 vcc_lo, 18, v7
	s_or_b32 s3, vcc_lo, s3
	s_waitcnt vmcnt(0) lgkmcnt(0)
	v_mul_f64 v[10:11], v[21:22], v[17:18]
	v_mul_f64 v[17:18], v[19:20], v[17:18]
	v_fma_f64 v[10:11], v[19:20], v[15:16], -v[10:11]
	s_delay_alu instid0(VALU_DEP_2) | instskip(NEXT) | instid1(VALU_DEP_2)
	v_fma_f64 v[15:16], v[21:22], v[15:16], v[17:18]
	v_add_f64 v[3:4], v[3:4], v[10:11]
	s_delay_alu instid0(VALU_DEP_2)
	v_add_f64 v[1:2], v[1:2], v[15:16]
	s_and_not1_b32 exec_lo, exec_lo, s3
	s_cbranch_execnz .LBB37_93
; %bb.94:
	s_or_b32 exec_lo, exec_lo, s3
	v_mov_b32_e32 v7, 0
	ds_load_b128 v[7:10], v7 offset:320
	s_waitcnt lgkmcnt(0)
	v_mul_f64 v[11:12], v[1:2], v[9:10]
	v_mul_f64 v[15:16], v[3:4], v[9:10]
	s_delay_alu instid0(VALU_DEP_2) | instskip(NEXT) | instid1(VALU_DEP_2)
	v_fma_f64 v[9:10], v[3:4], v[7:8], -v[11:12]
	v_fma_f64 v[11:12], v[1:2], v[7:8], v[15:16]
	scratch_store_b128 off, v[9:12], off offset:320
.LBB37_95:
	s_or_b32 exec_lo, exec_lo, s2
	s_waitcnt_vscnt null, 0x0
	s_barrier
	buffer_gl0_inv
	scratch_load_b128 v[1:4], v139, off
	s_mov_b32 s2, exec_lo
	s_waitcnt vmcnt(0)
	ds_store_b128 v5, v[1:4]
	s_waitcnt lgkmcnt(0)
	s_barrier
	buffer_gl0_inv
	v_cmpx_gt_u32_e32 21, v122
	s_cbranch_execz .LBB37_99
; %bb.96:
	v_dual_mov_b32 v1, 0 :: v_dual_add_nc_u32 v8, 0x260, v13
	v_dual_mov_b32 v2, 0 :: v_dual_add_nc_u32 v7, -1, v122
	v_or_b32_e32 v9, 8, v14
	s_mov_b32 s3, 0
	s_delay_alu instid0(VALU_DEP_2)
	v_dual_mov_b32 v4, v2 :: v_dual_mov_b32 v3, v1
	.p2align	6
.LBB37_97:                              ; =>This Inner Loop Header: Depth=1
	scratch_load_b128 v[15:18], v9, off offset:-8
	ds_load_b128 v[19:22], v8
	v_add_nc_u32_e32 v7, 1, v7
	v_add_nc_u32_e32 v8, 16, v8
	;; [unrolled: 1-line block ×3, first 2 shown]
	s_delay_alu instid0(VALU_DEP_3) | instskip(SKIP_4) | instid1(VALU_DEP_2)
	v_cmp_lt_u32_e32 vcc_lo, 19, v7
	s_or_b32 s3, vcc_lo, s3
	s_waitcnt vmcnt(0) lgkmcnt(0)
	v_mul_f64 v[10:11], v[21:22], v[17:18]
	v_mul_f64 v[17:18], v[19:20], v[17:18]
	v_fma_f64 v[10:11], v[19:20], v[15:16], -v[10:11]
	s_delay_alu instid0(VALU_DEP_2) | instskip(NEXT) | instid1(VALU_DEP_2)
	v_fma_f64 v[15:16], v[21:22], v[15:16], v[17:18]
	v_add_f64 v[3:4], v[3:4], v[10:11]
	s_delay_alu instid0(VALU_DEP_2)
	v_add_f64 v[1:2], v[1:2], v[15:16]
	s_and_not1_b32 exec_lo, exec_lo, s3
	s_cbranch_execnz .LBB37_97
; %bb.98:
	s_or_b32 exec_lo, exec_lo, s3
	v_mov_b32_e32 v7, 0
	ds_load_b128 v[7:10], v7 offset:336
	s_waitcnt lgkmcnt(0)
	v_mul_f64 v[11:12], v[1:2], v[9:10]
	v_mul_f64 v[15:16], v[3:4], v[9:10]
	s_delay_alu instid0(VALU_DEP_2) | instskip(NEXT) | instid1(VALU_DEP_2)
	v_fma_f64 v[9:10], v[3:4], v[7:8], -v[11:12]
	v_fma_f64 v[11:12], v[1:2], v[7:8], v[15:16]
	scratch_store_b128 off, v[9:12], off offset:336
.LBB37_99:
	s_or_b32 exec_lo, exec_lo, s2
	s_waitcnt_vscnt null, 0x0
	s_barrier
	buffer_gl0_inv
	scratch_load_b128 v[1:4], v137, off
	s_mov_b32 s2, exec_lo
	s_waitcnt vmcnt(0)
	ds_store_b128 v5, v[1:4]
	s_waitcnt lgkmcnt(0)
	s_barrier
	buffer_gl0_inv
	v_cmpx_gt_u32_e32 22, v122
	s_cbranch_execz .LBB37_103
; %bb.100:
	v_dual_mov_b32 v1, 0 :: v_dual_add_nc_u32 v8, 0x260, v13
	v_dual_mov_b32 v2, 0 :: v_dual_add_nc_u32 v7, -1, v122
	v_or_b32_e32 v9, 8, v14
	s_mov_b32 s3, 0
	s_delay_alu instid0(VALU_DEP_2)
	v_dual_mov_b32 v4, v2 :: v_dual_mov_b32 v3, v1
	.p2align	6
.LBB37_101:                             ; =>This Inner Loop Header: Depth=1
	scratch_load_b128 v[15:18], v9, off offset:-8
	ds_load_b128 v[19:22], v8
	v_add_nc_u32_e32 v7, 1, v7
	v_add_nc_u32_e32 v8, 16, v8
	;; [unrolled: 1-line block ×3, first 2 shown]
	s_delay_alu instid0(VALU_DEP_3) | instskip(SKIP_4) | instid1(VALU_DEP_2)
	v_cmp_lt_u32_e32 vcc_lo, 20, v7
	s_or_b32 s3, vcc_lo, s3
	s_waitcnt vmcnt(0) lgkmcnt(0)
	v_mul_f64 v[10:11], v[21:22], v[17:18]
	v_mul_f64 v[17:18], v[19:20], v[17:18]
	v_fma_f64 v[10:11], v[19:20], v[15:16], -v[10:11]
	s_delay_alu instid0(VALU_DEP_2) | instskip(NEXT) | instid1(VALU_DEP_2)
	v_fma_f64 v[15:16], v[21:22], v[15:16], v[17:18]
	v_add_f64 v[3:4], v[3:4], v[10:11]
	s_delay_alu instid0(VALU_DEP_2)
	v_add_f64 v[1:2], v[1:2], v[15:16]
	s_and_not1_b32 exec_lo, exec_lo, s3
	s_cbranch_execnz .LBB37_101
; %bb.102:
	s_or_b32 exec_lo, exec_lo, s3
	v_mov_b32_e32 v7, 0
	ds_load_b128 v[7:10], v7 offset:352
	s_waitcnt lgkmcnt(0)
	v_mul_f64 v[11:12], v[1:2], v[9:10]
	v_mul_f64 v[15:16], v[3:4], v[9:10]
	s_delay_alu instid0(VALU_DEP_2) | instskip(NEXT) | instid1(VALU_DEP_2)
	v_fma_f64 v[9:10], v[3:4], v[7:8], -v[11:12]
	v_fma_f64 v[11:12], v[1:2], v[7:8], v[15:16]
	scratch_store_b128 off, v[9:12], off offset:352
.LBB37_103:
	s_or_b32 exec_lo, exec_lo, s2
	s_waitcnt_vscnt null, 0x0
	s_barrier
	buffer_gl0_inv
	scratch_load_b128 v[1:4], v136, off
	s_mov_b32 s2, exec_lo
	s_waitcnt vmcnt(0)
	ds_store_b128 v5, v[1:4]
	s_waitcnt lgkmcnt(0)
	s_barrier
	buffer_gl0_inv
	v_cmpx_gt_u32_e32 23, v122
	s_cbranch_execz .LBB37_107
; %bb.104:
	v_dual_mov_b32 v1, 0 :: v_dual_add_nc_u32 v8, 0x260, v13
	v_dual_mov_b32 v2, 0 :: v_dual_add_nc_u32 v7, -1, v122
	v_or_b32_e32 v9, 8, v14
	s_mov_b32 s3, 0
	s_delay_alu instid0(VALU_DEP_2)
	v_dual_mov_b32 v4, v2 :: v_dual_mov_b32 v3, v1
	.p2align	6
.LBB37_105:                             ; =>This Inner Loop Header: Depth=1
	scratch_load_b128 v[15:18], v9, off offset:-8
	ds_load_b128 v[19:22], v8
	v_add_nc_u32_e32 v7, 1, v7
	v_add_nc_u32_e32 v8, 16, v8
	;; [unrolled: 1-line block ×3, first 2 shown]
	s_delay_alu instid0(VALU_DEP_3) | instskip(SKIP_4) | instid1(VALU_DEP_2)
	v_cmp_lt_u32_e32 vcc_lo, 21, v7
	s_or_b32 s3, vcc_lo, s3
	s_waitcnt vmcnt(0) lgkmcnt(0)
	v_mul_f64 v[10:11], v[21:22], v[17:18]
	v_mul_f64 v[17:18], v[19:20], v[17:18]
	v_fma_f64 v[10:11], v[19:20], v[15:16], -v[10:11]
	s_delay_alu instid0(VALU_DEP_2) | instskip(NEXT) | instid1(VALU_DEP_2)
	v_fma_f64 v[15:16], v[21:22], v[15:16], v[17:18]
	v_add_f64 v[3:4], v[3:4], v[10:11]
	s_delay_alu instid0(VALU_DEP_2)
	v_add_f64 v[1:2], v[1:2], v[15:16]
	s_and_not1_b32 exec_lo, exec_lo, s3
	s_cbranch_execnz .LBB37_105
; %bb.106:
	s_or_b32 exec_lo, exec_lo, s3
	v_mov_b32_e32 v7, 0
	ds_load_b128 v[7:10], v7 offset:368
	s_waitcnt lgkmcnt(0)
	v_mul_f64 v[11:12], v[1:2], v[9:10]
	v_mul_f64 v[15:16], v[3:4], v[9:10]
	s_delay_alu instid0(VALU_DEP_2) | instskip(NEXT) | instid1(VALU_DEP_2)
	v_fma_f64 v[9:10], v[3:4], v[7:8], -v[11:12]
	v_fma_f64 v[11:12], v[1:2], v[7:8], v[15:16]
	scratch_store_b128 off, v[9:12], off offset:368
.LBB37_107:
	s_or_b32 exec_lo, exec_lo, s2
	s_waitcnt_vscnt null, 0x0
	s_barrier
	buffer_gl0_inv
	scratch_load_b128 v[1:4], v134, off
	s_mov_b32 s2, exec_lo
	s_waitcnt vmcnt(0)
	ds_store_b128 v5, v[1:4]
	s_waitcnt lgkmcnt(0)
	s_barrier
	buffer_gl0_inv
	v_cmpx_gt_u32_e32 24, v122
	s_cbranch_execz .LBB37_111
; %bb.108:
	v_dual_mov_b32 v1, 0 :: v_dual_add_nc_u32 v8, 0x260, v13
	v_dual_mov_b32 v2, 0 :: v_dual_add_nc_u32 v7, -1, v122
	v_or_b32_e32 v9, 8, v14
	s_mov_b32 s3, 0
	s_delay_alu instid0(VALU_DEP_2)
	v_dual_mov_b32 v4, v2 :: v_dual_mov_b32 v3, v1
	.p2align	6
.LBB37_109:                             ; =>This Inner Loop Header: Depth=1
	scratch_load_b128 v[15:18], v9, off offset:-8
	ds_load_b128 v[19:22], v8
	v_add_nc_u32_e32 v7, 1, v7
	v_add_nc_u32_e32 v8, 16, v8
	;; [unrolled: 1-line block ×3, first 2 shown]
	s_delay_alu instid0(VALU_DEP_3) | instskip(SKIP_4) | instid1(VALU_DEP_2)
	v_cmp_lt_u32_e32 vcc_lo, 22, v7
	s_or_b32 s3, vcc_lo, s3
	s_waitcnt vmcnt(0) lgkmcnt(0)
	v_mul_f64 v[10:11], v[21:22], v[17:18]
	v_mul_f64 v[17:18], v[19:20], v[17:18]
	v_fma_f64 v[10:11], v[19:20], v[15:16], -v[10:11]
	s_delay_alu instid0(VALU_DEP_2) | instskip(NEXT) | instid1(VALU_DEP_2)
	v_fma_f64 v[15:16], v[21:22], v[15:16], v[17:18]
	v_add_f64 v[3:4], v[3:4], v[10:11]
	s_delay_alu instid0(VALU_DEP_2)
	v_add_f64 v[1:2], v[1:2], v[15:16]
	s_and_not1_b32 exec_lo, exec_lo, s3
	s_cbranch_execnz .LBB37_109
; %bb.110:
	s_or_b32 exec_lo, exec_lo, s3
	v_mov_b32_e32 v7, 0
	ds_load_b128 v[7:10], v7 offset:384
	s_waitcnt lgkmcnt(0)
	v_mul_f64 v[11:12], v[1:2], v[9:10]
	v_mul_f64 v[15:16], v[3:4], v[9:10]
	s_delay_alu instid0(VALU_DEP_2) | instskip(NEXT) | instid1(VALU_DEP_2)
	v_fma_f64 v[9:10], v[3:4], v[7:8], -v[11:12]
	v_fma_f64 v[11:12], v[1:2], v[7:8], v[15:16]
	scratch_store_b128 off, v[9:12], off offset:384
.LBB37_111:
	s_or_b32 exec_lo, exec_lo, s2
	s_waitcnt_vscnt null, 0x0
	s_barrier
	buffer_gl0_inv
	scratch_load_b128 v[1:4], v132, off
	s_mov_b32 s2, exec_lo
	s_waitcnt vmcnt(0)
	ds_store_b128 v5, v[1:4]
	s_waitcnt lgkmcnt(0)
	s_barrier
	buffer_gl0_inv
	v_cmpx_gt_u32_e32 25, v122
	s_cbranch_execz .LBB37_115
; %bb.112:
	v_dual_mov_b32 v1, 0 :: v_dual_add_nc_u32 v8, 0x260, v13
	v_dual_mov_b32 v2, 0 :: v_dual_add_nc_u32 v7, -1, v122
	v_or_b32_e32 v9, 8, v14
	s_mov_b32 s3, 0
	s_delay_alu instid0(VALU_DEP_2)
	v_dual_mov_b32 v4, v2 :: v_dual_mov_b32 v3, v1
	.p2align	6
.LBB37_113:                             ; =>This Inner Loop Header: Depth=1
	scratch_load_b128 v[15:18], v9, off offset:-8
	ds_load_b128 v[19:22], v8
	v_add_nc_u32_e32 v7, 1, v7
	v_add_nc_u32_e32 v8, 16, v8
	;; [unrolled: 1-line block ×3, first 2 shown]
	s_delay_alu instid0(VALU_DEP_3) | instskip(SKIP_4) | instid1(VALU_DEP_2)
	v_cmp_lt_u32_e32 vcc_lo, 23, v7
	s_or_b32 s3, vcc_lo, s3
	s_waitcnt vmcnt(0) lgkmcnt(0)
	v_mul_f64 v[10:11], v[21:22], v[17:18]
	v_mul_f64 v[17:18], v[19:20], v[17:18]
	v_fma_f64 v[10:11], v[19:20], v[15:16], -v[10:11]
	s_delay_alu instid0(VALU_DEP_2) | instskip(NEXT) | instid1(VALU_DEP_2)
	v_fma_f64 v[15:16], v[21:22], v[15:16], v[17:18]
	v_add_f64 v[3:4], v[3:4], v[10:11]
	s_delay_alu instid0(VALU_DEP_2)
	v_add_f64 v[1:2], v[1:2], v[15:16]
	s_and_not1_b32 exec_lo, exec_lo, s3
	s_cbranch_execnz .LBB37_113
; %bb.114:
	s_or_b32 exec_lo, exec_lo, s3
	v_mov_b32_e32 v7, 0
	ds_load_b128 v[7:10], v7 offset:400
	s_waitcnt lgkmcnt(0)
	v_mul_f64 v[11:12], v[1:2], v[9:10]
	v_mul_f64 v[15:16], v[3:4], v[9:10]
	s_delay_alu instid0(VALU_DEP_2) | instskip(NEXT) | instid1(VALU_DEP_2)
	v_fma_f64 v[9:10], v[3:4], v[7:8], -v[11:12]
	v_fma_f64 v[11:12], v[1:2], v[7:8], v[15:16]
	scratch_store_b128 off, v[9:12], off offset:400
.LBB37_115:
	s_or_b32 exec_lo, exec_lo, s2
	s_waitcnt_vscnt null, 0x0
	s_barrier
	buffer_gl0_inv
	scratch_load_b128 v[1:4], v131, off
	s_mov_b32 s2, exec_lo
	s_waitcnt vmcnt(0)
	ds_store_b128 v5, v[1:4]
	s_waitcnt lgkmcnt(0)
	s_barrier
	buffer_gl0_inv
	v_cmpx_gt_u32_e32 26, v122
	s_cbranch_execz .LBB37_119
; %bb.116:
	v_dual_mov_b32 v1, 0 :: v_dual_add_nc_u32 v8, 0x260, v13
	v_dual_mov_b32 v2, 0 :: v_dual_add_nc_u32 v7, -1, v122
	v_or_b32_e32 v9, 8, v14
	s_mov_b32 s3, 0
	s_delay_alu instid0(VALU_DEP_2)
	v_dual_mov_b32 v4, v2 :: v_dual_mov_b32 v3, v1
	.p2align	6
.LBB37_117:                             ; =>This Inner Loop Header: Depth=1
	scratch_load_b128 v[15:18], v9, off offset:-8
	ds_load_b128 v[19:22], v8
	v_add_nc_u32_e32 v7, 1, v7
	v_add_nc_u32_e32 v8, 16, v8
	;; [unrolled: 1-line block ×3, first 2 shown]
	s_delay_alu instid0(VALU_DEP_3) | instskip(SKIP_4) | instid1(VALU_DEP_2)
	v_cmp_lt_u32_e32 vcc_lo, 24, v7
	s_or_b32 s3, vcc_lo, s3
	s_waitcnt vmcnt(0) lgkmcnt(0)
	v_mul_f64 v[10:11], v[21:22], v[17:18]
	v_mul_f64 v[17:18], v[19:20], v[17:18]
	v_fma_f64 v[10:11], v[19:20], v[15:16], -v[10:11]
	s_delay_alu instid0(VALU_DEP_2) | instskip(NEXT) | instid1(VALU_DEP_2)
	v_fma_f64 v[15:16], v[21:22], v[15:16], v[17:18]
	v_add_f64 v[3:4], v[3:4], v[10:11]
	s_delay_alu instid0(VALU_DEP_2)
	v_add_f64 v[1:2], v[1:2], v[15:16]
	s_and_not1_b32 exec_lo, exec_lo, s3
	s_cbranch_execnz .LBB37_117
; %bb.118:
	s_or_b32 exec_lo, exec_lo, s3
	v_mov_b32_e32 v7, 0
	ds_load_b128 v[7:10], v7 offset:416
	s_waitcnt lgkmcnt(0)
	v_mul_f64 v[11:12], v[1:2], v[9:10]
	v_mul_f64 v[15:16], v[3:4], v[9:10]
	s_delay_alu instid0(VALU_DEP_2) | instskip(NEXT) | instid1(VALU_DEP_2)
	v_fma_f64 v[9:10], v[3:4], v[7:8], -v[11:12]
	v_fma_f64 v[11:12], v[1:2], v[7:8], v[15:16]
	scratch_store_b128 off, v[9:12], off offset:416
.LBB37_119:
	s_or_b32 exec_lo, exec_lo, s2
	s_waitcnt_vscnt null, 0x0
	s_barrier
	buffer_gl0_inv
	scratch_load_b128 v[1:4], v130, off
	s_mov_b32 s2, exec_lo
	s_waitcnt vmcnt(0)
	ds_store_b128 v5, v[1:4]
	s_waitcnt lgkmcnt(0)
	s_barrier
	buffer_gl0_inv
	v_cmpx_gt_u32_e32 27, v122
	s_cbranch_execz .LBB37_123
; %bb.120:
	v_dual_mov_b32 v1, 0 :: v_dual_add_nc_u32 v8, 0x260, v13
	v_dual_mov_b32 v2, 0 :: v_dual_add_nc_u32 v7, -1, v122
	v_or_b32_e32 v9, 8, v14
	s_mov_b32 s3, 0
	s_delay_alu instid0(VALU_DEP_2)
	v_dual_mov_b32 v4, v2 :: v_dual_mov_b32 v3, v1
	.p2align	6
.LBB37_121:                             ; =>This Inner Loop Header: Depth=1
	scratch_load_b128 v[15:18], v9, off offset:-8
	ds_load_b128 v[19:22], v8
	v_add_nc_u32_e32 v7, 1, v7
	v_add_nc_u32_e32 v8, 16, v8
	;; [unrolled: 1-line block ×3, first 2 shown]
	s_delay_alu instid0(VALU_DEP_3) | instskip(SKIP_4) | instid1(VALU_DEP_2)
	v_cmp_lt_u32_e32 vcc_lo, 25, v7
	s_or_b32 s3, vcc_lo, s3
	s_waitcnt vmcnt(0) lgkmcnt(0)
	v_mul_f64 v[10:11], v[21:22], v[17:18]
	v_mul_f64 v[17:18], v[19:20], v[17:18]
	v_fma_f64 v[10:11], v[19:20], v[15:16], -v[10:11]
	s_delay_alu instid0(VALU_DEP_2) | instskip(NEXT) | instid1(VALU_DEP_2)
	v_fma_f64 v[15:16], v[21:22], v[15:16], v[17:18]
	v_add_f64 v[3:4], v[3:4], v[10:11]
	s_delay_alu instid0(VALU_DEP_2)
	v_add_f64 v[1:2], v[1:2], v[15:16]
	s_and_not1_b32 exec_lo, exec_lo, s3
	s_cbranch_execnz .LBB37_121
; %bb.122:
	s_or_b32 exec_lo, exec_lo, s3
	v_mov_b32_e32 v7, 0
	ds_load_b128 v[7:10], v7 offset:432
	s_waitcnt lgkmcnt(0)
	v_mul_f64 v[11:12], v[1:2], v[9:10]
	v_mul_f64 v[15:16], v[3:4], v[9:10]
	s_delay_alu instid0(VALU_DEP_2) | instskip(NEXT) | instid1(VALU_DEP_2)
	v_fma_f64 v[9:10], v[3:4], v[7:8], -v[11:12]
	v_fma_f64 v[11:12], v[1:2], v[7:8], v[15:16]
	scratch_store_b128 off, v[9:12], off offset:432
.LBB37_123:
	s_or_b32 exec_lo, exec_lo, s2
	s_waitcnt_vscnt null, 0x0
	s_barrier
	buffer_gl0_inv
	scratch_load_b128 v[1:4], v129, off
	s_mov_b32 s2, exec_lo
	s_waitcnt vmcnt(0)
	ds_store_b128 v5, v[1:4]
	s_waitcnt lgkmcnt(0)
	s_barrier
	buffer_gl0_inv
	v_cmpx_gt_u32_e32 28, v122
	s_cbranch_execz .LBB37_127
; %bb.124:
	v_dual_mov_b32 v1, 0 :: v_dual_add_nc_u32 v8, 0x260, v13
	v_dual_mov_b32 v2, 0 :: v_dual_add_nc_u32 v7, -1, v122
	v_or_b32_e32 v9, 8, v14
	s_mov_b32 s3, 0
	s_delay_alu instid0(VALU_DEP_2)
	v_dual_mov_b32 v4, v2 :: v_dual_mov_b32 v3, v1
	.p2align	6
.LBB37_125:                             ; =>This Inner Loop Header: Depth=1
	scratch_load_b128 v[15:18], v9, off offset:-8
	ds_load_b128 v[19:22], v8
	v_add_nc_u32_e32 v7, 1, v7
	v_add_nc_u32_e32 v8, 16, v8
	;; [unrolled: 1-line block ×3, first 2 shown]
	s_delay_alu instid0(VALU_DEP_3) | instskip(SKIP_4) | instid1(VALU_DEP_2)
	v_cmp_lt_u32_e32 vcc_lo, 26, v7
	s_or_b32 s3, vcc_lo, s3
	s_waitcnt vmcnt(0) lgkmcnt(0)
	v_mul_f64 v[10:11], v[21:22], v[17:18]
	v_mul_f64 v[17:18], v[19:20], v[17:18]
	v_fma_f64 v[10:11], v[19:20], v[15:16], -v[10:11]
	s_delay_alu instid0(VALU_DEP_2) | instskip(NEXT) | instid1(VALU_DEP_2)
	v_fma_f64 v[15:16], v[21:22], v[15:16], v[17:18]
	v_add_f64 v[3:4], v[3:4], v[10:11]
	s_delay_alu instid0(VALU_DEP_2)
	v_add_f64 v[1:2], v[1:2], v[15:16]
	s_and_not1_b32 exec_lo, exec_lo, s3
	s_cbranch_execnz .LBB37_125
; %bb.126:
	s_or_b32 exec_lo, exec_lo, s3
	v_mov_b32_e32 v7, 0
	ds_load_b128 v[7:10], v7 offset:448
	s_waitcnt lgkmcnt(0)
	v_mul_f64 v[11:12], v[1:2], v[9:10]
	v_mul_f64 v[15:16], v[3:4], v[9:10]
	s_delay_alu instid0(VALU_DEP_2) | instskip(NEXT) | instid1(VALU_DEP_2)
	v_fma_f64 v[9:10], v[3:4], v[7:8], -v[11:12]
	v_fma_f64 v[11:12], v[1:2], v[7:8], v[15:16]
	scratch_store_b128 off, v[9:12], off offset:448
.LBB37_127:
	s_or_b32 exec_lo, exec_lo, s2
	s_waitcnt_vscnt null, 0x0
	s_barrier
	buffer_gl0_inv
	scratch_load_b128 v[1:4], v128, off
	s_mov_b32 s2, exec_lo
	s_waitcnt vmcnt(0)
	ds_store_b128 v5, v[1:4]
	s_waitcnt lgkmcnt(0)
	s_barrier
	buffer_gl0_inv
	v_cmpx_gt_u32_e32 29, v122
	s_cbranch_execz .LBB37_131
; %bb.128:
	v_dual_mov_b32 v1, 0 :: v_dual_add_nc_u32 v8, 0x260, v13
	v_dual_mov_b32 v2, 0 :: v_dual_add_nc_u32 v7, -1, v122
	v_or_b32_e32 v9, 8, v14
	s_mov_b32 s3, 0
	s_delay_alu instid0(VALU_DEP_2)
	v_dual_mov_b32 v4, v2 :: v_dual_mov_b32 v3, v1
	.p2align	6
.LBB37_129:                             ; =>This Inner Loop Header: Depth=1
	scratch_load_b128 v[15:18], v9, off offset:-8
	ds_load_b128 v[19:22], v8
	v_add_nc_u32_e32 v7, 1, v7
	v_add_nc_u32_e32 v8, 16, v8
	;; [unrolled: 1-line block ×3, first 2 shown]
	s_delay_alu instid0(VALU_DEP_3) | instskip(SKIP_4) | instid1(VALU_DEP_2)
	v_cmp_lt_u32_e32 vcc_lo, 27, v7
	s_or_b32 s3, vcc_lo, s3
	s_waitcnt vmcnt(0) lgkmcnt(0)
	v_mul_f64 v[10:11], v[21:22], v[17:18]
	v_mul_f64 v[17:18], v[19:20], v[17:18]
	v_fma_f64 v[10:11], v[19:20], v[15:16], -v[10:11]
	s_delay_alu instid0(VALU_DEP_2) | instskip(NEXT) | instid1(VALU_DEP_2)
	v_fma_f64 v[15:16], v[21:22], v[15:16], v[17:18]
	v_add_f64 v[3:4], v[3:4], v[10:11]
	s_delay_alu instid0(VALU_DEP_2)
	v_add_f64 v[1:2], v[1:2], v[15:16]
	s_and_not1_b32 exec_lo, exec_lo, s3
	s_cbranch_execnz .LBB37_129
; %bb.130:
	s_or_b32 exec_lo, exec_lo, s3
	v_mov_b32_e32 v7, 0
	ds_load_b128 v[7:10], v7 offset:464
	s_waitcnt lgkmcnt(0)
	v_mul_f64 v[11:12], v[1:2], v[9:10]
	v_mul_f64 v[15:16], v[3:4], v[9:10]
	s_delay_alu instid0(VALU_DEP_2) | instskip(NEXT) | instid1(VALU_DEP_2)
	v_fma_f64 v[9:10], v[3:4], v[7:8], -v[11:12]
	v_fma_f64 v[11:12], v[1:2], v[7:8], v[15:16]
	scratch_store_b128 off, v[9:12], off offset:464
.LBB37_131:
	s_or_b32 exec_lo, exec_lo, s2
	s_waitcnt_vscnt null, 0x0
	s_barrier
	buffer_gl0_inv
	scratch_load_b128 v[1:4], v127, off
	s_mov_b32 s2, exec_lo
	s_waitcnt vmcnt(0)
	ds_store_b128 v5, v[1:4]
	s_waitcnt lgkmcnt(0)
	s_barrier
	buffer_gl0_inv
	v_cmpx_gt_u32_e32 30, v122
	s_cbranch_execz .LBB37_135
; %bb.132:
	v_dual_mov_b32 v1, 0 :: v_dual_add_nc_u32 v8, 0x260, v13
	v_dual_mov_b32 v2, 0 :: v_dual_add_nc_u32 v7, -1, v122
	v_or_b32_e32 v9, 8, v14
	s_mov_b32 s3, 0
	s_delay_alu instid0(VALU_DEP_2)
	v_dual_mov_b32 v4, v2 :: v_dual_mov_b32 v3, v1
	.p2align	6
.LBB37_133:                             ; =>This Inner Loop Header: Depth=1
	scratch_load_b128 v[15:18], v9, off offset:-8
	ds_load_b128 v[19:22], v8
	v_add_nc_u32_e32 v7, 1, v7
	v_add_nc_u32_e32 v8, 16, v8
	;; [unrolled: 1-line block ×3, first 2 shown]
	s_delay_alu instid0(VALU_DEP_3) | instskip(SKIP_4) | instid1(VALU_DEP_2)
	v_cmp_lt_u32_e32 vcc_lo, 28, v7
	s_or_b32 s3, vcc_lo, s3
	s_waitcnt vmcnt(0) lgkmcnt(0)
	v_mul_f64 v[10:11], v[21:22], v[17:18]
	v_mul_f64 v[17:18], v[19:20], v[17:18]
	v_fma_f64 v[10:11], v[19:20], v[15:16], -v[10:11]
	s_delay_alu instid0(VALU_DEP_2) | instskip(NEXT) | instid1(VALU_DEP_2)
	v_fma_f64 v[15:16], v[21:22], v[15:16], v[17:18]
	v_add_f64 v[3:4], v[3:4], v[10:11]
	s_delay_alu instid0(VALU_DEP_2)
	v_add_f64 v[1:2], v[1:2], v[15:16]
	s_and_not1_b32 exec_lo, exec_lo, s3
	s_cbranch_execnz .LBB37_133
; %bb.134:
	s_or_b32 exec_lo, exec_lo, s3
	v_mov_b32_e32 v7, 0
	ds_load_b128 v[7:10], v7 offset:480
	s_waitcnt lgkmcnt(0)
	v_mul_f64 v[11:12], v[1:2], v[9:10]
	v_mul_f64 v[15:16], v[3:4], v[9:10]
	s_delay_alu instid0(VALU_DEP_2) | instskip(NEXT) | instid1(VALU_DEP_2)
	v_fma_f64 v[9:10], v[3:4], v[7:8], -v[11:12]
	v_fma_f64 v[11:12], v[1:2], v[7:8], v[15:16]
	scratch_store_b128 off, v[9:12], off offset:480
.LBB37_135:
	s_or_b32 exec_lo, exec_lo, s2
	s_waitcnt_vscnt null, 0x0
	s_barrier
	buffer_gl0_inv
	scratch_load_b128 v[1:4], v151, off
	s_mov_b32 s2, exec_lo
	s_waitcnt vmcnt(0)
	ds_store_b128 v5, v[1:4]
	s_waitcnt lgkmcnt(0)
	s_barrier
	buffer_gl0_inv
	v_cmpx_gt_u32_e32 31, v122
	s_cbranch_execz .LBB37_139
; %bb.136:
	v_dual_mov_b32 v1, 0 :: v_dual_add_nc_u32 v8, 0x260, v13
	v_dual_mov_b32 v2, 0 :: v_dual_add_nc_u32 v7, -1, v122
	v_or_b32_e32 v9, 8, v14
	s_mov_b32 s3, 0
	s_delay_alu instid0(VALU_DEP_2)
	v_dual_mov_b32 v4, v2 :: v_dual_mov_b32 v3, v1
	.p2align	6
.LBB37_137:                             ; =>This Inner Loop Header: Depth=1
	scratch_load_b128 v[15:18], v9, off offset:-8
	ds_load_b128 v[19:22], v8
	v_add_nc_u32_e32 v7, 1, v7
	v_add_nc_u32_e32 v8, 16, v8
	;; [unrolled: 1-line block ×3, first 2 shown]
	s_delay_alu instid0(VALU_DEP_3) | instskip(SKIP_4) | instid1(VALU_DEP_2)
	v_cmp_lt_u32_e32 vcc_lo, 29, v7
	s_or_b32 s3, vcc_lo, s3
	s_waitcnt vmcnt(0) lgkmcnt(0)
	v_mul_f64 v[10:11], v[21:22], v[17:18]
	v_mul_f64 v[17:18], v[19:20], v[17:18]
	v_fma_f64 v[10:11], v[19:20], v[15:16], -v[10:11]
	s_delay_alu instid0(VALU_DEP_2) | instskip(NEXT) | instid1(VALU_DEP_2)
	v_fma_f64 v[15:16], v[21:22], v[15:16], v[17:18]
	v_add_f64 v[3:4], v[3:4], v[10:11]
	s_delay_alu instid0(VALU_DEP_2)
	v_add_f64 v[1:2], v[1:2], v[15:16]
	s_and_not1_b32 exec_lo, exec_lo, s3
	s_cbranch_execnz .LBB37_137
; %bb.138:
	s_or_b32 exec_lo, exec_lo, s3
	v_mov_b32_e32 v7, 0
	ds_load_b128 v[7:10], v7 offset:496
	s_waitcnt lgkmcnt(0)
	v_mul_f64 v[11:12], v[1:2], v[9:10]
	v_mul_f64 v[15:16], v[3:4], v[9:10]
	s_delay_alu instid0(VALU_DEP_2) | instskip(NEXT) | instid1(VALU_DEP_2)
	v_fma_f64 v[9:10], v[3:4], v[7:8], -v[11:12]
	v_fma_f64 v[11:12], v[1:2], v[7:8], v[15:16]
	scratch_store_b128 off, v[9:12], off offset:496
.LBB37_139:
	s_or_b32 exec_lo, exec_lo, s2
	s_waitcnt_vscnt null, 0x0
	s_barrier
	buffer_gl0_inv
	scratch_load_b128 v[1:4], v146, off
	s_mov_b32 s2, exec_lo
	s_waitcnt vmcnt(0)
	ds_store_b128 v5, v[1:4]
	s_waitcnt lgkmcnt(0)
	s_barrier
	buffer_gl0_inv
	v_cmpx_gt_u32_e32 32, v122
	s_cbranch_execz .LBB37_143
; %bb.140:
	v_dual_mov_b32 v1, 0 :: v_dual_add_nc_u32 v8, 0x260, v13
	v_dual_mov_b32 v2, 0 :: v_dual_add_nc_u32 v7, -1, v122
	v_or_b32_e32 v9, 8, v14
	s_mov_b32 s3, 0
	s_delay_alu instid0(VALU_DEP_2)
	v_dual_mov_b32 v4, v2 :: v_dual_mov_b32 v3, v1
	.p2align	6
.LBB37_141:                             ; =>This Inner Loop Header: Depth=1
	scratch_load_b128 v[15:18], v9, off offset:-8
	ds_load_b128 v[19:22], v8
	v_add_nc_u32_e32 v7, 1, v7
	v_add_nc_u32_e32 v8, 16, v8
	;; [unrolled: 1-line block ×3, first 2 shown]
	s_delay_alu instid0(VALU_DEP_3) | instskip(SKIP_4) | instid1(VALU_DEP_2)
	v_cmp_lt_u32_e32 vcc_lo, 30, v7
	s_or_b32 s3, vcc_lo, s3
	s_waitcnt vmcnt(0) lgkmcnt(0)
	v_mul_f64 v[10:11], v[21:22], v[17:18]
	v_mul_f64 v[17:18], v[19:20], v[17:18]
	v_fma_f64 v[10:11], v[19:20], v[15:16], -v[10:11]
	s_delay_alu instid0(VALU_DEP_2) | instskip(NEXT) | instid1(VALU_DEP_2)
	v_fma_f64 v[15:16], v[21:22], v[15:16], v[17:18]
	v_add_f64 v[3:4], v[3:4], v[10:11]
	s_delay_alu instid0(VALU_DEP_2)
	v_add_f64 v[1:2], v[1:2], v[15:16]
	s_and_not1_b32 exec_lo, exec_lo, s3
	s_cbranch_execnz .LBB37_141
; %bb.142:
	s_or_b32 exec_lo, exec_lo, s3
	v_mov_b32_e32 v7, 0
	ds_load_b128 v[7:10], v7 offset:512
	s_waitcnt lgkmcnt(0)
	v_mul_f64 v[11:12], v[1:2], v[9:10]
	v_mul_f64 v[15:16], v[3:4], v[9:10]
	s_delay_alu instid0(VALU_DEP_2) | instskip(NEXT) | instid1(VALU_DEP_2)
	v_fma_f64 v[9:10], v[3:4], v[7:8], -v[11:12]
	v_fma_f64 v[11:12], v[1:2], v[7:8], v[15:16]
	scratch_store_b128 off, v[9:12], off offset:512
.LBB37_143:
	s_or_b32 exec_lo, exec_lo, s2
	s_waitcnt_vscnt null, 0x0
	s_barrier
	buffer_gl0_inv
	scratch_load_b128 v[1:4], v144, off
	s_mov_b32 s2, exec_lo
	s_waitcnt vmcnt(0)
	ds_store_b128 v5, v[1:4]
	s_waitcnt lgkmcnt(0)
	s_barrier
	buffer_gl0_inv
	v_cmpx_gt_u32_e32 33, v122
	s_cbranch_execz .LBB37_147
; %bb.144:
	v_dual_mov_b32 v1, 0 :: v_dual_add_nc_u32 v8, 0x260, v13
	v_dual_mov_b32 v2, 0 :: v_dual_add_nc_u32 v7, -1, v122
	v_or_b32_e32 v9, 8, v14
	s_mov_b32 s3, 0
	s_delay_alu instid0(VALU_DEP_2)
	v_dual_mov_b32 v4, v2 :: v_dual_mov_b32 v3, v1
	.p2align	6
.LBB37_145:                             ; =>This Inner Loop Header: Depth=1
	scratch_load_b128 v[15:18], v9, off offset:-8
	ds_load_b128 v[19:22], v8
	v_add_nc_u32_e32 v7, 1, v7
	v_add_nc_u32_e32 v8, 16, v8
	v_add_nc_u32_e32 v9, 16, v9
	s_delay_alu instid0(VALU_DEP_3) | instskip(SKIP_4) | instid1(VALU_DEP_2)
	v_cmp_lt_u32_e32 vcc_lo, 31, v7
	s_or_b32 s3, vcc_lo, s3
	s_waitcnt vmcnt(0) lgkmcnt(0)
	v_mul_f64 v[10:11], v[21:22], v[17:18]
	v_mul_f64 v[17:18], v[19:20], v[17:18]
	v_fma_f64 v[10:11], v[19:20], v[15:16], -v[10:11]
	s_delay_alu instid0(VALU_DEP_2) | instskip(NEXT) | instid1(VALU_DEP_2)
	v_fma_f64 v[15:16], v[21:22], v[15:16], v[17:18]
	v_add_f64 v[3:4], v[3:4], v[10:11]
	s_delay_alu instid0(VALU_DEP_2)
	v_add_f64 v[1:2], v[1:2], v[15:16]
	s_and_not1_b32 exec_lo, exec_lo, s3
	s_cbranch_execnz .LBB37_145
; %bb.146:
	s_or_b32 exec_lo, exec_lo, s3
	v_mov_b32_e32 v7, 0
	ds_load_b128 v[7:10], v7 offset:528
	s_waitcnt lgkmcnt(0)
	v_mul_f64 v[11:12], v[1:2], v[9:10]
	v_mul_f64 v[15:16], v[3:4], v[9:10]
	s_delay_alu instid0(VALU_DEP_2) | instskip(NEXT) | instid1(VALU_DEP_2)
	v_fma_f64 v[9:10], v[3:4], v[7:8], -v[11:12]
	v_fma_f64 v[11:12], v[1:2], v[7:8], v[15:16]
	scratch_store_b128 off, v[9:12], off offset:528
.LBB37_147:
	s_or_b32 exec_lo, exec_lo, s2
	s_waitcnt_vscnt null, 0x0
	s_barrier
	buffer_gl0_inv
	scratch_load_b128 v[1:4], v140, off
	s_mov_b32 s2, exec_lo
	s_waitcnt vmcnt(0)
	ds_store_b128 v5, v[1:4]
	s_waitcnt lgkmcnt(0)
	s_barrier
	buffer_gl0_inv
	v_cmpx_gt_u32_e32 34, v122
	s_cbranch_execz .LBB37_151
; %bb.148:
	v_dual_mov_b32 v1, 0 :: v_dual_add_nc_u32 v8, 0x260, v13
	v_dual_mov_b32 v2, 0 :: v_dual_add_nc_u32 v7, -1, v122
	v_or_b32_e32 v9, 8, v14
	s_mov_b32 s3, 0
	s_delay_alu instid0(VALU_DEP_2)
	v_dual_mov_b32 v4, v2 :: v_dual_mov_b32 v3, v1
	.p2align	6
.LBB37_149:                             ; =>This Inner Loop Header: Depth=1
	scratch_load_b128 v[15:18], v9, off offset:-8
	ds_load_b128 v[19:22], v8
	v_add_nc_u32_e32 v7, 1, v7
	v_add_nc_u32_e32 v8, 16, v8
	;; [unrolled: 1-line block ×3, first 2 shown]
	s_delay_alu instid0(VALU_DEP_3) | instskip(SKIP_4) | instid1(VALU_DEP_2)
	v_cmp_lt_u32_e32 vcc_lo, 32, v7
	s_or_b32 s3, vcc_lo, s3
	s_waitcnt vmcnt(0) lgkmcnt(0)
	v_mul_f64 v[10:11], v[21:22], v[17:18]
	v_mul_f64 v[17:18], v[19:20], v[17:18]
	v_fma_f64 v[10:11], v[19:20], v[15:16], -v[10:11]
	s_delay_alu instid0(VALU_DEP_2) | instskip(NEXT) | instid1(VALU_DEP_2)
	v_fma_f64 v[15:16], v[21:22], v[15:16], v[17:18]
	v_add_f64 v[3:4], v[3:4], v[10:11]
	s_delay_alu instid0(VALU_DEP_2)
	v_add_f64 v[1:2], v[1:2], v[15:16]
	s_and_not1_b32 exec_lo, exec_lo, s3
	s_cbranch_execnz .LBB37_149
; %bb.150:
	s_or_b32 exec_lo, exec_lo, s3
	v_mov_b32_e32 v7, 0
	ds_load_b128 v[7:10], v7 offset:544
	s_waitcnt lgkmcnt(0)
	v_mul_f64 v[11:12], v[1:2], v[9:10]
	v_mul_f64 v[15:16], v[3:4], v[9:10]
	s_delay_alu instid0(VALU_DEP_2) | instskip(NEXT) | instid1(VALU_DEP_2)
	v_fma_f64 v[9:10], v[3:4], v[7:8], -v[11:12]
	v_fma_f64 v[11:12], v[1:2], v[7:8], v[15:16]
	scratch_store_b128 off, v[9:12], off offset:544
.LBB37_151:
	s_or_b32 exec_lo, exec_lo, s2
	s_waitcnt_vscnt null, 0x0
	s_barrier
	buffer_gl0_inv
	scratch_load_b128 v[1:4], v138, off
	s_mov_b32 s2, exec_lo
	s_waitcnt vmcnt(0)
	ds_store_b128 v5, v[1:4]
	s_waitcnt lgkmcnt(0)
	s_barrier
	buffer_gl0_inv
	v_cmpx_gt_u32_e32 35, v122
	s_cbranch_execz .LBB37_155
; %bb.152:
	v_dual_mov_b32 v1, 0 :: v_dual_add_nc_u32 v8, 0x260, v13
	v_dual_mov_b32 v2, 0 :: v_dual_add_nc_u32 v7, -1, v122
	v_or_b32_e32 v9, 8, v14
	s_mov_b32 s3, 0
	s_delay_alu instid0(VALU_DEP_2)
	v_dual_mov_b32 v4, v2 :: v_dual_mov_b32 v3, v1
	.p2align	6
.LBB37_153:                             ; =>This Inner Loop Header: Depth=1
	scratch_load_b128 v[15:18], v9, off offset:-8
	ds_load_b128 v[19:22], v8
	v_add_nc_u32_e32 v7, 1, v7
	v_add_nc_u32_e32 v8, 16, v8
	;; [unrolled: 1-line block ×3, first 2 shown]
	s_delay_alu instid0(VALU_DEP_3) | instskip(SKIP_4) | instid1(VALU_DEP_2)
	v_cmp_lt_u32_e32 vcc_lo, 33, v7
	s_or_b32 s3, vcc_lo, s3
	s_waitcnt vmcnt(0) lgkmcnt(0)
	v_mul_f64 v[10:11], v[21:22], v[17:18]
	v_mul_f64 v[17:18], v[19:20], v[17:18]
	v_fma_f64 v[10:11], v[19:20], v[15:16], -v[10:11]
	s_delay_alu instid0(VALU_DEP_2) | instskip(NEXT) | instid1(VALU_DEP_2)
	v_fma_f64 v[15:16], v[21:22], v[15:16], v[17:18]
	v_add_f64 v[3:4], v[3:4], v[10:11]
	s_delay_alu instid0(VALU_DEP_2)
	v_add_f64 v[1:2], v[1:2], v[15:16]
	s_and_not1_b32 exec_lo, exec_lo, s3
	s_cbranch_execnz .LBB37_153
; %bb.154:
	s_or_b32 exec_lo, exec_lo, s3
	v_mov_b32_e32 v7, 0
	ds_load_b128 v[7:10], v7 offset:560
	s_waitcnt lgkmcnt(0)
	v_mul_f64 v[11:12], v[1:2], v[9:10]
	v_mul_f64 v[15:16], v[3:4], v[9:10]
	s_delay_alu instid0(VALU_DEP_2) | instskip(NEXT) | instid1(VALU_DEP_2)
	v_fma_f64 v[9:10], v[3:4], v[7:8], -v[11:12]
	v_fma_f64 v[11:12], v[1:2], v[7:8], v[15:16]
	scratch_store_b128 off, v[9:12], off offset:560
.LBB37_155:
	s_or_b32 exec_lo, exec_lo, s2
	s_waitcnt_vscnt null, 0x0
	s_barrier
	buffer_gl0_inv
	scratch_load_b128 v[1:4], v135, off
	s_mov_b32 s2, exec_lo
	s_waitcnt vmcnt(0)
	ds_store_b128 v5, v[1:4]
	s_waitcnt lgkmcnt(0)
	s_barrier
	buffer_gl0_inv
	v_cmpx_gt_u32_e32 36, v122
	s_cbranch_execz .LBB37_159
; %bb.156:
	v_dual_mov_b32 v1, 0 :: v_dual_add_nc_u32 v8, 0x260, v13
	v_dual_mov_b32 v2, 0 :: v_dual_add_nc_u32 v7, -1, v122
	v_or_b32_e32 v9, 8, v14
	s_mov_b32 s3, 0
	s_delay_alu instid0(VALU_DEP_2)
	v_dual_mov_b32 v4, v2 :: v_dual_mov_b32 v3, v1
	.p2align	6
.LBB37_157:                             ; =>This Inner Loop Header: Depth=1
	scratch_load_b128 v[10:13], v9, off offset:-8
	ds_load_b128 v[15:18], v8
	v_add_nc_u32_e32 v7, 1, v7
	v_add_nc_u32_e32 v8, 16, v8
	;; [unrolled: 1-line block ×3, first 2 shown]
	s_delay_alu instid0(VALU_DEP_3) | instskip(SKIP_4) | instid1(VALU_DEP_2)
	v_cmp_lt_u32_e32 vcc_lo, 34, v7
	s_or_b32 s3, vcc_lo, s3
	s_waitcnt vmcnt(0) lgkmcnt(0)
	v_mul_f64 v[19:20], v[17:18], v[12:13]
	v_mul_f64 v[12:13], v[15:16], v[12:13]
	v_fma_f64 v[15:16], v[15:16], v[10:11], -v[19:20]
	s_delay_alu instid0(VALU_DEP_2) | instskip(NEXT) | instid1(VALU_DEP_2)
	v_fma_f64 v[10:11], v[17:18], v[10:11], v[12:13]
	v_add_f64 v[3:4], v[3:4], v[15:16]
	s_delay_alu instid0(VALU_DEP_2)
	v_add_f64 v[1:2], v[1:2], v[10:11]
	s_and_not1_b32 exec_lo, exec_lo, s3
	s_cbranch_execnz .LBB37_157
; %bb.158:
	s_or_b32 exec_lo, exec_lo, s3
	v_mov_b32_e32 v7, 0
	ds_load_b128 v[7:10], v7 offset:576
	s_waitcnt lgkmcnt(0)
	v_mul_f64 v[11:12], v[1:2], v[9:10]
	v_mul_f64 v[15:16], v[3:4], v[9:10]
	s_delay_alu instid0(VALU_DEP_2) | instskip(NEXT) | instid1(VALU_DEP_2)
	v_fma_f64 v[9:10], v[3:4], v[7:8], -v[11:12]
	v_fma_f64 v[11:12], v[1:2], v[7:8], v[15:16]
	scratch_store_b128 off, v[9:12], off offset:576
.LBB37_159:
	s_or_b32 exec_lo, exec_lo, s2
	s_waitcnt_vscnt null, 0x0
	s_barrier
	buffer_gl0_inv
	scratch_load_b128 v[1:4], v133, off
	s_mov_b32 s2, exec_lo
	s_waitcnt vmcnt(0)
	ds_store_b128 v5, v[1:4]
	s_waitcnt lgkmcnt(0)
	s_barrier
	buffer_gl0_inv
	v_cmpx_ne_u32_e32 37, v122
	s_cbranch_execz .LBB37_163
; %bb.160:
	v_mov_b32_e32 v1, 0
	v_mov_b32_e32 v2, 0
	v_or_b32_e32 v7, 8, v14
	s_mov_b32 s3, 0
	s_delay_alu instid0(VALU_DEP_2)
	v_dual_mov_b32 v4, v2 :: v_dual_mov_b32 v3, v1
	.p2align	6
.LBB37_161:                             ; =>This Inner Loop Header: Depth=1
	scratch_load_b128 v[8:11], v7, off offset:-8
	ds_load_b128 v[12:15], v5
	v_add_nc_u32_e32 v6, 1, v6
	v_add_nc_u32_e32 v5, 16, v5
	;; [unrolled: 1-line block ×3, first 2 shown]
	s_delay_alu instid0(VALU_DEP_3) | instskip(SKIP_4) | instid1(VALU_DEP_2)
	v_cmp_lt_u32_e32 vcc_lo, 35, v6
	s_or_b32 s3, vcc_lo, s3
	s_waitcnt vmcnt(0) lgkmcnt(0)
	v_mul_f64 v[16:17], v[14:15], v[10:11]
	v_mul_f64 v[10:11], v[12:13], v[10:11]
	v_fma_f64 v[12:13], v[12:13], v[8:9], -v[16:17]
	s_delay_alu instid0(VALU_DEP_2) | instskip(NEXT) | instid1(VALU_DEP_2)
	v_fma_f64 v[8:9], v[14:15], v[8:9], v[10:11]
	v_add_f64 v[3:4], v[3:4], v[12:13]
	s_delay_alu instid0(VALU_DEP_2)
	v_add_f64 v[1:2], v[1:2], v[8:9]
	s_and_not1_b32 exec_lo, exec_lo, s3
	s_cbranch_execnz .LBB37_161
; %bb.162:
	s_or_b32 exec_lo, exec_lo, s3
	v_mov_b32_e32 v5, 0
	ds_load_b128 v[5:8], v5 offset:592
	s_waitcnt lgkmcnt(0)
	v_mul_f64 v[9:10], v[1:2], v[7:8]
	v_mul_f64 v[7:8], v[3:4], v[7:8]
	s_delay_alu instid0(VALU_DEP_2) | instskip(NEXT) | instid1(VALU_DEP_2)
	v_fma_f64 v[3:4], v[3:4], v[5:6], -v[9:10]
	v_fma_f64 v[5:6], v[1:2], v[5:6], v[7:8]
	scratch_store_b128 off, v[3:6], off offset:592
.LBB37_163:
	s_or_b32 exec_lo, exec_lo, s2
	s_mov_b32 s3, -1
	s_waitcnt_vscnt null, 0x0
	s_barrier
	buffer_gl0_inv
.LBB37_164:
	s_and_b32 vcc_lo, exec_lo, s3
	s_cbranch_vccz .LBB37_166
; %bb.165:
	s_lshl_b64 s[2:3], s[18:19], 2
	v_mov_b32_e32 v1, 0
	s_add_u32 s2, s6, s2
	s_addc_u32 s3, s7, s3
	global_load_b32 v1, v1, s[2:3]
	s_waitcnt vmcnt(0)
	v_cmp_ne_u32_e32 vcc_lo, 0, v1
	s_cbranch_vccz .LBB37_167
.LBB37_166:
	s_endpgm
.LBB37_167:
	v_lshl_add_u32 v160, v122, 4, 0x260
	s_mov_b32 s2, exec_lo
	v_cmpx_eq_u32_e32 37, v122
	s_cbranch_execz .LBB37_169
; %bb.168:
	scratch_load_b128 v[1:4], v135, off
	v_mov_b32_e32 v5, 0
	s_delay_alu instid0(VALU_DEP_1)
	v_mov_b32_e32 v6, v5
	v_mov_b32_e32 v7, v5
	;; [unrolled: 1-line block ×3, first 2 shown]
	scratch_store_b128 off, v[5:8], off offset:576
	s_waitcnt vmcnt(0)
	ds_store_b128 v160, v[1:4]
.LBB37_169:
	s_or_b32 exec_lo, exec_lo, s2
	s_waitcnt lgkmcnt(0)
	s_waitcnt_vscnt null, 0x0
	s_barrier
	buffer_gl0_inv
	s_clause 0x1
	scratch_load_b128 v[2:5], off, off offset:592
	scratch_load_b128 v[6:9], off, off offset:576
	v_mov_b32_e32 v1, 0
	s_mov_b32 s2, exec_lo
	ds_load_b128 v[10:13], v1 offset:1200
	s_waitcnt vmcnt(1) lgkmcnt(0)
	v_mul_f64 v[14:15], v[12:13], v[4:5]
	v_mul_f64 v[4:5], v[10:11], v[4:5]
	s_delay_alu instid0(VALU_DEP_2) | instskip(NEXT) | instid1(VALU_DEP_2)
	v_fma_f64 v[10:11], v[10:11], v[2:3], -v[14:15]
	v_fma_f64 v[2:3], v[12:13], v[2:3], v[4:5]
	s_delay_alu instid0(VALU_DEP_2) | instskip(NEXT) | instid1(VALU_DEP_2)
	v_add_f64 v[4:5], v[10:11], 0
	v_add_f64 v[10:11], v[2:3], 0
	s_waitcnt vmcnt(0)
	s_delay_alu instid0(VALU_DEP_2) | instskip(NEXT) | instid1(VALU_DEP_2)
	v_add_f64 v[2:3], v[6:7], -v[4:5]
	v_add_f64 v[4:5], v[8:9], -v[10:11]
	scratch_store_b128 off, v[2:5], off offset:576
	v_cmpx_lt_u32_e32 35, v122
	s_cbranch_execz .LBB37_171
; %bb.170:
	scratch_load_b128 v[5:8], v138, off
	v_mov_b32_e32 v2, v1
	v_mov_b32_e32 v3, v1
	;; [unrolled: 1-line block ×3, first 2 shown]
	scratch_store_b128 off, v[1:4], off offset:560
	s_waitcnt vmcnt(0)
	ds_store_b128 v160, v[5:8]
.LBB37_171:
	s_or_b32 exec_lo, exec_lo, s2
	s_waitcnt lgkmcnt(0)
	s_waitcnt_vscnt null, 0x0
	s_barrier
	buffer_gl0_inv
	s_clause 0x2
	scratch_load_b128 v[2:5], off, off offset:576
	scratch_load_b128 v[6:9], off, off offset:592
	;; [unrolled: 1-line block ×3, first 2 shown]
	ds_load_b128 v[14:17], v1 offset:1184
	ds_load_b128 v[18:21], v1 offset:1200
	s_mov_b32 s2, exec_lo
	s_waitcnt vmcnt(2) lgkmcnt(1)
	v_mul_f64 v[22:23], v[16:17], v[4:5]
	v_mul_f64 v[4:5], v[14:15], v[4:5]
	s_waitcnt vmcnt(1) lgkmcnt(0)
	v_mul_f64 v[24:25], v[18:19], v[8:9]
	v_mul_f64 v[8:9], v[20:21], v[8:9]
	s_delay_alu instid0(VALU_DEP_4) | instskip(NEXT) | instid1(VALU_DEP_4)
	v_fma_f64 v[14:15], v[14:15], v[2:3], -v[22:23]
	v_fma_f64 v[1:2], v[16:17], v[2:3], v[4:5]
	s_delay_alu instid0(VALU_DEP_4) | instskip(NEXT) | instid1(VALU_DEP_4)
	v_fma_f64 v[3:4], v[20:21], v[6:7], v[24:25]
	v_fma_f64 v[5:6], v[18:19], v[6:7], -v[8:9]
	s_delay_alu instid0(VALU_DEP_4) | instskip(NEXT) | instid1(VALU_DEP_4)
	v_add_f64 v[7:8], v[14:15], 0
	v_add_f64 v[1:2], v[1:2], 0
	s_delay_alu instid0(VALU_DEP_2) | instskip(NEXT) | instid1(VALU_DEP_2)
	v_add_f64 v[5:6], v[7:8], v[5:6]
	v_add_f64 v[3:4], v[1:2], v[3:4]
	s_waitcnt vmcnt(0)
	s_delay_alu instid0(VALU_DEP_2) | instskip(NEXT) | instid1(VALU_DEP_2)
	v_add_f64 v[1:2], v[10:11], -v[5:6]
	v_add_f64 v[3:4], v[12:13], -v[3:4]
	scratch_store_b128 off, v[1:4], off offset:560
	v_cmpx_lt_u32_e32 34, v122
	s_cbranch_execz .LBB37_173
; %bb.172:
	scratch_load_b128 v[1:4], v140, off
	v_mov_b32_e32 v5, 0
	s_delay_alu instid0(VALU_DEP_1)
	v_mov_b32_e32 v6, v5
	v_mov_b32_e32 v7, v5
	;; [unrolled: 1-line block ×3, first 2 shown]
	scratch_store_b128 off, v[5:8], off offset:544
	s_waitcnt vmcnt(0)
	ds_store_b128 v160, v[1:4]
.LBB37_173:
	s_or_b32 exec_lo, exec_lo, s2
	s_waitcnt lgkmcnt(0)
	s_waitcnt_vscnt null, 0x0
	s_barrier
	buffer_gl0_inv
	s_clause 0x3
	scratch_load_b128 v[2:5], off, off offset:560
	scratch_load_b128 v[6:9], off, off offset:576
	scratch_load_b128 v[10:13], off, off offset:592
	scratch_load_b128 v[14:17], off, off offset:544
	v_mov_b32_e32 v1, 0
	ds_load_b128 v[18:21], v1 offset:1168
	ds_load_b128 v[22:25], v1 offset:1184
	s_mov_b32 s2, exec_lo
	s_waitcnt vmcnt(3) lgkmcnt(1)
	v_mul_f64 v[26:27], v[20:21], v[4:5]
	v_mul_f64 v[4:5], v[18:19], v[4:5]
	s_waitcnt vmcnt(2) lgkmcnt(0)
	v_mul_f64 v[28:29], v[22:23], v[8:9]
	v_mul_f64 v[8:9], v[24:25], v[8:9]
	s_delay_alu instid0(VALU_DEP_4) | instskip(NEXT) | instid1(VALU_DEP_4)
	v_fma_f64 v[18:19], v[18:19], v[2:3], -v[26:27]
	v_fma_f64 v[20:21], v[20:21], v[2:3], v[4:5]
	ds_load_b128 v[2:5], v1 offset:1200
	v_fma_f64 v[24:25], v[24:25], v[6:7], v[28:29]
	v_fma_f64 v[6:7], v[22:23], v[6:7], -v[8:9]
	s_waitcnt vmcnt(1) lgkmcnt(0)
	v_mul_f64 v[26:27], v[2:3], v[12:13]
	v_mul_f64 v[12:13], v[4:5], v[12:13]
	v_add_f64 v[8:9], v[18:19], 0
	v_add_f64 v[18:19], v[20:21], 0
	s_delay_alu instid0(VALU_DEP_4) | instskip(NEXT) | instid1(VALU_DEP_4)
	v_fma_f64 v[4:5], v[4:5], v[10:11], v[26:27]
	v_fma_f64 v[2:3], v[2:3], v[10:11], -v[12:13]
	s_delay_alu instid0(VALU_DEP_4) | instskip(NEXT) | instid1(VALU_DEP_4)
	v_add_f64 v[6:7], v[8:9], v[6:7]
	v_add_f64 v[8:9], v[18:19], v[24:25]
	s_delay_alu instid0(VALU_DEP_2) | instskip(NEXT) | instid1(VALU_DEP_2)
	v_add_f64 v[2:3], v[6:7], v[2:3]
	v_add_f64 v[4:5], v[8:9], v[4:5]
	s_waitcnt vmcnt(0)
	s_delay_alu instid0(VALU_DEP_2) | instskip(NEXT) | instid1(VALU_DEP_2)
	v_add_f64 v[2:3], v[14:15], -v[2:3]
	v_add_f64 v[4:5], v[16:17], -v[4:5]
	scratch_store_b128 off, v[2:5], off offset:544
	v_cmpx_lt_u32_e32 33, v122
	s_cbranch_execz .LBB37_175
; %bb.174:
	scratch_load_b128 v[5:8], v144, off
	v_mov_b32_e32 v2, v1
	v_mov_b32_e32 v3, v1
	;; [unrolled: 1-line block ×3, first 2 shown]
	scratch_store_b128 off, v[1:4], off offset:528
	s_waitcnt vmcnt(0)
	ds_store_b128 v160, v[5:8]
.LBB37_175:
	s_or_b32 exec_lo, exec_lo, s2
	s_waitcnt lgkmcnt(0)
	s_waitcnt_vscnt null, 0x0
	s_barrier
	buffer_gl0_inv
	s_clause 0x4
	scratch_load_b128 v[2:5], off, off offset:544
	scratch_load_b128 v[6:9], off, off offset:560
	;; [unrolled: 1-line block ×5, first 2 shown]
	ds_load_b128 v[22:25], v1 offset:1152
	ds_load_b128 v[26:29], v1 offset:1168
	s_mov_b32 s2, exec_lo
	s_waitcnt vmcnt(4) lgkmcnt(1)
	v_mul_f64 v[30:31], v[24:25], v[4:5]
	v_mul_f64 v[4:5], v[22:23], v[4:5]
	s_waitcnt vmcnt(3) lgkmcnt(0)
	v_mul_f64 v[32:33], v[26:27], v[8:9]
	v_mul_f64 v[8:9], v[28:29], v[8:9]
	s_delay_alu instid0(VALU_DEP_4) | instskip(NEXT) | instid1(VALU_DEP_4)
	v_fma_f64 v[30:31], v[22:23], v[2:3], -v[30:31]
	v_fma_f64 v[34:35], v[24:25], v[2:3], v[4:5]
	ds_load_b128 v[2:5], v1 offset:1184
	ds_load_b128 v[22:25], v1 offset:1200
	v_fma_f64 v[28:29], v[28:29], v[6:7], v[32:33]
	v_fma_f64 v[6:7], v[26:27], v[6:7], -v[8:9]
	s_waitcnt vmcnt(2) lgkmcnt(1)
	v_mul_f64 v[36:37], v[2:3], v[12:13]
	v_mul_f64 v[12:13], v[4:5], v[12:13]
	v_add_f64 v[8:9], v[30:31], 0
	v_add_f64 v[26:27], v[34:35], 0
	s_waitcnt vmcnt(1) lgkmcnt(0)
	v_mul_f64 v[30:31], v[22:23], v[16:17]
	v_mul_f64 v[16:17], v[24:25], v[16:17]
	v_fma_f64 v[4:5], v[4:5], v[10:11], v[36:37]
	v_fma_f64 v[1:2], v[2:3], v[10:11], -v[12:13]
	v_add_f64 v[6:7], v[8:9], v[6:7]
	v_add_f64 v[8:9], v[26:27], v[28:29]
	v_fma_f64 v[10:11], v[24:25], v[14:15], v[30:31]
	v_fma_f64 v[12:13], v[22:23], v[14:15], -v[16:17]
	s_delay_alu instid0(VALU_DEP_4) | instskip(NEXT) | instid1(VALU_DEP_4)
	v_add_f64 v[1:2], v[6:7], v[1:2]
	v_add_f64 v[3:4], v[8:9], v[4:5]
	s_delay_alu instid0(VALU_DEP_2) | instskip(NEXT) | instid1(VALU_DEP_2)
	v_add_f64 v[1:2], v[1:2], v[12:13]
	v_add_f64 v[3:4], v[3:4], v[10:11]
	s_waitcnt vmcnt(0)
	s_delay_alu instid0(VALU_DEP_2) | instskip(NEXT) | instid1(VALU_DEP_2)
	v_add_f64 v[1:2], v[18:19], -v[1:2]
	v_add_f64 v[3:4], v[20:21], -v[3:4]
	scratch_store_b128 off, v[1:4], off offset:528
	v_cmpx_lt_u32_e32 32, v122
	s_cbranch_execz .LBB37_177
; %bb.176:
	scratch_load_b128 v[1:4], v146, off
	v_mov_b32_e32 v5, 0
	s_delay_alu instid0(VALU_DEP_1)
	v_mov_b32_e32 v6, v5
	v_mov_b32_e32 v7, v5
	;; [unrolled: 1-line block ×3, first 2 shown]
	scratch_store_b128 off, v[5:8], off offset:512
	s_waitcnt vmcnt(0)
	ds_store_b128 v160, v[1:4]
.LBB37_177:
	s_or_b32 exec_lo, exec_lo, s2
	s_waitcnt lgkmcnt(0)
	s_waitcnt_vscnt null, 0x0
	s_barrier
	buffer_gl0_inv
	s_clause 0x5
	scratch_load_b128 v[2:5], off, off offset:528
	scratch_load_b128 v[6:9], off, off offset:544
	;; [unrolled: 1-line block ×6, first 2 shown]
	v_mov_b32_e32 v1, 0
	ds_load_b128 v[26:29], v1 offset:1136
	ds_load_b128 v[30:33], v1 offset:1152
	s_mov_b32 s2, exec_lo
	s_waitcnt vmcnt(5) lgkmcnt(1)
	v_mul_f64 v[34:35], v[28:29], v[4:5]
	v_mul_f64 v[4:5], v[26:27], v[4:5]
	s_waitcnt vmcnt(4) lgkmcnt(0)
	v_mul_f64 v[36:37], v[30:31], v[8:9]
	v_mul_f64 v[8:9], v[32:33], v[8:9]
	s_delay_alu instid0(VALU_DEP_4) | instskip(NEXT) | instid1(VALU_DEP_4)
	v_fma_f64 v[34:35], v[26:27], v[2:3], -v[34:35]
	v_fma_f64 v[38:39], v[28:29], v[2:3], v[4:5]
	ds_load_b128 v[2:5], v1 offset:1168
	ds_load_b128 v[26:29], v1 offset:1184
	v_fma_f64 v[32:33], v[32:33], v[6:7], v[36:37]
	v_fma_f64 v[6:7], v[30:31], v[6:7], -v[8:9]
	s_waitcnt vmcnt(3) lgkmcnt(1)
	v_mul_f64 v[40:41], v[2:3], v[12:13]
	v_mul_f64 v[12:13], v[4:5], v[12:13]
	v_add_f64 v[8:9], v[34:35], 0
	v_add_f64 v[30:31], v[38:39], 0
	s_waitcnt vmcnt(2) lgkmcnt(0)
	v_mul_f64 v[34:35], v[26:27], v[16:17]
	v_mul_f64 v[16:17], v[28:29], v[16:17]
	v_fma_f64 v[36:37], v[4:5], v[10:11], v[40:41]
	v_fma_f64 v[10:11], v[2:3], v[10:11], -v[12:13]
	ds_load_b128 v[2:5], v1 offset:1200
	v_add_f64 v[6:7], v[8:9], v[6:7]
	v_add_f64 v[8:9], v[30:31], v[32:33]
	v_fma_f64 v[28:29], v[28:29], v[14:15], v[34:35]
	v_fma_f64 v[14:15], v[26:27], v[14:15], -v[16:17]
	s_waitcnt vmcnt(1) lgkmcnt(0)
	v_mul_f64 v[12:13], v[2:3], v[20:21]
	v_mul_f64 v[20:21], v[4:5], v[20:21]
	v_add_f64 v[6:7], v[6:7], v[10:11]
	v_add_f64 v[8:9], v[8:9], v[36:37]
	s_delay_alu instid0(VALU_DEP_4) | instskip(NEXT) | instid1(VALU_DEP_4)
	v_fma_f64 v[4:5], v[4:5], v[18:19], v[12:13]
	v_fma_f64 v[2:3], v[2:3], v[18:19], -v[20:21]
	s_delay_alu instid0(VALU_DEP_4) | instskip(NEXT) | instid1(VALU_DEP_4)
	v_add_f64 v[6:7], v[6:7], v[14:15]
	v_add_f64 v[8:9], v[8:9], v[28:29]
	s_delay_alu instid0(VALU_DEP_2) | instskip(NEXT) | instid1(VALU_DEP_2)
	v_add_f64 v[2:3], v[6:7], v[2:3]
	v_add_f64 v[4:5], v[8:9], v[4:5]
	s_waitcnt vmcnt(0)
	s_delay_alu instid0(VALU_DEP_2) | instskip(NEXT) | instid1(VALU_DEP_2)
	v_add_f64 v[2:3], v[22:23], -v[2:3]
	v_add_f64 v[4:5], v[24:25], -v[4:5]
	scratch_store_b128 off, v[2:5], off offset:512
	v_cmpx_lt_u32_e32 31, v122
	s_cbranch_execz .LBB37_179
; %bb.178:
	scratch_load_b128 v[5:8], v151, off
	v_mov_b32_e32 v2, v1
	v_mov_b32_e32 v3, v1
	;; [unrolled: 1-line block ×3, first 2 shown]
	scratch_store_b128 off, v[1:4], off offset:496
	s_waitcnt vmcnt(0)
	ds_store_b128 v160, v[5:8]
.LBB37_179:
	s_or_b32 exec_lo, exec_lo, s2
	s_waitcnt lgkmcnt(0)
	s_waitcnt_vscnt null, 0x0
	s_barrier
	buffer_gl0_inv
	s_clause 0x5
	scratch_load_b128 v[2:5], off, off offset:512
	scratch_load_b128 v[6:9], off, off offset:528
	;; [unrolled: 1-line block ×6, first 2 shown]
	ds_load_b128 v[26:29], v1 offset:1120
	ds_load_b128 v[34:37], v1 offset:1136
	scratch_load_b128 v[30:33], off, off offset:496
	s_mov_b32 s2, exec_lo
	s_waitcnt vmcnt(6) lgkmcnt(1)
	v_mul_f64 v[38:39], v[28:29], v[4:5]
	v_mul_f64 v[4:5], v[26:27], v[4:5]
	s_waitcnt vmcnt(5) lgkmcnt(0)
	v_mul_f64 v[40:41], v[34:35], v[8:9]
	v_mul_f64 v[8:9], v[36:37], v[8:9]
	s_delay_alu instid0(VALU_DEP_4) | instskip(NEXT) | instid1(VALU_DEP_4)
	v_fma_f64 v[38:39], v[26:27], v[2:3], -v[38:39]
	v_fma_f64 v[42:43], v[28:29], v[2:3], v[4:5]
	ds_load_b128 v[2:5], v1 offset:1152
	ds_load_b128 v[26:29], v1 offset:1168
	v_fma_f64 v[36:37], v[36:37], v[6:7], v[40:41]
	v_fma_f64 v[6:7], v[34:35], v[6:7], -v[8:9]
	s_waitcnt vmcnt(4) lgkmcnt(1)
	v_mul_f64 v[44:45], v[2:3], v[12:13]
	v_mul_f64 v[12:13], v[4:5], v[12:13]
	v_add_f64 v[8:9], v[38:39], 0
	v_add_f64 v[34:35], v[42:43], 0
	s_waitcnt vmcnt(3) lgkmcnt(0)
	v_mul_f64 v[38:39], v[26:27], v[16:17]
	v_mul_f64 v[16:17], v[28:29], v[16:17]
	v_fma_f64 v[40:41], v[4:5], v[10:11], v[44:45]
	v_fma_f64 v[10:11], v[2:3], v[10:11], -v[12:13]
	v_add_f64 v[12:13], v[8:9], v[6:7]
	v_add_f64 v[34:35], v[34:35], v[36:37]
	ds_load_b128 v[2:5], v1 offset:1184
	ds_load_b128 v[6:9], v1 offset:1200
	v_fma_f64 v[28:29], v[28:29], v[14:15], v[38:39]
	v_fma_f64 v[14:15], v[26:27], v[14:15], -v[16:17]
	s_waitcnt vmcnt(2) lgkmcnt(1)
	v_mul_f64 v[36:37], v[2:3], v[20:21]
	v_mul_f64 v[20:21], v[4:5], v[20:21]
	s_waitcnt vmcnt(1) lgkmcnt(0)
	v_mul_f64 v[16:17], v[6:7], v[24:25]
	v_mul_f64 v[24:25], v[8:9], v[24:25]
	v_add_f64 v[10:11], v[12:13], v[10:11]
	v_add_f64 v[12:13], v[34:35], v[40:41]
	v_fma_f64 v[4:5], v[4:5], v[18:19], v[36:37]
	v_fma_f64 v[1:2], v[2:3], v[18:19], -v[20:21]
	v_fma_f64 v[8:9], v[8:9], v[22:23], v[16:17]
	v_fma_f64 v[6:7], v[6:7], v[22:23], -v[24:25]
	v_add_f64 v[10:11], v[10:11], v[14:15]
	v_add_f64 v[12:13], v[12:13], v[28:29]
	s_delay_alu instid0(VALU_DEP_2) | instskip(NEXT) | instid1(VALU_DEP_2)
	v_add_f64 v[1:2], v[10:11], v[1:2]
	v_add_f64 v[3:4], v[12:13], v[4:5]
	s_delay_alu instid0(VALU_DEP_2) | instskip(NEXT) | instid1(VALU_DEP_2)
	v_add_f64 v[1:2], v[1:2], v[6:7]
	v_add_f64 v[3:4], v[3:4], v[8:9]
	s_waitcnt vmcnt(0)
	s_delay_alu instid0(VALU_DEP_2) | instskip(NEXT) | instid1(VALU_DEP_2)
	v_add_f64 v[1:2], v[30:31], -v[1:2]
	v_add_f64 v[3:4], v[32:33], -v[3:4]
	scratch_store_b128 off, v[1:4], off offset:496
	v_cmpx_lt_u32_e32 30, v122
	s_cbranch_execz .LBB37_181
; %bb.180:
	scratch_load_b128 v[1:4], v127, off
	v_mov_b32_e32 v5, 0
	s_delay_alu instid0(VALU_DEP_1)
	v_mov_b32_e32 v6, v5
	v_mov_b32_e32 v7, v5
	;; [unrolled: 1-line block ×3, first 2 shown]
	scratch_store_b128 off, v[5:8], off offset:480
	s_waitcnt vmcnt(0)
	ds_store_b128 v160, v[1:4]
.LBB37_181:
	s_or_b32 exec_lo, exec_lo, s2
	s_waitcnt lgkmcnt(0)
	s_waitcnt_vscnt null, 0x0
	s_barrier
	buffer_gl0_inv
	s_clause 0x6
	scratch_load_b128 v[2:5], off, off offset:496
	scratch_load_b128 v[6:9], off, off offset:512
	;; [unrolled: 1-line block ×7, first 2 shown]
	v_mov_b32_e32 v1, 0
	scratch_load_b128 v[34:37], off, off offset:480
	s_mov_b32 s2, exec_lo
	ds_load_b128 v[30:33], v1 offset:1104
	ds_load_b128 v[38:41], v1 offset:1120
	s_waitcnt vmcnt(7) lgkmcnt(1)
	v_mul_f64 v[42:43], v[32:33], v[4:5]
	v_mul_f64 v[4:5], v[30:31], v[4:5]
	s_waitcnt vmcnt(6) lgkmcnt(0)
	v_mul_f64 v[44:45], v[38:39], v[8:9]
	v_mul_f64 v[8:9], v[40:41], v[8:9]
	s_delay_alu instid0(VALU_DEP_4) | instskip(NEXT) | instid1(VALU_DEP_4)
	v_fma_f64 v[42:43], v[30:31], v[2:3], -v[42:43]
	v_fma_f64 v[161:162], v[32:33], v[2:3], v[4:5]
	ds_load_b128 v[2:5], v1 offset:1136
	ds_load_b128 v[30:33], v1 offset:1152
	v_fma_f64 v[40:41], v[40:41], v[6:7], v[44:45]
	v_fma_f64 v[6:7], v[38:39], v[6:7], -v[8:9]
	s_waitcnt vmcnt(5) lgkmcnt(1)
	v_mul_f64 v[163:164], v[2:3], v[12:13]
	v_mul_f64 v[12:13], v[4:5], v[12:13]
	v_add_f64 v[8:9], v[42:43], 0
	v_add_f64 v[38:39], v[161:162], 0
	s_waitcnt vmcnt(4) lgkmcnt(0)
	v_mul_f64 v[42:43], v[30:31], v[16:17]
	v_mul_f64 v[16:17], v[32:33], v[16:17]
	v_fma_f64 v[44:45], v[4:5], v[10:11], v[163:164]
	v_fma_f64 v[10:11], v[2:3], v[10:11], -v[12:13]
	v_add_f64 v[12:13], v[8:9], v[6:7]
	v_add_f64 v[38:39], v[38:39], v[40:41]
	ds_load_b128 v[2:5], v1 offset:1168
	ds_load_b128 v[6:9], v1 offset:1184
	v_fma_f64 v[32:33], v[32:33], v[14:15], v[42:43]
	v_fma_f64 v[14:15], v[30:31], v[14:15], -v[16:17]
	s_waitcnt vmcnt(3) lgkmcnt(1)
	v_mul_f64 v[40:41], v[2:3], v[20:21]
	v_mul_f64 v[20:21], v[4:5], v[20:21]
	s_waitcnt vmcnt(2) lgkmcnt(0)
	v_mul_f64 v[16:17], v[6:7], v[24:25]
	v_mul_f64 v[24:25], v[8:9], v[24:25]
	v_add_f64 v[10:11], v[12:13], v[10:11]
	v_add_f64 v[12:13], v[38:39], v[44:45]
	v_fma_f64 v[30:31], v[4:5], v[18:19], v[40:41]
	v_fma_f64 v[18:19], v[2:3], v[18:19], -v[20:21]
	ds_load_b128 v[2:5], v1 offset:1200
	v_fma_f64 v[8:9], v[8:9], v[22:23], v[16:17]
	v_fma_f64 v[6:7], v[6:7], v[22:23], -v[24:25]
	v_add_f64 v[10:11], v[10:11], v[14:15]
	v_add_f64 v[12:13], v[12:13], v[32:33]
	s_waitcnt vmcnt(1) lgkmcnt(0)
	v_mul_f64 v[14:15], v[2:3], v[28:29]
	v_mul_f64 v[20:21], v[4:5], v[28:29]
	s_delay_alu instid0(VALU_DEP_4) | instskip(NEXT) | instid1(VALU_DEP_4)
	v_add_f64 v[10:11], v[10:11], v[18:19]
	v_add_f64 v[12:13], v[12:13], v[30:31]
	s_delay_alu instid0(VALU_DEP_4) | instskip(NEXT) | instid1(VALU_DEP_4)
	v_fma_f64 v[4:5], v[4:5], v[26:27], v[14:15]
	v_fma_f64 v[2:3], v[2:3], v[26:27], -v[20:21]
	s_delay_alu instid0(VALU_DEP_4) | instskip(NEXT) | instid1(VALU_DEP_4)
	v_add_f64 v[6:7], v[10:11], v[6:7]
	v_add_f64 v[8:9], v[12:13], v[8:9]
	s_delay_alu instid0(VALU_DEP_2) | instskip(NEXT) | instid1(VALU_DEP_2)
	v_add_f64 v[2:3], v[6:7], v[2:3]
	v_add_f64 v[4:5], v[8:9], v[4:5]
	s_waitcnt vmcnt(0)
	s_delay_alu instid0(VALU_DEP_2) | instskip(NEXT) | instid1(VALU_DEP_2)
	v_add_f64 v[2:3], v[34:35], -v[2:3]
	v_add_f64 v[4:5], v[36:37], -v[4:5]
	scratch_store_b128 off, v[2:5], off offset:480
	v_cmpx_lt_u32_e32 29, v122
	s_cbranch_execz .LBB37_183
; %bb.182:
	scratch_load_b128 v[5:8], v128, off
	v_mov_b32_e32 v2, v1
	v_mov_b32_e32 v3, v1
	;; [unrolled: 1-line block ×3, first 2 shown]
	scratch_store_b128 off, v[1:4], off offset:464
	s_waitcnt vmcnt(0)
	ds_store_b128 v160, v[5:8]
.LBB37_183:
	s_or_b32 exec_lo, exec_lo, s2
	s_waitcnt lgkmcnt(0)
	s_waitcnt_vscnt null, 0x0
	s_barrier
	buffer_gl0_inv
	s_clause 0x7
	scratch_load_b128 v[2:5], off, off offset:480
	scratch_load_b128 v[6:9], off, off offset:496
	scratch_load_b128 v[10:13], off, off offset:512
	scratch_load_b128 v[14:17], off, off offset:528
	scratch_load_b128 v[18:21], off, off offset:544
	scratch_load_b128 v[22:25], off, off offset:560
	scratch_load_b128 v[26:29], off, off offset:576
	scratch_load_b128 v[30:33], off, off offset:592
	ds_load_b128 v[34:37], v1 offset:1088
	ds_load_b128 v[38:41], v1 offset:1104
	s_mov_b32 s2, exec_lo
	s_waitcnt vmcnt(7) lgkmcnt(1)
	v_mul_f64 v[42:43], v[36:37], v[4:5]
	v_mul_f64 v[4:5], v[34:35], v[4:5]
	s_waitcnt vmcnt(6) lgkmcnt(0)
	v_mul_f64 v[44:45], v[38:39], v[8:9]
	v_mul_f64 v[8:9], v[40:41], v[8:9]
	s_delay_alu instid0(VALU_DEP_4) | instskip(NEXT) | instid1(VALU_DEP_4)
	v_fma_f64 v[42:43], v[34:35], v[2:3], -v[42:43]
	v_fma_f64 v[161:162], v[36:37], v[2:3], v[4:5]
	ds_load_b128 v[2:5], v1 offset:1120
	scratch_load_b128 v[34:37], off, off offset:464
	v_fma_f64 v[40:41], v[40:41], v[6:7], v[44:45]
	v_fma_f64 v[38:39], v[38:39], v[6:7], -v[8:9]
	ds_load_b128 v[6:9], v1 offset:1136
	s_waitcnt vmcnt(6) lgkmcnt(1)
	v_mul_f64 v[163:164], v[2:3], v[12:13]
	v_mul_f64 v[12:13], v[4:5], v[12:13]
	v_add_f64 v[42:43], v[42:43], 0
	v_add_f64 v[44:45], v[161:162], 0
	s_waitcnt vmcnt(5) lgkmcnt(0)
	v_mul_f64 v[161:162], v[6:7], v[16:17]
	v_mul_f64 v[16:17], v[8:9], v[16:17]
	v_fma_f64 v[163:164], v[4:5], v[10:11], v[163:164]
	v_fma_f64 v[10:11], v[2:3], v[10:11], -v[12:13]
	ds_load_b128 v[2:5], v1 offset:1152
	v_add_f64 v[12:13], v[42:43], v[38:39]
	v_add_f64 v[38:39], v[44:45], v[40:41]
	v_fma_f64 v[42:43], v[8:9], v[14:15], v[161:162]
	v_fma_f64 v[14:15], v[6:7], v[14:15], -v[16:17]
	ds_load_b128 v[6:9], v1 offset:1168
	s_waitcnt vmcnt(4) lgkmcnt(1)
	v_mul_f64 v[40:41], v[2:3], v[20:21]
	v_mul_f64 v[20:21], v[4:5], v[20:21]
	s_waitcnt vmcnt(3) lgkmcnt(0)
	v_mul_f64 v[16:17], v[6:7], v[24:25]
	v_mul_f64 v[24:25], v[8:9], v[24:25]
	v_add_f64 v[10:11], v[12:13], v[10:11]
	v_add_f64 v[12:13], v[38:39], v[163:164]
	v_fma_f64 v[38:39], v[4:5], v[18:19], v[40:41]
	v_fma_f64 v[18:19], v[2:3], v[18:19], -v[20:21]
	ds_load_b128 v[2:5], v1 offset:1184
	v_fma_f64 v[16:17], v[8:9], v[22:23], v[16:17]
	v_fma_f64 v[22:23], v[6:7], v[22:23], -v[24:25]
	ds_load_b128 v[6:9], v1 offset:1200
	s_waitcnt vmcnt(2) lgkmcnt(1)
	v_mul_f64 v[20:21], v[4:5], v[28:29]
	v_add_f64 v[10:11], v[10:11], v[14:15]
	v_add_f64 v[12:13], v[12:13], v[42:43]
	v_mul_f64 v[14:15], v[2:3], v[28:29]
	s_waitcnt vmcnt(1) lgkmcnt(0)
	v_mul_f64 v[24:25], v[8:9], v[32:33]
	v_fma_f64 v[1:2], v[2:3], v[26:27], -v[20:21]
	v_add_f64 v[10:11], v[10:11], v[18:19]
	v_add_f64 v[12:13], v[12:13], v[38:39]
	v_mul_f64 v[18:19], v[6:7], v[32:33]
	v_fma_f64 v[4:5], v[4:5], v[26:27], v[14:15]
	v_fma_f64 v[6:7], v[6:7], v[30:31], -v[24:25]
	v_add_f64 v[10:11], v[10:11], v[22:23]
	v_add_f64 v[12:13], v[12:13], v[16:17]
	v_fma_f64 v[8:9], v[8:9], v[30:31], v[18:19]
	s_delay_alu instid0(VALU_DEP_3) | instskip(NEXT) | instid1(VALU_DEP_3)
	v_add_f64 v[1:2], v[10:11], v[1:2]
	v_add_f64 v[3:4], v[12:13], v[4:5]
	s_delay_alu instid0(VALU_DEP_2) | instskip(NEXT) | instid1(VALU_DEP_2)
	v_add_f64 v[1:2], v[1:2], v[6:7]
	v_add_f64 v[3:4], v[3:4], v[8:9]
	s_waitcnt vmcnt(0)
	s_delay_alu instid0(VALU_DEP_2) | instskip(NEXT) | instid1(VALU_DEP_2)
	v_add_f64 v[1:2], v[34:35], -v[1:2]
	v_add_f64 v[3:4], v[36:37], -v[3:4]
	scratch_store_b128 off, v[1:4], off offset:464
	v_cmpx_lt_u32_e32 28, v122
	s_cbranch_execz .LBB37_185
; %bb.184:
	scratch_load_b128 v[1:4], v129, off
	v_mov_b32_e32 v5, 0
	s_delay_alu instid0(VALU_DEP_1)
	v_mov_b32_e32 v6, v5
	v_mov_b32_e32 v7, v5
	;; [unrolled: 1-line block ×3, first 2 shown]
	scratch_store_b128 off, v[5:8], off offset:448
	s_waitcnt vmcnt(0)
	ds_store_b128 v160, v[1:4]
.LBB37_185:
	s_or_b32 exec_lo, exec_lo, s2
	s_waitcnt lgkmcnt(0)
	s_waitcnt_vscnt null, 0x0
	s_barrier
	buffer_gl0_inv
	s_clause 0x7
	scratch_load_b128 v[2:5], off, off offset:464
	scratch_load_b128 v[6:9], off, off offset:480
	;; [unrolled: 1-line block ×8, first 2 shown]
	v_mov_b32_e32 v1, 0
	scratch_load_b128 v[38:41], off, off offset:592
	s_mov_b32 s2, exec_lo
	ds_load_b128 v[34:37], v1 offset:1072
	ds_load_b128 v[42:45], v1 offset:1088
	s_waitcnt vmcnt(8) lgkmcnt(1)
	v_mul_f64 v[161:162], v[36:37], v[4:5]
	v_mul_f64 v[4:5], v[34:35], v[4:5]
	s_waitcnt vmcnt(7) lgkmcnt(0)
	v_mul_f64 v[163:164], v[42:43], v[8:9]
	v_mul_f64 v[8:9], v[44:45], v[8:9]
	s_delay_alu instid0(VALU_DEP_4) | instskip(NEXT) | instid1(VALU_DEP_4)
	v_fma_f64 v[34:35], v[34:35], v[2:3], -v[161:162]
	v_fma_f64 v[36:37], v[36:37], v[2:3], v[4:5]
	ds_load_b128 v[2:5], v1 offset:1104
	v_fma_f64 v[44:45], v[44:45], v[6:7], v[163:164]
	v_fma_f64 v[42:43], v[42:43], v[6:7], -v[8:9]
	ds_load_b128 v[6:9], v1 offset:1120
	s_waitcnt vmcnt(6) lgkmcnt(1)
	v_mul_f64 v[161:162], v[2:3], v[12:13]
	v_mul_f64 v[12:13], v[4:5], v[12:13]
	s_waitcnt vmcnt(5) lgkmcnt(0)
	v_mul_f64 v[167:168], v[6:7], v[16:17]
	v_mul_f64 v[16:17], v[8:9], v[16:17]
	v_add_f64 v[163:164], v[34:35], 0
	v_add_f64 v[165:166], v[36:37], 0
	scratch_load_b128 v[34:37], off, off offset:448
	v_fma_f64 v[161:162], v[4:5], v[10:11], v[161:162]
	v_fma_f64 v[10:11], v[2:3], v[10:11], -v[12:13]
	ds_load_b128 v[2:5], v1 offset:1136
	v_add_f64 v[12:13], v[163:164], v[42:43]
	v_add_f64 v[42:43], v[165:166], v[44:45]
	v_fma_f64 v[163:164], v[8:9], v[14:15], v[167:168]
	v_fma_f64 v[14:15], v[6:7], v[14:15], -v[16:17]
	ds_load_b128 v[6:9], v1 offset:1152
	s_waitcnt vmcnt(5) lgkmcnt(1)
	v_mul_f64 v[44:45], v[2:3], v[20:21]
	v_mul_f64 v[20:21], v[4:5], v[20:21]
	s_waitcnt vmcnt(4) lgkmcnt(0)
	v_mul_f64 v[16:17], v[6:7], v[24:25]
	v_mul_f64 v[24:25], v[8:9], v[24:25]
	v_add_f64 v[10:11], v[12:13], v[10:11]
	v_add_f64 v[12:13], v[42:43], v[161:162]
	v_fma_f64 v[42:43], v[4:5], v[18:19], v[44:45]
	v_fma_f64 v[18:19], v[2:3], v[18:19], -v[20:21]
	ds_load_b128 v[2:5], v1 offset:1168
	v_fma_f64 v[16:17], v[8:9], v[22:23], v[16:17]
	v_fma_f64 v[22:23], v[6:7], v[22:23], -v[24:25]
	ds_load_b128 v[6:9], v1 offset:1184
	s_waitcnt vmcnt(3) lgkmcnt(1)
	v_mul_f64 v[20:21], v[4:5], v[28:29]
	v_add_f64 v[10:11], v[10:11], v[14:15]
	v_add_f64 v[12:13], v[12:13], v[163:164]
	v_mul_f64 v[14:15], v[2:3], v[28:29]
	s_waitcnt vmcnt(2) lgkmcnt(0)
	v_mul_f64 v[24:25], v[8:9], v[32:33]
	v_fma_f64 v[20:21], v[2:3], v[26:27], -v[20:21]
	v_add_f64 v[10:11], v[10:11], v[18:19]
	v_add_f64 v[12:13], v[12:13], v[42:43]
	v_mul_f64 v[18:19], v[6:7], v[32:33]
	v_fma_f64 v[14:15], v[4:5], v[26:27], v[14:15]
	ds_load_b128 v[2:5], v1 offset:1200
	v_fma_f64 v[6:7], v[6:7], v[30:31], -v[24:25]
	v_add_f64 v[10:11], v[10:11], v[22:23]
	v_add_f64 v[12:13], v[12:13], v[16:17]
	s_waitcnt vmcnt(1) lgkmcnt(0)
	v_mul_f64 v[16:17], v[2:3], v[40:41]
	v_mul_f64 v[22:23], v[4:5], v[40:41]
	v_fma_f64 v[8:9], v[8:9], v[30:31], v[18:19]
	v_add_f64 v[10:11], v[10:11], v[20:21]
	v_add_f64 v[12:13], v[12:13], v[14:15]
	v_fma_f64 v[4:5], v[4:5], v[38:39], v[16:17]
	v_fma_f64 v[2:3], v[2:3], v[38:39], -v[22:23]
	s_delay_alu instid0(VALU_DEP_4) | instskip(NEXT) | instid1(VALU_DEP_4)
	v_add_f64 v[6:7], v[10:11], v[6:7]
	v_add_f64 v[8:9], v[12:13], v[8:9]
	s_delay_alu instid0(VALU_DEP_2) | instskip(NEXT) | instid1(VALU_DEP_2)
	v_add_f64 v[2:3], v[6:7], v[2:3]
	v_add_f64 v[4:5], v[8:9], v[4:5]
	s_waitcnt vmcnt(0)
	s_delay_alu instid0(VALU_DEP_2) | instskip(NEXT) | instid1(VALU_DEP_2)
	v_add_f64 v[2:3], v[34:35], -v[2:3]
	v_add_f64 v[4:5], v[36:37], -v[4:5]
	scratch_store_b128 off, v[2:5], off offset:448
	v_cmpx_lt_u32_e32 27, v122
	s_cbranch_execz .LBB37_187
; %bb.186:
	scratch_load_b128 v[5:8], v130, off
	v_mov_b32_e32 v2, v1
	v_mov_b32_e32 v3, v1
	;; [unrolled: 1-line block ×3, first 2 shown]
	scratch_store_b128 off, v[1:4], off offset:432
	s_waitcnt vmcnt(0)
	ds_store_b128 v160, v[5:8]
.LBB37_187:
	s_or_b32 exec_lo, exec_lo, s2
	s_waitcnt lgkmcnt(0)
	s_waitcnt_vscnt null, 0x0
	s_barrier
	buffer_gl0_inv
	s_clause 0x8
	scratch_load_b128 v[2:5], off, off offset:448
	scratch_load_b128 v[6:9], off, off offset:464
	;; [unrolled: 1-line block ×9, first 2 shown]
	ds_load_b128 v[38:41], v1 offset:1056
	ds_load_b128 v[42:45], v1 offset:1072
	s_clause 0x1
	scratch_load_b128 v[161:164], off, off offset:432
	scratch_load_b128 v[165:168], off, off offset:592
	s_mov_b32 s2, exec_lo
	s_waitcnt vmcnt(10) lgkmcnt(1)
	v_mul_f64 v[169:170], v[40:41], v[4:5]
	v_mul_f64 v[4:5], v[38:39], v[4:5]
	s_waitcnt vmcnt(9) lgkmcnt(0)
	v_mul_f64 v[171:172], v[42:43], v[8:9]
	v_mul_f64 v[8:9], v[44:45], v[8:9]
	s_delay_alu instid0(VALU_DEP_4) | instskip(NEXT) | instid1(VALU_DEP_4)
	v_fma_f64 v[169:170], v[38:39], v[2:3], -v[169:170]
	v_fma_f64 v[173:174], v[40:41], v[2:3], v[4:5]
	ds_load_b128 v[2:5], v1 offset:1088
	ds_load_b128 v[38:41], v1 offset:1104
	v_fma_f64 v[44:45], v[44:45], v[6:7], v[171:172]
	v_fma_f64 v[6:7], v[42:43], v[6:7], -v[8:9]
	s_waitcnt vmcnt(8) lgkmcnt(1)
	v_mul_f64 v[175:176], v[2:3], v[12:13]
	v_mul_f64 v[12:13], v[4:5], v[12:13]
	v_add_f64 v[8:9], v[169:170], 0
	v_add_f64 v[42:43], v[173:174], 0
	s_waitcnt vmcnt(7) lgkmcnt(0)
	v_mul_f64 v[169:170], v[38:39], v[16:17]
	v_mul_f64 v[16:17], v[40:41], v[16:17]
	v_fma_f64 v[171:172], v[4:5], v[10:11], v[175:176]
	v_fma_f64 v[10:11], v[2:3], v[10:11], -v[12:13]
	v_add_f64 v[12:13], v[8:9], v[6:7]
	v_add_f64 v[42:43], v[42:43], v[44:45]
	ds_load_b128 v[2:5], v1 offset:1120
	ds_load_b128 v[6:9], v1 offset:1136
	v_fma_f64 v[40:41], v[40:41], v[14:15], v[169:170]
	v_fma_f64 v[14:15], v[38:39], v[14:15], -v[16:17]
	s_waitcnt vmcnt(6) lgkmcnt(1)
	v_mul_f64 v[44:45], v[2:3], v[20:21]
	v_mul_f64 v[20:21], v[4:5], v[20:21]
	s_waitcnt vmcnt(5) lgkmcnt(0)
	v_mul_f64 v[16:17], v[6:7], v[24:25]
	v_mul_f64 v[24:25], v[8:9], v[24:25]
	v_add_f64 v[10:11], v[12:13], v[10:11]
	v_add_f64 v[12:13], v[42:43], v[171:172]
	v_fma_f64 v[38:39], v[4:5], v[18:19], v[44:45]
	v_fma_f64 v[18:19], v[2:3], v[18:19], -v[20:21]
	v_fma_f64 v[8:9], v[8:9], v[22:23], v[16:17]
	v_fma_f64 v[6:7], v[6:7], v[22:23], -v[24:25]
	v_add_f64 v[14:15], v[10:11], v[14:15]
	v_add_f64 v[20:21], v[12:13], v[40:41]
	ds_load_b128 v[2:5], v1 offset:1152
	ds_load_b128 v[10:13], v1 offset:1168
	s_waitcnt vmcnt(4) lgkmcnt(1)
	v_mul_f64 v[40:41], v[2:3], v[28:29]
	v_mul_f64 v[28:29], v[4:5], v[28:29]
	v_add_f64 v[14:15], v[14:15], v[18:19]
	v_add_f64 v[16:17], v[20:21], v[38:39]
	s_waitcnt vmcnt(3) lgkmcnt(0)
	v_mul_f64 v[18:19], v[10:11], v[32:33]
	v_mul_f64 v[20:21], v[12:13], v[32:33]
	v_fma_f64 v[22:23], v[4:5], v[26:27], v[40:41]
	v_fma_f64 v[24:25], v[2:3], v[26:27], -v[28:29]
	v_add_f64 v[14:15], v[14:15], v[6:7]
	v_add_f64 v[16:17], v[16:17], v[8:9]
	ds_load_b128 v[2:5], v1 offset:1184
	ds_load_b128 v[6:9], v1 offset:1200
	v_fma_f64 v[12:13], v[12:13], v[30:31], v[18:19]
	v_fma_f64 v[10:11], v[10:11], v[30:31], -v[20:21]
	s_waitcnt vmcnt(2) lgkmcnt(1)
	v_mul_f64 v[26:27], v[2:3], v[36:37]
	v_mul_f64 v[28:29], v[4:5], v[36:37]
	s_waitcnt vmcnt(0) lgkmcnt(0)
	v_mul_f64 v[18:19], v[6:7], v[167:168]
	v_mul_f64 v[20:21], v[8:9], v[167:168]
	v_add_f64 v[14:15], v[14:15], v[24:25]
	v_add_f64 v[16:17], v[16:17], v[22:23]
	v_fma_f64 v[4:5], v[4:5], v[34:35], v[26:27]
	v_fma_f64 v[1:2], v[2:3], v[34:35], -v[28:29]
	v_fma_f64 v[8:9], v[8:9], v[165:166], v[18:19]
	v_fma_f64 v[6:7], v[6:7], v[165:166], -v[20:21]
	v_add_f64 v[10:11], v[14:15], v[10:11]
	v_add_f64 v[12:13], v[16:17], v[12:13]
	s_delay_alu instid0(VALU_DEP_2) | instskip(NEXT) | instid1(VALU_DEP_2)
	v_add_f64 v[1:2], v[10:11], v[1:2]
	v_add_f64 v[3:4], v[12:13], v[4:5]
	s_delay_alu instid0(VALU_DEP_2) | instskip(NEXT) | instid1(VALU_DEP_2)
	;; [unrolled: 3-line block ×3, first 2 shown]
	v_add_f64 v[1:2], v[161:162], -v[1:2]
	v_add_f64 v[3:4], v[163:164], -v[3:4]
	scratch_store_b128 off, v[1:4], off offset:432
	v_cmpx_lt_u32_e32 26, v122
	s_cbranch_execz .LBB37_189
; %bb.188:
	scratch_load_b128 v[1:4], v131, off
	v_mov_b32_e32 v5, 0
	s_delay_alu instid0(VALU_DEP_1)
	v_mov_b32_e32 v6, v5
	v_mov_b32_e32 v7, v5
	;; [unrolled: 1-line block ×3, first 2 shown]
	scratch_store_b128 off, v[5:8], off offset:416
	s_waitcnt vmcnt(0)
	ds_store_b128 v160, v[1:4]
.LBB37_189:
	s_or_b32 exec_lo, exec_lo, s2
	s_waitcnt lgkmcnt(0)
	s_waitcnt_vscnt null, 0x0
	s_barrier
	buffer_gl0_inv
	s_clause 0x7
	scratch_load_b128 v[2:5], off, off offset:432
	scratch_load_b128 v[6:9], off, off offset:448
	;; [unrolled: 1-line block ×8, first 2 shown]
	v_mov_b32_e32 v1, 0
	s_mov_b32 s2, exec_lo
	ds_load_b128 v[34:37], v1 offset:1040
	s_clause 0x1
	scratch_load_b128 v[38:41], off, off offset:560
	scratch_load_b128 v[42:45], off, off offset:416
	ds_load_b128 v[161:164], v1 offset:1056
	scratch_load_b128 v[165:168], off, off offset:576
	s_waitcnt vmcnt(10) lgkmcnt(1)
	v_mul_f64 v[169:170], v[36:37], v[4:5]
	v_mul_f64 v[4:5], v[34:35], v[4:5]
	s_delay_alu instid0(VALU_DEP_2) | instskip(NEXT) | instid1(VALU_DEP_2)
	v_fma_f64 v[175:176], v[34:35], v[2:3], -v[169:170]
	v_fma_f64 v[177:178], v[36:37], v[2:3], v[4:5]
	scratch_load_b128 v[34:37], off, off offset:592
	ds_load_b128 v[2:5], v1 offset:1072
	s_waitcnt vmcnt(10) lgkmcnt(1)
	v_mul_f64 v[173:174], v[161:162], v[8:9]
	v_mul_f64 v[8:9], v[163:164], v[8:9]
	ds_load_b128 v[169:172], v1 offset:1088
	s_waitcnt vmcnt(9) lgkmcnt(1)
	v_mul_f64 v[179:180], v[2:3], v[12:13]
	v_mul_f64 v[12:13], v[4:5], v[12:13]
	v_fma_f64 v[163:164], v[163:164], v[6:7], v[173:174]
	v_fma_f64 v[6:7], v[161:162], v[6:7], -v[8:9]
	v_add_f64 v[8:9], v[175:176], 0
	v_add_f64 v[161:162], v[177:178], 0
	s_waitcnt vmcnt(8) lgkmcnt(0)
	v_mul_f64 v[173:174], v[169:170], v[16:17]
	v_mul_f64 v[16:17], v[171:172], v[16:17]
	v_fma_f64 v[175:176], v[4:5], v[10:11], v[179:180]
	v_fma_f64 v[10:11], v[2:3], v[10:11], -v[12:13]
	v_add_f64 v[12:13], v[8:9], v[6:7]
	v_add_f64 v[161:162], v[161:162], v[163:164]
	ds_load_b128 v[2:5], v1 offset:1104
	ds_load_b128 v[6:9], v1 offset:1120
	v_fma_f64 v[171:172], v[171:172], v[14:15], v[173:174]
	v_fma_f64 v[14:15], v[169:170], v[14:15], -v[16:17]
	s_waitcnt vmcnt(7) lgkmcnt(1)
	v_mul_f64 v[163:164], v[2:3], v[20:21]
	v_mul_f64 v[20:21], v[4:5], v[20:21]
	s_waitcnt vmcnt(6) lgkmcnt(0)
	v_mul_f64 v[16:17], v[6:7], v[24:25]
	v_mul_f64 v[24:25], v[8:9], v[24:25]
	v_add_f64 v[10:11], v[12:13], v[10:11]
	v_add_f64 v[12:13], v[161:162], v[175:176]
	v_fma_f64 v[161:162], v[4:5], v[18:19], v[163:164]
	v_fma_f64 v[18:19], v[2:3], v[18:19], -v[20:21]
	v_fma_f64 v[8:9], v[8:9], v[22:23], v[16:17]
	v_fma_f64 v[6:7], v[6:7], v[22:23], -v[24:25]
	v_add_f64 v[14:15], v[10:11], v[14:15]
	v_add_f64 v[20:21], v[12:13], v[171:172]
	ds_load_b128 v[2:5], v1 offset:1136
	ds_load_b128 v[10:13], v1 offset:1152
	s_waitcnt vmcnt(5) lgkmcnt(1)
	v_mul_f64 v[163:164], v[2:3], v[28:29]
	v_mul_f64 v[28:29], v[4:5], v[28:29]
	v_add_f64 v[14:15], v[14:15], v[18:19]
	v_add_f64 v[16:17], v[20:21], v[161:162]
	s_waitcnt vmcnt(4) lgkmcnt(0)
	v_mul_f64 v[18:19], v[10:11], v[32:33]
	v_mul_f64 v[20:21], v[12:13], v[32:33]
	v_fma_f64 v[22:23], v[4:5], v[26:27], v[163:164]
	v_fma_f64 v[24:25], v[2:3], v[26:27], -v[28:29]
	v_add_f64 v[14:15], v[14:15], v[6:7]
	v_add_f64 v[16:17], v[16:17], v[8:9]
	ds_load_b128 v[2:5], v1 offset:1168
	ds_load_b128 v[6:9], v1 offset:1184
	v_fma_f64 v[12:13], v[12:13], v[30:31], v[18:19]
	v_fma_f64 v[10:11], v[10:11], v[30:31], -v[20:21]
	s_waitcnt vmcnt(3) lgkmcnt(1)
	v_mul_f64 v[26:27], v[2:3], v[40:41]
	v_mul_f64 v[28:29], v[4:5], v[40:41]
	s_waitcnt vmcnt(1) lgkmcnt(0)
	v_mul_f64 v[18:19], v[6:7], v[167:168]
	v_mul_f64 v[20:21], v[8:9], v[167:168]
	v_add_f64 v[14:15], v[14:15], v[24:25]
	v_add_f64 v[16:17], v[16:17], v[22:23]
	v_fma_f64 v[22:23], v[4:5], v[38:39], v[26:27]
	v_fma_f64 v[24:25], v[2:3], v[38:39], -v[28:29]
	ds_load_b128 v[2:5], v1 offset:1200
	v_fma_f64 v[8:9], v[8:9], v[165:166], v[18:19]
	v_fma_f64 v[6:7], v[6:7], v[165:166], -v[20:21]
	v_add_f64 v[10:11], v[14:15], v[10:11]
	v_add_f64 v[12:13], v[16:17], v[12:13]
	s_waitcnt vmcnt(0) lgkmcnt(0)
	v_mul_f64 v[14:15], v[2:3], v[36:37]
	v_mul_f64 v[16:17], v[4:5], v[36:37]
	s_delay_alu instid0(VALU_DEP_4) | instskip(NEXT) | instid1(VALU_DEP_4)
	v_add_f64 v[10:11], v[10:11], v[24:25]
	v_add_f64 v[12:13], v[12:13], v[22:23]
	s_delay_alu instid0(VALU_DEP_4) | instskip(NEXT) | instid1(VALU_DEP_4)
	v_fma_f64 v[4:5], v[4:5], v[34:35], v[14:15]
	v_fma_f64 v[2:3], v[2:3], v[34:35], -v[16:17]
	s_delay_alu instid0(VALU_DEP_4) | instskip(NEXT) | instid1(VALU_DEP_4)
	v_add_f64 v[6:7], v[10:11], v[6:7]
	v_add_f64 v[8:9], v[12:13], v[8:9]
	s_delay_alu instid0(VALU_DEP_2) | instskip(NEXT) | instid1(VALU_DEP_2)
	v_add_f64 v[2:3], v[6:7], v[2:3]
	v_add_f64 v[4:5], v[8:9], v[4:5]
	s_delay_alu instid0(VALU_DEP_2) | instskip(NEXT) | instid1(VALU_DEP_2)
	v_add_f64 v[2:3], v[42:43], -v[2:3]
	v_add_f64 v[4:5], v[44:45], -v[4:5]
	scratch_store_b128 off, v[2:5], off offset:416
	v_cmpx_lt_u32_e32 25, v122
	s_cbranch_execz .LBB37_191
; %bb.190:
	scratch_load_b128 v[5:8], v132, off
	v_mov_b32_e32 v2, v1
	v_mov_b32_e32 v3, v1
	;; [unrolled: 1-line block ×3, first 2 shown]
	scratch_store_b128 off, v[1:4], off offset:400
	s_waitcnt vmcnt(0)
	ds_store_b128 v160, v[5:8]
.LBB37_191:
	s_or_b32 exec_lo, exec_lo, s2
	s_waitcnt lgkmcnt(0)
	s_waitcnt_vscnt null, 0x0
	s_barrier
	buffer_gl0_inv
	s_clause 0x8
	scratch_load_b128 v[2:5], off, off offset:416
	scratch_load_b128 v[6:9], off, off offset:432
	;; [unrolled: 1-line block ×9, first 2 shown]
	ds_load_b128 v[38:41], v1 offset:1024
	ds_load_b128 v[42:45], v1 offset:1040
	s_clause 0x1
	scratch_load_b128 v[161:164], off, off offset:400
	scratch_load_b128 v[165:168], off, off offset:560
	s_mov_b32 s2, exec_lo
	s_waitcnt vmcnt(10) lgkmcnt(1)
	v_mul_f64 v[169:170], v[40:41], v[4:5]
	v_mul_f64 v[4:5], v[38:39], v[4:5]
	s_waitcnt vmcnt(9) lgkmcnt(0)
	v_mul_f64 v[173:174], v[42:43], v[8:9]
	v_mul_f64 v[8:9], v[44:45], v[8:9]
	s_delay_alu instid0(VALU_DEP_4) | instskip(NEXT) | instid1(VALU_DEP_4)
	v_fma_f64 v[175:176], v[38:39], v[2:3], -v[169:170]
	v_fma_f64 v[177:178], v[40:41], v[2:3], v[4:5]
	ds_load_b128 v[2:5], v1 offset:1056
	ds_load_b128 v[169:172], v1 offset:1072
	scratch_load_b128 v[38:41], off, off offset:576
	v_fma_f64 v[44:45], v[44:45], v[6:7], v[173:174]
	v_fma_f64 v[42:43], v[42:43], v[6:7], -v[8:9]
	scratch_load_b128 v[6:9], off, off offset:592
	s_waitcnt vmcnt(10) lgkmcnt(1)
	v_mul_f64 v[179:180], v[2:3], v[12:13]
	v_mul_f64 v[12:13], v[4:5], v[12:13]
	v_add_f64 v[173:174], v[175:176], 0
	v_add_f64 v[175:176], v[177:178], 0
	s_waitcnt vmcnt(9) lgkmcnt(0)
	v_mul_f64 v[177:178], v[169:170], v[16:17]
	v_mul_f64 v[16:17], v[171:172], v[16:17]
	v_fma_f64 v[179:180], v[4:5], v[10:11], v[179:180]
	v_fma_f64 v[181:182], v[2:3], v[10:11], -v[12:13]
	ds_load_b128 v[2:5], v1 offset:1088
	ds_load_b128 v[10:13], v1 offset:1104
	v_add_f64 v[42:43], v[173:174], v[42:43]
	v_add_f64 v[44:45], v[175:176], v[44:45]
	v_fma_f64 v[171:172], v[171:172], v[14:15], v[177:178]
	v_fma_f64 v[14:15], v[169:170], v[14:15], -v[16:17]
	s_waitcnt vmcnt(8) lgkmcnt(1)
	v_mul_f64 v[173:174], v[2:3], v[20:21]
	v_mul_f64 v[20:21], v[4:5], v[20:21]
	v_add_f64 v[16:17], v[42:43], v[181:182]
	v_add_f64 v[42:43], v[44:45], v[179:180]
	s_waitcnt vmcnt(7) lgkmcnt(0)
	v_mul_f64 v[44:45], v[10:11], v[24:25]
	v_mul_f64 v[24:25], v[12:13], v[24:25]
	v_fma_f64 v[169:170], v[4:5], v[18:19], v[173:174]
	v_fma_f64 v[18:19], v[2:3], v[18:19], -v[20:21]
	v_add_f64 v[20:21], v[16:17], v[14:15]
	v_add_f64 v[42:43], v[42:43], v[171:172]
	ds_load_b128 v[2:5], v1 offset:1120
	ds_load_b128 v[14:17], v1 offset:1136
	v_fma_f64 v[12:13], v[12:13], v[22:23], v[44:45]
	v_fma_f64 v[10:11], v[10:11], v[22:23], -v[24:25]
	s_waitcnt vmcnt(6) lgkmcnt(1)
	v_mul_f64 v[171:172], v[2:3], v[28:29]
	v_mul_f64 v[28:29], v[4:5], v[28:29]
	s_waitcnt vmcnt(5) lgkmcnt(0)
	v_mul_f64 v[22:23], v[14:15], v[32:33]
	v_mul_f64 v[24:25], v[16:17], v[32:33]
	v_add_f64 v[18:19], v[20:21], v[18:19]
	v_add_f64 v[20:21], v[42:43], v[169:170]
	v_fma_f64 v[32:33], v[4:5], v[26:27], v[171:172]
	v_fma_f64 v[26:27], v[2:3], v[26:27], -v[28:29]
	v_fma_f64 v[16:17], v[16:17], v[30:31], v[22:23]
	v_fma_f64 v[14:15], v[14:15], v[30:31], -v[24:25]
	v_add_f64 v[18:19], v[18:19], v[10:11]
	v_add_f64 v[20:21], v[20:21], v[12:13]
	ds_load_b128 v[2:5], v1 offset:1152
	ds_load_b128 v[10:13], v1 offset:1168
	s_waitcnt vmcnt(4) lgkmcnt(1)
	v_mul_f64 v[28:29], v[2:3], v[36:37]
	v_mul_f64 v[36:37], v[4:5], v[36:37]
	s_waitcnt vmcnt(2) lgkmcnt(0)
	v_mul_f64 v[22:23], v[10:11], v[167:168]
	v_mul_f64 v[24:25], v[12:13], v[167:168]
	v_add_f64 v[18:19], v[18:19], v[26:27]
	v_add_f64 v[20:21], v[20:21], v[32:33]
	v_fma_f64 v[26:27], v[4:5], v[34:35], v[28:29]
	v_fma_f64 v[28:29], v[2:3], v[34:35], -v[36:37]
	v_fma_f64 v[12:13], v[12:13], v[165:166], v[22:23]
	v_fma_f64 v[10:11], v[10:11], v[165:166], -v[24:25]
	v_add_f64 v[18:19], v[18:19], v[14:15]
	v_add_f64 v[20:21], v[20:21], v[16:17]
	ds_load_b128 v[2:5], v1 offset:1184
	ds_load_b128 v[14:17], v1 offset:1200
	s_waitcnt vmcnt(1) lgkmcnt(1)
	v_mul_f64 v[30:31], v[2:3], v[40:41]
	v_mul_f64 v[32:33], v[4:5], v[40:41]
	s_waitcnt vmcnt(0) lgkmcnt(0)
	v_mul_f64 v[22:23], v[14:15], v[8:9]
	v_mul_f64 v[8:9], v[16:17], v[8:9]
	v_add_f64 v[18:19], v[18:19], v[28:29]
	v_add_f64 v[20:21], v[20:21], v[26:27]
	v_fma_f64 v[4:5], v[4:5], v[38:39], v[30:31]
	v_fma_f64 v[1:2], v[2:3], v[38:39], -v[32:33]
	v_fma_f64 v[16:17], v[16:17], v[6:7], v[22:23]
	v_fma_f64 v[6:7], v[14:15], v[6:7], -v[8:9]
	v_add_f64 v[10:11], v[18:19], v[10:11]
	v_add_f64 v[12:13], v[20:21], v[12:13]
	s_delay_alu instid0(VALU_DEP_2) | instskip(NEXT) | instid1(VALU_DEP_2)
	v_add_f64 v[1:2], v[10:11], v[1:2]
	v_add_f64 v[3:4], v[12:13], v[4:5]
	s_delay_alu instid0(VALU_DEP_2) | instskip(NEXT) | instid1(VALU_DEP_2)
	;; [unrolled: 3-line block ×3, first 2 shown]
	v_add_f64 v[1:2], v[161:162], -v[1:2]
	v_add_f64 v[3:4], v[163:164], -v[3:4]
	scratch_store_b128 off, v[1:4], off offset:400
	v_cmpx_lt_u32_e32 24, v122
	s_cbranch_execz .LBB37_193
; %bb.192:
	scratch_load_b128 v[1:4], v134, off
	v_mov_b32_e32 v5, 0
	s_delay_alu instid0(VALU_DEP_1)
	v_mov_b32_e32 v6, v5
	v_mov_b32_e32 v7, v5
	;; [unrolled: 1-line block ×3, first 2 shown]
	scratch_store_b128 off, v[5:8], off offset:384
	s_waitcnt vmcnt(0)
	ds_store_b128 v160, v[1:4]
.LBB37_193:
	s_or_b32 exec_lo, exec_lo, s2
	s_waitcnt lgkmcnt(0)
	s_waitcnt_vscnt null, 0x0
	s_barrier
	buffer_gl0_inv
	s_clause 0x7
	scratch_load_b128 v[2:5], off, off offset:400
	scratch_load_b128 v[6:9], off, off offset:416
	;; [unrolled: 1-line block ×8, first 2 shown]
	v_mov_b32_e32 v1, 0
	s_mov_b32 s2, exec_lo
	ds_load_b128 v[34:37], v1 offset:1008
	s_clause 0x1
	scratch_load_b128 v[38:41], off, off offset:528
	scratch_load_b128 v[42:45], off, off offset:384
	ds_load_b128 v[161:164], v1 offset:1024
	scratch_load_b128 v[165:168], off, off offset:544
	s_waitcnt vmcnt(10) lgkmcnt(1)
	v_mul_f64 v[169:170], v[36:37], v[4:5]
	v_mul_f64 v[4:5], v[34:35], v[4:5]
	s_delay_alu instid0(VALU_DEP_2) | instskip(NEXT) | instid1(VALU_DEP_2)
	v_fma_f64 v[175:176], v[34:35], v[2:3], -v[169:170]
	v_fma_f64 v[177:178], v[36:37], v[2:3], v[4:5]
	scratch_load_b128 v[34:37], off, off offset:560
	ds_load_b128 v[2:5], v1 offset:1040
	s_waitcnt vmcnt(10) lgkmcnt(1)
	v_mul_f64 v[173:174], v[161:162], v[8:9]
	v_mul_f64 v[8:9], v[163:164], v[8:9]
	ds_load_b128 v[169:172], v1 offset:1056
	s_waitcnt vmcnt(9) lgkmcnt(1)
	v_mul_f64 v[179:180], v[2:3], v[12:13]
	v_mul_f64 v[12:13], v[4:5], v[12:13]
	v_fma_f64 v[163:164], v[163:164], v[6:7], v[173:174]
	v_fma_f64 v[161:162], v[161:162], v[6:7], -v[8:9]
	v_add_f64 v[173:174], v[175:176], 0
	v_add_f64 v[175:176], v[177:178], 0
	scratch_load_b128 v[6:9], off, off offset:576
	v_fma_f64 v[179:180], v[4:5], v[10:11], v[179:180]
	v_fma_f64 v[181:182], v[2:3], v[10:11], -v[12:13]
	scratch_load_b128 v[10:13], off, off offset:592
	ds_load_b128 v[2:5], v1 offset:1072
	s_waitcnt vmcnt(10) lgkmcnt(1)
	v_mul_f64 v[177:178], v[169:170], v[16:17]
	v_mul_f64 v[16:17], v[171:172], v[16:17]
	v_add_f64 v[173:174], v[173:174], v[161:162]
	v_add_f64 v[175:176], v[175:176], v[163:164]
	s_waitcnt vmcnt(9) lgkmcnt(0)
	v_mul_f64 v[183:184], v[2:3], v[20:21]
	v_mul_f64 v[20:21], v[4:5], v[20:21]
	ds_load_b128 v[161:164], v1 offset:1088
	v_fma_f64 v[171:172], v[171:172], v[14:15], v[177:178]
	v_fma_f64 v[14:15], v[169:170], v[14:15], -v[16:17]
	v_add_f64 v[16:17], v[173:174], v[181:182]
	v_add_f64 v[169:170], v[175:176], v[179:180]
	s_waitcnt vmcnt(8) lgkmcnt(0)
	v_mul_f64 v[173:174], v[161:162], v[24:25]
	v_mul_f64 v[24:25], v[163:164], v[24:25]
	v_fma_f64 v[175:176], v[4:5], v[18:19], v[183:184]
	v_fma_f64 v[18:19], v[2:3], v[18:19], -v[20:21]
	v_add_f64 v[20:21], v[16:17], v[14:15]
	v_add_f64 v[169:170], v[169:170], v[171:172]
	ds_load_b128 v[2:5], v1 offset:1104
	ds_load_b128 v[14:17], v1 offset:1120
	v_fma_f64 v[163:164], v[163:164], v[22:23], v[173:174]
	v_fma_f64 v[22:23], v[161:162], v[22:23], -v[24:25]
	s_waitcnt vmcnt(7) lgkmcnt(1)
	v_mul_f64 v[171:172], v[2:3], v[28:29]
	v_mul_f64 v[28:29], v[4:5], v[28:29]
	s_waitcnt vmcnt(6) lgkmcnt(0)
	v_mul_f64 v[24:25], v[14:15], v[32:33]
	v_mul_f64 v[32:33], v[16:17], v[32:33]
	v_add_f64 v[18:19], v[20:21], v[18:19]
	v_add_f64 v[20:21], v[169:170], v[175:176]
	v_fma_f64 v[161:162], v[4:5], v[26:27], v[171:172]
	v_fma_f64 v[26:27], v[2:3], v[26:27], -v[28:29]
	v_fma_f64 v[16:17], v[16:17], v[30:31], v[24:25]
	v_fma_f64 v[14:15], v[14:15], v[30:31], -v[32:33]
	v_add_f64 v[22:23], v[18:19], v[22:23]
	v_add_f64 v[28:29], v[20:21], v[163:164]
	ds_load_b128 v[2:5], v1 offset:1136
	ds_load_b128 v[18:21], v1 offset:1152
	s_waitcnt vmcnt(5) lgkmcnt(1)
	v_mul_f64 v[163:164], v[2:3], v[40:41]
	v_mul_f64 v[40:41], v[4:5], v[40:41]
	v_add_f64 v[22:23], v[22:23], v[26:27]
	v_add_f64 v[24:25], v[28:29], v[161:162]
	s_waitcnt vmcnt(3) lgkmcnt(0)
	v_mul_f64 v[26:27], v[18:19], v[167:168]
	v_mul_f64 v[28:29], v[20:21], v[167:168]
	v_fma_f64 v[30:31], v[4:5], v[38:39], v[163:164]
	v_fma_f64 v[32:33], v[2:3], v[38:39], -v[40:41]
	v_add_f64 v[22:23], v[22:23], v[14:15]
	v_add_f64 v[24:25], v[24:25], v[16:17]
	ds_load_b128 v[2:5], v1 offset:1168
	ds_load_b128 v[14:17], v1 offset:1184
	v_fma_f64 v[20:21], v[20:21], v[165:166], v[26:27]
	v_fma_f64 v[18:19], v[18:19], v[165:166], -v[28:29]
	s_waitcnt vmcnt(2) lgkmcnt(1)
	v_mul_f64 v[38:39], v[2:3], v[36:37]
	v_mul_f64 v[36:37], v[4:5], v[36:37]
	v_add_f64 v[22:23], v[22:23], v[32:33]
	v_add_f64 v[24:25], v[24:25], v[30:31]
	s_waitcnt vmcnt(1) lgkmcnt(0)
	v_mul_f64 v[26:27], v[14:15], v[8:9]
	v_mul_f64 v[8:9], v[16:17], v[8:9]
	v_fma_f64 v[28:29], v[4:5], v[34:35], v[38:39]
	v_fma_f64 v[30:31], v[2:3], v[34:35], -v[36:37]
	ds_load_b128 v[2:5], v1 offset:1200
	v_add_f64 v[18:19], v[22:23], v[18:19]
	v_add_f64 v[20:21], v[24:25], v[20:21]
	s_waitcnt vmcnt(0) lgkmcnt(0)
	v_mul_f64 v[22:23], v[2:3], v[12:13]
	v_mul_f64 v[12:13], v[4:5], v[12:13]
	v_fma_f64 v[16:17], v[16:17], v[6:7], v[26:27]
	v_fma_f64 v[6:7], v[14:15], v[6:7], -v[8:9]
	v_add_f64 v[8:9], v[18:19], v[30:31]
	v_add_f64 v[14:15], v[20:21], v[28:29]
	v_fma_f64 v[4:5], v[4:5], v[10:11], v[22:23]
	v_fma_f64 v[2:3], v[2:3], v[10:11], -v[12:13]
	s_delay_alu instid0(VALU_DEP_4) | instskip(NEXT) | instid1(VALU_DEP_4)
	v_add_f64 v[6:7], v[8:9], v[6:7]
	v_add_f64 v[8:9], v[14:15], v[16:17]
	s_delay_alu instid0(VALU_DEP_2) | instskip(NEXT) | instid1(VALU_DEP_2)
	v_add_f64 v[2:3], v[6:7], v[2:3]
	v_add_f64 v[4:5], v[8:9], v[4:5]
	s_delay_alu instid0(VALU_DEP_2) | instskip(NEXT) | instid1(VALU_DEP_2)
	v_add_f64 v[2:3], v[42:43], -v[2:3]
	v_add_f64 v[4:5], v[44:45], -v[4:5]
	scratch_store_b128 off, v[2:5], off offset:384
	v_cmpx_lt_u32_e32 23, v122
	s_cbranch_execz .LBB37_195
; %bb.194:
	scratch_load_b128 v[5:8], v136, off
	v_mov_b32_e32 v2, v1
	v_mov_b32_e32 v3, v1
	;; [unrolled: 1-line block ×3, first 2 shown]
	scratch_store_b128 off, v[1:4], off offset:368
	s_waitcnt vmcnt(0)
	ds_store_b128 v160, v[5:8]
.LBB37_195:
	s_or_b32 exec_lo, exec_lo, s2
	s_waitcnt lgkmcnt(0)
	s_waitcnt_vscnt null, 0x0
	s_barrier
	buffer_gl0_inv
	s_clause 0x8
	scratch_load_b128 v[2:5], off, off offset:384
	scratch_load_b128 v[6:9], off, off offset:400
	;; [unrolled: 1-line block ×9, first 2 shown]
	ds_load_b128 v[38:41], v1 offset:992
	ds_load_b128 v[42:45], v1 offset:1008
	s_clause 0x1
	scratch_load_b128 v[161:164], off, off offset:368
	scratch_load_b128 v[165:168], off, off offset:528
	s_mov_b32 s2, exec_lo
	s_waitcnt vmcnt(10) lgkmcnt(1)
	v_mul_f64 v[169:170], v[40:41], v[4:5]
	v_mul_f64 v[4:5], v[38:39], v[4:5]
	s_waitcnt vmcnt(9) lgkmcnt(0)
	v_mul_f64 v[173:174], v[42:43], v[8:9]
	v_mul_f64 v[8:9], v[44:45], v[8:9]
	s_delay_alu instid0(VALU_DEP_4) | instskip(NEXT) | instid1(VALU_DEP_4)
	v_fma_f64 v[175:176], v[38:39], v[2:3], -v[169:170]
	v_fma_f64 v[177:178], v[40:41], v[2:3], v[4:5]
	ds_load_b128 v[2:5], v1 offset:1024
	ds_load_b128 v[169:172], v1 offset:1040
	scratch_load_b128 v[38:41], off, off offset:544
	v_fma_f64 v[44:45], v[44:45], v[6:7], v[173:174]
	v_fma_f64 v[42:43], v[42:43], v[6:7], -v[8:9]
	scratch_load_b128 v[6:9], off, off offset:560
	s_waitcnt vmcnt(10) lgkmcnt(1)
	v_mul_f64 v[179:180], v[2:3], v[12:13]
	v_mul_f64 v[12:13], v[4:5], v[12:13]
	v_add_f64 v[173:174], v[175:176], 0
	v_add_f64 v[175:176], v[177:178], 0
	s_waitcnt vmcnt(9) lgkmcnt(0)
	v_mul_f64 v[177:178], v[169:170], v[16:17]
	v_mul_f64 v[16:17], v[171:172], v[16:17]
	v_fma_f64 v[179:180], v[4:5], v[10:11], v[179:180]
	v_fma_f64 v[181:182], v[2:3], v[10:11], -v[12:13]
	ds_load_b128 v[2:5], v1 offset:1056
	scratch_load_b128 v[10:13], off, off offset:576
	v_add_f64 v[173:174], v[173:174], v[42:43]
	v_add_f64 v[175:176], v[175:176], v[44:45]
	ds_load_b128 v[42:45], v1 offset:1072
	v_fma_f64 v[171:172], v[171:172], v[14:15], v[177:178]
	v_fma_f64 v[169:170], v[169:170], v[14:15], -v[16:17]
	scratch_load_b128 v[14:17], off, off offset:592
	s_waitcnt vmcnt(10) lgkmcnt(1)
	v_mul_f64 v[183:184], v[2:3], v[20:21]
	v_mul_f64 v[20:21], v[4:5], v[20:21]
	s_waitcnt vmcnt(9) lgkmcnt(0)
	v_mul_f64 v[177:178], v[42:43], v[24:25]
	v_mul_f64 v[24:25], v[44:45], v[24:25]
	v_add_f64 v[173:174], v[173:174], v[181:182]
	v_add_f64 v[175:176], v[175:176], v[179:180]
	v_fma_f64 v[179:180], v[4:5], v[18:19], v[183:184]
	v_fma_f64 v[181:182], v[2:3], v[18:19], -v[20:21]
	ds_load_b128 v[2:5], v1 offset:1088
	ds_load_b128 v[18:21], v1 offset:1104
	v_fma_f64 v[44:45], v[44:45], v[22:23], v[177:178]
	v_fma_f64 v[22:23], v[42:43], v[22:23], -v[24:25]
	v_add_f64 v[169:170], v[173:174], v[169:170]
	v_add_f64 v[171:172], v[175:176], v[171:172]
	s_waitcnt vmcnt(8) lgkmcnt(1)
	v_mul_f64 v[173:174], v[2:3], v[28:29]
	v_mul_f64 v[28:29], v[4:5], v[28:29]
	s_delay_alu instid0(VALU_DEP_4) | instskip(NEXT) | instid1(VALU_DEP_4)
	v_add_f64 v[24:25], v[169:170], v[181:182]
	v_add_f64 v[42:43], v[171:172], v[179:180]
	s_waitcnt vmcnt(7) lgkmcnt(0)
	v_mul_f64 v[169:170], v[18:19], v[32:33]
	v_mul_f64 v[32:33], v[20:21], v[32:33]
	v_fma_f64 v[171:172], v[4:5], v[26:27], v[173:174]
	v_fma_f64 v[26:27], v[2:3], v[26:27], -v[28:29]
	v_add_f64 v[28:29], v[24:25], v[22:23]
	v_add_f64 v[42:43], v[42:43], v[44:45]
	ds_load_b128 v[2:5], v1 offset:1120
	ds_load_b128 v[22:25], v1 offset:1136
	v_fma_f64 v[20:21], v[20:21], v[30:31], v[169:170]
	v_fma_f64 v[18:19], v[18:19], v[30:31], -v[32:33]
	s_waitcnt vmcnt(6) lgkmcnt(1)
	v_mul_f64 v[44:45], v[2:3], v[36:37]
	v_mul_f64 v[36:37], v[4:5], v[36:37]
	s_waitcnt vmcnt(4) lgkmcnt(0)
	v_mul_f64 v[30:31], v[22:23], v[167:168]
	v_mul_f64 v[32:33], v[24:25], v[167:168]
	v_add_f64 v[26:27], v[28:29], v[26:27]
	v_add_f64 v[28:29], v[42:43], v[171:172]
	v_fma_f64 v[42:43], v[4:5], v[34:35], v[44:45]
	v_fma_f64 v[34:35], v[2:3], v[34:35], -v[36:37]
	v_fma_f64 v[24:25], v[24:25], v[165:166], v[30:31]
	v_fma_f64 v[22:23], v[22:23], v[165:166], -v[32:33]
	v_add_f64 v[26:27], v[26:27], v[18:19]
	v_add_f64 v[28:29], v[28:29], v[20:21]
	ds_load_b128 v[2:5], v1 offset:1152
	ds_load_b128 v[18:21], v1 offset:1168
	s_waitcnt vmcnt(3) lgkmcnt(1)
	v_mul_f64 v[36:37], v[2:3], v[40:41]
	v_mul_f64 v[40:41], v[4:5], v[40:41]
	s_waitcnt vmcnt(2) lgkmcnt(0)
	v_mul_f64 v[30:31], v[18:19], v[8:9]
	v_mul_f64 v[8:9], v[20:21], v[8:9]
	v_add_f64 v[26:27], v[26:27], v[34:35]
	v_add_f64 v[28:29], v[28:29], v[42:43]
	v_fma_f64 v[32:33], v[4:5], v[38:39], v[36:37]
	v_fma_f64 v[34:35], v[2:3], v[38:39], -v[40:41]
	v_fma_f64 v[20:21], v[20:21], v[6:7], v[30:31]
	v_fma_f64 v[6:7], v[18:19], v[6:7], -v[8:9]
	v_add_f64 v[26:27], v[26:27], v[22:23]
	v_add_f64 v[28:29], v[28:29], v[24:25]
	ds_load_b128 v[2:5], v1 offset:1184
	ds_load_b128 v[22:25], v1 offset:1200
	s_waitcnt vmcnt(1) lgkmcnt(1)
	v_mul_f64 v[36:37], v[2:3], v[12:13]
	v_mul_f64 v[12:13], v[4:5], v[12:13]
	v_add_f64 v[8:9], v[26:27], v[34:35]
	v_add_f64 v[18:19], v[28:29], v[32:33]
	s_waitcnt vmcnt(0) lgkmcnt(0)
	v_mul_f64 v[26:27], v[22:23], v[16:17]
	v_mul_f64 v[16:17], v[24:25], v[16:17]
	v_fma_f64 v[4:5], v[4:5], v[10:11], v[36:37]
	v_fma_f64 v[1:2], v[2:3], v[10:11], -v[12:13]
	v_add_f64 v[6:7], v[8:9], v[6:7]
	v_add_f64 v[8:9], v[18:19], v[20:21]
	v_fma_f64 v[10:11], v[24:25], v[14:15], v[26:27]
	v_fma_f64 v[12:13], v[22:23], v[14:15], -v[16:17]
	s_delay_alu instid0(VALU_DEP_4) | instskip(NEXT) | instid1(VALU_DEP_4)
	v_add_f64 v[1:2], v[6:7], v[1:2]
	v_add_f64 v[3:4], v[8:9], v[4:5]
	s_delay_alu instid0(VALU_DEP_2) | instskip(NEXT) | instid1(VALU_DEP_2)
	v_add_f64 v[1:2], v[1:2], v[12:13]
	v_add_f64 v[3:4], v[3:4], v[10:11]
	s_delay_alu instid0(VALU_DEP_2) | instskip(NEXT) | instid1(VALU_DEP_2)
	v_add_f64 v[1:2], v[161:162], -v[1:2]
	v_add_f64 v[3:4], v[163:164], -v[3:4]
	scratch_store_b128 off, v[1:4], off offset:368
	v_cmpx_lt_u32_e32 22, v122
	s_cbranch_execz .LBB37_197
; %bb.196:
	scratch_load_b128 v[1:4], v137, off
	v_mov_b32_e32 v5, 0
	s_delay_alu instid0(VALU_DEP_1)
	v_mov_b32_e32 v6, v5
	v_mov_b32_e32 v7, v5
	;; [unrolled: 1-line block ×3, first 2 shown]
	scratch_store_b128 off, v[5:8], off offset:352
	s_waitcnt vmcnt(0)
	ds_store_b128 v160, v[1:4]
.LBB37_197:
	s_or_b32 exec_lo, exec_lo, s2
	s_waitcnt lgkmcnt(0)
	s_waitcnt_vscnt null, 0x0
	s_barrier
	buffer_gl0_inv
	s_clause 0x7
	scratch_load_b128 v[2:5], off, off offset:368
	scratch_load_b128 v[6:9], off, off offset:384
	;; [unrolled: 1-line block ×8, first 2 shown]
	v_mov_b32_e32 v1, 0
	s_mov_b32 s2, exec_lo
	ds_load_b128 v[34:37], v1 offset:976
	s_clause 0x1
	scratch_load_b128 v[38:41], off, off offset:496
	scratch_load_b128 v[42:45], off, off offset:352
	ds_load_b128 v[161:164], v1 offset:992
	scratch_load_b128 v[165:168], off, off offset:512
	s_waitcnt vmcnt(10) lgkmcnt(1)
	v_mul_f64 v[169:170], v[36:37], v[4:5]
	v_mul_f64 v[4:5], v[34:35], v[4:5]
	s_delay_alu instid0(VALU_DEP_2) | instskip(NEXT) | instid1(VALU_DEP_2)
	v_fma_f64 v[175:176], v[34:35], v[2:3], -v[169:170]
	v_fma_f64 v[177:178], v[36:37], v[2:3], v[4:5]
	scratch_load_b128 v[34:37], off, off offset:528
	ds_load_b128 v[2:5], v1 offset:1008
	s_waitcnt vmcnt(10) lgkmcnt(1)
	v_mul_f64 v[173:174], v[161:162], v[8:9]
	v_mul_f64 v[8:9], v[163:164], v[8:9]
	ds_load_b128 v[169:172], v1 offset:1024
	s_waitcnt vmcnt(9) lgkmcnt(1)
	v_mul_f64 v[179:180], v[2:3], v[12:13]
	v_mul_f64 v[12:13], v[4:5], v[12:13]
	v_fma_f64 v[163:164], v[163:164], v[6:7], v[173:174]
	v_fma_f64 v[161:162], v[161:162], v[6:7], -v[8:9]
	v_add_f64 v[173:174], v[175:176], 0
	v_add_f64 v[175:176], v[177:178], 0
	scratch_load_b128 v[6:9], off, off offset:544
	v_fma_f64 v[179:180], v[4:5], v[10:11], v[179:180]
	v_fma_f64 v[181:182], v[2:3], v[10:11], -v[12:13]
	scratch_load_b128 v[10:13], off, off offset:560
	ds_load_b128 v[2:5], v1 offset:1040
	s_waitcnt vmcnt(10) lgkmcnt(1)
	v_mul_f64 v[177:178], v[169:170], v[16:17]
	v_mul_f64 v[16:17], v[171:172], v[16:17]
	v_add_f64 v[173:174], v[173:174], v[161:162]
	v_add_f64 v[175:176], v[175:176], v[163:164]
	s_waitcnt vmcnt(9) lgkmcnt(0)
	v_mul_f64 v[183:184], v[2:3], v[20:21]
	v_mul_f64 v[20:21], v[4:5], v[20:21]
	ds_load_b128 v[161:164], v1 offset:1056
	v_fma_f64 v[171:172], v[171:172], v[14:15], v[177:178]
	v_fma_f64 v[169:170], v[169:170], v[14:15], -v[16:17]
	scratch_load_b128 v[14:17], off, off offset:576
	v_add_f64 v[173:174], v[173:174], v[181:182]
	v_add_f64 v[175:176], v[175:176], v[179:180]
	v_fma_f64 v[179:180], v[4:5], v[18:19], v[183:184]
	v_fma_f64 v[181:182], v[2:3], v[18:19], -v[20:21]
	scratch_load_b128 v[18:21], off, off offset:592
	ds_load_b128 v[2:5], v1 offset:1072
	s_waitcnt vmcnt(10) lgkmcnt(1)
	v_mul_f64 v[177:178], v[161:162], v[24:25]
	v_mul_f64 v[24:25], v[163:164], v[24:25]
	s_waitcnt vmcnt(9) lgkmcnt(0)
	v_mul_f64 v[183:184], v[2:3], v[28:29]
	v_mul_f64 v[28:29], v[4:5], v[28:29]
	v_add_f64 v[173:174], v[173:174], v[169:170]
	v_add_f64 v[175:176], v[175:176], v[171:172]
	ds_load_b128 v[169:172], v1 offset:1088
	v_fma_f64 v[163:164], v[163:164], v[22:23], v[177:178]
	v_fma_f64 v[22:23], v[161:162], v[22:23], -v[24:25]
	v_add_f64 v[24:25], v[173:174], v[181:182]
	v_add_f64 v[161:162], v[175:176], v[179:180]
	s_waitcnt vmcnt(8) lgkmcnt(0)
	v_mul_f64 v[173:174], v[169:170], v[32:33]
	v_mul_f64 v[32:33], v[171:172], v[32:33]
	v_fma_f64 v[175:176], v[4:5], v[26:27], v[183:184]
	v_fma_f64 v[26:27], v[2:3], v[26:27], -v[28:29]
	v_add_f64 v[28:29], v[24:25], v[22:23]
	v_add_f64 v[161:162], v[161:162], v[163:164]
	ds_load_b128 v[2:5], v1 offset:1104
	ds_load_b128 v[22:25], v1 offset:1120
	v_fma_f64 v[171:172], v[171:172], v[30:31], v[173:174]
	v_fma_f64 v[30:31], v[169:170], v[30:31], -v[32:33]
	s_waitcnt vmcnt(7) lgkmcnt(1)
	v_mul_f64 v[163:164], v[2:3], v[40:41]
	v_mul_f64 v[40:41], v[4:5], v[40:41]
	s_waitcnt vmcnt(5) lgkmcnt(0)
	v_mul_f64 v[32:33], v[22:23], v[167:168]
	v_add_f64 v[26:27], v[28:29], v[26:27]
	v_add_f64 v[28:29], v[161:162], v[175:176]
	v_mul_f64 v[161:162], v[24:25], v[167:168]
	v_fma_f64 v[163:164], v[4:5], v[38:39], v[163:164]
	v_fma_f64 v[38:39], v[2:3], v[38:39], -v[40:41]
	v_fma_f64 v[24:25], v[24:25], v[165:166], v[32:33]
	v_add_f64 v[30:31], v[26:27], v[30:31]
	v_add_f64 v[40:41], v[28:29], v[171:172]
	ds_load_b128 v[2:5], v1 offset:1136
	ds_load_b128 v[26:29], v1 offset:1152
	v_fma_f64 v[22:23], v[22:23], v[165:166], -v[161:162]
	s_waitcnt vmcnt(4) lgkmcnt(1)
	v_mul_f64 v[167:168], v[2:3], v[36:37]
	v_mul_f64 v[36:37], v[4:5], v[36:37]
	v_add_f64 v[30:31], v[30:31], v[38:39]
	v_add_f64 v[32:33], v[40:41], v[163:164]
	s_waitcnt vmcnt(3) lgkmcnt(0)
	v_mul_f64 v[38:39], v[26:27], v[8:9]
	v_mul_f64 v[8:9], v[28:29], v[8:9]
	v_fma_f64 v[40:41], v[4:5], v[34:35], v[167:168]
	v_fma_f64 v[34:35], v[2:3], v[34:35], -v[36:37]
	v_add_f64 v[30:31], v[30:31], v[22:23]
	v_add_f64 v[32:33], v[32:33], v[24:25]
	ds_load_b128 v[2:5], v1 offset:1168
	ds_load_b128 v[22:25], v1 offset:1184
	v_fma_f64 v[28:29], v[28:29], v[6:7], v[38:39]
	v_fma_f64 v[6:7], v[26:27], v[6:7], -v[8:9]
	s_waitcnt vmcnt(2) lgkmcnt(1)
	v_mul_f64 v[36:37], v[2:3], v[12:13]
	v_mul_f64 v[12:13], v[4:5], v[12:13]
	v_add_f64 v[8:9], v[30:31], v[34:35]
	v_add_f64 v[26:27], v[32:33], v[40:41]
	s_waitcnt vmcnt(1) lgkmcnt(0)
	v_mul_f64 v[30:31], v[22:23], v[16:17]
	v_mul_f64 v[16:17], v[24:25], v[16:17]
	v_fma_f64 v[32:33], v[4:5], v[10:11], v[36:37]
	v_fma_f64 v[10:11], v[2:3], v[10:11], -v[12:13]
	ds_load_b128 v[2:5], v1 offset:1200
	v_add_f64 v[6:7], v[8:9], v[6:7]
	v_add_f64 v[8:9], v[26:27], v[28:29]
	v_fma_f64 v[24:25], v[24:25], v[14:15], v[30:31]
	v_fma_f64 v[14:15], v[22:23], v[14:15], -v[16:17]
	s_waitcnt vmcnt(0) lgkmcnt(0)
	v_mul_f64 v[12:13], v[2:3], v[20:21]
	v_mul_f64 v[20:21], v[4:5], v[20:21]
	v_add_f64 v[6:7], v[6:7], v[10:11]
	v_add_f64 v[8:9], v[8:9], v[32:33]
	s_delay_alu instid0(VALU_DEP_4) | instskip(NEXT) | instid1(VALU_DEP_4)
	v_fma_f64 v[4:5], v[4:5], v[18:19], v[12:13]
	v_fma_f64 v[2:3], v[2:3], v[18:19], -v[20:21]
	s_delay_alu instid0(VALU_DEP_4) | instskip(NEXT) | instid1(VALU_DEP_4)
	v_add_f64 v[6:7], v[6:7], v[14:15]
	v_add_f64 v[8:9], v[8:9], v[24:25]
	s_delay_alu instid0(VALU_DEP_2) | instskip(NEXT) | instid1(VALU_DEP_2)
	v_add_f64 v[2:3], v[6:7], v[2:3]
	v_add_f64 v[4:5], v[8:9], v[4:5]
	s_delay_alu instid0(VALU_DEP_2) | instskip(NEXT) | instid1(VALU_DEP_2)
	v_add_f64 v[2:3], v[42:43], -v[2:3]
	v_add_f64 v[4:5], v[44:45], -v[4:5]
	scratch_store_b128 off, v[2:5], off offset:352
	v_cmpx_lt_u32_e32 21, v122
	s_cbranch_execz .LBB37_199
; %bb.198:
	scratch_load_b128 v[5:8], v139, off
	v_mov_b32_e32 v2, v1
	v_mov_b32_e32 v3, v1
	;; [unrolled: 1-line block ×3, first 2 shown]
	scratch_store_b128 off, v[1:4], off offset:336
	s_waitcnt vmcnt(0)
	ds_store_b128 v160, v[5:8]
.LBB37_199:
	s_or_b32 exec_lo, exec_lo, s2
	s_waitcnt lgkmcnt(0)
	s_waitcnt_vscnt null, 0x0
	s_barrier
	buffer_gl0_inv
	s_clause 0x8
	scratch_load_b128 v[2:5], off, off offset:352
	scratch_load_b128 v[6:9], off, off offset:368
	;; [unrolled: 1-line block ×9, first 2 shown]
	ds_load_b128 v[38:41], v1 offset:960
	ds_load_b128 v[42:45], v1 offset:976
	s_clause 0x1
	scratch_load_b128 v[161:164], off, off offset:336
	scratch_load_b128 v[165:168], off, off offset:496
	s_mov_b32 s2, exec_lo
	s_waitcnt vmcnt(10) lgkmcnt(1)
	v_mul_f64 v[169:170], v[40:41], v[4:5]
	v_mul_f64 v[4:5], v[38:39], v[4:5]
	s_waitcnt vmcnt(9) lgkmcnt(0)
	v_mul_f64 v[173:174], v[42:43], v[8:9]
	v_mul_f64 v[8:9], v[44:45], v[8:9]
	s_delay_alu instid0(VALU_DEP_4) | instskip(NEXT) | instid1(VALU_DEP_4)
	v_fma_f64 v[175:176], v[38:39], v[2:3], -v[169:170]
	v_fma_f64 v[177:178], v[40:41], v[2:3], v[4:5]
	ds_load_b128 v[2:5], v1 offset:992
	ds_load_b128 v[169:172], v1 offset:1008
	scratch_load_b128 v[38:41], off, off offset:512
	v_fma_f64 v[44:45], v[44:45], v[6:7], v[173:174]
	v_fma_f64 v[42:43], v[42:43], v[6:7], -v[8:9]
	scratch_load_b128 v[6:9], off, off offset:528
	s_waitcnt vmcnt(10) lgkmcnt(1)
	v_mul_f64 v[179:180], v[2:3], v[12:13]
	v_mul_f64 v[12:13], v[4:5], v[12:13]
	v_add_f64 v[173:174], v[175:176], 0
	v_add_f64 v[175:176], v[177:178], 0
	s_waitcnt vmcnt(9) lgkmcnt(0)
	v_mul_f64 v[177:178], v[169:170], v[16:17]
	v_mul_f64 v[16:17], v[171:172], v[16:17]
	v_fma_f64 v[179:180], v[4:5], v[10:11], v[179:180]
	v_fma_f64 v[181:182], v[2:3], v[10:11], -v[12:13]
	ds_load_b128 v[2:5], v1 offset:1024
	scratch_load_b128 v[10:13], off, off offset:544
	v_add_f64 v[173:174], v[173:174], v[42:43]
	v_add_f64 v[175:176], v[175:176], v[44:45]
	ds_load_b128 v[42:45], v1 offset:1040
	v_fma_f64 v[171:172], v[171:172], v[14:15], v[177:178]
	v_fma_f64 v[169:170], v[169:170], v[14:15], -v[16:17]
	scratch_load_b128 v[14:17], off, off offset:560
	s_waitcnt vmcnt(10) lgkmcnt(1)
	v_mul_f64 v[183:184], v[2:3], v[20:21]
	v_mul_f64 v[20:21], v[4:5], v[20:21]
	s_waitcnt vmcnt(9) lgkmcnt(0)
	v_mul_f64 v[177:178], v[42:43], v[24:25]
	v_mul_f64 v[24:25], v[44:45], v[24:25]
	v_add_f64 v[173:174], v[173:174], v[181:182]
	v_add_f64 v[175:176], v[175:176], v[179:180]
	v_fma_f64 v[179:180], v[4:5], v[18:19], v[183:184]
	v_fma_f64 v[181:182], v[2:3], v[18:19], -v[20:21]
	ds_load_b128 v[2:5], v1 offset:1056
	scratch_load_b128 v[18:21], off, off offset:576
	v_fma_f64 v[44:45], v[44:45], v[22:23], v[177:178]
	v_fma_f64 v[42:43], v[42:43], v[22:23], -v[24:25]
	scratch_load_b128 v[22:25], off, off offset:592
	v_add_f64 v[173:174], v[173:174], v[169:170]
	v_add_f64 v[175:176], v[175:176], v[171:172]
	ds_load_b128 v[169:172], v1 offset:1072
	s_waitcnt vmcnt(10) lgkmcnt(1)
	v_mul_f64 v[183:184], v[2:3], v[28:29]
	v_mul_f64 v[28:29], v[4:5], v[28:29]
	s_waitcnt vmcnt(9) lgkmcnt(0)
	v_mul_f64 v[177:178], v[169:170], v[32:33]
	v_mul_f64 v[32:33], v[171:172], v[32:33]
	v_add_f64 v[173:174], v[173:174], v[181:182]
	v_add_f64 v[175:176], v[175:176], v[179:180]
	v_fma_f64 v[179:180], v[4:5], v[26:27], v[183:184]
	v_fma_f64 v[181:182], v[2:3], v[26:27], -v[28:29]
	ds_load_b128 v[2:5], v1 offset:1088
	ds_load_b128 v[26:29], v1 offset:1104
	v_fma_f64 v[171:172], v[171:172], v[30:31], v[177:178]
	v_fma_f64 v[30:31], v[169:170], v[30:31], -v[32:33]
	v_add_f64 v[42:43], v[173:174], v[42:43]
	v_add_f64 v[44:45], v[175:176], v[44:45]
	s_waitcnt vmcnt(8) lgkmcnt(1)
	v_mul_f64 v[173:174], v[2:3], v[36:37]
	v_mul_f64 v[36:37], v[4:5], v[36:37]
	s_delay_alu instid0(VALU_DEP_4) | instskip(NEXT) | instid1(VALU_DEP_4)
	v_add_f64 v[32:33], v[42:43], v[181:182]
	v_add_f64 v[42:43], v[44:45], v[179:180]
	s_waitcnt vmcnt(6) lgkmcnt(0)
	v_mul_f64 v[44:45], v[26:27], v[167:168]
	v_mul_f64 v[167:168], v[28:29], v[167:168]
	v_fma_f64 v[169:170], v[4:5], v[34:35], v[173:174]
	v_fma_f64 v[34:35], v[2:3], v[34:35], -v[36:37]
	v_add_f64 v[36:37], v[32:33], v[30:31]
	v_add_f64 v[42:43], v[42:43], v[171:172]
	ds_load_b128 v[2:5], v1 offset:1120
	ds_load_b128 v[30:33], v1 offset:1136
	v_fma_f64 v[28:29], v[28:29], v[165:166], v[44:45]
	v_fma_f64 v[26:27], v[26:27], v[165:166], -v[167:168]
	s_waitcnt vmcnt(5) lgkmcnt(1)
	v_mul_f64 v[171:172], v[2:3], v[40:41]
	v_mul_f64 v[40:41], v[4:5], v[40:41]
	v_add_f64 v[34:35], v[36:37], v[34:35]
	v_add_f64 v[36:37], v[42:43], v[169:170]
	s_waitcnt vmcnt(4) lgkmcnt(0)
	v_mul_f64 v[42:43], v[30:31], v[8:9]
	v_mul_f64 v[8:9], v[32:33], v[8:9]
	v_fma_f64 v[44:45], v[4:5], v[38:39], v[171:172]
	v_fma_f64 v[38:39], v[2:3], v[38:39], -v[40:41]
	v_add_f64 v[34:35], v[34:35], v[26:27]
	v_add_f64 v[36:37], v[36:37], v[28:29]
	ds_load_b128 v[2:5], v1 offset:1152
	ds_load_b128 v[26:29], v1 offset:1168
	v_fma_f64 v[32:33], v[32:33], v[6:7], v[42:43]
	v_fma_f64 v[6:7], v[30:31], v[6:7], -v[8:9]
	s_waitcnt vmcnt(3) lgkmcnt(1)
	v_mul_f64 v[40:41], v[2:3], v[12:13]
	v_mul_f64 v[12:13], v[4:5], v[12:13]
	;; [unrolled: 16-line block ×3, first 2 shown]
	s_waitcnt vmcnt(0) lgkmcnt(0)
	v_mul_f64 v[16:17], v[6:7], v[24:25]
	v_mul_f64 v[24:25], v[8:9], v[24:25]
	v_add_f64 v[10:11], v[12:13], v[10:11]
	v_add_f64 v[12:13], v[30:31], v[36:37]
	v_fma_f64 v[4:5], v[4:5], v[18:19], v[32:33]
	v_fma_f64 v[1:2], v[2:3], v[18:19], -v[20:21]
	v_fma_f64 v[8:9], v[8:9], v[22:23], v[16:17]
	v_fma_f64 v[6:7], v[6:7], v[22:23], -v[24:25]
	v_add_f64 v[10:11], v[10:11], v[14:15]
	v_add_f64 v[12:13], v[12:13], v[28:29]
	s_delay_alu instid0(VALU_DEP_2) | instskip(NEXT) | instid1(VALU_DEP_2)
	v_add_f64 v[1:2], v[10:11], v[1:2]
	v_add_f64 v[3:4], v[12:13], v[4:5]
	s_delay_alu instid0(VALU_DEP_2) | instskip(NEXT) | instid1(VALU_DEP_2)
	;; [unrolled: 3-line block ×3, first 2 shown]
	v_add_f64 v[1:2], v[161:162], -v[1:2]
	v_add_f64 v[3:4], v[163:164], -v[3:4]
	scratch_store_b128 off, v[1:4], off offset:336
	v_cmpx_lt_u32_e32 20, v122
	s_cbranch_execz .LBB37_201
; %bb.200:
	scratch_load_b128 v[1:4], v141, off
	v_mov_b32_e32 v5, 0
	s_delay_alu instid0(VALU_DEP_1)
	v_mov_b32_e32 v6, v5
	v_mov_b32_e32 v7, v5
	;; [unrolled: 1-line block ×3, first 2 shown]
	scratch_store_b128 off, v[5:8], off offset:320
	s_waitcnt vmcnt(0)
	ds_store_b128 v160, v[1:4]
.LBB37_201:
	s_or_b32 exec_lo, exec_lo, s2
	s_waitcnt lgkmcnt(0)
	s_waitcnt_vscnt null, 0x0
	s_barrier
	buffer_gl0_inv
	s_clause 0x7
	scratch_load_b128 v[2:5], off, off offset:336
	scratch_load_b128 v[6:9], off, off offset:352
	;; [unrolled: 1-line block ×8, first 2 shown]
	v_mov_b32_e32 v1, 0
	s_mov_b32 s2, exec_lo
	ds_load_b128 v[34:37], v1 offset:944
	s_clause 0x1
	scratch_load_b128 v[38:41], off, off offset:464
	scratch_load_b128 v[42:45], off, off offset:320
	ds_load_b128 v[161:164], v1 offset:960
	scratch_load_b128 v[165:168], off, off offset:480
	s_waitcnt vmcnt(10) lgkmcnt(1)
	v_mul_f64 v[169:170], v[36:37], v[4:5]
	v_mul_f64 v[4:5], v[34:35], v[4:5]
	s_delay_alu instid0(VALU_DEP_2) | instskip(NEXT) | instid1(VALU_DEP_2)
	v_fma_f64 v[175:176], v[34:35], v[2:3], -v[169:170]
	v_fma_f64 v[177:178], v[36:37], v[2:3], v[4:5]
	scratch_load_b128 v[34:37], off, off offset:496
	ds_load_b128 v[2:5], v1 offset:976
	s_waitcnt vmcnt(10) lgkmcnt(1)
	v_mul_f64 v[173:174], v[161:162], v[8:9]
	v_mul_f64 v[8:9], v[163:164], v[8:9]
	ds_load_b128 v[169:172], v1 offset:992
	s_waitcnt vmcnt(9) lgkmcnt(1)
	v_mul_f64 v[179:180], v[2:3], v[12:13]
	v_mul_f64 v[12:13], v[4:5], v[12:13]
	v_fma_f64 v[163:164], v[163:164], v[6:7], v[173:174]
	v_fma_f64 v[161:162], v[161:162], v[6:7], -v[8:9]
	v_add_f64 v[173:174], v[175:176], 0
	v_add_f64 v[175:176], v[177:178], 0
	scratch_load_b128 v[6:9], off, off offset:512
	v_fma_f64 v[179:180], v[4:5], v[10:11], v[179:180]
	v_fma_f64 v[181:182], v[2:3], v[10:11], -v[12:13]
	scratch_load_b128 v[10:13], off, off offset:528
	ds_load_b128 v[2:5], v1 offset:1008
	s_waitcnt vmcnt(10) lgkmcnt(1)
	v_mul_f64 v[177:178], v[169:170], v[16:17]
	v_mul_f64 v[16:17], v[171:172], v[16:17]
	v_add_f64 v[173:174], v[173:174], v[161:162]
	v_add_f64 v[175:176], v[175:176], v[163:164]
	s_waitcnt vmcnt(9) lgkmcnt(0)
	v_mul_f64 v[183:184], v[2:3], v[20:21]
	v_mul_f64 v[20:21], v[4:5], v[20:21]
	ds_load_b128 v[161:164], v1 offset:1024
	v_fma_f64 v[171:172], v[171:172], v[14:15], v[177:178]
	v_fma_f64 v[169:170], v[169:170], v[14:15], -v[16:17]
	scratch_load_b128 v[14:17], off, off offset:544
	v_add_f64 v[173:174], v[173:174], v[181:182]
	v_add_f64 v[175:176], v[175:176], v[179:180]
	v_fma_f64 v[179:180], v[4:5], v[18:19], v[183:184]
	v_fma_f64 v[181:182], v[2:3], v[18:19], -v[20:21]
	scratch_load_b128 v[18:21], off, off offset:560
	ds_load_b128 v[2:5], v1 offset:1040
	s_waitcnt vmcnt(10) lgkmcnt(1)
	v_mul_f64 v[177:178], v[161:162], v[24:25]
	v_mul_f64 v[24:25], v[163:164], v[24:25]
	s_waitcnt vmcnt(9) lgkmcnt(0)
	v_mul_f64 v[183:184], v[2:3], v[28:29]
	v_mul_f64 v[28:29], v[4:5], v[28:29]
	v_add_f64 v[173:174], v[173:174], v[169:170]
	v_add_f64 v[175:176], v[175:176], v[171:172]
	ds_load_b128 v[169:172], v1 offset:1056
	v_fma_f64 v[163:164], v[163:164], v[22:23], v[177:178]
	v_fma_f64 v[161:162], v[161:162], v[22:23], -v[24:25]
	scratch_load_b128 v[22:25], off, off offset:576
	v_add_f64 v[173:174], v[173:174], v[181:182]
	v_add_f64 v[175:176], v[175:176], v[179:180]
	v_fma_f64 v[179:180], v[4:5], v[26:27], v[183:184]
	v_fma_f64 v[181:182], v[2:3], v[26:27], -v[28:29]
	scratch_load_b128 v[26:29], off, off offset:592
	ds_load_b128 v[2:5], v1 offset:1072
	s_waitcnt vmcnt(10) lgkmcnt(1)
	v_mul_f64 v[177:178], v[169:170], v[32:33]
	v_mul_f64 v[32:33], v[171:172], v[32:33]
	s_waitcnt vmcnt(9) lgkmcnt(0)
	v_mul_f64 v[183:184], v[2:3], v[40:41]
	v_mul_f64 v[40:41], v[4:5], v[40:41]
	v_add_f64 v[173:174], v[173:174], v[161:162]
	v_add_f64 v[175:176], v[175:176], v[163:164]
	ds_load_b128 v[161:164], v1 offset:1088
	v_fma_f64 v[171:172], v[171:172], v[30:31], v[177:178]
	v_fma_f64 v[30:31], v[169:170], v[30:31], -v[32:33]
	v_add_f64 v[32:33], v[173:174], v[181:182]
	v_add_f64 v[169:170], v[175:176], v[179:180]
	s_waitcnt vmcnt(7) lgkmcnt(0)
	v_mul_f64 v[173:174], v[161:162], v[167:168]
	v_mul_f64 v[167:168], v[163:164], v[167:168]
	v_fma_f64 v[175:176], v[4:5], v[38:39], v[183:184]
	v_fma_f64 v[38:39], v[2:3], v[38:39], -v[40:41]
	v_add_f64 v[40:41], v[32:33], v[30:31]
	v_add_f64 v[169:170], v[169:170], v[171:172]
	ds_load_b128 v[2:5], v1 offset:1104
	ds_load_b128 v[30:33], v1 offset:1120
	v_fma_f64 v[163:164], v[163:164], v[165:166], v[173:174]
	v_fma_f64 v[161:162], v[161:162], v[165:166], -v[167:168]
	s_waitcnt vmcnt(6) lgkmcnt(1)
	v_mul_f64 v[171:172], v[2:3], v[36:37]
	v_mul_f64 v[36:37], v[4:5], v[36:37]
	v_add_f64 v[38:39], v[40:41], v[38:39]
	v_add_f64 v[40:41], v[169:170], v[175:176]
	s_waitcnt vmcnt(5) lgkmcnt(0)
	v_mul_f64 v[165:166], v[30:31], v[8:9]
	v_mul_f64 v[8:9], v[32:33], v[8:9]
	v_fma_f64 v[167:168], v[4:5], v[34:35], v[171:172]
	v_fma_f64 v[169:170], v[2:3], v[34:35], -v[36:37]
	ds_load_b128 v[2:5], v1 offset:1136
	ds_load_b128 v[34:37], v1 offset:1152
	v_add_f64 v[38:39], v[38:39], v[161:162]
	v_add_f64 v[40:41], v[40:41], v[163:164]
	s_waitcnt vmcnt(4) lgkmcnt(1)
	v_mul_f64 v[161:162], v[2:3], v[12:13]
	v_mul_f64 v[12:13], v[4:5], v[12:13]
	v_fma_f64 v[32:33], v[32:33], v[6:7], v[165:166]
	v_fma_f64 v[6:7], v[30:31], v[6:7], -v[8:9]
	v_add_f64 v[8:9], v[38:39], v[169:170]
	v_add_f64 v[30:31], v[40:41], v[167:168]
	s_waitcnt vmcnt(3) lgkmcnt(0)
	v_mul_f64 v[38:39], v[34:35], v[16:17]
	v_mul_f64 v[16:17], v[36:37], v[16:17]
	v_fma_f64 v[40:41], v[4:5], v[10:11], v[161:162]
	v_fma_f64 v[10:11], v[2:3], v[10:11], -v[12:13]
	v_add_f64 v[12:13], v[8:9], v[6:7]
	v_add_f64 v[30:31], v[30:31], v[32:33]
	ds_load_b128 v[2:5], v1 offset:1168
	ds_load_b128 v[6:9], v1 offset:1184
	v_fma_f64 v[36:37], v[36:37], v[14:15], v[38:39]
	v_fma_f64 v[14:15], v[34:35], v[14:15], -v[16:17]
	s_waitcnt vmcnt(2) lgkmcnt(1)
	v_mul_f64 v[32:33], v[2:3], v[20:21]
	v_mul_f64 v[20:21], v[4:5], v[20:21]
	s_waitcnt vmcnt(1) lgkmcnt(0)
	v_mul_f64 v[16:17], v[6:7], v[24:25]
	v_mul_f64 v[24:25], v[8:9], v[24:25]
	v_add_f64 v[10:11], v[12:13], v[10:11]
	v_add_f64 v[12:13], v[30:31], v[40:41]
	v_fma_f64 v[30:31], v[4:5], v[18:19], v[32:33]
	v_fma_f64 v[18:19], v[2:3], v[18:19], -v[20:21]
	ds_load_b128 v[2:5], v1 offset:1200
	v_fma_f64 v[8:9], v[8:9], v[22:23], v[16:17]
	v_fma_f64 v[6:7], v[6:7], v[22:23], -v[24:25]
	v_add_f64 v[10:11], v[10:11], v[14:15]
	v_add_f64 v[12:13], v[12:13], v[36:37]
	s_waitcnt vmcnt(0) lgkmcnt(0)
	v_mul_f64 v[14:15], v[2:3], v[28:29]
	v_mul_f64 v[20:21], v[4:5], v[28:29]
	s_delay_alu instid0(VALU_DEP_4) | instskip(NEXT) | instid1(VALU_DEP_4)
	v_add_f64 v[10:11], v[10:11], v[18:19]
	v_add_f64 v[12:13], v[12:13], v[30:31]
	s_delay_alu instid0(VALU_DEP_4) | instskip(NEXT) | instid1(VALU_DEP_4)
	v_fma_f64 v[4:5], v[4:5], v[26:27], v[14:15]
	v_fma_f64 v[2:3], v[2:3], v[26:27], -v[20:21]
	s_delay_alu instid0(VALU_DEP_4) | instskip(NEXT) | instid1(VALU_DEP_4)
	v_add_f64 v[6:7], v[10:11], v[6:7]
	v_add_f64 v[8:9], v[12:13], v[8:9]
	s_delay_alu instid0(VALU_DEP_2) | instskip(NEXT) | instid1(VALU_DEP_2)
	v_add_f64 v[2:3], v[6:7], v[2:3]
	v_add_f64 v[4:5], v[8:9], v[4:5]
	s_delay_alu instid0(VALU_DEP_2) | instskip(NEXT) | instid1(VALU_DEP_2)
	v_add_f64 v[2:3], v[42:43], -v[2:3]
	v_add_f64 v[4:5], v[44:45], -v[4:5]
	scratch_store_b128 off, v[2:5], off offset:320
	v_cmpx_lt_u32_e32 19, v122
	s_cbranch_execz .LBB37_203
; %bb.202:
	scratch_load_b128 v[5:8], v142, off
	v_mov_b32_e32 v2, v1
	v_mov_b32_e32 v3, v1
	;; [unrolled: 1-line block ×3, first 2 shown]
	scratch_store_b128 off, v[1:4], off offset:304
	s_waitcnt vmcnt(0)
	ds_store_b128 v160, v[5:8]
.LBB37_203:
	s_or_b32 exec_lo, exec_lo, s2
	s_waitcnt lgkmcnt(0)
	s_waitcnt_vscnt null, 0x0
	s_barrier
	buffer_gl0_inv
	s_clause 0x8
	scratch_load_b128 v[2:5], off, off offset:320
	scratch_load_b128 v[6:9], off, off offset:336
	;; [unrolled: 1-line block ×9, first 2 shown]
	ds_load_b128 v[38:41], v1 offset:928
	ds_load_b128 v[42:45], v1 offset:944
	s_clause 0x1
	scratch_load_b128 v[161:164], off, off offset:304
	scratch_load_b128 v[165:168], off, off offset:464
	s_mov_b32 s2, exec_lo
	s_waitcnt vmcnt(10) lgkmcnt(1)
	v_mul_f64 v[169:170], v[40:41], v[4:5]
	v_mul_f64 v[4:5], v[38:39], v[4:5]
	s_waitcnt vmcnt(9) lgkmcnt(0)
	v_mul_f64 v[173:174], v[42:43], v[8:9]
	v_mul_f64 v[8:9], v[44:45], v[8:9]
	s_delay_alu instid0(VALU_DEP_4) | instskip(NEXT) | instid1(VALU_DEP_4)
	v_fma_f64 v[175:176], v[38:39], v[2:3], -v[169:170]
	v_fma_f64 v[177:178], v[40:41], v[2:3], v[4:5]
	ds_load_b128 v[2:5], v1 offset:960
	ds_load_b128 v[169:172], v1 offset:976
	scratch_load_b128 v[38:41], off, off offset:480
	v_fma_f64 v[44:45], v[44:45], v[6:7], v[173:174]
	v_fma_f64 v[42:43], v[42:43], v[6:7], -v[8:9]
	scratch_load_b128 v[6:9], off, off offset:496
	s_waitcnt vmcnt(10) lgkmcnt(1)
	v_mul_f64 v[179:180], v[2:3], v[12:13]
	v_mul_f64 v[12:13], v[4:5], v[12:13]
	v_add_f64 v[173:174], v[175:176], 0
	v_add_f64 v[175:176], v[177:178], 0
	s_waitcnt vmcnt(9) lgkmcnt(0)
	v_mul_f64 v[177:178], v[169:170], v[16:17]
	v_mul_f64 v[16:17], v[171:172], v[16:17]
	v_fma_f64 v[179:180], v[4:5], v[10:11], v[179:180]
	v_fma_f64 v[181:182], v[2:3], v[10:11], -v[12:13]
	ds_load_b128 v[2:5], v1 offset:992
	scratch_load_b128 v[10:13], off, off offset:512
	v_add_f64 v[173:174], v[173:174], v[42:43]
	v_add_f64 v[175:176], v[175:176], v[44:45]
	ds_load_b128 v[42:45], v1 offset:1008
	v_fma_f64 v[171:172], v[171:172], v[14:15], v[177:178]
	v_fma_f64 v[169:170], v[169:170], v[14:15], -v[16:17]
	scratch_load_b128 v[14:17], off, off offset:528
	s_waitcnt vmcnt(10) lgkmcnt(1)
	v_mul_f64 v[183:184], v[2:3], v[20:21]
	v_mul_f64 v[20:21], v[4:5], v[20:21]
	s_waitcnt vmcnt(9) lgkmcnt(0)
	v_mul_f64 v[177:178], v[42:43], v[24:25]
	v_mul_f64 v[24:25], v[44:45], v[24:25]
	v_add_f64 v[173:174], v[173:174], v[181:182]
	v_add_f64 v[175:176], v[175:176], v[179:180]
	v_fma_f64 v[179:180], v[4:5], v[18:19], v[183:184]
	v_fma_f64 v[181:182], v[2:3], v[18:19], -v[20:21]
	ds_load_b128 v[2:5], v1 offset:1024
	scratch_load_b128 v[18:21], off, off offset:544
	v_fma_f64 v[44:45], v[44:45], v[22:23], v[177:178]
	v_fma_f64 v[42:43], v[42:43], v[22:23], -v[24:25]
	scratch_load_b128 v[22:25], off, off offset:560
	v_add_f64 v[173:174], v[173:174], v[169:170]
	v_add_f64 v[175:176], v[175:176], v[171:172]
	ds_load_b128 v[169:172], v1 offset:1040
	s_waitcnt vmcnt(10) lgkmcnt(1)
	v_mul_f64 v[183:184], v[2:3], v[28:29]
	v_mul_f64 v[28:29], v[4:5], v[28:29]
	s_waitcnt vmcnt(9) lgkmcnt(0)
	v_mul_f64 v[177:178], v[169:170], v[32:33]
	v_mul_f64 v[32:33], v[171:172], v[32:33]
	v_add_f64 v[173:174], v[173:174], v[181:182]
	v_add_f64 v[175:176], v[175:176], v[179:180]
	v_fma_f64 v[179:180], v[4:5], v[26:27], v[183:184]
	v_fma_f64 v[181:182], v[2:3], v[26:27], -v[28:29]
	ds_load_b128 v[2:5], v1 offset:1056
	scratch_load_b128 v[26:29], off, off offset:576
	v_fma_f64 v[171:172], v[171:172], v[30:31], v[177:178]
	v_fma_f64 v[169:170], v[169:170], v[30:31], -v[32:33]
	scratch_load_b128 v[30:33], off, off offset:592
	v_add_f64 v[173:174], v[173:174], v[42:43]
	v_add_f64 v[175:176], v[175:176], v[44:45]
	ds_load_b128 v[42:45], v1 offset:1072
	s_waitcnt vmcnt(10) lgkmcnt(1)
	v_mul_f64 v[183:184], v[2:3], v[36:37]
	v_mul_f64 v[36:37], v[4:5], v[36:37]
	s_waitcnt vmcnt(8) lgkmcnt(0)
	v_mul_f64 v[177:178], v[42:43], v[167:168]
	v_mul_f64 v[167:168], v[44:45], v[167:168]
	v_add_f64 v[173:174], v[173:174], v[181:182]
	v_add_f64 v[175:176], v[175:176], v[179:180]
	v_fma_f64 v[179:180], v[4:5], v[34:35], v[183:184]
	v_fma_f64 v[181:182], v[2:3], v[34:35], -v[36:37]
	ds_load_b128 v[2:5], v1 offset:1088
	ds_load_b128 v[34:37], v1 offset:1104
	v_fma_f64 v[44:45], v[44:45], v[165:166], v[177:178]
	v_fma_f64 v[42:43], v[42:43], v[165:166], -v[167:168]
	v_add_f64 v[169:170], v[173:174], v[169:170]
	v_add_f64 v[171:172], v[175:176], v[171:172]
	s_waitcnt vmcnt(7) lgkmcnt(1)
	v_mul_f64 v[173:174], v[2:3], v[40:41]
	v_mul_f64 v[40:41], v[4:5], v[40:41]
	s_delay_alu instid0(VALU_DEP_4) | instskip(NEXT) | instid1(VALU_DEP_4)
	v_add_f64 v[165:166], v[169:170], v[181:182]
	v_add_f64 v[167:168], v[171:172], v[179:180]
	s_waitcnt vmcnt(6) lgkmcnt(0)
	v_mul_f64 v[169:170], v[34:35], v[8:9]
	v_mul_f64 v[8:9], v[36:37], v[8:9]
	v_fma_f64 v[171:172], v[4:5], v[38:39], v[173:174]
	v_fma_f64 v[173:174], v[2:3], v[38:39], -v[40:41]
	ds_load_b128 v[2:5], v1 offset:1120
	ds_load_b128 v[38:41], v1 offset:1136
	v_add_f64 v[42:43], v[165:166], v[42:43]
	v_add_f64 v[44:45], v[167:168], v[44:45]
	v_fma_f64 v[36:37], v[36:37], v[6:7], v[169:170]
	s_waitcnt vmcnt(5) lgkmcnt(1)
	v_mul_f64 v[165:166], v[2:3], v[12:13]
	v_mul_f64 v[12:13], v[4:5], v[12:13]
	v_fma_f64 v[6:7], v[34:35], v[6:7], -v[8:9]
	v_add_f64 v[8:9], v[42:43], v[173:174]
	v_add_f64 v[34:35], v[44:45], v[171:172]
	s_waitcnt vmcnt(4) lgkmcnt(0)
	v_mul_f64 v[42:43], v[38:39], v[16:17]
	v_mul_f64 v[16:17], v[40:41], v[16:17]
	v_fma_f64 v[44:45], v[4:5], v[10:11], v[165:166]
	v_fma_f64 v[10:11], v[2:3], v[10:11], -v[12:13]
	v_add_f64 v[12:13], v[8:9], v[6:7]
	v_add_f64 v[34:35], v[34:35], v[36:37]
	ds_load_b128 v[2:5], v1 offset:1152
	ds_load_b128 v[6:9], v1 offset:1168
	v_fma_f64 v[40:41], v[40:41], v[14:15], v[42:43]
	v_fma_f64 v[14:15], v[38:39], v[14:15], -v[16:17]
	s_waitcnt vmcnt(3) lgkmcnt(1)
	v_mul_f64 v[36:37], v[2:3], v[20:21]
	v_mul_f64 v[20:21], v[4:5], v[20:21]
	s_waitcnt vmcnt(2) lgkmcnt(0)
	v_mul_f64 v[16:17], v[6:7], v[24:25]
	v_mul_f64 v[24:25], v[8:9], v[24:25]
	v_add_f64 v[10:11], v[12:13], v[10:11]
	v_add_f64 v[12:13], v[34:35], v[44:45]
	v_fma_f64 v[34:35], v[4:5], v[18:19], v[36:37]
	v_fma_f64 v[18:19], v[2:3], v[18:19], -v[20:21]
	v_fma_f64 v[8:9], v[8:9], v[22:23], v[16:17]
	v_fma_f64 v[6:7], v[6:7], v[22:23], -v[24:25]
	v_add_f64 v[14:15], v[10:11], v[14:15]
	v_add_f64 v[20:21], v[12:13], v[40:41]
	ds_load_b128 v[2:5], v1 offset:1184
	ds_load_b128 v[10:13], v1 offset:1200
	s_waitcnt vmcnt(1) lgkmcnt(1)
	v_mul_f64 v[36:37], v[2:3], v[28:29]
	v_mul_f64 v[28:29], v[4:5], v[28:29]
	v_add_f64 v[14:15], v[14:15], v[18:19]
	v_add_f64 v[16:17], v[20:21], v[34:35]
	s_waitcnt vmcnt(0) lgkmcnt(0)
	v_mul_f64 v[18:19], v[10:11], v[32:33]
	v_mul_f64 v[20:21], v[12:13], v[32:33]
	v_fma_f64 v[4:5], v[4:5], v[26:27], v[36:37]
	v_fma_f64 v[1:2], v[2:3], v[26:27], -v[28:29]
	v_add_f64 v[6:7], v[14:15], v[6:7]
	v_add_f64 v[8:9], v[16:17], v[8:9]
	v_fma_f64 v[12:13], v[12:13], v[30:31], v[18:19]
	v_fma_f64 v[10:11], v[10:11], v[30:31], -v[20:21]
	s_delay_alu instid0(VALU_DEP_4) | instskip(NEXT) | instid1(VALU_DEP_4)
	v_add_f64 v[1:2], v[6:7], v[1:2]
	v_add_f64 v[3:4], v[8:9], v[4:5]
	s_delay_alu instid0(VALU_DEP_2) | instskip(NEXT) | instid1(VALU_DEP_2)
	v_add_f64 v[1:2], v[1:2], v[10:11]
	v_add_f64 v[3:4], v[3:4], v[12:13]
	s_delay_alu instid0(VALU_DEP_2) | instskip(NEXT) | instid1(VALU_DEP_2)
	v_add_f64 v[1:2], v[161:162], -v[1:2]
	v_add_f64 v[3:4], v[163:164], -v[3:4]
	scratch_store_b128 off, v[1:4], off offset:304
	v_cmpx_lt_u32_e32 18, v122
	s_cbranch_execz .LBB37_205
; %bb.204:
	scratch_load_b128 v[1:4], v143, off
	v_mov_b32_e32 v5, 0
	s_delay_alu instid0(VALU_DEP_1)
	v_mov_b32_e32 v6, v5
	v_mov_b32_e32 v7, v5
	;; [unrolled: 1-line block ×3, first 2 shown]
	scratch_store_b128 off, v[5:8], off offset:288
	s_waitcnt vmcnt(0)
	ds_store_b128 v160, v[1:4]
.LBB37_205:
	s_or_b32 exec_lo, exec_lo, s2
	s_waitcnt lgkmcnt(0)
	s_waitcnt_vscnt null, 0x0
	s_barrier
	buffer_gl0_inv
	s_clause 0x7
	scratch_load_b128 v[2:5], off, off offset:304
	scratch_load_b128 v[6:9], off, off offset:320
	;; [unrolled: 1-line block ×8, first 2 shown]
	v_mov_b32_e32 v1, 0
	s_mov_b32 s2, exec_lo
	ds_load_b128 v[34:37], v1 offset:912
	s_clause 0x1
	scratch_load_b128 v[38:41], off, off offset:432
	scratch_load_b128 v[42:45], off, off offset:288
	ds_load_b128 v[161:164], v1 offset:928
	scratch_load_b128 v[165:168], off, off offset:448
	s_waitcnt vmcnt(10) lgkmcnt(1)
	v_mul_f64 v[169:170], v[36:37], v[4:5]
	v_mul_f64 v[4:5], v[34:35], v[4:5]
	s_delay_alu instid0(VALU_DEP_2) | instskip(NEXT) | instid1(VALU_DEP_2)
	v_fma_f64 v[175:176], v[34:35], v[2:3], -v[169:170]
	v_fma_f64 v[177:178], v[36:37], v[2:3], v[4:5]
	scratch_load_b128 v[34:37], off, off offset:464
	ds_load_b128 v[2:5], v1 offset:944
	s_waitcnt vmcnt(10) lgkmcnt(1)
	v_mul_f64 v[173:174], v[161:162], v[8:9]
	v_mul_f64 v[8:9], v[163:164], v[8:9]
	ds_load_b128 v[169:172], v1 offset:960
	s_waitcnt vmcnt(9) lgkmcnt(1)
	v_mul_f64 v[179:180], v[2:3], v[12:13]
	v_mul_f64 v[12:13], v[4:5], v[12:13]
	v_fma_f64 v[163:164], v[163:164], v[6:7], v[173:174]
	v_fma_f64 v[161:162], v[161:162], v[6:7], -v[8:9]
	v_add_f64 v[173:174], v[175:176], 0
	v_add_f64 v[175:176], v[177:178], 0
	scratch_load_b128 v[6:9], off, off offset:480
	v_fma_f64 v[179:180], v[4:5], v[10:11], v[179:180]
	v_fma_f64 v[181:182], v[2:3], v[10:11], -v[12:13]
	scratch_load_b128 v[10:13], off, off offset:496
	ds_load_b128 v[2:5], v1 offset:976
	s_waitcnt vmcnt(10) lgkmcnt(1)
	v_mul_f64 v[177:178], v[169:170], v[16:17]
	v_mul_f64 v[16:17], v[171:172], v[16:17]
	v_add_f64 v[173:174], v[173:174], v[161:162]
	v_add_f64 v[175:176], v[175:176], v[163:164]
	s_waitcnt vmcnt(9) lgkmcnt(0)
	v_mul_f64 v[183:184], v[2:3], v[20:21]
	v_mul_f64 v[20:21], v[4:5], v[20:21]
	ds_load_b128 v[161:164], v1 offset:992
	v_fma_f64 v[171:172], v[171:172], v[14:15], v[177:178]
	v_fma_f64 v[169:170], v[169:170], v[14:15], -v[16:17]
	scratch_load_b128 v[14:17], off, off offset:512
	v_add_f64 v[173:174], v[173:174], v[181:182]
	v_add_f64 v[175:176], v[175:176], v[179:180]
	v_fma_f64 v[179:180], v[4:5], v[18:19], v[183:184]
	v_fma_f64 v[181:182], v[2:3], v[18:19], -v[20:21]
	scratch_load_b128 v[18:21], off, off offset:528
	ds_load_b128 v[2:5], v1 offset:1008
	s_waitcnt vmcnt(10) lgkmcnt(1)
	v_mul_f64 v[177:178], v[161:162], v[24:25]
	v_mul_f64 v[24:25], v[163:164], v[24:25]
	s_waitcnt vmcnt(9) lgkmcnt(0)
	v_mul_f64 v[183:184], v[2:3], v[28:29]
	v_mul_f64 v[28:29], v[4:5], v[28:29]
	v_add_f64 v[173:174], v[173:174], v[169:170]
	v_add_f64 v[175:176], v[175:176], v[171:172]
	ds_load_b128 v[169:172], v1 offset:1024
	v_fma_f64 v[163:164], v[163:164], v[22:23], v[177:178]
	v_fma_f64 v[161:162], v[161:162], v[22:23], -v[24:25]
	scratch_load_b128 v[22:25], off, off offset:544
	v_add_f64 v[173:174], v[173:174], v[181:182]
	v_add_f64 v[175:176], v[175:176], v[179:180]
	v_fma_f64 v[179:180], v[4:5], v[26:27], v[183:184]
	v_fma_f64 v[181:182], v[2:3], v[26:27], -v[28:29]
	scratch_load_b128 v[26:29], off, off offset:560
	ds_load_b128 v[2:5], v1 offset:1040
	s_waitcnt vmcnt(10) lgkmcnt(1)
	v_mul_f64 v[177:178], v[169:170], v[32:33]
	v_mul_f64 v[32:33], v[171:172], v[32:33]
	s_waitcnt vmcnt(9) lgkmcnt(0)
	v_mul_f64 v[183:184], v[2:3], v[40:41]
	v_mul_f64 v[40:41], v[4:5], v[40:41]
	v_add_f64 v[173:174], v[173:174], v[161:162]
	v_add_f64 v[175:176], v[175:176], v[163:164]
	ds_load_b128 v[161:164], v1 offset:1056
	v_fma_f64 v[171:172], v[171:172], v[30:31], v[177:178]
	v_fma_f64 v[169:170], v[169:170], v[30:31], -v[32:33]
	scratch_load_b128 v[30:33], off, off offset:576
	v_add_f64 v[173:174], v[173:174], v[181:182]
	v_add_f64 v[175:176], v[175:176], v[179:180]
	v_fma_f64 v[181:182], v[4:5], v[38:39], v[183:184]
	v_fma_f64 v[183:184], v[2:3], v[38:39], -v[40:41]
	scratch_load_b128 v[38:41], off, off offset:592
	ds_load_b128 v[2:5], v1 offset:1072
	s_waitcnt vmcnt(9) lgkmcnt(1)
	v_mul_f64 v[177:178], v[161:162], v[167:168]
	v_mul_f64 v[179:180], v[163:164], v[167:168]
	v_add_f64 v[173:174], v[173:174], v[169:170]
	v_add_f64 v[171:172], v[175:176], v[171:172]
	ds_load_b128 v[167:170], v1 offset:1088
	v_fma_f64 v[163:164], v[163:164], v[165:166], v[177:178]
	v_fma_f64 v[161:162], v[161:162], v[165:166], -v[179:180]
	s_waitcnt vmcnt(8) lgkmcnt(1)
	v_mul_f64 v[175:176], v[2:3], v[36:37]
	v_mul_f64 v[36:37], v[4:5], v[36:37]
	v_add_f64 v[165:166], v[173:174], v[183:184]
	v_add_f64 v[171:172], v[171:172], v[181:182]
	s_delay_alu instid0(VALU_DEP_4) | instskip(NEXT) | instid1(VALU_DEP_4)
	v_fma_f64 v[175:176], v[4:5], v[34:35], v[175:176]
	v_fma_f64 v[177:178], v[2:3], v[34:35], -v[36:37]
	ds_load_b128 v[2:5], v1 offset:1104
	ds_load_b128 v[34:37], v1 offset:1120
	s_waitcnt vmcnt(7) lgkmcnt(2)
	v_mul_f64 v[173:174], v[167:168], v[8:9]
	v_mul_f64 v[8:9], v[169:170], v[8:9]
	v_add_f64 v[161:162], v[165:166], v[161:162]
	v_add_f64 v[163:164], v[171:172], v[163:164]
	s_waitcnt vmcnt(6) lgkmcnt(1)
	v_mul_f64 v[165:166], v[2:3], v[12:13]
	v_mul_f64 v[12:13], v[4:5], v[12:13]
	v_fma_f64 v[169:170], v[169:170], v[6:7], v[173:174]
	v_fma_f64 v[6:7], v[167:168], v[6:7], -v[8:9]
	v_add_f64 v[8:9], v[161:162], v[177:178]
	v_add_f64 v[161:162], v[163:164], v[175:176]
	s_waitcnt vmcnt(5) lgkmcnt(0)
	v_mul_f64 v[163:164], v[34:35], v[16:17]
	v_mul_f64 v[16:17], v[36:37], v[16:17]
	v_fma_f64 v[165:166], v[4:5], v[10:11], v[165:166]
	v_fma_f64 v[10:11], v[2:3], v[10:11], -v[12:13]
	v_add_f64 v[12:13], v[8:9], v[6:7]
	v_add_f64 v[161:162], v[161:162], v[169:170]
	ds_load_b128 v[2:5], v1 offset:1136
	ds_load_b128 v[6:9], v1 offset:1152
	v_fma_f64 v[36:37], v[36:37], v[14:15], v[163:164]
	v_fma_f64 v[14:15], v[34:35], v[14:15], -v[16:17]
	s_waitcnt vmcnt(4) lgkmcnt(1)
	v_mul_f64 v[167:168], v[2:3], v[20:21]
	v_mul_f64 v[20:21], v[4:5], v[20:21]
	s_waitcnt vmcnt(3) lgkmcnt(0)
	v_mul_f64 v[16:17], v[6:7], v[24:25]
	v_mul_f64 v[24:25], v[8:9], v[24:25]
	v_add_f64 v[10:11], v[12:13], v[10:11]
	v_add_f64 v[12:13], v[161:162], v[165:166]
	v_fma_f64 v[34:35], v[4:5], v[18:19], v[167:168]
	v_fma_f64 v[18:19], v[2:3], v[18:19], -v[20:21]
	v_fma_f64 v[8:9], v[8:9], v[22:23], v[16:17]
	v_fma_f64 v[6:7], v[6:7], v[22:23], -v[24:25]
	v_add_f64 v[14:15], v[10:11], v[14:15]
	v_add_f64 v[20:21], v[12:13], v[36:37]
	ds_load_b128 v[2:5], v1 offset:1168
	ds_load_b128 v[10:13], v1 offset:1184
	s_waitcnt vmcnt(2) lgkmcnt(1)
	v_mul_f64 v[36:37], v[2:3], v[28:29]
	v_mul_f64 v[28:29], v[4:5], v[28:29]
	v_add_f64 v[14:15], v[14:15], v[18:19]
	v_add_f64 v[16:17], v[20:21], v[34:35]
	s_waitcnt vmcnt(1) lgkmcnt(0)
	v_mul_f64 v[18:19], v[10:11], v[32:33]
	v_mul_f64 v[20:21], v[12:13], v[32:33]
	v_fma_f64 v[22:23], v[4:5], v[26:27], v[36:37]
	v_fma_f64 v[24:25], v[2:3], v[26:27], -v[28:29]
	ds_load_b128 v[2:5], v1 offset:1200
	v_add_f64 v[6:7], v[14:15], v[6:7]
	v_add_f64 v[8:9], v[16:17], v[8:9]
	v_fma_f64 v[12:13], v[12:13], v[30:31], v[18:19]
	v_fma_f64 v[10:11], v[10:11], v[30:31], -v[20:21]
	s_waitcnt vmcnt(0) lgkmcnt(0)
	v_mul_f64 v[14:15], v[2:3], v[40:41]
	v_mul_f64 v[16:17], v[4:5], v[40:41]
	v_add_f64 v[6:7], v[6:7], v[24:25]
	v_add_f64 v[8:9], v[8:9], v[22:23]
	s_delay_alu instid0(VALU_DEP_4) | instskip(NEXT) | instid1(VALU_DEP_4)
	v_fma_f64 v[4:5], v[4:5], v[38:39], v[14:15]
	v_fma_f64 v[2:3], v[2:3], v[38:39], -v[16:17]
	s_delay_alu instid0(VALU_DEP_4) | instskip(NEXT) | instid1(VALU_DEP_4)
	v_add_f64 v[6:7], v[6:7], v[10:11]
	v_add_f64 v[8:9], v[8:9], v[12:13]
	s_delay_alu instid0(VALU_DEP_2) | instskip(NEXT) | instid1(VALU_DEP_2)
	v_add_f64 v[2:3], v[6:7], v[2:3]
	v_add_f64 v[4:5], v[8:9], v[4:5]
	s_delay_alu instid0(VALU_DEP_2) | instskip(NEXT) | instid1(VALU_DEP_2)
	v_add_f64 v[2:3], v[42:43], -v[2:3]
	v_add_f64 v[4:5], v[44:45], -v[4:5]
	scratch_store_b128 off, v[2:5], off offset:288
	v_cmpx_lt_u32_e32 17, v122
	s_cbranch_execz .LBB37_207
; %bb.206:
	scratch_load_b128 v[5:8], v145, off
	v_mov_b32_e32 v2, v1
	v_mov_b32_e32 v3, v1
	v_mov_b32_e32 v4, v1
	scratch_store_b128 off, v[1:4], off offset:272
	s_waitcnt vmcnt(0)
	ds_store_b128 v160, v[5:8]
.LBB37_207:
	s_or_b32 exec_lo, exec_lo, s2
	s_waitcnt lgkmcnt(0)
	s_waitcnt_vscnt null, 0x0
	s_barrier
	buffer_gl0_inv
	s_clause 0x8
	scratch_load_b128 v[2:5], off, off offset:288
	scratch_load_b128 v[6:9], off, off offset:304
	;; [unrolled: 1-line block ×9, first 2 shown]
	ds_load_b128 v[38:41], v1 offset:896
	ds_load_b128 v[42:45], v1 offset:912
	s_clause 0x1
	scratch_load_b128 v[161:164], off, off offset:272
	scratch_load_b128 v[165:168], off, off offset:432
	s_mov_b32 s2, exec_lo
	s_waitcnt vmcnt(10) lgkmcnt(1)
	v_mul_f64 v[169:170], v[40:41], v[4:5]
	v_mul_f64 v[4:5], v[38:39], v[4:5]
	s_waitcnt vmcnt(9) lgkmcnt(0)
	v_mul_f64 v[173:174], v[42:43], v[8:9]
	v_mul_f64 v[8:9], v[44:45], v[8:9]
	s_delay_alu instid0(VALU_DEP_4) | instskip(NEXT) | instid1(VALU_DEP_4)
	v_fma_f64 v[175:176], v[38:39], v[2:3], -v[169:170]
	v_fma_f64 v[177:178], v[40:41], v[2:3], v[4:5]
	ds_load_b128 v[2:5], v1 offset:928
	ds_load_b128 v[169:172], v1 offset:944
	scratch_load_b128 v[38:41], off, off offset:448
	v_fma_f64 v[44:45], v[44:45], v[6:7], v[173:174]
	v_fma_f64 v[42:43], v[42:43], v[6:7], -v[8:9]
	scratch_load_b128 v[6:9], off, off offset:464
	s_waitcnt vmcnt(10) lgkmcnt(1)
	v_mul_f64 v[179:180], v[2:3], v[12:13]
	v_mul_f64 v[12:13], v[4:5], v[12:13]
	v_add_f64 v[173:174], v[175:176], 0
	v_add_f64 v[175:176], v[177:178], 0
	s_waitcnt vmcnt(9) lgkmcnt(0)
	v_mul_f64 v[177:178], v[169:170], v[16:17]
	v_mul_f64 v[16:17], v[171:172], v[16:17]
	v_fma_f64 v[179:180], v[4:5], v[10:11], v[179:180]
	v_fma_f64 v[181:182], v[2:3], v[10:11], -v[12:13]
	ds_load_b128 v[2:5], v1 offset:960
	scratch_load_b128 v[10:13], off, off offset:480
	v_add_f64 v[173:174], v[173:174], v[42:43]
	v_add_f64 v[175:176], v[175:176], v[44:45]
	ds_load_b128 v[42:45], v1 offset:976
	v_fma_f64 v[171:172], v[171:172], v[14:15], v[177:178]
	v_fma_f64 v[169:170], v[169:170], v[14:15], -v[16:17]
	scratch_load_b128 v[14:17], off, off offset:496
	s_waitcnt vmcnt(10) lgkmcnt(1)
	v_mul_f64 v[183:184], v[2:3], v[20:21]
	v_mul_f64 v[20:21], v[4:5], v[20:21]
	s_waitcnt vmcnt(9) lgkmcnt(0)
	v_mul_f64 v[177:178], v[42:43], v[24:25]
	v_mul_f64 v[24:25], v[44:45], v[24:25]
	v_add_f64 v[173:174], v[173:174], v[181:182]
	v_add_f64 v[175:176], v[175:176], v[179:180]
	v_fma_f64 v[179:180], v[4:5], v[18:19], v[183:184]
	v_fma_f64 v[181:182], v[2:3], v[18:19], -v[20:21]
	ds_load_b128 v[2:5], v1 offset:992
	scratch_load_b128 v[18:21], off, off offset:512
	v_fma_f64 v[44:45], v[44:45], v[22:23], v[177:178]
	v_fma_f64 v[42:43], v[42:43], v[22:23], -v[24:25]
	scratch_load_b128 v[22:25], off, off offset:528
	v_add_f64 v[173:174], v[173:174], v[169:170]
	v_add_f64 v[175:176], v[175:176], v[171:172]
	ds_load_b128 v[169:172], v1 offset:1008
	s_waitcnt vmcnt(10) lgkmcnt(1)
	v_mul_f64 v[183:184], v[2:3], v[28:29]
	v_mul_f64 v[28:29], v[4:5], v[28:29]
	s_waitcnt vmcnt(9) lgkmcnt(0)
	v_mul_f64 v[177:178], v[169:170], v[32:33]
	v_mul_f64 v[32:33], v[171:172], v[32:33]
	v_add_f64 v[173:174], v[173:174], v[181:182]
	v_add_f64 v[175:176], v[175:176], v[179:180]
	v_fma_f64 v[179:180], v[4:5], v[26:27], v[183:184]
	v_fma_f64 v[181:182], v[2:3], v[26:27], -v[28:29]
	ds_load_b128 v[2:5], v1 offset:1024
	scratch_load_b128 v[26:29], off, off offset:544
	v_fma_f64 v[171:172], v[171:172], v[30:31], v[177:178]
	v_fma_f64 v[169:170], v[169:170], v[30:31], -v[32:33]
	scratch_load_b128 v[30:33], off, off offset:560
	v_add_f64 v[173:174], v[173:174], v[42:43]
	v_add_f64 v[175:176], v[175:176], v[44:45]
	ds_load_b128 v[42:45], v1 offset:1040
	s_waitcnt vmcnt(10) lgkmcnt(1)
	v_mul_f64 v[183:184], v[2:3], v[36:37]
	v_mul_f64 v[36:37], v[4:5], v[36:37]
	s_waitcnt vmcnt(8) lgkmcnt(0)
	v_mul_f64 v[177:178], v[42:43], v[167:168]
	v_add_f64 v[173:174], v[173:174], v[181:182]
	v_add_f64 v[175:176], v[175:176], v[179:180]
	v_mul_f64 v[179:180], v[44:45], v[167:168]
	v_fma_f64 v[181:182], v[4:5], v[34:35], v[183:184]
	v_fma_f64 v[183:184], v[2:3], v[34:35], -v[36:37]
	ds_load_b128 v[2:5], v1 offset:1056
	scratch_load_b128 v[34:37], off, off offset:576
	v_fma_f64 v[44:45], v[44:45], v[165:166], v[177:178]
	v_add_f64 v[173:174], v[173:174], v[169:170]
	v_add_f64 v[171:172], v[175:176], v[171:172]
	ds_load_b128 v[167:170], v1 offset:1072
	v_fma_f64 v[165:166], v[42:43], v[165:166], -v[179:180]
	s_waitcnt vmcnt(8) lgkmcnt(1)
	v_mul_f64 v[175:176], v[2:3], v[40:41]
	v_mul_f64 v[185:186], v[4:5], v[40:41]
	scratch_load_b128 v[40:43], off, off offset:592
	s_waitcnt vmcnt(8) lgkmcnt(0)
	v_mul_f64 v[177:178], v[167:168], v[8:9]
	v_mul_f64 v[8:9], v[169:170], v[8:9]
	v_add_f64 v[173:174], v[173:174], v[183:184]
	v_add_f64 v[171:172], v[171:172], v[181:182]
	v_fma_f64 v[175:176], v[4:5], v[38:39], v[175:176]
	v_fma_f64 v[38:39], v[2:3], v[38:39], -v[185:186]
	v_fma_f64 v[169:170], v[169:170], v[6:7], v[177:178]
	v_fma_f64 v[6:7], v[167:168], v[6:7], -v[8:9]
	v_add_f64 v[165:166], v[173:174], v[165:166]
	v_add_f64 v[44:45], v[171:172], v[44:45]
	ds_load_b128 v[2:5], v1 offset:1088
	ds_load_b128 v[171:174], v1 offset:1104
	s_waitcnt vmcnt(7) lgkmcnt(1)
	v_mul_f64 v[179:180], v[2:3], v[12:13]
	v_mul_f64 v[12:13], v[4:5], v[12:13]
	v_add_f64 v[8:9], v[165:166], v[38:39]
	v_add_f64 v[38:39], v[44:45], v[175:176]
	s_waitcnt vmcnt(6) lgkmcnt(0)
	v_mul_f64 v[44:45], v[171:172], v[16:17]
	v_mul_f64 v[16:17], v[173:174], v[16:17]
	v_fma_f64 v[165:166], v[4:5], v[10:11], v[179:180]
	v_fma_f64 v[10:11], v[2:3], v[10:11], -v[12:13]
	v_add_f64 v[12:13], v[8:9], v[6:7]
	v_add_f64 v[38:39], v[38:39], v[169:170]
	ds_load_b128 v[2:5], v1 offset:1120
	ds_load_b128 v[6:9], v1 offset:1136
	v_fma_f64 v[44:45], v[173:174], v[14:15], v[44:45]
	v_fma_f64 v[14:15], v[171:172], v[14:15], -v[16:17]
	s_waitcnt vmcnt(5) lgkmcnt(1)
	v_mul_f64 v[167:168], v[2:3], v[20:21]
	v_mul_f64 v[20:21], v[4:5], v[20:21]
	s_waitcnt vmcnt(4) lgkmcnt(0)
	v_mul_f64 v[16:17], v[6:7], v[24:25]
	v_mul_f64 v[24:25], v[8:9], v[24:25]
	v_add_f64 v[10:11], v[12:13], v[10:11]
	v_add_f64 v[12:13], v[38:39], v[165:166]
	v_fma_f64 v[38:39], v[4:5], v[18:19], v[167:168]
	v_fma_f64 v[18:19], v[2:3], v[18:19], -v[20:21]
	v_fma_f64 v[8:9], v[8:9], v[22:23], v[16:17]
	v_fma_f64 v[6:7], v[6:7], v[22:23], -v[24:25]
	v_add_f64 v[14:15], v[10:11], v[14:15]
	v_add_f64 v[20:21], v[12:13], v[44:45]
	ds_load_b128 v[2:5], v1 offset:1152
	ds_load_b128 v[10:13], v1 offset:1168
	s_waitcnt vmcnt(3) lgkmcnt(1)
	v_mul_f64 v[44:45], v[2:3], v[28:29]
	v_mul_f64 v[28:29], v[4:5], v[28:29]
	v_add_f64 v[14:15], v[14:15], v[18:19]
	v_add_f64 v[16:17], v[20:21], v[38:39]
	s_waitcnt vmcnt(2) lgkmcnt(0)
	v_mul_f64 v[18:19], v[10:11], v[32:33]
	v_mul_f64 v[20:21], v[12:13], v[32:33]
	v_fma_f64 v[22:23], v[4:5], v[26:27], v[44:45]
	v_fma_f64 v[24:25], v[2:3], v[26:27], -v[28:29]
	v_add_f64 v[14:15], v[14:15], v[6:7]
	v_add_f64 v[16:17], v[16:17], v[8:9]
	ds_load_b128 v[2:5], v1 offset:1184
	ds_load_b128 v[6:9], v1 offset:1200
	v_fma_f64 v[12:13], v[12:13], v[30:31], v[18:19]
	v_fma_f64 v[10:11], v[10:11], v[30:31], -v[20:21]
	s_waitcnt vmcnt(1) lgkmcnt(1)
	v_mul_f64 v[26:27], v[2:3], v[36:37]
	v_mul_f64 v[28:29], v[4:5], v[36:37]
	s_waitcnt vmcnt(0) lgkmcnt(0)
	v_mul_f64 v[18:19], v[6:7], v[42:43]
	v_add_f64 v[14:15], v[14:15], v[24:25]
	v_add_f64 v[16:17], v[16:17], v[22:23]
	v_mul_f64 v[20:21], v[8:9], v[42:43]
	v_fma_f64 v[4:5], v[4:5], v[34:35], v[26:27]
	v_fma_f64 v[1:2], v[2:3], v[34:35], -v[28:29]
	v_fma_f64 v[8:9], v[8:9], v[40:41], v[18:19]
	v_add_f64 v[10:11], v[14:15], v[10:11]
	v_add_f64 v[12:13], v[16:17], v[12:13]
	v_fma_f64 v[6:7], v[6:7], v[40:41], -v[20:21]
	s_delay_alu instid0(VALU_DEP_3) | instskip(NEXT) | instid1(VALU_DEP_3)
	v_add_f64 v[1:2], v[10:11], v[1:2]
	v_add_f64 v[3:4], v[12:13], v[4:5]
	s_delay_alu instid0(VALU_DEP_2) | instskip(NEXT) | instid1(VALU_DEP_2)
	v_add_f64 v[1:2], v[1:2], v[6:7]
	v_add_f64 v[3:4], v[3:4], v[8:9]
	s_delay_alu instid0(VALU_DEP_2) | instskip(NEXT) | instid1(VALU_DEP_2)
	v_add_f64 v[1:2], v[161:162], -v[1:2]
	v_add_f64 v[3:4], v[163:164], -v[3:4]
	scratch_store_b128 off, v[1:4], off offset:272
	v_cmpx_lt_u32_e32 16, v122
	s_cbranch_execz .LBB37_209
; %bb.208:
	scratch_load_b128 v[1:4], v147, off
	v_mov_b32_e32 v5, 0
	s_delay_alu instid0(VALU_DEP_1)
	v_mov_b32_e32 v6, v5
	v_mov_b32_e32 v7, v5
	;; [unrolled: 1-line block ×3, first 2 shown]
	scratch_store_b128 off, v[5:8], off offset:256
	s_waitcnt vmcnt(0)
	ds_store_b128 v160, v[1:4]
.LBB37_209:
	s_or_b32 exec_lo, exec_lo, s2
	s_waitcnt lgkmcnt(0)
	s_waitcnt_vscnt null, 0x0
	s_barrier
	buffer_gl0_inv
	s_clause 0x7
	scratch_load_b128 v[2:5], off, off offset:272
	scratch_load_b128 v[6:9], off, off offset:288
	scratch_load_b128 v[10:13], off, off offset:304
	scratch_load_b128 v[14:17], off, off offset:320
	scratch_load_b128 v[18:21], off, off offset:336
	scratch_load_b128 v[22:25], off, off offset:352
	scratch_load_b128 v[26:29], off, off offset:368
	scratch_load_b128 v[30:33], off, off offset:384
	v_mov_b32_e32 v1, 0
	s_mov_b32 s2, exec_lo
	ds_load_b128 v[34:37], v1 offset:880
	s_clause 0x1
	scratch_load_b128 v[38:41], off, off offset:400
	scratch_load_b128 v[42:45], off, off offset:256
	ds_load_b128 v[161:164], v1 offset:896
	scratch_load_b128 v[165:168], off, off offset:416
	s_waitcnt vmcnt(10) lgkmcnt(1)
	v_mul_f64 v[169:170], v[36:37], v[4:5]
	v_mul_f64 v[4:5], v[34:35], v[4:5]
	s_delay_alu instid0(VALU_DEP_2) | instskip(NEXT) | instid1(VALU_DEP_2)
	v_fma_f64 v[175:176], v[34:35], v[2:3], -v[169:170]
	v_fma_f64 v[177:178], v[36:37], v[2:3], v[4:5]
	scratch_load_b128 v[34:37], off, off offset:432
	ds_load_b128 v[2:5], v1 offset:912
	s_waitcnt vmcnt(10) lgkmcnt(1)
	v_mul_f64 v[173:174], v[161:162], v[8:9]
	v_mul_f64 v[8:9], v[163:164], v[8:9]
	ds_load_b128 v[169:172], v1 offset:928
	s_waitcnt vmcnt(9) lgkmcnt(1)
	v_mul_f64 v[179:180], v[2:3], v[12:13]
	v_mul_f64 v[12:13], v[4:5], v[12:13]
	v_fma_f64 v[163:164], v[163:164], v[6:7], v[173:174]
	v_fma_f64 v[161:162], v[161:162], v[6:7], -v[8:9]
	v_add_f64 v[173:174], v[175:176], 0
	v_add_f64 v[175:176], v[177:178], 0
	scratch_load_b128 v[6:9], off, off offset:448
	v_fma_f64 v[179:180], v[4:5], v[10:11], v[179:180]
	v_fma_f64 v[181:182], v[2:3], v[10:11], -v[12:13]
	scratch_load_b128 v[10:13], off, off offset:464
	ds_load_b128 v[2:5], v1 offset:944
	s_waitcnt vmcnt(10) lgkmcnt(1)
	v_mul_f64 v[177:178], v[169:170], v[16:17]
	v_mul_f64 v[16:17], v[171:172], v[16:17]
	v_add_f64 v[173:174], v[173:174], v[161:162]
	v_add_f64 v[175:176], v[175:176], v[163:164]
	s_waitcnt vmcnt(9) lgkmcnt(0)
	v_mul_f64 v[183:184], v[2:3], v[20:21]
	v_mul_f64 v[20:21], v[4:5], v[20:21]
	ds_load_b128 v[161:164], v1 offset:960
	v_fma_f64 v[171:172], v[171:172], v[14:15], v[177:178]
	v_fma_f64 v[169:170], v[169:170], v[14:15], -v[16:17]
	scratch_load_b128 v[14:17], off, off offset:480
	v_add_f64 v[173:174], v[173:174], v[181:182]
	v_add_f64 v[175:176], v[175:176], v[179:180]
	v_fma_f64 v[179:180], v[4:5], v[18:19], v[183:184]
	v_fma_f64 v[181:182], v[2:3], v[18:19], -v[20:21]
	scratch_load_b128 v[18:21], off, off offset:496
	ds_load_b128 v[2:5], v1 offset:976
	s_waitcnt vmcnt(10) lgkmcnt(1)
	v_mul_f64 v[177:178], v[161:162], v[24:25]
	v_mul_f64 v[24:25], v[163:164], v[24:25]
	s_waitcnt vmcnt(9) lgkmcnt(0)
	v_mul_f64 v[183:184], v[2:3], v[28:29]
	v_mul_f64 v[28:29], v[4:5], v[28:29]
	v_add_f64 v[173:174], v[173:174], v[169:170]
	v_add_f64 v[175:176], v[175:176], v[171:172]
	ds_load_b128 v[169:172], v1 offset:992
	v_fma_f64 v[163:164], v[163:164], v[22:23], v[177:178]
	v_fma_f64 v[161:162], v[161:162], v[22:23], -v[24:25]
	scratch_load_b128 v[22:25], off, off offset:512
	v_add_f64 v[173:174], v[173:174], v[181:182]
	v_add_f64 v[175:176], v[175:176], v[179:180]
	v_fma_f64 v[179:180], v[4:5], v[26:27], v[183:184]
	v_fma_f64 v[181:182], v[2:3], v[26:27], -v[28:29]
	scratch_load_b128 v[26:29], off, off offset:528
	ds_load_b128 v[2:5], v1 offset:1008
	s_waitcnt vmcnt(10) lgkmcnt(1)
	v_mul_f64 v[177:178], v[169:170], v[32:33]
	v_mul_f64 v[32:33], v[171:172], v[32:33]
	s_waitcnt vmcnt(9) lgkmcnt(0)
	v_mul_f64 v[183:184], v[2:3], v[40:41]
	v_mul_f64 v[40:41], v[4:5], v[40:41]
	v_add_f64 v[173:174], v[173:174], v[161:162]
	v_add_f64 v[175:176], v[175:176], v[163:164]
	ds_load_b128 v[161:164], v1 offset:1024
	v_fma_f64 v[171:172], v[171:172], v[30:31], v[177:178]
	v_fma_f64 v[169:170], v[169:170], v[30:31], -v[32:33]
	scratch_load_b128 v[30:33], off, off offset:544
	v_add_f64 v[173:174], v[173:174], v[181:182]
	v_add_f64 v[175:176], v[175:176], v[179:180]
	v_fma_f64 v[181:182], v[4:5], v[38:39], v[183:184]
	v_fma_f64 v[183:184], v[2:3], v[38:39], -v[40:41]
	scratch_load_b128 v[38:41], off, off offset:560
	ds_load_b128 v[2:5], v1 offset:1040
	s_waitcnt vmcnt(9) lgkmcnt(1)
	v_mul_f64 v[177:178], v[161:162], v[167:168]
	v_mul_f64 v[179:180], v[163:164], v[167:168]
	v_add_f64 v[173:174], v[173:174], v[169:170]
	v_add_f64 v[171:172], v[175:176], v[171:172]
	ds_load_b128 v[167:170], v1 offset:1056
	v_fma_f64 v[177:178], v[163:164], v[165:166], v[177:178]
	v_fma_f64 v[165:166], v[161:162], v[165:166], -v[179:180]
	scratch_load_b128 v[161:164], off, off offset:576
	s_waitcnt vmcnt(9) lgkmcnt(1)
	v_mul_f64 v[175:176], v[2:3], v[36:37]
	v_mul_f64 v[36:37], v[4:5], v[36:37]
	v_add_f64 v[173:174], v[173:174], v[183:184]
	v_add_f64 v[171:172], v[171:172], v[181:182]
	s_delay_alu instid0(VALU_DEP_4) | instskip(NEXT) | instid1(VALU_DEP_4)
	v_fma_f64 v[175:176], v[4:5], v[34:35], v[175:176]
	v_fma_f64 v[181:182], v[2:3], v[34:35], -v[36:37]
	scratch_load_b128 v[34:37], off, off offset:592
	ds_load_b128 v[2:5], v1 offset:1072
	s_waitcnt vmcnt(9) lgkmcnt(1)
	v_mul_f64 v[179:180], v[167:168], v[8:9]
	v_mul_f64 v[8:9], v[169:170], v[8:9]
	s_waitcnt vmcnt(8) lgkmcnt(0)
	v_mul_f64 v[183:184], v[2:3], v[12:13]
	v_mul_f64 v[12:13], v[4:5], v[12:13]
	v_add_f64 v[165:166], v[173:174], v[165:166]
	v_add_f64 v[177:178], v[171:172], v[177:178]
	ds_load_b128 v[171:174], v1 offset:1088
	v_fma_f64 v[169:170], v[169:170], v[6:7], v[179:180]
	v_fma_f64 v[6:7], v[167:168], v[6:7], -v[8:9]
	v_add_f64 v[8:9], v[165:166], v[181:182]
	v_add_f64 v[165:166], v[177:178], v[175:176]
	s_waitcnt vmcnt(7) lgkmcnt(0)
	v_mul_f64 v[167:168], v[171:172], v[16:17]
	v_mul_f64 v[16:17], v[173:174], v[16:17]
	v_fma_f64 v[175:176], v[4:5], v[10:11], v[183:184]
	v_fma_f64 v[10:11], v[2:3], v[10:11], -v[12:13]
	v_add_f64 v[12:13], v[8:9], v[6:7]
	v_add_f64 v[165:166], v[165:166], v[169:170]
	ds_load_b128 v[2:5], v1 offset:1104
	ds_load_b128 v[6:9], v1 offset:1120
	v_fma_f64 v[167:168], v[173:174], v[14:15], v[167:168]
	v_fma_f64 v[14:15], v[171:172], v[14:15], -v[16:17]
	s_waitcnt vmcnt(6) lgkmcnt(1)
	v_mul_f64 v[169:170], v[2:3], v[20:21]
	v_mul_f64 v[20:21], v[4:5], v[20:21]
	s_waitcnt vmcnt(5) lgkmcnt(0)
	v_mul_f64 v[16:17], v[6:7], v[24:25]
	v_mul_f64 v[24:25], v[8:9], v[24:25]
	v_add_f64 v[10:11], v[12:13], v[10:11]
	v_add_f64 v[12:13], v[165:166], v[175:176]
	v_fma_f64 v[165:166], v[4:5], v[18:19], v[169:170]
	v_fma_f64 v[18:19], v[2:3], v[18:19], -v[20:21]
	v_fma_f64 v[8:9], v[8:9], v[22:23], v[16:17]
	v_fma_f64 v[6:7], v[6:7], v[22:23], -v[24:25]
	v_add_f64 v[14:15], v[10:11], v[14:15]
	v_add_f64 v[20:21], v[12:13], v[167:168]
	ds_load_b128 v[2:5], v1 offset:1136
	ds_load_b128 v[10:13], v1 offset:1152
	s_waitcnt vmcnt(4) lgkmcnt(1)
	v_mul_f64 v[167:168], v[2:3], v[28:29]
	v_mul_f64 v[28:29], v[4:5], v[28:29]
	v_add_f64 v[14:15], v[14:15], v[18:19]
	v_add_f64 v[16:17], v[20:21], v[165:166]
	s_waitcnt vmcnt(3) lgkmcnt(0)
	v_mul_f64 v[18:19], v[10:11], v[32:33]
	v_mul_f64 v[20:21], v[12:13], v[32:33]
	v_fma_f64 v[22:23], v[4:5], v[26:27], v[167:168]
	v_fma_f64 v[24:25], v[2:3], v[26:27], -v[28:29]
	v_add_f64 v[14:15], v[14:15], v[6:7]
	v_add_f64 v[16:17], v[16:17], v[8:9]
	ds_load_b128 v[2:5], v1 offset:1168
	ds_load_b128 v[6:9], v1 offset:1184
	v_fma_f64 v[12:13], v[12:13], v[30:31], v[18:19]
	v_fma_f64 v[10:11], v[10:11], v[30:31], -v[20:21]
	s_waitcnt vmcnt(2) lgkmcnt(1)
	v_mul_f64 v[26:27], v[2:3], v[40:41]
	v_mul_f64 v[28:29], v[4:5], v[40:41]
	s_waitcnt vmcnt(1) lgkmcnt(0)
	v_mul_f64 v[18:19], v[6:7], v[163:164]
	v_mul_f64 v[20:21], v[8:9], v[163:164]
	v_add_f64 v[14:15], v[14:15], v[24:25]
	v_add_f64 v[16:17], v[16:17], v[22:23]
	v_fma_f64 v[22:23], v[4:5], v[38:39], v[26:27]
	v_fma_f64 v[24:25], v[2:3], v[38:39], -v[28:29]
	ds_load_b128 v[2:5], v1 offset:1200
	v_fma_f64 v[8:9], v[8:9], v[161:162], v[18:19]
	v_fma_f64 v[6:7], v[6:7], v[161:162], -v[20:21]
	v_add_f64 v[10:11], v[14:15], v[10:11]
	v_add_f64 v[12:13], v[16:17], v[12:13]
	s_waitcnt vmcnt(0) lgkmcnt(0)
	v_mul_f64 v[14:15], v[2:3], v[36:37]
	v_mul_f64 v[16:17], v[4:5], v[36:37]
	s_delay_alu instid0(VALU_DEP_4) | instskip(NEXT) | instid1(VALU_DEP_4)
	v_add_f64 v[10:11], v[10:11], v[24:25]
	v_add_f64 v[12:13], v[12:13], v[22:23]
	s_delay_alu instid0(VALU_DEP_4) | instskip(NEXT) | instid1(VALU_DEP_4)
	v_fma_f64 v[4:5], v[4:5], v[34:35], v[14:15]
	v_fma_f64 v[2:3], v[2:3], v[34:35], -v[16:17]
	s_delay_alu instid0(VALU_DEP_4) | instskip(NEXT) | instid1(VALU_DEP_4)
	v_add_f64 v[6:7], v[10:11], v[6:7]
	v_add_f64 v[8:9], v[12:13], v[8:9]
	s_delay_alu instid0(VALU_DEP_2) | instskip(NEXT) | instid1(VALU_DEP_2)
	v_add_f64 v[2:3], v[6:7], v[2:3]
	v_add_f64 v[4:5], v[8:9], v[4:5]
	s_delay_alu instid0(VALU_DEP_2) | instskip(NEXT) | instid1(VALU_DEP_2)
	v_add_f64 v[2:3], v[42:43], -v[2:3]
	v_add_f64 v[4:5], v[44:45], -v[4:5]
	scratch_store_b128 off, v[2:5], off offset:256
	v_cmpx_lt_u32_e32 15, v122
	s_cbranch_execz .LBB37_211
; %bb.210:
	scratch_load_b128 v[5:8], v149, off
	v_mov_b32_e32 v2, v1
	v_mov_b32_e32 v3, v1
	;; [unrolled: 1-line block ×3, first 2 shown]
	scratch_store_b128 off, v[1:4], off offset:240
	s_waitcnt vmcnt(0)
	ds_store_b128 v160, v[5:8]
.LBB37_211:
	s_or_b32 exec_lo, exec_lo, s2
	s_waitcnt lgkmcnt(0)
	s_waitcnt_vscnt null, 0x0
	s_barrier
	buffer_gl0_inv
	s_clause 0x8
	scratch_load_b128 v[2:5], off, off offset:256
	scratch_load_b128 v[6:9], off, off offset:272
	;; [unrolled: 1-line block ×9, first 2 shown]
	ds_load_b128 v[38:41], v1 offset:864
	ds_load_b128 v[42:45], v1 offset:880
	s_clause 0x1
	scratch_load_b128 v[161:164], off, off offset:240
	scratch_load_b128 v[165:168], off, off offset:400
	s_mov_b32 s2, exec_lo
	s_waitcnt vmcnt(10) lgkmcnt(1)
	v_mul_f64 v[169:170], v[40:41], v[4:5]
	v_mul_f64 v[4:5], v[38:39], v[4:5]
	s_waitcnt vmcnt(9) lgkmcnt(0)
	v_mul_f64 v[173:174], v[42:43], v[8:9]
	v_mul_f64 v[8:9], v[44:45], v[8:9]
	s_delay_alu instid0(VALU_DEP_4) | instskip(NEXT) | instid1(VALU_DEP_4)
	v_fma_f64 v[175:176], v[38:39], v[2:3], -v[169:170]
	v_fma_f64 v[177:178], v[40:41], v[2:3], v[4:5]
	ds_load_b128 v[2:5], v1 offset:896
	ds_load_b128 v[169:172], v1 offset:912
	scratch_load_b128 v[38:41], off, off offset:416
	v_fma_f64 v[44:45], v[44:45], v[6:7], v[173:174]
	v_fma_f64 v[42:43], v[42:43], v[6:7], -v[8:9]
	scratch_load_b128 v[6:9], off, off offset:432
	s_waitcnt vmcnt(10) lgkmcnt(1)
	v_mul_f64 v[179:180], v[2:3], v[12:13]
	v_mul_f64 v[12:13], v[4:5], v[12:13]
	v_add_f64 v[173:174], v[175:176], 0
	v_add_f64 v[175:176], v[177:178], 0
	s_waitcnt vmcnt(9) lgkmcnt(0)
	v_mul_f64 v[177:178], v[169:170], v[16:17]
	v_mul_f64 v[16:17], v[171:172], v[16:17]
	v_fma_f64 v[179:180], v[4:5], v[10:11], v[179:180]
	v_fma_f64 v[181:182], v[2:3], v[10:11], -v[12:13]
	ds_load_b128 v[2:5], v1 offset:928
	scratch_load_b128 v[10:13], off, off offset:448
	v_add_f64 v[173:174], v[173:174], v[42:43]
	v_add_f64 v[175:176], v[175:176], v[44:45]
	ds_load_b128 v[42:45], v1 offset:944
	v_fma_f64 v[171:172], v[171:172], v[14:15], v[177:178]
	v_fma_f64 v[169:170], v[169:170], v[14:15], -v[16:17]
	scratch_load_b128 v[14:17], off, off offset:464
	s_waitcnt vmcnt(10) lgkmcnt(1)
	v_mul_f64 v[183:184], v[2:3], v[20:21]
	v_mul_f64 v[20:21], v[4:5], v[20:21]
	s_waitcnt vmcnt(9) lgkmcnt(0)
	v_mul_f64 v[177:178], v[42:43], v[24:25]
	v_mul_f64 v[24:25], v[44:45], v[24:25]
	v_add_f64 v[173:174], v[173:174], v[181:182]
	v_add_f64 v[175:176], v[175:176], v[179:180]
	v_fma_f64 v[179:180], v[4:5], v[18:19], v[183:184]
	v_fma_f64 v[181:182], v[2:3], v[18:19], -v[20:21]
	ds_load_b128 v[2:5], v1 offset:960
	scratch_load_b128 v[18:21], off, off offset:480
	v_fma_f64 v[44:45], v[44:45], v[22:23], v[177:178]
	v_fma_f64 v[42:43], v[42:43], v[22:23], -v[24:25]
	scratch_load_b128 v[22:25], off, off offset:496
	v_add_f64 v[173:174], v[173:174], v[169:170]
	v_add_f64 v[175:176], v[175:176], v[171:172]
	ds_load_b128 v[169:172], v1 offset:976
	s_waitcnt vmcnt(10) lgkmcnt(1)
	v_mul_f64 v[183:184], v[2:3], v[28:29]
	v_mul_f64 v[28:29], v[4:5], v[28:29]
	s_waitcnt vmcnt(9) lgkmcnt(0)
	v_mul_f64 v[177:178], v[169:170], v[32:33]
	v_mul_f64 v[32:33], v[171:172], v[32:33]
	v_add_f64 v[173:174], v[173:174], v[181:182]
	v_add_f64 v[175:176], v[175:176], v[179:180]
	v_fma_f64 v[179:180], v[4:5], v[26:27], v[183:184]
	v_fma_f64 v[181:182], v[2:3], v[26:27], -v[28:29]
	ds_load_b128 v[2:5], v1 offset:992
	scratch_load_b128 v[26:29], off, off offset:512
	v_fma_f64 v[171:172], v[171:172], v[30:31], v[177:178]
	v_fma_f64 v[169:170], v[169:170], v[30:31], -v[32:33]
	scratch_load_b128 v[30:33], off, off offset:528
	v_add_f64 v[173:174], v[173:174], v[42:43]
	v_add_f64 v[175:176], v[175:176], v[44:45]
	ds_load_b128 v[42:45], v1 offset:1008
	s_waitcnt vmcnt(10) lgkmcnt(1)
	v_mul_f64 v[183:184], v[2:3], v[36:37]
	v_mul_f64 v[36:37], v[4:5], v[36:37]
	s_waitcnt vmcnt(8) lgkmcnt(0)
	v_mul_f64 v[177:178], v[42:43], v[167:168]
	v_add_f64 v[173:174], v[173:174], v[181:182]
	v_add_f64 v[175:176], v[175:176], v[179:180]
	v_mul_f64 v[179:180], v[44:45], v[167:168]
	v_fma_f64 v[181:182], v[4:5], v[34:35], v[183:184]
	v_fma_f64 v[183:184], v[2:3], v[34:35], -v[36:37]
	ds_load_b128 v[2:5], v1 offset:1024
	scratch_load_b128 v[34:37], off, off offset:544
	v_fma_f64 v[44:45], v[44:45], v[165:166], v[177:178]
	v_add_f64 v[173:174], v[173:174], v[169:170]
	v_add_f64 v[171:172], v[175:176], v[171:172]
	ds_load_b128 v[167:170], v1 offset:1040
	v_fma_f64 v[165:166], v[42:43], v[165:166], -v[179:180]
	s_waitcnt vmcnt(8) lgkmcnt(1)
	v_mul_f64 v[175:176], v[2:3], v[40:41]
	v_mul_f64 v[185:186], v[4:5], v[40:41]
	scratch_load_b128 v[40:43], off, off offset:560
	s_waitcnt vmcnt(8) lgkmcnt(0)
	v_mul_f64 v[179:180], v[167:168], v[8:9]
	v_mul_f64 v[8:9], v[169:170], v[8:9]
	v_add_f64 v[173:174], v[173:174], v[183:184]
	v_add_f64 v[171:172], v[171:172], v[181:182]
	v_fma_f64 v[181:182], v[4:5], v[38:39], v[175:176]
	v_fma_f64 v[38:39], v[2:3], v[38:39], -v[185:186]
	ds_load_b128 v[2:5], v1 offset:1056
	ds_load_b128 v[175:178], v1 offset:1072
	v_fma_f64 v[169:170], v[169:170], v[6:7], v[179:180]
	v_fma_f64 v[167:168], v[167:168], v[6:7], -v[8:9]
	scratch_load_b128 v[6:9], off, off offset:592
	v_add_f64 v[165:166], v[173:174], v[165:166]
	v_add_f64 v[44:45], v[171:172], v[44:45]
	scratch_load_b128 v[171:174], off, off offset:576
	s_waitcnt vmcnt(9) lgkmcnt(1)
	v_mul_f64 v[183:184], v[2:3], v[12:13]
	v_mul_f64 v[12:13], v[4:5], v[12:13]
	v_add_f64 v[38:39], v[165:166], v[38:39]
	v_add_f64 v[44:45], v[44:45], v[181:182]
	s_waitcnt vmcnt(8) lgkmcnt(0)
	v_mul_f64 v[165:166], v[175:176], v[16:17]
	v_mul_f64 v[16:17], v[177:178], v[16:17]
	v_fma_f64 v[179:180], v[4:5], v[10:11], v[183:184]
	v_fma_f64 v[181:182], v[2:3], v[10:11], -v[12:13]
	ds_load_b128 v[2:5], v1 offset:1088
	ds_load_b128 v[10:13], v1 offset:1104
	v_add_f64 v[38:39], v[38:39], v[167:168]
	v_add_f64 v[44:45], v[44:45], v[169:170]
	s_waitcnt vmcnt(7) lgkmcnt(1)
	v_mul_f64 v[167:168], v[2:3], v[20:21]
	v_mul_f64 v[20:21], v[4:5], v[20:21]
	v_fma_f64 v[165:166], v[177:178], v[14:15], v[165:166]
	v_fma_f64 v[14:15], v[175:176], v[14:15], -v[16:17]
	v_add_f64 v[16:17], v[38:39], v[181:182]
	v_add_f64 v[38:39], v[44:45], v[179:180]
	s_waitcnt vmcnt(6) lgkmcnt(0)
	v_mul_f64 v[44:45], v[10:11], v[24:25]
	v_mul_f64 v[24:25], v[12:13], v[24:25]
	v_fma_f64 v[167:168], v[4:5], v[18:19], v[167:168]
	v_fma_f64 v[18:19], v[2:3], v[18:19], -v[20:21]
	v_add_f64 v[20:21], v[16:17], v[14:15]
	v_add_f64 v[38:39], v[38:39], v[165:166]
	ds_load_b128 v[2:5], v1 offset:1120
	ds_load_b128 v[14:17], v1 offset:1136
	v_fma_f64 v[12:13], v[12:13], v[22:23], v[44:45]
	v_fma_f64 v[10:11], v[10:11], v[22:23], -v[24:25]
	s_waitcnt vmcnt(5) lgkmcnt(1)
	v_mul_f64 v[165:166], v[2:3], v[28:29]
	v_mul_f64 v[28:29], v[4:5], v[28:29]
	s_waitcnt vmcnt(4) lgkmcnt(0)
	v_mul_f64 v[22:23], v[14:15], v[32:33]
	v_mul_f64 v[24:25], v[16:17], v[32:33]
	v_add_f64 v[18:19], v[20:21], v[18:19]
	v_add_f64 v[20:21], v[38:39], v[167:168]
	v_fma_f64 v[32:33], v[4:5], v[26:27], v[165:166]
	v_fma_f64 v[26:27], v[2:3], v[26:27], -v[28:29]
	v_fma_f64 v[16:17], v[16:17], v[30:31], v[22:23]
	v_fma_f64 v[14:15], v[14:15], v[30:31], -v[24:25]
	v_add_f64 v[18:19], v[18:19], v[10:11]
	v_add_f64 v[20:21], v[20:21], v[12:13]
	ds_load_b128 v[2:5], v1 offset:1152
	ds_load_b128 v[10:13], v1 offset:1168
	s_waitcnt vmcnt(3) lgkmcnt(1)
	v_mul_f64 v[28:29], v[2:3], v[36:37]
	v_mul_f64 v[36:37], v[4:5], v[36:37]
	s_waitcnt vmcnt(2) lgkmcnt(0)
	v_mul_f64 v[22:23], v[10:11], v[42:43]
	v_add_f64 v[18:19], v[18:19], v[26:27]
	v_add_f64 v[20:21], v[20:21], v[32:33]
	v_mul_f64 v[24:25], v[12:13], v[42:43]
	v_fma_f64 v[26:27], v[4:5], v[34:35], v[28:29]
	v_fma_f64 v[28:29], v[2:3], v[34:35], -v[36:37]
	v_fma_f64 v[12:13], v[12:13], v[40:41], v[22:23]
	v_add_f64 v[18:19], v[18:19], v[14:15]
	v_add_f64 v[20:21], v[20:21], v[16:17]
	ds_load_b128 v[2:5], v1 offset:1184
	ds_load_b128 v[14:17], v1 offset:1200
	v_fma_f64 v[10:11], v[10:11], v[40:41], -v[24:25]
	s_waitcnt vmcnt(0) lgkmcnt(1)
	v_mul_f64 v[30:31], v[2:3], v[173:174]
	v_mul_f64 v[32:33], v[4:5], v[173:174]
	s_waitcnt lgkmcnt(0)
	v_mul_f64 v[22:23], v[14:15], v[8:9]
	v_mul_f64 v[8:9], v[16:17], v[8:9]
	v_add_f64 v[18:19], v[18:19], v[28:29]
	v_add_f64 v[20:21], v[20:21], v[26:27]
	v_fma_f64 v[4:5], v[4:5], v[171:172], v[30:31]
	v_fma_f64 v[1:2], v[2:3], v[171:172], -v[32:33]
	v_fma_f64 v[16:17], v[16:17], v[6:7], v[22:23]
	v_fma_f64 v[6:7], v[14:15], v[6:7], -v[8:9]
	v_add_f64 v[10:11], v[18:19], v[10:11]
	v_add_f64 v[12:13], v[20:21], v[12:13]
	s_delay_alu instid0(VALU_DEP_2) | instskip(NEXT) | instid1(VALU_DEP_2)
	v_add_f64 v[1:2], v[10:11], v[1:2]
	v_add_f64 v[3:4], v[12:13], v[4:5]
	s_delay_alu instid0(VALU_DEP_2) | instskip(NEXT) | instid1(VALU_DEP_2)
	v_add_f64 v[1:2], v[1:2], v[6:7]
	v_add_f64 v[3:4], v[3:4], v[16:17]
	s_delay_alu instid0(VALU_DEP_2) | instskip(NEXT) | instid1(VALU_DEP_2)
	v_add_f64 v[1:2], v[161:162], -v[1:2]
	v_add_f64 v[3:4], v[163:164], -v[3:4]
	scratch_store_b128 off, v[1:4], off offset:240
	v_cmpx_lt_u32_e32 14, v122
	s_cbranch_execz .LBB37_213
; %bb.212:
	scratch_load_b128 v[1:4], v148, off
	v_mov_b32_e32 v5, 0
	s_delay_alu instid0(VALU_DEP_1)
	v_mov_b32_e32 v6, v5
	v_mov_b32_e32 v7, v5
	;; [unrolled: 1-line block ×3, first 2 shown]
	scratch_store_b128 off, v[5:8], off offset:224
	s_waitcnt vmcnt(0)
	ds_store_b128 v160, v[1:4]
.LBB37_213:
	s_or_b32 exec_lo, exec_lo, s2
	s_waitcnt lgkmcnt(0)
	s_waitcnt_vscnt null, 0x0
	s_barrier
	buffer_gl0_inv
	s_clause 0x7
	scratch_load_b128 v[2:5], off, off offset:240
	scratch_load_b128 v[6:9], off, off offset:256
	;; [unrolled: 1-line block ×8, first 2 shown]
	v_mov_b32_e32 v1, 0
	s_mov_b32 s2, exec_lo
	ds_load_b128 v[34:37], v1 offset:848
	s_clause 0x1
	scratch_load_b128 v[38:41], off, off offset:368
	scratch_load_b128 v[42:45], off, off offset:224
	ds_load_b128 v[161:164], v1 offset:864
	scratch_load_b128 v[165:168], off, off offset:384
	s_waitcnt vmcnt(10) lgkmcnt(1)
	v_mul_f64 v[169:170], v[36:37], v[4:5]
	v_mul_f64 v[4:5], v[34:35], v[4:5]
	s_delay_alu instid0(VALU_DEP_2) | instskip(NEXT) | instid1(VALU_DEP_2)
	v_fma_f64 v[175:176], v[34:35], v[2:3], -v[169:170]
	v_fma_f64 v[177:178], v[36:37], v[2:3], v[4:5]
	scratch_load_b128 v[34:37], off, off offset:400
	ds_load_b128 v[2:5], v1 offset:880
	s_waitcnt vmcnt(10) lgkmcnt(1)
	v_mul_f64 v[173:174], v[161:162], v[8:9]
	v_mul_f64 v[8:9], v[163:164], v[8:9]
	ds_load_b128 v[169:172], v1 offset:896
	s_waitcnt vmcnt(9) lgkmcnt(1)
	v_mul_f64 v[179:180], v[2:3], v[12:13]
	v_mul_f64 v[12:13], v[4:5], v[12:13]
	v_fma_f64 v[163:164], v[163:164], v[6:7], v[173:174]
	v_fma_f64 v[161:162], v[161:162], v[6:7], -v[8:9]
	v_add_f64 v[173:174], v[175:176], 0
	v_add_f64 v[175:176], v[177:178], 0
	scratch_load_b128 v[6:9], off, off offset:416
	v_fma_f64 v[179:180], v[4:5], v[10:11], v[179:180]
	v_fma_f64 v[181:182], v[2:3], v[10:11], -v[12:13]
	scratch_load_b128 v[10:13], off, off offset:432
	ds_load_b128 v[2:5], v1 offset:912
	s_waitcnt vmcnt(10) lgkmcnt(1)
	v_mul_f64 v[177:178], v[169:170], v[16:17]
	v_mul_f64 v[16:17], v[171:172], v[16:17]
	v_add_f64 v[173:174], v[173:174], v[161:162]
	v_add_f64 v[175:176], v[175:176], v[163:164]
	s_waitcnt vmcnt(9) lgkmcnt(0)
	v_mul_f64 v[183:184], v[2:3], v[20:21]
	v_mul_f64 v[20:21], v[4:5], v[20:21]
	ds_load_b128 v[161:164], v1 offset:928
	v_fma_f64 v[171:172], v[171:172], v[14:15], v[177:178]
	v_fma_f64 v[169:170], v[169:170], v[14:15], -v[16:17]
	scratch_load_b128 v[14:17], off, off offset:448
	v_add_f64 v[173:174], v[173:174], v[181:182]
	v_add_f64 v[175:176], v[175:176], v[179:180]
	v_fma_f64 v[179:180], v[4:5], v[18:19], v[183:184]
	v_fma_f64 v[181:182], v[2:3], v[18:19], -v[20:21]
	scratch_load_b128 v[18:21], off, off offset:464
	ds_load_b128 v[2:5], v1 offset:944
	s_waitcnt vmcnt(10) lgkmcnt(1)
	v_mul_f64 v[177:178], v[161:162], v[24:25]
	v_mul_f64 v[24:25], v[163:164], v[24:25]
	s_waitcnt vmcnt(9) lgkmcnt(0)
	v_mul_f64 v[183:184], v[2:3], v[28:29]
	v_mul_f64 v[28:29], v[4:5], v[28:29]
	v_add_f64 v[173:174], v[173:174], v[169:170]
	v_add_f64 v[175:176], v[175:176], v[171:172]
	ds_load_b128 v[169:172], v1 offset:960
	v_fma_f64 v[163:164], v[163:164], v[22:23], v[177:178]
	v_fma_f64 v[161:162], v[161:162], v[22:23], -v[24:25]
	scratch_load_b128 v[22:25], off, off offset:480
	v_add_f64 v[173:174], v[173:174], v[181:182]
	v_add_f64 v[175:176], v[175:176], v[179:180]
	v_fma_f64 v[179:180], v[4:5], v[26:27], v[183:184]
	v_fma_f64 v[181:182], v[2:3], v[26:27], -v[28:29]
	scratch_load_b128 v[26:29], off, off offset:496
	ds_load_b128 v[2:5], v1 offset:976
	s_waitcnt vmcnt(10) lgkmcnt(1)
	v_mul_f64 v[177:178], v[169:170], v[32:33]
	v_mul_f64 v[32:33], v[171:172], v[32:33]
	s_waitcnt vmcnt(9) lgkmcnt(0)
	v_mul_f64 v[183:184], v[2:3], v[40:41]
	v_mul_f64 v[40:41], v[4:5], v[40:41]
	v_add_f64 v[173:174], v[173:174], v[161:162]
	v_add_f64 v[175:176], v[175:176], v[163:164]
	ds_load_b128 v[161:164], v1 offset:992
	v_fma_f64 v[171:172], v[171:172], v[30:31], v[177:178]
	v_fma_f64 v[169:170], v[169:170], v[30:31], -v[32:33]
	scratch_load_b128 v[30:33], off, off offset:512
	v_add_f64 v[173:174], v[173:174], v[181:182]
	v_add_f64 v[175:176], v[175:176], v[179:180]
	v_fma_f64 v[181:182], v[4:5], v[38:39], v[183:184]
	v_fma_f64 v[183:184], v[2:3], v[38:39], -v[40:41]
	scratch_load_b128 v[38:41], off, off offset:528
	ds_load_b128 v[2:5], v1 offset:1008
	s_waitcnt vmcnt(9) lgkmcnt(1)
	v_mul_f64 v[177:178], v[161:162], v[167:168]
	v_mul_f64 v[179:180], v[163:164], v[167:168]
	v_add_f64 v[173:174], v[173:174], v[169:170]
	v_add_f64 v[171:172], v[175:176], v[171:172]
	ds_load_b128 v[167:170], v1 offset:1024
	v_fma_f64 v[177:178], v[163:164], v[165:166], v[177:178]
	v_fma_f64 v[165:166], v[161:162], v[165:166], -v[179:180]
	scratch_load_b128 v[161:164], off, off offset:544
	s_waitcnt vmcnt(9) lgkmcnt(1)
	v_mul_f64 v[175:176], v[2:3], v[36:37]
	v_mul_f64 v[36:37], v[4:5], v[36:37]
	v_add_f64 v[173:174], v[173:174], v[183:184]
	v_add_f64 v[171:172], v[171:172], v[181:182]
	s_delay_alu instid0(VALU_DEP_4) | instskip(NEXT) | instid1(VALU_DEP_4)
	v_fma_f64 v[175:176], v[4:5], v[34:35], v[175:176]
	v_fma_f64 v[181:182], v[2:3], v[34:35], -v[36:37]
	scratch_load_b128 v[34:37], off, off offset:560
	ds_load_b128 v[2:5], v1 offset:1040
	s_waitcnt vmcnt(9) lgkmcnt(1)
	v_mul_f64 v[179:180], v[167:168], v[8:9]
	v_mul_f64 v[8:9], v[169:170], v[8:9]
	s_waitcnt vmcnt(8) lgkmcnt(0)
	v_mul_f64 v[183:184], v[2:3], v[12:13]
	v_mul_f64 v[12:13], v[4:5], v[12:13]
	v_add_f64 v[165:166], v[173:174], v[165:166]
	v_add_f64 v[177:178], v[171:172], v[177:178]
	ds_load_b128 v[171:174], v1 offset:1056
	v_fma_f64 v[169:170], v[169:170], v[6:7], v[179:180]
	v_fma_f64 v[167:168], v[167:168], v[6:7], -v[8:9]
	scratch_load_b128 v[6:9], off, off offset:576
	v_fma_f64 v[179:180], v[4:5], v[10:11], v[183:184]
	v_add_f64 v[165:166], v[165:166], v[181:182]
	v_add_f64 v[175:176], v[177:178], v[175:176]
	v_fma_f64 v[181:182], v[2:3], v[10:11], -v[12:13]
	scratch_load_b128 v[10:13], off, off offset:592
	ds_load_b128 v[2:5], v1 offset:1072
	s_waitcnt vmcnt(9) lgkmcnt(1)
	v_mul_f64 v[177:178], v[171:172], v[16:17]
	v_mul_f64 v[16:17], v[173:174], v[16:17]
	v_add_f64 v[183:184], v[165:166], v[167:168]
	v_add_f64 v[169:170], v[175:176], v[169:170]
	s_waitcnt vmcnt(8) lgkmcnt(0)
	v_mul_f64 v[175:176], v[2:3], v[20:21]
	v_mul_f64 v[20:21], v[4:5], v[20:21]
	ds_load_b128 v[165:168], v1 offset:1088
	v_fma_f64 v[173:174], v[173:174], v[14:15], v[177:178]
	v_fma_f64 v[14:15], v[171:172], v[14:15], -v[16:17]
	s_waitcnt vmcnt(7) lgkmcnt(0)
	v_mul_f64 v[171:172], v[165:166], v[24:25]
	v_mul_f64 v[24:25], v[167:168], v[24:25]
	v_add_f64 v[16:17], v[183:184], v[181:182]
	v_add_f64 v[169:170], v[169:170], v[179:180]
	v_fma_f64 v[175:176], v[4:5], v[18:19], v[175:176]
	v_fma_f64 v[18:19], v[2:3], v[18:19], -v[20:21]
	v_fma_f64 v[167:168], v[167:168], v[22:23], v[171:172]
	v_fma_f64 v[22:23], v[165:166], v[22:23], -v[24:25]
	v_add_f64 v[20:21], v[16:17], v[14:15]
	v_add_f64 v[169:170], v[169:170], v[173:174]
	ds_load_b128 v[2:5], v1 offset:1104
	ds_load_b128 v[14:17], v1 offset:1120
	s_waitcnt vmcnt(6) lgkmcnt(1)
	v_mul_f64 v[173:174], v[2:3], v[28:29]
	v_mul_f64 v[28:29], v[4:5], v[28:29]
	s_waitcnt vmcnt(5) lgkmcnt(0)
	v_mul_f64 v[24:25], v[14:15], v[32:33]
	v_mul_f64 v[32:33], v[16:17], v[32:33]
	v_add_f64 v[18:19], v[20:21], v[18:19]
	v_add_f64 v[20:21], v[169:170], v[175:176]
	v_fma_f64 v[165:166], v[4:5], v[26:27], v[173:174]
	v_fma_f64 v[26:27], v[2:3], v[26:27], -v[28:29]
	v_fma_f64 v[16:17], v[16:17], v[30:31], v[24:25]
	v_fma_f64 v[14:15], v[14:15], v[30:31], -v[32:33]
	v_add_f64 v[22:23], v[18:19], v[22:23]
	v_add_f64 v[28:29], v[20:21], v[167:168]
	ds_load_b128 v[2:5], v1 offset:1136
	ds_load_b128 v[18:21], v1 offset:1152
	s_waitcnt vmcnt(4) lgkmcnt(1)
	v_mul_f64 v[167:168], v[2:3], v[40:41]
	v_mul_f64 v[40:41], v[4:5], v[40:41]
	v_add_f64 v[22:23], v[22:23], v[26:27]
	v_add_f64 v[24:25], v[28:29], v[165:166]
	s_waitcnt vmcnt(3) lgkmcnt(0)
	v_mul_f64 v[26:27], v[18:19], v[163:164]
	v_mul_f64 v[28:29], v[20:21], v[163:164]
	v_fma_f64 v[30:31], v[4:5], v[38:39], v[167:168]
	v_fma_f64 v[32:33], v[2:3], v[38:39], -v[40:41]
	v_add_f64 v[22:23], v[22:23], v[14:15]
	v_add_f64 v[24:25], v[24:25], v[16:17]
	ds_load_b128 v[2:5], v1 offset:1168
	ds_load_b128 v[14:17], v1 offset:1184
	v_fma_f64 v[20:21], v[20:21], v[161:162], v[26:27]
	v_fma_f64 v[18:19], v[18:19], v[161:162], -v[28:29]
	s_waitcnt vmcnt(2) lgkmcnt(1)
	v_mul_f64 v[38:39], v[2:3], v[36:37]
	v_mul_f64 v[36:37], v[4:5], v[36:37]
	s_waitcnt vmcnt(1) lgkmcnt(0)
	v_mul_f64 v[26:27], v[14:15], v[8:9]
	v_mul_f64 v[8:9], v[16:17], v[8:9]
	v_add_f64 v[22:23], v[22:23], v[32:33]
	v_add_f64 v[24:25], v[24:25], v[30:31]
	v_fma_f64 v[28:29], v[4:5], v[34:35], v[38:39]
	v_fma_f64 v[30:31], v[2:3], v[34:35], -v[36:37]
	ds_load_b128 v[2:5], v1 offset:1200
	v_fma_f64 v[16:17], v[16:17], v[6:7], v[26:27]
	v_fma_f64 v[6:7], v[14:15], v[6:7], -v[8:9]
	v_add_f64 v[18:19], v[22:23], v[18:19]
	v_add_f64 v[20:21], v[24:25], v[20:21]
	s_waitcnt vmcnt(0) lgkmcnt(0)
	v_mul_f64 v[22:23], v[2:3], v[12:13]
	v_mul_f64 v[12:13], v[4:5], v[12:13]
	s_delay_alu instid0(VALU_DEP_4) | instskip(NEXT) | instid1(VALU_DEP_4)
	v_add_f64 v[8:9], v[18:19], v[30:31]
	v_add_f64 v[14:15], v[20:21], v[28:29]
	s_delay_alu instid0(VALU_DEP_4) | instskip(NEXT) | instid1(VALU_DEP_4)
	v_fma_f64 v[4:5], v[4:5], v[10:11], v[22:23]
	v_fma_f64 v[2:3], v[2:3], v[10:11], -v[12:13]
	s_delay_alu instid0(VALU_DEP_4) | instskip(NEXT) | instid1(VALU_DEP_4)
	v_add_f64 v[6:7], v[8:9], v[6:7]
	v_add_f64 v[8:9], v[14:15], v[16:17]
	s_delay_alu instid0(VALU_DEP_2) | instskip(NEXT) | instid1(VALU_DEP_2)
	v_add_f64 v[2:3], v[6:7], v[2:3]
	v_add_f64 v[4:5], v[8:9], v[4:5]
	s_delay_alu instid0(VALU_DEP_2) | instskip(NEXT) | instid1(VALU_DEP_2)
	v_add_f64 v[2:3], v[42:43], -v[2:3]
	v_add_f64 v[4:5], v[44:45], -v[4:5]
	scratch_store_b128 off, v[2:5], off offset:224
	v_cmpx_lt_u32_e32 13, v122
	s_cbranch_execz .LBB37_215
; %bb.214:
	scratch_load_b128 v[5:8], v150, off
	v_mov_b32_e32 v2, v1
	v_mov_b32_e32 v3, v1
	;; [unrolled: 1-line block ×3, first 2 shown]
	scratch_store_b128 off, v[1:4], off offset:208
	s_waitcnt vmcnt(0)
	ds_store_b128 v160, v[5:8]
.LBB37_215:
	s_or_b32 exec_lo, exec_lo, s2
	s_waitcnt lgkmcnt(0)
	s_waitcnt_vscnt null, 0x0
	s_barrier
	buffer_gl0_inv
	s_clause 0x8
	scratch_load_b128 v[2:5], off, off offset:224
	scratch_load_b128 v[6:9], off, off offset:240
	;; [unrolled: 1-line block ×9, first 2 shown]
	ds_load_b128 v[38:41], v1 offset:832
	ds_load_b128 v[42:45], v1 offset:848
	s_clause 0x1
	scratch_load_b128 v[161:164], off, off offset:208
	scratch_load_b128 v[165:168], off, off offset:368
	s_mov_b32 s2, exec_lo
	s_waitcnt vmcnt(10) lgkmcnt(1)
	v_mul_f64 v[169:170], v[40:41], v[4:5]
	v_mul_f64 v[4:5], v[38:39], v[4:5]
	s_waitcnt vmcnt(9) lgkmcnt(0)
	v_mul_f64 v[173:174], v[42:43], v[8:9]
	v_mul_f64 v[8:9], v[44:45], v[8:9]
	s_delay_alu instid0(VALU_DEP_4) | instskip(NEXT) | instid1(VALU_DEP_4)
	v_fma_f64 v[175:176], v[38:39], v[2:3], -v[169:170]
	v_fma_f64 v[177:178], v[40:41], v[2:3], v[4:5]
	ds_load_b128 v[2:5], v1 offset:864
	ds_load_b128 v[169:172], v1 offset:880
	scratch_load_b128 v[38:41], off, off offset:384
	v_fma_f64 v[44:45], v[44:45], v[6:7], v[173:174]
	v_fma_f64 v[42:43], v[42:43], v[6:7], -v[8:9]
	scratch_load_b128 v[6:9], off, off offset:400
	s_waitcnt vmcnt(10) lgkmcnt(1)
	v_mul_f64 v[179:180], v[2:3], v[12:13]
	v_mul_f64 v[12:13], v[4:5], v[12:13]
	v_add_f64 v[173:174], v[175:176], 0
	v_add_f64 v[175:176], v[177:178], 0
	s_waitcnt vmcnt(9) lgkmcnt(0)
	v_mul_f64 v[177:178], v[169:170], v[16:17]
	v_mul_f64 v[16:17], v[171:172], v[16:17]
	v_fma_f64 v[179:180], v[4:5], v[10:11], v[179:180]
	v_fma_f64 v[181:182], v[2:3], v[10:11], -v[12:13]
	ds_load_b128 v[2:5], v1 offset:896
	scratch_load_b128 v[10:13], off, off offset:416
	v_add_f64 v[173:174], v[173:174], v[42:43]
	v_add_f64 v[175:176], v[175:176], v[44:45]
	ds_load_b128 v[42:45], v1 offset:912
	v_fma_f64 v[171:172], v[171:172], v[14:15], v[177:178]
	v_fma_f64 v[169:170], v[169:170], v[14:15], -v[16:17]
	scratch_load_b128 v[14:17], off, off offset:432
	s_waitcnt vmcnt(10) lgkmcnt(1)
	v_mul_f64 v[183:184], v[2:3], v[20:21]
	v_mul_f64 v[20:21], v[4:5], v[20:21]
	s_waitcnt vmcnt(9) lgkmcnt(0)
	v_mul_f64 v[177:178], v[42:43], v[24:25]
	v_mul_f64 v[24:25], v[44:45], v[24:25]
	v_add_f64 v[173:174], v[173:174], v[181:182]
	v_add_f64 v[175:176], v[175:176], v[179:180]
	v_fma_f64 v[179:180], v[4:5], v[18:19], v[183:184]
	v_fma_f64 v[181:182], v[2:3], v[18:19], -v[20:21]
	ds_load_b128 v[2:5], v1 offset:928
	scratch_load_b128 v[18:21], off, off offset:448
	v_fma_f64 v[44:45], v[44:45], v[22:23], v[177:178]
	v_fma_f64 v[42:43], v[42:43], v[22:23], -v[24:25]
	scratch_load_b128 v[22:25], off, off offset:464
	v_add_f64 v[173:174], v[173:174], v[169:170]
	v_add_f64 v[175:176], v[175:176], v[171:172]
	ds_load_b128 v[169:172], v1 offset:944
	s_waitcnt vmcnt(10) lgkmcnt(1)
	v_mul_f64 v[183:184], v[2:3], v[28:29]
	v_mul_f64 v[28:29], v[4:5], v[28:29]
	s_waitcnt vmcnt(9) lgkmcnt(0)
	v_mul_f64 v[177:178], v[169:170], v[32:33]
	v_mul_f64 v[32:33], v[171:172], v[32:33]
	v_add_f64 v[173:174], v[173:174], v[181:182]
	v_add_f64 v[175:176], v[175:176], v[179:180]
	v_fma_f64 v[179:180], v[4:5], v[26:27], v[183:184]
	v_fma_f64 v[181:182], v[2:3], v[26:27], -v[28:29]
	ds_load_b128 v[2:5], v1 offset:960
	scratch_load_b128 v[26:29], off, off offset:480
	v_fma_f64 v[171:172], v[171:172], v[30:31], v[177:178]
	v_fma_f64 v[169:170], v[169:170], v[30:31], -v[32:33]
	scratch_load_b128 v[30:33], off, off offset:496
	v_add_f64 v[173:174], v[173:174], v[42:43]
	v_add_f64 v[175:176], v[175:176], v[44:45]
	ds_load_b128 v[42:45], v1 offset:976
	s_waitcnt vmcnt(10) lgkmcnt(1)
	v_mul_f64 v[183:184], v[2:3], v[36:37]
	v_mul_f64 v[36:37], v[4:5], v[36:37]
	s_waitcnt vmcnt(8) lgkmcnt(0)
	v_mul_f64 v[177:178], v[42:43], v[167:168]
	v_add_f64 v[173:174], v[173:174], v[181:182]
	v_add_f64 v[175:176], v[175:176], v[179:180]
	v_mul_f64 v[179:180], v[44:45], v[167:168]
	v_fma_f64 v[181:182], v[4:5], v[34:35], v[183:184]
	v_fma_f64 v[183:184], v[2:3], v[34:35], -v[36:37]
	ds_load_b128 v[2:5], v1 offset:992
	scratch_load_b128 v[34:37], off, off offset:512
	v_fma_f64 v[44:45], v[44:45], v[165:166], v[177:178]
	v_add_f64 v[173:174], v[173:174], v[169:170]
	v_add_f64 v[171:172], v[175:176], v[171:172]
	ds_load_b128 v[167:170], v1 offset:1008
	v_fma_f64 v[165:166], v[42:43], v[165:166], -v[179:180]
	s_waitcnt vmcnt(8) lgkmcnt(1)
	v_mul_f64 v[175:176], v[2:3], v[40:41]
	v_mul_f64 v[185:186], v[4:5], v[40:41]
	scratch_load_b128 v[40:43], off, off offset:528
	s_waitcnt vmcnt(8) lgkmcnt(0)
	v_mul_f64 v[179:180], v[167:168], v[8:9]
	v_mul_f64 v[8:9], v[169:170], v[8:9]
	v_add_f64 v[173:174], v[173:174], v[183:184]
	v_add_f64 v[171:172], v[171:172], v[181:182]
	v_fma_f64 v[181:182], v[4:5], v[38:39], v[175:176]
	v_fma_f64 v[38:39], v[2:3], v[38:39], -v[185:186]
	ds_load_b128 v[2:5], v1 offset:1024
	ds_load_b128 v[175:178], v1 offset:1040
	v_fma_f64 v[169:170], v[169:170], v[6:7], v[179:180]
	v_fma_f64 v[167:168], v[167:168], v[6:7], -v[8:9]
	scratch_load_b128 v[6:9], off, off offset:560
	v_add_f64 v[165:166], v[173:174], v[165:166]
	v_add_f64 v[44:45], v[171:172], v[44:45]
	scratch_load_b128 v[171:174], off, off offset:544
	s_waitcnt vmcnt(9) lgkmcnt(1)
	v_mul_f64 v[183:184], v[2:3], v[12:13]
	v_mul_f64 v[12:13], v[4:5], v[12:13]
	s_waitcnt vmcnt(8) lgkmcnt(0)
	v_mul_f64 v[179:180], v[175:176], v[16:17]
	v_mul_f64 v[16:17], v[177:178], v[16:17]
	v_add_f64 v[38:39], v[165:166], v[38:39]
	v_add_f64 v[44:45], v[44:45], v[181:182]
	v_fma_f64 v[181:182], v[4:5], v[10:11], v[183:184]
	v_fma_f64 v[183:184], v[2:3], v[10:11], -v[12:13]
	ds_load_b128 v[2:5], v1 offset:1056
	scratch_load_b128 v[10:13], off, off offset:576
	v_fma_f64 v[177:178], v[177:178], v[14:15], v[179:180]
	v_fma_f64 v[175:176], v[175:176], v[14:15], -v[16:17]
	scratch_load_b128 v[14:17], off, off offset:592
	v_add_f64 v[38:39], v[38:39], v[167:168]
	v_add_f64 v[44:45], v[44:45], v[169:170]
	ds_load_b128 v[165:168], v1 offset:1072
	s_waitcnt vmcnt(9) lgkmcnt(1)
	v_mul_f64 v[169:170], v[2:3], v[20:21]
	v_mul_f64 v[20:21], v[4:5], v[20:21]
	s_waitcnt vmcnt(8) lgkmcnt(0)
	v_mul_f64 v[179:180], v[165:166], v[24:25]
	v_mul_f64 v[24:25], v[167:168], v[24:25]
	v_add_f64 v[38:39], v[38:39], v[183:184]
	v_add_f64 v[44:45], v[44:45], v[181:182]
	v_fma_f64 v[169:170], v[4:5], v[18:19], v[169:170]
	v_fma_f64 v[181:182], v[2:3], v[18:19], -v[20:21]
	ds_load_b128 v[2:5], v1 offset:1088
	ds_load_b128 v[18:21], v1 offset:1104
	v_fma_f64 v[167:168], v[167:168], v[22:23], v[179:180]
	v_fma_f64 v[22:23], v[165:166], v[22:23], -v[24:25]
	v_add_f64 v[38:39], v[38:39], v[175:176]
	v_add_f64 v[44:45], v[44:45], v[177:178]
	s_waitcnt vmcnt(7) lgkmcnt(1)
	v_mul_f64 v[175:176], v[2:3], v[28:29]
	v_mul_f64 v[28:29], v[4:5], v[28:29]
	s_delay_alu instid0(VALU_DEP_4) | instskip(NEXT) | instid1(VALU_DEP_4)
	v_add_f64 v[24:25], v[38:39], v[181:182]
	v_add_f64 v[38:39], v[44:45], v[169:170]
	s_waitcnt vmcnt(6) lgkmcnt(0)
	v_mul_f64 v[44:45], v[18:19], v[32:33]
	v_mul_f64 v[32:33], v[20:21], v[32:33]
	v_fma_f64 v[165:166], v[4:5], v[26:27], v[175:176]
	v_fma_f64 v[26:27], v[2:3], v[26:27], -v[28:29]
	v_add_f64 v[28:29], v[24:25], v[22:23]
	v_add_f64 v[38:39], v[38:39], v[167:168]
	ds_load_b128 v[2:5], v1 offset:1120
	ds_load_b128 v[22:25], v1 offset:1136
	v_fma_f64 v[20:21], v[20:21], v[30:31], v[44:45]
	v_fma_f64 v[18:19], v[18:19], v[30:31], -v[32:33]
	s_waitcnt vmcnt(5) lgkmcnt(1)
	v_mul_f64 v[167:168], v[2:3], v[36:37]
	v_mul_f64 v[36:37], v[4:5], v[36:37]
	s_waitcnt vmcnt(4) lgkmcnt(0)
	v_mul_f64 v[30:31], v[22:23], v[42:43]
	v_add_f64 v[26:27], v[28:29], v[26:27]
	v_add_f64 v[28:29], v[38:39], v[165:166]
	v_mul_f64 v[32:33], v[24:25], v[42:43]
	v_fma_f64 v[38:39], v[4:5], v[34:35], v[167:168]
	v_fma_f64 v[34:35], v[2:3], v[34:35], -v[36:37]
	v_fma_f64 v[24:25], v[24:25], v[40:41], v[30:31]
	v_add_f64 v[26:27], v[26:27], v[18:19]
	v_add_f64 v[28:29], v[28:29], v[20:21]
	ds_load_b128 v[2:5], v1 offset:1152
	ds_load_b128 v[18:21], v1 offset:1168
	v_fma_f64 v[22:23], v[22:23], v[40:41], -v[32:33]
	s_waitcnt vmcnt(2) lgkmcnt(1)
	v_mul_f64 v[36:37], v[2:3], v[173:174]
	v_mul_f64 v[42:43], v[4:5], v[173:174]
	s_waitcnt lgkmcnt(0)
	v_mul_f64 v[30:31], v[18:19], v[8:9]
	v_mul_f64 v[8:9], v[20:21], v[8:9]
	v_add_f64 v[26:27], v[26:27], v[34:35]
	v_add_f64 v[28:29], v[28:29], v[38:39]
	v_fma_f64 v[32:33], v[4:5], v[171:172], v[36:37]
	v_fma_f64 v[34:35], v[2:3], v[171:172], -v[42:43]
	v_fma_f64 v[20:21], v[20:21], v[6:7], v[30:31]
	v_fma_f64 v[6:7], v[18:19], v[6:7], -v[8:9]
	v_add_f64 v[26:27], v[26:27], v[22:23]
	v_add_f64 v[28:29], v[28:29], v[24:25]
	ds_load_b128 v[2:5], v1 offset:1184
	ds_load_b128 v[22:25], v1 offset:1200
	s_waitcnt vmcnt(1) lgkmcnt(1)
	v_mul_f64 v[36:37], v[2:3], v[12:13]
	v_mul_f64 v[12:13], v[4:5], v[12:13]
	v_add_f64 v[8:9], v[26:27], v[34:35]
	v_add_f64 v[18:19], v[28:29], v[32:33]
	s_waitcnt vmcnt(0) lgkmcnt(0)
	v_mul_f64 v[26:27], v[22:23], v[16:17]
	v_mul_f64 v[16:17], v[24:25], v[16:17]
	v_fma_f64 v[4:5], v[4:5], v[10:11], v[36:37]
	v_fma_f64 v[1:2], v[2:3], v[10:11], -v[12:13]
	v_add_f64 v[6:7], v[8:9], v[6:7]
	v_add_f64 v[8:9], v[18:19], v[20:21]
	v_fma_f64 v[10:11], v[24:25], v[14:15], v[26:27]
	v_fma_f64 v[12:13], v[22:23], v[14:15], -v[16:17]
	s_delay_alu instid0(VALU_DEP_4) | instskip(NEXT) | instid1(VALU_DEP_4)
	v_add_f64 v[1:2], v[6:7], v[1:2]
	v_add_f64 v[3:4], v[8:9], v[4:5]
	s_delay_alu instid0(VALU_DEP_2) | instskip(NEXT) | instid1(VALU_DEP_2)
	v_add_f64 v[1:2], v[1:2], v[12:13]
	v_add_f64 v[3:4], v[3:4], v[10:11]
	s_delay_alu instid0(VALU_DEP_2) | instskip(NEXT) | instid1(VALU_DEP_2)
	v_add_f64 v[1:2], v[161:162], -v[1:2]
	v_add_f64 v[3:4], v[163:164], -v[3:4]
	scratch_store_b128 off, v[1:4], off offset:208
	v_cmpx_lt_u32_e32 12, v122
	s_cbranch_execz .LBB37_217
; %bb.216:
	scratch_load_b128 v[1:4], v152, off
	v_mov_b32_e32 v5, 0
	s_delay_alu instid0(VALU_DEP_1)
	v_mov_b32_e32 v6, v5
	v_mov_b32_e32 v7, v5
	;; [unrolled: 1-line block ×3, first 2 shown]
	scratch_store_b128 off, v[5:8], off offset:192
	s_waitcnt vmcnt(0)
	ds_store_b128 v160, v[1:4]
.LBB37_217:
	s_or_b32 exec_lo, exec_lo, s2
	s_waitcnt lgkmcnt(0)
	s_waitcnt_vscnt null, 0x0
	s_barrier
	buffer_gl0_inv
	s_clause 0x7
	scratch_load_b128 v[2:5], off, off offset:208
	scratch_load_b128 v[6:9], off, off offset:224
	;; [unrolled: 1-line block ×8, first 2 shown]
	v_mov_b32_e32 v1, 0
	s_mov_b32 s2, exec_lo
	ds_load_b128 v[34:37], v1 offset:816
	s_clause 0x1
	scratch_load_b128 v[38:41], off, off offset:336
	scratch_load_b128 v[42:45], off, off offset:192
	ds_load_b128 v[161:164], v1 offset:832
	scratch_load_b128 v[165:168], off, off offset:352
	s_waitcnt vmcnt(10) lgkmcnt(1)
	v_mul_f64 v[169:170], v[36:37], v[4:5]
	v_mul_f64 v[4:5], v[34:35], v[4:5]
	s_delay_alu instid0(VALU_DEP_2) | instskip(NEXT) | instid1(VALU_DEP_2)
	v_fma_f64 v[175:176], v[34:35], v[2:3], -v[169:170]
	v_fma_f64 v[177:178], v[36:37], v[2:3], v[4:5]
	scratch_load_b128 v[34:37], off, off offset:368
	ds_load_b128 v[2:5], v1 offset:848
	s_waitcnt vmcnt(10) lgkmcnt(1)
	v_mul_f64 v[173:174], v[161:162], v[8:9]
	v_mul_f64 v[8:9], v[163:164], v[8:9]
	ds_load_b128 v[169:172], v1 offset:864
	s_waitcnt vmcnt(9) lgkmcnt(1)
	v_mul_f64 v[179:180], v[2:3], v[12:13]
	v_mul_f64 v[12:13], v[4:5], v[12:13]
	v_fma_f64 v[163:164], v[163:164], v[6:7], v[173:174]
	v_fma_f64 v[161:162], v[161:162], v[6:7], -v[8:9]
	v_add_f64 v[173:174], v[175:176], 0
	v_add_f64 v[175:176], v[177:178], 0
	scratch_load_b128 v[6:9], off, off offset:384
	v_fma_f64 v[179:180], v[4:5], v[10:11], v[179:180]
	v_fma_f64 v[181:182], v[2:3], v[10:11], -v[12:13]
	scratch_load_b128 v[10:13], off, off offset:400
	ds_load_b128 v[2:5], v1 offset:880
	s_waitcnt vmcnt(10) lgkmcnt(1)
	v_mul_f64 v[177:178], v[169:170], v[16:17]
	v_mul_f64 v[16:17], v[171:172], v[16:17]
	v_add_f64 v[173:174], v[173:174], v[161:162]
	v_add_f64 v[175:176], v[175:176], v[163:164]
	s_waitcnt vmcnt(9) lgkmcnt(0)
	v_mul_f64 v[183:184], v[2:3], v[20:21]
	v_mul_f64 v[20:21], v[4:5], v[20:21]
	ds_load_b128 v[161:164], v1 offset:896
	v_fma_f64 v[171:172], v[171:172], v[14:15], v[177:178]
	v_fma_f64 v[169:170], v[169:170], v[14:15], -v[16:17]
	scratch_load_b128 v[14:17], off, off offset:416
	v_add_f64 v[173:174], v[173:174], v[181:182]
	v_add_f64 v[175:176], v[175:176], v[179:180]
	v_fma_f64 v[179:180], v[4:5], v[18:19], v[183:184]
	v_fma_f64 v[181:182], v[2:3], v[18:19], -v[20:21]
	scratch_load_b128 v[18:21], off, off offset:432
	ds_load_b128 v[2:5], v1 offset:912
	s_waitcnt vmcnt(10) lgkmcnt(1)
	v_mul_f64 v[177:178], v[161:162], v[24:25]
	v_mul_f64 v[24:25], v[163:164], v[24:25]
	s_waitcnt vmcnt(9) lgkmcnt(0)
	v_mul_f64 v[183:184], v[2:3], v[28:29]
	v_mul_f64 v[28:29], v[4:5], v[28:29]
	v_add_f64 v[173:174], v[173:174], v[169:170]
	v_add_f64 v[175:176], v[175:176], v[171:172]
	ds_load_b128 v[169:172], v1 offset:928
	v_fma_f64 v[163:164], v[163:164], v[22:23], v[177:178]
	v_fma_f64 v[161:162], v[161:162], v[22:23], -v[24:25]
	scratch_load_b128 v[22:25], off, off offset:448
	v_add_f64 v[173:174], v[173:174], v[181:182]
	v_add_f64 v[175:176], v[175:176], v[179:180]
	v_fma_f64 v[179:180], v[4:5], v[26:27], v[183:184]
	v_fma_f64 v[181:182], v[2:3], v[26:27], -v[28:29]
	scratch_load_b128 v[26:29], off, off offset:464
	ds_load_b128 v[2:5], v1 offset:944
	s_waitcnt vmcnt(10) lgkmcnt(1)
	v_mul_f64 v[177:178], v[169:170], v[32:33]
	v_mul_f64 v[32:33], v[171:172], v[32:33]
	s_waitcnt vmcnt(9) lgkmcnt(0)
	v_mul_f64 v[183:184], v[2:3], v[40:41]
	v_mul_f64 v[40:41], v[4:5], v[40:41]
	v_add_f64 v[173:174], v[173:174], v[161:162]
	v_add_f64 v[175:176], v[175:176], v[163:164]
	ds_load_b128 v[161:164], v1 offset:960
	v_fma_f64 v[171:172], v[171:172], v[30:31], v[177:178]
	v_fma_f64 v[169:170], v[169:170], v[30:31], -v[32:33]
	scratch_load_b128 v[30:33], off, off offset:480
	v_add_f64 v[173:174], v[173:174], v[181:182]
	v_add_f64 v[175:176], v[175:176], v[179:180]
	v_fma_f64 v[181:182], v[4:5], v[38:39], v[183:184]
	v_fma_f64 v[183:184], v[2:3], v[38:39], -v[40:41]
	scratch_load_b128 v[38:41], off, off offset:496
	ds_load_b128 v[2:5], v1 offset:976
	s_waitcnt vmcnt(9) lgkmcnt(1)
	v_mul_f64 v[177:178], v[161:162], v[167:168]
	v_mul_f64 v[179:180], v[163:164], v[167:168]
	v_add_f64 v[173:174], v[173:174], v[169:170]
	v_add_f64 v[171:172], v[175:176], v[171:172]
	ds_load_b128 v[167:170], v1 offset:992
	v_fma_f64 v[177:178], v[163:164], v[165:166], v[177:178]
	v_fma_f64 v[165:166], v[161:162], v[165:166], -v[179:180]
	scratch_load_b128 v[161:164], off, off offset:512
	s_waitcnt vmcnt(9) lgkmcnt(1)
	v_mul_f64 v[175:176], v[2:3], v[36:37]
	v_mul_f64 v[36:37], v[4:5], v[36:37]
	v_add_f64 v[173:174], v[173:174], v[183:184]
	v_add_f64 v[171:172], v[171:172], v[181:182]
	s_delay_alu instid0(VALU_DEP_4) | instskip(NEXT) | instid1(VALU_DEP_4)
	v_fma_f64 v[175:176], v[4:5], v[34:35], v[175:176]
	v_fma_f64 v[181:182], v[2:3], v[34:35], -v[36:37]
	scratch_load_b128 v[34:37], off, off offset:528
	ds_load_b128 v[2:5], v1 offset:1008
	s_waitcnt vmcnt(9) lgkmcnt(1)
	v_mul_f64 v[179:180], v[167:168], v[8:9]
	v_mul_f64 v[8:9], v[169:170], v[8:9]
	s_waitcnt vmcnt(8) lgkmcnt(0)
	v_mul_f64 v[183:184], v[2:3], v[12:13]
	v_mul_f64 v[12:13], v[4:5], v[12:13]
	v_add_f64 v[165:166], v[173:174], v[165:166]
	v_add_f64 v[177:178], v[171:172], v[177:178]
	ds_load_b128 v[171:174], v1 offset:1024
	v_fma_f64 v[169:170], v[169:170], v[6:7], v[179:180]
	v_fma_f64 v[167:168], v[167:168], v[6:7], -v[8:9]
	scratch_load_b128 v[6:9], off, off offset:544
	v_fma_f64 v[179:180], v[4:5], v[10:11], v[183:184]
	v_add_f64 v[165:166], v[165:166], v[181:182]
	v_add_f64 v[175:176], v[177:178], v[175:176]
	v_fma_f64 v[181:182], v[2:3], v[10:11], -v[12:13]
	scratch_load_b128 v[10:13], off, off offset:560
	ds_load_b128 v[2:5], v1 offset:1040
	s_waitcnt vmcnt(9) lgkmcnt(1)
	v_mul_f64 v[177:178], v[171:172], v[16:17]
	v_mul_f64 v[16:17], v[173:174], v[16:17]
	v_add_f64 v[183:184], v[165:166], v[167:168]
	v_add_f64 v[169:170], v[175:176], v[169:170]
	s_waitcnt vmcnt(8) lgkmcnt(0)
	v_mul_f64 v[175:176], v[2:3], v[20:21]
	v_mul_f64 v[20:21], v[4:5], v[20:21]
	ds_load_b128 v[165:168], v1 offset:1056
	v_fma_f64 v[173:174], v[173:174], v[14:15], v[177:178]
	v_fma_f64 v[171:172], v[171:172], v[14:15], -v[16:17]
	scratch_load_b128 v[14:17], off, off offset:576
	v_add_f64 v[177:178], v[183:184], v[181:182]
	v_add_f64 v[169:170], v[169:170], v[179:180]
	v_fma_f64 v[175:176], v[4:5], v[18:19], v[175:176]
	v_fma_f64 v[181:182], v[2:3], v[18:19], -v[20:21]
	scratch_load_b128 v[18:21], off, off offset:592
	ds_load_b128 v[2:5], v1 offset:1072
	s_waitcnt vmcnt(9) lgkmcnt(1)
	v_mul_f64 v[179:180], v[165:166], v[24:25]
	v_mul_f64 v[24:25], v[167:168], v[24:25]
	s_waitcnt vmcnt(8) lgkmcnt(0)
	v_mul_f64 v[183:184], v[2:3], v[28:29]
	v_mul_f64 v[28:29], v[4:5], v[28:29]
	v_add_f64 v[177:178], v[177:178], v[171:172]
	v_add_f64 v[173:174], v[169:170], v[173:174]
	ds_load_b128 v[169:172], v1 offset:1088
	v_fma_f64 v[167:168], v[167:168], v[22:23], v[179:180]
	v_fma_f64 v[22:23], v[165:166], v[22:23], -v[24:25]
	v_add_f64 v[24:25], v[177:178], v[181:182]
	v_add_f64 v[165:166], v[173:174], v[175:176]
	s_waitcnt vmcnt(7) lgkmcnt(0)
	v_mul_f64 v[173:174], v[169:170], v[32:33]
	v_mul_f64 v[32:33], v[171:172], v[32:33]
	v_fma_f64 v[175:176], v[4:5], v[26:27], v[183:184]
	v_fma_f64 v[26:27], v[2:3], v[26:27], -v[28:29]
	v_add_f64 v[28:29], v[24:25], v[22:23]
	v_add_f64 v[165:166], v[165:166], v[167:168]
	ds_load_b128 v[2:5], v1 offset:1104
	ds_load_b128 v[22:25], v1 offset:1120
	v_fma_f64 v[171:172], v[171:172], v[30:31], v[173:174]
	v_fma_f64 v[30:31], v[169:170], v[30:31], -v[32:33]
	s_waitcnt vmcnt(6) lgkmcnt(1)
	v_mul_f64 v[167:168], v[2:3], v[40:41]
	v_mul_f64 v[40:41], v[4:5], v[40:41]
	s_waitcnt vmcnt(5) lgkmcnt(0)
	v_mul_f64 v[32:33], v[22:23], v[163:164]
	v_mul_f64 v[163:164], v[24:25], v[163:164]
	v_add_f64 v[26:27], v[28:29], v[26:27]
	v_add_f64 v[28:29], v[165:166], v[175:176]
	v_fma_f64 v[165:166], v[4:5], v[38:39], v[167:168]
	v_fma_f64 v[38:39], v[2:3], v[38:39], -v[40:41]
	v_fma_f64 v[24:25], v[24:25], v[161:162], v[32:33]
	v_fma_f64 v[22:23], v[22:23], v[161:162], -v[163:164]
	v_add_f64 v[30:31], v[26:27], v[30:31]
	v_add_f64 v[40:41], v[28:29], v[171:172]
	ds_load_b128 v[2:5], v1 offset:1136
	ds_load_b128 v[26:29], v1 offset:1152
	s_waitcnt vmcnt(4) lgkmcnt(1)
	v_mul_f64 v[167:168], v[2:3], v[36:37]
	v_mul_f64 v[36:37], v[4:5], v[36:37]
	v_add_f64 v[30:31], v[30:31], v[38:39]
	v_add_f64 v[32:33], v[40:41], v[165:166]
	s_waitcnt vmcnt(3) lgkmcnt(0)
	v_mul_f64 v[38:39], v[26:27], v[8:9]
	v_mul_f64 v[8:9], v[28:29], v[8:9]
	v_fma_f64 v[40:41], v[4:5], v[34:35], v[167:168]
	v_fma_f64 v[34:35], v[2:3], v[34:35], -v[36:37]
	v_add_f64 v[30:31], v[30:31], v[22:23]
	v_add_f64 v[32:33], v[32:33], v[24:25]
	ds_load_b128 v[2:5], v1 offset:1168
	ds_load_b128 v[22:25], v1 offset:1184
	v_fma_f64 v[28:29], v[28:29], v[6:7], v[38:39]
	v_fma_f64 v[6:7], v[26:27], v[6:7], -v[8:9]
	s_waitcnt vmcnt(2) lgkmcnt(1)
	v_mul_f64 v[36:37], v[2:3], v[12:13]
	v_mul_f64 v[12:13], v[4:5], v[12:13]
	v_add_f64 v[8:9], v[30:31], v[34:35]
	v_add_f64 v[26:27], v[32:33], v[40:41]
	s_waitcnt vmcnt(1) lgkmcnt(0)
	v_mul_f64 v[30:31], v[22:23], v[16:17]
	v_mul_f64 v[16:17], v[24:25], v[16:17]
	v_fma_f64 v[32:33], v[4:5], v[10:11], v[36:37]
	v_fma_f64 v[10:11], v[2:3], v[10:11], -v[12:13]
	ds_load_b128 v[2:5], v1 offset:1200
	v_add_f64 v[6:7], v[8:9], v[6:7]
	v_add_f64 v[8:9], v[26:27], v[28:29]
	v_fma_f64 v[24:25], v[24:25], v[14:15], v[30:31]
	v_fma_f64 v[14:15], v[22:23], v[14:15], -v[16:17]
	s_waitcnt vmcnt(0) lgkmcnt(0)
	v_mul_f64 v[12:13], v[2:3], v[20:21]
	v_mul_f64 v[20:21], v[4:5], v[20:21]
	v_add_f64 v[6:7], v[6:7], v[10:11]
	v_add_f64 v[8:9], v[8:9], v[32:33]
	s_delay_alu instid0(VALU_DEP_4) | instskip(NEXT) | instid1(VALU_DEP_4)
	v_fma_f64 v[4:5], v[4:5], v[18:19], v[12:13]
	v_fma_f64 v[2:3], v[2:3], v[18:19], -v[20:21]
	s_delay_alu instid0(VALU_DEP_4) | instskip(NEXT) | instid1(VALU_DEP_4)
	v_add_f64 v[6:7], v[6:7], v[14:15]
	v_add_f64 v[8:9], v[8:9], v[24:25]
	s_delay_alu instid0(VALU_DEP_2) | instskip(NEXT) | instid1(VALU_DEP_2)
	v_add_f64 v[2:3], v[6:7], v[2:3]
	v_add_f64 v[4:5], v[8:9], v[4:5]
	s_delay_alu instid0(VALU_DEP_2) | instskip(NEXT) | instid1(VALU_DEP_2)
	v_add_f64 v[2:3], v[42:43], -v[2:3]
	v_add_f64 v[4:5], v[44:45], -v[4:5]
	scratch_store_b128 off, v[2:5], off offset:192
	v_cmpx_lt_u32_e32 11, v122
	s_cbranch_execz .LBB37_219
; %bb.218:
	scratch_load_b128 v[5:8], v154, off
	v_mov_b32_e32 v2, v1
	v_mov_b32_e32 v3, v1
	;; [unrolled: 1-line block ×3, first 2 shown]
	scratch_store_b128 off, v[1:4], off offset:176
	s_waitcnt vmcnt(0)
	ds_store_b128 v160, v[5:8]
.LBB37_219:
	s_or_b32 exec_lo, exec_lo, s2
	s_waitcnt lgkmcnt(0)
	s_waitcnt_vscnt null, 0x0
	s_barrier
	buffer_gl0_inv
	s_clause 0x8
	scratch_load_b128 v[2:5], off, off offset:192
	scratch_load_b128 v[6:9], off, off offset:208
	;; [unrolled: 1-line block ×9, first 2 shown]
	ds_load_b128 v[38:41], v1 offset:800
	ds_load_b128 v[42:45], v1 offset:816
	s_clause 0x1
	scratch_load_b128 v[161:164], off, off offset:176
	scratch_load_b128 v[165:168], off, off offset:336
	s_mov_b32 s2, exec_lo
	s_waitcnt vmcnt(10) lgkmcnt(1)
	v_mul_f64 v[169:170], v[40:41], v[4:5]
	v_mul_f64 v[4:5], v[38:39], v[4:5]
	s_waitcnt vmcnt(9) lgkmcnt(0)
	v_mul_f64 v[173:174], v[42:43], v[8:9]
	v_mul_f64 v[8:9], v[44:45], v[8:9]
	s_delay_alu instid0(VALU_DEP_4) | instskip(NEXT) | instid1(VALU_DEP_4)
	v_fma_f64 v[175:176], v[38:39], v[2:3], -v[169:170]
	v_fma_f64 v[177:178], v[40:41], v[2:3], v[4:5]
	ds_load_b128 v[2:5], v1 offset:832
	ds_load_b128 v[169:172], v1 offset:848
	scratch_load_b128 v[38:41], off, off offset:352
	v_fma_f64 v[44:45], v[44:45], v[6:7], v[173:174]
	v_fma_f64 v[42:43], v[42:43], v[6:7], -v[8:9]
	scratch_load_b128 v[6:9], off, off offset:368
	s_waitcnt vmcnt(10) lgkmcnt(1)
	v_mul_f64 v[179:180], v[2:3], v[12:13]
	v_mul_f64 v[12:13], v[4:5], v[12:13]
	v_add_f64 v[173:174], v[175:176], 0
	v_add_f64 v[175:176], v[177:178], 0
	s_waitcnt vmcnt(9) lgkmcnt(0)
	v_mul_f64 v[177:178], v[169:170], v[16:17]
	v_mul_f64 v[16:17], v[171:172], v[16:17]
	v_fma_f64 v[179:180], v[4:5], v[10:11], v[179:180]
	v_fma_f64 v[181:182], v[2:3], v[10:11], -v[12:13]
	ds_load_b128 v[2:5], v1 offset:864
	scratch_load_b128 v[10:13], off, off offset:384
	v_add_f64 v[173:174], v[173:174], v[42:43]
	v_add_f64 v[175:176], v[175:176], v[44:45]
	ds_load_b128 v[42:45], v1 offset:880
	v_fma_f64 v[171:172], v[171:172], v[14:15], v[177:178]
	v_fma_f64 v[169:170], v[169:170], v[14:15], -v[16:17]
	scratch_load_b128 v[14:17], off, off offset:400
	s_waitcnt vmcnt(10) lgkmcnt(1)
	v_mul_f64 v[183:184], v[2:3], v[20:21]
	v_mul_f64 v[20:21], v[4:5], v[20:21]
	s_waitcnt vmcnt(9) lgkmcnt(0)
	v_mul_f64 v[177:178], v[42:43], v[24:25]
	v_mul_f64 v[24:25], v[44:45], v[24:25]
	v_add_f64 v[173:174], v[173:174], v[181:182]
	v_add_f64 v[175:176], v[175:176], v[179:180]
	v_fma_f64 v[179:180], v[4:5], v[18:19], v[183:184]
	v_fma_f64 v[181:182], v[2:3], v[18:19], -v[20:21]
	ds_load_b128 v[2:5], v1 offset:896
	scratch_load_b128 v[18:21], off, off offset:416
	v_fma_f64 v[44:45], v[44:45], v[22:23], v[177:178]
	v_fma_f64 v[42:43], v[42:43], v[22:23], -v[24:25]
	scratch_load_b128 v[22:25], off, off offset:432
	v_add_f64 v[173:174], v[173:174], v[169:170]
	v_add_f64 v[175:176], v[175:176], v[171:172]
	ds_load_b128 v[169:172], v1 offset:912
	s_waitcnt vmcnt(10) lgkmcnt(1)
	v_mul_f64 v[183:184], v[2:3], v[28:29]
	v_mul_f64 v[28:29], v[4:5], v[28:29]
	s_waitcnt vmcnt(9) lgkmcnt(0)
	v_mul_f64 v[177:178], v[169:170], v[32:33]
	v_mul_f64 v[32:33], v[171:172], v[32:33]
	v_add_f64 v[173:174], v[173:174], v[181:182]
	v_add_f64 v[175:176], v[175:176], v[179:180]
	v_fma_f64 v[179:180], v[4:5], v[26:27], v[183:184]
	v_fma_f64 v[181:182], v[2:3], v[26:27], -v[28:29]
	ds_load_b128 v[2:5], v1 offset:928
	scratch_load_b128 v[26:29], off, off offset:448
	v_fma_f64 v[171:172], v[171:172], v[30:31], v[177:178]
	v_fma_f64 v[169:170], v[169:170], v[30:31], -v[32:33]
	scratch_load_b128 v[30:33], off, off offset:464
	v_add_f64 v[173:174], v[173:174], v[42:43]
	v_add_f64 v[175:176], v[175:176], v[44:45]
	ds_load_b128 v[42:45], v1 offset:944
	s_waitcnt vmcnt(10) lgkmcnt(1)
	v_mul_f64 v[183:184], v[2:3], v[36:37]
	v_mul_f64 v[36:37], v[4:5], v[36:37]
	s_waitcnt vmcnt(8) lgkmcnt(0)
	v_mul_f64 v[177:178], v[42:43], v[167:168]
	v_add_f64 v[173:174], v[173:174], v[181:182]
	v_add_f64 v[175:176], v[175:176], v[179:180]
	v_mul_f64 v[179:180], v[44:45], v[167:168]
	v_fma_f64 v[181:182], v[4:5], v[34:35], v[183:184]
	v_fma_f64 v[183:184], v[2:3], v[34:35], -v[36:37]
	ds_load_b128 v[2:5], v1 offset:960
	scratch_load_b128 v[34:37], off, off offset:480
	v_fma_f64 v[44:45], v[44:45], v[165:166], v[177:178]
	v_add_f64 v[173:174], v[173:174], v[169:170]
	v_add_f64 v[171:172], v[175:176], v[171:172]
	ds_load_b128 v[167:170], v1 offset:976
	v_fma_f64 v[165:166], v[42:43], v[165:166], -v[179:180]
	s_waitcnt vmcnt(8) lgkmcnt(1)
	v_mul_f64 v[175:176], v[2:3], v[40:41]
	v_mul_f64 v[185:186], v[4:5], v[40:41]
	scratch_load_b128 v[40:43], off, off offset:496
	s_waitcnt vmcnt(8) lgkmcnt(0)
	v_mul_f64 v[179:180], v[167:168], v[8:9]
	v_mul_f64 v[8:9], v[169:170], v[8:9]
	v_add_f64 v[173:174], v[173:174], v[183:184]
	v_add_f64 v[171:172], v[171:172], v[181:182]
	v_fma_f64 v[181:182], v[4:5], v[38:39], v[175:176]
	v_fma_f64 v[38:39], v[2:3], v[38:39], -v[185:186]
	ds_load_b128 v[2:5], v1 offset:992
	ds_load_b128 v[175:178], v1 offset:1008
	v_fma_f64 v[169:170], v[169:170], v[6:7], v[179:180]
	v_fma_f64 v[167:168], v[167:168], v[6:7], -v[8:9]
	scratch_load_b128 v[6:9], off, off offset:528
	v_add_f64 v[165:166], v[173:174], v[165:166]
	v_add_f64 v[44:45], v[171:172], v[44:45]
	scratch_load_b128 v[171:174], off, off offset:512
	s_waitcnt vmcnt(9) lgkmcnt(1)
	v_mul_f64 v[183:184], v[2:3], v[12:13]
	v_mul_f64 v[12:13], v[4:5], v[12:13]
	s_waitcnt vmcnt(8) lgkmcnt(0)
	v_mul_f64 v[179:180], v[175:176], v[16:17]
	v_mul_f64 v[16:17], v[177:178], v[16:17]
	v_add_f64 v[38:39], v[165:166], v[38:39]
	v_add_f64 v[44:45], v[44:45], v[181:182]
	v_fma_f64 v[181:182], v[4:5], v[10:11], v[183:184]
	v_fma_f64 v[183:184], v[2:3], v[10:11], -v[12:13]
	ds_load_b128 v[2:5], v1 offset:1024
	scratch_load_b128 v[10:13], off, off offset:544
	v_fma_f64 v[177:178], v[177:178], v[14:15], v[179:180]
	v_fma_f64 v[175:176], v[175:176], v[14:15], -v[16:17]
	scratch_load_b128 v[14:17], off, off offset:560
	v_add_f64 v[38:39], v[38:39], v[167:168]
	v_add_f64 v[44:45], v[44:45], v[169:170]
	ds_load_b128 v[165:168], v1 offset:1040
	s_waitcnt vmcnt(9) lgkmcnt(1)
	v_mul_f64 v[169:170], v[2:3], v[20:21]
	v_mul_f64 v[20:21], v[4:5], v[20:21]
	s_waitcnt vmcnt(8) lgkmcnt(0)
	v_mul_f64 v[179:180], v[165:166], v[24:25]
	v_mul_f64 v[24:25], v[167:168], v[24:25]
	v_add_f64 v[38:39], v[38:39], v[183:184]
	v_add_f64 v[44:45], v[44:45], v[181:182]
	v_fma_f64 v[169:170], v[4:5], v[18:19], v[169:170]
	v_fma_f64 v[181:182], v[2:3], v[18:19], -v[20:21]
	ds_load_b128 v[2:5], v1 offset:1056
	scratch_load_b128 v[18:21], off, off offset:576
	v_fma_f64 v[167:168], v[167:168], v[22:23], v[179:180]
	v_fma_f64 v[165:166], v[165:166], v[22:23], -v[24:25]
	scratch_load_b128 v[22:25], off, off offset:592
	v_add_f64 v[38:39], v[38:39], v[175:176]
	v_add_f64 v[44:45], v[44:45], v[177:178]
	ds_load_b128 v[175:178], v1 offset:1072
	s_waitcnt vmcnt(9) lgkmcnt(1)
	v_mul_f64 v[183:184], v[2:3], v[28:29]
	v_mul_f64 v[28:29], v[4:5], v[28:29]
	v_add_f64 v[38:39], v[38:39], v[181:182]
	v_add_f64 v[44:45], v[44:45], v[169:170]
	s_waitcnt vmcnt(8) lgkmcnt(0)
	v_mul_f64 v[169:170], v[175:176], v[32:33]
	v_mul_f64 v[32:33], v[177:178], v[32:33]
	v_fma_f64 v[179:180], v[4:5], v[26:27], v[183:184]
	v_fma_f64 v[181:182], v[2:3], v[26:27], -v[28:29]
	ds_load_b128 v[2:5], v1 offset:1088
	ds_load_b128 v[26:29], v1 offset:1104
	v_add_f64 v[38:39], v[38:39], v[165:166]
	v_add_f64 v[44:45], v[44:45], v[167:168]
	s_waitcnt vmcnt(7) lgkmcnt(1)
	v_mul_f64 v[165:166], v[2:3], v[36:37]
	v_mul_f64 v[36:37], v[4:5], v[36:37]
	v_fma_f64 v[167:168], v[177:178], v[30:31], v[169:170]
	v_fma_f64 v[30:31], v[175:176], v[30:31], -v[32:33]
	v_add_f64 v[32:33], v[38:39], v[181:182]
	v_add_f64 v[38:39], v[44:45], v[179:180]
	s_waitcnt vmcnt(6) lgkmcnt(0)
	v_mul_f64 v[44:45], v[26:27], v[42:43]
	v_mul_f64 v[42:43], v[28:29], v[42:43]
	v_fma_f64 v[165:166], v[4:5], v[34:35], v[165:166]
	v_fma_f64 v[34:35], v[2:3], v[34:35], -v[36:37]
	v_add_f64 v[36:37], v[32:33], v[30:31]
	v_add_f64 v[38:39], v[38:39], v[167:168]
	ds_load_b128 v[2:5], v1 offset:1120
	ds_load_b128 v[30:33], v1 offset:1136
	v_fma_f64 v[28:29], v[28:29], v[40:41], v[44:45]
	v_fma_f64 v[26:27], v[26:27], v[40:41], -v[42:43]
	s_waitcnt vmcnt(4) lgkmcnt(1)
	v_mul_f64 v[167:168], v[2:3], v[173:174]
	v_mul_f64 v[169:170], v[4:5], v[173:174]
	v_add_f64 v[34:35], v[36:37], v[34:35]
	v_add_f64 v[36:37], v[38:39], v[165:166]
	s_waitcnt lgkmcnt(0)
	v_mul_f64 v[38:39], v[30:31], v[8:9]
	v_mul_f64 v[8:9], v[32:33], v[8:9]
	v_fma_f64 v[40:41], v[4:5], v[171:172], v[167:168]
	v_fma_f64 v[42:43], v[2:3], v[171:172], -v[169:170]
	v_add_f64 v[34:35], v[34:35], v[26:27]
	v_add_f64 v[36:37], v[36:37], v[28:29]
	ds_load_b128 v[2:5], v1 offset:1152
	ds_load_b128 v[26:29], v1 offset:1168
	v_fma_f64 v[32:33], v[32:33], v[6:7], v[38:39]
	v_fma_f64 v[6:7], v[30:31], v[6:7], -v[8:9]
	s_waitcnt vmcnt(3) lgkmcnt(1)
	v_mul_f64 v[44:45], v[2:3], v[12:13]
	v_mul_f64 v[12:13], v[4:5], v[12:13]
	v_add_f64 v[8:9], v[34:35], v[42:43]
	v_add_f64 v[30:31], v[36:37], v[40:41]
	s_waitcnt vmcnt(2) lgkmcnt(0)
	v_mul_f64 v[34:35], v[26:27], v[16:17]
	v_mul_f64 v[16:17], v[28:29], v[16:17]
	v_fma_f64 v[36:37], v[4:5], v[10:11], v[44:45]
	v_fma_f64 v[10:11], v[2:3], v[10:11], -v[12:13]
	v_add_f64 v[12:13], v[8:9], v[6:7]
	v_add_f64 v[30:31], v[30:31], v[32:33]
	ds_load_b128 v[2:5], v1 offset:1184
	ds_load_b128 v[6:9], v1 offset:1200
	v_fma_f64 v[28:29], v[28:29], v[14:15], v[34:35]
	v_fma_f64 v[14:15], v[26:27], v[14:15], -v[16:17]
	s_waitcnt vmcnt(1) lgkmcnt(1)
	v_mul_f64 v[32:33], v[2:3], v[20:21]
	v_mul_f64 v[20:21], v[4:5], v[20:21]
	s_waitcnt vmcnt(0) lgkmcnt(0)
	v_mul_f64 v[16:17], v[6:7], v[24:25]
	v_mul_f64 v[24:25], v[8:9], v[24:25]
	v_add_f64 v[10:11], v[12:13], v[10:11]
	v_add_f64 v[12:13], v[30:31], v[36:37]
	v_fma_f64 v[4:5], v[4:5], v[18:19], v[32:33]
	v_fma_f64 v[1:2], v[2:3], v[18:19], -v[20:21]
	v_fma_f64 v[8:9], v[8:9], v[22:23], v[16:17]
	v_fma_f64 v[6:7], v[6:7], v[22:23], -v[24:25]
	v_add_f64 v[10:11], v[10:11], v[14:15]
	v_add_f64 v[12:13], v[12:13], v[28:29]
	s_delay_alu instid0(VALU_DEP_2) | instskip(NEXT) | instid1(VALU_DEP_2)
	v_add_f64 v[1:2], v[10:11], v[1:2]
	v_add_f64 v[3:4], v[12:13], v[4:5]
	s_delay_alu instid0(VALU_DEP_2) | instskip(NEXT) | instid1(VALU_DEP_2)
	;; [unrolled: 3-line block ×3, first 2 shown]
	v_add_f64 v[1:2], v[161:162], -v[1:2]
	v_add_f64 v[3:4], v[163:164], -v[3:4]
	scratch_store_b128 off, v[1:4], off offset:176
	v_cmpx_lt_u32_e32 10, v122
	s_cbranch_execz .LBB37_221
; %bb.220:
	scratch_load_b128 v[1:4], v153, off
	v_mov_b32_e32 v5, 0
	s_delay_alu instid0(VALU_DEP_1)
	v_mov_b32_e32 v6, v5
	v_mov_b32_e32 v7, v5
	;; [unrolled: 1-line block ×3, first 2 shown]
	scratch_store_b128 off, v[5:8], off offset:160
	s_waitcnt vmcnt(0)
	ds_store_b128 v160, v[1:4]
.LBB37_221:
	s_or_b32 exec_lo, exec_lo, s2
	s_waitcnt lgkmcnt(0)
	s_waitcnt_vscnt null, 0x0
	s_barrier
	buffer_gl0_inv
	s_clause 0x7
	scratch_load_b128 v[2:5], off, off offset:176
	scratch_load_b128 v[6:9], off, off offset:192
	scratch_load_b128 v[10:13], off, off offset:208
	scratch_load_b128 v[14:17], off, off offset:224
	scratch_load_b128 v[18:21], off, off offset:240
	scratch_load_b128 v[22:25], off, off offset:256
	scratch_load_b128 v[26:29], off, off offset:272
	scratch_load_b128 v[30:33], off, off offset:288
	v_mov_b32_e32 v1, 0
	s_mov_b32 s2, exec_lo
	ds_load_b128 v[38:41], v1 offset:784
	s_clause 0x1
	scratch_load_b128 v[34:37], off, off offset:304
	scratch_load_b128 v[42:45], off, off offset:160
	ds_load_b128 v[161:164], v1 offset:800
	scratch_load_b128 v[165:168], off, off offset:320
	s_waitcnt vmcnt(10) lgkmcnt(1)
	v_mul_f64 v[169:170], v[40:41], v[4:5]
	v_mul_f64 v[4:5], v[38:39], v[4:5]
	s_delay_alu instid0(VALU_DEP_2) | instskip(NEXT) | instid1(VALU_DEP_2)
	v_fma_f64 v[175:176], v[38:39], v[2:3], -v[169:170]
	v_fma_f64 v[177:178], v[40:41], v[2:3], v[4:5]
	scratch_load_b128 v[38:41], off, off offset:336
	ds_load_b128 v[2:5], v1 offset:816
	s_waitcnt vmcnt(10) lgkmcnt(1)
	v_mul_f64 v[173:174], v[161:162], v[8:9]
	v_mul_f64 v[8:9], v[163:164], v[8:9]
	ds_load_b128 v[169:172], v1 offset:832
	s_waitcnt vmcnt(9) lgkmcnt(1)
	v_mul_f64 v[179:180], v[2:3], v[12:13]
	v_mul_f64 v[12:13], v[4:5], v[12:13]
	v_fma_f64 v[163:164], v[163:164], v[6:7], v[173:174]
	v_fma_f64 v[161:162], v[161:162], v[6:7], -v[8:9]
	v_add_f64 v[173:174], v[175:176], 0
	v_add_f64 v[175:176], v[177:178], 0
	scratch_load_b128 v[6:9], off, off offset:352
	v_fma_f64 v[179:180], v[4:5], v[10:11], v[179:180]
	v_fma_f64 v[181:182], v[2:3], v[10:11], -v[12:13]
	scratch_load_b128 v[10:13], off, off offset:368
	ds_load_b128 v[2:5], v1 offset:848
	s_waitcnt vmcnt(10) lgkmcnt(1)
	v_mul_f64 v[177:178], v[169:170], v[16:17]
	v_mul_f64 v[16:17], v[171:172], v[16:17]
	v_add_f64 v[173:174], v[173:174], v[161:162]
	v_add_f64 v[175:176], v[175:176], v[163:164]
	s_waitcnt vmcnt(9) lgkmcnt(0)
	v_mul_f64 v[183:184], v[2:3], v[20:21]
	v_mul_f64 v[20:21], v[4:5], v[20:21]
	ds_load_b128 v[161:164], v1 offset:864
	v_fma_f64 v[171:172], v[171:172], v[14:15], v[177:178]
	v_fma_f64 v[169:170], v[169:170], v[14:15], -v[16:17]
	scratch_load_b128 v[14:17], off, off offset:384
	v_add_f64 v[173:174], v[173:174], v[181:182]
	v_add_f64 v[175:176], v[175:176], v[179:180]
	v_fma_f64 v[179:180], v[4:5], v[18:19], v[183:184]
	v_fma_f64 v[181:182], v[2:3], v[18:19], -v[20:21]
	scratch_load_b128 v[18:21], off, off offset:400
	ds_load_b128 v[2:5], v1 offset:880
	s_waitcnt vmcnt(10) lgkmcnt(1)
	v_mul_f64 v[177:178], v[161:162], v[24:25]
	v_mul_f64 v[24:25], v[163:164], v[24:25]
	s_waitcnt vmcnt(9) lgkmcnt(0)
	v_mul_f64 v[183:184], v[2:3], v[28:29]
	v_mul_f64 v[28:29], v[4:5], v[28:29]
	v_add_f64 v[173:174], v[173:174], v[169:170]
	v_add_f64 v[175:176], v[175:176], v[171:172]
	ds_load_b128 v[169:172], v1 offset:896
	v_fma_f64 v[163:164], v[163:164], v[22:23], v[177:178]
	v_fma_f64 v[161:162], v[161:162], v[22:23], -v[24:25]
	scratch_load_b128 v[22:25], off, off offset:416
	v_add_f64 v[173:174], v[173:174], v[181:182]
	v_add_f64 v[175:176], v[175:176], v[179:180]
	v_fma_f64 v[179:180], v[4:5], v[26:27], v[183:184]
	v_fma_f64 v[181:182], v[2:3], v[26:27], -v[28:29]
	scratch_load_b128 v[26:29], off, off offset:432
	ds_load_b128 v[2:5], v1 offset:912
	s_waitcnt vmcnt(10) lgkmcnt(1)
	v_mul_f64 v[177:178], v[169:170], v[32:33]
	v_mul_f64 v[32:33], v[171:172], v[32:33]
	s_waitcnt vmcnt(9) lgkmcnt(0)
	v_mul_f64 v[183:184], v[2:3], v[36:37]
	v_mul_f64 v[36:37], v[4:5], v[36:37]
	v_add_f64 v[173:174], v[173:174], v[161:162]
	v_add_f64 v[175:176], v[175:176], v[163:164]
	ds_load_b128 v[161:164], v1 offset:928
	v_fma_f64 v[171:172], v[171:172], v[30:31], v[177:178]
	v_fma_f64 v[169:170], v[169:170], v[30:31], -v[32:33]
	scratch_load_b128 v[30:33], off, off offset:448
	v_add_f64 v[173:174], v[173:174], v[181:182]
	v_add_f64 v[175:176], v[175:176], v[179:180]
	v_fma_f64 v[181:182], v[4:5], v[34:35], v[183:184]
	v_fma_f64 v[183:184], v[2:3], v[34:35], -v[36:37]
	scratch_load_b128 v[34:37], off, off offset:464
	ds_load_b128 v[2:5], v1 offset:944
	s_waitcnt vmcnt(9) lgkmcnt(1)
	v_mul_f64 v[177:178], v[161:162], v[167:168]
	v_mul_f64 v[179:180], v[163:164], v[167:168]
	v_add_f64 v[173:174], v[173:174], v[169:170]
	v_add_f64 v[171:172], v[175:176], v[171:172]
	ds_load_b128 v[167:170], v1 offset:960
	v_fma_f64 v[177:178], v[163:164], v[165:166], v[177:178]
	v_fma_f64 v[165:166], v[161:162], v[165:166], -v[179:180]
	scratch_load_b128 v[161:164], off, off offset:480
	s_waitcnt vmcnt(9) lgkmcnt(1)
	v_mul_f64 v[175:176], v[2:3], v[40:41]
	v_mul_f64 v[40:41], v[4:5], v[40:41]
	v_add_f64 v[173:174], v[173:174], v[183:184]
	v_add_f64 v[171:172], v[171:172], v[181:182]
	s_delay_alu instid0(VALU_DEP_4) | instskip(NEXT) | instid1(VALU_DEP_4)
	v_fma_f64 v[175:176], v[4:5], v[38:39], v[175:176]
	v_fma_f64 v[181:182], v[2:3], v[38:39], -v[40:41]
	scratch_load_b128 v[38:41], off, off offset:496
	ds_load_b128 v[2:5], v1 offset:976
	s_waitcnt vmcnt(9) lgkmcnt(1)
	v_mul_f64 v[179:180], v[167:168], v[8:9]
	v_mul_f64 v[8:9], v[169:170], v[8:9]
	s_waitcnt vmcnt(8) lgkmcnt(0)
	v_mul_f64 v[183:184], v[2:3], v[12:13]
	v_mul_f64 v[12:13], v[4:5], v[12:13]
	v_add_f64 v[165:166], v[173:174], v[165:166]
	v_add_f64 v[177:178], v[171:172], v[177:178]
	ds_load_b128 v[171:174], v1 offset:992
	v_fma_f64 v[169:170], v[169:170], v[6:7], v[179:180]
	v_fma_f64 v[167:168], v[167:168], v[6:7], -v[8:9]
	scratch_load_b128 v[6:9], off, off offset:512
	v_fma_f64 v[179:180], v[4:5], v[10:11], v[183:184]
	v_add_f64 v[165:166], v[165:166], v[181:182]
	v_add_f64 v[175:176], v[177:178], v[175:176]
	v_fma_f64 v[181:182], v[2:3], v[10:11], -v[12:13]
	scratch_load_b128 v[10:13], off, off offset:528
	ds_load_b128 v[2:5], v1 offset:1008
	s_waitcnt vmcnt(9) lgkmcnt(1)
	v_mul_f64 v[177:178], v[171:172], v[16:17]
	v_mul_f64 v[16:17], v[173:174], v[16:17]
	v_add_f64 v[183:184], v[165:166], v[167:168]
	v_add_f64 v[169:170], v[175:176], v[169:170]
	s_waitcnt vmcnt(8) lgkmcnt(0)
	v_mul_f64 v[175:176], v[2:3], v[20:21]
	v_mul_f64 v[20:21], v[4:5], v[20:21]
	ds_load_b128 v[165:168], v1 offset:1024
	v_fma_f64 v[173:174], v[173:174], v[14:15], v[177:178]
	v_fma_f64 v[171:172], v[171:172], v[14:15], -v[16:17]
	scratch_load_b128 v[14:17], off, off offset:544
	v_add_f64 v[177:178], v[183:184], v[181:182]
	v_add_f64 v[169:170], v[169:170], v[179:180]
	v_fma_f64 v[175:176], v[4:5], v[18:19], v[175:176]
	v_fma_f64 v[181:182], v[2:3], v[18:19], -v[20:21]
	scratch_load_b128 v[18:21], off, off offset:560
	ds_load_b128 v[2:5], v1 offset:1040
	s_waitcnt vmcnt(9) lgkmcnt(1)
	v_mul_f64 v[179:180], v[165:166], v[24:25]
	v_mul_f64 v[24:25], v[167:168], v[24:25]
	s_waitcnt vmcnt(8) lgkmcnt(0)
	v_mul_f64 v[183:184], v[2:3], v[28:29]
	v_mul_f64 v[28:29], v[4:5], v[28:29]
	v_add_f64 v[177:178], v[177:178], v[171:172]
	v_add_f64 v[173:174], v[169:170], v[173:174]
	ds_load_b128 v[169:172], v1 offset:1056
	v_fma_f64 v[167:168], v[167:168], v[22:23], v[179:180]
	v_fma_f64 v[165:166], v[165:166], v[22:23], -v[24:25]
	scratch_load_b128 v[22:25], off, off offset:576
	v_fma_f64 v[179:180], v[4:5], v[26:27], v[183:184]
	v_add_f64 v[177:178], v[177:178], v[181:182]
	v_add_f64 v[173:174], v[173:174], v[175:176]
	v_fma_f64 v[181:182], v[2:3], v[26:27], -v[28:29]
	scratch_load_b128 v[26:29], off, off offset:592
	ds_load_b128 v[2:5], v1 offset:1072
	s_waitcnt vmcnt(9) lgkmcnt(1)
	v_mul_f64 v[175:176], v[169:170], v[32:33]
	v_mul_f64 v[32:33], v[171:172], v[32:33]
	s_waitcnt vmcnt(8) lgkmcnt(0)
	v_mul_f64 v[183:184], v[2:3], v[36:37]
	v_mul_f64 v[36:37], v[4:5], v[36:37]
	v_add_f64 v[177:178], v[177:178], v[165:166]
	v_add_f64 v[173:174], v[173:174], v[167:168]
	ds_load_b128 v[165:168], v1 offset:1088
	v_fma_f64 v[171:172], v[171:172], v[30:31], v[175:176]
	v_fma_f64 v[30:31], v[169:170], v[30:31], -v[32:33]
	v_fma_f64 v[175:176], v[4:5], v[34:35], v[183:184]
	v_fma_f64 v[34:35], v[2:3], v[34:35], -v[36:37]
	v_add_f64 v[32:33], v[177:178], v[181:182]
	v_add_f64 v[169:170], v[173:174], v[179:180]
	s_waitcnt vmcnt(7) lgkmcnt(0)
	v_mul_f64 v[173:174], v[165:166], v[163:164]
	v_mul_f64 v[163:164], v[167:168], v[163:164]
	s_delay_alu instid0(VALU_DEP_4) | instskip(NEXT) | instid1(VALU_DEP_4)
	v_add_f64 v[36:37], v[32:33], v[30:31]
	v_add_f64 v[169:170], v[169:170], v[171:172]
	ds_load_b128 v[2:5], v1 offset:1104
	ds_load_b128 v[30:33], v1 offset:1120
	v_fma_f64 v[167:168], v[167:168], v[161:162], v[173:174]
	v_fma_f64 v[161:162], v[165:166], v[161:162], -v[163:164]
	s_waitcnt vmcnt(6) lgkmcnt(1)
	v_mul_f64 v[171:172], v[2:3], v[40:41]
	v_mul_f64 v[40:41], v[4:5], v[40:41]
	s_waitcnt vmcnt(5) lgkmcnt(0)
	v_mul_f64 v[163:164], v[30:31], v[8:9]
	v_mul_f64 v[8:9], v[32:33], v[8:9]
	v_add_f64 v[34:35], v[36:37], v[34:35]
	v_add_f64 v[36:37], v[169:170], v[175:176]
	v_fma_f64 v[165:166], v[4:5], v[38:39], v[171:172]
	v_fma_f64 v[38:39], v[2:3], v[38:39], -v[40:41]
	v_fma_f64 v[32:33], v[32:33], v[6:7], v[163:164]
	v_fma_f64 v[6:7], v[30:31], v[6:7], -v[8:9]
	v_add_f64 v[40:41], v[34:35], v[161:162]
	v_add_f64 v[161:162], v[36:37], v[167:168]
	ds_load_b128 v[2:5], v1 offset:1136
	ds_load_b128 v[34:37], v1 offset:1152
	s_waitcnt vmcnt(4) lgkmcnt(1)
	v_mul_f64 v[167:168], v[2:3], v[12:13]
	v_mul_f64 v[12:13], v[4:5], v[12:13]
	v_add_f64 v[8:9], v[40:41], v[38:39]
	v_add_f64 v[30:31], v[161:162], v[165:166]
	s_waitcnt vmcnt(3) lgkmcnt(0)
	v_mul_f64 v[38:39], v[34:35], v[16:17]
	v_mul_f64 v[16:17], v[36:37], v[16:17]
	v_fma_f64 v[40:41], v[4:5], v[10:11], v[167:168]
	v_fma_f64 v[10:11], v[2:3], v[10:11], -v[12:13]
	v_add_f64 v[12:13], v[8:9], v[6:7]
	v_add_f64 v[30:31], v[30:31], v[32:33]
	ds_load_b128 v[2:5], v1 offset:1168
	ds_load_b128 v[6:9], v1 offset:1184
	v_fma_f64 v[36:37], v[36:37], v[14:15], v[38:39]
	v_fma_f64 v[14:15], v[34:35], v[14:15], -v[16:17]
	s_waitcnt vmcnt(2) lgkmcnt(1)
	v_mul_f64 v[32:33], v[2:3], v[20:21]
	v_mul_f64 v[20:21], v[4:5], v[20:21]
	s_waitcnt vmcnt(1) lgkmcnt(0)
	v_mul_f64 v[16:17], v[6:7], v[24:25]
	v_mul_f64 v[24:25], v[8:9], v[24:25]
	v_add_f64 v[10:11], v[12:13], v[10:11]
	v_add_f64 v[12:13], v[30:31], v[40:41]
	v_fma_f64 v[30:31], v[4:5], v[18:19], v[32:33]
	v_fma_f64 v[18:19], v[2:3], v[18:19], -v[20:21]
	ds_load_b128 v[2:5], v1 offset:1200
	v_fma_f64 v[8:9], v[8:9], v[22:23], v[16:17]
	v_fma_f64 v[6:7], v[6:7], v[22:23], -v[24:25]
	v_add_f64 v[10:11], v[10:11], v[14:15]
	v_add_f64 v[12:13], v[12:13], v[36:37]
	s_waitcnt vmcnt(0) lgkmcnt(0)
	v_mul_f64 v[14:15], v[2:3], v[28:29]
	v_mul_f64 v[20:21], v[4:5], v[28:29]
	s_delay_alu instid0(VALU_DEP_4) | instskip(NEXT) | instid1(VALU_DEP_4)
	v_add_f64 v[10:11], v[10:11], v[18:19]
	v_add_f64 v[12:13], v[12:13], v[30:31]
	s_delay_alu instid0(VALU_DEP_4) | instskip(NEXT) | instid1(VALU_DEP_4)
	v_fma_f64 v[4:5], v[4:5], v[26:27], v[14:15]
	v_fma_f64 v[2:3], v[2:3], v[26:27], -v[20:21]
	s_delay_alu instid0(VALU_DEP_4) | instskip(NEXT) | instid1(VALU_DEP_4)
	v_add_f64 v[6:7], v[10:11], v[6:7]
	v_add_f64 v[8:9], v[12:13], v[8:9]
	s_delay_alu instid0(VALU_DEP_2) | instskip(NEXT) | instid1(VALU_DEP_2)
	v_add_f64 v[2:3], v[6:7], v[2:3]
	v_add_f64 v[4:5], v[8:9], v[4:5]
	s_delay_alu instid0(VALU_DEP_2) | instskip(NEXT) | instid1(VALU_DEP_2)
	v_add_f64 v[2:3], v[42:43], -v[2:3]
	v_add_f64 v[4:5], v[44:45], -v[4:5]
	scratch_store_b128 off, v[2:5], off offset:160
	v_cmpx_lt_u32_e32 9, v122
	s_cbranch_execz .LBB37_223
; %bb.222:
	scratch_load_b128 v[5:8], v155, off
	v_mov_b32_e32 v2, v1
	v_mov_b32_e32 v3, v1
	;; [unrolled: 1-line block ×3, first 2 shown]
	scratch_store_b128 off, v[1:4], off offset:144
	s_waitcnt vmcnt(0)
	ds_store_b128 v160, v[5:8]
.LBB37_223:
	s_or_b32 exec_lo, exec_lo, s2
	s_waitcnt lgkmcnt(0)
	s_waitcnt_vscnt null, 0x0
	s_barrier
	buffer_gl0_inv
	s_clause 0x8
	scratch_load_b128 v[2:5], off, off offset:160
	scratch_load_b128 v[6:9], off, off offset:176
	;; [unrolled: 1-line block ×9, first 2 shown]
	ds_load_b128 v[42:45], v1 offset:768
	ds_load_b128 v[38:41], v1 offset:784
	s_clause 0x1
	scratch_load_b128 v[161:164], off, off offset:144
	scratch_load_b128 v[165:168], off, off offset:304
	s_mov_b32 s2, exec_lo
	s_waitcnt vmcnt(10) lgkmcnt(1)
	v_mul_f64 v[169:170], v[44:45], v[4:5]
	v_mul_f64 v[4:5], v[42:43], v[4:5]
	s_waitcnt vmcnt(9) lgkmcnt(0)
	v_mul_f64 v[173:174], v[38:39], v[8:9]
	v_mul_f64 v[8:9], v[40:41], v[8:9]
	s_delay_alu instid0(VALU_DEP_4) | instskip(NEXT) | instid1(VALU_DEP_4)
	v_fma_f64 v[175:176], v[42:43], v[2:3], -v[169:170]
	v_fma_f64 v[177:178], v[44:45], v[2:3], v[4:5]
	ds_load_b128 v[2:5], v1 offset:800
	ds_load_b128 v[169:172], v1 offset:816
	scratch_load_b128 v[42:45], off, off offset:320
	v_fma_f64 v[40:41], v[40:41], v[6:7], v[173:174]
	v_fma_f64 v[38:39], v[38:39], v[6:7], -v[8:9]
	scratch_load_b128 v[6:9], off, off offset:336
	s_waitcnt vmcnt(10) lgkmcnt(1)
	v_mul_f64 v[179:180], v[2:3], v[12:13]
	v_mul_f64 v[12:13], v[4:5], v[12:13]
	v_add_f64 v[173:174], v[175:176], 0
	v_add_f64 v[175:176], v[177:178], 0
	s_waitcnt vmcnt(9) lgkmcnt(0)
	v_mul_f64 v[177:178], v[169:170], v[16:17]
	v_mul_f64 v[16:17], v[171:172], v[16:17]
	v_fma_f64 v[179:180], v[4:5], v[10:11], v[179:180]
	v_fma_f64 v[181:182], v[2:3], v[10:11], -v[12:13]
	ds_load_b128 v[2:5], v1 offset:832
	scratch_load_b128 v[10:13], off, off offset:352
	v_add_f64 v[173:174], v[173:174], v[38:39]
	v_add_f64 v[175:176], v[175:176], v[40:41]
	ds_load_b128 v[38:41], v1 offset:848
	v_fma_f64 v[171:172], v[171:172], v[14:15], v[177:178]
	v_fma_f64 v[169:170], v[169:170], v[14:15], -v[16:17]
	scratch_load_b128 v[14:17], off, off offset:368
	s_waitcnt vmcnt(10) lgkmcnt(1)
	v_mul_f64 v[183:184], v[2:3], v[20:21]
	v_mul_f64 v[20:21], v[4:5], v[20:21]
	s_waitcnt vmcnt(9) lgkmcnt(0)
	v_mul_f64 v[177:178], v[38:39], v[24:25]
	v_mul_f64 v[24:25], v[40:41], v[24:25]
	v_add_f64 v[173:174], v[173:174], v[181:182]
	v_add_f64 v[175:176], v[175:176], v[179:180]
	v_fma_f64 v[179:180], v[4:5], v[18:19], v[183:184]
	v_fma_f64 v[181:182], v[2:3], v[18:19], -v[20:21]
	ds_load_b128 v[2:5], v1 offset:864
	scratch_load_b128 v[18:21], off, off offset:384
	v_fma_f64 v[40:41], v[40:41], v[22:23], v[177:178]
	v_fma_f64 v[38:39], v[38:39], v[22:23], -v[24:25]
	scratch_load_b128 v[22:25], off, off offset:400
	v_add_f64 v[173:174], v[173:174], v[169:170]
	v_add_f64 v[175:176], v[175:176], v[171:172]
	ds_load_b128 v[169:172], v1 offset:880
	s_waitcnt vmcnt(10) lgkmcnt(1)
	v_mul_f64 v[183:184], v[2:3], v[28:29]
	v_mul_f64 v[28:29], v[4:5], v[28:29]
	s_waitcnt vmcnt(9) lgkmcnt(0)
	v_mul_f64 v[177:178], v[169:170], v[32:33]
	v_mul_f64 v[32:33], v[171:172], v[32:33]
	v_add_f64 v[173:174], v[173:174], v[181:182]
	v_add_f64 v[175:176], v[175:176], v[179:180]
	v_fma_f64 v[179:180], v[4:5], v[26:27], v[183:184]
	v_fma_f64 v[181:182], v[2:3], v[26:27], -v[28:29]
	ds_load_b128 v[2:5], v1 offset:896
	scratch_load_b128 v[26:29], off, off offset:416
	v_fma_f64 v[171:172], v[171:172], v[30:31], v[177:178]
	v_fma_f64 v[169:170], v[169:170], v[30:31], -v[32:33]
	scratch_load_b128 v[30:33], off, off offset:432
	v_add_f64 v[173:174], v[173:174], v[38:39]
	v_add_f64 v[175:176], v[175:176], v[40:41]
	ds_load_b128 v[38:41], v1 offset:912
	s_waitcnt vmcnt(10) lgkmcnt(1)
	v_mul_f64 v[183:184], v[2:3], v[36:37]
	v_mul_f64 v[36:37], v[4:5], v[36:37]
	s_waitcnt vmcnt(8) lgkmcnt(0)
	v_mul_f64 v[177:178], v[38:39], v[167:168]
	v_add_f64 v[173:174], v[173:174], v[181:182]
	v_add_f64 v[175:176], v[175:176], v[179:180]
	v_mul_f64 v[179:180], v[40:41], v[167:168]
	v_fma_f64 v[181:182], v[4:5], v[34:35], v[183:184]
	v_fma_f64 v[183:184], v[2:3], v[34:35], -v[36:37]
	ds_load_b128 v[2:5], v1 offset:928
	scratch_load_b128 v[34:37], off, off offset:448
	v_fma_f64 v[177:178], v[40:41], v[165:166], v[177:178]
	v_add_f64 v[173:174], v[173:174], v[169:170]
	v_add_f64 v[171:172], v[175:176], v[171:172]
	ds_load_b128 v[167:170], v1 offset:944
	v_fma_f64 v[165:166], v[38:39], v[165:166], -v[179:180]
	scratch_load_b128 v[38:41], off, off offset:464
	s_waitcnt vmcnt(9) lgkmcnt(1)
	v_mul_f64 v[175:176], v[2:3], v[44:45]
	v_mul_f64 v[44:45], v[4:5], v[44:45]
	s_waitcnt vmcnt(8) lgkmcnt(0)
	v_mul_f64 v[179:180], v[167:168], v[8:9]
	v_mul_f64 v[8:9], v[169:170], v[8:9]
	v_add_f64 v[173:174], v[173:174], v[183:184]
	v_add_f64 v[171:172], v[171:172], v[181:182]
	v_fma_f64 v[175:176], v[4:5], v[42:43], v[175:176]
	v_fma_f64 v[181:182], v[2:3], v[42:43], -v[44:45]
	ds_load_b128 v[2:5], v1 offset:960
	scratch_load_b128 v[42:45], off, off offset:480
	v_fma_f64 v[169:170], v[169:170], v[6:7], v[179:180]
	v_fma_f64 v[167:168], v[167:168], v[6:7], -v[8:9]
	scratch_load_b128 v[6:9], off, off offset:496
	v_add_f64 v[165:166], v[173:174], v[165:166]
	v_add_f64 v[177:178], v[171:172], v[177:178]
	ds_load_b128 v[171:174], v1 offset:976
	s_waitcnt vmcnt(9) lgkmcnt(1)
	v_mul_f64 v[183:184], v[2:3], v[12:13]
	v_mul_f64 v[12:13], v[4:5], v[12:13]
	v_add_f64 v[165:166], v[165:166], v[181:182]
	v_add_f64 v[175:176], v[177:178], v[175:176]
	s_waitcnt vmcnt(8) lgkmcnt(0)
	v_mul_f64 v[177:178], v[171:172], v[16:17]
	v_mul_f64 v[16:17], v[173:174], v[16:17]
	v_fma_f64 v[179:180], v[4:5], v[10:11], v[183:184]
	v_fma_f64 v[181:182], v[2:3], v[10:11], -v[12:13]
	ds_load_b128 v[2:5], v1 offset:992
	scratch_load_b128 v[10:13], off, off offset:512
	v_add_f64 v[183:184], v[165:166], v[167:168]
	v_add_f64 v[169:170], v[175:176], v[169:170]
	ds_load_b128 v[165:168], v1 offset:1008
	s_waitcnt vmcnt(8) lgkmcnt(1)
	v_mul_f64 v[175:176], v[2:3], v[20:21]
	v_mul_f64 v[20:21], v[4:5], v[20:21]
	v_fma_f64 v[173:174], v[173:174], v[14:15], v[177:178]
	v_fma_f64 v[171:172], v[171:172], v[14:15], -v[16:17]
	scratch_load_b128 v[14:17], off, off offset:528
	v_add_f64 v[177:178], v[183:184], v[181:182]
	v_add_f64 v[169:170], v[169:170], v[179:180]
	s_waitcnt vmcnt(8) lgkmcnt(0)
	v_mul_f64 v[179:180], v[165:166], v[24:25]
	v_mul_f64 v[24:25], v[167:168], v[24:25]
	v_fma_f64 v[175:176], v[4:5], v[18:19], v[175:176]
	v_fma_f64 v[181:182], v[2:3], v[18:19], -v[20:21]
	ds_load_b128 v[2:5], v1 offset:1024
	scratch_load_b128 v[18:21], off, off offset:544
	v_add_f64 v[177:178], v[177:178], v[171:172]
	v_add_f64 v[173:174], v[169:170], v[173:174]
	ds_load_b128 v[169:172], v1 offset:1040
	s_waitcnt vmcnt(8) lgkmcnt(1)
	v_mul_f64 v[183:184], v[2:3], v[28:29]
	v_mul_f64 v[28:29], v[4:5], v[28:29]
	v_fma_f64 v[167:168], v[167:168], v[22:23], v[179:180]
	v_fma_f64 v[165:166], v[165:166], v[22:23], -v[24:25]
	scratch_load_b128 v[22:25], off, off offset:560
	;; [unrolled: 18-line block ×3, first 2 shown]
	v_add_f64 v[175:176], v[177:178], v[181:182]
	v_add_f64 v[173:174], v[173:174], v[179:180]
	s_waitcnt vmcnt(8) lgkmcnt(0)
	v_mul_f64 v[177:178], v[165:166], v[40:41]
	v_mul_f64 v[40:41], v[167:168], v[40:41]
	v_fma_f64 v[179:180], v[4:5], v[34:35], v[183:184]
	v_fma_f64 v[181:182], v[2:3], v[34:35], -v[36:37]
	ds_load_b128 v[2:5], v1 offset:1088
	ds_load_b128 v[34:37], v1 offset:1104
	v_add_f64 v[169:170], v[175:176], v[169:170]
	v_add_f64 v[171:172], v[173:174], v[171:172]
	s_waitcnt vmcnt(7) lgkmcnt(1)
	v_mul_f64 v[173:174], v[2:3], v[44:45]
	v_mul_f64 v[44:45], v[4:5], v[44:45]
	v_fma_f64 v[167:168], v[167:168], v[38:39], v[177:178]
	v_fma_f64 v[38:39], v[165:166], v[38:39], -v[40:41]
	v_add_f64 v[40:41], v[169:170], v[181:182]
	v_add_f64 v[165:166], v[171:172], v[179:180]
	s_waitcnt vmcnt(6) lgkmcnt(0)
	v_mul_f64 v[169:170], v[34:35], v[8:9]
	v_mul_f64 v[8:9], v[36:37], v[8:9]
	v_fma_f64 v[171:172], v[4:5], v[42:43], v[173:174]
	v_fma_f64 v[42:43], v[2:3], v[42:43], -v[44:45]
	v_add_f64 v[44:45], v[40:41], v[38:39]
	v_add_f64 v[165:166], v[165:166], v[167:168]
	ds_load_b128 v[2:5], v1 offset:1120
	ds_load_b128 v[38:41], v1 offset:1136
	v_fma_f64 v[36:37], v[36:37], v[6:7], v[169:170]
	v_fma_f64 v[6:7], v[34:35], v[6:7], -v[8:9]
	s_waitcnt vmcnt(5) lgkmcnt(1)
	v_mul_f64 v[167:168], v[2:3], v[12:13]
	v_mul_f64 v[12:13], v[4:5], v[12:13]
	v_add_f64 v[8:9], v[44:45], v[42:43]
	v_add_f64 v[34:35], v[165:166], v[171:172]
	s_waitcnt vmcnt(4) lgkmcnt(0)
	v_mul_f64 v[42:43], v[38:39], v[16:17]
	v_mul_f64 v[16:17], v[40:41], v[16:17]
	v_fma_f64 v[44:45], v[4:5], v[10:11], v[167:168]
	v_fma_f64 v[10:11], v[2:3], v[10:11], -v[12:13]
	v_add_f64 v[12:13], v[8:9], v[6:7]
	v_add_f64 v[34:35], v[34:35], v[36:37]
	ds_load_b128 v[2:5], v1 offset:1152
	ds_load_b128 v[6:9], v1 offset:1168
	v_fma_f64 v[40:41], v[40:41], v[14:15], v[42:43]
	v_fma_f64 v[14:15], v[38:39], v[14:15], -v[16:17]
	s_waitcnt vmcnt(3) lgkmcnt(1)
	v_mul_f64 v[36:37], v[2:3], v[20:21]
	v_mul_f64 v[20:21], v[4:5], v[20:21]
	s_waitcnt vmcnt(2) lgkmcnt(0)
	v_mul_f64 v[16:17], v[6:7], v[24:25]
	v_mul_f64 v[24:25], v[8:9], v[24:25]
	v_add_f64 v[10:11], v[12:13], v[10:11]
	v_add_f64 v[12:13], v[34:35], v[44:45]
	v_fma_f64 v[34:35], v[4:5], v[18:19], v[36:37]
	v_fma_f64 v[18:19], v[2:3], v[18:19], -v[20:21]
	v_fma_f64 v[8:9], v[8:9], v[22:23], v[16:17]
	v_fma_f64 v[6:7], v[6:7], v[22:23], -v[24:25]
	v_add_f64 v[14:15], v[10:11], v[14:15]
	v_add_f64 v[20:21], v[12:13], v[40:41]
	ds_load_b128 v[2:5], v1 offset:1184
	ds_load_b128 v[10:13], v1 offset:1200
	s_waitcnt vmcnt(1) lgkmcnt(1)
	v_mul_f64 v[36:37], v[2:3], v[28:29]
	v_mul_f64 v[28:29], v[4:5], v[28:29]
	v_add_f64 v[14:15], v[14:15], v[18:19]
	v_add_f64 v[16:17], v[20:21], v[34:35]
	s_waitcnt vmcnt(0) lgkmcnt(0)
	v_mul_f64 v[18:19], v[10:11], v[32:33]
	v_mul_f64 v[20:21], v[12:13], v[32:33]
	v_fma_f64 v[4:5], v[4:5], v[26:27], v[36:37]
	v_fma_f64 v[1:2], v[2:3], v[26:27], -v[28:29]
	v_add_f64 v[6:7], v[14:15], v[6:7]
	v_add_f64 v[8:9], v[16:17], v[8:9]
	v_fma_f64 v[12:13], v[12:13], v[30:31], v[18:19]
	v_fma_f64 v[10:11], v[10:11], v[30:31], -v[20:21]
	s_delay_alu instid0(VALU_DEP_4) | instskip(NEXT) | instid1(VALU_DEP_4)
	v_add_f64 v[1:2], v[6:7], v[1:2]
	v_add_f64 v[3:4], v[8:9], v[4:5]
	s_delay_alu instid0(VALU_DEP_2) | instskip(NEXT) | instid1(VALU_DEP_2)
	v_add_f64 v[1:2], v[1:2], v[10:11]
	v_add_f64 v[3:4], v[3:4], v[12:13]
	s_delay_alu instid0(VALU_DEP_2) | instskip(NEXT) | instid1(VALU_DEP_2)
	v_add_f64 v[1:2], v[161:162], -v[1:2]
	v_add_f64 v[3:4], v[163:164], -v[3:4]
	scratch_store_b128 off, v[1:4], off offset:144
	v_cmpx_lt_u32_e32 8, v122
	s_cbranch_execz .LBB37_225
; %bb.224:
	scratch_load_b128 v[1:4], v156, off
	v_mov_b32_e32 v5, 0
	s_delay_alu instid0(VALU_DEP_1)
	v_mov_b32_e32 v6, v5
	v_mov_b32_e32 v7, v5
	;; [unrolled: 1-line block ×3, first 2 shown]
	scratch_store_b128 off, v[5:8], off offset:128
	s_waitcnt vmcnt(0)
	ds_store_b128 v160, v[1:4]
.LBB37_225:
	s_or_b32 exec_lo, exec_lo, s2
	s_waitcnt lgkmcnt(0)
	s_waitcnt_vscnt null, 0x0
	s_barrier
	buffer_gl0_inv
	s_clause 0x7
	scratch_load_b128 v[2:5], off, off offset:144
	scratch_load_b128 v[6:9], off, off offset:160
	;; [unrolled: 1-line block ×8, first 2 shown]
	v_mov_b32_e32 v1, 0
	s_mov_b32 s2, exec_lo
	ds_load_b128 v[38:41], v1 offset:752
	s_clause 0x1
	scratch_load_b128 v[34:37], off, off offset:272
	scratch_load_b128 v[42:45], off, off offset:128
	ds_load_b128 v[161:164], v1 offset:768
	scratch_load_b128 v[165:168], off, off offset:288
	s_waitcnt vmcnt(10) lgkmcnt(1)
	v_mul_f64 v[169:170], v[40:41], v[4:5]
	v_mul_f64 v[4:5], v[38:39], v[4:5]
	s_delay_alu instid0(VALU_DEP_2) | instskip(NEXT) | instid1(VALU_DEP_2)
	v_fma_f64 v[175:176], v[38:39], v[2:3], -v[169:170]
	v_fma_f64 v[177:178], v[40:41], v[2:3], v[4:5]
	scratch_load_b128 v[38:41], off, off offset:304
	ds_load_b128 v[2:5], v1 offset:784
	s_waitcnt vmcnt(10) lgkmcnt(1)
	v_mul_f64 v[173:174], v[161:162], v[8:9]
	v_mul_f64 v[8:9], v[163:164], v[8:9]
	ds_load_b128 v[169:172], v1 offset:800
	s_waitcnt vmcnt(9) lgkmcnt(1)
	v_mul_f64 v[179:180], v[2:3], v[12:13]
	v_mul_f64 v[12:13], v[4:5], v[12:13]
	v_fma_f64 v[163:164], v[163:164], v[6:7], v[173:174]
	v_fma_f64 v[161:162], v[161:162], v[6:7], -v[8:9]
	v_add_f64 v[173:174], v[175:176], 0
	v_add_f64 v[175:176], v[177:178], 0
	scratch_load_b128 v[6:9], off, off offset:320
	v_fma_f64 v[179:180], v[4:5], v[10:11], v[179:180]
	v_fma_f64 v[181:182], v[2:3], v[10:11], -v[12:13]
	scratch_load_b128 v[10:13], off, off offset:336
	ds_load_b128 v[2:5], v1 offset:816
	s_waitcnt vmcnt(10) lgkmcnt(1)
	v_mul_f64 v[177:178], v[169:170], v[16:17]
	v_mul_f64 v[16:17], v[171:172], v[16:17]
	v_add_f64 v[173:174], v[173:174], v[161:162]
	v_add_f64 v[175:176], v[175:176], v[163:164]
	s_waitcnt vmcnt(9) lgkmcnt(0)
	v_mul_f64 v[183:184], v[2:3], v[20:21]
	v_mul_f64 v[20:21], v[4:5], v[20:21]
	ds_load_b128 v[161:164], v1 offset:832
	v_fma_f64 v[171:172], v[171:172], v[14:15], v[177:178]
	v_fma_f64 v[169:170], v[169:170], v[14:15], -v[16:17]
	scratch_load_b128 v[14:17], off, off offset:352
	v_add_f64 v[173:174], v[173:174], v[181:182]
	v_add_f64 v[175:176], v[175:176], v[179:180]
	v_fma_f64 v[179:180], v[4:5], v[18:19], v[183:184]
	v_fma_f64 v[181:182], v[2:3], v[18:19], -v[20:21]
	scratch_load_b128 v[18:21], off, off offset:368
	ds_load_b128 v[2:5], v1 offset:848
	s_waitcnt vmcnt(10) lgkmcnt(1)
	v_mul_f64 v[177:178], v[161:162], v[24:25]
	v_mul_f64 v[24:25], v[163:164], v[24:25]
	s_waitcnt vmcnt(9) lgkmcnt(0)
	v_mul_f64 v[183:184], v[2:3], v[28:29]
	v_mul_f64 v[28:29], v[4:5], v[28:29]
	v_add_f64 v[173:174], v[173:174], v[169:170]
	v_add_f64 v[175:176], v[175:176], v[171:172]
	ds_load_b128 v[169:172], v1 offset:864
	v_fma_f64 v[163:164], v[163:164], v[22:23], v[177:178]
	v_fma_f64 v[161:162], v[161:162], v[22:23], -v[24:25]
	scratch_load_b128 v[22:25], off, off offset:384
	v_add_f64 v[173:174], v[173:174], v[181:182]
	v_add_f64 v[175:176], v[175:176], v[179:180]
	v_fma_f64 v[179:180], v[4:5], v[26:27], v[183:184]
	v_fma_f64 v[181:182], v[2:3], v[26:27], -v[28:29]
	scratch_load_b128 v[26:29], off, off offset:400
	ds_load_b128 v[2:5], v1 offset:880
	s_waitcnt vmcnt(10) lgkmcnt(1)
	v_mul_f64 v[177:178], v[169:170], v[32:33]
	v_mul_f64 v[32:33], v[171:172], v[32:33]
	s_waitcnt vmcnt(9) lgkmcnt(0)
	v_mul_f64 v[183:184], v[2:3], v[36:37]
	v_mul_f64 v[36:37], v[4:5], v[36:37]
	v_add_f64 v[173:174], v[173:174], v[161:162]
	v_add_f64 v[175:176], v[175:176], v[163:164]
	ds_load_b128 v[161:164], v1 offset:896
	v_fma_f64 v[171:172], v[171:172], v[30:31], v[177:178]
	v_fma_f64 v[169:170], v[169:170], v[30:31], -v[32:33]
	scratch_load_b128 v[30:33], off, off offset:416
	v_add_f64 v[173:174], v[173:174], v[181:182]
	v_add_f64 v[175:176], v[175:176], v[179:180]
	v_fma_f64 v[181:182], v[4:5], v[34:35], v[183:184]
	v_fma_f64 v[183:184], v[2:3], v[34:35], -v[36:37]
	scratch_load_b128 v[34:37], off, off offset:432
	ds_load_b128 v[2:5], v1 offset:912
	s_waitcnt vmcnt(9) lgkmcnt(1)
	v_mul_f64 v[177:178], v[161:162], v[167:168]
	v_mul_f64 v[179:180], v[163:164], v[167:168]
	v_add_f64 v[173:174], v[173:174], v[169:170]
	v_add_f64 v[171:172], v[175:176], v[171:172]
	ds_load_b128 v[167:170], v1 offset:928
	v_fma_f64 v[177:178], v[163:164], v[165:166], v[177:178]
	v_fma_f64 v[165:166], v[161:162], v[165:166], -v[179:180]
	scratch_load_b128 v[161:164], off, off offset:448
	s_waitcnt vmcnt(9) lgkmcnt(1)
	v_mul_f64 v[175:176], v[2:3], v[40:41]
	v_mul_f64 v[40:41], v[4:5], v[40:41]
	v_add_f64 v[173:174], v[173:174], v[183:184]
	v_add_f64 v[171:172], v[171:172], v[181:182]
	s_delay_alu instid0(VALU_DEP_4) | instskip(NEXT) | instid1(VALU_DEP_4)
	v_fma_f64 v[175:176], v[4:5], v[38:39], v[175:176]
	v_fma_f64 v[181:182], v[2:3], v[38:39], -v[40:41]
	scratch_load_b128 v[38:41], off, off offset:464
	ds_load_b128 v[2:5], v1 offset:944
	s_waitcnt vmcnt(9) lgkmcnt(1)
	v_mul_f64 v[179:180], v[167:168], v[8:9]
	v_mul_f64 v[8:9], v[169:170], v[8:9]
	s_waitcnt vmcnt(8) lgkmcnt(0)
	v_mul_f64 v[183:184], v[2:3], v[12:13]
	v_mul_f64 v[12:13], v[4:5], v[12:13]
	v_add_f64 v[165:166], v[173:174], v[165:166]
	v_add_f64 v[177:178], v[171:172], v[177:178]
	ds_load_b128 v[171:174], v1 offset:960
	v_fma_f64 v[169:170], v[169:170], v[6:7], v[179:180]
	v_fma_f64 v[167:168], v[167:168], v[6:7], -v[8:9]
	scratch_load_b128 v[6:9], off, off offset:480
	v_fma_f64 v[179:180], v[4:5], v[10:11], v[183:184]
	v_add_f64 v[165:166], v[165:166], v[181:182]
	v_add_f64 v[175:176], v[177:178], v[175:176]
	v_fma_f64 v[181:182], v[2:3], v[10:11], -v[12:13]
	scratch_load_b128 v[10:13], off, off offset:496
	ds_load_b128 v[2:5], v1 offset:976
	s_waitcnt vmcnt(9) lgkmcnt(1)
	v_mul_f64 v[177:178], v[171:172], v[16:17]
	v_mul_f64 v[16:17], v[173:174], v[16:17]
	v_add_f64 v[183:184], v[165:166], v[167:168]
	v_add_f64 v[169:170], v[175:176], v[169:170]
	s_waitcnt vmcnt(8) lgkmcnt(0)
	v_mul_f64 v[175:176], v[2:3], v[20:21]
	v_mul_f64 v[20:21], v[4:5], v[20:21]
	ds_load_b128 v[165:168], v1 offset:992
	v_fma_f64 v[173:174], v[173:174], v[14:15], v[177:178]
	v_fma_f64 v[171:172], v[171:172], v[14:15], -v[16:17]
	scratch_load_b128 v[14:17], off, off offset:512
	v_add_f64 v[177:178], v[183:184], v[181:182]
	v_add_f64 v[169:170], v[169:170], v[179:180]
	v_fma_f64 v[175:176], v[4:5], v[18:19], v[175:176]
	v_fma_f64 v[181:182], v[2:3], v[18:19], -v[20:21]
	scratch_load_b128 v[18:21], off, off offset:528
	ds_load_b128 v[2:5], v1 offset:1008
	s_waitcnt vmcnt(9) lgkmcnt(1)
	v_mul_f64 v[179:180], v[165:166], v[24:25]
	v_mul_f64 v[24:25], v[167:168], v[24:25]
	s_waitcnt vmcnt(8) lgkmcnt(0)
	v_mul_f64 v[183:184], v[2:3], v[28:29]
	v_mul_f64 v[28:29], v[4:5], v[28:29]
	v_add_f64 v[177:178], v[177:178], v[171:172]
	v_add_f64 v[173:174], v[169:170], v[173:174]
	ds_load_b128 v[169:172], v1 offset:1024
	v_fma_f64 v[167:168], v[167:168], v[22:23], v[179:180]
	v_fma_f64 v[165:166], v[165:166], v[22:23], -v[24:25]
	scratch_load_b128 v[22:25], off, off offset:544
	v_fma_f64 v[179:180], v[4:5], v[26:27], v[183:184]
	v_add_f64 v[177:178], v[177:178], v[181:182]
	v_add_f64 v[173:174], v[173:174], v[175:176]
	v_fma_f64 v[181:182], v[2:3], v[26:27], -v[28:29]
	scratch_load_b128 v[26:29], off, off offset:560
	ds_load_b128 v[2:5], v1 offset:1040
	s_waitcnt vmcnt(9) lgkmcnt(1)
	v_mul_f64 v[175:176], v[169:170], v[32:33]
	v_mul_f64 v[32:33], v[171:172], v[32:33]
	s_waitcnt vmcnt(8) lgkmcnt(0)
	v_mul_f64 v[183:184], v[2:3], v[36:37]
	v_mul_f64 v[36:37], v[4:5], v[36:37]
	v_add_f64 v[177:178], v[177:178], v[165:166]
	v_add_f64 v[173:174], v[173:174], v[167:168]
	ds_load_b128 v[165:168], v1 offset:1056
	v_fma_f64 v[171:172], v[171:172], v[30:31], v[175:176]
	v_fma_f64 v[169:170], v[169:170], v[30:31], -v[32:33]
	scratch_load_b128 v[30:33], off, off offset:576
	v_add_f64 v[175:176], v[177:178], v[181:182]
	v_add_f64 v[173:174], v[173:174], v[179:180]
	v_fma_f64 v[179:180], v[4:5], v[34:35], v[183:184]
	v_fma_f64 v[181:182], v[2:3], v[34:35], -v[36:37]
	scratch_load_b128 v[34:37], off, off offset:592
	ds_load_b128 v[2:5], v1 offset:1072
	s_waitcnt vmcnt(9) lgkmcnt(1)
	v_mul_f64 v[177:178], v[165:166], v[163:164]
	v_mul_f64 v[163:164], v[167:168], v[163:164]
	s_waitcnt vmcnt(8) lgkmcnt(0)
	v_mul_f64 v[183:184], v[2:3], v[40:41]
	v_mul_f64 v[40:41], v[4:5], v[40:41]
	v_add_f64 v[175:176], v[175:176], v[169:170]
	v_add_f64 v[173:174], v[173:174], v[171:172]
	ds_load_b128 v[169:172], v1 offset:1088
	v_fma_f64 v[167:168], v[167:168], v[161:162], v[177:178]
	v_fma_f64 v[161:162], v[165:166], v[161:162], -v[163:164]
	v_fma_f64 v[177:178], v[2:3], v[38:39], -v[40:41]
	v_add_f64 v[163:164], v[175:176], v[181:182]
	v_add_f64 v[165:166], v[173:174], v[179:180]
	s_waitcnt vmcnt(7) lgkmcnt(0)
	v_mul_f64 v[173:174], v[169:170], v[8:9]
	v_mul_f64 v[8:9], v[171:172], v[8:9]
	v_fma_f64 v[175:176], v[4:5], v[38:39], v[183:184]
	ds_load_b128 v[2:5], v1 offset:1104
	ds_load_b128 v[38:41], v1 offset:1120
	v_add_f64 v[161:162], v[163:164], v[161:162]
	v_add_f64 v[163:164], v[165:166], v[167:168]
	s_waitcnt vmcnt(6) lgkmcnt(1)
	v_mul_f64 v[165:166], v[2:3], v[12:13]
	v_mul_f64 v[12:13], v[4:5], v[12:13]
	v_fma_f64 v[167:168], v[171:172], v[6:7], v[173:174]
	v_fma_f64 v[6:7], v[169:170], v[6:7], -v[8:9]
	v_add_f64 v[8:9], v[161:162], v[177:178]
	v_add_f64 v[161:162], v[163:164], v[175:176]
	s_waitcnt vmcnt(5) lgkmcnt(0)
	v_mul_f64 v[163:164], v[38:39], v[16:17]
	v_mul_f64 v[16:17], v[40:41], v[16:17]
	v_fma_f64 v[165:166], v[4:5], v[10:11], v[165:166]
	v_fma_f64 v[10:11], v[2:3], v[10:11], -v[12:13]
	v_add_f64 v[12:13], v[8:9], v[6:7]
	v_add_f64 v[161:162], v[161:162], v[167:168]
	ds_load_b128 v[2:5], v1 offset:1136
	ds_load_b128 v[6:9], v1 offset:1152
	v_fma_f64 v[40:41], v[40:41], v[14:15], v[163:164]
	v_fma_f64 v[14:15], v[38:39], v[14:15], -v[16:17]
	s_waitcnt vmcnt(4) lgkmcnt(1)
	v_mul_f64 v[167:168], v[2:3], v[20:21]
	v_mul_f64 v[20:21], v[4:5], v[20:21]
	s_waitcnt vmcnt(3) lgkmcnt(0)
	v_mul_f64 v[16:17], v[6:7], v[24:25]
	v_mul_f64 v[24:25], v[8:9], v[24:25]
	v_add_f64 v[10:11], v[12:13], v[10:11]
	v_add_f64 v[12:13], v[161:162], v[165:166]
	v_fma_f64 v[38:39], v[4:5], v[18:19], v[167:168]
	v_fma_f64 v[18:19], v[2:3], v[18:19], -v[20:21]
	v_fma_f64 v[8:9], v[8:9], v[22:23], v[16:17]
	v_fma_f64 v[6:7], v[6:7], v[22:23], -v[24:25]
	v_add_f64 v[14:15], v[10:11], v[14:15]
	v_add_f64 v[20:21], v[12:13], v[40:41]
	ds_load_b128 v[2:5], v1 offset:1168
	ds_load_b128 v[10:13], v1 offset:1184
	s_waitcnt vmcnt(2) lgkmcnt(1)
	v_mul_f64 v[40:41], v[2:3], v[28:29]
	v_mul_f64 v[28:29], v[4:5], v[28:29]
	v_add_f64 v[14:15], v[14:15], v[18:19]
	v_add_f64 v[16:17], v[20:21], v[38:39]
	s_waitcnt vmcnt(1) lgkmcnt(0)
	v_mul_f64 v[18:19], v[10:11], v[32:33]
	v_mul_f64 v[20:21], v[12:13], v[32:33]
	v_fma_f64 v[22:23], v[4:5], v[26:27], v[40:41]
	v_fma_f64 v[24:25], v[2:3], v[26:27], -v[28:29]
	ds_load_b128 v[2:5], v1 offset:1200
	v_add_f64 v[6:7], v[14:15], v[6:7]
	v_add_f64 v[8:9], v[16:17], v[8:9]
	v_fma_f64 v[12:13], v[12:13], v[30:31], v[18:19]
	v_fma_f64 v[10:11], v[10:11], v[30:31], -v[20:21]
	s_waitcnt vmcnt(0) lgkmcnt(0)
	v_mul_f64 v[14:15], v[2:3], v[36:37]
	v_mul_f64 v[16:17], v[4:5], v[36:37]
	v_add_f64 v[6:7], v[6:7], v[24:25]
	v_add_f64 v[8:9], v[8:9], v[22:23]
	s_delay_alu instid0(VALU_DEP_4) | instskip(NEXT) | instid1(VALU_DEP_4)
	v_fma_f64 v[4:5], v[4:5], v[34:35], v[14:15]
	v_fma_f64 v[2:3], v[2:3], v[34:35], -v[16:17]
	s_delay_alu instid0(VALU_DEP_4) | instskip(NEXT) | instid1(VALU_DEP_4)
	v_add_f64 v[6:7], v[6:7], v[10:11]
	v_add_f64 v[8:9], v[8:9], v[12:13]
	s_delay_alu instid0(VALU_DEP_2) | instskip(NEXT) | instid1(VALU_DEP_2)
	v_add_f64 v[2:3], v[6:7], v[2:3]
	v_add_f64 v[4:5], v[8:9], v[4:5]
	s_delay_alu instid0(VALU_DEP_2) | instskip(NEXT) | instid1(VALU_DEP_2)
	v_add_f64 v[2:3], v[42:43], -v[2:3]
	v_add_f64 v[4:5], v[44:45], -v[4:5]
	scratch_store_b128 off, v[2:5], off offset:128
	v_cmpx_lt_u32_e32 7, v122
	s_cbranch_execz .LBB37_227
; %bb.226:
	scratch_load_b128 v[5:8], v158, off
	v_mov_b32_e32 v2, v1
	v_mov_b32_e32 v3, v1
	;; [unrolled: 1-line block ×3, first 2 shown]
	scratch_store_b128 off, v[1:4], off offset:112
	s_waitcnt vmcnt(0)
	ds_store_b128 v160, v[5:8]
.LBB37_227:
	s_or_b32 exec_lo, exec_lo, s2
	s_waitcnt lgkmcnt(0)
	s_waitcnt_vscnt null, 0x0
	s_barrier
	buffer_gl0_inv
	s_clause 0x8
	scratch_load_b128 v[2:5], off, off offset:128
	scratch_load_b128 v[6:9], off, off offset:144
	;; [unrolled: 1-line block ×9, first 2 shown]
	ds_load_b128 v[42:45], v1 offset:736
	ds_load_b128 v[38:41], v1 offset:752
	s_clause 0x1
	scratch_load_b128 v[161:164], off, off offset:112
	scratch_load_b128 v[165:168], off, off offset:272
	s_mov_b32 s2, exec_lo
	s_waitcnt vmcnt(10) lgkmcnt(1)
	v_mul_f64 v[169:170], v[44:45], v[4:5]
	v_mul_f64 v[4:5], v[42:43], v[4:5]
	s_waitcnt vmcnt(9) lgkmcnt(0)
	v_mul_f64 v[173:174], v[38:39], v[8:9]
	v_mul_f64 v[8:9], v[40:41], v[8:9]
	s_delay_alu instid0(VALU_DEP_4) | instskip(NEXT) | instid1(VALU_DEP_4)
	v_fma_f64 v[175:176], v[42:43], v[2:3], -v[169:170]
	v_fma_f64 v[177:178], v[44:45], v[2:3], v[4:5]
	ds_load_b128 v[2:5], v1 offset:768
	ds_load_b128 v[169:172], v1 offset:784
	scratch_load_b128 v[42:45], off, off offset:288
	v_fma_f64 v[40:41], v[40:41], v[6:7], v[173:174]
	v_fma_f64 v[38:39], v[38:39], v[6:7], -v[8:9]
	scratch_load_b128 v[6:9], off, off offset:304
	s_waitcnt vmcnt(10) lgkmcnt(1)
	v_mul_f64 v[179:180], v[2:3], v[12:13]
	v_mul_f64 v[12:13], v[4:5], v[12:13]
	v_add_f64 v[173:174], v[175:176], 0
	v_add_f64 v[175:176], v[177:178], 0
	s_waitcnt vmcnt(9) lgkmcnt(0)
	v_mul_f64 v[177:178], v[169:170], v[16:17]
	v_mul_f64 v[16:17], v[171:172], v[16:17]
	v_fma_f64 v[179:180], v[4:5], v[10:11], v[179:180]
	v_fma_f64 v[181:182], v[2:3], v[10:11], -v[12:13]
	ds_load_b128 v[2:5], v1 offset:800
	scratch_load_b128 v[10:13], off, off offset:320
	v_add_f64 v[173:174], v[173:174], v[38:39]
	v_add_f64 v[175:176], v[175:176], v[40:41]
	ds_load_b128 v[38:41], v1 offset:816
	v_fma_f64 v[171:172], v[171:172], v[14:15], v[177:178]
	v_fma_f64 v[169:170], v[169:170], v[14:15], -v[16:17]
	scratch_load_b128 v[14:17], off, off offset:336
	s_waitcnt vmcnt(10) lgkmcnt(1)
	v_mul_f64 v[183:184], v[2:3], v[20:21]
	v_mul_f64 v[20:21], v[4:5], v[20:21]
	s_waitcnt vmcnt(9) lgkmcnt(0)
	v_mul_f64 v[177:178], v[38:39], v[24:25]
	v_mul_f64 v[24:25], v[40:41], v[24:25]
	v_add_f64 v[173:174], v[173:174], v[181:182]
	v_add_f64 v[175:176], v[175:176], v[179:180]
	v_fma_f64 v[179:180], v[4:5], v[18:19], v[183:184]
	v_fma_f64 v[181:182], v[2:3], v[18:19], -v[20:21]
	ds_load_b128 v[2:5], v1 offset:832
	scratch_load_b128 v[18:21], off, off offset:352
	v_fma_f64 v[40:41], v[40:41], v[22:23], v[177:178]
	v_fma_f64 v[38:39], v[38:39], v[22:23], -v[24:25]
	scratch_load_b128 v[22:25], off, off offset:368
	v_add_f64 v[173:174], v[173:174], v[169:170]
	v_add_f64 v[175:176], v[175:176], v[171:172]
	ds_load_b128 v[169:172], v1 offset:848
	s_waitcnt vmcnt(10) lgkmcnt(1)
	v_mul_f64 v[183:184], v[2:3], v[28:29]
	v_mul_f64 v[28:29], v[4:5], v[28:29]
	s_waitcnt vmcnt(9) lgkmcnt(0)
	v_mul_f64 v[177:178], v[169:170], v[32:33]
	v_mul_f64 v[32:33], v[171:172], v[32:33]
	v_add_f64 v[173:174], v[173:174], v[181:182]
	v_add_f64 v[175:176], v[175:176], v[179:180]
	v_fma_f64 v[179:180], v[4:5], v[26:27], v[183:184]
	v_fma_f64 v[181:182], v[2:3], v[26:27], -v[28:29]
	ds_load_b128 v[2:5], v1 offset:864
	scratch_load_b128 v[26:29], off, off offset:384
	v_fma_f64 v[171:172], v[171:172], v[30:31], v[177:178]
	v_fma_f64 v[169:170], v[169:170], v[30:31], -v[32:33]
	scratch_load_b128 v[30:33], off, off offset:400
	v_add_f64 v[173:174], v[173:174], v[38:39]
	v_add_f64 v[175:176], v[175:176], v[40:41]
	ds_load_b128 v[38:41], v1 offset:880
	s_waitcnt vmcnt(10) lgkmcnt(1)
	v_mul_f64 v[183:184], v[2:3], v[36:37]
	v_mul_f64 v[36:37], v[4:5], v[36:37]
	s_waitcnt vmcnt(8) lgkmcnt(0)
	v_mul_f64 v[177:178], v[38:39], v[167:168]
	v_add_f64 v[173:174], v[173:174], v[181:182]
	v_add_f64 v[175:176], v[175:176], v[179:180]
	v_mul_f64 v[179:180], v[40:41], v[167:168]
	v_fma_f64 v[181:182], v[4:5], v[34:35], v[183:184]
	v_fma_f64 v[183:184], v[2:3], v[34:35], -v[36:37]
	ds_load_b128 v[2:5], v1 offset:896
	scratch_load_b128 v[34:37], off, off offset:416
	v_fma_f64 v[177:178], v[40:41], v[165:166], v[177:178]
	v_add_f64 v[173:174], v[173:174], v[169:170]
	v_add_f64 v[171:172], v[175:176], v[171:172]
	ds_load_b128 v[167:170], v1 offset:912
	v_fma_f64 v[165:166], v[38:39], v[165:166], -v[179:180]
	scratch_load_b128 v[38:41], off, off offset:432
	s_waitcnt vmcnt(9) lgkmcnt(1)
	v_mul_f64 v[175:176], v[2:3], v[44:45]
	v_mul_f64 v[44:45], v[4:5], v[44:45]
	s_waitcnt vmcnt(8) lgkmcnt(0)
	v_mul_f64 v[179:180], v[167:168], v[8:9]
	v_mul_f64 v[8:9], v[169:170], v[8:9]
	v_add_f64 v[173:174], v[173:174], v[183:184]
	v_add_f64 v[171:172], v[171:172], v[181:182]
	v_fma_f64 v[175:176], v[4:5], v[42:43], v[175:176]
	v_fma_f64 v[181:182], v[2:3], v[42:43], -v[44:45]
	ds_load_b128 v[2:5], v1 offset:928
	scratch_load_b128 v[42:45], off, off offset:448
	v_fma_f64 v[169:170], v[169:170], v[6:7], v[179:180]
	v_fma_f64 v[167:168], v[167:168], v[6:7], -v[8:9]
	scratch_load_b128 v[6:9], off, off offset:464
	v_add_f64 v[165:166], v[173:174], v[165:166]
	v_add_f64 v[177:178], v[171:172], v[177:178]
	ds_load_b128 v[171:174], v1 offset:944
	s_waitcnt vmcnt(9) lgkmcnt(1)
	v_mul_f64 v[183:184], v[2:3], v[12:13]
	v_mul_f64 v[12:13], v[4:5], v[12:13]
	v_add_f64 v[165:166], v[165:166], v[181:182]
	v_add_f64 v[175:176], v[177:178], v[175:176]
	s_waitcnt vmcnt(8) lgkmcnt(0)
	v_mul_f64 v[177:178], v[171:172], v[16:17]
	v_mul_f64 v[16:17], v[173:174], v[16:17]
	v_fma_f64 v[179:180], v[4:5], v[10:11], v[183:184]
	v_fma_f64 v[181:182], v[2:3], v[10:11], -v[12:13]
	ds_load_b128 v[2:5], v1 offset:960
	scratch_load_b128 v[10:13], off, off offset:480
	v_add_f64 v[183:184], v[165:166], v[167:168]
	v_add_f64 v[169:170], v[175:176], v[169:170]
	ds_load_b128 v[165:168], v1 offset:976
	s_waitcnt vmcnt(8) lgkmcnt(1)
	v_mul_f64 v[175:176], v[2:3], v[20:21]
	v_mul_f64 v[20:21], v[4:5], v[20:21]
	v_fma_f64 v[173:174], v[173:174], v[14:15], v[177:178]
	v_fma_f64 v[171:172], v[171:172], v[14:15], -v[16:17]
	scratch_load_b128 v[14:17], off, off offset:496
	v_add_f64 v[177:178], v[183:184], v[181:182]
	v_add_f64 v[169:170], v[169:170], v[179:180]
	s_waitcnt vmcnt(8) lgkmcnt(0)
	v_mul_f64 v[179:180], v[165:166], v[24:25]
	v_mul_f64 v[24:25], v[167:168], v[24:25]
	v_fma_f64 v[175:176], v[4:5], v[18:19], v[175:176]
	v_fma_f64 v[181:182], v[2:3], v[18:19], -v[20:21]
	ds_load_b128 v[2:5], v1 offset:992
	scratch_load_b128 v[18:21], off, off offset:512
	v_add_f64 v[177:178], v[177:178], v[171:172]
	v_add_f64 v[173:174], v[169:170], v[173:174]
	ds_load_b128 v[169:172], v1 offset:1008
	s_waitcnt vmcnt(8) lgkmcnt(1)
	v_mul_f64 v[183:184], v[2:3], v[28:29]
	v_mul_f64 v[28:29], v[4:5], v[28:29]
	v_fma_f64 v[167:168], v[167:168], v[22:23], v[179:180]
	v_fma_f64 v[165:166], v[165:166], v[22:23], -v[24:25]
	scratch_load_b128 v[22:25], off, off offset:528
	;; [unrolled: 18-line block ×4, first 2 shown]
	s_waitcnt vmcnt(8) lgkmcnt(0)
	v_mul_f64 v[177:178], v[169:170], v[8:9]
	v_mul_f64 v[8:9], v[171:172], v[8:9]
	v_add_f64 v[175:176], v[175:176], v[181:182]
	v_add_f64 v[173:174], v[173:174], v[179:180]
	v_fma_f64 v[179:180], v[4:5], v[42:43], v[183:184]
	v_fma_f64 v[181:182], v[2:3], v[42:43], -v[44:45]
	ds_load_b128 v[2:5], v1 offset:1088
	ds_load_b128 v[42:45], v1 offset:1104
	v_fma_f64 v[171:172], v[171:172], v[6:7], v[177:178]
	v_fma_f64 v[6:7], v[169:170], v[6:7], -v[8:9]
	v_add_f64 v[165:166], v[175:176], v[165:166]
	v_add_f64 v[167:168], v[173:174], v[167:168]
	s_waitcnt vmcnt(7) lgkmcnt(1)
	v_mul_f64 v[173:174], v[2:3], v[12:13]
	v_mul_f64 v[12:13], v[4:5], v[12:13]
	s_delay_alu instid0(VALU_DEP_4) | instskip(NEXT) | instid1(VALU_DEP_4)
	v_add_f64 v[8:9], v[165:166], v[181:182]
	v_add_f64 v[165:166], v[167:168], v[179:180]
	s_waitcnt vmcnt(6) lgkmcnt(0)
	v_mul_f64 v[167:168], v[42:43], v[16:17]
	v_mul_f64 v[16:17], v[44:45], v[16:17]
	v_fma_f64 v[169:170], v[4:5], v[10:11], v[173:174]
	v_fma_f64 v[10:11], v[2:3], v[10:11], -v[12:13]
	v_add_f64 v[12:13], v[8:9], v[6:7]
	v_add_f64 v[165:166], v[165:166], v[171:172]
	ds_load_b128 v[2:5], v1 offset:1120
	ds_load_b128 v[6:9], v1 offset:1136
	v_fma_f64 v[44:45], v[44:45], v[14:15], v[167:168]
	v_fma_f64 v[14:15], v[42:43], v[14:15], -v[16:17]
	s_waitcnt vmcnt(5) lgkmcnt(1)
	v_mul_f64 v[171:172], v[2:3], v[20:21]
	v_mul_f64 v[20:21], v[4:5], v[20:21]
	s_waitcnt vmcnt(4) lgkmcnt(0)
	v_mul_f64 v[16:17], v[6:7], v[24:25]
	v_mul_f64 v[24:25], v[8:9], v[24:25]
	v_add_f64 v[10:11], v[12:13], v[10:11]
	v_add_f64 v[12:13], v[165:166], v[169:170]
	v_fma_f64 v[42:43], v[4:5], v[18:19], v[171:172]
	v_fma_f64 v[18:19], v[2:3], v[18:19], -v[20:21]
	v_fma_f64 v[8:9], v[8:9], v[22:23], v[16:17]
	v_fma_f64 v[6:7], v[6:7], v[22:23], -v[24:25]
	v_add_f64 v[14:15], v[10:11], v[14:15]
	v_add_f64 v[20:21], v[12:13], v[44:45]
	ds_load_b128 v[2:5], v1 offset:1152
	ds_load_b128 v[10:13], v1 offset:1168
	s_waitcnt vmcnt(3) lgkmcnt(1)
	v_mul_f64 v[44:45], v[2:3], v[28:29]
	v_mul_f64 v[28:29], v[4:5], v[28:29]
	v_add_f64 v[14:15], v[14:15], v[18:19]
	v_add_f64 v[16:17], v[20:21], v[42:43]
	s_waitcnt vmcnt(2) lgkmcnt(0)
	v_mul_f64 v[18:19], v[10:11], v[32:33]
	v_mul_f64 v[20:21], v[12:13], v[32:33]
	v_fma_f64 v[22:23], v[4:5], v[26:27], v[44:45]
	v_fma_f64 v[24:25], v[2:3], v[26:27], -v[28:29]
	v_add_f64 v[14:15], v[14:15], v[6:7]
	v_add_f64 v[16:17], v[16:17], v[8:9]
	ds_load_b128 v[2:5], v1 offset:1184
	ds_load_b128 v[6:9], v1 offset:1200
	v_fma_f64 v[12:13], v[12:13], v[30:31], v[18:19]
	v_fma_f64 v[10:11], v[10:11], v[30:31], -v[20:21]
	s_waitcnt vmcnt(1) lgkmcnt(1)
	v_mul_f64 v[26:27], v[2:3], v[36:37]
	v_mul_f64 v[28:29], v[4:5], v[36:37]
	s_waitcnt vmcnt(0) lgkmcnt(0)
	v_mul_f64 v[18:19], v[6:7], v[40:41]
	v_mul_f64 v[20:21], v[8:9], v[40:41]
	v_add_f64 v[14:15], v[14:15], v[24:25]
	v_add_f64 v[16:17], v[16:17], v[22:23]
	v_fma_f64 v[4:5], v[4:5], v[34:35], v[26:27]
	v_fma_f64 v[1:2], v[2:3], v[34:35], -v[28:29]
	v_fma_f64 v[8:9], v[8:9], v[38:39], v[18:19]
	v_fma_f64 v[6:7], v[6:7], v[38:39], -v[20:21]
	v_add_f64 v[10:11], v[14:15], v[10:11]
	v_add_f64 v[12:13], v[16:17], v[12:13]
	s_delay_alu instid0(VALU_DEP_2) | instskip(NEXT) | instid1(VALU_DEP_2)
	v_add_f64 v[1:2], v[10:11], v[1:2]
	v_add_f64 v[3:4], v[12:13], v[4:5]
	s_delay_alu instid0(VALU_DEP_2) | instskip(NEXT) | instid1(VALU_DEP_2)
	;; [unrolled: 3-line block ×3, first 2 shown]
	v_add_f64 v[1:2], v[161:162], -v[1:2]
	v_add_f64 v[3:4], v[163:164], -v[3:4]
	scratch_store_b128 off, v[1:4], off offset:112
	v_cmpx_lt_u32_e32 6, v122
	s_cbranch_execz .LBB37_229
; %bb.228:
	scratch_load_b128 v[1:4], v157, off
	v_mov_b32_e32 v5, 0
	s_delay_alu instid0(VALU_DEP_1)
	v_mov_b32_e32 v6, v5
	v_mov_b32_e32 v7, v5
	;; [unrolled: 1-line block ×3, first 2 shown]
	scratch_store_b128 off, v[5:8], off offset:96
	s_waitcnt vmcnt(0)
	ds_store_b128 v160, v[1:4]
.LBB37_229:
	s_or_b32 exec_lo, exec_lo, s2
	s_waitcnt lgkmcnt(0)
	s_waitcnt_vscnt null, 0x0
	s_barrier
	buffer_gl0_inv
	s_clause 0x7
	scratch_load_b128 v[2:5], off, off offset:112
	scratch_load_b128 v[6:9], off, off offset:128
	;; [unrolled: 1-line block ×8, first 2 shown]
	v_mov_b32_e32 v1, 0
	s_mov_b32 s2, exec_lo
	ds_load_b128 v[38:41], v1 offset:720
	s_clause 0x1
	scratch_load_b128 v[34:37], off, off offset:240
	scratch_load_b128 v[42:45], off, off offset:96
	ds_load_b128 v[161:164], v1 offset:736
	scratch_load_b128 v[165:168], off, off offset:256
	s_waitcnt vmcnt(10) lgkmcnt(1)
	v_mul_f64 v[169:170], v[40:41], v[4:5]
	v_mul_f64 v[4:5], v[38:39], v[4:5]
	s_delay_alu instid0(VALU_DEP_2) | instskip(NEXT) | instid1(VALU_DEP_2)
	v_fma_f64 v[175:176], v[38:39], v[2:3], -v[169:170]
	v_fma_f64 v[177:178], v[40:41], v[2:3], v[4:5]
	scratch_load_b128 v[38:41], off, off offset:272
	ds_load_b128 v[2:5], v1 offset:752
	s_waitcnt vmcnt(10) lgkmcnt(1)
	v_mul_f64 v[173:174], v[161:162], v[8:9]
	v_mul_f64 v[8:9], v[163:164], v[8:9]
	ds_load_b128 v[169:172], v1 offset:768
	s_waitcnt vmcnt(9) lgkmcnt(1)
	v_mul_f64 v[179:180], v[2:3], v[12:13]
	v_mul_f64 v[12:13], v[4:5], v[12:13]
	v_fma_f64 v[163:164], v[163:164], v[6:7], v[173:174]
	v_fma_f64 v[161:162], v[161:162], v[6:7], -v[8:9]
	v_add_f64 v[173:174], v[175:176], 0
	v_add_f64 v[175:176], v[177:178], 0
	scratch_load_b128 v[6:9], off, off offset:288
	v_fma_f64 v[179:180], v[4:5], v[10:11], v[179:180]
	v_fma_f64 v[181:182], v[2:3], v[10:11], -v[12:13]
	scratch_load_b128 v[10:13], off, off offset:304
	ds_load_b128 v[2:5], v1 offset:784
	s_waitcnt vmcnt(10) lgkmcnt(1)
	v_mul_f64 v[177:178], v[169:170], v[16:17]
	v_mul_f64 v[16:17], v[171:172], v[16:17]
	v_add_f64 v[173:174], v[173:174], v[161:162]
	v_add_f64 v[175:176], v[175:176], v[163:164]
	s_waitcnt vmcnt(9) lgkmcnt(0)
	v_mul_f64 v[183:184], v[2:3], v[20:21]
	v_mul_f64 v[20:21], v[4:5], v[20:21]
	ds_load_b128 v[161:164], v1 offset:800
	v_fma_f64 v[171:172], v[171:172], v[14:15], v[177:178]
	v_fma_f64 v[169:170], v[169:170], v[14:15], -v[16:17]
	scratch_load_b128 v[14:17], off, off offset:320
	v_add_f64 v[173:174], v[173:174], v[181:182]
	v_add_f64 v[175:176], v[175:176], v[179:180]
	v_fma_f64 v[179:180], v[4:5], v[18:19], v[183:184]
	v_fma_f64 v[181:182], v[2:3], v[18:19], -v[20:21]
	scratch_load_b128 v[18:21], off, off offset:336
	ds_load_b128 v[2:5], v1 offset:816
	s_waitcnt vmcnt(10) lgkmcnt(1)
	v_mul_f64 v[177:178], v[161:162], v[24:25]
	v_mul_f64 v[24:25], v[163:164], v[24:25]
	s_waitcnt vmcnt(9) lgkmcnt(0)
	v_mul_f64 v[183:184], v[2:3], v[28:29]
	v_mul_f64 v[28:29], v[4:5], v[28:29]
	v_add_f64 v[173:174], v[173:174], v[169:170]
	v_add_f64 v[175:176], v[175:176], v[171:172]
	ds_load_b128 v[169:172], v1 offset:832
	v_fma_f64 v[163:164], v[163:164], v[22:23], v[177:178]
	v_fma_f64 v[161:162], v[161:162], v[22:23], -v[24:25]
	scratch_load_b128 v[22:25], off, off offset:352
	v_add_f64 v[173:174], v[173:174], v[181:182]
	v_add_f64 v[175:176], v[175:176], v[179:180]
	v_fma_f64 v[179:180], v[4:5], v[26:27], v[183:184]
	v_fma_f64 v[181:182], v[2:3], v[26:27], -v[28:29]
	scratch_load_b128 v[26:29], off, off offset:368
	ds_load_b128 v[2:5], v1 offset:848
	s_waitcnt vmcnt(10) lgkmcnt(1)
	v_mul_f64 v[177:178], v[169:170], v[32:33]
	v_mul_f64 v[32:33], v[171:172], v[32:33]
	s_waitcnt vmcnt(9) lgkmcnt(0)
	v_mul_f64 v[183:184], v[2:3], v[36:37]
	v_mul_f64 v[36:37], v[4:5], v[36:37]
	v_add_f64 v[173:174], v[173:174], v[161:162]
	v_add_f64 v[175:176], v[175:176], v[163:164]
	ds_load_b128 v[161:164], v1 offset:864
	v_fma_f64 v[171:172], v[171:172], v[30:31], v[177:178]
	v_fma_f64 v[169:170], v[169:170], v[30:31], -v[32:33]
	scratch_load_b128 v[30:33], off, off offset:384
	v_add_f64 v[173:174], v[173:174], v[181:182]
	v_add_f64 v[175:176], v[175:176], v[179:180]
	v_fma_f64 v[181:182], v[4:5], v[34:35], v[183:184]
	v_fma_f64 v[183:184], v[2:3], v[34:35], -v[36:37]
	scratch_load_b128 v[34:37], off, off offset:400
	ds_load_b128 v[2:5], v1 offset:880
	s_waitcnt vmcnt(9) lgkmcnt(1)
	v_mul_f64 v[177:178], v[161:162], v[167:168]
	v_mul_f64 v[179:180], v[163:164], v[167:168]
	v_add_f64 v[173:174], v[173:174], v[169:170]
	v_add_f64 v[171:172], v[175:176], v[171:172]
	ds_load_b128 v[167:170], v1 offset:896
	v_fma_f64 v[177:178], v[163:164], v[165:166], v[177:178]
	v_fma_f64 v[165:166], v[161:162], v[165:166], -v[179:180]
	scratch_load_b128 v[161:164], off, off offset:416
	s_waitcnt vmcnt(9) lgkmcnt(1)
	v_mul_f64 v[175:176], v[2:3], v[40:41]
	v_mul_f64 v[40:41], v[4:5], v[40:41]
	v_add_f64 v[173:174], v[173:174], v[183:184]
	v_add_f64 v[171:172], v[171:172], v[181:182]
	s_delay_alu instid0(VALU_DEP_4) | instskip(NEXT) | instid1(VALU_DEP_4)
	v_fma_f64 v[175:176], v[4:5], v[38:39], v[175:176]
	v_fma_f64 v[181:182], v[2:3], v[38:39], -v[40:41]
	scratch_load_b128 v[38:41], off, off offset:432
	ds_load_b128 v[2:5], v1 offset:912
	s_waitcnt vmcnt(9) lgkmcnt(1)
	v_mul_f64 v[179:180], v[167:168], v[8:9]
	v_mul_f64 v[8:9], v[169:170], v[8:9]
	s_waitcnt vmcnt(8) lgkmcnt(0)
	v_mul_f64 v[183:184], v[2:3], v[12:13]
	v_mul_f64 v[12:13], v[4:5], v[12:13]
	v_add_f64 v[165:166], v[173:174], v[165:166]
	v_add_f64 v[177:178], v[171:172], v[177:178]
	ds_load_b128 v[171:174], v1 offset:928
	v_fma_f64 v[169:170], v[169:170], v[6:7], v[179:180]
	v_fma_f64 v[167:168], v[167:168], v[6:7], -v[8:9]
	scratch_load_b128 v[6:9], off, off offset:448
	v_fma_f64 v[179:180], v[4:5], v[10:11], v[183:184]
	v_add_f64 v[165:166], v[165:166], v[181:182]
	v_add_f64 v[175:176], v[177:178], v[175:176]
	v_fma_f64 v[181:182], v[2:3], v[10:11], -v[12:13]
	scratch_load_b128 v[10:13], off, off offset:464
	ds_load_b128 v[2:5], v1 offset:944
	s_waitcnt vmcnt(9) lgkmcnt(1)
	v_mul_f64 v[177:178], v[171:172], v[16:17]
	v_mul_f64 v[16:17], v[173:174], v[16:17]
	v_add_f64 v[183:184], v[165:166], v[167:168]
	v_add_f64 v[169:170], v[175:176], v[169:170]
	s_waitcnt vmcnt(8) lgkmcnt(0)
	v_mul_f64 v[175:176], v[2:3], v[20:21]
	v_mul_f64 v[20:21], v[4:5], v[20:21]
	ds_load_b128 v[165:168], v1 offset:960
	v_fma_f64 v[173:174], v[173:174], v[14:15], v[177:178]
	v_fma_f64 v[171:172], v[171:172], v[14:15], -v[16:17]
	scratch_load_b128 v[14:17], off, off offset:480
	v_add_f64 v[177:178], v[183:184], v[181:182]
	v_add_f64 v[169:170], v[169:170], v[179:180]
	v_fma_f64 v[175:176], v[4:5], v[18:19], v[175:176]
	v_fma_f64 v[181:182], v[2:3], v[18:19], -v[20:21]
	scratch_load_b128 v[18:21], off, off offset:496
	ds_load_b128 v[2:5], v1 offset:976
	s_waitcnt vmcnt(9) lgkmcnt(1)
	v_mul_f64 v[179:180], v[165:166], v[24:25]
	v_mul_f64 v[24:25], v[167:168], v[24:25]
	s_waitcnt vmcnt(8) lgkmcnt(0)
	v_mul_f64 v[183:184], v[2:3], v[28:29]
	v_mul_f64 v[28:29], v[4:5], v[28:29]
	v_add_f64 v[177:178], v[177:178], v[171:172]
	v_add_f64 v[173:174], v[169:170], v[173:174]
	ds_load_b128 v[169:172], v1 offset:992
	v_fma_f64 v[167:168], v[167:168], v[22:23], v[179:180]
	v_fma_f64 v[165:166], v[165:166], v[22:23], -v[24:25]
	scratch_load_b128 v[22:25], off, off offset:512
	v_fma_f64 v[179:180], v[4:5], v[26:27], v[183:184]
	v_add_f64 v[177:178], v[177:178], v[181:182]
	v_add_f64 v[173:174], v[173:174], v[175:176]
	v_fma_f64 v[181:182], v[2:3], v[26:27], -v[28:29]
	scratch_load_b128 v[26:29], off, off offset:528
	ds_load_b128 v[2:5], v1 offset:1008
	s_waitcnt vmcnt(9) lgkmcnt(1)
	v_mul_f64 v[175:176], v[169:170], v[32:33]
	v_mul_f64 v[32:33], v[171:172], v[32:33]
	s_waitcnt vmcnt(8) lgkmcnt(0)
	v_mul_f64 v[183:184], v[2:3], v[36:37]
	v_mul_f64 v[36:37], v[4:5], v[36:37]
	v_add_f64 v[177:178], v[177:178], v[165:166]
	v_add_f64 v[173:174], v[173:174], v[167:168]
	ds_load_b128 v[165:168], v1 offset:1024
	v_fma_f64 v[171:172], v[171:172], v[30:31], v[175:176]
	v_fma_f64 v[169:170], v[169:170], v[30:31], -v[32:33]
	scratch_load_b128 v[30:33], off, off offset:544
	v_add_f64 v[175:176], v[177:178], v[181:182]
	v_add_f64 v[173:174], v[173:174], v[179:180]
	v_fma_f64 v[179:180], v[4:5], v[34:35], v[183:184]
	v_fma_f64 v[181:182], v[2:3], v[34:35], -v[36:37]
	scratch_load_b128 v[34:37], off, off offset:560
	ds_load_b128 v[2:5], v1 offset:1040
	s_waitcnt vmcnt(9) lgkmcnt(1)
	v_mul_f64 v[177:178], v[165:166], v[163:164]
	v_mul_f64 v[163:164], v[167:168], v[163:164]
	s_waitcnt vmcnt(8) lgkmcnt(0)
	v_mul_f64 v[183:184], v[2:3], v[40:41]
	v_mul_f64 v[40:41], v[4:5], v[40:41]
	v_add_f64 v[175:176], v[175:176], v[169:170]
	v_add_f64 v[173:174], v[173:174], v[171:172]
	ds_load_b128 v[169:172], v1 offset:1056
	v_fma_f64 v[167:168], v[167:168], v[161:162], v[177:178]
	v_fma_f64 v[165:166], v[165:166], v[161:162], -v[163:164]
	scratch_load_b128 v[161:164], off, off offset:576
	v_add_f64 v[175:176], v[175:176], v[181:182]
	v_add_f64 v[173:174], v[173:174], v[179:180]
	v_fma_f64 v[179:180], v[4:5], v[38:39], v[183:184]
	v_fma_f64 v[181:182], v[2:3], v[38:39], -v[40:41]
	scratch_load_b128 v[38:41], off, off offset:592
	ds_load_b128 v[2:5], v1 offset:1072
	s_waitcnt vmcnt(9) lgkmcnt(1)
	v_mul_f64 v[177:178], v[169:170], v[8:9]
	v_mul_f64 v[8:9], v[171:172], v[8:9]
	s_waitcnt vmcnt(8) lgkmcnt(0)
	v_mul_f64 v[183:184], v[2:3], v[12:13]
	v_mul_f64 v[12:13], v[4:5], v[12:13]
	v_add_f64 v[175:176], v[175:176], v[165:166]
	v_add_f64 v[173:174], v[173:174], v[167:168]
	ds_load_b128 v[165:168], v1 offset:1088
	v_fma_f64 v[171:172], v[171:172], v[6:7], v[177:178]
	v_fma_f64 v[6:7], v[169:170], v[6:7], -v[8:9]
	v_add_f64 v[8:9], v[175:176], v[181:182]
	v_add_f64 v[169:170], v[173:174], v[179:180]
	s_waitcnt vmcnt(7) lgkmcnt(0)
	v_mul_f64 v[173:174], v[165:166], v[16:17]
	v_mul_f64 v[16:17], v[167:168], v[16:17]
	v_fma_f64 v[175:176], v[4:5], v[10:11], v[183:184]
	v_fma_f64 v[10:11], v[2:3], v[10:11], -v[12:13]
	v_add_f64 v[12:13], v[8:9], v[6:7]
	v_add_f64 v[169:170], v[169:170], v[171:172]
	ds_load_b128 v[2:5], v1 offset:1104
	ds_load_b128 v[6:9], v1 offset:1120
	v_fma_f64 v[167:168], v[167:168], v[14:15], v[173:174]
	v_fma_f64 v[14:15], v[165:166], v[14:15], -v[16:17]
	s_waitcnt vmcnt(6) lgkmcnt(1)
	v_mul_f64 v[171:172], v[2:3], v[20:21]
	v_mul_f64 v[20:21], v[4:5], v[20:21]
	s_waitcnt vmcnt(5) lgkmcnt(0)
	v_mul_f64 v[16:17], v[6:7], v[24:25]
	v_mul_f64 v[24:25], v[8:9], v[24:25]
	v_add_f64 v[10:11], v[12:13], v[10:11]
	v_add_f64 v[12:13], v[169:170], v[175:176]
	v_fma_f64 v[165:166], v[4:5], v[18:19], v[171:172]
	v_fma_f64 v[18:19], v[2:3], v[18:19], -v[20:21]
	v_fma_f64 v[8:9], v[8:9], v[22:23], v[16:17]
	v_fma_f64 v[6:7], v[6:7], v[22:23], -v[24:25]
	v_add_f64 v[14:15], v[10:11], v[14:15]
	v_add_f64 v[20:21], v[12:13], v[167:168]
	ds_load_b128 v[2:5], v1 offset:1136
	ds_load_b128 v[10:13], v1 offset:1152
	s_waitcnt vmcnt(4) lgkmcnt(1)
	v_mul_f64 v[167:168], v[2:3], v[28:29]
	v_mul_f64 v[28:29], v[4:5], v[28:29]
	v_add_f64 v[14:15], v[14:15], v[18:19]
	v_add_f64 v[16:17], v[20:21], v[165:166]
	s_waitcnt vmcnt(3) lgkmcnt(0)
	v_mul_f64 v[18:19], v[10:11], v[32:33]
	v_mul_f64 v[20:21], v[12:13], v[32:33]
	v_fma_f64 v[22:23], v[4:5], v[26:27], v[167:168]
	v_fma_f64 v[24:25], v[2:3], v[26:27], -v[28:29]
	v_add_f64 v[14:15], v[14:15], v[6:7]
	v_add_f64 v[16:17], v[16:17], v[8:9]
	ds_load_b128 v[2:5], v1 offset:1168
	ds_load_b128 v[6:9], v1 offset:1184
	v_fma_f64 v[12:13], v[12:13], v[30:31], v[18:19]
	v_fma_f64 v[10:11], v[10:11], v[30:31], -v[20:21]
	s_waitcnt vmcnt(2) lgkmcnt(1)
	v_mul_f64 v[26:27], v[2:3], v[36:37]
	v_mul_f64 v[28:29], v[4:5], v[36:37]
	s_waitcnt vmcnt(1) lgkmcnt(0)
	v_mul_f64 v[18:19], v[6:7], v[163:164]
	v_mul_f64 v[20:21], v[8:9], v[163:164]
	v_add_f64 v[14:15], v[14:15], v[24:25]
	v_add_f64 v[16:17], v[16:17], v[22:23]
	v_fma_f64 v[22:23], v[4:5], v[34:35], v[26:27]
	v_fma_f64 v[24:25], v[2:3], v[34:35], -v[28:29]
	ds_load_b128 v[2:5], v1 offset:1200
	v_fma_f64 v[8:9], v[8:9], v[161:162], v[18:19]
	v_fma_f64 v[6:7], v[6:7], v[161:162], -v[20:21]
	v_add_f64 v[10:11], v[14:15], v[10:11]
	v_add_f64 v[12:13], v[16:17], v[12:13]
	s_waitcnt vmcnt(0) lgkmcnt(0)
	v_mul_f64 v[14:15], v[2:3], v[40:41]
	v_mul_f64 v[16:17], v[4:5], v[40:41]
	s_delay_alu instid0(VALU_DEP_4) | instskip(NEXT) | instid1(VALU_DEP_4)
	v_add_f64 v[10:11], v[10:11], v[24:25]
	v_add_f64 v[12:13], v[12:13], v[22:23]
	s_delay_alu instid0(VALU_DEP_4) | instskip(NEXT) | instid1(VALU_DEP_4)
	v_fma_f64 v[4:5], v[4:5], v[38:39], v[14:15]
	v_fma_f64 v[2:3], v[2:3], v[38:39], -v[16:17]
	s_delay_alu instid0(VALU_DEP_4) | instskip(NEXT) | instid1(VALU_DEP_4)
	v_add_f64 v[6:7], v[10:11], v[6:7]
	v_add_f64 v[8:9], v[12:13], v[8:9]
	s_delay_alu instid0(VALU_DEP_2) | instskip(NEXT) | instid1(VALU_DEP_2)
	v_add_f64 v[2:3], v[6:7], v[2:3]
	v_add_f64 v[4:5], v[8:9], v[4:5]
	s_delay_alu instid0(VALU_DEP_2) | instskip(NEXT) | instid1(VALU_DEP_2)
	v_add_f64 v[2:3], v[42:43], -v[2:3]
	v_add_f64 v[4:5], v[44:45], -v[4:5]
	scratch_store_b128 off, v[2:5], off offset:96
	v_cmpx_lt_u32_e32 5, v122
	s_cbranch_execz .LBB37_231
; %bb.230:
	scratch_load_b128 v[5:8], v159, off
	v_mov_b32_e32 v2, v1
	v_mov_b32_e32 v3, v1
	;; [unrolled: 1-line block ×3, first 2 shown]
	scratch_store_b128 off, v[1:4], off offset:80
	s_waitcnt vmcnt(0)
	ds_store_b128 v160, v[5:8]
.LBB37_231:
	s_or_b32 exec_lo, exec_lo, s2
	s_waitcnt lgkmcnt(0)
	s_waitcnt_vscnt null, 0x0
	s_barrier
	buffer_gl0_inv
	s_clause 0x8
	scratch_load_b128 v[2:5], off, off offset:96
	scratch_load_b128 v[6:9], off, off offset:112
	;; [unrolled: 1-line block ×9, first 2 shown]
	ds_load_b128 v[42:45], v1 offset:704
	ds_load_b128 v[38:41], v1 offset:720
	s_clause 0x1
	scratch_load_b128 v[161:164], off, off offset:80
	scratch_load_b128 v[165:168], off, off offset:240
	s_mov_b32 s2, exec_lo
	s_waitcnt vmcnt(10) lgkmcnt(1)
	v_mul_f64 v[169:170], v[44:45], v[4:5]
	v_mul_f64 v[4:5], v[42:43], v[4:5]
	s_waitcnt vmcnt(9) lgkmcnt(0)
	v_mul_f64 v[173:174], v[38:39], v[8:9]
	v_mul_f64 v[8:9], v[40:41], v[8:9]
	s_delay_alu instid0(VALU_DEP_4) | instskip(NEXT) | instid1(VALU_DEP_4)
	v_fma_f64 v[175:176], v[42:43], v[2:3], -v[169:170]
	v_fma_f64 v[177:178], v[44:45], v[2:3], v[4:5]
	ds_load_b128 v[2:5], v1 offset:736
	ds_load_b128 v[169:172], v1 offset:752
	scratch_load_b128 v[42:45], off, off offset:256
	v_fma_f64 v[40:41], v[40:41], v[6:7], v[173:174]
	v_fma_f64 v[38:39], v[38:39], v[6:7], -v[8:9]
	scratch_load_b128 v[6:9], off, off offset:272
	s_waitcnt vmcnt(10) lgkmcnt(1)
	v_mul_f64 v[179:180], v[2:3], v[12:13]
	v_mul_f64 v[12:13], v[4:5], v[12:13]
	v_add_f64 v[173:174], v[175:176], 0
	v_add_f64 v[175:176], v[177:178], 0
	s_waitcnt vmcnt(9) lgkmcnt(0)
	v_mul_f64 v[177:178], v[169:170], v[16:17]
	v_mul_f64 v[16:17], v[171:172], v[16:17]
	v_fma_f64 v[179:180], v[4:5], v[10:11], v[179:180]
	v_fma_f64 v[181:182], v[2:3], v[10:11], -v[12:13]
	ds_load_b128 v[2:5], v1 offset:768
	scratch_load_b128 v[10:13], off, off offset:288
	v_add_f64 v[173:174], v[173:174], v[38:39]
	v_add_f64 v[175:176], v[175:176], v[40:41]
	ds_load_b128 v[38:41], v1 offset:784
	v_fma_f64 v[171:172], v[171:172], v[14:15], v[177:178]
	v_fma_f64 v[169:170], v[169:170], v[14:15], -v[16:17]
	scratch_load_b128 v[14:17], off, off offset:304
	s_waitcnt vmcnt(10) lgkmcnt(1)
	v_mul_f64 v[183:184], v[2:3], v[20:21]
	v_mul_f64 v[20:21], v[4:5], v[20:21]
	s_waitcnt vmcnt(9) lgkmcnt(0)
	v_mul_f64 v[177:178], v[38:39], v[24:25]
	v_mul_f64 v[24:25], v[40:41], v[24:25]
	v_add_f64 v[173:174], v[173:174], v[181:182]
	v_add_f64 v[175:176], v[175:176], v[179:180]
	v_fma_f64 v[179:180], v[4:5], v[18:19], v[183:184]
	v_fma_f64 v[181:182], v[2:3], v[18:19], -v[20:21]
	ds_load_b128 v[2:5], v1 offset:800
	scratch_load_b128 v[18:21], off, off offset:320
	v_fma_f64 v[40:41], v[40:41], v[22:23], v[177:178]
	v_fma_f64 v[38:39], v[38:39], v[22:23], -v[24:25]
	scratch_load_b128 v[22:25], off, off offset:336
	v_add_f64 v[173:174], v[173:174], v[169:170]
	v_add_f64 v[175:176], v[175:176], v[171:172]
	ds_load_b128 v[169:172], v1 offset:816
	s_waitcnt vmcnt(10) lgkmcnt(1)
	v_mul_f64 v[183:184], v[2:3], v[28:29]
	v_mul_f64 v[28:29], v[4:5], v[28:29]
	s_waitcnt vmcnt(9) lgkmcnt(0)
	v_mul_f64 v[177:178], v[169:170], v[32:33]
	v_mul_f64 v[32:33], v[171:172], v[32:33]
	v_add_f64 v[173:174], v[173:174], v[181:182]
	v_add_f64 v[175:176], v[175:176], v[179:180]
	v_fma_f64 v[179:180], v[4:5], v[26:27], v[183:184]
	v_fma_f64 v[181:182], v[2:3], v[26:27], -v[28:29]
	ds_load_b128 v[2:5], v1 offset:832
	scratch_load_b128 v[26:29], off, off offset:352
	v_fma_f64 v[171:172], v[171:172], v[30:31], v[177:178]
	v_fma_f64 v[169:170], v[169:170], v[30:31], -v[32:33]
	scratch_load_b128 v[30:33], off, off offset:368
	v_add_f64 v[173:174], v[173:174], v[38:39]
	v_add_f64 v[175:176], v[175:176], v[40:41]
	ds_load_b128 v[38:41], v1 offset:848
	s_waitcnt vmcnt(10) lgkmcnt(1)
	v_mul_f64 v[183:184], v[2:3], v[36:37]
	v_mul_f64 v[36:37], v[4:5], v[36:37]
	s_waitcnt vmcnt(8) lgkmcnt(0)
	v_mul_f64 v[177:178], v[38:39], v[167:168]
	v_add_f64 v[173:174], v[173:174], v[181:182]
	v_add_f64 v[175:176], v[175:176], v[179:180]
	v_mul_f64 v[179:180], v[40:41], v[167:168]
	v_fma_f64 v[181:182], v[4:5], v[34:35], v[183:184]
	v_fma_f64 v[183:184], v[2:3], v[34:35], -v[36:37]
	ds_load_b128 v[2:5], v1 offset:864
	scratch_load_b128 v[34:37], off, off offset:384
	v_fma_f64 v[177:178], v[40:41], v[165:166], v[177:178]
	v_add_f64 v[173:174], v[173:174], v[169:170]
	v_add_f64 v[171:172], v[175:176], v[171:172]
	ds_load_b128 v[167:170], v1 offset:880
	v_fma_f64 v[165:166], v[38:39], v[165:166], -v[179:180]
	scratch_load_b128 v[38:41], off, off offset:400
	s_waitcnt vmcnt(9) lgkmcnt(1)
	v_mul_f64 v[175:176], v[2:3], v[44:45]
	v_mul_f64 v[44:45], v[4:5], v[44:45]
	s_waitcnt vmcnt(8) lgkmcnt(0)
	v_mul_f64 v[179:180], v[167:168], v[8:9]
	v_mul_f64 v[8:9], v[169:170], v[8:9]
	v_add_f64 v[173:174], v[173:174], v[183:184]
	v_add_f64 v[171:172], v[171:172], v[181:182]
	v_fma_f64 v[175:176], v[4:5], v[42:43], v[175:176]
	v_fma_f64 v[181:182], v[2:3], v[42:43], -v[44:45]
	ds_load_b128 v[2:5], v1 offset:896
	scratch_load_b128 v[42:45], off, off offset:416
	v_fma_f64 v[169:170], v[169:170], v[6:7], v[179:180]
	v_fma_f64 v[167:168], v[167:168], v[6:7], -v[8:9]
	scratch_load_b128 v[6:9], off, off offset:432
	v_add_f64 v[165:166], v[173:174], v[165:166]
	v_add_f64 v[177:178], v[171:172], v[177:178]
	ds_load_b128 v[171:174], v1 offset:912
	s_waitcnt vmcnt(9) lgkmcnt(1)
	v_mul_f64 v[183:184], v[2:3], v[12:13]
	v_mul_f64 v[12:13], v[4:5], v[12:13]
	v_add_f64 v[165:166], v[165:166], v[181:182]
	v_add_f64 v[175:176], v[177:178], v[175:176]
	s_waitcnt vmcnt(8) lgkmcnt(0)
	v_mul_f64 v[177:178], v[171:172], v[16:17]
	v_mul_f64 v[16:17], v[173:174], v[16:17]
	v_fma_f64 v[179:180], v[4:5], v[10:11], v[183:184]
	v_fma_f64 v[181:182], v[2:3], v[10:11], -v[12:13]
	ds_load_b128 v[2:5], v1 offset:928
	scratch_load_b128 v[10:13], off, off offset:448
	v_add_f64 v[183:184], v[165:166], v[167:168]
	v_add_f64 v[169:170], v[175:176], v[169:170]
	ds_load_b128 v[165:168], v1 offset:944
	s_waitcnt vmcnt(8) lgkmcnt(1)
	v_mul_f64 v[175:176], v[2:3], v[20:21]
	v_mul_f64 v[20:21], v[4:5], v[20:21]
	v_fma_f64 v[173:174], v[173:174], v[14:15], v[177:178]
	v_fma_f64 v[171:172], v[171:172], v[14:15], -v[16:17]
	scratch_load_b128 v[14:17], off, off offset:464
	v_add_f64 v[177:178], v[183:184], v[181:182]
	v_add_f64 v[169:170], v[169:170], v[179:180]
	s_waitcnt vmcnt(8) lgkmcnt(0)
	v_mul_f64 v[179:180], v[165:166], v[24:25]
	v_mul_f64 v[24:25], v[167:168], v[24:25]
	v_fma_f64 v[175:176], v[4:5], v[18:19], v[175:176]
	v_fma_f64 v[181:182], v[2:3], v[18:19], -v[20:21]
	ds_load_b128 v[2:5], v1 offset:960
	scratch_load_b128 v[18:21], off, off offset:480
	v_add_f64 v[177:178], v[177:178], v[171:172]
	v_add_f64 v[173:174], v[169:170], v[173:174]
	ds_load_b128 v[169:172], v1 offset:976
	s_waitcnt vmcnt(8) lgkmcnt(1)
	v_mul_f64 v[183:184], v[2:3], v[28:29]
	v_mul_f64 v[28:29], v[4:5], v[28:29]
	v_fma_f64 v[167:168], v[167:168], v[22:23], v[179:180]
	v_fma_f64 v[165:166], v[165:166], v[22:23], -v[24:25]
	scratch_load_b128 v[22:25], off, off offset:496
	;; [unrolled: 18-line block ×4, first 2 shown]
	s_waitcnt vmcnt(8) lgkmcnt(0)
	v_mul_f64 v[177:178], v[169:170], v[8:9]
	v_mul_f64 v[8:9], v[171:172], v[8:9]
	v_add_f64 v[175:176], v[175:176], v[181:182]
	v_add_f64 v[173:174], v[173:174], v[179:180]
	v_fma_f64 v[179:180], v[4:5], v[42:43], v[183:184]
	v_fma_f64 v[181:182], v[2:3], v[42:43], -v[44:45]
	ds_load_b128 v[2:5], v1 offset:1056
	scratch_load_b128 v[42:45], off, off offset:576
	v_fma_f64 v[171:172], v[171:172], v[6:7], v[177:178]
	v_fma_f64 v[169:170], v[169:170], v[6:7], -v[8:9]
	scratch_load_b128 v[6:9], off, off offset:592
	v_add_f64 v[175:176], v[175:176], v[165:166]
	v_add_f64 v[173:174], v[173:174], v[167:168]
	ds_load_b128 v[165:168], v1 offset:1072
	s_waitcnt vmcnt(9) lgkmcnt(1)
	v_mul_f64 v[183:184], v[2:3], v[12:13]
	v_mul_f64 v[12:13], v[4:5], v[12:13]
	s_waitcnt vmcnt(8) lgkmcnt(0)
	v_mul_f64 v[177:178], v[165:166], v[16:17]
	v_mul_f64 v[16:17], v[167:168], v[16:17]
	v_add_f64 v[175:176], v[175:176], v[181:182]
	v_add_f64 v[173:174], v[173:174], v[179:180]
	v_fma_f64 v[179:180], v[4:5], v[10:11], v[183:184]
	v_fma_f64 v[181:182], v[2:3], v[10:11], -v[12:13]
	ds_load_b128 v[2:5], v1 offset:1088
	ds_load_b128 v[10:13], v1 offset:1104
	v_fma_f64 v[167:168], v[167:168], v[14:15], v[177:178]
	v_fma_f64 v[14:15], v[165:166], v[14:15], -v[16:17]
	v_add_f64 v[169:170], v[175:176], v[169:170]
	v_add_f64 v[171:172], v[173:174], v[171:172]
	s_waitcnt vmcnt(7) lgkmcnt(1)
	v_mul_f64 v[173:174], v[2:3], v[20:21]
	v_mul_f64 v[20:21], v[4:5], v[20:21]
	s_delay_alu instid0(VALU_DEP_4) | instskip(NEXT) | instid1(VALU_DEP_4)
	v_add_f64 v[16:17], v[169:170], v[181:182]
	v_add_f64 v[165:166], v[171:172], v[179:180]
	s_waitcnt vmcnt(6) lgkmcnt(0)
	v_mul_f64 v[169:170], v[10:11], v[24:25]
	v_mul_f64 v[24:25], v[12:13], v[24:25]
	v_fma_f64 v[171:172], v[4:5], v[18:19], v[173:174]
	v_fma_f64 v[18:19], v[2:3], v[18:19], -v[20:21]
	v_add_f64 v[20:21], v[16:17], v[14:15]
	v_add_f64 v[165:166], v[165:166], v[167:168]
	ds_load_b128 v[2:5], v1 offset:1120
	ds_load_b128 v[14:17], v1 offset:1136
	v_fma_f64 v[12:13], v[12:13], v[22:23], v[169:170]
	v_fma_f64 v[10:11], v[10:11], v[22:23], -v[24:25]
	s_waitcnt vmcnt(5) lgkmcnt(1)
	v_mul_f64 v[167:168], v[2:3], v[28:29]
	v_mul_f64 v[28:29], v[4:5], v[28:29]
	s_waitcnt vmcnt(4) lgkmcnt(0)
	v_mul_f64 v[22:23], v[14:15], v[32:33]
	v_mul_f64 v[24:25], v[16:17], v[32:33]
	v_add_f64 v[18:19], v[20:21], v[18:19]
	v_add_f64 v[20:21], v[165:166], v[171:172]
	v_fma_f64 v[32:33], v[4:5], v[26:27], v[167:168]
	v_fma_f64 v[26:27], v[2:3], v[26:27], -v[28:29]
	v_fma_f64 v[16:17], v[16:17], v[30:31], v[22:23]
	v_fma_f64 v[14:15], v[14:15], v[30:31], -v[24:25]
	v_add_f64 v[18:19], v[18:19], v[10:11]
	v_add_f64 v[20:21], v[20:21], v[12:13]
	ds_load_b128 v[2:5], v1 offset:1152
	ds_load_b128 v[10:13], v1 offset:1168
	s_waitcnt vmcnt(3) lgkmcnt(1)
	v_mul_f64 v[28:29], v[2:3], v[36:37]
	v_mul_f64 v[36:37], v[4:5], v[36:37]
	s_waitcnt vmcnt(2) lgkmcnt(0)
	v_mul_f64 v[22:23], v[10:11], v[40:41]
	v_mul_f64 v[24:25], v[12:13], v[40:41]
	v_add_f64 v[18:19], v[18:19], v[26:27]
	v_add_f64 v[20:21], v[20:21], v[32:33]
	v_fma_f64 v[26:27], v[4:5], v[34:35], v[28:29]
	v_fma_f64 v[28:29], v[2:3], v[34:35], -v[36:37]
	v_fma_f64 v[12:13], v[12:13], v[38:39], v[22:23]
	v_fma_f64 v[10:11], v[10:11], v[38:39], -v[24:25]
	v_add_f64 v[18:19], v[18:19], v[14:15]
	v_add_f64 v[20:21], v[20:21], v[16:17]
	ds_load_b128 v[2:5], v1 offset:1184
	ds_load_b128 v[14:17], v1 offset:1200
	s_waitcnt vmcnt(1) lgkmcnt(1)
	v_mul_f64 v[30:31], v[2:3], v[44:45]
	v_mul_f64 v[32:33], v[4:5], v[44:45]
	s_waitcnt vmcnt(0) lgkmcnt(0)
	v_mul_f64 v[22:23], v[14:15], v[8:9]
	v_mul_f64 v[8:9], v[16:17], v[8:9]
	v_add_f64 v[18:19], v[18:19], v[28:29]
	v_add_f64 v[20:21], v[20:21], v[26:27]
	v_fma_f64 v[4:5], v[4:5], v[42:43], v[30:31]
	v_fma_f64 v[1:2], v[2:3], v[42:43], -v[32:33]
	v_fma_f64 v[16:17], v[16:17], v[6:7], v[22:23]
	v_fma_f64 v[6:7], v[14:15], v[6:7], -v[8:9]
	v_add_f64 v[10:11], v[18:19], v[10:11]
	v_add_f64 v[12:13], v[20:21], v[12:13]
	s_delay_alu instid0(VALU_DEP_2) | instskip(NEXT) | instid1(VALU_DEP_2)
	v_add_f64 v[1:2], v[10:11], v[1:2]
	v_add_f64 v[3:4], v[12:13], v[4:5]
	s_delay_alu instid0(VALU_DEP_2) | instskip(NEXT) | instid1(VALU_DEP_2)
	;; [unrolled: 3-line block ×3, first 2 shown]
	v_add_f64 v[1:2], v[161:162], -v[1:2]
	v_add_f64 v[3:4], v[163:164], -v[3:4]
	scratch_store_b128 off, v[1:4], off offset:80
	v_cmpx_lt_u32_e32 4, v122
	s_cbranch_execz .LBB37_233
; %bb.232:
	scratch_load_b128 v[1:4], v123, off
	v_mov_b32_e32 v5, 0
	s_delay_alu instid0(VALU_DEP_1)
	v_mov_b32_e32 v6, v5
	v_mov_b32_e32 v7, v5
	;; [unrolled: 1-line block ×3, first 2 shown]
	scratch_store_b128 off, v[5:8], off offset:64
	s_waitcnt vmcnt(0)
	ds_store_b128 v160, v[1:4]
.LBB37_233:
	s_or_b32 exec_lo, exec_lo, s2
	s_waitcnt lgkmcnt(0)
	s_waitcnt_vscnt null, 0x0
	s_barrier
	buffer_gl0_inv
	s_clause 0x7
	scratch_load_b128 v[2:5], off, off offset:80
	scratch_load_b128 v[6:9], off, off offset:96
	;; [unrolled: 1-line block ×8, first 2 shown]
	v_mov_b32_e32 v1, 0
	s_mov_b32 s2, exec_lo
	ds_load_b128 v[38:41], v1 offset:688
	s_clause 0x1
	scratch_load_b128 v[34:37], off, off offset:208
	scratch_load_b128 v[42:45], off, off offset:64
	ds_load_b128 v[161:164], v1 offset:704
	scratch_load_b128 v[165:168], off, off offset:224
	s_waitcnt vmcnt(10) lgkmcnt(1)
	v_mul_f64 v[169:170], v[40:41], v[4:5]
	v_mul_f64 v[4:5], v[38:39], v[4:5]
	s_delay_alu instid0(VALU_DEP_2) | instskip(NEXT) | instid1(VALU_DEP_2)
	v_fma_f64 v[175:176], v[38:39], v[2:3], -v[169:170]
	v_fma_f64 v[177:178], v[40:41], v[2:3], v[4:5]
	scratch_load_b128 v[38:41], off, off offset:240
	ds_load_b128 v[2:5], v1 offset:720
	s_waitcnt vmcnt(10) lgkmcnt(1)
	v_mul_f64 v[173:174], v[161:162], v[8:9]
	v_mul_f64 v[8:9], v[163:164], v[8:9]
	ds_load_b128 v[169:172], v1 offset:736
	s_waitcnt vmcnt(9) lgkmcnt(1)
	v_mul_f64 v[179:180], v[2:3], v[12:13]
	v_mul_f64 v[12:13], v[4:5], v[12:13]
	v_fma_f64 v[163:164], v[163:164], v[6:7], v[173:174]
	v_fma_f64 v[161:162], v[161:162], v[6:7], -v[8:9]
	v_add_f64 v[173:174], v[175:176], 0
	v_add_f64 v[175:176], v[177:178], 0
	scratch_load_b128 v[6:9], off, off offset:256
	v_fma_f64 v[179:180], v[4:5], v[10:11], v[179:180]
	v_fma_f64 v[181:182], v[2:3], v[10:11], -v[12:13]
	scratch_load_b128 v[10:13], off, off offset:272
	ds_load_b128 v[2:5], v1 offset:752
	s_waitcnt vmcnt(10) lgkmcnt(1)
	v_mul_f64 v[177:178], v[169:170], v[16:17]
	v_mul_f64 v[16:17], v[171:172], v[16:17]
	v_add_f64 v[173:174], v[173:174], v[161:162]
	v_add_f64 v[175:176], v[175:176], v[163:164]
	s_waitcnt vmcnt(9) lgkmcnt(0)
	v_mul_f64 v[183:184], v[2:3], v[20:21]
	v_mul_f64 v[20:21], v[4:5], v[20:21]
	ds_load_b128 v[161:164], v1 offset:768
	v_fma_f64 v[171:172], v[171:172], v[14:15], v[177:178]
	v_fma_f64 v[169:170], v[169:170], v[14:15], -v[16:17]
	scratch_load_b128 v[14:17], off, off offset:288
	v_add_f64 v[173:174], v[173:174], v[181:182]
	v_add_f64 v[175:176], v[175:176], v[179:180]
	v_fma_f64 v[179:180], v[4:5], v[18:19], v[183:184]
	v_fma_f64 v[181:182], v[2:3], v[18:19], -v[20:21]
	scratch_load_b128 v[18:21], off, off offset:304
	ds_load_b128 v[2:5], v1 offset:784
	s_waitcnt vmcnt(10) lgkmcnt(1)
	v_mul_f64 v[177:178], v[161:162], v[24:25]
	v_mul_f64 v[24:25], v[163:164], v[24:25]
	s_waitcnt vmcnt(9) lgkmcnt(0)
	v_mul_f64 v[183:184], v[2:3], v[28:29]
	v_mul_f64 v[28:29], v[4:5], v[28:29]
	v_add_f64 v[173:174], v[173:174], v[169:170]
	v_add_f64 v[175:176], v[175:176], v[171:172]
	ds_load_b128 v[169:172], v1 offset:800
	v_fma_f64 v[163:164], v[163:164], v[22:23], v[177:178]
	v_fma_f64 v[161:162], v[161:162], v[22:23], -v[24:25]
	scratch_load_b128 v[22:25], off, off offset:320
	v_add_f64 v[173:174], v[173:174], v[181:182]
	v_add_f64 v[175:176], v[175:176], v[179:180]
	v_fma_f64 v[179:180], v[4:5], v[26:27], v[183:184]
	v_fma_f64 v[181:182], v[2:3], v[26:27], -v[28:29]
	scratch_load_b128 v[26:29], off, off offset:336
	ds_load_b128 v[2:5], v1 offset:816
	s_waitcnt vmcnt(10) lgkmcnt(1)
	v_mul_f64 v[177:178], v[169:170], v[32:33]
	v_mul_f64 v[32:33], v[171:172], v[32:33]
	s_waitcnt vmcnt(9) lgkmcnt(0)
	v_mul_f64 v[183:184], v[2:3], v[36:37]
	v_mul_f64 v[36:37], v[4:5], v[36:37]
	v_add_f64 v[173:174], v[173:174], v[161:162]
	v_add_f64 v[175:176], v[175:176], v[163:164]
	ds_load_b128 v[161:164], v1 offset:832
	v_fma_f64 v[171:172], v[171:172], v[30:31], v[177:178]
	v_fma_f64 v[169:170], v[169:170], v[30:31], -v[32:33]
	scratch_load_b128 v[30:33], off, off offset:352
	v_add_f64 v[173:174], v[173:174], v[181:182]
	v_add_f64 v[175:176], v[175:176], v[179:180]
	v_fma_f64 v[181:182], v[4:5], v[34:35], v[183:184]
	v_fma_f64 v[183:184], v[2:3], v[34:35], -v[36:37]
	scratch_load_b128 v[34:37], off, off offset:368
	ds_load_b128 v[2:5], v1 offset:848
	s_waitcnt vmcnt(9) lgkmcnt(1)
	v_mul_f64 v[177:178], v[161:162], v[167:168]
	v_mul_f64 v[179:180], v[163:164], v[167:168]
	v_add_f64 v[173:174], v[173:174], v[169:170]
	v_add_f64 v[171:172], v[175:176], v[171:172]
	ds_load_b128 v[167:170], v1 offset:864
	v_fma_f64 v[177:178], v[163:164], v[165:166], v[177:178]
	v_fma_f64 v[165:166], v[161:162], v[165:166], -v[179:180]
	scratch_load_b128 v[161:164], off, off offset:384
	s_waitcnt vmcnt(9) lgkmcnt(1)
	v_mul_f64 v[175:176], v[2:3], v[40:41]
	v_mul_f64 v[40:41], v[4:5], v[40:41]
	v_add_f64 v[173:174], v[173:174], v[183:184]
	v_add_f64 v[171:172], v[171:172], v[181:182]
	s_delay_alu instid0(VALU_DEP_4) | instskip(NEXT) | instid1(VALU_DEP_4)
	v_fma_f64 v[175:176], v[4:5], v[38:39], v[175:176]
	v_fma_f64 v[181:182], v[2:3], v[38:39], -v[40:41]
	scratch_load_b128 v[38:41], off, off offset:400
	ds_load_b128 v[2:5], v1 offset:880
	s_waitcnt vmcnt(9) lgkmcnt(1)
	v_mul_f64 v[179:180], v[167:168], v[8:9]
	v_mul_f64 v[8:9], v[169:170], v[8:9]
	s_waitcnt vmcnt(8) lgkmcnt(0)
	v_mul_f64 v[183:184], v[2:3], v[12:13]
	v_mul_f64 v[12:13], v[4:5], v[12:13]
	v_add_f64 v[165:166], v[173:174], v[165:166]
	v_add_f64 v[177:178], v[171:172], v[177:178]
	ds_load_b128 v[171:174], v1 offset:896
	v_fma_f64 v[169:170], v[169:170], v[6:7], v[179:180]
	v_fma_f64 v[167:168], v[167:168], v[6:7], -v[8:9]
	scratch_load_b128 v[6:9], off, off offset:416
	v_fma_f64 v[179:180], v[4:5], v[10:11], v[183:184]
	v_add_f64 v[165:166], v[165:166], v[181:182]
	v_add_f64 v[175:176], v[177:178], v[175:176]
	v_fma_f64 v[181:182], v[2:3], v[10:11], -v[12:13]
	scratch_load_b128 v[10:13], off, off offset:432
	ds_load_b128 v[2:5], v1 offset:912
	s_waitcnt vmcnt(9) lgkmcnt(1)
	v_mul_f64 v[177:178], v[171:172], v[16:17]
	v_mul_f64 v[16:17], v[173:174], v[16:17]
	v_add_f64 v[183:184], v[165:166], v[167:168]
	v_add_f64 v[169:170], v[175:176], v[169:170]
	s_waitcnt vmcnt(8) lgkmcnt(0)
	v_mul_f64 v[175:176], v[2:3], v[20:21]
	v_mul_f64 v[20:21], v[4:5], v[20:21]
	ds_load_b128 v[165:168], v1 offset:928
	v_fma_f64 v[173:174], v[173:174], v[14:15], v[177:178]
	v_fma_f64 v[171:172], v[171:172], v[14:15], -v[16:17]
	scratch_load_b128 v[14:17], off, off offset:448
	v_add_f64 v[177:178], v[183:184], v[181:182]
	v_add_f64 v[169:170], v[169:170], v[179:180]
	v_fma_f64 v[175:176], v[4:5], v[18:19], v[175:176]
	v_fma_f64 v[181:182], v[2:3], v[18:19], -v[20:21]
	scratch_load_b128 v[18:21], off, off offset:464
	ds_load_b128 v[2:5], v1 offset:944
	s_waitcnt vmcnt(9) lgkmcnt(1)
	v_mul_f64 v[179:180], v[165:166], v[24:25]
	v_mul_f64 v[24:25], v[167:168], v[24:25]
	s_waitcnt vmcnt(8) lgkmcnt(0)
	v_mul_f64 v[183:184], v[2:3], v[28:29]
	v_mul_f64 v[28:29], v[4:5], v[28:29]
	v_add_f64 v[177:178], v[177:178], v[171:172]
	v_add_f64 v[173:174], v[169:170], v[173:174]
	ds_load_b128 v[169:172], v1 offset:960
	v_fma_f64 v[167:168], v[167:168], v[22:23], v[179:180]
	v_fma_f64 v[165:166], v[165:166], v[22:23], -v[24:25]
	scratch_load_b128 v[22:25], off, off offset:480
	v_fma_f64 v[179:180], v[4:5], v[26:27], v[183:184]
	v_add_f64 v[177:178], v[177:178], v[181:182]
	v_add_f64 v[173:174], v[173:174], v[175:176]
	v_fma_f64 v[181:182], v[2:3], v[26:27], -v[28:29]
	scratch_load_b128 v[26:29], off, off offset:496
	ds_load_b128 v[2:5], v1 offset:976
	s_waitcnt vmcnt(9) lgkmcnt(1)
	v_mul_f64 v[175:176], v[169:170], v[32:33]
	v_mul_f64 v[32:33], v[171:172], v[32:33]
	s_waitcnt vmcnt(8) lgkmcnt(0)
	v_mul_f64 v[183:184], v[2:3], v[36:37]
	v_mul_f64 v[36:37], v[4:5], v[36:37]
	v_add_f64 v[177:178], v[177:178], v[165:166]
	v_add_f64 v[173:174], v[173:174], v[167:168]
	ds_load_b128 v[165:168], v1 offset:992
	v_fma_f64 v[171:172], v[171:172], v[30:31], v[175:176]
	v_fma_f64 v[169:170], v[169:170], v[30:31], -v[32:33]
	scratch_load_b128 v[30:33], off, off offset:512
	v_add_f64 v[175:176], v[177:178], v[181:182]
	v_add_f64 v[173:174], v[173:174], v[179:180]
	v_fma_f64 v[179:180], v[4:5], v[34:35], v[183:184]
	v_fma_f64 v[181:182], v[2:3], v[34:35], -v[36:37]
	scratch_load_b128 v[34:37], off, off offset:528
	ds_load_b128 v[2:5], v1 offset:1008
	s_waitcnt vmcnt(9) lgkmcnt(1)
	v_mul_f64 v[177:178], v[165:166], v[163:164]
	v_mul_f64 v[163:164], v[167:168], v[163:164]
	s_waitcnt vmcnt(8) lgkmcnt(0)
	v_mul_f64 v[183:184], v[2:3], v[40:41]
	v_mul_f64 v[40:41], v[4:5], v[40:41]
	v_add_f64 v[175:176], v[175:176], v[169:170]
	v_add_f64 v[173:174], v[173:174], v[171:172]
	ds_load_b128 v[169:172], v1 offset:1024
	v_fma_f64 v[167:168], v[167:168], v[161:162], v[177:178]
	v_fma_f64 v[165:166], v[165:166], v[161:162], -v[163:164]
	scratch_load_b128 v[161:164], off, off offset:544
	v_add_f64 v[175:176], v[175:176], v[181:182]
	v_add_f64 v[173:174], v[173:174], v[179:180]
	v_fma_f64 v[179:180], v[4:5], v[38:39], v[183:184]
	;; [unrolled: 18-line block ×3, first 2 shown]
	v_fma_f64 v[181:182], v[2:3], v[10:11], -v[12:13]
	scratch_load_b128 v[10:13], off, off offset:592
	ds_load_b128 v[2:5], v1 offset:1072
	s_waitcnt vmcnt(9) lgkmcnt(1)
	v_mul_f64 v[177:178], v[165:166], v[16:17]
	v_mul_f64 v[16:17], v[167:168], v[16:17]
	s_waitcnt vmcnt(8) lgkmcnt(0)
	v_mul_f64 v[183:184], v[2:3], v[20:21]
	v_mul_f64 v[20:21], v[4:5], v[20:21]
	v_add_f64 v[175:176], v[175:176], v[169:170]
	v_add_f64 v[173:174], v[173:174], v[171:172]
	ds_load_b128 v[169:172], v1 offset:1088
	v_fma_f64 v[167:168], v[167:168], v[14:15], v[177:178]
	v_fma_f64 v[14:15], v[165:166], v[14:15], -v[16:17]
	v_add_f64 v[16:17], v[175:176], v[181:182]
	v_add_f64 v[165:166], v[173:174], v[179:180]
	s_waitcnt vmcnt(7) lgkmcnt(0)
	v_mul_f64 v[173:174], v[169:170], v[24:25]
	v_mul_f64 v[24:25], v[171:172], v[24:25]
	v_fma_f64 v[175:176], v[4:5], v[18:19], v[183:184]
	v_fma_f64 v[18:19], v[2:3], v[18:19], -v[20:21]
	v_add_f64 v[20:21], v[16:17], v[14:15]
	v_add_f64 v[165:166], v[165:166], v[167:168]
	ds_load_b128 v[2:5], v1 offset:1104
	ds_load_b128 v[14:17], v1 offset:1120
	v_fma_f64 v[171:172], v[171:172], v[22:23], v[173:174]
	v_fma_f64 v[22:23], v[169:170], v[22:23], -v[24:25]
	s_waitcnt vmcnt(6) lgkmcnt(1)
	v_mul_f64 v[167:168], v[2:3], v[28:29]
	v_mul_f64 v[28:29], v[4:5], v[28:29]
	s_waitcnt vmcnt(5) lgkmcnt(0)
	v_mul_f64 v[24:25], v[14:15], v[32:33]
	v_mul_f64 v[32:33], v[16:17], v[32:33]
	v_add_f64 v[18:19], v[20:21], v[18:19]
	v_add_f64 v[20:21], v[165:166], v[175:176]
	v_fma_f64 v[165:166], v[4:5], v[26:27], v[167:168]
	v_fma_f64 v[26:27], v[2:3], v[26:27], -v[28:29]
	v_fma_f64 v[16:17], v[16:17], v[30:31], v[24:25]
	v_fma_f64 v[14:15], v[14:15], v[30:31], -v[32:33]
	v_add_f64 v[22:23], v[18:19], v[22:23]
	v_add_f64 v[28:29], v[20:21], v[171:172]
	ds_load_b128 v[2:5], v1 offset:1136
	ds_load_b128 v[18:21], v1 offset:1152
	s_waitcnt vmcnt(4) lgkmcnt(1)
	v_mul_f64 v[167:168], v[2:3], v[36:37]
	v_mul_f64 v[36:37], v[4:5], v[36:37]
	v_add_f64 v[22:23], v[22:23], v[26:27]
	v_add_f64 v[24:25], v[28:29], v[165:166]
	s_waitcnt vmcnt(3) lgkmcnt(0)
	v_mul_f64 v[26:27], v[18:19], v[163:164]
	v_mul_f64 v[28:29], v[20:21], v[163:164]
	v_fma_f64 v[30:31], v[4:5], v[34:35], v[167:168]
	v_fma_f64 v[32:33], v[2:3], v[34:35], -v[36:37]
	v_add_f64 v[22:23], v[22:23], v[14:15]
	v_add_f64 v[24:25], v[24:25], v[16:17]
	ds_load_b128 v[2:5], v1 offset:1168
	ds_load_b128 v[14:17], v1 offset:1184
	v_fma_f64 v[20:21], v[20:21], v[161:162], v[26:27]
	v_fma_f64 v[18:19], v[18:19], v[161:162], -v[28:29]
	s_waitcnt vmcnt(2) lgkmcnt(1)
	v_mul_f64 v[34:35], v[2:3], v[40:41]
	v_mul_f64 v[36:37], v[4:5], v[40:41]
	s_waitcnt vmcnt(1) lgkmcnt(0)
	v_mul_f64 v[26:27], v[14:15], v[8:9]
	v_mul_f64 v[8:9], v[16:17], v[8:9]
	v_add_f64 v[22:23], v[22:23], v[32:33]
	v_add_f64 v[24:25], v[24:25], v[30:31]
	v_fma_f64 v[28:29], v[4:5], v[38:39], v[34:35]
	v_fma_f64 v[30:31], v[2:3], v[38:39], -v[36:37]
	ds_load_b128 v[2:5], v1 offset:1200
	v_fma_f64 v[16:17], v[16:17], v[6:7], v[26:27]
	v_fma_f64 v[6:7], v[14:15], v[6:7], -v[8:9]
	v_add_f64 v[18:19], v[22:23], v[18:19]
	v_add_f64 v[20:21], v[24:25], v[20:21]
	s_waitcnt vmcnt(0) lgkmcnt(0)
	v_mul_f64 v[22:23], v[2:3], v[12:13]
	v_mul_f64 v[12:13], v[4:5], v[12:13]
	s_delay_alu instid0(VALU_DEP_4) | instskip(NEXT) | instid1(VALU_DEP_4)
	v_add_f64 v[8:9], v[18:19], v[30:31]
	v_add_f64 v[14:15], v[20:21], v[28:29]
	s_delay_alu instid0(VALU_DEP_4) | instskip(NEXT) | instid1(VALU_DEP_4)
	v_fma_f64 v[4:5], v[4:5], v[10:11], v[22:23]
	v_fma_f64 v[2:3], v[2:3], v[10:11], -v[12:13]
	s_delay_alu instid0(VALU_DEP_4) | instskip(NEXT) | instid1(VALU_DEP_4)
	v_add_f64 v[6:7], v[8:9], v[6:7]
	v_add_f64 v[8:9], v[14:15], v[16:17]
	s_delay_alu instid0(VALU_DEP_2) | instskip(NEXT) | instid1(VALU_DEP_2)
	v_add_f64 v[2:3], v[6:7], v[2:3]
	v_add_f64 v[4:5], v[8:9], v[4:5]
	s_delay_alu instid0(VALU_DEP_2) | instskip(NEXT) | instid1(VALU_DEP_2)
	v_add_f64 v[2:3], v[42:43], -v[2:3]
	v_add_f64 v[4:5], v[44:45], -v[4:5]
	scratch_store_b128 off, v[2:5], off offset:64
	v_cmpx_lt_u32_e32 3, v122
	s_cbranch_execz .LBB37_235
; %bb.234:
	scratch_load_b128 v[5:8], v125, off
	v_mov_b32_e32 v2, v1
	v_mov_b32_e32 v3, v1
	;; [unrolled: 1-line block ×3, first 2 shown]
	scratch_store_b128 off, v[1:4], off offset:48
	s_waitcnt vmcnt(0)
	ds_store_b128 v160, v[5:8]
.LBB37_235:
	s_or_b32 exec_lo, exec_lo, s2
	s_waitcnt lgkmcnt(0)
	s_waitcnt_vscnt null, 0x0
	s_barrier
	buffer_gl0_inv
	s_clause 0x8
	scratch_load_b128 v[2:5], off, off offset:64
	scratch_load_b128 v[6:9], off, off offset:80
	;; [unrolled: 1-line block ×9, first 2 shown]
	ds_load_b128 v[42:45], v1 offset:672
	ds_load_b128 v[38:41], v1 offset:688
	s_clause 0x1
	scratch_load_b128 v[161:164], off, off offset:48
	scratch_load_b128 v[165:168], off, off offset:208
	s_mov_b32 s2, exec_lo
	s_waitcnt vmcnt(10) lgkmcnt(1)
	v_mul_f64 v[169:170], v[44:45], v[4:5]
	v_mul_f64 v[4:5], v[42:43], v[4:5]
	s_waitcnt vmcnt(9) lgkmcnt(0)
	v_mul_f64 v[173:174], v[38:39], v[8:9]
	v_mul_f64 v[8:9], v[40:41], v[8:9]
	s_delay_alu instid0(VALU_DEP_4) | instskip(NEXT) | instid1(VALU_DEP_4)
	v_fma_f64 v[175:176], v[42:43], v[2:3], -v[169:170]
	v_fma_f64 v[177:178], v[44:45], v[2:3], v[4:5]
	ds_load_b128 v[2:5], v1 offset:704
	ds_load_b128 v[169:172], v1 offset:720
	scratch_load_b128 v[42:45], off, off offset:224
	v_fma_f64 v[40:41], v[40:41], v[6:7], v[173:174]
	v_fma_f64 v[38:39], v[38:39], v[6:7], -v[8:9]
	scratch_load_b128 v[6:9], off, off offset:240
	s_waitcnt vmcnt(10) lgkmcnt(1)
	v_mul_f64 v[179:180], v[2:3], v[12:13]
	v_mul_f64 v[12:13], v[4:5], v[12:13]
	v_add_f64 v[173:174], v[175:176], 0
	v_add_f64 v[175:176], v[177:178], 0
	s_waitcnt vmcnt(9) lgkmcnt(0)
	v_mul_f64 v[177:178], v[169:170], v[16:17]
	v_mul_f64 v[16:17], v[171:172], v[16:17]
	v_fma_f64 v[179:180], v[4:5], v[10:11], v[179:180]
	v_fma_f64 v[181:182], v[2:3], v[10:11], -v[12:13]
	ds_load_b128 v[2:5], v1 offset:736
	scratch_load_b128 v[10:13], off, off offset:256
	v_add_f64 v[173:174], v[173:174], v[38:39]
	v_add_f64 v[175:176], v[175:176], v[40:41]
	ds_load_b128 v[38:41], v1 offset:752
	v_fma_f64 v[171:172], v[171:172], v[14:15], v[177:178]
	v_fma_f64 v[169:170], v[169:170], v[14:15], -v[16:17]
	scratch_load_b128 v[14:17], off, off offset:272
	s_waitcnt vmcnt(10) lgkmcnt(1)
	v_mul_f64 v[183:184], v[2:3], v[20:21]
	v_mul_f64 v[20:21], v[4:5], v[20:21]
	s_waitcnt vmcnt(9) lgkmcnt(0)
	v_mul_f64 v[177:178], v[38:39], v[24:25]
	v_mul_f64 v[24:25], v[40:41], v[24:25]
	v_add_f64 v[173:174], v[173:174], v[181:182]
	v_add_f64 v[175:176], v[175:176], v[179:180]
	v_fma_f64 v[179:180], v[4:5], v[18:19], v[183:184]
	v_fma_f64 v[181:182], v[2:3], v[18:19], -v[20:21]
	ds_load_b128 v[2:5], v1 offset:768
	scratch_load_b128 v[18:21], off, off offset:288
	v_fma_f64 v[40:41], v[40:41], v[22:23], v[177:178]
	v_fma_f64 v[38:39], v[38:39], v[22:23], -v[24:25]
	scratch_load_b128 v[22:25], off, off offset:304
	v_add_f64 v[173:174], v[173:174], v[169:170]
	v_add_f64 v[175:176], v[175:176], v[171:172]
	ds_load_b128 v[169:172], v1 offset:784
	s_waitcnt vmcnt(10) lgkmcnt(1)
	v_mul_f64 v[183:184], v[2:3], v[28:29]
	v_mul_f64 v[28:29], v[4:5], v[28:29]
	s_waitcnt vmcnt(9) lgkmcnt(0)
	v_mul_f64 v[177:178], v[169:170], v[32:33]
	v_mul_f64 v[32:33], v[171:172], v[32:33]
	v_add_f64 v[173:174], v[173:174], v[181:182]
	v_add_f64 v[175:176], v[175:176], v[179:180]
	v_fma_f64 v[179:180], v[4:5], v[26:27], v[183:184]
	v_fma_f64 v[181:182], v[2:3], v[26:27], -v[28:29]
	ds_load_b128 v[2:5], v1 offset:800
	scratch_load_b128 v[26:29], off, off offset:320
	v_fma_f64 v[171:172], v[171:172], v[30:31], v[177:178]
	v_fma_f64 v[169:170], v[169:170], v[30:31], -v[32:33]
	scratch_load_b128 v[30:33], off, off offset:336
	v_add_f64 v[173:174], v[173:174], v[38:39]
	v_add_f64 v[175:176], v[175:176], v[40:41]
	ds_load_b128 v[38:41], v1 offset:816
	s_waitcnt vmcnt(10) lgkmcnt(1)
	v_mul_f64 v[183:184], v[2:3], v[36:37]
	v_mul_f64 v[36:37], v[4:5], v[36:37]
	s_waitcnt vmcnt(8) lgkmcnt(0)
	v_mul_f64 v[177:178], v[38:39], v[167:168]
	v_add_f64 v[173:174], v[173:174], v[181:182]
	v_add_f64 v[175:176], v[175:176], v[179:180]
	v_mul_f64 v[179:180], v[40:41], v[167:168]
	v_fma_f64 v[181:182], v[4:5], v[34:35], v[183:184]
	v_fma_f64 v[183:184], v[2:3], v[34:35], -v[36:37]
	ds_load_b128 v[2:5], v1 offset:832
	scratch_load_b128 v[34:37], off, off offset:352
	v_fma_f64 v[177:178], v[40:41], v[165:166], v[177:178]
	v_add_f64 v[173:174], v[173:174], v[169:170]
	v_add_f64 v[171:172], v[175:176], v[171:172]
	ds_load_b128 v[167:170], v1 offset:848
	v_fma_f64 v[165:166], v[38:39], v[165:166], -v[179:180]
	scratch_load_b128 v[38:41], off, off offset:368
	s_waitcnt vmcnt(9) lgkmcnt(1)
	v_mul_f64 v[175:176], v[2:3], v[44:45]
	v_mul_f64 v[44:45], v[4:5], v[44:45]
	s_waitcnt vmcnt(8) lgkmcnt(0)
	v_mul_f64 v[179:180], v[167:168], v[8:9]
	v_mul_f64 v[8:9], v[169:170], v[8:9]
	v_add_f64 v[173:174], v[173:174], v[183:184]
	v_add_f64 v[171:172], v[171:172], v[181:182]
	v_fma_f64 v[175:176], v[4:5], v[42:43], v[175:176]
	v_fma_f64 v[181:182], v[2:3], v[42:43], -v[44:45]
	ds_load_b128 v[2:5], v1 offset:864
	scratch_load_b128 v[42:45], off, off offset:384
	v_fma_f64 v[169:170], v[169:170], v[6:7], v[179:180]
	v_fma_f64 v[167:168], v[167:168], v[6:7], -v[8:9]
	scratch_load_b128 v[6:9], off, off offset:400
	v_add_f64 v[165:166], v[173:174], v[165:166]
	v_add_f64 v[177:178], v[171:172], v[177:178]
	ds_load_b128 v[171:174], v1 offset:880
	s_waitcnt vmcnt(9) lgkmcnt(1)
	v_mul_f64 v[183:184], v[2:3], v[12:13]
	v_mul_f64 v[12:13], v[4:5], v[12:13]
	v_add_f64 v[165:166], v[165:166], v[181:182]
	v_add_f64 v[175:176], v[177:178], v[175:176]
	s_waitcnt vmcnt(8) lgkmcnt(0)
	v_mul_f64 v[177:178], v[171:172], v[16:17]
	v_mul_f64 v[16:17], v[173:174], v[16:17]
	v_fma_f64 v[179:180], v[4:5], v[10:11], v[183:184]
	v_fma_f64 v[181:182], v[2:3], v[10:11], -v[12:13]
	ds_load_b128 v[2:5], v1 offset:896
	scratch_load_b128 v[10:13], off, off offset:416
	v_add_f64 v[183:184], v[165:166], v[167:168]
	v_add_f64 v[169:170], v[175:176], v[169:170]
	ds_load_b128 v[165:168], v1 offset:912
	s_waitcnt vmcnt(8) lgkmcnt(1)
	v_mul_f64 v[175:176], v[2:3], v[20:21]
	v_mul_f64 v[20:21], v[4:5], v[20:21]
	v_fma_f64 v[173:174], v[173:174], v[14:15], v[177:178]
	v_fma_f64 v[171:172], v[171:172], v[14:15], -v[16:17]
	scratch_load_b128 v[14:17], off, off offset:432
	v_add_f64 v[177:178], v[183:184], v[181:182]
	v_add_f64 v[169:170], v[169:170], v[179:180]
	s_waitcnt vmcnt(8) lgkmcnt(0)
	v_mul_f64 v[179:180], v[165:166], v[24:25]
	v_mul_f64 v[24:25], v[167:168], v[24:25]
	v_fma_f64 v[175:176], v[4:5], v[18:19], v[175:176]
	v_fma_f64 v[181:182], v[2:3], v[18:19], -v[20:21]
	ds_load_b128 v[2:5], v1 offset:928
	scratch_load_b128 v[18:21], off, off offset:448
	v_add_f64 v[177:178], v[177:178], v[171:172]
	v_add_f64 v[173:174], v[169:170], v[173:174]
	ds_load_b128 v[169:172], v1 offset:944
	s_waitcnt vmcnt(8) lgkmcnt(1)
	v_mul_f64 v[183:184], v[2:3], v[28:29]
	v_mul_f64 v[28:29], v[4:5], v[28:29]
	v_fma_f64 v[167:168], v[167:168], v[22:23], v[179:180]
	v_fma_f64 v[165:166], v[165:166], v[22:23], -v[24:25]
	scratch_load_b128 v[22:25], off, off offset:464
	;; [unrolled: 18-line block ×4, first 2 shown]
	s_waitcnt vmcnt(8) lgkmcnt(0)
	v_mul_f64 v[177:178], v[169:170], v[8:9]
	v_mul_f64 v[8:9], v[171:172], v[8:9]
	v_add_f64 v[175:176], v[175:176], v[181:182]
	v_add_f64 v[173:174], v[173:174], v[179:180]
	v_fma_f64 v[179:180], v[4:5], v[42:43], v[183:184]
	v_fma_f64 v[181:182], v[2:3], v[42:43], -v[44:45]
	ds_load_b128 v[2:5], v1 offset:1024
	scratch_load_b128 v[42:45], off, off offset:544
	v_fma_f64 v[171:172], v[171:172], v[6:7], v[177:178]
	v_fma_f64 v[169:170], v[169:170], v[6:7], -v[8:9]
	scratch_load_b128 v[6:9], off, off offset:560
	v_add_f64 v[175:176], v[175:176], v[165:166]
	v_add_f64 v[173:174], v[173:174], v[167:168]
	ds_load_b128 v[165:168], v1 offset:1040
	s_waitcnt vmcnt(9) lgkmcnt(1)
	v_mul_f64 v[183:184], v[2:3], v[12:13]
	v_mul_f64 v[12:13], v[4:5], v[12:13]
	s_waitcnt vmcnt(8) lgkmcnt(0)
	v_mul_f64 v[177:178], v[165:166], v[16:17]
	v_mul_f64 v[16:17], v[167:168], v[16:17]
	v_add_f64 v[175:176], v[175:176], v[181:182]
	v_add_f64 v[173:174], v[173:174], v[179:180]
	v_fma_f64 v[179:180], v[4:5], v[10:11], v[183:184]
	v_fma_f64 v[181:182], v[2:3], v[10:11], -v[12:13]
	ds_load_b128 v[2:5], v1 offset:1056
	scratch_load_b128 v[10:13], off, off offset:576
	v_fma_f64 v[167:168], v[167:168], v[14:15], v[177:178]
	v_fma_f64 v[165:166], v[165:166], v[14:15], -v[16:17]
	scratch_load_b128 v[14:17], off, off offset:592
	v_add_f64 v[175:176], v[175:176], v[169:170]
	v_add_f64 v[173:174], v[173:174], v[171:172]
	ds_load_b128 v[169:172], v1 offset:1072
	s_waitcnt vmcnt(9) lgkmcnt(1)
	v_mul_f64 v[183:184], v[2:3], v[20:21]
	v_mul_f64 v[20:21], v[4:5], v[20:21]
	s_waitcnt vmcnt(8) lgkmcnt(0)
	v_mul_f64 v[177:178], v[169:170], v[24:25]
	v_mul_f64 v[24:25], v[171:172], v[24:25]
	v_add_f64 v[175:176], v[175:176], v[181:182]
	v_add_f64 v[173:174], v[173:174], v[179:180]
	v_fma_f64 v[179:180], v[4:5], v[18:19], v[183:184]
	v_fma_f64 v[181:182], v[2:3], v[18:19], -v[20:21]
	ds_load_b128 v[2:5], v1 offset:1088
	ds_load_b128 v[18:21], v1 offset:1104
	v_fma_f64 v[171:172], v[171:172], v[22:23], v[177:178]
	v_fma_f64 v[22:23], v[169:170], v[22:23], -v[24:25]
	v_add_f64 v[165:166], v[175:176], v[165:166]
	v_add_f64 v[167:168], v[173:174], v[167:168]
	s_waitcnt vmcnt(7) lgkmcnt(1)
	v_mul_f64 v[173:174], v[2:3], v[28:29]
	v_mul_f64 v[28:29], v[4:5], v[28:29]
	s_delay_alu instid0(VALU_DEP_4) | instskip(NEXT) | instid1(VALU_DEP_4)
	v_add_f64 v[24:25], v[165:166], v[181:182]
	v_add_f64 v[165:166], v[167:168], v[179:180]
	s_waitcnt vmcnt(6) lgkmcnt(0)
	v_mul_f64 v[167:168], v[18:19], v[32:33]
	v_mul_f64 v[32:33], v[20:21], v[32:33]
	v_fma_f64 v[169:170], v[4:5], v[26:27], v[173:174]
	v_fma_f64 v[26:27], v[2:3], v[26:27], -v[28:29]
	v_add_f64 v[28:29], v[24:25], v[22:23]
	v_add_f64 v[165:166], v[165:166], v[171:172]
	ds_load_b128 v[2:5], v1 offset:1120
	ds_load_b128 v[22:25], v1 offset:1136
	v_fma_f64 v[20:21], v[20:21], v[30:31], v[167:168]
	v_fma_f64 v[18:19], v[18:19], v[30:31], -v[32:33]
	s_waitcnt vmcnt(5) lgkmcnt(1)
	v_mul_f64 v[171:172], v[2:3], v[36:37]
	v_mul_f64 v[36:37], v[4:5], v[36:37]
	s_waitcnt vmcnt(4) lgkmcnt(0)
	v_mul_f64 v[30:31], v[22:23], v[40:41]
	v_mul_f64 v[32:33], v[24:25], v[40:41]
	v_add_f64 v[26:27], v[28:29], v[26:27]
	v_add_f64 v[28:29], v[165:166], v[169:170]
	v_fma_f64 v[40:41], v[4:5], v[34:35], v[171:172]
	v_fma_f64 v[34:35], v[2:3], v[34:35], -v[36:37]
	v_fma_f64 v[24:25], v[24:25], v[38:39], v[30:31]
	v_fma_f64 v[22:23], v[22:23], v[38:39], -v[32:33]
	v_add_f64 v[26:27], v[26:27], v[18:19]
	v_add_f64 v[28:29], v[28:29], v[20:21]
	ds_load_b128 v[2:5], v1 offset:1152
	ds_load_b128 v[18:21], v1 offset:1168
	s_waitcnt vmcnt(3) lgkmcnt(1)
	v_mul_f64 v[36:37], v[2:3], v[44:45]
	v_mul_f64 v[44:45], v[4:5], v[44:45]
	s_waitcnt vmcnt(2) lgkmcnt(0)
	v_mul_f64 v[30:31], v[18:19], v[8:9]
	v_mul_f64 v[8:9], v[20:21], v[8:9]
	v_add_f64 v[26:27], v[26:27], v[34:35]
	v_add_f64 v[28:29], v[28:29], v[40:41]
	v_fma_f64 v[32:33], v[4:5], v[42:43], v[36:37]
	v_fma_f64 v[34:35], v[2:3], v[42:43], -v[44:45]
	v_fma_f64 v[20:21], v[20:21], v[6:7], v[30:31]
	v_fma_f64 v[6:7], v[18:19], v[6:7], -v[8:9]
	v_add_f64 v[26:27], v[26:27], v[22:23]
	v_add_f64 v[28:29], v[28:29], v[24:25]
	ds_load_b128 v[2:5], v1 offset:1184
	ds_load_b128 v[22:25], v1 offset:1200
	s_waitcnt vmcnt(1) lgkmcnt(1)
	v_mul_f64 v[36:37], v[2:3], v[12:13]
	v_mul_f64 v[12:13], v[4:5], v[12:13]
	v_add_f64 v[8:9], v[26:27], v[34:35]
	v_add_f64 v[18:19], v[28:29], v[32:33]
	s_waitcnt vmcnt(0) lgkmcnt(0)
	v_mul_f64 v[26:27], v[22:23], v[16:17]
	v_mul_f64 v[16:17], v[24:25], v[16:17]
	v_fma_f64 v[4:5], v[4:5], v[10:11], v[36:37]
	v_fma_f64 v[1:2], v[2:3], v[10:11], -v[12:13]
	v_add_f64 v[6:7], v[8:9], v[6:7]
	v_add_f64 v[8:9], v[18:19], v[20:21]
	v_fma_f64 v[10:11], v[24:25], v[14:15], v[26:27]
	v_fma_f64 v[12:13], v[22:23], v[14:15], -v[16:17]
	s_delay_alu instid0(VALU_DEP_4) | instskip(NEXT) | instid1(VALU_DEP_4)
	v_add_f64 v[1:2], v[6:7], v[1:2]
	v_add_f64 v[3:4], v[8:9], v[4:5]
	s_delay_alu instid0(VALU_DEP_2) | instskip(NEXT) | instid1(VALU_DEP_2)
	v_add_f64 v[1:2], v[1:2], v[12:13]
	v_add_f64 v[3:4], v[3:4], v[10:11]
	s_delay_alu instid0(VALU_DEP_2) | instskip(NEXT) | instid1(VALU_DEP_2)
	v_add_f64 v[1:2], v[161:162], -v[1:2]
	v_add_f64 v[3:4], v[163:164], -v[3:4]
	scratch_store_b128 off, v[1:4], off offset:48
	v_cmpx_lt_u32_e32 2, v122
	s_cbranch_execz .LBB37_237
; %bb.236:
	scratch_load_b128 v[1:4], v124, off
	v_mov_b32_e32 v5, 0
	s_delay_alu instid0(VALU_DEP_1)
	v_mov_b32_e32 v6, v5
	v_mov_b32_e32 v7, v5
	;; [unrolled: 1-line block ×3, first 2 shown]
	scratch_store_b128 off, v[5:8], off offset:32
	s_waitcnt vmcnt(0)
	ds_store_b128 v160, v[1:4]
.LBB37_237:
	s_or_b32 exec_lo, exec_lo, s2
	s_waitcnt lgkmcnt(0)
	s_waitcnt_vscnt null, 0x0
	s_barrier
	buffer_gl0_inv
	s_clause 0x7
	scratch_load_b128 v[2:5], off, off offset:48
	scratch_load_b128 v[6:9], off, off offset:64
	;; [unrolled: 1-line block ×8, first 2 shown]
	v_mov_b32_e32 v1, 0
	s_mov_b32 s2, exec_lo
	ds_load_b128 v[38:41], v1 offset:656
	s_clause 0x1
	scratch_load_b128 v[34:37], off, off offset:176
	scratch_load_b128 v[42:45], off, off offset:32
	ds_load_b128 v[161:164], v1 offset:672
	scratch_load_b128 v[165:168], off, off offset:192
	s_waitcnt vmcnt(10) lgkmcnt(1)
	v_mul_f64 v[169:170], v[40:41], v[4:5]
	v_mul_f64 v[4:5], v[38:39], v[4:5]
	s_delay_alu instid0(VALU_DEP_2) | instskip(NEXT) | instid1(VALU_DEP_2)
	v_fma_f64 v[175:176], v[38:39], v[2:3], -v[169:170]
	v_fma_f64 v[177:178], v[40:41], v[2:3], v[4:5]
	scratch_load_b128 v[38:41], off, off offset:208
	ds_load_b128 v[2:5], v1 offset:688
	s_waitcnt vmcnt(10) lgkmcnt(1)
	v_mul_f64 v[173:174], v[161:162], v[8:9]
	v_mul_f64 v[8:9], v[163:164], v[8:9]
	ds_load_b128 v[169:172], v1 offset:704
	s_waitcnt vmcnt(9) lgkmcnt(1)
	v_mul_f64 v[179:180], v[2:3], v[12:13]
	v_mul_f64 v[12:13], v[4:5], v[12:13]
	v_fma_f64 v[163:164], v[163:164], v[6:7], v[173:174]
	v_fma_f64 v[161:162], v[161:162], v[6:7], -v[8:9]
	v_add_f64 v[173:174], v[175:176], 0
	v_add_f64 v[175:176], v[177:178], 0
	scratch_load_b128 v[6:9], off, off offset:224
	v_fma_f64 v[179:180], v[4:5], v[10:11], v[179:180]
	v_fma_f64 v[181:182], v[2:3], v[10:11], -v[12:13]
	scratch_load_b128 v[10:13], off, off offset:240
	ds_load_b128 v[2:5], v1 offset:720
	s_waitcnt vmcnt(10) lgkmcnt(1)
	v_mul_f64 v[177:178], v[169:170], v[16:17]
	v_mul_f64 v[16:17], v[171:172], v[16:17]
	v_add_f64 v[173:174], v[173:174], v[161:162]
	v_add_f64 v[175:176], v[175:176], v[163:164]
	s_waitcnt vmcnt(9) lgkmcnt(0)
	v_mul_f64 v[183:184], v[2:3], v[20:21]
	v_mul_f64 v[20:21], v[4:5], v[20:21]
	ds_load_b128 v[161:164], v1 offset:736
	v_fma_f64 v[171:172], v[171:172], v[14:15], v[177:178]
	v_fma_f64 v[169:170], v[169:170], v[14:15], -v[16:17]
	scratch_load_b128 v[14:17], off, off offset:256
	v_add_f64 v[173:174], v[173:174], v[181:182]
	v_add_f64 v[175:176], v[175:176], v[179:180]
	v_fma_f64 v[179:180], v[4:5], v[18:19], v[183:184]
	v_fma_f64 v[181:182], v[2:3], v[18:19], -v[20:21]
	scratch_load_b128 v[18:21], off, off offset:272
	ds_load_b128 v[2:5], v1 offset:752
	s_waitcnt vmcnt(10) lgkmcnt(1)
	v_mul_f64 v[177:178], v[161:162], v[24:25]
	v_mul_f64 v[24:25], v[163:164], v[24:25]
	s_waitcnt vmcnt(9) lgkmcnt(0)
	v_mul_f64 v[183:184], v[2:3], v[28:29]
	v_mul_f64 v[28:29], v[4:5], v[28:29]
	v_add_f64 v[173:174], v[173:174], v[169:170]
	v_add_f64 v[175:176], v[175:176], v[171:172]
	ds_load_b128 v[169:172], v1 offset:768
	v_fma_f64 v[163:164], v[163:164], v[22:23], v[177:178]
	v_fma_f64 v[161:162], v[161:162], v[22:23], -v[24:25]
	scratch_load_b128 v[22:25], off, off offset:288
	v_add_f64 v[173:174], v[173:174], v[181:182]
	v_add_f64 v[175:176], v[175:176], v[179:180]
	v_fma_f64 v[179:180], v[4:5], v[26:27], v[183:184]
	v_fma_f64 v[181:182], v[2:3], v[26:27], -v[28:29]
	scratch_load_b128 v[26:29], off, off offset:304
	ds_load_b128 v[2:5], v1 offset:784
	s_waitcnt vmcnt(10) lgkmcnt(1)
	v_mul_f64 v[177:178], v[169:170], v[32:33]
	v_mul_f64 v[32:33], v[171:172], v[32:33]
	s_waitcnt vmcnt(9) lgkmcnt(0)
	v_mul_f64 v[183:184], v[2:3], v[36:37]
	v_mul_f64 v[36:37], v[4:5], v[36:37]
	v_add_f64 v[173:174], v[173:174], v[161:162]
	v_add_f64 v[175:176], v[175:176], v[163:164]
	ds_load_b128 v[161:164], v1 offset:800
	v_fma_f64 v[171:172], v[171:172], v[30:31], v[177:178]
	v_fma_f64 v[169:170], v[169:170], v[30:31], -v[32:33]
	scratch_load_b128 v[30:33], off, off offset:320
	v_add_f64 v[173:174], v[173:174], v[181:182]
	v_add_f64 v[175:176], v[175:176], v[179:180]
	v_fma_f64 v[181:182], v[4:5], v[34:35], v[183:184]
	v_fma_f64 v[183:184], v[2:3], v[34:35], -v[36:37]
	scratch_load_b128 v[34:37], off, off offset:336
	ds_load_b128 v[2:5], v1 offset:816
	s_waitcnt vmcnt(9) lgkmcnt(1)
	v_mul_f64 v[177:178], v[161:162], v[167:168]
	v_mul_f64 v[179:180], v[163:164], v[167:168]
	v_add_f64 v[173:174], v[173:174], v[169:170]
	v_add_f64 v[171:172], v[175:176], v[171:172]
	ds_load_b128 v[167:170], v1 offset:832
	v_fma_f64 v[177:178], v[163:164], v[165:166], v[177:178]
	v_fma_f64 v[165:166], v[161:162], v[165:166], -v[179:180]
	scratch_load_b128 v[161:164], off, off offset:352
	s_waitcnt vmcnt(9) lgkmcnt(1)
	v_mul_f64 v[175:176], v[2:3], v[40:41]
	v_mul_f64 v[40:41], v[4:5], v[40:41]
	v_add_f64 v[173:174], v[173:174], v[183:184]
	v_add_f64 v[171:172], v[171:172], v[181:182]
	s_delay_alu instid0(VALU_DEP_4) | instskip(NEXT) | instid1(VALU_DEP_4)
	v_fma_f64 v[175:176], v[4:5], v[38:39], v[175:176]
	v_fma_f64 v[181:182], v[2:3], v[38:39], -v[40:41]
	scratch_load_b128 v[38:41], off, off offset:368
	ds_load_b128 v[2:5], v1 offset:848
	s_waitcnt vmcnt(9) lgkmcnt(1)
	v_mul_f64 v[179:180], v[167:168], v[8:9]
	v_mul_f64 v[8:9], v[169:170], v[8:9]
	s_waitcnt vmcnt(8) lgkmcnt(0)
	v_mul_f64 v[183:184], v[2:3], v[12:13]
	v_mul_f64 v[12:13], v[4:5], v[12:13]
	v_add_f64 v[165:166], v[173:174], v[165:166]
	v_add_f64 v[177:178], v[171:172], v[177:178]
	ds_load_b128 v[171:174], v1 offset:864
	v_fma_f64 v[169:170], v[169:170], v[6:7], v[179:180]
	v_fma_f64 v[167:168], v[167:168], v[6:7], -v[8:9]
	scratch_load_b128 v[6:9], off, off offset:384
	v_fma_f64 v[179:180], v[4:5], v[10:11], v[183:184]
	v_add_f64 v[165:166], v[165:166], v[181:182]
	v_add_f64 v[175:176], v[177:178], v[175:176]
	v_fma_f64 v[181:182], v[2:3], v[10:11], -v[12:13]
	scratch_load_b128 v[10:13], off, off offset:400
	ds_load_b128 v[2:5], v1 offset:880
	s_waitcnt vmcnt(9) lgkmcnt(1)
	v_mul_f64 v[177:178], v[171:172], v[16:17]
	v_mul_f64 v[16:17], v[173:174], v[16:17]
	v_add_f64 v[183:184], v[165:166], v[167:168]
	v_add_f64 v[169:170], v[175:176], v[169:170]
	s_waitcnt vmcnt(8) lgkmcnt(0)
	v_mul_f64 v[175:176], v[2:3], v[20:21]
	v_mul_f64 v[20:21], v[4:5], v[20:21]
	ds_load_b128 v[165:168], v1 offset:896
	v_fma_f64 v[173:174], v[173:174], v[14:15], v[177:178]
	v_fma_f64 v[171:172], v[171:172], v[14:15], -v[16:17]
	scratch_load_b128 v[14:17], off, off offset:416
	v_add_f64 v[177:178], v[183:184], v[181:182]
	v_add_f64 v[169:170], v[169:170], v[179:180]
	v_fma_f64 v[175:176], v[4:5], v[18:19], v[175:176]
	v_fma_f64 v[181:182], v[2:3], v[18:19], -v[20:21]
	scratch_load_b128 v[18:21], off, off offset:432
	ds_load_b128 v[2:5], v1 offset:912
	s_waitcnt vmcnt(9) lgkmcnt(1)
	v_mul_f64 v[179:180], v[165:166], v[24:25]
	v_mul_f64 v[24:25], v[167:168], v[24:25]
	s_waitcnt vmcnt(8) lgkmcnt(0)
	v_mul_f64 v[183:184], v[2:3], v[28:29]
	v_mul_f64 v[28:29], v[4:5], v[28:29]
	v_add_f64 v[177:178], v[177:178], v[171:172]
	v_add_f64 v[173:174], v[169:170], v[173:174]
	ds_load_b128 v[169:172], v1 offset:928
	v_fma_f64 v[167:168], v[167:168], v[22:23], v[179:180]
	v_fma_f64 v[165:166], v[165:166], v[22:23], -v[24:25]
	scratch_load_b128 v[22:25], off, off offset:448
	v_fma_f64 v[179:180], v[4:5], v[26:27], v[183:184]
	v_add_f64 v[177:178], v[177:178], v[181:182]
	v_add_f64 v[173:174], v[173:174], v[175:176]
	v_fma_f64 v[181:182], v[2:3], v[26:27], -v[28:29]
	scratch_load_b128 v[26:29], off, off offset:464
	ds_load_b128 v[2:5], v1 offset:944
	s_waitcnt vmcnt(9) lgkmcnt(1)
	v_mul_f64 v[175:176], v[169:170], v[32:33]
	v_mul_f64 v[32:33], v[171:172], v[32:33]
	s_waitcnt vmcnt(8) lgkmcnt(0)
	v_mul_f64 v[183:184], v[2:3], v[36:37]
	v_mul_f64 v[36:37], v[4:5], v[36:37]
	v_add_f64 v[177:178], v[177:178], v[165:166]
	v_add_f64 v[173:174], v[173:174], v[167:168]
	ds_load_b128 v[165:168], v1 offset:960
	v_fma_f64 v[171:172], v[171:172], v[30:31], v[175:176]
	v_fma_f64 v[169:170], v[169:170], v[30:31], -v[32:33]
	scratch_load_b128 v[30:33], off, off offset:480
	v_add_f64 v[175:176], v[177:178], v[181:182]
	v_add_f64 v[173:174], v[173:174], v[179:180]
	v_fma_f64 v[179:180], v[4:5], v[34:35], v[183:184]
	v_fma_f64 v[181:182], v[2:3], v[34:35], -v[36:37]
	scratch_load_b128 v[34:37], off, off offset:496
	ds_load_b128 v[2:5], v1 offset:976
	s_waitcnt vmcnt(9) lgkmcnt(1)
	v_mul_f64 v[177:178], v[165:166], v[163:164]
	v_mul_f64 v[163:164], v[167:168], v[163:164]
	s_waitcnt vmcnt(8) lgkmcnt(0)
	v_mul_f64 v[183:184], v[2:3], v[40:41]
	v_mul_f64 v[40:41], v[4:5], v[40:41]
	v_add_f64 v[175:176], v[175:176], v[169:170]
	v_add_f64 v[173:174], v[173:174], v[171:172]
	ds_load_b128 v[169:172], v1 offset:992
	v_fma_f64 v[167:168], v[167:168], v[161:162], v[177:178]
	v_fma_f64 v[165:166], v[165:166], v[161:162], -v[163:164]
	scratch_load_b128 v[161:164], off, off offset:512
	v_add_f64 v[175:176], v[175:176], v[181:182]
	v_add_f64 v[173:174], v[173:174], v[179:180]
	v_fma_f64 v[179:180], v[4:5], v[38:39], v[183:184]
	;; [unrolled: 18-line block ×4, first 2 shown]
	v_fma_f64 v[181:182], v[2:3], v[18:19], -v[20:21]
	scratch_load_b128 v[18:21], off, off offset:592
	ds_load_b128 v[2:5], v1 offset:1072
	s_waitcnt vmcnt(9) lgkmcnt(1)
	v_mul_f64 v[177:178], v[169:170], v[24:25]
	v_mul_f64 v[24:25], v[171:172], v[24:25]
	s_waitcnt vmcnt(8) lgkmcnt(0)
	v_mul_f64 v[183:184], v[2:3], v[28:29]
	v_mul_f64 v[28:29], v[4:5], v[28:29]
	v_add_f64 v[175:176], v[175:176], v[165:166]
	v_add_f64 v[173:174], v[173:174], v[167:168]
	ds_load_b128 v[165:168], v1 offset:1088
	v_fma_f64 v[171:172], v[171:172], v[22:23], v[177:178]
	v_fma_f64 v[22:23], v[169:170], v[22:23], -v[24:25]
	v_add_f64 v[24:25], v[175:176], v[181:182]
	v_add_f64 v[169:170], v[173:174], v[179:180]
	s_waitcnt vmcnt(7) lgkmcnt(0)
	v_mul_f64 v[173:174], v[165:166], v[32:33]
	v_mul_f64 v[32:33], v[167:168], v[32:33]
	v_fma_f64 v[175:176], v[4:5], v[26:27], v[183:184]
	v_fma_f64 v[26:27], v[2:3], v[26:27], -v[28:29]
	v_add_f64 v[28:29], v[24:25], v[22:23]
	v_add_f64 v[169:170], v[169:170], v[171:172]
	ds_load_b128 v[2:5], v1 offset:1104
	ds_load_b128 v[22:25], v1 offset:1120
	v_fma_f64 v[167:168], v[167:168], v[30:31], v[173:174]
	v_fma_f64 v[30:31], v[165:166], v[30:31], -v[32:33]
	s_waitcnt vmcnt(6) lgkmcnt(1)
	v_mul_f64 v[171:172], v[2:3], v[36:37]
	v_mul_f64 v[36:37], v[4:5], v[36:37]
	s_waitcnt vmcnt(5) lgkmcnt(0)
	v_mul_f64 v[32:33], v[22:23], v[163:164]
	v_mul_f64 v[163:164], v[24:25], v[163:164]
	v_add_f64 v[26:27], v[28:29], v[26:27]
	v_add_f64 v[28:29], v[169:170], v[175:176]
	v_fma_f64 v[165:166], v[4:5], v[34:35], v[171:172]
	v_fma_f64 v[34:35], v[2:3], v[34:35], -v[36:37]
	v_fma_f64 v[24:25], v[24:25], v[161:162], v[32:33]
	v_fma_f64 v[22:23], v[22:23], v[161:162], -v[163:164]
	v_add_f64 v[30:31], v[26:27], v[30:31]
	v_add_f64 v[36:37], v[28:29], v[167:168]
	ds_load_b128 v[2:5], v1 offset:1136
	ds_load_b128 v[26:29], v1 offset:1152
	s_waitcnt vmcnt(4) lgkmcnt(1)
	v_mul_f64 v[167:168], v[2:3], v[40:41]
	v_mul_f64 v[40:41], v[4:5], v[40:41]
	v_add_f64 v[30:31], v[30:31], v[34:35]
	v_add_f64 v[32:33], v[36:37], v[165:166]
	s_waitcnt vmcnt(3) lgkmcnt(0)
	v_mul_f64 v[34:35], v[26:27], v[8:9]
	v_mul_f64 v[8:9], v[28:29], v[8:9]
	v_fma_f64 v[36:37], v[4:5], v[38:39], v[167:168]
	v_fma_f64 v[38:39], v[2:3], v[38:39], -v[40:41]
	v_add_f64 v[30:31], v[30:31], v[22:23]
	v_add_f64 v[32:33], v[32:33], v[24:25]
	ds_load_b128 v[2:5], v1 offset:1168
	ds_load_b128 v[22:25], v1 offset:1184
	v_fma_f64 v[28:29], v[28:29], v[6:7], v[34:35]
	v_fma_f64 v[6:7], v[26:27], v[6:7], -v[8:9]
	s_waitcnt vmcnt(2) lgkmcnt(1)
	v_mul_f64 v[40:41], v[2:3], v[12:13]
	v_mul_f64 v[12:13], v[4:5], v[12:13]
	v_add_f64 v[8:9], v[30:31], v[38:39]
	v_add_f64 v[26:27], v[32:33], v[36:37]
	s_waitcnt vmcnt(1) lgkmcnt(0)
	v_mul_f64 v[30:31], v[22:23], v[16:17]
	v_mul_f64 v[16:17], v[24:25], v[16:17]
	v_fma_f64 v[32:33], v[4:5], v[10:11], v[40:41]
	v_fma_f64 v[10:11], v[2:3], v[10:11], -v[12:13]
	ds_load_b128 v[2:5], v1 offset:1200
	v_add_f64 v[6:7], v[8:9], v[6:7]
	v_add_f64 v[8:9], v[26:27], v[28:29]
	v_fma_f64 v[24:25], v[24:25], v[14:15], v[30:31]
	v_fma_f64 v[14:15], v[22:23], v[14:15], -v[16:17]
	s_waitcnt vmcnt(0) lgkmcnt(0)
	v_mul_f64 v[12:13], v[2:3], v[20:21]
	v_mul_f64 v[20:21], v[4:5], v[20:21]
	v_add_f64 v[6:7], v[6:7], v[10:11]
	v_add_f64 v[8:9], v[8:9], v[32:33]
	s_delay_alu instid0(VALU_DEP_4) | instskip(NEXT) | instid1(VALU_DEP_4)
	v_fma_f64 v[4:5], v[4:5], v[18:19], v[12:13]
	v_fma_f64 v[2:3], v[2:3], v[18:19], -v[20:21]
	s_delay_alu instid0(VALU_DEP_4) | instskip(NEXT) | instid1(VALU_DEP_4)
	v_add_f64 v[6:7], v[6:7], v[14:15]
	v_add_f64 v[8:9], v[8:9], v[24:25]
	s_delay_alu instid0(VALU_DEP_2) | instskip(NEXT) | instid1(VALU_DEP_2)
	v_add_f64 v[2:3], v[6:7], v[2:3]
	v_add_f64 v[4:5], v[8:9], v[4:5]
	s_delay_alu instid0(VALU_DEP_2) | instskip(NEXT) | instid1(VALU_DEP_2)
	v_add_f64 v[2:3], v[42:43], -v[2:3]
	v_add_f64 v[4:5], v[44:45], -v[4:5]
	scratch_store_b128 off, v[2:5], off offset:32
	v_cmpx_lt_u32_e32 1, v122
	s_cbranch_execz .LBB37_239
; %bb.238:
	scratch_load_b128 v[5:8], v126, off
	v_mov_b32_e32 v2, v1
	v_mov_b32_e32 v3, v1
	;; [unrolled: 1-line block ×3, first 2 shown]
	scratch_store_b128 off, v[1:4], off offset:16
	s_waitcnt vmcnt(0)
	ds_store_b128 v160, v[5:8]
.LBB37_239:
	s_or_b32 exec_lo, exec_lo, s2
	s_waitcnt lgkmcnt(0)
	s_waitcnt_vscnt null, 0x0
	s_barrier
	buffer_gl0_inv
	s_clause 0x8
	scratch_load_b128 v[2:5], off, off offset:32
	scratch_load_b128 v[6:9], off, off offset:48
	;; [unrolled: 1-line block ×9, first 2 shown]
	ds_load_b128 v[42:45], v1 offset:640
	ds_load_b128 v[38:41], v1 offset:656
	s_clause 0x1
	scratch_load_b128 v[161:164], off, off offset:16
	scratch_load_b128 v[165:168], off, off offset:176
	s_mov_b32 s2, exec_lo
	s_waitcnt vmcnt(10) lgkmcnt(1)
	v_mul_f64 v[169:170], v[44:45], v[4:5]
	v_mul_f64 v[4:5], v[42:43], v[4:5]
	s_waitcnt vmcnt(9) lgkmcnt(0)
	v_mul_f64 v[173:174], v[38:39], v[8:9]
	v_mul_f64 v[8:9], v[40:41], v[8:9]
	s_delay_alu instid0(VALU_DEP_4) | instskip(NEXT) | instid1(VALU_DEP_4)
	v_fma_f64 v[175:176], v[42:43], v[2:3], -v[169:170]
	v_fma_f64 v[177:178], v[44:45], v[2:3], v[4:5]
	ds_load_b128 v[2:5], v1 offset:672
	ds_load_b128 v[169:172], v1 offset:688
	scratch_load_b128 v[42:45], off, off offset:192
	v_fma_f64 v[40:41], v[40:41], v[6:7], v[173:174]
	v_fma_f64 v[38:39], v[38:39], v[6:7], -v[8:9]
	scratch_load_b128 v[6:9], off, off offset:208
	s_waitcnt vmcnt(10) lgkmcnt(1)
	v_mul_f64 v[179:180], v[2:3], v[12:13]
	v_mul_f64 v[12:13], v[4:5], v[12:13]
	v_add_f64 v[173:174], v[175:176], 0
	v_add_f64 v[175:176], v[177:178], 0
	s_waitcnt vmcnt(9) lgkmcnt(0)
	v_mul_f64 v[177:178], v[169:170], v[16:17]
	v_mul_f64 v[16:17], v[171:172], v[16:17]
	v_fma_f64 v[179:180], v[4:5], v[10:11], v[179:180]
	v_fma_f64 v[181:182], v[2:3], v[10:11], -v[12:13]
	ds_load_b128 v[2:5], v1 offset:704
	scratch_load_b128 v[10:13], off, off offset:224
	v_add_f64 v[173:174], v[173:174], v[38:39]
	v_add_f64 v[175:176], v[175:176], v[40:41]
	ds_load_b128 v[38:41], v1 offset:720
	v_fma_f64 v[171:172], v[171:172], v[14:15], v[177:178]
	v_fma_f64 v[169:170], v[169:170], v[14:15], -v[16:17]
	scratch_load_b128 v[14:17], off, off offset:240
	s_waitcnt vmcnt(10) lgkmcnt(1)
	v_mul_f64 v[183:184], v[2:3], v[20:21]
	v_mul_f64 v[20:21], v[4:5], v[20:21]
	s_waitcnt vmcnt(9) lgkmcnt(0)
	v_mul_f64 v[177:178], v[38:39], v[24:25]
	v_mul_f64 v[24:25], v[40:41], v[24:25]
	v_add_f64 v[173:174], v[173:174], v[181:182]
	v_add_f64 v[175:176], v[175:176], v[179:180]
	v_fma_f64 v[179:180], v[4:5], v[18:19], v[183:184]
	v_fma_f64 v[181:182], v[2:3], v[18:19], -v[20:21]
	ds_load_b128 v[2:5], v1 offset:736
	scratch_load_b128 v[18:21], off, off offset:256
	v_fma_f64 v[40:41], v[40:41], v[22:23], v[177:178]
	v_fma_f64 v[38:39], v[38:39], v[22:23], -v[24:25]
	scratch_load_b128 v[22:25], off, off offset:272
	v_add_f64 v[173:174], v[173:174], v[169:170]
	v_add_f64 v[175:176], v[175:176], v[171:172]
	ds_load_b128 v[169:172], v1 offset:752
	s_waitcnt vmcnt(10) lgkmcnt(1)
	v_mul_f64 v[183:184], v[2:3], v[28:29]
	v_mul_f64 v[28:29], v[4:5], v[28:29]
	s_waitcnt vmcnt(9) lgkmcnt(0)
	v_mul_f64 v[177:178], v[169:170], v[32:33]
	v_mul_f64 v[32:33], v[171:172], v[32:33]
	v_add_f64 v[173:174], v[173:174], v[181:182]
	v_add_f64 v[175:176], v[175:176], v[179:180]
	v_fma_f64 v[179:180], v[4:5], v[26:27], v[183:184]
	v_fma_f64 v[181:182], v[2:3], v[26:27], -v[28:29]
	ds_load_b128 v[2:5], v1 offset:768
	scratch_load_b128 v[26:29], off, off offset:288
	v_fma_f64 v[171:172], v[171:172], v[30:31], v[177:178]
	v_fma_f64 v[169:170], v[169:170], v[30:31], -v[32:33]
	scratch_load_b128 v[30:33], off, off offset:304
	v_add_f64 v[173:174], v[173:174], v[38:39]
	v_add_f64 v[175:176], v[175:176], v[40:41]
	ds_load_b128 v[38:41], v1 offset:784
	s_waitcnt vmcnt(10) lgkmcnt(1)
	v_mul_f64 v[183:184], v[2:3], v[36:37]
	v_mul_f64 v[36:37], v[4:5], v[36:37]
	s_waitcnt vmcnt(8) lgkmcnt(0)
	v_mul_f64 v[177:178], v[38:39], v[167:168]
	v_add_f64 v[173:174], v[173:174], v[181:182]
	v_add_f64 v[175:176], v[175:176], v[179:180]
	v_mul_f64 v[179:180], v[40:41], v[167:168]
	v_fma_f64 v[181:182], v[4:5], v[34:35], v[183:184]
	v_fma_f64 v[183:184], v[2:3], v[34:35], -v[36:37]
	ds_load_b128 v[2:5], v1 offset:800
	scratch_load_b128 v[34:37], off, off offset:320
	v_fma_f64 v[177:178], v[40:41], v[165:166], v[177:178]
	v_add_f64 v[173:174], v[173:174], v[169:170]
	v_add_f64 v[171:172], v[175:176], v[171:172]
	ds_load_b128 v[167:170], v1 offset:816
	v_fma_f64 v[165:166], v[38:39], v[165:166], -v[179:180]
	scratch_load_b128 v[38:41], off, off offset:336
	s_waitcnt vmcnt(9) lgkmcnt(1)
	v_mul_f64 v[175:176], v[2:3], v[44:45]
	v_mul_f64 v[44:45], v[4:5], v[44:45]
	s_waitcnt vmcnt(8) lgkmcnt(0)
	v_mul_f64 v[179:180], v[167:168], v[8:9]
	v_mul_f64 v[8:9], v[169:170], v[8:9]
	v_add_f64 v[173:174], v[173:174], v[183:184]
	v_add_f64 v[171:172], v[171:172], v[181:182]
	v_fma_f64 v[175:176], v[4:5], v[42:43], v[175:176]
	v_fma_f64 v[181:182], v[2:3], v[42:43], -v[44:45]
	ds_load_b128 v[2:5], v1 offset:832
	scratch_load_b128 v[42:45], off, off offset:352
	v_fma_f64 v[169:170], v[169:170], v[6:7], v[179:180]
	v_fma_f64 v[167:168], v[167:168], v[6:7], -v[8:9]
	scratch_load_b128 v[6:9], off, off offset:368
	v_add_f64 v[165:166], v[173:174], v[165:166]
	v_add_f64 v[177:178], v[171:172], v[177:178]
	ds_load_b128 v[171:174], v1 offset:848
	s_waitcnt vmcnt(9) lgkmcnt(1)
	v_mul_f64 v[183:184], v[2:3], v[12:13]
	v_mul_f64 v[12:13], v[4:5], v[12:13]
	v_add_f64 v[165:166], v[165:166], v[181:182]
	v_add_f64 v[175:176], v[177:178], v[175:176]
	s_waitcnt vmcnt(8) lgkmcnt(0)
	v_mul_f64 v[177:178], v[171:172], v[16:17]
	v_mul_f64 v[16:17], v[173:174], v[16:17]
	v_fma_f64 v[179:180], v[4:5], v[10:11], v[183:184]
	v_fma_f64 v[181:182], v[2:3], v[10:11], -v[12:13]
	ds_load_b128 v[2:5], v1 offset:864
	scratch_load_b128 v[10:13], off, off offset:384
	v_add_f64 v[183:184], v[165:166], v[167:168]
	v_add_f64 v[169:170], v[175:176], v[169:170]
	ds_load_b128 v[165:168], v1 offset:880
	s_waitcnt vmcnt(8) lgkmcnt(1)
	v_mul_f64 v[175:176], v[2:3], v[20:21]
	v_mul_f64 v[20:21], v[4:5], v[20:21]
	v_fma_f64 v[173:174], v[173:174], v[14:15], v[177:178]
	v_fma_f64 v[171:172], v[171:172], v[14:15], -v[16:17]
	scratch_load_b128 v[14:17], off, off offset:400
	v_add_f64 v[177:178], v[183:184], v[181:182]
	v_add_f64 v[169:170], v[169:170], v[179:180]
	s_waitcnt vmcnt(8) lgkmcnt(0)
	v_mul_f64 v[179:180], v[165:166], v[24:25]
	v_mul_f64 v[24:25], v[167:168], v[24:25]
	v_fma_f64 v[175:176], v[4:5], v[18:19], v[175:176]
	v_fma_f64 v[181:182], v[2:3], v[18:19], -v[20:21]
	ds_load_b128 v[2:5], v1 offset:896
	scratch_load_b128 v[18:21], off, off offset:416
	v_add_f64 v[177:178], v[177:178], v[171:172]
	v_add_f64 v[173:174], v[169:170], v[173:174]
	ds_load_b128 v[169:172], v1 offset:912
	s_waitcnt vmcnt(8) lgkmcnt(1)
	v_mul_f64 v[183:184], v[2:3], v[28:29]
	v_mul_f64 v[28:29], v[4:5], v[28:29]
	v_fma_f64 v[167:168], v[167:168], v[22:23], v[179:180]
	v_fma_f64 v[165:166], v[165:166], v[22:23], -v[24:25]
	scratch_load_b128 v[22:25], off, off offset:432
	;; [unrolled: 18-line block ×4, first 2 shown]
	s_waitcnt vmcnt(8) lgkmcnt(0)
	v_mul_f64 v[177:178], v[169:170], v[8:9]
	v_mul_f64 v[8:9], v[171:172], v[8:9]
	v_add_f64 v[175:176], v[175:176], v[181:182]
	v_add_f64 v[173:174], v[173:174], v[179:180]
	v_fma_f64 v[179:180], v[4:5], v[42:43], v[183:184]
	v_fma_f64 v[181:182], v[2:3], v[42:43], -v[44:45]
	ds_load_b128 v[2:5], v1 offset:992
	scratch_load_b128 v[42:45], off, off offset:512
	v_fma_f64 v[171:172], v[171:172], v[6:7], v[177:178]
	v_fma_f64 v[169:170], v[169:170], v[6:7], -v[8:9]
	scratch_load_b128 v[6:9], off, off offset:528
	v_add_f64 v[175:176], v[175:176], v[165:166]
	v_add_f64 v[173:174], v[173:174], v[167:168]
	ds_load_b128 v[165:168], v1 offset:1008
	s_waitcnt vmcnt(9) lgkmcnt(1)
	v_mul_f64 v[183:184], v[2:3], v[12:13]
	v_mul_f64 v[12:13], v[4:5], v[12:13]
	s_waitcnt vmcnt(8) lgkmcnt(0)
	v_mul_f64 v[177:178], v[165:166], v[16:17]
	v_mul_f64 v[16:17], v[167:168], v[16:17]
	v_add_f64 v[175:176], v[175:176], v[181:182]
	v_add_f64 v[173:174], v[173:174], v[179:180]
	v_fma_f64 v[179:180], v[4:5], v[10:11], v[183:184]
	v_fma_f64 v[181:182], v[2:3], v[10:11], -v[12:13]
	ds_load_b128 v[2:5], v1 offset:1024
	scratch_load_b128 v[10:13], off, off offset:544
	v_fma_f64 v[167:168], v[167:168], v[14:15], v[177:178]
	v_fma_f64 v[165:166], v[165:166], v[14:15], -v[16:17]
	scratch_load_b128 v[14:17], off, off offset:560
	v_add_f64 v[175:176], v[175:176], v[169:170]
	v_add_f64 v[173:174], v[173:174], v[171:172]
	ds_load_b128 v[169:172], v1 offset:1040
	s_waitcnt vmcnt(9) lgkmcnt(1)
	v_mul_f64 v[183:184], v[2:3], v[20:21]
	v_mul_f64 v[20:21], v[4:5], v[20:21]
	s_waitcnt vmcnt(8) lgkmcnt(0)
	v_mul_f64 v[177:178], v[169:170], v[24:25]
	v_mul_f64 v[24:25], v[171:172], v[24:25]
	v_add_f64 v[175:176], v[175:176], v[181:182]
	v_add_f64 v[173:174], v[173:174], v[179:180]
	v_fma_f64 v[179:180], v[4:5], v[18:19], v[183:184]
	v_fma_f64 v[181:182], v[2:3], v[18:19], -v[20:21]
	ds_load_b128 v[2:5], v1 offset:1056
	scratch_load_b128 v[18:21], off, off offset:576
	v_fma_f64 v[171:172], v[171:172], v[22:23], v[177:178]
	v_fma_f64 v[169:170], v[169:170], v[22:23], -v[24:25]
	scratch_load_b128 v[22:25], off, off offset:592
	v_add_f64 v[175:176], v[175:176], v[165:166]
	v_add_f64 v[173:174], v[173:174], v[167:168]
	ds_load_b128 v[165:168], v1 offset:1072
	s_waitcnt vmcnt(9) lgkmcnt(1)
	v_mul_f64 v[183:184], v[2:3], v[28:29]
	v_mul_f64 v[28:29], v[4:5], v[28:29]
	s_waitcnt vmcnt(8) lgkmcnt(0)
	v_mul_f64 v[177:178], v[165:166], v[32:33]
	v_mul_f64 v[32:33], v[167:168], v[32:33]
	v_add_f64 v[175:176], v[175:176], v[181:182]
	v_add_f64 v[173:174], v[173:174], v[179:180]
	v_fma_f64 v[179:180], v[4:5], v[26:27], v[183:184]
	v_fma_f64 v[181:182], v[2:3], v[26:27], -v[28:29]
	ds_load_b128 v[2:5], v1 offset:1088
	ds_load_b128 v[26:29], v1 offset:1104
	v_fma_f64 v[167:168], v[167:168], v[30:31], v[177:178]
	v_fma_f64 v[30:31], v[165:166], v[30:31], -v[32:33]
	v_add_f64 v[169:170], v[175:176], v[169:170]
	v_add_f64 v[171:172], v[173:174], v[171:172]
	s_waitcnt vmcnt(7) lgkmcnt(1)
	v_mul_f64 v[173:174], v[2:3], v[36:37]
	v_mul_f64 v[36:37], v[4:5], v[36:37]
	s_delay_alu instid0(VALU_DEP_4) | instskip(NEXT) | instid1(VALU_DEP_4)
	v_add_f64 v[32:33], v[169:170], v[181:182]
	v_add_f64 v[165:166], v[171:172], v[179:180]
	s_waitcnt vmcnt(6) lgkmcnt(0)
	v_mul_f64 v[169:170], v[26:27], v[40:41]
	v_mul_f64 v[40:41], v[28:29], v[40:41]
	v_fma_f64 v[171:172], v[4:5], v[34:35], v[173:174]
	v_fma_f64 v[34:35], v[2:3], v[34:35], -v[36:37]
	v_add_f64 v[36:37], v[32:33], v[30:31]
	v_add_f64 v[165:166], v[165:166], v[167:168]
	ds_load_b128 v[2:5], v1 offset:1120
	ds_load_b128 v[30:33], v1 offset:1136
	v_fma_f64 v[28:29], v[28:29], v[38:39], v[169:170]
	v_fma_f64 v[26:27], v[26:27], v[38:39], -v[40:41]
	s_waitcnt vmcnt(5) lgkmcnt(1)
	v_mul_f64 v[167:168], v[2:3], v[44:45]
	v_mul_f64 v[44:45], v[4:5], v[44:45]
	s_waitcnt vmcnt(4) lgkmcnt(0)
	v_mul_f64 v[38:39], v[30:31], v[8:9]
	v_mul_f64 v[8:9], v[32:33], v[8:9]
	v_add_f64 v[34:35], v[36:37], v[34:35]
	v_add_f64 v[36:37], v[165:166], v[171:172]
	v_fma_f64 v[40:41], v[4:5], v[42:43], v[167:168]
	v_fma_f64 v[42:43], v[2:3], v[42:43], -v[44:45]
	v_fma_f64 v[32:33], v[32:33], v[6:7], v[38:39]
	v_fma_f64 v[6:7], v[30:31], v[6:7], -v[8:9]
	v_add_f64 v[34:35], v[34:35], v[26:27]
	v_add_f64 v[36:37], v[36:37], v[28:29]
	ds_load_b128 v[2:5], v1 offset:1152
	ds_load_b128 v[26:29], v1 offset:1168
	s_waitcnt vmcnt(3) lgkmcnt(1)
	v_mul_f64 v[44:45], v[2:3], v[12:13]
	v_mul_f64 v[12:13], v[4:5], v[12:13]
	v_add_f64 v[8:9], v[34:35], v[42:43]
	v_add_f64 v[30:31], v[36:37], v[40:41]
	s_waitcnt vmcnt(2) lgkmcnt(0)
	v_mul_f64 v[34:35], v[26:27], v[16:17]
	v_mul_f64 v[16:17], v[28:29], v[16:17]
	v_fma_f64 v[36:37], v[4:5], v[10:11], v[44:45]
	v_fma_f64 v[10:11], v[2:3], v[10:11], -v[12:13]
	v_add_f64 v[12:13], v[8:9], v[6:7]
	v_add_f64 v[30:31], v[30:31], v[32:33]
	ds_load_b128 v[2:5], v1 offset:1184
	ds_load_b128 v[6:9], v1 offset:1200
	v_fma_f64 v[28:29], v[28:29], v[14:15], v[34:35]
	v_fma_f64 v[14:15], v[26:27], v[14:15], -v[16:17]
	s_waitcnt vmcnt(1) lgkmcnt(1)
	v_mul_f64 v[32:33], v[2:3], v[20:21]
	v_mul_f64 v[20:21], v[4:5], v[20:21]
	s_waitcnt vmcnt(0) lgkmcnt(0)
	v_mul_f64 v[16:17], v[6:7], v[24:25]
	v_mul_f64 v[24:25], v[8:9], v[24:25]
	v_add_f64 v[10:11], v[12:13], v[10:11]
	v_add_f64 v[12:13], v[30:31], v[36:37]
	v_fma_f64 v[4:5], v[4:5], v[18:19], v[32:33]
	v_fma_f64 v[1:2], v[2:3], v[18:19], -v[20:21]
	v_fma_f64 v[8:9], v[8:9], v[22:23], v[16:17]
	v_fma_f64 v[6:7], v[6:7], v[22:23], -v[24:25]
	v_add_f64 v[10:11], v[10:11], v[14:15]
	v_add_f64 v[12:13], v[12:13], v[28:29]
	s_delay_alu instid0(VALU_DEP_2) | instskip(NEXT) | instid1(VALU_DEP_2)
	v_add_f64 v[1:2], v[10:11], v[1:2]
	v_add_f64 v[3:4], v[12:13], v[4:5]
	s_delay_alu instid0(VALU_DEP_2) | instskip(NEXT) | instid1(VALU_DEP_2)
	;; [unrolled: 3-line block ×3, first 2 shown]
	v_add_f64 v[1:2], v[161:162], -v[1:2]
	v_add_f64 v[3:4], v[163:164], -v[3:4]
	scratch_store_b128 off, v[1:4], off offset:16
	v_cmpx_ne_u32_e32 0, v122
	s_cbranch_execz .LBB37_241
; %bb.240:
	scratch_load_b128 v[1:4], off, off
	v_mov_b32_e32 v5, 0
	s_delay_alu instid0(VALU_DEP_1)
	v_mov_b32_e32 v6, v5
	v_mov_b32_e32 v7, v5
	;; [unrolled: 1-line block ×3, first 2 shown]
	scratch_store_b128 off, v[5:8], off
	s_waitcnt vmcnt(0)
	ds_store_b128 v160, v[1:4]
.LBB37_241:
	s_or_b32 exec_lo, exec_lo, s2
	s_waitcnt lgkmcnt(0)
	s_waitcnt_vscnt null, 0x0
	s_barrier
	buffer_gl0_inv
	s_clause 0x7
	scratch_load_b128 v[1:4], off, off offset:16
	scratch_load_b128 v[5:8], off, off offset:32
	;; [unrolled: 1-line block ×8, first 2 shown]
	v_mov_b32_e32 v41, 0
	s_and_b32 vcc_lo, exec_lo, s20
	ds_load_b128 v[37:40], v41 offset:624
	s_clause 0x1
	scratch_load_b128 v[33:36], off, off offset:144
	scratch_load_b128 v[42:45], off, off
	ds_load_b128 v[160:163], v41 offset:640
	scratch_load_b128 v[164:167], off, off offset:160
	s_waitcnt vmcnt(10) lgkmcnt(1)
	v_mul_f64 v[168:169], v[39:40], v[3:4]
	v_mul_f64 v[3:4], v[37:38], v[3:4]
	s_delay_alu instid0(VALU_DEP_2) | instskip(NEXT) | instid1(VALU_DEP_2)
	v_fma_f64 v[174:175], v[37:38], v[1:2], -v[168:169]
	v_fma_f64 v[176:177], v[39:40], v[1:2], v[3:4]
	scratch_load_b128 v[37:40], off, off offset:176
	ds_load_b128 v[1:4], v41 offset:656
	s_waitcnt vmcnt(10) lgkmcnt(1)
	v_mul_f64 v[172:173], v[160:161], v[7:8]
	v_mul_f64 v[7:8], v[162:163], v[7:8]
	ds_load_b128 v[168:171], v41 offset:672
	s_waitcnt vmcnt(9) lgkmcnt(1)
	v_mul_f64 v[178:179], v[1:2], v[11:12]
	v_mul_f64 v[11:12], v[3:4], v[11:12]
	v_fma_f64 v[162:163], v[162:163], v[5:6], v[172:173]
	v_fma_f64 v[160:161], v[160:161], v[5:6], -v[7:8]
	v_add_f64 v[172:173], v[174:175], 0
	v_add_f64 v[174:175], v[176:177], 0
	scratch_load_b128 v[5:8], off, off offset:192
	v_fma_f64 v[178:179], v[3:4], v[9:10], v[178:179]
	v_fma_f64 v[180:181], v[1:2], v[9:10], -v[11:12]
	scratch_load_b128 v[9:12], off, off offset:208
	ds_load_b128 v[1:4], v41 offset:688
	s_waitcnt vmcnt(10) lgkmcnt(1)
	v_mul_f64 v[176:177], v[168:169], v[15:16]
	v_mul_f64 v[15:16], v[170:171], v[15:16]
	v_add_f64 v[172:173], v[172:173], v[160:161]
	v_add_f64 v[174:175], v[174:175], v[162:163]
	s_waitcnt vmcnt(9) lgkmcnt(0)
	v_mul_f64 v[182:183], v[1:2], v[19:20]
	v_mul_f64 v[19:20], v[3:4], v[19:20]
	ds_load_b128 v[160:163], v41 offset:704
	v_fma_f64 v[170:171], v[170:171], v[13:14], v[176:177]
	v_fma_f64 v[168:169], v[168:169], v[13:14], -v[15:16]
	scratch_load_b128 v[13:16], off, off offset:224
	v_add_f64 v[172:173], v[172:173], v[180:181]
	v_add_f64 v[174:175], v[174:175], v[178:179]
	v_fma_f64 v[178:179], v[3:4], v[17:18], v[182:183]
	v_fma_f64 v[180:181], v[1:2], v[17:18], -v[19:20]
	scratch_load_b128 v[17:20], off, off offset:240
	ds_load_b128 v[1:4], v41 offset:720
	s_waitcnt vmcnt(10) lgkmcnt(1)
	v_mul_f64 v[176:177], v[160:161], v[23:24]
	v_mul_f64 v[23:24], v[162:163], v[23:24]
	s_waitcnt vmcnt(9) lgkmcnt(0)
	v_mul_f64 v[182:183], v[1:2], v[27:28]
	v_mul_f64 v[27:28], v[3:4], v[27:28]
	v_add_f64 v[172:173], v[172:173], v[168:169]
	v_add_f64 v[174:175], v[174:175], v[170:171]
	ds_load_b128 v[168:171], v41 offset:736
	v_fma_f64 v[162:163], v[162:163], v[21:22], v[176:177]
	v_fma_f64 v[160:161], v[160:161], v[21:22], -v[23:24]
	scratch_load_b128 v[21:24], off, off offset:256
	v_add_f64 v[172:173], v[172:173], v[180:181]
	v_add_f64 v[174:175], v[174:175], v[178:179]
	v_fma_f64 v[178:179], v[3:4], v[25:26], v[182:183]
	v_fma_f64 v[180:181], v[1:2], v[25:26], -v[27:28]
	scratch_load_b128 v[25:28], off, off offset:272
	ds_load_b128 v[1:4], v41 offset:752
	s_waitcnt vmcnt(10) lgkmcnt(1)
	v_mul_f64 v[176:177], v[168:169], v[31:32]
	v_mul_f64 v[31:32], v[170:171], v[31:32]
	s_waitcnt vmcnt(9) lgkmcnt(0)
	v_mul_f64 v[182:183], v[1:2], v[35:36]
	v_mul_f64 v[35:36], v[3:4], v[35:36]
	v_add_f64 v[172:173], v[172:173], v[160:161]
	v_add_f64 v[174:175], v[174:175], v[162:163]
	ds_load_b128 v[160:163], v41 offset:768
	v_fma_f64 v[170:171], v[170:171], v[29:30], v[176:177]
	v_fma_f64 v[168:169], v[168:169], v[29:30], -v[31:32]
	scratch_load_b128 v[29:32], off, off offset:288
	v_add_f64 v[172:173], v[172:173], v[180:181]
	v_add_f64 v[174:175], v[174:175], v[178:179]
	v_fma_f64 v[180:181], v[3:4], v[33:34], v[182:183]
	v_fma_f64 v[182:183], v[1:2], v[33:34], -v[35:36]
	scratch_load_b128 v[33:36], off, off offset:304
	ds_load_b128 v[1:4], v41 offset:784
	s_waitcnt vmcnt(9) lgkmcnt(1)
	v_mul_f64 v[176:177], v[160:161], v[166:167]
	v_mul_f64 v[178:179], v[162:163], v[166:167]
	v_add_f64 v[172:173], v[172:173], v[168:169]
	v_add_f64 v[170:171], v[174:175], v[170:171]
	ds_load_b128 v[166:169], v41 offset:800
	v_fma_f64 v[176:177], v[162:163], v[164:165], v[176:177]
	v_fma_f64 v[164:165], v[160:161], v[164:165], -v[178:179]
	scratch_load_b128 v[160:163], off, off offset:320
	s_waitcnt vmcnt(9) lgkmcnt(1)
	v_mul_f64 v[174:175], v[1:2], v[39:40]
	v_mul_f64 v[39:40], v[3:4], v[39:40]
	v_add_f64 v[172:173], v[172:173], v[182:183]
	v_add_f64 v[170:171], v[170:171], v[180:181]
	s_delay_alu instid0(VALU_DEP_4) | instskip(NEXT) | instid1(VALU_DEP_4)
	v_fma_f64 v[174:175], v[3:4], v[37:38], v[174:175]
	v_fma_f64 v[180:181], v[1:2], v[37:38], -v[39:40]
	scratch_load_b128 v[37:40], off, off offset:336
	ds_load_b128 v[1:4], v41 offset:816
	s_waitcnt vmcnt(9) lgkmcnt(1)
	v_mul_f64 v[178:179], v[166:167], v[7:8]
	v_mul_f64 v[7:8], v[168:169], v[7:8]
	s_waitcnt vmcnt(8) lgkmcnt(0)
	v_mul_f64 v[182:183], v[1:2], v[11:12]
	v_mul_f64 v[11:12], v[3:4], v[11:12]
	v_add_f64 v[164:165], v[172:173], v[164:165]
	v_add_f64 v[176:177], v[170:171], v[176:177]
	ds_load_b128 v[170:173], v41 offset:832
	v_fma_f64 v[168:169], v[168:169], v[5:6], v[178:179]
	v_fma_f64 v[166:167], v[166:167], v[5:6], -v[7:8]
	scratch_load_b128 v[5:8], off, off offset:352
	v_fma_f64 v[178:179], v[3:4], v[9:10], v[182:183]
	v_add_f64 v[164:165], v[164:165], v[180:181]
	v_add_f64 v[174:175], v[176:177], v[174:175]
	v_fma_f64 v[180:181], v[1:2], v[9:10], -v[11:12]
	scratch_load_b128 v[9:12], off, off offset:368
	ds_load_b128 v[1:4], v41 offset:848
	s_waitcnt vmcnt(9) lgkmcnt(1)
	v_mul_f64 v[176:177], v[170:171], v[15:16]
	v_mul_f64 v[15:16], v[172:173], v[15:16]
	v_add_f64 v[182:183], v[164:165], v[166:167]
	v_add_f64 v[168:169], v[174:175], v[168:169]
	s_waitcnt vmcnt(8) lgkmcnt(0)
	v_mul_f64 v[174:175], v[1:2], v[19:20]
	v_mul_f64 v[19:20], v[3:4], v[19:20]
	ds_load_b128 v[164:167], v41 offset:864
	v_fma_f64 v[172:173], v[172:173], v[13:14], v[176:177]
	v_fma_f64 v[170:171], v[170:171], v[13:14], -v[15:16]
	scratch_load_b128 v[13:16], off, off offset:384
	v_add_f64 v[176:177], v[182:183], v[180:181]
	v_add_f64 v[168:169], v[168:169], v[178:179]
	v_fma_f64 v[174:175], v[3:4], v[17:18], v[174:175]
	v_fma_f64 v[180:181], v[1:2], v[17:18], -v[19:20]
	scratch_load_b128 v[17:20], off, off offset:400
	ds_load_b128 v[1:4], v41 offset:880
	s_waitcnt vmcnt(9) lgkmcnt(1)
	v_mul_f64 v[178:179], v[164:165], v[23:24]
	v_mul_f64 v[23:24], v[166:167], v[23:24]
	s_waitcnt vmcnt(8) lgkmcnt(0)
	v_mul_f64 v[182:183], v[1:2], v[27:28]
	v_mul_f64 v[27:28], v[3:4], v[27:28]
	v_add_f64 v[176:177], v[176:177], v[170:171]
	v_add_f64 v[172:173], v[168:169], v[172:173]
	ds_load_b128 v[168:171], v41 offset:896
	v_fma_f64 v[166:167], v[166:167], v[21:22], v[178:179]
	v_fma_f64 v[164:165], v[164:165], v[21:22], -v[23:24]
	scratch_load_b128 v[21:24], off, off offset:416
	v_fma_f64 v[178:179], v[3:4], v[25:26], v[182:183]
	v_add_f64 v[176:177], v[176:177], v[180:181]
	v_add_f64 v[172:173], v[172:173], v[174:175]
	v_fma_f64 v[180:181], v[1:2], v[25:26], -v[27:28]
	scratch_load_b128 v[25:28], off, off offset:432
	ds_load_b128 v[1:4], v41 offset:912
	s_waitcnt vmcnt(9) lgkmcnt(1)
	v_mul_f64 v[174:175], v[168:169], v[31:32]
	v_mul_f64 v[31:32], v[170:171], v[31:32]
	s_waitcnt vmcnt(8) lgkmcnt(0)
	v_mul_f64 v[182:183], v[1:2], v[35:36]
	v_mul_f64 v[35:36], v[3:4], v[35:36]
	v_add_f64 v[176:177], v[176:177], v[164:165]
	v_add_f64 v[172:173], v[172:173], v[166:167]
	ds_load_b128 v[164:167], v41 offset:928
	v_fma_f64 v[170:171], v[170:171], v[29:30], v[174:175]
	v_fma_f64 v[168:169], v[168:169], v[29:30], -v[31:32]
	scratch_load_b128 v[29:32], off, off offset:448
	v_add_f64 v[174:175], v[176:177], v[180:181]
	v_add_f64 v[172:173], v[172:173], v[178:179]
	v_fma_f64 v[178:179], v[3:4], v[33:34], v[182:183]
	v_fma_f64 v[180:181], v[1:2], v[33:34], -v[35:36]
	scratch_load_b128 v[33:36], off, off offset:464
	ds_load_b128 v[1:4], v41 offset:944
	s_waitcnt vmcnt(9) lgkmcnt(1)
	v_mul_f64 v[176:177], v[164:165], v[162:163]
	v_mul_f64 v[162:163], v[166:167], v[162:163]
	s_waitcnt vmcnt(8) lgkmcnt(0)
	v_mul_f64 v[182:183], v[1:2], v[39:40]
	v_mul_f64 v[39:40], v[3:4], v[39:40]
	v_add_f64 v[174:175], v[174:175], v[168:169]
	v_add_f64 v[172:173], v[172:173], v[170:171]
	ds_load_b128 v[168:171], v41 offset:960
	v_fma_f64 v[166:167], v[166:167], v[160:161], v[176:177]
	v_fma_f64 v[164:165], v[164:165], v[160:161], -v[162:163]
	scratch_load_b128 v[160:163], off, off offset:480
	v_add_f64 v[174:175], v[174:175], v[180:181]
	v_add_f64 v[172:173], v[172:173], v[178:179]
	v_fma_f64 v[178:179], v[3:4], v[37:38], v[182:183]
	;; [unrolled: 18-line block ×5, first 2 shown]
	v_fma_f64 v[180:181], v[1:2], v[25:26], -v[27:28]
	scratch_load_b128 v[25:28], off, off offset:592
	ds_load_b128 v[1:4], v41 offset:1072
	s_waitcnt vmcnt(9) lgkmcnt(1)
	v_mul_f64 v[176:177], v[164:165], v[31:32]
	v_mul_f64 v[31:32], v[166:167], v[31:32]
	s_waitcnt vmcnt(8) lgkmcnt(0)
	v_mul_f64 v[182:183], v[1:2], v[35:36]
	v_mul_f64 v[35:36], v[3:4], v[35:36]
	v_add_f64 v[174:175], v[174:175], v[168:169]
	v_add_f64 v[172:173], v[172:173], v[170:171]
	ds_load_b128 v[168:171], v41 offset:1088
	v_fma_f64 v[166:167], v[166:167], v[29:30], v[176:177]
	v_fma_f64 v[29:30], v[164:165], v[29:30], -v[31:32]
	v_add_f64 v[31:32], v[174:175], v[180:181]
	v_add_f64 v[164:165], v[172:173], v[178:179]
	s_waitcnt vmcnt(7) lgkmcnt(0)
	v_mul_f64 v[172:173], v[168:169], v[162:163]
	v_mul_f64 v[162:163], v[170:171], v[162:163]
	v_fma_f64 v[174:175], v[3:4], v[33:34], v[182:183]
	v_fma_f64 v[33:34], v[1:2], v[33:34], -v[35:36]
	v_add_f64 v[35:36], v[31:32], v[29:30]
	v_add_f64 v[164:165], v[164:165], v[166:167]
	ds_load_b128 v[1:4], v41 offset:1104
	ds_load_b128 v[29:32], v41 offset:1120
	v_fma_f64 v[170:171], v[170:171], v[160:161], v[172:173]
	v_fma_f64 v[160:161], v[168:169], v[160:161], -v[162:163]
	s_waitcnt vmcnt(6) lgkmcnt(1)
	v_mul_f64 v[166:167], v[1:2], v[39:40]
	v_mul_f64 v[39:40], v[3:4], v[39:40]
	s_waitcnt vmcnt(5) lgkmcnt(0)
	v_mul_f64 v[162:163], v[29:30], v[7:8]
	v_mul_f64 v[7:8], v[31:32], v[7:8]
	v_add_f64 v[33:34], v[35:36], v[33:34]
	v_add_f64 v[35:36], v[164:165], v[174:175]
	v_fma_f64 v[164:165], v[3:4], v[37:38], v[166:167]
	v_fma_f64 v[37:38], v[1:2], v[37:38], -v[39:40]
	v_fma_f64 v[31:32], v[31:32], v[5:6], v[162:163]
	v_fma_f64 v[5:6], v[29:30], v[5:6], -v[7:8]
	v_add_f64 v[39:40], v[33:34], v[160:161]
	v_add_f64 v[160:161], v[35:36], v[170:171]
	ds_load_b128 v[1:4], v41 offset:1136
	ds_load_b128 v[33:36], v41 offset:1152
	s_waitcnt vmcnt(4) lgkmcnt(1)
	v_mul_f64 v[166:167], v[1:2], v[11:12]
	v_mul_f64 v[11:12], v[3:4], v[11:12]
	v_add_f64 v[7:8], v[39:40], v[37:38]
	v_add_f64 v[29:30], v[160:161], v[164:165]
	s_waitcnt vmcnt(3) lgkmcnt(0)
	v_mul_f64 v[37:38], v[33:34], v[15:16]
	v_mul_f64 v[15:16], v[35:36], v[15:16]
	v_fma_f64 v[39:40], v[3:4], v[9:10], v[166:167]
	v_fma_f64 v[9:10], v[1:2], v[9:10], -v[11:12]
	v_add_f64 v[11:12], v[7:8], v[5:6]
	v_add_f64 v[29:30], v[29:30], v[31:32]
	ds_load_b128 v[1:4], v41 offset:1168
	ds_load_b128 v[5:8], v41 offset:1184
	v_fma_f64 v[35:36], v[35:36], v[13:14], v[37:38]
	v_fma_f64 v[13:14], v[33:34], v[13:14], -v[15:16]
	s_waitcnt vmcnt(2) lgkmcnt(1)
	v_mul_f64 v[31:32], v[1:2], v[19:20]
	v_mul_f64 v[19:20], v[3:4], v[19:20]
	s_waitcnt vmcnt(1) lgkmcnt(0)
	v_mul_f64 v[15:16], v[5:6], v[23:24]
	v_mul_f64 v[23:24], v[7:8], v[23:24]
	v_add_f64 v[9:10], v[11:12], v[9:10]
	v_add_f64 v[11:12], v[29:30], v[39:40]
	v_fma_f64 v[29:30], v[3:4], v[17:18], v[31:32]
	v_fma_f64 v[17:18], v[1:2], v[17:18], -v[19:20]
	ds_load_b128 v[1:4], v41 offset:1200
	v_fma_f64 v[7:8], v[7:8], v[21:22], v[15:16]
	v_fma_f64 v[5:6], v[5:6], v[21:22], -v[23:24]
	v_add_f64 v[9:10], v[9:10], v[13:14]
	v_add_f64 v[11:12], v[11:12], v[35:36]
	s_waitcnt vmcnt(0) lgkmcnt(0)
	v_mul_f64 v[13:14], v[1:2], v[27:28]
	v_mul_f64 v[19:20], v[3:4], v[27:28]
	s_delay_alu instid0(VALU_DEP_4) | instskip(NEXT) | instid1(VALU_DEP_4)
	v_add_f64 v[9:10], v[9:10], v[17:18]
	v_add_f64 v[11:12], v[11:12], v[29:30]
	s_delay_alu instid0(VALU_DEP_4) | instskip(NEXT) | instid1(VALU_DEP_4)
	v_fma_f64 v[3:4], v[3:4], v[25:26], v[13:14]
	v_fma_f64 v[1:2], v[1:2], v[25:26], -v[19:20]
	s_delay_alu instid0(VALU_DEP_4) | instskip(NEXT) | instid1(VALU_DEP_4)
	v_add_f64 v[5:6], v[9:10], v[5:6]
	v_add_f64 v[7:8], v[11:12], v[7:8]
	s_delay_alu instid0(VALU_DEP_2) | instskip(NEXT) | instid1(VALU_DEP_2)
	v_add_f64 v[1:2], v[5:6], v[1:2]
	v_add_f64 v[3:4], v[7:8], v[3:4]
	s_delay_alu instid0(VALU_DEP_2) | instskip(NEXT) | instid1(VALU_DEP_2)
	v_add_f64 v[1:2], v[42:43], -v[1:2]
	v_add_f64 v[3:4], v[44:45], -v[3:4]
	scratch_store_b128 off, v[1:4], off
	s_cbranch_vccz .LBB37_317
; %bb.242:
	v_dual_mov_b32 v1, s16 :: v_dual_mov_b32 v2, s17
	s_load_b64 s[0:1], s[0:1], 0x4
	flat_load_b32 v1, v[1:2] offset:144
	v_bfe_u32 v2, v0, 10, 10
	v_bfe_u32 v0, v0, 20, 10
	s_waitcnt lgkmcnt(0)
	s_lshr_b32 s0, s0, 16
	s_delay_alu instid0(VALU_DEP_2) | instskip(SKIP_1) | instid1(SALU_CYCLE_1)
	v_mul_u32_u24_e32 v2, s1, v2
	s_mul_i32 s0, s0, s1
	v_mul_u32_u24_e32 v3, s0, v122
	s_mov_b32 s0, exec_lo
	s_delay_alu instid0(VALU_DEP_1) | instskip(NEXT) | instid1(VALU_DEP_1)
	v_add3_u32 v0, v3, v2, v0
	v_lshl_add_u32 v0, v0, 4, 0x4c8
	s_waitcnt vmcnt(0)
	v_cmpx_ne_u32_e32 37, v1
	s_cbranch_execz .LBB37_244
; %bb.243:
	v_lshl_add_u32 v9, v1, 4, 0
	s_clause 0x1
	scratch_load_b128 v[1:4], v135, off
	scratch_load_b128 v[5:8], v9, off offset:-16
	s_waitcnt vmcnt(1)
	ds_store_2addr_b64 v0, v[1:2], v[3:4] offset1:1
	s_waitcnt vmcnt(0)
	s_clause 0x1
	scratch_store_b128 v135, v[5:8], off
	scratch_store_b128 v9, v[1:4], off offset:-16
.LBB37_244:
	s_or_b32 exec_lo, exec_lo, s0
	v_dual_mov_b32 v1, s16 :: v_dual_mov_b32 v2, s17
	s_mov_b32 s0, exec_lo
	flat_load_b32 v1, v[1:2] offset:140
	s_waitcnt vmcnt(0) lgkmcnt(0)
	v_cmpx_ne_u32_e32 36, v1
	s_cbranch_execz .LBB37_246
; %bb.245:
	v_lshl_add_u32 v9, v1, 4, 0
	s_clause 0x1
	scratch_load_b128 v[1:4], v138, off
	scratch_load_b128 v[5:8], v9, off offset:-16
	s_waitcnt vmcnt(1)
	ds_store_2addr_b64 v0, v[1:2], v[3:4] offset1:1
	s_waitcnt vmcnt(0)
	s_clause 0x1
	scratch_store_b128 v138, v[5:8], off
	scratch_store_b128 v9, v[1:4], off offset:-16
.LBB37_246:
	s_or_b32 exec_lo, exec_lo, s0
	v_dual_mov_b32 v1, s16 :: v_dual_mov_b32 v2, s17
	s_mov_b32 s0, exec_lo
	flat_load_b32 v1, v[1:2] offset:136
	s_waitcnt vmcnt(0) lgkmcnt(0)
	v_cmpx_ne_u32_e32 35, v1
	s_cbranch_execz .LBB37_248
; %bb.247:
	v_lshl_add_u32 v9, v1, 4, 0
	s_clause 0x1
	scratch_load_b128 v[1:4], v140, off
	scratch_load_b128 v[5:8], v9, off offset:-16
	s_waitcnt vmcnt(1)
	ds_store_2addr_b64 v0, v[1:2], v[3:4] offset1:1
	s_waitcnt vmcnt(0)
	s_clause 0x1
	scratch_store_b128 v140, v[5:8], off
	scratch_store_b128 v9, v[1:4], off offset:-16
.LBB37_248:
	s_or_b32 exec_lo, exec_lo, s0
	v_dual_mov_b32 v1, s16 :: v_dual_mov_b32 v2, s17
	s_mov_b32 s0, exec_lo
	flat_load_b32 v1, v[1:2] offset:132
	s_waitcnt vmcnt(0) lgkmcnt(0)
	v_cmpx_ne_u32_e32 34, v1
	s_cbranch_execz .LBB37_250
; %bb.249:
	v_lshl_add_u32 v9, v1, 4, 0
	s_clause 0x1
	scratch_load_b128 v[1:4], v144, off
	scratch_load_b128 v[5:8], v9, off offset:-16
	s_waitcnt vmcnt(1)
	ds_store_2addr_b64 v0, v[1:2], v[3:4] offset1:1
	s_waitcnt vmcnt(0)
	s_clause 0x1
	scratch_store_b128 v144, v[5:8], off
	scratch_store_b128 v9, v[1:4], off offset:-16
.LBB37_250:
	s_or_b32 exec_lo, exec_lo, s0
	v_dual_mov_b32 v1, s16 :: v_dual_mov_b32 v2, s17
	s_mov_b32 s0, exec_lo
	flat_load_b32 v1, v[1:2] offset:128
	s_waitcnt vmcnt(0) lgkmcnt(0)
	v_cmpx_ne_u32_e32 33, v1
	s_cbranch_execz .LBB37_252
; %bb.251:
	v_lshl_add_u32 v9, v1, 4, 0
	s_clause 0x1
	scratch_load_b128 v[1:4], v146, off
	scratch_load_b128 v[5:8], v9, off offset:-16
	s_waitcnt vmcnt(1)
	ds_store_2addr_b64 v0, v[1:2], v[3:4] offset1:1
	s_waitcnt vmcnt(0)
	s_clause 0x1
	scratch_store_b128 v146, v[5:8], off
	scratch_store_b128 v9, v[1:4], off offset:-16
.LBB37_252:
	s_or_b32 exec_lo, exec_lo, s0
	v_dual_mov_b32 v1, s16 :: v_dual_mov_b32 v2, s17
	s_mov_b32 s0, exec_lo
	flat_load_b32 v1, v[1:2] offset:124
	s_waitcnt vmcnt(0) lgkmcnt(0)
	v_cmpx_ne_u32_e32 32, v1
	s_cbranch_execz .LBB37_254
; %bb.253:
	v_lshl_add_u32 v9, v1, 4, 0
	s_clause 0x1
	scratch_load_b128 v[1:4], v151, off
	scratch_load_b128 v[5:8], v9, off offset:-16
	s_waitcnt vmcnt(1)
	ds_store_2addr_b64 v0, v[1:2], v[3:4] offset1:1
	s_waitcnt vmcnt(0)
	s_clause 0x1
	scratch_store_b128 v151, v[5:8], off
	scratch_store_b128 v9, v[1:4], off offset:-16
.LBB37_254:
	s_or_b32 exec_lo, exec_lo, s0
	v_dual_mov_b32 v1, s16 :: v_dual_mov_b32 v2, s17
	s_mov_b32 s0, exec_lo
	flat_load_b32 v1, v[1:2] offset:120
	s_waitcnt vmcnt(0) lgkmcnt(0)
	v_cmpx_ne_u32_e32 31, v1
	s_cbranch_execz .LBB37_256
; %bb.255:
	v_lshl_add_u32 v9, v1, 4, 0
	s_clause 0x1
	scratch_load_b128 v[1:4], v127, off
	scratch_load_b128 v[5:8], v9, off offset:-16
	s_waitcnt vmcnt(1)
	ds_store_2addr_b64 v0, v[1:2], v[3:4] offset1:1
	s_waitcnt vmcnt(0)
	s_clause 0x1
	scratch_store_b128 v127, v[5:8], off
	scratch_store_b128 v9, v[1:4], off offset:-16
.LBB37_256:
	s_or_b32 exec_lo, exec_lo, s0
	v_dual_mov_b32 v1, s16 :: v_dual_mov_b32 v2, s17
	s_mov_b32 s0, exec_lo
	flat_load_b32 v1, v[1:2] offset:116
	s_waitcnt vmcnt(0) lgkmcnt(0)
	v_cmpx_ne_u32_e32 30, v1
	s_cbranch_execz .LBB37_258
; %bb.257:
	v_lshl_add_u32 v9, v1, 4, 0
	s_clause 0x1
	scratch_load_b128 v[1:4], v128, off
	scratch_load_b128 v[5:8], v9, off offset:-16
	s_waitcnt vmcnt(1)
	ds_store_2addr_b64 v0, v[1:2], v[3:4] offset1:1
	s_waitcnt vmcnt(0)
	s_clause 0x1
	scratch_store_b128 v128, v[5:8], off
	scratch_store_b128 v9, v[1:4], off offset:-16
.LBB37_258:
	s_or_b32 exec_lo, exec_lo, s0
	v_dual_mov_b32 v1, s16 :: v_dual_mov_b32 v2, s17
	s_mov_b32 s0, exec_lo
	flat_load_b32 v1, v[1:2] offset:112
	s_waitcnt vmcnt(0) lgkmcnt(0)
	v_cmpx_ne_u32_e32 29, v1
	s_cbranch_execz .LBB37_260
; %bb.259:
	v_lshl_add_u32 v9, v1, 4, 0
	s_clause 0x1
	scratch_load_b128 v[1:4], v129, off
	scratch_load_b128 v[5:8], v9, off offset:-16
	s_waitcnt vmcnt(1)
	ds_store_2addr_b64 v0, v[1:2], v[3:4] offset1:1
	s_waitcnt vmcnt(0)
	s_clause 0x1
	scratch_store_b128 v129, v[5:8], off
	scratch_store_b128 v9, v[1:4], off offset:-16
.LBB37_260:
	s_or_b32 exec_lo, exec_lo, s0
	v_dual_mov_b32 v1, s16 :: v_dual_mov_b32 v2, s17
	s_mov_b32 s0, exec_lo
	flat_load_b32 v1, v[1:2] offset:108
	s_waitcnt vmcnt(0) lgkmcnt(0)
	v_cmpx_ne_u32_e32 28, v1
	s_cbranch_execz .LBB37_262
; %bb.261:
	v_lshl_add_u32 v9, v1, 4, 0
	s_clause 0x1
	scratch_load_b128 v[1:4], v130, off
	scratch_load_b128 v[5:8], v9, off offset:-16
	s_waitcnt vmcnt(1)
	ds_store_2addr_b64 v0, v[1:2], v[3:4] offset1:1
	s_waitcnt vmcnt(0)
	s_clause 0x1
	scratch_store_b128 v130, v[5:8], off
	scratch_store_b128 v9, v[1:4], off offset:-16
.LBB37_262:
	s_or_b32 exec_lo, exec_lo, s0
	v_dual_mov_b32 v1, s16 :: v_dual_mov_b32 v2, s17
	s_mov_b32 s0, exec_lo
	flat_load_b32 v1, v[1:2] offset:104
	s_waitcnt vmcnt(0) lgkmcnt(0)
	v_cmpx_ne_u32_e32 27, v1
	s_cbranch_execz .LBB37_264
; %bb.263:
	v_lshl_add_u32 v9, v1, 4, 0
	s_clause 0x1
	scratch_load_b128 v[1:4], v131, off
	scratch_load_b128 v[5:8], v9, off offset:-16
	s_waitcnt vmcnt(1)
	ds_store_2addr_b64 v0, v[1:2], v[3:4] offset1:1
	s_waitcnt vmcnt(0)
	s_clause 0x1
	scratch_store_b128 v131, v[5:8], off
	scratch_store_b128 v9, v[1:4], off offset:-16
.LBB37_264:
	s_or_b32 exec_lo, exec_lo, s0
	v_dual_mov_b32 v1, s16 :: v_dual_mov_b32 v2, s17
	s_mov_b32 s0, exec_lo
	flat_load_b32 v1, v[1:2] offset:100
	s_waitcnt vmcnt(0) lgkmcnt(0)
	v_cmpx_ne_u32_e32 26, v1
	s_cbranch_execz .LBB37_266
; %bb.265:
	v_lshl_add_u32 v9, v1, 4, 0
	s_clause 0x1
	scratch_load_b128 v[1:4], v132, off
	scratch_load_b128 v[5:8], v9, off offset:-16
	s_waitcnt vmcnt(1)
	ds_store_2addr_b64 v0, v[1:2], v[3:4] offset1:1
	s_waitcnt vmcnt(0)
	s_clause 0x1
	scratch_store_b128 v132, v[5:8], off
	scratch_store_b128 v9, v[1:4], off offset:-16
.LBB37_266:
	s_or_b32 exec_lo, exec_lo, s0
	v_dual_mov_b32 v1, s16 :: v_dual_mov_b32 v2, s17
	s_mov_b32 s0, exec_lo
	flat_load_b32 v1, v[1:2] offset:96
	s_waitcnt vmcnt(0) lgkmcnt(0)
	v_cmpx_ne_u32_e32 25, v1
	s_cbranch_execz .LBB37_268
; %bb.267:
	v_lshl_add_u32 v9, v1, 4, 0
	s_clause 0x1
	scratch_load_b128 v[1:4], v134, off
	scratch_load_b128 v[5:8], v9, off offset:-16
	s_waitcnt vmcnt(1)
	ds_store_2addr_b64 v0, v[1:2], v[3:4] offset1:1
	s_waitcnt vmcnt(0)
	s_clause 0x1
	scratch_store_b128 v134, v[5:8], off
	scratch_store_b128 v9, v[1:4], off offset:-16
.LBB37_268:
	s_or_b32 exec_lo, exec_lo, s0
	v_dual_mov_b32 v1, s16 :: v_dual_mov_b32 v2, s17
	s_mov_b32 s0, exec_lo
	flat_load_b32 v1, v[1:2] offset:92
	s_waitcnt vmcnt(0) lgkmcnt(0)
	v_cmpx_ne_u32_e32 24, v1
	s_cbranch_execz .LBB37_270
; %bb.269:
	v_lshl_add_u32 v9, v1, 4, 0
	s_clause 0x1
	scratch_load_b128 v[1:4], v136, off
	scratch_load_b128 v[5:8], v9, off offset:-16
	s_waitcnt vmcnt(1)
	ds_store_2addr_b64 v0, v[1:2], v[3:4] offset1:1
	s_waitcnt vmcnt(0)
	s_clause 0x1
	scratch_store_b128 v136, v[5:8], off
	scratch_store_b128 v9, v[1:4], off offset:-16
.LBB37_270:
	s_or_b32 exec_lo, exec_lo, s0
	v_dual_mov_b32 v1, s16 :: v_dual_mov_b32 v2, s17
	s_mov_b32 s0, exec_lo
	flat_load_b32 v1, v[1:2] offset:88
	s_waitcnt vmcnt(0) lgkmcnt(0)
	v_cmpx_ne_u32_e32 23, v1
	s_cbranch_execz .LBB37_272
; %bb.271:
	v_lshl_add_u32 v9, v1, 4, 0
	s_clause 0x1
	scratch_load_b128 v[1:4], v137, off
	scratch_load_b128 v[5:8], v9, off offset:-16
	s_waitcnt vmcnt(1)
	ds_store_2addr_b64 v0, v[1:2], v[3:4] offset1:1
	s_waitcnt vmcnt(0)
	s_clause 0x1
	scratch_store_b128 v137, v[5:8], off
	scratch_store_b128 v9, v[1:4], off offset:-16
.LBB37_272:
	s_or_b32 exec_lo, exec_lo, s0
	v_dual_mov_b32 v1, s16 :: v_dual_mov_b32 v2, s17
	s_mov_b32 s0, exec_lo
	flat_load_b32 v1, v[1:2] offset:84
	s_waitcnt vmcnt(0) lgkmcnt(0)
	v_cmpx_ne_u32_e32 22, v1
	s_cbranch_execz .LBB37_274
; %bb.273:
	v_lshl_add_u32 v9, v1, 4, 0
	s_clause 0x1
	scratch_load_b128 v[1:4], v139, off
	scratch_load_b128 v[5:8], v9, off offset:-16
	s_waitcnt vmcnt(1)
	ds_store_2addr_b64 v0, v[1:2], v[3:4] offset1:1
	s_waitcnt vmcnt(0)
	s_clause 0x1
	scratch_store_b128 v139, v[5:8], off
	scratch_store_b128 v9, v[1:4], off offset:-16
.LBB37_274:
	s_or_b32 exec_lo, exec_lo, s0
	v_dual_mov_b32 v1, s16 :: v_dual_mov_b32 v2, s17
	s_mov_b32 s0, exec_lo
	flat_load_b32 v1, v[1:2] offset:80
	s_waitcnt vmcnt(0) lgkmcnt(0)
	v_cmpx_ne_u32_e32 21, v1
	s_cbranch_execz .LBB37_276
; %bb.275:
	v_lshl_add_u32 v9, v1, 4, 0
	s_clause 0x1
	scratch_load_b128 v[1:4], v141, off
	scratch_load_b128 v[5:8], v9, off offset:-16
	s_waitcnt vmcnt(1)
	ds_store_2addr_b64 v0, v[1:2], v[3:4] offset1:1
	s_waitcnt vmcnt(0)
	s_clause 0x1
	scratch_store_b128 v141, v[5:8], off
	scratch_store_b128 v9, v[1:4], off offset:-16
.LBB37_276:
	s_or_b32 exec_lo, exec_lo, s0
	v_dual_mov_b32 v1, s16 :: v_dual_mov_b32 v2, s17
	s_mov_b32 s0, exec_lo
	flat_load_b32 v1, v[1:2] offset:76
	s_waitcnt vmcnt(0) lgkmcnt(0)
	v_cmpx_ne_u32_e32 20, v1
	s_cbranch_execz .LBB37_278
; %bb.277:
	v_lshl_add_u32 v9, v1, 4, 0
	s_clause 0x1
	scratch_load_b128 v[1:4], v142, off
	scratch_load_b128 v[5:8], v9, off offset:-16
	s_waitcnt vmcnt(1)
	ds_store_2addr_b64 v0, v[1:2], v[3:4] offset1:1
	s_waitcnt vmcnt(0)
	s_clause 0x1
	scratch_store_b128 v142, v[5:8], off
	scratch_store_b128 v9, v[1:4], off offset:-16
.LBB37_278:
	s_or_b32 exec_lo, exec_lo, s0
	v_dual_mov_b32 v1, s16 :: v_dual_mov_b32 v2, s17
	s_mov_b32 s0, exec_lo
	flat_load_b32 v1, v[1:2] offset:72
	s_waitcnt vmcnt(0) lgkmcnt(0)
	v_cmpx_ne_u32_e32 19, v1
	s_cbranch_execz .LBB37_280
; %bb.279:
	v_lshl_add_u32 v9, v1, 4, 0
	s_clause 0x1
	scratch_load_b128 v[1:4], v143, off
	scratch_load_b128 v[5:8], v9, off offset:-16
	s_waitcnt vmcnt(1)
	ds_store_2addr_b64 v0, v[1:2], v[3:4] offset1:1
	s_waitcnt vmcnt(0)
	s_clause 0x1
	scratch_store_b128 v143, v[5:8], off
	scratch_store_b128 v9, v[1:4], off offset:-16
.LBB37_280:
	s_or_b32 exec_lo, exec_lo, s0
	v_dual_mov_b32 v1, s16 :: v_dual_mov_b32 v2, s17
	s_mov_b32 s0, exec_lo
	flat_load_b32 v1, v[1:2] offset:68
	s_waitcnt vmcnt(0) lgkmcnt(0)
	v_cmpx_ne_u32_e32 18, v1
	s_cbranch_execz .LBB37_282
; %bb.281:
	v_lshl_add_u32 v9, v1, 4, 0
	s_clause 0x1
	scratch_load_b128 v[1:4], v145, off
	scratch_load_b128 v[5:8], v9, off offset:-16
	s_waitcnt vmcnt(1)
	ds_store_2addr_b64 v0, v[1:2], v[3:4] offset1:1
	s_waitcnt vmcnt(0)
	s_clause 0x1
	scratch_store_b128 v145, v[5:8], off
	scratch_store_b128 v9, v[1:4], off offset:-16
.LBB37_282:
	s_or_b32 exec_lo, exec_lo, s0
	v_dual_mov_b32 v1, s16 :: v_dual_mov_b32 v2, s17
	s_mov_b32 s0, exec_lo
	flat_load_b32 v1, v[1:2] offset:64
	s_waitcnt vmcnt(0) lgkmcnt(0)
	v_cmpx_ne_u32_e32 17, v1
	s_cbranch_execz .LBB37_284
; %bb.283:
	v_lshl_add_u32 v9, v1, 4, 0
	s_clause 0x1
	scratch_load_b128 v[1:4], v147, off
	scratch_load_b128 v[5:8], v9, off offset:-16
	s_waitcnt vmcnt(1)
	ds_store_2addr_b64 v0, v[1:2], v[3:4] offset1:1
	s_waitcnt vmcnt(0)
	s_clause 0x1
	scratch_store_b128 v147, v[5:8], off
	scratch_store_b128 v9, v[1:4], off offset:-16
.LBB37_284:
	s_or_b32 exec_lo, exec_lo, s0
	v_dual_mov_b32 v1, s16 :: v_dual_mov_b32 v2, s17
	s_mov_b32 s0, exec_lo
	flat_load_b32 v1, v[1:2] offset:60
	s_waitcnt vmcnt(0) lgkmcnt(0)
	v_cmpx_ne_u32_e32 16, v1
	s_cbranch_execz .LBB37_286
; %bb.285:
	v_lshl_add_u32 v9, v1, 4, 0
	s_clause 0x1
	scratch_load_b128 v[1:4], v149, off
	scratch_load_b128 v[5:8], v9, off offset:-16
	s_waitcnt vmcnt(1)
	ds_store_2addr_b64 v0, v[1:2], v[3:4] offset1:1
	s_waitcnt vmcnt(0)
	s_clause 0x1
	scratch_store_b128 v149, v[5:8], off
	scratch_store_b128 v9, v[1:4], off offset:-16
.LBB37_286:
	s_or_b32 exec_lo, exec_lo, s0
	v_dual_mov_b32 v1, s16 :: v_dual_mov_b32 v2, s17
	s_mov_b32 s0, exec_lo
	flat_load_b32 v1, v[1:2] offset:56
	s_waitcnt vmcnt(0) lgkmcnt(0)
	v_cmpx_ne_u32_e32 15, v1
	s_cbranch_execz .LBB37_288
; %bb.287:
	v_lshl_add_u32 v9, v1, 4, 0
	s_clause 0x1
	scratch_load_b128 v[1:4], v148, off
	scratch_load_b128 v[5:8], v9, off offset:-16
	s_waitcnt vmcnt(1)
	ds_store_2addr_b64 v0, v[1:2], v[3:4] offset1:1
	s_waitcnt vmcnt(0)
	s_clause 0x1
	scratch_store_b128 v148, v[5:8], off
	scratch_store_b128 v9, v[1:4], off offset:-16
.LBB37_288:
	s_or_b32 exec_lo, exec_lo, s0
	v_dual_mov_b32 v1, s16 :: v_dual_mov_b32 v2, s17
	s_mov_b32 s0, exec_lo
	flat_load_b32 v1, v[1:2] offset:52
	s_waitcnt vmcnt(0) lgkmcnt(0)
	v_cmpx_ne_u32_e32 14, v1
	s_cbranch_execz .LBB37_290
; %bb.289:
	v_lshl_add_u32 v9, v1, 4, 0
	s_clause 0x1
	scratch_load_b128 v[1:4], v150, off
	scratch_load_b128 v[5:8], v9, off offset:-16
	s_waitcnt vmcnt(1)
	ds_store_2addr_b64 v0, v[1:2], v[3:4] offset1:1
	s_waitcnt vmcnt(0)
	s_clause 0x1
	scratch_store_b128 v150, v[5:8], off
	scratch_store_b128 v9, v[1:4], off offset:-16
.LBB37_290:
	s_or_b32 exec_lo, exec_lo, s0
	v_dual_mov_b32 v1, s16 :: v_dual_mov_b32 v2, s17
	s_mov_b32 s0, exec_lo
	flat_load_b32 v1, v[1:2] offset:48
	s_waitcnt vmcnt(0) lgkmcnt(0)
	v_cmpx_ne_u32_e32 13, v1
	s_cbranch_execz .LBB37_292
; %bb.291:
	v_lshl_add_u32 v9, v1, 4, 0
	s_clause 0x1
	scratch_load_b128 v[1:4], v152, off
	scratch_load_b128 v[5:8], v9, off offset:-16
	s_waitcnt vmcnt(1)
	ds_store_2addr_b64 v0, v[1:2], v[3:4] offset1:1
	s_waitcnt vmcnt(0)
	s_clause 0x1
	scratch_store_b128 v152, v[5:8], off
	scratch_store_b128 v9, v[1:4], off offset:-16
.LBB37_292:
	s_or_b32 exec_lo, exec_lo, s0
	v_dual_mov_b32 v1, s16 :: v_dual_mov_b32 v2, s17
	s_mov_b32 s0, exec_lo
	flat_load_b32 v1, v[1:2] offset:44
	s_waitcnt vmcnt(0) lgkmcnt(0)
	v_cmpx_ne_u32_e32 12, v1
	s_cbranch_execz .LBB37_294
; %bb.293:
	v_lshl_add_u32 v9, v1, 4, 0
	s_clause 0x1
	scratch_load_b128 v[1:4], v154, off
	scratch_load_b128 v[5:8], v9, off offset:-16
	s_waitcnt vmcnt(1)
	ds_store_2addr_b64 v0, v[1:2], v[3:4] offset1:1
	s_waitcnt vmcnt(0)
	s_clause 0x1
	scratch_store_b128 v154, v[5:8], off
	scratch_store_b128 v9, v[1:4], off offset:-16
.LBB37_294:
	s_or_b32 exec_lo, exec_lo, s0
	v_dual_mov_b32 v1, s16 :: v_dual_mov_b32 v2, s17
	s_mov_b32 s0, exec_lo
	flat_load_b32 v1, v[1:2] offset:40
	s_waitcnt vmcnt(0) lgkmcnt(0)
	v_cmpx_ne_u32_e32 11, v1
	s_cbranch_execz .LBB37_296
; %bb.295:
	v_lshl_add_u32 v9, v1, 4, 0
	s_clause 0x1
	scratch_load_b128 v[1:4], v153, off
	scratch_load_b128 v[5:8], v9, off offset:-16
	s_waitcnt vmcnt(1)
	ds_store_2addr_b64 v0, v[1:2], v[3:4] offset1:1
	s_waitcnt vmcnt(0)
	s_clause 0x1
	scratch_store_b128 v153, v[5:8], off
	scratch_store_b128 v9, v[1:4], off offset:-16
.LBB37_296:
	s_or_b32 exec_lo, exec_lo, s0
	v_dual_mov_b32 v1, s16 :: v_dual_mov_b32 v2, s17
	s_mov_b32 s0, exec_lo
	flat_load_b32 v1, v[1:2] offset:36
	s_waitcnt vmcnt(0) lgkmcnt(0)
	v_cmpx_ne_u32_e32 10, v1
	s_cbranch_execz .LBB37_298
; %bb.297:
	v_lshl_add_u32 v9, v1, 4, 0
	s_clause 0x1
	scratch_load_b128 v[1:4], v155, off
	scratch_load_b128 v[5:8], v9, off offset:-16
	s_waitcnt vmcnt(1)
	ds_store_2addr_b64 v0, v[1:2], v[3:4] offset1:1
	s_waitcnt vmcnt(0)
	s_clause 0x1
	scratch_store_b128 v155, v[5:8], off
	scratch_store_b128 v9, v[1:4], off offset:-16
.LBB37_298:
	s_or_b32 exec_lo, exec_lo, s0
	v_dual_mov_b32 v1, s16 :: v_dual_mov_b32 v2, s17
	s_mov_b32 s0, exec_lo
	flat_load_b32 v1, v[1:2] offset:32
	s_waitcnt vmcnt(0) lgkmcnt(0)
	v_cmpx_ne_u32_e32 9, v1
	s_cbranch_execz .LBB37_300
; %bb.299:
	v_lshl_add_u32 v9, v1, 4, 0
	s_clause 0x1
	scratch_load_b128 v[1:4], v156, off
	scratch_load_b128 v[5:8], v9, off offset:-16
	s_waitcnt vmcnt(1)
	ds_store_2addr_b64 v0, v[1:2], v[3:4] offset1:1
	s_waitcnt vmcnt(0)
	s_clause 0x1
	scratch_store_b128 v156, v[5:8], off
	scratch_store_b128 v9, v[1:4], off offset:-16
.LBB37_300:
	s_or_b32 exec_lo, exec_lo, s0
	v_dual_mov_b32 v1, s16 :: v_dual_mov_b32 v2, s17
	s_mov_b32 s0, exec_lo
	flat_load_b32 v1, v[1:2] offset:28
	s_waitcnt vmcnt(0) lgkmcnt(0)
	v_cmpx_ne_u32_e32 8, v1
	s_cbranch_execz .LBB37_302
; %bb.301:
	v_lshl_add_u32 v9, v1, 4, 0
	s_clause 0x1
	scratch_load_b128 v[1:4], v158, off
	scratch_load_b128 v[5:8], v9, off offset:-16
	s_waitcnt vmcnt(1)
	ds_store_2addr_b64 v0, v[1:2], v[3:4] offset1:1
	s_waitcnt vmcnt(0)
	s_clause 0x1
	scratch_store_b128 v158, v[5:8], off
	scratch_store_b128 v9, v[1:4], off offset:-16
.LBB37_302:
	s_or_b32 exec_lo, exec_lo, s0
	v_dual_mov_b32 v1, s16 :: v_dual_mov_b32 v2, s17
	s_mov_b32 s0, exec_lo
	flat_load_b32 v1, v[1:2] offset:24
	s_waitcnt vmcnt(0) lgkmcnt(0)
	v_cmpx_ne_u32_e32 7, v1
	s_cbranch_execz .LBB37_304
; %bb.303:
	v_lshl_add_u32 v9, v1, 4, 0
	s_clause 0x1
	scratch_load_b128 v[1:4], v157, off
	scratch_load_b128 v[5:8], v9, off offset:-16
	s_waitcnt vmcnt(1)
	ds_store_2addr_b64 v0, v[1:2], v[3:4] offset1:1
	s_waitcnt vmcnt(0)
	s_clause 0x1
	scratch_store_b128 v157, v[5:8], off
	scratch_store_b128 v9, v[1:4], off offset:-16
.LBB37_304:
	s_or_b32 exec_lo, exec_lo, s0
	v_dual_mov_b32 v1, s16 :: v_dual_mov_b32 v2, s17
	s_mov_b32 s0, exec_lo
	flat_load_b32 v1, v[1:2] offset:20
	s_waitcnt vmcnt(0) lgkmcnt(0)
	v_cmpx_ne_u32_e32 6, v1
	s_cbranch_execz .LBB37_306
; %bb.305:
	v_lshl_add_u32 v9, v1, 4, 0
	s_clause 0x1
	scratch_load_b128 v[1:4], v159, off
	scratch_load_b128 v[5:8], v9, off offset:-16
	s_waitcnt vmcnt(1)
	ds_store_2addr_b64 v0, v[1:2], v[3:4] offset1:1
	s_waitcnt vmcnt(0)
	s_clause 0x1
	scratch_store_b128 v159, v[5:8], off
	scratch_store_b128 v9, v[1:4], off offset:-16
.LBB37_306:
	s_or_b32 exec_lo, exec_lo, s0
	v_dual_mov_b32 v1, s16 :: v_dual_mov_b32 v2, s17
	s_mov_b32 s0, exec_lo
	flat_load_b32 v1, v[1:2] offset:16
	s_waitcnt vmcnt(0) lgkmcnt(0)
	v_cmpx_ne_u32_e32 5, v1
	s_cbranch_execz .LBB37_308
; %bb.307:
	v_lshl_add_u32 v9, v1, 4, 0
	s_clause 0x1
	scratch_load_b128 v[1:4], v123, off
	scratch_load_b128 v[5:8], v9, off offset:-16
	s_waitcnt vmcnt(1)
	ds_store_2addr_b64 v0, v[1:2], v[3:4] offset1:1
	s_waitcnt vmcnt(0)
	s_clause 0x1
	scratch_store_b128 v123, v[5:8], off
	scratch_store_b128 v9, v[1:4], off offset:-16
.LBB37_308:
	s_or_b32 exec_lo, exec_lo, s0
	v_dual_mov_b32 v1, s16 :: v_dual_mov_b32 v2, s17
	s_mov_b32 s0, exec_lo
	flat_load_b32 v1, v[1:2] offset:12
	s_waitcnt vmcnt(0) lgkmcnt(0)
	v_cmpx_ne_u32_e32 4, v1
	s_cbranch_execz .LBB37_310
; %bb.309:
	v_lshl_add_u32 v9, v1, 4, 0
	s_clause 0x1
	scratch_load_b128 v[1:4], v125, off
	scratch_load_b128 v[5:8], v9, off offset:-16
	s_waitcnt vmcnt(1)
	ds_store_2addr_b64 v0, v[1:2], v[3:4] offset1:1
	s_waitcnt vmcnt(0)
	s_clause 0x1
	scratch_store_b128 v125, v[5:8], off
	scratch_store_b128 v9, v[1:4], off offset:-16
.LBB37_310:
	s_or_b32 exec_lo, exec_lo, s0
	v_dual_mov_b32 v1, s16 :: v_dual_mov_b32 v2, s17
	s_mov_b32 s0, exec_lo
	flat_load_b32 v1, v[1:2] offset:8
	s_waitcnt vmcnt(0) lgkmcnt(0)
	v_cmpx_ne_u32_e32 3, v1
	s_cbranch_execz .LBB37_312
; %bb.311:
	v_lshl_add_u32 v9, v1, 4, 0
	s_clause 0x1
	scratch_load_b128 v[1:4], v124, off
	scratch_load_b128 v[5:8], v9, off offset:-16
	s_waitcnt vmcnt(1)
	ds_store_2addr_b64 v0, v[1:2], v[3:4] offset1:1
	s_waitcnt vmcnt(0)
	s_clause 0x1
	scratch_store_b128 v124, v[5:8], off
	scratch_store_b128 v9, v[1:4], off offset:-16
.LBB37_312:
	s_or_b32 exec_lo, exec_lo, s0
	v_dual_mov_b32 v1, s16 :: v_dual_mov_b32 v2, s17
	s_mov_b32 s0, exec_lo
	flat_load_b32 v1, v[1:2] offset:4
	s_waitcnt vmcnt(0) lgkmcnt(0)
	v_cmpx_ne_u32_e32 2, v1
	s_cbranch_execz .LBB37_314
; %bb.313:
	v_lshl_add_u32 v9, v1, 4, 0
	s_clause 0x1
	scratch_load_b128 v[1:4], v126, off
	scratch_load_b128 v[5:8], v9, off offset:-16
	s_waitcnt vmcnt(1)
	ds_store_2addr_b64 v0, v[1:2], v[3:4] offset1:1
	s_waitcnt vmcnt(0)
	s_clause 0x1
	scratch_store_b128 v126, v[5:8], off
	scratch_store_b128 v9, v[1:4], off offset:-16
.LBB37_314:
	s_or_b32 exec_lo, exec_lo, s0
	v_dual_mov_b32 v1, s16 :: v_dual_mov_b32 v2, s17
	s_mov_b32 s0, exec_lo
	flat_load_b32 v1, v[1:2]
	s_waitcnt vmcnt(0) lgkmcnt(0)
	v_cmpx_ne_u32_e32 1, v1
	s_cbranch_execz .LBB37_316
; %bb.315:
	v_lshl_add_u32 v9, v1, 4, 0
	scratch_load_b128 v[1:4], off, off
	scratch_load_b128 v[5:8], v9, off offset:-16
	s_waitcnt vmcnt(1)
	ds_store_2addr_b64 v0, v[1:2], v[3:4] offset1:1
	s_waitcnt vmcnt(0)
	scratch_store_b128 off, v[5:8], off
	scratch_store_b128 v9, v[1:4], off offset:-16
.LBB37_316:
	s_or_b32 exec_lo, exec_lo, s0
.LBB37_317:
	scratch_load_b128 v[0:3], off, off
	s_clause 0x16
	scratch_load_b128 v[4:7], v126, off
	scratch_load_b128 v[8:11], v124, off
	;; [unrolled: 1-line block ×23, first 2 shown]
	s_waitcnt vmcnt(23)
	global_store_b128 v[46:47], v[0:3], off
	s_clause 0x1
	scratch_load_b128 v[0:3], v134, off
	scratch_load_b128 v[44:47], v132, off
	s_waitcnt vmcnt(24)
	global_store_b128 v[50:51], v[4:7], off
	s_clause 0x1
	scratch_load_b128 v[4:7], v131, off
	scratch_load_b128 v[196:199], v130, off
	;; [unrolled: 5-line block ×7, first 2 shown]
	s_waitcnt vmcnt(30)
	global_store_b128 v[60:61], v[28:31], off
	s_waitcnt vmcnt(29)
	global_store_b128 v[62:63], v[32:35], off
	;; [unrolled: 2-line block ×31, first 2 shown]
	s_endpgm
	.section	.rodata,"a",@progbits
	.p2align	6, 0x0
	.amdhsa_kernel _ZN9rocsolver6v33100L18getri_kernel_smallILi38E19rocblas_complex_numIdEPS3_EEvT1_iilPiilS6_bb
		.amdhsa_group_segment_fixed_size 2248
		.amdhsa_private_segment_fixed_size 624
		.amdhsa_kernarg_size 60
		.amdhsa_user_sgpr_count 15
		.amdhsa_user_sgpr_dispatch_ptr 1
		.amdhsa_user_sgpr_queue_ptr 0
		.amdhsa_user_sgpr_kernarg_segment_ptr 1
		.amdhsa_user_sgpr_dispatch_id 0
		.amdhsa_user_sgpr_private_segment_size 0
		.amdhsa_wavefront_size32 1
		.amdhsa_uses_dynamic_stack 0
		.amdhsa_enable_private_segment 1
		.amdhsa_system_sgpr_workgroup_id_x 1
		.amdhsa_system_sgpr_workgroup_id_y 0
		.amdhsa_system_sgpr_workgroup_id_z 0
		.amdhsa_system_sgpr_workgroup_info 0
		.amdhsa_system_vgpr_workitem_id 2
		.amdhsa_next_free_vgpr 208
		.amdhsa_next_free_sgpr 44
		.amdhsa_reserve_vcc 1
		.amdhsa_float_round_mode_32 0
		.amdhsa_float_round_mode_16_64 0
		.amdhsa_float_denorm_mode_32 3
		.amdhsa_float_denorm_mode_16_64 3
		.amdhsa_dx10_clamp 1
		.amdhsa_ieee_mode 1
		.amdhsa_fp16_overflow 0
		.amdhsa_workgroup_processor_mode 1
		.amdhsa_memory_ordered 1
		.amdhsa_forward_progress 0
		.amdhsa_shared_vgpr_count 0
		.amdhsa_exception_fp_ieee_invalid_op 0
		.amdhsa_exception_fp_denorm_src 0
		.amdhsa_exception_fp_ieee_div_zero 0
		.amdhsa_exception_fp_ieee_overflow 0
		.amdhsa_exception_fp_ieee_underflow 0
		.amdhsa_exception_fp_ieee_inexact 0
		.amdhsa_exception_int_div_zero 0
	.end_amdhsa_kernel
	.section	.text._ZN9rocsolver6v33100L18getri_kernel_smallILi38E19rocblas_complex_numIdEPS3_EEvT1_iilPiilS6_bb,"axG",@progbits,_ZN9rocsolver6v33100L18getri_kernel_smallILi38E19rocblas_complex_numIdEPS3_EEvT1_iilPiilS6_bb,comdat
.Lfunc_end37:
	.size	_ZN9rocsolver6v33100L18getri_kernel_smallILi38E19rocblas_complex_numIdEPS3_EEvT1_iilPiilS6_bb, .Lfunc_end37-_ZN9rocsolver6v33100L18getri_kernel_smallILi38E19rocblas_complex_numIdEPS3_EEvT1_iilPiilS6_bb
                                        ; -- End function
	.section	.AMDGPU.csdata,"",@progbits
; Kernel info:
; codeLenInByte = 71536
; NumSgprs: 46
; NumVgprs: 208
; ScratchSize: 624
; MemoryBound: 0
; FloatMode: 240
; IeeeMode: 1
; LDSByteSize: 2248 bytes/workgroup (compile time only)
; SGPRBlocks: 5
; VGPRBlocks: 25
; NumSGPRsForWavesPerEU: 46
; NumVGPRsForWavesPerEU: 208
; Occupancy: 7
; WaveLimiterHint : 1
; COMPUTE_PGM_RSRC2:SCRATCH_EN: 1
; COMPUTE_PGM_RSRC2:USER_SGPR: 15
; COMPUTE_PGM_RSRC2:TRAP_HANDLER: 0
; COMPUTE_PGM_RSRC2:TGID_X_EN: 1
; COMPUTE_PGM_RSRC2:TGID_Y_EN: 0
; COMPUTE_PGM_RSRC2:TGID_Z_EN: 0
; COMPUTE_PGM_RSRC2:TIDIG_COMP_CNT: 2
	.section	.text._ZN9rocsolver6v33100L18getri_kernel_smallILi39E19rocblas_complex_numIdEPS3_EEvT1_iilPiilS6_bb,"axG",@progbits,_ZN9rocsolver6v33100L18getri_kernel_smallILi39E19rocblas_complex_numIdEPS3_EEvT1_iilPiilS6_bb,comdat
	.globl	_ZN9rocsolver6v33100L18getri_kernel_smallILi39E19rocblas_complex_numIdEPS3_EEvT1_iilPiilS6_bb ; -- Begin function _ZN9rocsolver6v33100L18getri_kernel_smallILi39E19rocblas_complex_numIdEPS3_EEvT1_iilPiilS6_bb
	.p2align	8
	.type	_ZN9rocsolver6v33100L18getri_kernel_smallILi39E19rocblas_complex_numIdEPS3_EEvT1_iilPiilS6_bb,@function
_ZN9rocsolver6v33100L18getri_kernel_smallILi39E19rocblas_complex_numIdEPS3_EEvT1_iilPiilS6_bb: ; @_ZN9rocsolver6v33100L18getri_kernel_smallILi39E19rocblas_complex_numIdEPS3_EEvT1_iilPiilS6_bb
; %bb.0:
	v_and_b32_e32 v124, 0x3ff, v0
	s_mov_b32 s4, exec_lo
	s_delay_alu instid0(VALU_DEP_1)
	v_cmpx_gt_u32_e32 39, v124
	s_cbranch_execz .LBB38_170
; %bb.1:
	s_mov_b32 s18, s15
	s_clause 0x2
	s_load_b32 s21, s[2:3], 0x38
	s_load_b128 s[12:15], s[2:3], 0x10
	s_load_b128 s[4:7], s[2:3], 0x28
                                        ; implicit-def: $sgpr16_sgpr17
	s_waitcnt lgkmcnt(0)
	s_bitcmp1_b32 s21, 8
	s_cselect_b32 s20, -1, 0
	s_bfe_u32 s8, s21, 0x10008
	s_ashr_i32 s19, s18, 31
	s_cmp_eq_u32 s8, 0
	s_cbranch_scc1 .LBB38_3
; %bb.2:
	s_load_b32 s8, s[2:3], 0x20
	s_mul_i32 s5, s18, s5
	s_mul_hi_u32 s9, s18, s4
	s_mul_i32 s10, s19, s4
	s_add_i32 s5, s9, s5
	s_mul_i32 s4, s18, s4
	s_add_i32 s5, s5, s10
	s_delay_alu instid0(SALU_CYCLE_1)
	s_lshl_b64 s[4:5], s[4:5], 2
	s_waitcnt lgkmcnt(0)
	s_ashr_i32 s9, s8, 31
	s_add_u32 s10, s14, s4
	s_addc_u32 s11, s15, s5
	s_lshl_b64 s[4:5], s[8:9], 2
	s_delay_alu instid0(SALU_CYCLE_1)
	s_add_u32 s16, s10, s4
	s_addc_u32 s17, s11, s5
.LBB38_3:
	s_load_b128 s[8:11], s[2:3], 0x0
	s_mul_i32 s2, s18, s13
	s_mul_hi_u32 s3, s18, s12
	s_mul_i32 s4, s19, s12
	s_add_i32 s3, s3, s2
	s_mul_i32 s2, s18, s12
	s_add_i32 s3, s3, s4
	v_lshlrev_b32_e32 v13, 4, v124
	s_lshl_b64 s[2:3], s[2:3], 4
	s_movk_i32 s12, 0xc0
	s_movk_i32 s13, 0xd0
	;; [unrolled: 1-line block ×11, first 2 shown]
	s_waitcnt lgkmcnt(0)
	v_add3_u32 v5, s11, s11, v124
	s_ashr_i32 s5, s10, 31
	s_mov_b32 s4, s10
	s_add_u32 s8, s8, s2
	s_addc_u32 s9, s9, s3
	v_add_nc_u32_e32 v7, s11, v5
	s_lshl_b64 s[2:3], s[4:5], 4
	v_ashrrev_i32_e32 v6, 31, v5
	s_add_u32 s2, s8, s2
	s_addc_u32 s3, s9, s3
	v_add_co_u32 v46, s8, s2, v13
	v_add_nc_u32_e32 v9, s11, v7
	s_mov_b32 s4, s11
	s_ashr_i32 s5, s11, 31
	v_add_co_ci_u32_e64 v47, null, s3, 0, s8
	v_ashrrev_i32_e32 v8, 31, v7
	v_lshlrev_b64 v[5:6], 4, v[5:6]
	s_lshl_b64 s[4:5], s[4:5], 4
	v_ashrrev_i32_e32 v10, 31, v9
	v_add_co_u32 v48, vcc_lo, v46, s4
	v_add_nc_u32_e32 v11, s11, v9
	v_add_co_ci_u32_e32 v49, vcc_lo, s5, v47, vcc_lo
	v_lshlrev_b64 v[7:8], 4, v[7:8]
	v_add_co_u32 v50, vcc_lo, s2, v5
	v_add_co_ci_u32_e32 v51, vcc_lo, s3, v6, vcc_lo
	v_lshlrev_b64 v[5:6], 4, v[9:10]
	v_ashrrev_i32_e32 v12, 31, v11
	v_add_nc_u32_e32 v9, s11, v11
	v_add_co_u32 v52, vcc_lo, s2, v7
	v_add_co_ci_u32_e32 v53, vcc_lo, s3, v8, vcc_lo
	s_delay_alu instid0(VALU_DEP_4) | instskip(NEXT) | instid1(VALU_DEP_4)
	v_lshlrev_b64 v[7:8], 4, v[11:12]
	v_ashrrev_i32_e32 v10, 31, v9
	v_add_nc_u32_e32 v11, s11, v9
	v_add_co_u32 v54, vcc_lo, s2, v5
	v_add_co_ci_u32_e32 v55, vcc_lo, s3, v6, vcc_lo
	s_delay_alu instid0(VALU_DEP_4) | instskip(NEXT) | instid1(VALU_DEP_4)
	;; [unrolled: 6-line block ×3, first 2 shown]
	v_lshlrev_b64 v[7:8], 4, v[11:12]
	v_add_nc_u32_e32 v11, s11, v9
	v_ashrrev_i32_e32 v10, 31, v9
	v_add_co_u32 v58, vcc_lo, s2, v5
	v_add_co_ci_u32_e32 v59, vcc_lo, s3, v6, vcc_lo
	s_delay_alu instid0(VALU_DEP_4) | instskip(SKIP_3) | instid1(VALU_DEP_4)
	v_add_nc_u32_e32 v20, s11, v11
	v_ashrrev_i32_e32 v12, 31, v11
	v_lshlrev_b64 v[18:19], 4, v[9:10]
	v_add_co_u32 v60, vcc_lo, s2, v7
	v_add_nc_u32_e32 v70, s11, v20
	s_delay_alu instid0(VALU_DEP_4)
	v_lshlrev_b64 v[38:39], 4, v[11:12]
	v_ashrrev_i32_e32 v21, 31, v20
	v_add_co_ci_u32_e32 v61, vcc_lo, s3, v8, vcc_lo
	v_add_co_u32 v62, vcc_lo, s2, v18
	v_ashrrev_i32_e32 v71, 31, v70
	v_add_co_ci_u32_e32 v63, vcc_lo, s3, v19, vcc_lo
	v_lshlrev_b64 v[40:41], 4, v[20:21]
	v_add_co_u32 v64, vcc_lo, s2, v38
	v_add_co_ci_u32_e32 v65, vcc_lo, s3, v39, vcc_lo
	v_lshlrev_b64 v[38:39], 4, v[70:71]
	s_delay_alu instid0(VALU_DEP_4)
	v_add_co_u32 v66, vcc_lo, s2, v40
	v_add_co_ci_u32_e32 v67, vcc_lo, s3, v41, vcc_lo
	global_load_b128 v[1:4], v13, s[2:3]
	v_add_co_u32 v68, vcc_lo, s2, v38
	s_clause 0x2
	global_load_b128 v[5:8], v[48:49], off
	global_load_b128 v[9:12], v[50:51], off
	;; [unrolled: 1-line block ×3, first 2 shown]
	v_add_co_ci_u32_e32 v69, vcc_lo, s3, v39, vcc_lo
	s_clause 0x7
	global_load_b128 v[18:21], v[54:55], off
	global_load_b128 v[22:25], v[56:57], off
	;; [unrolled: 1-line block ×8, first 2 shown]
	v_add_nc_u32_e32 v70, s11, v70
	s_movk_i32 s4, 0x60
	s_movk_i32 s5, 0x70
	;; [unrolled: 1-line block ×4, first 2 shown]
	v_add_nc_u32_e32 v72, s11, v70
	v_ashrrev_i32_e32 v71, 31, v70
	s_movk_i32 s10, 0xa0
	s_movk_i32 s29, 0x170
	;; [unrolled: 1-line block ×3, first 2 shown]
	v_add_nc_u32_e32 v74, s11, v72
	v_ashrrev_i32_e32 v73, 31, v72
	v_lshlrev_b64 v[70:71], 4, v[70:71]
	s_movk_i32 s31, 0x190
	s_movk_i32 s33, 0x1a0
	v_add_nc_u32_e32 v76, s11, v74
	v_ashrrev_i32_e32 v75, 31, v74
	v_lshlrev_b64 v[72:73], 4, v[72:73]
	v_add_co_u32 v70, vcc_lo, s2, v70
	s_delay_alu instid0(VALU_DEP_4) | instskip(SKIP_3) | instid1(VALU_DEP_4)
	v_add_nc_u32_e32 v78, s11, v76
	v_ashrrev_i32_e32 v77, 31, v76
	v_lshlrev_b64 v[74:75], 4, v[74:75]
	v_add_co_ci_u32_e32 v71, vcc_lo, s3, v71, vcc_lo
	v_add_nc_u32_e32 v80, s11, v78
	v_ashrrev_i32_e32 v79, 31, v78
	v_add_co_u32 v72, vcc_lo, s2, v72
	v_lshlrev_b64 v[76:77], 4, v[76:77]
	s_delay_alu instid0(VALU_DEP_4) | instskip(SKIP_3) | instid1(VALU_DEP_4)
	v_add_nc_u32_e32 v82, s11, v80
	v_ashrrev_i32_e32 v81, 31, v80
	v_add_co_ci_u32_e32 v73, vcc_lo, s3, v73, vcc_lo
	v_add_co_u32 v74, vcc_lo, s2, v74
	v_add_nc_u32_e32 v84, s11, v82
	v_lshlrev_b64 v[78:79], 4, v[78:79]
	v_ashrrev_i32_e32 v83, 31, v82
	v_add_co_ci_u32_e32 v75, vcc_lo, s3, v75, vcc_lo
	s_delay_alu instid0(VALU_DEP_4) | instskip(SKIP_3) | instid1(VALU_DEP_4)
	v_add_nc_u32_e32 v86, s11, v84
	v_add_co_u32 v76, vcc_lo, s2, v76
	v_lshlrev_b64 v[80:81], 4, v[80:81]
	v_ashrrev_i32_e32 v85, 31, v84
	v_add_nc_u32_e32 v88, s11, v86
	v_add_co_ci_u32_e32 v77, vcc_lo, s3, v77, vcc_lo
	v_add_co_u32 v78, vcc_lo, s2, v78
	s_delay_alu instid0(VALU_DEP_3) | instskip(SKIP_3) | instid1(VALU_DEP_4)
	v_add_nc_u32_e32 v90, s11, v88
	v_lshlrev_b64 v[82:83], 4, v[82:83]
	v_ashrrev_i32_e32 v87, 31, v86
	v_add_co_ci_u32_e32 v79, vcc_lo, s3, v79, vcc_lo
	v_add_nc_u32_e32 v92, s11, v90
	v_add_co_u32 v80, vcc_lo, s2, v80
	v_lshlrev_b64 v[84:85], 4, v[84:85]
	v_ashrrev_i32_e32 v89, 31, v88
	s_delay_alu instid0(VALU_DEP_4) | instskip(SKIP_2) | instid1(VALU_DEP_3)
	v_add_nc_u32_e32 v94, s11, v92
	v_add_co_ci_u32_e32 v81, vcc_lo, s3, v81, vcc_lo
	v_add_co_u32 v82, vcc_lo, s2, v82
	v_add_nc_u32_e32 v96, s11, v94
	v_lshlrev_b64 v[86:87], 4, v[86:87]
	v_ashrrev_i32_e32 v91, 31, v90
	v_add_co_ci_u32_e32 v83, vcc_lo, s3, v83, vcc_lo
	s_delay_alu instid0(VALU_DEP_4) | instskip(SKIP_3) | instid1(VALU_DEP_4)
	v_add_nc_u32_e32 v98, s11, v96
	v_add_co_u32 v84, vcc_lo, s2, v84
	v_lshlrev_b64 v[88:89], 4, v[88:89]
	v_ashrrev_i32_e32 v93, 31, v92
	v_add_nc_u32_e32 v100, s11, v98
	v_add_co_ci_u32_e32 v85, vcc_lo, s3, v85, vcc_lo
	v_add_co_u32 v86, vcc_lo, s2, v86
	s_delay_alu instid0(VALU_DEP_3) | instskip(SKIP_3) | instid1(VALU_DEP_4)
	v_add_nc_u32_e32 v102, s11, v100
	v_lshlrev_b64 v[90:91], 4, v[90:91]
	v_ashrrev_i32_e32 v95, 31, v94
	v_add_co_ci_u32_e32 v87, vcc_lo, s3, v87, vcc_lo
	v_add_nc_u32_e32 v104, s11, v102
	v_add_co_u32 v88, vcc_lo, s2, v88
	v_lshlrev_b64 v[92:93], 4, v[92:93]
	v_ashrrev_i32_e32 v97, 31, v96
	s_delay_alu instid0(VALU_DEP_4) | instskip(SKIP_2) | instid1(VALU_DEP_3)
	v_add_nc_u32_e32 v106, s11, v104
	v_add_co_ci_u32_e32 v89, vcc_lo, s3, v89, vcc_lo
	v_add_co_u32 v90, vcc_lo, s2, v90
	v_add_nc_u32_e32 v108, s11, v106
	v_lshlrev_b64 v[94:95], 4, v[94:95]
	v_ashrrev_i32_e32 v99, 31, v98
	v_add_co_ci_u32_e32 v91, vcc_lo, s3, v91, vcc_lo
	s_delay_alu instid0(VALU_DEP_4)
	v_add_nc_u32_e32 v110, s11, v108
	v_add_co_u32 v92, vcc_lo, s2, v92
	v_lshlrev_b64 v[96:97], 4, v[96:97]
	v_ashrrev_i32_e32 v101, 31, v100
	v_add_co_ci_u32_e32 v93, vcc_lo, s3, v93, vcc_lo
	v_add_co_u32 v94, vcc_lo, s2, v94
	v_lshlrev_b64 v[98:99], 4, v[98:99]
	v_ashrrev_i32_e32 v103, 31, v102
	v_add_nc_u32_e32 v112, s11, v110
	v_add_co_ci_u32_e32 v95, vcc_lo, s3, v95, vcc_lo
	v_add_co_u32 v96, vcc_lo, s2, v96
	v_lshlrev_b64 v[100:101], 4, v[100:101]
	v_ashrrev_i32_e32 v105, 31, v104
	v_add_co_ci_u32_e32 v97, vcc_lo, s3, v97, vcc_lo
	v_add_co_u32 v98, vcc_lo, s2, v98
	v_lshlrev_b64 v[102:103], 4, v[102:103]
	v_add_nc_u32_e32 v114, s11, v112
	v_ashrrev_i32_e32 v107, 31, v106
	v_add_co_ci_u32_e32 v99, vcc_lo, s3, v99, vcc_lo
	v_add_co_u32 v100, vcc_lo, s2, v100
	v_lshlrev_b64 v[104:105], 4, v[104:105]
	v_ashrrev_i32_e32 v109, 31, v108
	v_add_co_ci_u32_e32 v101, vcc_lo, s3, v101, vcc_lo
	v_add_nc_u32_e32 v116, s11, v114
	v_add_co_u32 v102, vcc_lo, s2, v102
	v_lshlrev_b64 v[106:107], 4, v[106:107]
	v_ashrrev_i32_e32 v111, 31, v110
	v_add_co_ci_u32_e32 v103, vcc_lo, s3, v103, vcc_lo
	v_add_co_u32 v104, vcc_lo, s2, v104
	v_lshlrev_b64 v[108:109], 4, v[108:109]
	v_ashrrev_i32_e32 v113, 31, v112
	v_add_nc_u32_e32 v118, s11, v116
	v_add_co_ci_u32_e32 v105, vcc_lo, s3, v105, vcc_lo
	v_add_co_u32 v106, vcc_lo, s2, v106
	v_lshlrev_b64 v[110:111], 4, v[110:111]
	v_ashrrev_i32_e32 v115, 31, v114
	v_add_co_ci_u32_e32 v107, vcc_lo, s3, v107, vcc_lo
	v_add_co_u32 v108, vcc_lo, s2, v108
	v_lshlrev_b64 v[112:113], 4, v[112:113]
	v_add_nc_u32_e32 v120, s11, v118
	v_ashrrev_i32_e32 v117, 31, v116
	v_add_co_ci_u32_e32 v109, vcc_lo, s3, v109, vcc_lo
	v_add_co_u32 v110, vcc_lo, s2, v110
	v_lshlrev_b64 v[114:115], 4, v[114:115]
	v_ashrrev_i32_e32 v119, 31, v118
	v_add_co_ci_u32_e32 v111, vcc_lo, s3, v111, vcc_lo
	v_add_nc_u32_e32 v122, s11, v120
	v_add_co_u32 v112, vcc_lo, s2, v112
	v_lshlrev_b64 v[116:117], 4, v[116:117]
	v_ashrrev_i32_e32 v121, 31, v120
	v_add_co_ci_u32_e32 v113, vcc_lo, s3, v113, vcc_lo
	v_add_co_u32 v114, vcc_lo, s2, v114
	v_lshlrev_b64 v[118:119], 4, v[118:119]
	v_ashrrev_i32_e32 v123, 31, v122
	v_add_co_ci_u32_e32 v115, vcc_lo, s3, v115, vcc_lo
	v_add_co_u32 v116, vcc_lo, s2, v116
	v_lshlrev_b64 v[120:121], 4, v[120:121]
	v_add_co_ci_u32_e32 v117, vcc_lo, s3, v117, vcc_lo
	v_add_co_u32 v118, vcc_lo, s2, v118
	v_lshlrev_b64 v[122:123], 4, v[122:123]
	v_add_co_ci_u32_e32 v119, vcc_lo, s3, v119, vcc_lo
	v_add_co_u32 v120, vcc_lo, s2, v120
	v_add_co_ci_u32_e32 v121, vcc_lo, s3, v121, vcc_lo
	s_delay_alu instid0(VALU_DEP_4)
	v_add_co_u32 v122, vcc_lo, s2, v122
	s_clause 0xe
	global_load_b128 v[129:132], v[70:71], off
	global_load_b128 v[133:136], v[72:73], off
	;; [unrolled: 1-line block ×15, first 2 shown]
	v_add_co_ci_u32_e32 v123, vcc_lo, s3, v123, vcc_lo
	s_movk_i32 s2, 0x50
	s_movk_i32 s11, 0xb0
	;; [unrolled: 1-line block ×14, first 2 shown]
	v_add_nc_u32_e64 v162, s2, 0
	v_add_nc_u32_e64 v161, s4, 0
	;; [unrolled: 1-line block ×18, first 2 shown]
	s_mov_b32 s3, -1
	s_bitcmp0_b32 s21, 0
	s_waitcnt vmcnt(26)
	scratch_store_b128 off, v[1:4], off
	s_waitcnt vmcnt(25)
	scratch_store_b128 off, v[5:8], off offset:16
	s_clause 0x1
	global_load_b128 v[1:4], v[100:101], off
	global_load_b128 v[5:8], v[102:103], off
	s_waitcnt vmcnt(26)
	scratch_store_b128 off, v[9:12], off offset:32
	s_waitcnt vmcnt(25)
	scratch_store_b128 off, v[14:17], off offset:48
	s_clause 0x1
	global_load_b128 v[9:12], v[104:105], off
	global_load_b128 v[14:17], v[106:107], off
	s_waitcnt vmcnt(26)
	scratch_store_b128 off, v[18:21], off offset:64
	;; [unrolled: 7-line block ×5, first 2 shown]
	s_waitcnt vmcnt(25)
	scratch_store_b128 off, v[125:128], off offset:176
	s_clause 0x1
	global_load_b128 v[42:45], v[120:121], off
	global_load_b128 v[207:210], v[122:123], off
	v_add_nc_u32_e64 v128, 0, 16
	v_add_nc_u32_e64 v127, 0, 32
	;; [unrolled: 1-line block ×4, first 2 shown]
	s_waitcnt vmcnt(26)
	scratch_store_b128 off, v[129:132], off offset:192
	s_waitcnt vmcnt(25)
	scratch_store_b128 off, v[133:136], off offset:208
	;; [unrolled: 2-line block ×4, first 2 shown]
	v_add_nc_u32_e64 v144, s24, 0
	v_add_nc_u32_e64 v142, s25, 0
	v_add_nc_u32_e64 v141, s26, 0
	v_add_nc_u32_e64 v140, s27, 0
	v_add_nc_u32_e64 v138, s28, 0
	v_add_nc_u32_e64 v136, s29, 0
	v_add_nc_u32_e64 v134, s30, 0
	v_add_nc_u32_e64 v132, s31, 0
	v_add_nc_u32_e64 v131, s33, 0
	v_add_nc_u32_e64 v143, s39, 0
	v_add_nc_u32_e64 v139, s40, 0
	v_add_nc_u32_e64 v137, s41, 0
	v_add_nc_u32_e64 v135, s42, 0
	v_add_nc_u32_e64 v133, s43, 0
	v_add_nc_u32_e64 v130, s44, 0
	v_add_nc_u32_e64 v129, s45, 0
	s_waitcnt vmcnt(22)
	scratch_store_b128 off, v[163:166], off offset:256
	s_waitcnt vmcnt(21)
	scratch_store_b128 off, v[167:170], off offset:272
	;; [unrolled: 2-line block ×23, first 2 shown]
	s_cbranch_scc1 .LBB38_168
; %bb.4:
	v_cmp_eq_u32_e64 s2, 0, v124
	s_delay_alu instid0(VALU_DEP_1)
	s_and_saveexec_b32 s3, s2
	s_cbranch_execz .LBB38_6
; %bb.5:
	v_mov_b32_e32 v1, 0
	ds_store_b32 v1, v1 offset:1248
.LBB38_6:
	s_or_b32 exec_lo, exec_lo, s3
	s_waitcnt lgkmcnt(0)
	s_waitcnt_vscnt null, 0x0
	s_barrier
	buffer_gl0_inv
	scratch_load_b128 v[1:4], v13, off
	s_waitcnt vmcnt(0)
	v_cmp_eq_f64_e32 vcc_lo, 0, v[1:2]
	v_cmp_eq_f64_e64 s3, 0, v[3:4]
	s_delay_alu instid0(VALU_DEP_1) | instskip(NEXT) | instid1(SALU_CYCLE_1)
	s_and_b32 s3, vcc_lo, s3
	s_and_saveexec_b32 s4, s3
	s_cbranch_execz .LBB38_10
; %bb.7:
	v_mov_b32_e32 v1, 0
	s_mov_b32 s5, 0
	ds_load_b32 v2, v1 offset:1248
	s_waitcnt lgkmcnt(0)
	v_readfirstlane_b32 s3, v2
	v_add_nc_u32_e32 v2, 1, v124
	s_delay_alu instid0(VALU_DEP_2) | instskip(NEXT) | instid1(VALU_DEP_1)
	s_cmp_eq_u32 s3, 0
	v_cmp_gt_i32_e32 vcc_lo, s3, v2
	s_cselect_b32 s8, -1, 0
	s_delay_alu instid0(SALU_CYCLE_1) | instskip(NEXT) | instid1(SALU_CYCLE_1)
	s_or_b32 s8, s8, vcc_lo
	s_and_b32 exec_lo, exec_lo, s8
	s_cbranch_execz .LBB38_10
; %bb.8:
	v_mov_b32_e32 v3, s3
.LBB38_9:                               ; =>This Inner Loop Header: Depth=1
	ds_cmpstore_rtn_b32 v3, v1, v2, v3 offset:1248
	s_waitcnt lgkmcnt(0)
	v_cmp_ne_u32_e32 vcc_lo, 0, v3
	v_cmp_le_i32_e64 s3, v3, v2
	s_delay_alu instid0(VALU_DEP_1) | instskip(NEXT) | instid1(SALU_CYCLE_1)
	s_and_b32 s3, vcc_lo, s3
	s_and_b32 s3, exec_lo, s3
	s_delay_alu instid0(SALU_CYCLE_1) | instskip(NEXT) | instid1(SALU_CYCLE_1)
	s_or_b32 s5, s3, s5
	s_and_not1_b32 exec_lo, exec_lo, s5
	s_cbranch_execnz .LBB38_9
.LBB38_10:
	s_or_b32 exec_lo, exec_lo, s4
	v_mov_b32_e32 v1, 0
	s_barrier
	buffer_gl0_inv
	ds_load_b32 v2, v1 offset:1248
	s_and_saveexec_b32 s3, s2
	s_cbranch_execz .LBB38_12
; %bb.11:
	s_lshl_b64 s[4:5], s[18:19], 2
	s_delay_alu instid0(SALU_CYCLE_1)
	s_add_u32 s4, s6, s4
	s_addc_u32 s5, s7, s5
	s_waitcnt lgkmcnt(0)
	global_store_b32 v1, v2, s[4:5]
.LBB38_12:
	s_or_b32 exec_lo, exec_lo, s3
	s_waitcnt lgkmcnt(0)
	v_cmp_ne_u32_e32 vcc_lo, 0, v2
	s_mov_b32 s3, 0
	s_cbranch_vccnz .LBB38_168
; %bb.13:
	v_add_nc_u32_e32 v14, 0, v13
                                        ; implicit-def: $vgpr9_vgpr10
	scratch_load_b128 v[1:4], v14, off
	s_waitcnt vmcnt(0)
	v_mov_b32_e32 v5, v1
	v_cmp_gt_f64_e32 vcc_lo, 0, v[1:2]
	v_xor_b32_e32 v6, 0x80000000, v2
	v_xor_b32_e32 v7, 0x80000000, v4
	s_delay_alu instid0(VALU_DEP_2) | instskip(SKIP_1) | instid1(VALU_DEP_3)
	v_cndmask_b32_e32 v6, v2, v6, vcc_lo
	v_cmp_gt_f64_e32 vcc_lo, 0, v[3:4]
	v_dual_cndmask_b32 v8, v4, v7 :: v_dual_mov_b32 v7, v3
	s_delay_alu instid0(VALU_DEP_1) | instskip(SKIP_1) | instid1(SALU_CYCLE_1)
	v_cmp_ngt_f64_e32 vcc_lo, v[5:6], v[7:8]
                                        ; implicit-def: $vgpr5_vgpr6
	s_and_saveexec_b32 s3, vcc_lo
	s_xor_b32 s3, exec_lo, s3
	s_cbranch_execz .LBB38_15
; %bb.14:
	v_div_scale_f64 v[5:6], null, v[3:4], v[3:4], v[1:2]
	v_div_scale_f64 v[11:12], vcc_lo, v[1:2], v[3:4], v[1:2]
	s_delay_alu instid0(VALU_DEP_2) | instskip(SKIP_2) | instid1(VALU_DEP_1)
	v_rcp_f64_e32 v[7:8], v[5:6]
	s_waitcnt_depctr 0xfff
	v_fma_f64 v[9:10], -v[5:6], v[7:8], 1.0
	v_fma_f64 v[7:8], v[7:8], v[9:10], v[7:8]
	s_delay_alu instid0(VALU_DEP_1) | instskip(NEXT) | instid1(VALU_DEP_1)
	v_fma_f64 v[9:10], -v[5:6], v[7:8], 1.0
	v_fma_f64 v[7:8], v[7:8], v[9:10], v[7:8]
	s_delay_alu instid0(VALU_DEP_1) | instskip(NEXT) | instid1(VALU_DEP_1)
	v_mul_f64 v[9:10], v[11:12], v[7:8]
	v_fma_f64 v[5:6], -v[5:6], v[9:10], v[11:12]
	s_delay_alu instid0(VALU_DEP_1) | instskip(NEXT) | instid1(VALU_DEP_1)
	v_div_fmas_f64 v[5:6], v[5:6], v[7:8], v[9:10]
	v_div_fixup_f64 v[5:6], v[5:6], v[3:4], v[1:2]
	s_delay_alu instid0(VALU_DEP_1) | instskip(NEXT) | instid1(VALU_DEP_1)
	v_fma_f64 v[1:2], v[1:2], v[5:6], v[3:4]
	v_div_scale_f64 v[3:4], null, v[1:2], v[1:2], 1.0
	v_div_scale_f64 v[11:12], vcc_lo, 1.0, v[1:2], 1.0
	s_delay_alu instid0(VALU_DEP_2) | instskip(SKIP_2) | instid1(VALU_DEP_1)
	v_rcp_f64_e32 v[7:8], v[3:4]
	s_waitcnt_depctr 0xfff
	v_fma_f64 v[9:10], -v[3:4], v[7:8], 1.0
	v_fma_f64 v[7:8], v[7:8], v[9:10], v[7:8]
	s_delay_alu instid0(VALU_DEP_1) | instskip(NEXT) | instid1(VALU_DEP_1)
	v_fma_f64 v[9:10], -v[3:4], v[7:8], 1.0
	v_fma_f64 v[7:8], v[7:8], v[9:10], v[7:8]
	s_delay_alu instid0(VALU_DEP_1) | instskip(NEXT) | instid1(VALU_DEP_1)
	v_mul_f64 v[9:10], v[11:12], v[7:8]
	v_fma_f64 v[3:4], -v[3:4], v[9:10], v[11:12]
	s_delay_alu instid0(VALU_DEP_1) | instskip(NEXT) | instid1(VALU_DEP_1)
	v_div_fmas_f64 v[3:4], v[3:4], v[7:8], v[9:10]
	v_div_fixup_f64 v[7:8], v[3:4], v[1:2], 1.0
                                        ; implicit-def: $vgpr1_vgpr2
	s_delay_alu instid0(VALU_DEP_1) | instskip(SKIP_1) | instid1(VALU_DEP_2)
	v_mul_f64 v[5:6], v[5:6], v[7:8]
	v_xor_b32_e32 v8, 0x80000000, v8
	v_xor_b32_e32 v10, 0x80000000, v6
	s_delay_alu instid0(VALU_DEP_3)
	v_mov_b32_e32 v9, v5
.LBB38_15:
	s_and_not1_saveexec_b32 s3, s3
	s_cbranch_execz .LBB38_17
; %bb.16:
	v_div_scale_f64 v[5:6], null, v[1:2], v[1:2], v[3:4]
	v_div_scale_f64 v[11:12], vcc_lo, v[3:4], v[1:2], v[3:4]
	s_delay_alu instid0(VALU_DEP_2) | instskip(SKIP_2) | instid1(VALU_DEP_1)
	v_rcp_f64_e32 v[7:8], v[5:6]
	s_waitcnt_depctr 0xfff
	v_fma_f64 v[9:10], -v[5:6], v[7:8], 1.0
	v_fma_f64 v[7:8], v[7:8], v[9:10], v[7:8]
	s_delay_alu instid0(VALU_DEP_1) | instskip(NEXT) | instid1(VALU_DEP_1)
	v_fma_f64 v[9:10], -v[5:6], v[7:8], 1.0
	v_fma_f64 v[7:8], v[7:8], v[9:10], v[7:8]
	s_delay_alu instid0(VALU_DEP_1) | instskip(NEXT) | instid1(VALU_DEP_1)
	v_mul_f64 v[9:10], v[11:12], v[7:8]
	v_fma_f64 v[5:6], -v[5:6], v[9:10], v[11:12]
	s_delay_alu instid0(VALU_DEP_1) | instskip(NEXT) | instid1(VALU_DEP_1)
	v_div_fmas_f64 v[5:6], v[5:6], v[7:8], v[9:10]
	v_div_fixup_f64 v[7:8], v[5:6], v[1:2], v[3:4]
	s_delay_alu instid0(VALU_DEP_1) | instskip(NEXT) | instid1(VALU_DEP_1)
	v_fma_f64 v[1:2], v[3:4], v[7:8], v[1:2]
	v_div_scale_f64 v[3:4], null, v[1:2], v[1:2], 1.0
	s_delay_alu instid0(VALU_DEP_1) | instskip(SKIP_2) | instid1(VALU_DEP_1)
	v_rcp_f64_e32 v[5:6], v[3:4]
	s_waitcnt_depctr 0xfff
	v_fma_f64 v[9:10], -v[3:4], v[5:6], 1.0
	v_fma_f64 v[5:6], v[5:6], v[9:10], v[5:6]
	s_delay_alu instid0(VALU_DEP_1) | instskip(NEXT) | instid1(VALU_DEP_1)
	v_fma_f64 v[9:10], -v[3:4], v[5:6], 1.0
	v_fma_f64 v[5:6], v[5:6], v[9:10], v[5:6]
	v_div_scale_f64 v[9:10], vcc_lo, 1.0, v[1:2], 1.0
	s_delay_alu instid0(VALU_DEP_1) | instskip(NEXT) | instid1(VALU_DEP_1)
	v_mul_f64 v[11:12], v[9:10], v[5:6]
	v_fma_f64 v[3:4], -v[3:4], v[11:12], v[9:10]
	s_delay_alu instid0(VALU_DEP_1) | instskip(NEXT) | instid1(VALU_DEP_1)
	v_div_fmas_f64 v[3:4], v[3:4], v[5:6], v[11:12]
	v_div_fixup_f64 v[5:6], v[3:4], v[1:2], 1.0
	s_delay_alu instid0(VALU_DEP_1)
	v_mul_f64 v[7:8], v[7:8], -v[5:6]
	v_xor_b32_e32 v10, 0x80000000, v6
	v_mov_b32_e32 v9, v5
.LBB38_17:
	s_or_b32 exec_lo, exec_lo, s3
	scratch_store_b128 v14, v[5:8], off
	scratch_load_b128 v[1:4], v128, off
	v_xor_b32_e32 v12, 0x80000000, v8
	v_mov_b32_e32 v11, v7
	v_add_nc_u32_e32 v5, 0x270, v13
	ds_store_b128 v13, v[9:12]
	s_waitcnt vmcnt(0)
	ds_store_b128 v13, v[1:4] offset:624
	s_waitcnt lgkmcnt(0)
	s_waitcnt_vscnt null, 0x0
	s_barrier
	buffer_gl0_inv
	s_and_saveexec_b32 s3, s2
	s_cbranch_execz .LBB38_19
; %bb.18:
	scratch_load_b128 v[1:4], v14, off
	ds_load_b128 v[6:9], v5
	v_mov_b32_e32 v10, 0
	ds_load_b128 v[15:18], v10 offset:16
	s_waitcnt vmcnt(0) lgkmcnt(1)
	v_mul_f64 v[10:11], v[6:7], v[3:4]
	v_mul_f64 v[3:4], v[8:9], v[3:4]
	s_delay_alu instid0(VALU_DEP_2) | instskip(NEXT) | instid1(VALU_DEP_2)
	v_fma_f64 v[8:9], v[8:9], v[1:2], v[10:11]
	v_fma_f64 v[1:2], v[6:7], v[1:2], -v[3:4]
	s_delay_alu instid0(VALU_DEP_2) | instskip(NEXT) | instid1(VALU_DEP_2)
	v_add_f64 v[3:4], v[8:9], 0
	v_add_f64 v[1:2], v[1:2], 0
	s_waitcnt lgkmcnt(0)
	s_delay_alu instid0(VALU_DEP_2) | instskip(NEXT) | instid1(VALU_DEP_2)
	v_mul_f64 v[6:7], v[3:4], v[17:18]
	v_mul_f64 v[8:9], v[1:2], v[17:18]
	s_delay_alu instid0(VALU_DEP_2) | instskip(NEXT) | instid1(VALU_DEP_2)
	v_fma_f64 v[1:2], v[1:2], v[15:16], -v[6:7]
	v_fma_f64 v[3:4], v[3:4], v[15:16], v[8:9]
	scratch_store_b128 off, v[1:4], off offset:16
.LBB38_19:
	s_or_b32 exec_lo, exec_lo, s3
	s_waitcnt_vscnt null, 0x0
	s_barrier
	buffer_gl0_inv
	scratch_load_b128 v[1:4], v127, off
	s_mov_b32 s3, exec_lo
	s_waitcnt vmcnt(0)
	ds_store_b128 v5, v[1:4]
	s_waitcnt lgkmcnt(0)
	s_barrier
	buffer_gl0_inv
	v_cmpx_gt_u32_e32 2, v124
	s_cbranch_execz .LBB38_23
; %bb.20:
	scratch_load_b128 v[1:4], v14, off
	ds_load_b128 v[6:9], v5
	s_waitcnt vmcnt(0) lgkmcnt(0)
	v_mul_f64 v[10:11], v[8:9], v[3:4]
	v_mul_f64 v[3:4], v[6:7], v[3:4]
	s_delay_alu instid0(VALU_DEP_2) | instskip(NEXT) | instid1(VALU_DEP_2)
	v_fma_f64 v[6:7], v[6:7], v[1:2], -v[10:11]
	v_fma_f64 v[3:4], v[8:9], v[1:2], v[3:4]
	s_delay_alu instid0(VALU_DEP_2) | instskip(NEXT) | instid1(VALU_DEP_2)
	v_add_f64 v[1:2], v[6:7], 0
	v_add_f64 v[3:4], v[3:4], 0
	s_and_saveexec_b32 s4, s2
	s_cbranch_execz .LBB38_22
; %bb.21:
	scratch_load_b128 v[6:9], off, off offset:16
	v_mov_b32_e32 v10, 0
	ds_load_b128 v[15:18], v10 offset:640
	s_waitcnt vmcnt(0) lgkmcnt(0)
	v_mul_f64 v[10:11], v[15:16], v[8:9]
	v_mul_f64 v[8:9], v[17:18], v[8:9]
	s_delay_alu instid0(VALU_DEP_2) | instskip(NEXT) | instid1(VALU_DEP_2)
	v_fma_f64 v[10:11], v[17:18], v[6:7], v[10:11]
	v_fma_f64 v[6:7], v[15:16], v[6:7], -v[8:9]
	s_delay_alu instid0(VALU_DEP_2) | instskip(NEXT) | instid1(VALU_DEP_2)
	v_add_f64 v[3:4], v[3:4], v[10:11]
	v_add_f64 v[1:2], v[1:2], v[6:7]
.LBB38_22:
	s_or_b32 exec_lo, exec_lo, s4
	v_mov_b32_e32 v6, 0
	ds_load_b128 v[6:9], v6 offset:32
	s_waitcnt lgkmcnt(0)
	v_mul_f64 v[10:11], v[3:4], v[8:9]
	v_mul_f64 v[8:9], v[1:2], v[8:9]
	s_delay_alu instid0(VALU_DEP_2) | instskip(NEXT) | instid1(VALU_DEP_2)
	v_fma_f64 v[1:2], v[1:2], v[6:7], -v[10:11]
	v_fma_f64 v[3:4], v[3:4], v[6:7], v[8:9]
	scratch_store_b128 off, v[1:4], off offset:32
.LBB38_23:
	s_or_b32 exec_lo, exec_lo, s3
	s_waitcnt_vscnt null, 0x0
	s_barrier
	buffer_gl0_inv
	scratch_load_b128 v[1:4], v126, off
	v_add_nc_u32_e32 v6, -1, v124
	s_mov_b32 s2, exec_lo
	s_waitcnt vmcnt(0)
	ds_store_b128 v5, v[1:4]
	s_waitcnt lgkmcnt(0)
	s_barrier
	buffer_gl0_inv
	v_cmpx_gt_u32_e32 3, v124
	s_cbranch_execz .LBB38_27
; %bb.24:
	v_dual_mov_b32 v1, 0 :: v_dual_add_nc_u32 v8, 0x270, v13
	v_dual_mov_b32 v2, 0 :: v_dual_add_nc_u32 v7, -1, v124
	v_or_b32_e32 v9, 8, v14
	s_mov_b32 s3, 0
	s_delay_alu instid0(VALU_DEP_2)
	v_dual_mov_b32 v4, v2 :: v_dual_mov_b32 v3, v1
	.p2align	6
.LBB38_25:                              ; =>This Inner Loop Header: Depth=1
	scratch_load_b128 v[15:18], v9, off offset:-8
	ds_load_b128 v[19:22], v8
	v_add_nc_u32_e32 v7, 1, v7
	v_add_nc_u32_e32 v8, 16, v8
	;; [unrolled: 1-line block ×3, first 2 shown]
	s_delay_alu instid0(VALU_DEP_3) | instskip(SKIP_4) | instid1(VALU_DEP_2)
	v_cmp_lt_u32_e32 vcc_lo, 1, v7
	s_or_b32 s3, vcc_lo, s3
	s_waitcnt vmcnt(0) lgkmcnt(0)
	v_mul_f64 v[10:11], v[21:22], v[17:18]
	v_mul_f64 v[17:18], v[19:20], v[17:18]
	v_fma_f64 v[10:11], v[19:20], v[15:16], -v[10:11]
	s_delay_alu instid0(VALU_DEP_2) | instskip(NEXT) | instid1(VALU_DEP_2)
	v_fma_f64 v[15:16], v[21:22], v[15:16], v[17:18]
	v_add_f64 v[3:4], v[3:4], v[10:11]
	s_delay_alu instid0(VALU_DEP_2)
	v_add_f64 v[1:2], v[1:2], v[15:16]
	s_and_not1_b32 exec_lo, exec_lo, s3
	s_cbranch_execnz .LBB38_25
; %bb.26:
	s_or_b32 exec_lo, exec_lo, s3
	v_mov_b32_e32 v7, 0
	ds_load_b128 v[7:10], v7 offset:48
	s_waitcnt lgkmcnt(0)
	v_mul_f64 v[11:12], v[1:2], v[9:10]
	v_mul_f64 v[15:16], v[3:4], v[9:10]
	s_delay_alu instid0(VALU_DEP_2) | instskip(NEXT) | instid1(VALU_DEP_2)
	v_fma_f64 v[9:10], v[3:4], v[7:8], -v[11:12]
	v_fma_f64 v[11:12], v[1:2], v[7:8], v[15:16]
	scratch_store_b128 off, v[9:12], off offset:48
.LBB38_27:
	s_or_b32 exec_lo, exec_lo, s2
	s_waitcnt_vscnt null, 0x0
	s_barrier
	buffer_gl0_inv
	scratch_load_b128 v[1:4], v125, off
	s_mov_b32 s2, exec_lo
	s_waitcnt vmcnt(0)
	ds_store_b128 v5, v[1:4]
	s_waitcnt lgkmcnt(0)
	s_barrier
	buffer_gl0_inv
	v_cmpx_gt_u32_e32 4, v124
	s_cbranch_execz .LBB38_31
; %bb.28:
	v_dual_mov_b32 v1, 0 :: v_dual_add_nc_u32 v8, 0x270, v13
	v_dual_mov_b32 v2, 0 :: v_dual_add_nc_u32 v7, -1, v124
	v_or_b32_e32 v9, 8, v14
	s_mov_b32 s3, 0
	s_delay_alu instid0(VALU_DEP_2)
	v_dual_mov_b32 v4, v2 :: v_dual_mov_b32 v3, v1
	.p2align	6
.LBB38_29:                              ; =>This Inner Loop Header: Depth=1
	scratch_load_b128 v[15:18], v9, off offset:-8
	ds_load_b128 v[19:22], v8
	v_add_nc_u32_e32 v7, 1, v7
	v_add_nc_u32_e32 v8, 16, v8
	v_add_nc_u32_e32 v9, 16, v9
	s_delay_alu instid0(VALU_DEP_3) | instskip(SKIP_4) | instid1(VALU_DEP_2)
	v_cmp_lt_u32_e32 vcc_lo, 2, v7
	s_or_b32 s3, vcc_lo, s3
	s_waitcnt vmcnt(0) lgkmcnt(0)
	v_mul_f64 v[10:11], v[21:22], v[17:18]
	v_mul_f64 v[17:18], v[19:20], v[17:18]
	v_fma_f64 v[10:11], v[19:20], v[15:16], -v[10:11]
	s_delay_alu instid0(VALU_DEP_2) | instskip(NEXT) | instid1(VALU_DEP_2)
	v_fma_f64 v[15:16], v[21:22], v[15:16], v[17:18]
	v_add_f64 v[3:4], v[3:4], v[10:11]
	s_delay_alu instid0(VALU_DEP_2)
	v_add_f64 v[1:2], v[1:2], v[15:16]
	s_and_not1_b32 exec_lo, exec_lo, s3
	s_cbranch_execnz .LBB38_29
; %bb.30:
	s_or_b32 exec_lo, exec_lo, s3
	v_mov_b32_e32 v7, 0
	ds_load_b128 v[7:10], v7 offset:64
	s_waitcnt lgkmcnt(0)
	v_mul_f64 v[11:12], v[1:2], v[9:10]
	v_mul_f64 v[15:16], v[3:4], v[9:10]
	s_delay_alu instid0(VALU_DEP_2) | instskip(NEXT) | instid1(VALU_DEP_2)
	v_fma_f64 v[9:10], v[3:4], v[7:8], -v[11:12]
	v_fma_f64 v[11:12], v[1:2], v[7:8], v[15:16]
	scratch_store_b128 off, v[9:12], off offset:64
.LBB38_31:
	s_or_b32 exec_lo, exec_lo, s2
	s_waitcnt_vscnt null, 0x0
	s_barrier
	buffer_gl0_inv
	scratch_load_b128 v[1:4], v162, off
	s_mov_b32 s2, exec_lo
	s_waitcnt vmcnt(0)
	ds_store_b128 v5, v[1:4]
	s_waitcnt lgkmcnt(0)
	s_barrier
	buffer_gl0_inv
	v_cmpx_gt_u32_e32 5, v124
	s_cbranch_execz .LBB38_35
; %bb.32:
	v_dual_mov_b32 v1, 0 :: v_dual_add_nc_u32 v8, 0x270, v13
	v_dual_mov_b32 v2, 0 :: v_dual_add_nc_u32 v7, -1, v124
	v_or_b32_e32 v9, 8, v14
	s_mov_b32 s3, 0
	s_delay_alu instid0(VALU_DEP_2)
	v_dual_mov_b32 v4, v2 :: v_dual_mov_b32 v3, v1
	.p2align	6
.LBB38_33:                              ; =>This Inner Loop Header: Depth=1
	scratch_load_b128 v[15:18], v9, off offset:-8
	ds_load_b128 v[19:22], v8
	v_add_nc_u32_e32 v7, 1, v7
	v_add_nc_u32_e32 v8, 16, v8
	;; [unrolled: 1-line block ×3, first 2 shown]
	s_delay_alu instid0(VALU_DEP_3) | instskip(SKIP_4) | instid1(VALU_DEP_2)
	v_cmp_lt_u32_e32 vcc_lo, 3, v7
	s_or_b32 s3, vcc_lo, s3
	s_waitcnt vmcnt(0) lgkmcnt(0)
	v_mul_f64 v[10:11], v[21:22], v[17:18]
	v_mul_f64 v[17:18], v[19:20], v[17:18]
	v_fma_f64 v[10:11], v[19:20], v[15:16], -v[10:11]
	s_delay_alu instid0(VALU_DEP_2) | instskip(NEXT) | instid1(VALU_DEP_2)
	v_fma_f64 v[15:16], v[21:22], v[15:16], v[17:18]
	v_add_f64 v[3:4], v[3:4], v[10:11]
	s_delay_alu instid0(VALU_DEP_2)
	v_add_f64 v[1:2], v[1:2], v[15:16]
	s_and_not1_b32 exec_lo, exec_lo, s3
	s_cbranch_execnz .LBB38_33
; %bb.34:
	s_or_b32 exec_lo, exec_lo, s3
	v_mov_b32_e32 v7, 0
	ds_load_b128 v[7:10], v7 offset:80
	s_waitcnt lgkmcnt(0)
	v_mul_f64 v[11:12], v[1:2], v[9:10]
	v_mul_f64 v[15:16], v[3:4], v[9:10]
	s_delay_alu instid0(VALU_DEP_2) | instskip(NEXT) | instid1(VALU_DEP_2)
	v_fma_f64 v[9:10], v[3:4], v[7:8], -v[11:12]
	v_fma_f64 v[11:12], v[1:2], v[7:8], v[15:16]
	scratch_store_b128 off, v[9:12], off offset:80
.LBB38_35:
	s_or_b32 exec_lo, exec_lo, s2
	s_waitcnt_vscnt null, 0x0
	s_barrier
	buffer_gl0_inv
	scratch_load_b128 v[1:4], v161, off
	s_mov_b32 s2, exec_lo
	s_waitcnt vmcnt(0)
	ds_store_b128 v5, v[1:4]
	s_waitcnt lgkmcnt(0)
	s_barrier
	buffer_gl0_inv
	v_cmpx_gt_u32_e32 6, v124
	s_cbranch_execz .LBB38_39
; %bb.36:
	v_dual_mov_b32 v1, 0 :: v_dual_add_nc_u32 v8, 0x270, v13
	v_dual_mov_b32 v2, 0 :: v_dual_add_nc_u32 v7, -1, v124
	v_or_b32_e32 v9, 8, v14
	s_mov_b32 s3, 0
	s_delay_alu instid0(VALU_DEP_2)
	v_dual_mov_b32 v4, v2 :: v_dual_mov_b32 v3, v1
	.p2align	6
.LBB38_37:                              ; =>This Inner Loop Header: Depth=1
	scratch_load_b128 v[15:18], v9, off offset:-8
	ds_load_b128 v[19:22], v8
	v_add_nc_u32_e32 v7, 1, v7
	v_add_nc_u32_e32 v8, 16, v8
	;; [unrolled: 1-line block ×3, first 2 shown]
	s_delay_alu instid0(VALU_DEP_3) | instskip(SKIP_4) | instid1(VALU_DEP_2)
	v_cmp_lt_u32_e32 vcc_lo, 4, v7
	s_or_b32 s3, vcc_lo, s3
	s_waitcnt vmcnt(0) lgkmcnt(0)
	v_mul_f64 v[10:11], v[21:22], v[17:18]
	v_mul_f64 v[17:18], v[19:20], v[17:18]
	v_fma_f64 v[10:11], v[19:20], v[15:16], -v[10:11]
	s_delay_alu instid0(VALU_DEP_2) | instskip(NEXT) | instid1(VALU_DEP_2)
	v_fma_f64 v[15:16], v[21:22], v[15:16], v[17:18]
	v_add_f64 v[3:4], v[3:4], v[10:11]
	s_delay_alu instid0(VALU_DEP_2)
	v_add_f64 v[1:2], v[1:2], v[15:16]
	s_and_not1_b32 exec_lo, exec_lo, s3
	s_cbranch_execnz .LBB38_37
; %bb.38:
	s_or_b32 exec_lo, exec_lo, s3
	v_mov_b32_e32 v7, 0
	ds_load_b128 v[7:10], v7 offset:96
	s_waitcnt lgkmcnt(0)
	v_mul_f64 v[11:12], v[1:2], v[9:10]
	v_mul_f64 v[15:16], v[3:4], v[9:10]
	s_delay_alu instid0(VALU_DEP_2) | instskip(NEXT) | instid1(VALU_DEP_2)
	v_fma_f64 v[9:10], v[3:4], v[7:8], -v[11:12]
	v_fma_f64 v[11:12], v[1:2], v[7:8], v[15:16]
	scratch_store_b128 off, v[9:12], off offset:96
.LBB38_39:
	s_or_b32 exec_lo, exec_lo, s2
	s_waitcnt_vscnt null, 0x0
	s_barrier
	buffer_gl0_inv
	scratch_load_b128 v[1:4], v159, off
	s_mov_b32 s2, exec_lo
	s_waitcnt vmcnt(0)
	ds_store_b128 v5, v[1:4]
	s_waitcnt lgkmcnt(0)
	s_barrier
	buffer_gl0_inv
	v_cmpx_gt_u32_e32 7, v124
	s_cbranch_execz .LBB38_43
; %bb.40:
	v_dual_mov_b32 v1, 0 :: v_dual_add_nc_u32 v8, 0x270, v13
	v_dual_mov_b32 v2, 0 :: v_dual_add_nc_u32 v7, -1, v124
	v_or_b32_e32 v9, 8, v14
	s_mov_b32 s3, 0
	s_delay_alu instid0(VALU_DEP_2)
	v_dual_mov_b32 v4, v2 :: v_dual_mov_b32 v3, v1
	.p2align	6
.LBB38_41:                              ; =>This Inner Loop Header: Depth=1
	scratch_load_b128 v[15:18], v9, off offset:-8
	ds_load_b128 v[19:22], v8
	v_add_nc_u32_e32 v7, 1, v7
	v_add_nc_u32_e32 v8, 16, v8
	;; [unrolled: 1-line block ×3, first 2 shown]
	s_delay_alu instid0(VALU_DEP_3) | instskip(SKIP_4) | instid1(VALU_DEP_2)
	v_cmp_lt_u32_e32 vcc_lo, 5, v7
	s_or_b32 s3, vcc_lo, s3
	s_waitcnt vmcnt(0) lgkmcnt(0)
	v_mul_f64 v[10:11], v[21:22], v[17:18]
	v_mul_f64 v[17:18], v[19:20], v[17:18]
	v_fma_f64 v[10:11], v[19:20], v[15:16], -v[10:11]
	s_delay_alu instid0(VALU_DEP_2) | instskip(NEXT) | instid1(VALU_DEP_2)
	v_fma_f64 v[15:16], v[21:22], v[15:16], v[17:18]
	v_add_f64 v[3:4], v[3:4], v[10:11]
	s_delay_alu instid0(VALU_DEP_2)
	v_add_f64 v[1:2], v[1:2], v[15:16]
	s_and_not1_b32 exec_lo, exec_lo, s3
	s_cbranch_execnz .LBB38_41
; %bb.42:
	s_or_b32 exec_lo, exec_lo, s3
	v_mov_b32_e32 v7, 0
	ds_load_b128 v[7:10], v7 offset:112
	s_waitcnt lgkmcnt(0)
	v_mul_f64 v[11:12], v[1:2], v[9:10]
	v_mul_f64 v[15:16], v[3:4], v[9:10]
	s_delay_alu instid0(VALU_DEP_2) | instskip(NEXT) | instid1(VALU_DEP_2)
	v_fma_f64 v[9:10], v[3:4], v[7:8], -v[11:12]
	v_fma_f64 v[11:12], v[1:2], v[7:8], v[15:16]
	scratch_store_b128 off, v[9:12], off offset:112
.LBB38_43:
	s_or_b32 exec_lo, exec_lo, s2
	s_waitcnt_vscnt null, 0x0
	s_barrier
	buffer_gl0_inv
	scratch_load_b128 v[1:4], v156, off
	s_mov_b32 s2, exec_lo
	s_waitcnt vmcnt(0)
	ds_store_b128 v5, v[1:4]
	s_waitcnt lgkmcnt(0)
	s_barrier
	buffer_gl0_inv
	v_cmpx_gt_u32_e32 8, v124
	s_cbranch_execz .LBB38_47
; %bb.44:
	v_dual_mov_b32 v1, 0 :: v_dual_add_nc_u32 v8, 0x270, v13
	v_dual_mov_b32 v2, 0 :: v_dual_add_nc_u32 v7, -1, v124
	v_or_b32_e32 v9, 8, v14
	s_mov_b32 s3, 0
	s_delay_alu instid0(VALU_DEP_2)
	v_dual_mov_b32 v4, v2 :: v_dual_mov_b32 v3, v1
	.p2align	6
.LBB38_45:                              ; =>This Inner Loop Header: Depth=1
	scratch_load_b128 v[15:18], v9, off offset:-8
	ds_load_b128 v[19:22], v8
	v_add_nc_u32_e32 v7, 1, v7
	v_add_nc_u32_e32 v8, 16, v8
	;; [unrolled: 1-line block ×3, first 2 shown]
	s_delay_alu instid0(VALU_DEP_3) | instskip(SKIP_4) | instid1(VALU_DEP_2)
	v_cmp_lt_u32_e32 vcc_lo, 6, v7
	s_or_b32 s3, vcc_lo, s3
	s_waitcnt vmcnt(0) lgkmcnt(0)
	v_mul_f64 v[10:11], v[21:22], v[17:18]
	v_mul_f64 v[17:18], v[19:20], v[17:18]
	v_fma_f64 v[10:11], v[19:20], v[15:16], -v[10:11]
	s_delay_alu instid0(VALU_DEP_2) | instskip(NEXT) | instid1(VALU_DEP_2)
	v_fma_f64 v[15:16], v[21:22], v[15:16], v[17:18]
	v_add_f64 v[3:4], v[3:4], v[10:11]
	s_delay_alu instid0(VALU_DEP_2)
	v_add_f64 v[1:2], v[1:2], v[15:16]
	s_and_not1_b32 exec_lo, exec_lo, s3
	s_cbranch_execnz .LBB38_45
; %bb.46:
	s_or_b32 exec_lo, exec_lo, s3
	v_mov_b32_e32 v7, 0
	ds_load_b128 v[7:10], v7 offset:128
	s_waitcnt lgkmcnt(0)
	v_mul_f64 v[11:12], v[1:2], v[9:10]
	v_mul_f64 v[15:16], v[3:4], v[9:10]
	s_delay_alu instid0(VALU_DEP_2) | instskip(NEXT) | instid1(VALU_DEP_2)
	v_fma_f64 v[9:10], v[3:4], v[7:8], -v[11:12]
	v_fma_f64 v[11:12], v[1:2], v[7:8], v[15:16]
	scratch_store_b128 off, v[9:12], off offset:128
.LBB38_47:
	s_or_b32 exec_lo, exec_lo, s2
	s_waitcnt_vscnt null, 0x0
	s_barrier
	buffer_gl0_inv
	scratch_load_b128 v[1:4], v158, off
	s_mov_b32 s2, exec_lo
	s_waitcnt vmcnt(0)
	ds_store_b128 v5, v[1:4]
	s_waitcnt lgkmcnt(0)
	s_barrier
	buffer_gl0_inv
	v_cmpx_gt_u32_e32 9, v124
	s_cbranch_execz .LBB38_51
; %bb.48:
	v_dual_mov_b32 v1, 0 :: v_dual_add_nc_u32 v8, 0x270, v13
	v_dual_mov_b32 v2, 0 :: v_dual_add_nc_u32 v7, -1, v124
	v_or_b32_e32 v9, 8, v14
	s_mov_b32 s3, 0
	s_delay_alu instid0(VALU_DEP_2)
	v_dual_mov_b32 v4, v2 :: v_dual_mov_b32 v3, v1
	.p2align	6
.LBB38_49:                              ; =>This Inner Loop Header: Depth=1
	scratch_load_b128 v[15:18], v9, off offset:-8
	ds_load_b128 v[19:22], v8
	v_add_nc_u32_e32 v7, 1, v7
	v_add_nc_u32_e32 v8, 16, v8
	;; [unrolled: 1-line block ×3, first 2 shown]
	s_delay_alu instid0(VALU_DEP_3) | instskip(SKIP_4) | instid1(VALU_DEP_2)
	v_cmp_lt_u32_e32 vcc_lo, 7, v7
	s_or_b32 s3, vcc_lo, s3
	s_waitcnt vmcnt(0) lgkmcnt(0)
	v_mul_f64 v[10:11], v[21:22], v[17:18]
	v_mul_f64 v[17:18], v[19:20], v[17:18]
	v_fma_f64 v[10:11], v[19:20], v[15:16], -v[10:11]
	s_delay_alu instid0(VALU_DEP_2) | instskip(NEXT) | instid1(VALU_DEP_2)
	v_fma_f64 v[15:16], v[21:22], v[15:16], v[17:18]
	v_add_f64 v[3:4], v[3:4], v[10:11]
	s_delay_alu instid0(VALU_DEP_2)
	v_add_f64 v[1:2], v[1:2], v[15:16]
	s_and_not1_b32 exec_lo, exec_lo, s3
	s_cbranch_execnz .LBB38_49
; %bb.50:
	s_or_b32 exec_lo, exec_lo, s3
	v_mov_b32_e32 v7, 0
	ds_load_b128 v[7:10], v7 offset:144
	s_waitcnt lgkmcnt(0)
	v_mul_f64 v[11:12], v[1:2], v[9:10]
	v_mul_f64 v[15:16], v[3:4], v[9:10]
	s_delay_alu instid0(VALU_DEP_2) | instskip(NEXT) | instid1(VALU_DEP_2)
	v_fma_f64 v[9:10], v[3:4], v[7:8], -v[11:12]
	v_fma_f64 v[11:12], v[1:2], v[7:8], v[15:16]
	scratch_store_b128 off, v[9:12], off offset:144
.LBB38_51:
	s_or_b32 exec_lo, exec_lo, s2
	s_waitcnt_vscnt null, 0x0
	s_barrier
	buffer_gl0_inv
	scratch_load_b128 v[1:4], v155, off
	s_mov_b32 s2, exec_lo
	s_waitcnt vmcnt(0)
	ds_store_b128 v5, v[1:4]
	s_waitcnt lgkmcnt(0)
	s_barrier
	buffer_gl0_inv
	v_cmpx_gt_u32_e32 10, v124
	s_cbranch_execz .LBB38_55
; %bb.52:
	v_dual_mov_b32 v1, 0 :: v_dual_add_nc_u32 v8, 0x270, v13
	v_dual_mov_b32 v2, 0 :: v_dual_add_nc_u32 v7, -1, v124
	v_or_b32_e32 v9, 8, v14
	s_mov_b32 s3, 0
	s_delay_alu instid0(VALU_DEP_2)
	v_dual_mov_b32 v4, v2 :: v_dual_mov_b32 v3, v1
	.p2align	6
.LBB38_53:                              ; =>This Inner Loop Header: Depth=1
	scratch_load_b128 v[15:18], v9, off offset:-8
	ds_load_b128 v[19:22], v8
	v_add_nc_u32_e32 v7, 1, v7
	v_add_nc_u32_e32 v8, 16, v8
	;; [unrolled: 1-line block ×3, first 2 shown]
	s_delay_alu instid0(VALU_DEP_3) | instskip(SKIP_4) | instid1(VALU_DEP_2)
	v_cmp_lt_u32_e32 vcc_lo, 8, v7
	s_or_b32 s3, vcc_lo, s3
	s_waitcnt vmcnt(0) lgkmcnt(0)
	v_mul_f64 v[10:11], v[21:22], v[17:18]
	v_mul_f64 v[17:18], v[19:20], v[17:18]
	v_fma_f64 v[10:11], v[19:20], v[15:16], -v[10:11]
	s_delay_alu instid0(VALU_DEP_2) | instskip(NEXT) | instid1(VALU_DEP_2)
	v_fma_f64 v[15:16], v[21:22], v[15:16], v[17:18]
	v_add_f64 v[3:4], v[3:4], v[10:11]
	s_delay_alu instid0(VALU_DEP_2)
	v_add_f64 v[1:2], v[1:2], v[15:16]
	s_and_not1_b32 exec_lo, exec_lo, s3
	s_cbranch_execnz .LBB38_53
; %bb.54:
	s_or_b32 exec_lo, exec_lo, s3
	v_mov_b32_e32 v7, 0
	ds_load_b128 v[7:10], v7 offset:160
	s_waitcnt lgkmcnt(0)
	v_mul_f64 v[11:12], v[1:2], v[9:10]
	v_mul_f64 v[15:16], v[3:4], v[9:10]
	s_delay_alu instid0(VALU_DEP_2) | instskip(NEXT) | instid1(VALU_DEP_2)
	v_fma_f64 v[9:10], v[3:4], v[7:8], -v[11:12]
	v_fma_f64 v[11:12], v[1:2], v[7:8], v[15:16]
	scratch_store_b128 off, v[9:12], off offset:160
.LBB38_55:
	s_or_b32 exec_lo, exec_lo, s2
	s_waitcnt_vscnt null, 0x0
	s_barrier
	buffer_gl0_inv
	scratch_load_b128 v[1:4], v154, off
	s_mov_b32 s2, exec_lo
	s_waitcnt vmcnt(0)
	ds_store_b128 v5, v[1:4]
	s_waitcnt lgkmcnt(0)
	s_barrier
	buffer_gl0_inv
	v_cmpx_gt_u32_e32 11, v124
	s_cbranch_execz .LBB38_59
; %bb.56:
	v_dual_mov_b32 v1, 0 :: v_dual_add_nc_u32 v8, 0x270, v13
	v_dual_mov_b32 v2, 0 :: v_dual_add_nc_u32 v7, -1, v124
	v_or_b32_e32 v9, 8, v14
	s_mov_b32 s3, 0
	s_delay_alu instid0(VALU_DEP_2)
	v_dual_mov_b32 v4, v2 :: v_dual_mov_b32 v3, v1
	.p2align	6
.LBB38_57:                              ; =>This Inner Loop Header: Depth=1
	scratch_load_b128 v[15:18], v9, off offset:-8
	ds_load_b128 v[19:22], v8
	v_add_nc_u32_e32 v7, 1, v7
	v_add_nc_u32_e32 v8, 16, v8
	;; [unrolled: 1-line block ×3, first 2 shown]
	s_delay_alu instid0(VALU_DEP_3) | instskip(SKIP_4) | instid1(VALU_DEP_2)
	v_cmp_lt_u32_e32 vcc_lo, 9, v7
	s_or_b32 s3, vcc_lo, s3
	s_waitcnt vmcnt(0) lgkmcnt(0)
	v_mul_f64 v[10:11], v[21:22], v[17:18]
	v_mul_f64 v[17:18], v[19:20], v[17:18]
	v_fma_f64 v[10:11], v[19:20], v[15:16], -v[10:11]
	s_delay_alu instid0(VALU_DEP_2) | instskip(NEXT) | instid1(VALU_DEP_2)
	v_fma_f64 v[15:16], v[21:22], v[15:16], v[17:18]
	v_add_f64 v[3:4], v[3:4], v[10:11]
	s_delay_alu instid0(VALU_DEP_2)
	v_add_f64 v[1:2], v[1:2], v[15:16]
	s_and_not1_b32 exec_lo, exec_lo, s3
	s_cbranch_execnz .LBB38_57
; %bb.58:
	s_or_b32 exec_lo, exec_lo, s3
	v_mov_b32_e32 v7, 0
	ds_load_b128 v[7:10], v7 offset:176
	s_waitcnt lgkmcnt(0)
	v_mul_f64 v[11:12], v[1:2], v[9:10]
	v_mul_f64 v[15:16], v[3:4], v[9:10]
	s_delay_alu instid0(VALU_DEP_2) | instskip(NEXT) | instid1(VALU_DEP_2)
	v_fma_f64 v[9:10], v[3:4], v[7:8], -v[11:12]
	v_fma_f64 v[11:12], v[1:2], v[7:8], v[15:16]
	scratch_store_b128 off, v[9:12], off offset:176
.LBB38_59:
	s_or_b32 exec_lo, exec_lo, s2
	s_waitcnt_vscnt null, 0x0
	s_barrier
	buffer_gl0_inv
	scratch_load_b128 v[1:4], v151, off
	s_mov_b32 s2, exec_lo
	s_waitcnt vmcnt(0)
	ds_store_b128 v5, v[1:4]
	s_waitcnt lgkmcnt(0)
	s_barrier
	buffer_gl0_inv
	v_cmpx_gt_u32_e32 12, v124
	s_cbranch_execz .LBB38_63
; %bb.60:
	v_dual_mov_b32 v1, 0 :: v_dual_add_nc_u32 v8, 0x270, v13
	v_dual_mov_b32 v2, 0 :: v_dual_add_nc_u32 v7, -1, v124
	v_or_b32_e32 v9, 8, v14
	s_mov_b32 s3, 0
	s_delay_alu instid0(VALU_DEP_2)
	v_dual_mov_b32 v4, v2 :: v_dual_mov_b32 v3, v1
	.p2align	6
.LBB38_61:                              ; =>This Inner Loop Header: Depth=1
	scratch_load_b128 v[15:18], v9, off offset:-8
	ds_load_b128 v[19:22], v8
	v_add_nc_u32_e32 v7, 1, v7
	v_add_nc_u32_e32 v8, 16, v8
	;; [unrolled: 1-line block ×3, first 2 shown]
	s_delay_alu instid0(VALU_DEP_3) | instskip(SKIP_4) | instid1(VALU_DEP_2)
	v_cmp_lt_u32_e32 vcc_lo, 10, v7
	s_or_b32 s3, vcc_lo, s3
	s_waitcnt vmcnt(0) lgkmcnt(0)
	v_mul_f64 v[10:11], v[21:22], v[17:18]
	v_mul_f64 v[17:18], v[19:20], v[17:18]
	v_fma_f64 v[10:11], v[19:20], v[15:16], -v[10:11]
	s_delay_alu instid0(VALU_DEP_2) | instskip(NEXT) | instid1(VALU_DEP_2)
	v_fma_f64 v[15:16], v[21:22], v[15:16], v[17:18]
	v_add_f64 v[3:4], v[3:4], v[10:11]
	s_delay_alu instid0(VALU_DEP_2)
	v_add_f64 v[1:2], v[1:2], v[15:16]
	s_and_not1_b32 exec_lo, exec_lo, s3
	s_cbranch_execnz .LBB38_61
; %bb.62:
	s_or_b32 exec_lo, exec_lo, s3
	v_mov_b32_e32 v7, 0
	ds_load_b128 v[7:10], v7 offset:192
	s_waitcnt lgkmcnt(0)
	v_mul_f64 v[11:12], v[1:2], v[9:10]
	v_mul_f64 v[15:16], v[3:4], v[9:10]
	s_delay_alu instid0(VALU_DEP_2) | instskip(NEXT) | instid1(VALU_DEP_2)
	v_fma_f64 v[9:10], v[3:4], v[7:8], -v[11:12]
	v_fma_f64 v[11:12], v[1:2], v[7:8], v[15:16]
	scratch_store_b128 off, v[9:12], off offset:192
.LBB38_63:
	s_or_b32 exec_lo, exec_lo, s2
	s_waitcnt_vscnt null, 0x0
	s_barrier
	buffer_gl0_inv
	scratch_load_b128 v[1:4], v153, off
	s_mov_b32 s2, exec_lo
	s_waitcnt vmcnt(0)
	ds_store_b128 v5, v[1:4]
	s_waitcnt lgkmcnt(0)
	s_barrier
	buffer_gl0_inv
	v_cmpx_gt_u32_e32 13, v124
	s_cbranch_execz .LBB38_67
; %bb.64:
	v_dual_mov_b32 v1, 0 :: v_dual_add_nc_u32 v8, 0x270, v13
	v_dual_mov_b32 v2, 0 :: v_dual_add_nc_u32 v7, -1, v124
	v_or_b32_e32 v9, 8, v14
	s_mov_b32 s3, 0
	s_delay_alu instid0(VALU_DEP_2)
	v_dual_mov_b32 v4, v2 :: v_dual_mov_b32 v3, v1
	.p2align	6
.LBB38_65:                              ; =>This Inner Loop Header: Depth=1
	scratch_load_b128 v[15:18], v9, off offset:-8
	ds_load_b128 v[19:22], v8
	v_add_nc_u32_e32 v7, 1, v7
	v_add_nc_u32_e32 v8, 16, v8
	;; [unrolled: 1-line block ×3, first 2 shown]
	s_delay_alu instid0(VALU_DEP_3) | instskip(SKIP_4) | instid1(VALU_DEP_2)
	v_cmp_lt_u32_e32 vcc_lo, 11, v7
	s_or_b32 s3, vcc_lo, s3
	s_waitcnt vmcnt(0) lgkmcnt(0)
	v_mul_f64 v[10:11], v[21:22], v[17:18]
	v_mul_f64 v[17:18], v[19:20], v[17:18]
	v_fma_f64 v[10:11], v[19:20], v[15:16], -v[10:11]
	s_delay_alu instid0(VALU_DEP_2) | instskip(NEXT) | instid1(VALU_DEP_2)
	v_fma_f64 v[15:16], v[21:22], v[15:16], v[17:18]
	v_add_f64 v[3:4], v[3:4], v[10:11]
	s_delay_alu instid0(VALU_DEP_2)
	v_add_f64 v[1:2], v[1:2], v[15:16]
	s_and_not1_b32 exec_lo, exec_lo, s3
	s_cbranch_execnz .LBB38_65
; %bb.66:
	s_or_b32 exec_lo, exec_lo, s3
	v_mov_b32_e32 v7, 0
	ds_load_b128 v[7:10], v7 offset:208
	s_waitcnt lgkmcnt(0)
	v_mul_f64 v[11:12], v[1:2], v[9:10]
	v_mul_f64 v[15:16], v[3:4], v[9:10]
	s_delay_alu instid0(VALU_DEP_2) | instskip(NEXT) | instid1(VALU_DEP_2)
	v_fma_f64 v[9:10], v[3:4], v[7:8], -v[11:12]
	v_fma_f64 v[11:12], v[1:2], v[7:8], v[15:16]
	scratch_store_b128 off, v[9:12], off offset:208
.LBB38_67:
	s_or_b32 exec_lo, exec_lo, s2
	s_waitcnt_vscnt null, 0x0
	s_barrier
	buffer_gl0_inv
	scratch_load_b128 v[1:4], v150, off
	s_mov_b32 s2, exec_lo
	s_waitcnt vmcnt(0)
	ds_store_b128 v5, v[1:4]
	s_waitcnt lgkmcnt(0)
	s_barrier
	buffer_gl0_inv
	v_cmpx_gt_u32_e32 14, v124
	s_cbranch_execz .LBB38_71
; %bb.68:
	v_dual_mov_b32 v1, 0 :: v_dual_add_nc_u32 v8, 0x270, v13
	v_dual_mov_b32 v2, 0 :: v_dual_add_nc_u32 v7, -1, v124
	v_or_b32_e32 v9, 8, v14
	s_mov_b32 s3, 0
	s_delay_alu instid0(VALU_DEP_2)
	v_dual_mov_b32 v4, v2 :: v_dual_mov_b32 v3, v1
	.p2align	6
.LBB38_69:                              ; =>This Inner Loop Header: Depth=1
	scratch_load_b128 v[15:18], v9, off offset:-8
	ds_load_b128 v[19:22], v8
	v_add_nc_u32_e32 v7, 1, v7
	v_add_nc_u32_e32 v8, 16, v8
	;; [unrolled: 1-line block ×3, first 2 shown]
	s_delay_alu instid0(VALU_DEP_3) | instskip(SKIP_4) | instid1(VALU_DEP_2)
	v_cmp_lt_u32_e32 vcc_lo, 12, v7
	s_or_b32 s3, vcc_lo, s3
	s_waitcnt vmcnt(0) lgkmcnt(0)
	v_mul_f64 v[10:11], v[21:22], v[17:18]
	v_mul_f64 v[17:18], v[19:20], v[17:18]
	v_fma_f64 v[10:11], v[19:20], v[15:16], -v[10:11]
	s_delay_alu instid0(VALU_DEP_2) | instskip(NEXT) | instid1(VALU_DEP_2)
	v_fma_f64 v[15:16], v[21:22], v[15:16], v[17:18]
	v_add_f64 v[3:4], v[3:4], v[10:11]
	s_delay_alu instid0(VALU_DEP_2)
	v_add_f64 v[1:2], v[1:2], v[15:16]
	s_and_not1_b32 exec_lo, exec_lo, s3
	s_cbranch_execnz .LBB38_69
; %bb.70:
	s_or_b32 exec_lo, exec_lo, s3
	v_mov_b32_e32 v7, 0
	ds_load_b128 v[7:10], v7 offset:224
	s_waitcnt lgkmcnt(0)
	v_mul_f64 v[11:12], v[1:2], v[9:10]
	v_mul_f64 v[15:16], v[3:4], v[9:10]
	s_delay_alu instid0(VALU_DEP_2) | instskip(NEXT) | instid1(VALU_DEP_2)
	v_fma_f64 v[9:10], v[3:4], v[7:8], -v[11:12]
	v_fma_f64 v[11:12], v[1:2], v[7:8], v[15:16]
	scratch_store_b128 off, v[9:12], off offset:224
.LBB38_71:
	s_or_b32 exec_lo, exec_lo, s2
	s_waitcnt_vscnt null, 0x0
	s_barrier
	buffer_gl0_inv
	scratch_load_b128 v[1:4], v148, off
	s_mov_b32 s2, exec_lo
	s_waitcnt vmcnt(0)
	ds_store_b128 v5, v[1:4]
	s_waitcnt lgkmcnt(0)
	s_barrier
	buffer_gl0_inv
	v_cmpx_gt_u32_e32 15, v124
	s_cbranch_execz .LBB38_75
; %bb.72:
	v_dual_mov_b32 v1, 0 :: v_dual_add_nc_u32 v8, 0x270, v13
	v_dual_mov_b32 v2, 0 :: v_dual_add_nc_u32 v7, -1, v124
	v_or_b32_e32 v9, 8, v14
	s_mov_b32 s3, 0
	s_delay_alu instid0(VALU_DEP_2)
	v_dual_mov_b32 v4, v2 :: v_dual_mov_b32 v3, v1
	.p2align	6
.LBB38_73:                              ; =>This Inner Loop Header: Depth=1
	scratch_load_b128 v[15:18], v9, off offset:-8
	ds_load_b128 v[19:22], v8
	v_add_nc_u32_e32 v7, 1, v7
	v_add_nc_u32_e32 v8, 16, v8
	;; [unrolled: 1-line block ×3, first 2 shown]
	s_delay_alu instid0(VALU_DEP_3) | instskip(SKIP_4) | instid1(VALU_DEP_2)
	v_cmp_lt_u32_e32 vcc_lo, 13, v7
	s_or_b32 s3, vcc_lo, s3
	s_waitcnt vmcnt(0) lgkmcnt(0)
	v_mul_f64 v[10:11], v[21:22], v[17:18]
	v_mul_f64 v[17:18], v[19:20], v[17:18]
	v_fma_f64 v[10:11], v[19:20], v[15:16], -v[10:11]
	s_delay_alu instid0(VALU_DEP_2) | instskip(NEXT) | instid1(VALU_DEP_2)
	v_fma_f64 v[15:16], v[21:22], v[15:16], v[17:18]
	v_add_f64 v[3:4], v[3:4], v[10:11]
	s_delay_alu instid0(VALU_DEP_2)
	v_add_f64 v[1:2], v[1:2], v[15:16]
	s_and_not1_b32 exec_lo, exec_lo, s3
	s_cbranch_execnz .LBB38_73
; %bb.74:
	s_or_b32 exec_lo, exec_lo, s3
	v_mov_b32_e32 v7, 0
	ds_load_b128 v[7:10], v7 offset:240
	s_waitcnt lgkmcnt(0)
	v_mul_f64 v[11:12], v[1:2], v[9:10]
	v_mul_f64 v[15:16], v[3:4], v[9:10]
	s_delay_alu instid0(VALU_DEP_2) | instskip(NEXT) | instid1(VALU_DEP_2)
	v_fma_f64 v[9:10], v[3:4], v[7:8], -v[11:12]
	v_fma_f64 v[11:12], v[1:2], v[7:8], v[15:16]
	scratch_store_b128 off, v[9:12], off offset:240
.LBB38_75:
	s_or_b32 exec_lo, exec_lo, s2
	s_waitcnt_vscnt null, 0x0
	s_barrier
	buffer_gl0_inv
	scratch_load_b128 v[1:4], v147, off
	s_mov_b32 s2, exec_lo
	s_waitcnt vmcnt(0)
	ds_store_b128 v5, v[1:4]
	s_waitcnt lgkmcnt(0)
	s_barrier
	buffer_gl0_inv
	v_cmpx_gt_u32_e32 16, v124
	s_cbranch_execz .LBB38_79
; %bb.76:
	v_dual_mov_b32 v1, 0 :: v_dual_add_nc_u32 v8, 0x270, v13
	v_dual_mov_b32 v2, 0 :: v_dual_add_nc_u32 v7, -1, v124
	v_or_b32_e32 v9, 8, v14
	s_mov_b32 s3, 0
	s_delay_alu instid0(VALU_DEP_2)
	v_dual_mov_b32 v4, v2 :: v_dual_mov_b32 v3, v1
	.p2align	6
.LBB38_77:                              ; =>This Inner Loop Header: Depth=1
	scratch_load_b128 v[15:18], v9, off offset:-8
	ds_load_b128 v[19:22], v8
	v_add_nc_u32_e32 v7, 1, v7
	v_add_nc_u32_e32 v8, 16, v8
	;; [unrolled: 1-line block ×3, first 2 shown]
	s_delay_alu instid0(VALU_DEP_3) | instskip(SKIP_4) | instid1(VALU_DEP_2)
	v_cmp_lt_u32_e32 vcc_lo, 14, v7
	s_or_b32 s3, vcc_lo, s3
	s_waitcnt vmcnt(0) lgkmcnt(0)
	v_mul_f64 v[10:11], v[21:22], v[17:18]
	v_mul_f64 v[17:18], v[19:20], v[17:18]
	v_fma_f64 v[10:11], v[19:20], v[15:16], -v[10:11]
	s_delay_alu instid0(VALU_DEP_2) | instskip(NEXT) | instid1(VALU_DEP_2)
	v_fma_f64 v[15:16], v[21:22], v[15:16], v[17:18]
	v_add_f64 v[3:4], v[3:4], v[10:11]
	s_delay_alu instid0(VALU_DEP_2)
	v_add_f64 v[1:2], v[1:2], v[15:16]
	s_and_not1_b32 exec_lo, exec_lo, s3
	s_cbranch_execnz .LBB38_77
; %bb.78:
	s_or_b32 exec_lo, exec_lo, s3
	v_mov_b32_e32 v7, 0
	ds_load_b128 v[7:10], v7 offset:256
	s_waitcnt lgkmcnt(0)
	v_mul_f64 v[11:12], v[1:2], v[9:10]
	v_mul_f64 v[15:16], v[3:4], v[9:10]
	s_delay_alu instid0(VALU_DEP_2) | instskip(NEXT) | instid1(VALU_DEP_2)
	v_fma_f64 v[9:10], v[3:4], v[7:8], -v[11:12]
	v_fma_f64 v[11:12], v[1:2], v[7:8], v[15:16]
	scratch_store_b128 off, v[9:12], off offset:256
.LBB38_79:
	s_or_b32 exec_lo, exec_lo, s2
	s_waitcnt_vscnt null, 0x0
	s_barrier
	buffer_gl0_inv
	scratch_load_b128 v[1:4], v146, off
	s_mov_b32 s2, exec_lo
	s_waitcnt vmcnt(0)
	ds_store_b128 v5, v[1:4]
	s_waitcnt lgkmcnt(0)
	s_barrier
	buffer_gl0_inv
	v_cmpx_gt_u32_e32 17, v124
	s_cbranch_execz .LBB38_83
; %bb.80:
	v_dual_mov_b32 v1, 0 :: v_dual_add_nc_u32 v8, 0x270, v13
	v_dual_mov_b32 v2, 0 :: v_dual_add_nc_u32 v7, -1, v124
	v_or_b32_e32 v9, 8, v14
	s_mov_b32 s3, 0
	s_delay_alu instid0(VALU_DEP_2)
	v_dual_mov_b32 v4, v2 :: v_dual_mov_b32 v3, v1
	.p2align	6
.LBB38_81:                              ; =>This Inner Loop Header: Depth=1
	scratch_load_b128 v[15:18], v9, off offset:-8
	ds_load_b128 v[19:22], v8
	v_add_nc_u32_e32 v7, 1, v7
	v_add_nc_u32_e32 v8, 16, v8
	;; [unrolled: 1-line block ×3, first 2 shown]
	s_delay_alu instid0(VALU_DEP_3) | instskip(SKIP_4) | instid1(VALU_DEP_2)
	v_cmp_lt_u32_e32 vcc_lo, 15, v7
	s_or_b32 s3, vcc_lo, s3
	s_waitcnt vmcnt(0) lgkmcnt(0)
	v_mul_f64 v[10:11], v[21:22], v[17:18]
	v_mul_f64 v[17:18], v[19:20], v[17:18]
	v_fma_f64 v[10:11], v[19:20], v[15:16], -v[10:11]
	s_delay_alu instid0(VALU_DEP_2) | instskip(NEXT) | instid1(VALU_DEP_2)
	v_fma_f64 v[15:16], v[21:22], v[15:16], v[17:18]
	v_add_f64 v[3:4], v[3:4], v[10:11]
	s_delay_alu instid0(VALU_DEP_2)
	v_add_f64 v[1:2], v[1:2], v[15:16]
	s_and_not1_b32 exec_lo, exec_lo, s3
	s_cbranch_execnz .LBB38_81
; %bb.82:
	s_or_b32 exec_lo, exec_lo, s3
	v_mov_b32_e32 v7, 0
	ds_load_b128 v[7:10], v7 offset:272
	s_waitcnt lgkmcnt(0)
	v_mul_f64 v[11:12], v[1:2], v[9:10]
	v_mul_f64 v[15:16], v[3:4], v[9:10]
	s_delay_alu instid0(VALU_DEP_2) | instskip(NEXT) | instid1(VALU_DEP_2)
	v_fma_f64 v[9:10], v[3:4], v[7:8], -v[11:12]
	v_fma_f64 v[11:12], v[1:2], v[7:8], v[15:16]
	scratch_store_b128 off, v[9:12], off offset:272
.LBB38_83:
	s_or_b32 exec_lo, exec_lo, s2
	s_waitcnt_vscnt null, 0x0
	s_barrier
	buffer_gl0_inv
	scratch_load_b128 v[1:4], v144, off
	s_mov_b32 s2, exec_lo
	s_waitcnt vmcnt(0)
	ds_store_b128 v5, v[1:4]
	s_waitcnt lgkmcnt(0)
	s_barrier
	buffer_gl0_inv
	v_cmpx_gt_u32_e32 18, v124
	s_cbranch_execz .LBB38_87
; %bb.84:
	v_dual_mov_b32 v1, 0 :: v_dual_add_nc_u32 v8, 0x270, v13
	v_dual_mov_b32 v2, 0 :: v_dual_add_nc_u32 v7, -1, v124
	v_or_b32_e32 v9, 8, v14
	s_mov_b32 s3, 0
	s_delay_alu instid0(VALU_DEP_2)
	v_dual_mov_b32 v4, v2 :: v_dual_mov_b32 v3, v1
	.p2align	6
.LBB38_85:                              ; =>This Inner Loop Header: Depth=1
	scratch_load_b128 v[15:18], v9, off offset:-8
	ds_load_b128 v[19:22], v8
	v_add_nc_u32_e32 v7, 1, v7
	v_add_nc_u32_e32 v8, 16, v8
	;; [unrolled: 1-line block ×3, first 2 shown]
	s_delay_alu instid0(VALU_DEP_3) | instskip(SKIP_4) | instid1(VALU_DEP_2)
	v_cmp_lt_u32_e32 vcc_lo, 16, v7
	s_or_b32 s3, vcc_lo, s3
	s_waitcnt vmcnt(0) lgkmcnt(0)
	v_mul_f64 v[10:11], v[21:22], v[17:18]
	v_mul_f64 v[17:18], v[19:20], v[17:18]
	v_fma_f64 v[10:11], v[19:20], v[15:16], -v[10:11]
	s_delay_alu instid0(VALU_DEP_2) | instskip(NEXT) | instid1(VALU_DEP_2)
	v_fma_f64 v[15:16], v[21:22], v[15:16], v[17:18]
	v_add_f64 v[3:4], v[3:4], v[10:11]
	s_delay_alu instid0(VALU_DEP_2)
	v_add_f64 v[1:2], v[1:2], v[15:16]
	s_and_not1_b32 exec_lo, exec_lo, s3
	s_cbranch_execnz .LBB38_85
; %bb.86:
	s_or_b32 exec_lo, exec_lo, s3
	v_mov_b32_e32 v7, 0
	ds_load_b128 v[7:10], v7 offset:288
	s_waitcnt lgkmcnt(0)
	v_mul_f64 v[11:12], v[1:2], v[9:10]
	v_mul_f64 v[15:16], v[3:4], v[9:10]
	s_delay_alu instid0(VALU_DEP_2) | instskip(NEXT) | instid1(VALU_DEP_2)
	v_fma_f64 v[9:10], v[3:4], v[7:8], -v[11:12]
	v_fma_f64 v[11:12], v[1:2], v[7:8], v[15:16]
	scratch_store_b128 off, v[9:12], off offset:288
.LBB38_87:
	s_or_b32 exec_lo, exec_lo, s2
	s_waitcnt_vscnt null, 0x0
	s_barrier
	buffer_gl0_inv
	scratch_load_b128 v[1:4], v142, off
	s_mov_b32 s2, exec_lo
	s_waitcnt vmcnt(0)
	ds_store_b128 v5, v[1:4]
	s_waitcnt lgkmcnt(0)
	s_barrier
	buffer_gl0_inv
	v_cmpx_gt_u32_e32 19, v124
	s_cbranch_execz .LBB38_91
; %bb.88:
	v_dual_mov_b32 v1, 0 :: v_dual_add_nc_u32 v8, 0x270, v13
	v_dual_mov_b32 v2, 0 :: v_dual_add_nc_u32 v7, -1, v124
	v_or_b32_e32 v9, 8, v14
	s_mov_b32 s3, 0
	s_delay_alu instid0(VALU_DEP_2)
	v_dual_mov_b32 v4, v2 :: v_dual_mov_b32 v3, v1
	.p2align	6
.LBB38_89:                              ; =>This Inner Loop Header: Depth=1
	scratch_load_b128 v[15:18], v9, off offset:-8
	ds_load_b128 v[19:22], v8
	v_add_nc_u32_e32 v7, 1, v7
	v_add_nc_u32_e32 v8, 16, v8
	;; [unrolled: 1-line block ×3, first 2 shown]
	s_delay_alu instid0(VALU_DEP_3) | instskip(SKIP_4) | instid1(VALU_DEP_2)
	v_cmp_lt_u32_e32 vcc_lo, 17, v7
	s_or_b32 s3, vcc_lo, s3
	s_waitcnt vmcnt(0) lgkmcnt(0)
	v_mul_f64 v[10:11], v[21:22], v[17:18]
	v_mul_f64 v[17:18], v[19:20], v[17:18]
	v_fma_f64 v[10:11], v[19:20], v[15:16], -v[10:11]
	s_delay_alu instid0(VALU_DEP_2) | instskip(NEXT) | instid1(VALU_DEP_2)
	v_fma_f64 v[15:16], v[21:22], v[15:16], v[17:18]
	v_add_f64 v[3:4], v[3:4], v[10:11]
	s_delay_alu instid0(VALU_DEP_2)
	v_add_f64 v[1:2], v[1:2], v[15:16]
	s_and_not1_b32 exec_lo, exec_lo, s3
	s_cbranch_execnz .LBB38_89
; %bb.90:
	s_or_b32 exec_lo, exec_lo, s3
	v_mov_b32_e32 v7, 0
	ds_load_b128 v[7:10], v7 offset:304
	s_waitcnt lgkmcnt(0)
	v_mul_f64 v[11:12], v[1:2], v[9:10]
	v_mul_f64 v[15:16], v[3:4], v[9:10]
	s_delay_alu instid0(VALU_DEP_2) | instskip(NEXT) | instid1(VALU_DEP_2)
	v_fma_f64 v[9:10], v[3:4], v[7:8], -v[11:12]
	v_fma_f64 v[11:12], v[1:2], v[7:8], v[15:16]
	scratch_store_b128 off, v[9:12], off offset:304
.LBB38_91:
	s_or_b32 exec_lo, exec_lo, s2
	s_waitcnt_vscnt null, 0x0
	s_barrier
	buffer_gl0_inv
	scratch_load_b128 v[1:4], v141, off
	s_mov_b32 s2, exec_lo
	s_waitcnt vmcnt(0)
	ds_store_b128 v5, v[1:4]
	s_waitcnt lgkmcnt(0)
	s_barrier
	buffer_gl0_inv
	v_cmpx_gt_u32_e32 20, v124
	s_cbranch_execz .LBB38_95
; %bb.92:
	v_dual_mov_b32 v1, 0 :: v_dual_add_nc_u32 v8, 0x270, v13
	v_dual_mov_b32 v2, 0 :: v_dual_add_nc_u32 v7, -1, v124
	v_or_b32_e32 v9, 8, v14
	s_mov_b32 s3, 0
	s_delay_alu instid0(VALU_DEP_2)
	v_dual_mov_b32 v4, v2 :: v_dual_mov_b32 v3, v1
	.p2align	6
.LBB38_93:                              ; =>This Inner Loop Header: Depth=1
	scratch_load_b128 v[15:18], v9, off offset:-8
	ds_load_b128 v[19:22], v8
	v_add_nc_u32_e32 v7, 1, v7
	v_add_nc_u32_e32 v8, 16, v8
	;; [unrolled: 1-line block ×3, first 2 shown]
	s_delay_alu instid0(VALU_DEP_3) | instskip(SKIP_4) | instid1(VALU_DEP_2)
	v_cmp_lt_u32_e32 vcc_lo, 18, v7
	s_or_b32 s3, vcc_lo, s3
	s_waitcnt vmcnt(0) lgkmcnt(0)
	v_mul_f64 v[10:11], v[21:22], v[17:18]
	v_mul_f64 v[17:18], v[19:20], v[17:18]
	v_fma_f64 v[10:11], v[19:20], v[15:16], -v[10:11]
	s_delay_alu instid0(VALU_DEP_2) | instskip(NEXT) | instid1(VALU_DEP_2)
	v_fma_f64 v[15:16], v[21:22], v[15:16], v[17:18]
	v_add_f64 v[3:4], v[3:4], v[10:11]
	s_delay_alu instid0(VALU_DEP_2)
	v_add_f64 v[1:2], v[1:2], v[15:16]
	s_and_not1_b32 exec_lo, exec_lo, s3
	s_cbranch_execnz .LBB38_93
; %bb.94:
	s_or_b32 exec_lo, exec_lo, s3
	v_mov_b32_e32 v7, 0
	ds_load_b128 v[7:10], v7 offset:320
	s_waitcnt lgkmcnt(0)
	v_mul_f64 v[11:12], v[1:2], v[9:10]
	v_mul_f64 v[15:16], v[3:4], v[9:10]
	s_delay_alu instid0(VALU_DEP_2) | instskip(NEXT) | instid1(VALU_DEP_2)
	v_fma_f64 v[9:10], v[3:4], v[7:8], -v[11:12]
	v_fma_f64 v[11:12], v[1:2], v[7:8], v[15:16]
	scratch_store_b128 off, v[9:12], off offset:320
.LBB38_95:
	s_or_b32 exec_lo, exec_lo, s2
	s_waitcnt_vscnt null, 0x0
	s_barrier
	buffer_gl0_inv
	scratch_load_b128 v[1:4], v140, off
	s_mov_b32 s2, exec_lo
	s_waitcnt vmcnt(0)
	ds_store_b128 v5, v[1:4]
	s_waitcnt lgkmcnt(0)
	s_barrier
	buffer_gl0_inv
	v_cmpx_gt_u32_e32 21, v124
	s_cbranch_execz .LBB38_99
; %bb.96:
	v_dual_mov_b32 v1, 0 :: v_dual_add_nc_u32 v8, 0x270, v13
	v_dual_mov_b32 v2, 0 :: v_dual_add_nc_u32 v7, -1, v124
	v_or_b32_e32 v9, 8, v14
	s_mov_b32 s3, 0
	s_delay_alu instid0(VALU_DEP_2)
	v_dual_mov_b32 v4, v2 :: v_dual_mov_b32 v3, v1
	.p2align	6
.LBB38_97:                              ; =>This Inner Loop Header: Depth=1
	scratch_load_b128 v[15:18], v9, off offset:-8
	ds_load_b128 v[19:22], v8
	v_add_nc_u32_e32 v7, 1, v7
	v_add_nc_u32_e32 v8, 16, v8
	;; [unrolled: 1-line block ×3, first 2 shown]
	s_delay_alu instid0(VALU_DEP_3) | instskip(SKIP_4) | instid1(VALU_DEP_2)
	v_cmp_lt_u32_e32 vcc_lo, 19, v7
	s_or_b32 s3, vcc_lo, s3
	s_waitcnt vmcnt(0) lgkmcnt(0)
	v_mul_f64 v[10:11], v[21:22], v[17:18]
	v_mul_f64 v[17:18], v[19:20], v[17:18]
	v_fma_f64 v[10:11], v[19:20], v[15:16], -v[10:11]
	s_delay_alu instid0(VALU_DEP_2) | instskip(NEXT) | instid1(VALU_DEP_2)
	v_fma_f64 v[15:16], v[21:22], v[15:16], v[17:18]
	v_add_f64 v[3:4], v[3:4], v[10:11]
	s_delay_alu instid0(VALU_DEP_2)
	v_add_f64 v[1:2], v[1:2], v[15:16]
	s_and_not1_b32 exec_lo, exec_lo, s3
	s_cbranch_execnz .LBB38_97
; %bb.98:
	s_or_b32 exec_lo, exec_lo, s3
	v_mov_b32_e32 v7, 0
	ds_load_b128 v[7:10], v7 offset:336
	s_waitcnt lgkmcnt(0)
	v_mul_f64 v[11:12], v[1:2], v[9:10]
	v_mul_f64 v[15:16], v[3:4], v[9:10]
	s_delay_alu instid0(VALU_DEP_2) | instskip(NEXT) | instid1(VALU_DEP_2)
	v_fma_f64 v[9:10], v[3:4], v[7:8], -v[11:12]
	v_fma_f64 v[11:12], v[1:2], v[7:8], v[15:16]
	scratch_store_b128 off, v[9:12], off offset:336
.LBB38_99:
	s_or_b32 exec_lo, exec_lo, s2
	s_waitcnt_vscnt null, 0x0
	s_barrier
	buffer_gl0_inv
	scratch_load_b128 v[1:4], v138, off
	s_mov_b32 s2, exec_lo
	s_waitcnt vmcnt(0)
	ds_store_b128 v5, v[1:4]
	s_waitcnt lgkmcnt(0)
	s_barrier
	buffer_gl0_inv
	v_cmpx_gt_u32_e32 22, v124
	s_cbranch_execz .LBB38_103
; %bb.100:
	v_dual_mov_b32 v1, 0 :: v_dual_add_nc_u32 v8, 0x270, v13
	v_dual_mov_b32 v2, 0 :: v_dual_add_nc_u32 v7, -1, v124
	v_or_b32_e32 v9, 8, v14
	s_mov_b32 s3, 0
	s_delay_alu instid0(VALU_DEP_2)
	v_dual_mov_b32 v4, v2 :: v_dual_mov_b32 v3, v1
	.p2align	6
.LBB38_101:                             ; =>This Inner Loop Header: Depth=1
	scratch_load_b128 v[15:18], v9, off offset:-8
	ds_load_b128 v[19:22], v8
	v_add_nc_u32_e32 v7, 1, v7
	v_add_nc_u32_e32 v8, 16, v8
	;; [unrolled: 1-line block ×3, first 2 shown]
	s_delay_alu instid0(VALU_DEP_3) | instskip(SKIP_4) | instid1(VALU_DEP_2)
	v_cmp_lt_u32_e32 vcc_lo, 20, v7
	s_or_b32 s3, vcc_lo, s3
	s_waitcnt vmcnt(0) lgkmcnt(0)
	v_mul_f64 v[10:11], v[21:22], v[17:18]
	v_mul_f64 v[17:18], v[19:20], v[17:18]
	v_fma_f64 v[10:11], v[19:20], v[15:16], -v[10:11]
	s_delay_alu instid0(VALU_DEP_2) | instskip(NEXT) | instid1(VALU_DEP_2)
	v_fma_f64 v[15:16], v[21:22], v[15:16], v[17:18]
	v_add_f64 v[3:4], v[3:4], v[10:11]
	s_delay_alu instid0(VALU_DEP_2)
	v_add_f64 v[1:2], v[1:2], v[15:16]
	s_and_not1_b32 exec_lo, exec_lo, s3
	s_cbranch_execnz .LBB38_101
; %bb.102:
	s_or_b32 exec_lo, exec_lo, s3
	v_mov_b32_e32 v7, 0
	ds_load_b128 v[7:10], v7 offset:352
	s_waitcnt lgkmcnt(0)
	v_mul_f64 v[11:12], v[1:2], v[9:10]
	v_mul_f64 v[15:16], v[3:4], v[9:10]
	s_delay_alu instid0(VALU_DEP_2) | instskip(NEXT) | instid1(VALU_DEP_2)
	v_fma_f64 v[9:10], v[3:4], v[7:8], -v[11:12]
	v_fma_f64 v[11:12], v[1:2], v[7:8], v[15:16]
	scratch_store_b128 off, v[9:12], off offset:352
.LBB38_103:
	s_or_b32 exec_lo, exec_lo, s2
	s_waitcnt_vscnt null, 0x0
	s_barrier
	buffer_gl0_inv
	scratch_load_b128 v[1:4], v136, off
	s_mov_b32 s2, exec_lo
	s_waitcnt vmcnt(0)
	ds_store_b128 v5, v[1:4]
	s_waitcnt lgkmcnt(0)
	s_barrier
	buffer_gl0_inv
	v_cmpx_gt_u32_e32 23, v124
	s_cbranch_execz .LBB38_107
; %bb.104:
	v_dual_mov_b32 v1, 0 :: v_dual_add_nc_u32 v8, 0x270, v13
	v_dual_mov_b32 v2, 0 :: v_dual_add_nc_u32 v7, -1, v124
	v_or_b32_e32 v9, 8, v14
	s_mov_b32 s3, 0
	s_delay_alu instid0(VALU_DEP_2)
	v_dual_mov_b32 v4, v2 :: v_dual_mov_b32 v3, v1
	.p2align	6
.LBB38_105:                             ; =>This Inner Loop Header: Depth=1
	scratch_load_b128 v[15:18], v9, off offset:-8
	ds_load_b128 v[19:22], v8
	v_add_nc_u32_e32 v7, 1, v7
	v_add_nc_u32_e32 v8, 16, v8
	;; [unrolled: 1-line block ×3, first 2 shown]
	s_delay_alu instid0(VALU_DEP_3) | instskip(SKIP_4) | instid1(VALU_DEP_2)
	v_cmp_lt_u32_e32 vcc_lo, 21, v7
	s_or_b32 s3, vcc_lo, s3
	s_waitcnt vmcnt(0) lgkmcnt(0)
	v_mul_f64 v[10:11], v[21:22], v[17:18]
	v_mul_f64 v[17:18], v[19:20], v[17:18]
	v_fma_f64 v[10:11], v[19:20], v[15:16], -v[10:11]
	s_delay_alu instid0(VALU_DEP_2) | instskip(NEXT) | instid1(VALU_DEP_2)
	v_fma_f64 v[15:16], v[21:22], v[15:16], v[17:18]
	v_add_f64 v[3:4], v[3:4], v[10:11]
	s_delay_alu instid0(VALU_DEP_2)
	v_add_f64 v[1:2], v[1:2], v[15:16]
	s_and_not1_b32 exec_lo, exec_lo, s3
	s_cbranch_execnz .LBB38_105
; %bb.106:
	s_or_b32 exec_lo, exec_lo, s3
	v_mov_b32_e32 v7, 0
	ds_load_b128 v[7:10], v7 offset:368
	s_waitcnt lgkmcnt(0)
	v_mul_f64 v[11:12], v[1:2], v[9:10]
	v_mul_f64 v[15:16], v[3:4], v[9:10]
	s_delay_alu instid0(VALU_DEP_2) | instskip(NEXT) | instid1(VALU_DEP_2)
	v_fma_f64 v[9:10], v[3:4], v[7:8], -v[11:12]
	v_fma_f64 v[11:12], v[1:2], v[7:8], v[15:16]
	scratch_store_b128 off, v[9:12], off offset:368
.LBB38_107:
	s_or_b32 exec_lo, exec_lo, s2
	s_waitcnt_vscnt null, 0x0
	s_barrier
	buffer_gl0_inv
	scratch_load_b128 v[1:4], v134, off
	s_mov_b32 s2, exec_lo
	s_waitcnt vmcnt(0)
	ds_store_b128 v5, v[1:4]
	s_waitcnt lgkmcnt(0)
	s_barrier
	buffer_gl0_inv
	v_cmpx_gt_u32_e32 24, v124
	s_cbranch_execz .LBB38_111
; %bb.108:
	v_dual_mov_b32 v1, 0 :: v_dual_add_nc_u32 v8, 0x270, v13
	v_dual_mov_b32 v2, 0 :: v_dual_add_nc_u32 v7, -1, v124
	v_or_b32_e32 v9, 8, v14
	s_mov_b32 s3, 0
	s_delay_alu instid0(VALU_DEP_2)
	v_dual_mov_b32 v4, v2 :: v_dual_mov_b32 v3, v1
	.p2align	6
.LBB38_109:                             ; =>This Inner Loop Header: Depth=1
	scratch_load_b128 v[15:18], v9, off offset:-8
	ds_load_b128 v[19:22], v8
	v_add_nc_u32_e32 v7, 1, v7
	v_add_nc_u32_e32 v8, 16, v8
	;; [unrolled: 1-line block ×3, first 2 shown]
	s_delay_alu instid0(VALU_DEP_3) | instskip(SKIP_4) | instid1(VALU_DEP_2)
	v_cmp_lt_u32_e32 vcc_lo, 22, v7
	s_or_b32 s3, vcc_lo, s3
	s_waitcnt vmcnt(0) lgkmcnt(0)
	v_mul_f64 v[10:11], v[21:22], v[17:18]
	v_mul_f64 v[17:18], v[19:20], v[17:18]
	v_fma_f64 v[10:11], v[19:20], v[15:16], -v[10:11]
	s_delay_alu instid0(VALU_DEP_2) | instskip(NEXT) | instid1(VALU_DEP_2)
	v_fma_f64 v[15:16], v[21:22], v[15:16], v[17:18]
	v_add_f64 v[3:4], v[3:4], v[10:11]
	s_delay_alu instid0(VALU_DEP_2)
	v_add_f64 v[1:2], v[1:2], v[15:16]
	s_and_not1_b32 exec_lo, exec_lo, s3
	s_cbranch_execnz .LBB38_109
; %bb.110:
	s_or_b32 exec_lo, exec_lo, s3
	v_mov_b32_e32 v7, 0
	ds_load_b128 v[7:10], v7 offset:384
	s_waitcnt lgkmcnt(0)
	v_mul_f64 v[11:12], v[1:2], v[9:10]
	v_mul_f64 v[15:16], v[3:4], v[9:10]
	s_delay_alu instid0(VALU_DEP_2) | instskip(NEXT) | instid1(VALU_DEP_2)
	v_fma_f64 v[9:10], v[3:4], v[7:8], -v[11:12]
	v_fma_f64 v[11:12], v[1:2], v[7:8], v[15:16]
	scratch_store_b128 off, v[9:12], off offset:384
.LBB38_111:
	s_or_b32 exec_lo, exec_lo, s2
	s_waitcnt_vscnt null, 0x0
	s_barrier
	buffer_gl0_inv
	scratch_load_b128 v[1:4], v132, off
	s_mov_b32 s2, exec_lo
	s_waitcnt vmcnt(0)
	ds_store_b128 v5, v[1:4]
	s_waitcnt lgkmcnt(0)
	s_barrier
	buffer_gl0_inv
	v_cmpx_gt_u32_e32 25, v124
	s_cbranch_execz .LBB38_115
; %bb.112:
	v_dual_mov_b32 v1, 0 :: v_dual_add_nc_u32 v8, 0x270, v13
	v_dual_mov_b32 v2, 0 :: v_dual_add_nc_u32 v7, -1, v124
	v_or_b32_e32 v9, 8, v14
	s_mov_b32 s3, 0
	s_delay_alu instid0(VALU_DEP_2)
	v_dual_mov_b32 v4, v2 :: v_dual_mov_b32 v3, v1
	.p2align	6
.LBB38_113:                             ; =>This Inner Loop Header: Depth=1
	scratch_load_b128 v[15:18], v9, off offset:-8
	ds_load_b128 v[19:22], v8
	v_add_nc_u32_e32 v7, 1, v7
	v_add_nc_u32_e32 v8, 16, v8
	;; [unrolled: 1-line block ×3, first 2 shown]
	s_delay_alu instid0(VALU_DEP_3) | instskip(SKIP_4) | instid1(VALU_DEP_2)
	v_cmp_lt_u32_e32 vcc_lo, 23, v7
	s_or_b32 s3, vcc_lo, s3
	s_waitcnt vmcnt(0) lgkmcnt(0)
	v_mul_f64 v[10:11], v[21:22], v[17:18]
	v_mul_f64 v[17:18], v[19:20], v[17:18]
	v_fma_f64 v[10:11], v[19:20], v[15:16], -v[10:11]
	s_delay_alu instid0(VALU_DEP_2) | instskip(NEXT) | instid1(VALU_DEP_2)
	v_fma_f64 v[15:16], v[21:22], v[15:16], v[17:18]
	v_add_f64 v[3:4], v[3:4], v[10:11]
	s_delay_alu instid0(VALU_DEP_2)
	v_add_f64 v[1:2], v[1:2], v[15:16]
	s_and_not1_b32 exec_lo, exec_lo, s3
	s_cbranch_execnz .LBB38_113
; %bb.114:
	s_or_b32 exec_lo, exec_lo, s3
	v_mov_b32_e32 v7, 0
	ds_load_b128 v[7:10], v7 offset:400
	s_waitcnt lgkmcnt(0)
	v_mul_f64 v[11:12], v[1:2], v[9:10]
	v_mul_f64 v[15:16], v[3:4], v[9:10]
	s_delay_alu instid0(VALU_DEP_2) | instskip(NEXT) | instid1(VALU_DEP_2)
	v_fma_f64 v[9:10], v[3:4], v[7:8], -v[11:12]
	v_fma_f64 v[11:12], v[1:2], v[7:8], v[15:16]
	scratch_store_b128 off, v[9:12], off offset:400
.LBB38_115:
	s_or_b32 exec_lo, exec_lo, s2
	s_waitcnt_vscnt null, 0x0
	s_barrier
	buffer_gl0_inv
	scratch_load_b128 v[1:4], v131, off
	s_mov_b32 s2, exec_lo
	s_waitcnt vmcnt(0)
	ds_store_b128 v5, v[1:4]
	s_waitcnt lgkmcnt(0)
	s_barrier
	buffer_gl0_inv
	v_cmpx_gt_u32_e32 26, v124
	s_cbranch_execz .LBB38_119
; %bb.116:
	v_dual_mov_b32 v1, 0 :: v_dual_add_nc_u32 v8, 0x270, v13
	v_dual_mov_b32 v2, 0 :: v_dual_add_nc_u32 v7, -1, v124
	v_or_b32_e32 v9, 8, v14
	s_mov_b32 s3, 0
	s_delay_alu instid0(VALU_DEP_2)
	v_dual_mov_b32 v4, v2 :: v_dual_mov_b32 v3, v1
	.p2align	6
.LBB38_117:                             ; =>This Inner Loop Header: Depth=1
	scratch_load_b128 v[15:18], v9, off offset:-8
	ds_load_b128 v[19:22], v8
	v_add_nc_u32_e32 v7, 1, v7
	v_add_nc_u32_e32 v8, 16, v8
	;; [unrolled: 1-line block ×3, first 2 shown]
	s_delay_alu instid0(VALU_DEP_3) | instskip(SKIP_4) | instid1(VALU_DEP_2)
	v_cmp_lt_u32_e32 vcc_lo, 24, v7
	s_or_b32 s3, vcc_lo, s3
	s_waitcnt vmcnt(0) lgkmcnt(0)
	v_mul_f64 v[10:11], v[21:22], v[17:18]
	v_mul_f64 v[17:18], v[19:20], v[17:18]
	v_fma_f64 v[10:11], v[19:20], v[15:16], -v[10:11]
	s_delay_alu instid0(VALU_DEP_2) | instskip(NEXT) | instid1(VALU_DEP_2)
	v_fma_f64 v[15:16], v[21:22], v[15:16], v[17:18]
	v_add_f64 v[3:4], v[3:4], v[10:11]
	s_delay_alu instid0(VALU_DEP_2)
	v_add_f64 v[1:2], v[1:2], v[15:16]
	s_and_not1_b32 exec_lo, exec_lo, s3
	s_cbranch_execnz .LBB38_117
; %bb.118:
	s_or_b32 exec_lo, exec_lo, s3
	v_mov_b32_e32 v7, 0
	ds_load_b128 v[7:10], v7 offset:416
	s_waitcnt lgkmcnt(0)
	v_mul_f64 v[11:12], v[1:2], v[9:10]
	v_mul_f64 v[15:16], v[3:4], v[9:10]
	s_delay_alu instid0(VALU_DEP_2) | instskip(NEXT) | instid1(VALU_DEP_2)
	v_fma_f64 v[9:10], v[3:4], v[7:8], -v[11:12]
	v_fma_f64 v[11:12], v[1:2], v[7:8], v[15:16]
	scratch_store_b128 off, v[9:12], off offset:416
.LBB38_119:
	s_or_b32 exec_lo, exec_lo, s2
	s_waitcnt_vscnt null, 0x0
	s_barrier
	buffer_gl0_inv
	scratch_load_b128 v[1:4], v160, off
	s_mov_b32 s2, exec_lo
	s_waitcnt vmcnt(0)
	ds_store_b128 v5, v[1:4]
	s_waitcnt lgkmcnt(0)
	s_barrier
	buffer_gl0_inv
	v_cmpx_gt_u32_e32 27, v124
	s_cbranch_execz .LBB38_123
; %bb.120:
	v_dual_mov_b32 v1, 0 :: v_dual_add_nc_u32 v8, 0x270, v13
	v_dual_mov_b32 v2, 0 :: v_dual_add_nc_u32 v7, -1, v124
	v_or_b32_e32 v9, 8, v14
	s_mov_b32 s3, 0
	s_delay_alu instid0(VALU_DEP_2)
	v_dual_mov_b32 v4, v2 :: v_dual_mov_b32 v3, v1
	.p2align	6
.LBB38_121:                             ; =>This Inner Loop Header: Depth=1
	scratch_load_b128 v[15:18], v9, off offset:-8
	ds_load_b128 v[19:22], v8
	v_add_nc_u32_e32 v7, 1, v7
	v_add_nc_u32_e32 v8, 16, v8
	;; [unrolled: 1-line block ×3, first 2 shown]
	s_delay_alu instid0(VALU_DEP_3) | instskip(SKIP_4) | instid1(VALU_DEP_2)
	v_cmp_lt_u32_e32 vcc_lo, 25, v7
	s_or_b32 s3, vcc_lo, s3
	s_waitcnt vmcnt(0) lgkmcnt(0)
	v_mul_f64 v[10:11], v[21:22], v[17:18]
	v_mul_f64 v[17:18], v[19:20], v[17:18]
	v_fma_f64 v[10:11], v[19:20], v[15:16], -v[10:11]
	s_delay_alu instid0(VALU_DEP_2) | instskip(NEXT) | instid1(VALU_DEP_2)
	v_fma_f64 v[15:16], v[21:22], v[15:16], v[17:18]
	v_add_f64 v[3:4], v[3:4], v[10:11]
	s_delay_alu instid0(VALU_DEP_2)
	v_add_f64 v[1:2], v[1:2], v[15:16]
	s_and_not1_b32 exec_lo, exec_lo, s3
	s_cbranch_execnz .LBB38_121
; %bb.122:
	s_or_b32 exec_lo, exec_lo, s3
	v_mov_b32_e32 v7, 0
	ds_load_b128 v[7:10], v7 offset:432
	s_waitcnt lgkmcnt(0)
	v_mul_f64 v[11:12], v[1:2], v[9:10]
	v_mul_f64 v[15:16], v[3:4], v[9:10]
	s_delay_alu instid0(VALU_DEP_2) | instskip(NEXT) | instid1(VALU_DEP_2)
	v_fma_f64 v[9:10], v[3:4], v[7:8], -v[11:12]
	v_fma_f64 v[11:12], v[1:2], v[7:8], v[15:16]
	scratch_store_b128 off, v[9:12], off offset:432
.LBB38_123:
	s_or_b32 exec_lo, exec_lo, s2
	s_waitcnt_vscnt null, 0x0
	s_barrier
	buffer_gl0_inv
	scratch_load_b128 v[1:4], v157, off
	s_mov_b32 s2, exec_lo
	s_waitcnt vmcnt(0)
	ds_store_b128 v5, v[1:4]
	s_waitcnt lgkmcnt(0)
	s_barrier
	buffer_gl0_inv
	v_cmpx_gt_u32_e32 28, v124
	s_cbranch_execz .LBB38_127
; %bb.124:
	v_dual_mov_b32 v1, 0 :: v_dual_add_nc_u32 v8, 0x270, v13
	v_dual_mov_b32 v2, 0 :: v_dual_add_nc_u32 v7, -1, v124
	v_or_b32_e32 v9, 8, v14
	s_mov_b32 s3, 0
	s_delay_alu instid0(VALU_DEP_2)
	v_dual_mov_b32 v4, v2 :: v_dual_mov_b32 v3, v1
	.p2align	6
.LBB38_125:                             ; =>This Inner Loop Header: Depth=1
	scratch_load_b128 v[15:18], v9, off offset:-8
	ds_load_b128 v[19:22], v8
	v_add_nc_u32_e32 v7, 1, v7
	v_add_nc_u32_e32 v8, 16, v8
	v_add_nc_u32_e32 v9, 16, v9
	s_delay_alu instid0(VALU_DEP_3) | instskip(SKIP_4) | instid1(VALU_DEP_2)
	v_cmp_lt_u32_e32 vcc_lo, 26, v7
	s_or_b32 s3, vcc_lo, s3
	s_waitcnt vmcnt(0) lgkmcnt(0)
	v_mul_f64 v[10:11], v[21:22], v[17:18]
	v_mul_f64 v[17:18], v[19:20], v[17:18]
	v_fma_f64 v[10:11], v[19:20], v[15:16], -v[10:11]
	s_delay_alu instid0(VALU_DEP_2) | instskip(NEXT) | instid1(VALU_DEP_2)
	v_fma_f64 v[15:16], v[21:22], v[15:16], v[17:18]
	v_add_f64 v[3:4], v[3:4], v[10:11]
	s_delay_alu instid0(VALU_DEP_2)
	v_add_f64 v[1:2], v[1:2], v[15:16]
	s_and_not1_b32 exec_lo, exec_lo, s3
	s_cbranch_execnz .LBB38_125
; %bb.126:
	s_or_b32 exec_lo, exec_lo, s3
	v_mov_b32_e32 v7, 0
	ds_load_b128 v[7:10], v7 offset:448
	s_waitcnt lgkmcnt(0)
	v_mul_f64 v[11:12], v[1:2], v[9:10]
	v_mul_f64 v[15:16], v[3:4], v[9:10]
	s_delay_alu instid0(VALU_DEP_2) | instskip(NEXT) | instid1(VALU_DEP_2)
	v_fma_f64 v[9:10], v[3:4], v[7:8], -v[11:12]
	v_fma_f64 v[11:12], v[1:2], v[7:8], v[15:16]
	scratch_store_b128 off, v[9:12], off offset:448
.LBB38_127:
	s_or_b32 exec_lo, exec_lo, s2
	s_waitcnt_vscnt null, 0x0
	s_barrier
	buffer_gl0_inv
	scratch_load_b128 v[1:4], v152, off
	s_mov_b32 s2, exec_lo
	s_waitcnt vmcnt(0)
	ds_store_b128 v5, v[1:4]
	s_waitcnt lgkmcnt(0)
	s_barrier
	buffer_gl0_inv
	v_cmpx_gt_u32_e32 29, v124
	s_cbranch_execz .LBB38_131
; %bb.128:
	v_dual_mov_b32 v1, 0 :: v_dual_add_nc_u32 v8, 0x270, v13
	v_dual_mov_b32 v2, 0 :: v_dual_add_nc_u32 v7, -1, v124
	v_or_b32_e32 v9, 8, v14
	s_mov_b32 s3, 0
	s_delay_alu instid0(VALU_DEP_2)
	v_dual_mov_b32 v4, v2 :: v_dual_mov_b32 v3, v1
	.p2align	6
.LBB38_129:                             ; =>This Inner Loop Header: Depth=1
	scratch_load_b128 v[15:18], v9, off offset:-8
	ds_load_b128 v[19:22], v8
	v_add_nc_u32_e32 v7, 1, v7
	v_add_nc_u32_e32 v8, 16, v8
	;; [unrolled: 1-line block ×3, first 2 shown]
	s_delay_alu instid0(VALU_DEP_3) | instskip(SKIP_4) | instid1(VALU_DEP_2)
	v_cmp_lt_u32_e32 vcc_lo, 27, v7
	s_or_b32 s3, vcc_lo, s3
	s_waitcnt vmcnt(0) lgkmcnt(0)
	v_mul_f64 v[10:11], v[21:22], v[17:18]
	v_mul_f64 v[17:18], v[19:20], v[17:18]
	v_fma_f64 v[10:11], v[19:20], v[15:16], -v[10:11]
	s_delay_alu instid0(VALU_DEP_2) | instskip(NEXT) | instid1(VALU_DEP_2)
	v_fma_f64 v[15:16], v[21:22], v[15:16], v[17:18]
	v_add_f64 v[3:4], v[3:4], v[10:11]
	s_delay_alu instid0(VALU_DEP_2)
	v_add_f64 v[1:2], v[1:2], v[15:16]
	s_and_not1_b32 exec_lo, exec_lo, s3
	s_cbranch_execnz .LBB38_129
; %bb.130:
	s_or_b32 exec_lo, exec_lo, s3
	v_mov_b32_e32 v7, 0
	ds_load_b128 v[7:10], v7 offset:464
	s_waitcnt lgkmcnt(0)
	v_mul_f64 v[11:12], v[1:2], v[9:10]
	v_mul_f64 v[15:16], v[3:4], v[9:10]
	s_delay_alu instid0(VALU_DEP_2) | instskip(NEXT) | instid1(VALU_DEP_2)
	v_fma_f64 v[9:10], v[3:4], v[7:8], -v[11:12]
	v_fma_f64 v[11:12], v[1:2], v[7:8], v[15:16]
	scratch_store_b128 off, v[9:12], off offset:464
.LBB38_131:
	s_or_b32 exec_lo, exec_lo, s2
	s_waitcnt_vscnt null, 0x0
	s_barrier
	buffer_gl0_inv
	scratch_load_b128 v[1:4], v149, off
	s_mov_b32 s2, exec_lo
	s_waitcnt vmcnt(0)
	ds_store_b128 v5, v[1:4]
	s_waitcnt lgkmcnt(0)
	s_barrier
	buffer_gl0_inv
	v_cmpx_gt_u32_e32 30, v124
	s_cbranch_execz .LBB38_135
; %bb.132:
	v_dual_mov_b32 v1, 0 :: v_dual_add_nc_u32 v8, 0x270, v13
	v_dual_mov_b32 v2, 0 :: v_dual_add_nc_u32 v7, -1, v124
	v_or_b32_e32 v9, 8, v14
	s_mov_b32 s3, 0
	s_delay_alu instid0(VALU_DEP_2)
	v_dual_mov_b32 v4, v2 :: v_dual_mov_b32 v3, v1
	.p2align	6
.LBB38_133:                             ; =>This Inner Loop Header: Depth=1
	scratch_load_b128 v[15:18], v9, off offset:-8
	ds_load_b128 v[19:22], v8
	v_add_nc_u32_e32 v7, 1, v7
	v_add_nc_u32_e32 v8, 16, v8
	;; [unrolled: 1-line block ×3, first 2 shown]
	s_delay_alu instid0(VALU_DEP_3) | instskip(SKIP_4) | instid1(VALU_DEP_2)
	v_cmp_lt_u32_e32 vcc_lo, 28, v7
	s_or_b32 s3, vcc_lo, s3
	s_waitcnt vmcnt(0) lgkmcnt(0)
	v_mul_f64 v[10:11], v[21:22], v[17:18]
	v_mul_f64 v[17:18], v[19:20], v[17:18]
	v_fma_f64 v[10:11], v[19:20], v[15:16], -v[10:11]
	s_delay_alu instid0(VALU_DEP_2) | instskip(NEXT) | instid1(VALU_DEP_2)
	v_fma_f64 v[15:16], v[21:22], v[15:16], v[17:18]
	v_add_f64 v[3:4], v[3:4], v[10:11]
	s_delay_alu instid0(VALU_DEP_2)
	v_add_f64 v[1:2], v[1:2], v[15:16]
	s_and_not1_b32 exec_lo, exec_lo, s3
	s_cbranch_execnz .LBB38_133
; %bb.134:
	s_or_b32 exec_lo, exec_lo, s3
	v_mov_b32_e32 v7, 0
	ds_load_b128 v[7:10], v7 offset:480
	s_waitcnt lgkmcnt(0)
	v_mul_f64 v[11:12], v[1:2], v[9:10]
	v_mul_f64 v[15:16], v[3:4], v[9:10]
	s_delay_alu instid0(VALU_DEP_2) | instskip(NEXT) | instid1(VALU_DEP_2)
	v_fma_f64 v[9:10], v[3:4], v[7:8], -v[11:12]
	v_fma_f64 v[11:12], v[1:2], v[7:8], v[15:16]
	scratch_store_b128 off, v[9:12], off offset:480
.LBB38_135:
	s_or_b32 exec_lo, exec_lo, s2
	s_waitcnt_vscnt null, 0x0
	s_barrier
	buffer_gl0_inv
	scratch_load_b128 v[1:4], v145, off
	s_mov_b32 s2, exec_lo
	s_waitcnt vmcnt(0)
	ds_store_b128 v5, v[1:4]
	s_waitcnt lgkmcnt(0)
	s_barrier
	buffer_gl0_inv
	v_cmpx_gt_u32_e32 31, v124
	s_cbranch_execz .LBB38_139
; %bb.136:
	v_dual_mov_b32 v1, 0 :: v_dual_add_nc_u32 v8, 0x270, v13
	v_dual_mov_b32 v2, 0 :: v_dual_add_nc_u32 v7, -1, v124
	v_or_b32_e32 v9, 8, v14
	s_mov_b32 s3, 0
	s_delay_alu instid0(VALU_DEP_2)
	v_dual_mov_b32 v4, v2 :: v_dual_mov_b32 v3, v1
	.p2align	6
.LBB38_137:                             ; =>This Inner Loop Header: Depth=1
	scratch_load_b128 v[15:18], v9, off offset:-8
	ds_load_b128 v[19:22], v8
	v_add_nc_u32_e32 v7, 1, v7
	v_add_nc_u32_e32 v8, 16, v8
	;; [unrolled: 1-line block ×3, first 2 shown]
	s_delay_alu instid0(VALU_DEP_3) | instskip(SKIP_4) | instid1(VALU_DEP_2)
	v_cmp_lt_u32_e32 vcc_lo, 29, v7
	s_or_b32 s3, vcc_lo, s3
	s_waitcnt vmcnt(0) lgkmcnt(0)
	v_mul_f64 v[10:11], v[21:22], v[17:18]
	v_mul_f64 v[17:18], v[19:20], v[17:18]
	v_fma_f64 v[10:11], v[19:20], v[15:16], -v[10:11]
	s_delay_alu instid0(VALU_DEP_2) | instskip(NEXT) | instid1(VALU_DEP_2)
	v_fma_f64 v[15:16], v[21:22], v[15:16], v[17:18]
	v_add_f64 v[3:4], v[3:4], v[10:11]
	s_delay_alu instid0(VALU_DEP_2)
	v_add_f64 v[1:2], v[1:2], v[15:16]
	s_and_not1_b32 exec_lo, exec_lo, s3
	s_cbranch_execnz .LBB38_137
; %bb.138:
	s_or_b32 exec_lo, exec_lo, s3
	v_mov_b32_e32 v7, 0
	ds_load_b128 v[7:10], v7 offset:496
	s_waitcnt lgkmcnt(0)
	v_mul_f64 v[11:12], v[1:2], v[9:10]
	v_mul_f64 v[15:16], v[3:4], v[9:10]
	s_delay_alu instid0(VALU_DEP_2) | instskip(NEXT) | instid1(VALU_DEP_2)
	v_fma_f64 v[9:10], v[3:4], v[7:8], -v[11:12]
	v_fma_f64 v[11:12], v[1:2], v[7:8], v[15:16]
	scratch_store_b128 off, v[9:12], off offset:496
.LBB38_139:
	s_or_b32 exec_lo, exec_lo, s2
	s_waitcnt_vscnt null, 0x0
	s_barrier
	buffer_gl0_inv
	scratch_load_b128 v[1:4], v143, off
	s_mov_b32 s2, exec_lo
	s_waitcnt vmcnt(0)
	ds_store_b128 v5, v[1:4]
	s_waitcnt lgkmcnt(0)
	s_barrier
	buffer_gl0_inv
	v_cmpx_gt_u32_e32 32, v124
	s_cbranch_execz .LBB38_143
; %bb.140:
	v_dual_mov_b32 v1, 0 :: v_dual_add_nc_u32 v8, 0x270, v13
	v_dual_mov_b32 v2, 0 :: v_dual_add_nc_u32 v7, -1, v124
	v_or_b32_e32 v9, 8, v14
	s_mov_b32 s3, 0
	s_delay_alu instid0(VALU_DEP_2)
	v_dual_mov_b32 v4, v2 :: v_dual_mov_b32 v3, v1
	.p2align	6
.LBB38_141:                             ; =>This Inner Loop Header: Depth=1
	scratch_load_b128 v[15:18], v9, off offset:-8
	ds_load_b128 v[19:22], v8
	v_add_nc_u32_e32 v7, 1, v7
	v_add_nc_u32_e32 v8, 16, v8
	;; [unrolled: 1-line block ×3, first 2 shown]
	s_delay_alu instid0(VALU_DEP_3) | instskip(SKIP_4) | instid1(VALU_DEP_2)
	v_cmp_lt_u32_e32 vcc_lo, 30, v7
	s_or_b32 s3, vcc_lo, s3
	s_waitcnt vmcnt(0) lgkmcnt(0)
	v_mul_f64 v[10:11], v[21:22], v[17:18]
	v_mul_f64 v[17:18], v[19:20], v[17:18]
	v_fma_f64 v[10:11], v[19:20], v[15:16], -v[10:11]
	s_delay_alu instid0(VALU_DEP_2) | instskip(NEXT) | instid1(VALU_DEP_2)
	v_fma_f64 v[15:16], v[21:22], v[15:16], v[17:18]
	v_add_f64 v[3:4], v[3:4], v[10:11]
	s_delay_alu instid0(VALU_DEP_2)
	v_add_f64 v[1:2], v[1:2], v[15:16]
	s_and_not1_b32 exec_lo, exec_lo, s3
	s_cbranch_execnz .LBB38_141
; %bb.142:
	s_or_b32 exec_lo, exec_lo, s3
	v_mov_b32_e32 v7, 0
	ds_load_b128 v[7:10], v7 offset:512
	s_waitcnt lgkmcnt(0)
	v_mul_f64 v[11:12], v[1:2], v[9:10]
	v_mul_f64 v[15:16], v[3:4], v[9:10]
	s_delay_alu instid0(VALU_DEP_2) | instskip(NEXT) | instid1(VALU_DEP_2)
	v_fma_f64 v[9:10], v[3:4], v[7:8], -v[11:12]
	v_fma_f64 v[11:12], v[1:2], v[7:8], v[15:16]
	scratch_store_b128 off, v[9:12], off offset:512
.LBB38_143:
	s_or_b32 exec_lo, exec_lo, s2
	s_waitcnt_vscnt null, 0x0
	s_barrier
	buffer_gl0_inv
	scratch_load_b128 v[1:4], v139, off
	s_mov_b32 s2, exec_lo
	s_waitcnt vmcnt(0)
	ds_store_b128 v5, v[1:4]
	s_waitcnt lgkmcnt(0)
	s_barrier
	buffer_gl0_inv
	v_cmpx_gt_u32_e32 33, v124
	s_cbranch_execz .LBB38_147
; %bb.144:
	v_dual_mov_b32 v1, 0 :: v_dual_add_nc_u32 v8, 0x270, v13
	v_dual_mov_b32 v2, 0 :: v_dual_add_nc_u32 v7, -1, v124
	v_or_b32_e32 v9, 8, v14
	s_mov_b32 s3, 0
	s_delay_alu instid0(VALU_DEP_2)
	v_dual_mov_b32 v4, v2 :: v_dual_mov_b32 v3, v1
	.p2align	6
.LBB38_145:                             ; =>This Inner Loop Header: Depth=1
	scratch_load_b128 v[15:18], v9, off offset:-8
	ds_load_b128 v[19:22], v8
	v_add_nc_u32_e32 v7, 1, v7
	v_add_nc_u32_e32 v8, 16, v8
	;; [unrolled: 1-line block ×3, first 2 shown]
	s_delay_alu instid0(VALU_DEP_3) | instskip(SKIP_4) | instid1(VALU_DEP_2)
	v_cmp_lt_u32_e32 vcc_lo, 31, v7
	s_or_b32 s3, vcc_lo, s3
	s_waitcnt vmcnt(0) lgkmcnt(0)
	v_mul_f64 v[10:11], v[21:22], v[17:18]
	v_mul_f64 v[17:18], v[19:20], v[17:18]
	v_fma_f64 v[10:11], v[19:20], v[15:16], -v[10:11]
	s_delay_alu instid0(VALU_DEP_2) | instskip(NEXT) | instid1(VALU_DEP_2)
	v_fma_f64 v[15:16], v[21:22], v[15:16], v[17:18]
	v_add_f64 v[3:4], v[3:4], v[10:11]
	s_delay_alu instid0(VALU_DEP_2)
	v_add_f64 v[1:2], v[1:2], v[15:16]
	s_and_not1_b32 exec_lo, exec_lo, s3
	s_cbranch_execnz .LBB38_145
; %bb.146:
	s_or_b32 exec_lo, exec_lo, s3
	v_mov_b32_e32 v7, 0
	ds_load_b128 v[7:10], v7 offset:528
	s_waitcnt lgkmcnt(0)
	v_mul_f64 v[11:12], v[1:2], v[9:10]
	v_mul_f64 v[15:16], v[3:4], v[9:10]
	s_delay_alu instid0(VALU_DEP_2) | instskip(NEXT) | instid1(VALU_DEP_2)
	v_fma_f64 v[9:10], v[3:4], v[7:8], -v[11:12]
	v_fma_f64 v[11:12], v[1:2], v[7:8], v[15:16]
	scratch_store_b128 off, v[9:12], off offset:528
.LBB38_147:
	s_or_b32 exec_lo, exec_lo, s2
	s_waitcnt_vscnt null, 0x0
	s_barrier
	buffer_gl0_inv
	scratch_load_b128 v[1:4], v137, off
	s_mov_b32 s2, exec_lo
	s_waitcnt vmcnt(0)
	ds_store_b128 v5, v[1:4]
	s_waitcnt lgkmcnt(0)
	s_barrier
	buffer_gl0_inv
	v_cmpx_gt_u32_e32 34, v124
	s_cbranch_execz .LBB38_151
; %bb.148:
	v_dual_mov_b32 v1, 0 :: v_dual_add_nc_u32 v8, 0x270, v13
	v_dual_mov_b32 v2, 0 :: v_dual_add_nc_u32 v7, -1, v124
	v_or_b32_e32 v9, 8, v14
	s_mov_b32 s3, 0
	s_delay_alu instid0(VALU_DEP_2)
	v_dual_mov_b32 v4, v2 :: v_dual_mov_b32 v3, v1
	.p2align	6
.LBB38_149:                             ; =>This Inner Loop Header: Depth=1
	scratch_load_b128 v[15:18], v9, off offset:-8
	ds_load_b128 v[19:22], v8
	v_add_nc_u32_e32 v7, 1, v7
	v_add_nc_u32_e32 v8, 16, v8
	;; [unrolled: 1-line block ×3, first 2 shown]
	s_delay_alu instid0(VALU_DEP_3) | instskip(SKIP_4) | instid1(VALU_DEP_2)
	v_cmp_lt_u32_e32 vcc_lo, 32, v7
	s_or_b32 s3, vcc_lo, s3
	s_waitcnt vmcnt(0) lgkmcnt(0)
	v_mul_f64 v[10:11], v[21:22], v[17:18]
	v_mul_f64 v[17:18], v[19:20], v[17:18]
	v_fma_f64 v[10:11], v[19:20], v[15:16], -v[10:11]
	s_delay_alu instid0(VALU_DEP_2) | instskip(NEXT) | instid1(VALU_DEP_2)
	v_fma_f64 v[15:16], v[21:22], v[15:16], v[17:18]
	v_add_f64 v[3:4], v[3:4], v[10:11]
	s_delay_alu instid0(VALU_DEP_2)
	v_add_f64 v[1:2], v[1:2], v[15:16]
	s_and_not1_b32 exec_lo, exec_lo, s3
	s_cbranch_execnz .LBB38_149
; %bb.150:
	s_or_b32 exec_lo, exec_lo, s3
	v_mov_b32_e32 v7, 0
	ds_load_b128 v[7:10], v7 offset:544
	s_waitcnt lgkmcnt(0)
	v_mul_f64 v[11:12], v[1:2], v[9:10]
	v_mul_f64 v[15:16], v[3:4], v[9:10]
	s_delay_alu instid0(VALU_DEP_2) | instskip(NEXT) | instid1(VALU_DEP_2)
	v_fma_f64 v[9:10], v[3:4], v[7:8], -v[11:12]
	v_fma_f64 v[11:12], v[1:2], v[7:8], v[15:16]
	scratch_store_b128 off, v[9:12], off offset:544
.LBB38_151:
	s_or_b32 exec_lo, exec_lo, s2
	s_waitcnt_vscnt null, 0x0
	s_barrier
	buffer_gl0_inv
	scratch_load_b128 v[1:4], v135, off
	s_mov_b32 s2, exec_lo
	s_waitcnt vmcnt(0)
	ds_store_b128 v5, v[1:4]
	s_waitcnt lgkmcnt(0)
	s_barrier
	buffer_gl0_inv
	v_cmpx_gt_u32_e32 35, v124
	s_cbranch_execz .LBB38_155
; %bb.152:
	v_dual_mov_b32 v1, 0 :: v_dual_add_nc_u32 v8, 0x270, v13
	v_dual_mov_b32 v2, 0 :: v_dual_add_nc_u32 v7, -1, v124
	v_or_b32_e32 v9, 8, v14
	s_mov_b32 s3, 0
	s_delay_alu instid0(VALU_DEP_2)
	v_dual_mov_b32 v4, v2 :: v_dual_mov_b32 v3, v1
	.p2align	6
.LBB38_153:                             ; =>This Inner Loop Header: Depth=1
	scratch_load_b128 v[15:18], v9, off offset:-8
	ds_load_b128 v[19:22], v8
	v_add_nc_u32_e32 v7, 1, v7
	v_add_nc_u32_e32 v8, 16, v8
	;; [unrolled: 1-line block ×3, first 2 shown]
	s_delay_alu instid0(VALU_DEP_3) | instskip(SKIP_4) | instid1(VALU_DEP_2)
	v_cmp_lt_u32_e32 vcc_lo, 33, v7
	s_or_b32 s3, vcc_lo, s3
	s_waitcnt vmcnt(0) lgkmcnt(0)
	v_mul_f64 v[10:11], v[21:22], v[17:18]
	v_mul_f64 v[17:18], v[19:20], v[17:18]
	v_fma_f64 v[10:11], v[19:20], v[15:16], -v[10:11]
	s_delay_alu instid0(VALU_DEP_2) | instskip(NEXT) | instid1(VALU_DEP_2)
	v_fma_f64 v[15:16], v[21:22], v[15:16], v[17:18]
	v_add_f64 v[3:4], v[3:4], v[10:11]
	s_delay_alu instid0(VALU_DEP_2)
	v_add_f64 v[1:2], v[1:2], v[15:16]
	s_and_not1_b32 exec_lo, exec_lo, s3
	s_cbranch_execnz .LBB38_153
; %bb.154:
	s_or_b32 exec_lo, exec_lo, s3
	v_mov_b32_e32 v7, 0
	ds_load_b128 v[7:10], v7 offset:560
	s_waitcnt lgkmcnt(0)
	v_mul_f64 v[11:12], v[1:2], v[9:10]
	v_mul_f64 v[15:16], v[3:4], v[9:10]
	s_delay_alu instid0(VALU_DEP_2) | instskip(NEXT) | instid1(VALU_DEP_2)
	v_fma_f64 v[9:10], v[3:4], v[7:8], -v[11:12]
	v_fma_f64 v[11:12], v[1:2], v[7:8], v[15:16]
	scratch_store_b128 off, v[9:12], off offset:560
.LBB38_155:
	s_or_b32 exec_lo, exec_lo, s2
	s_waitcnt_vscnt null, 0x0
	s_barrier
	buffer_gl0_inv
	scratch_load_b128 v[1:4], v133, off
	s_mov_b32 s2, exec_lo
	s_waitcnt vmcnt(0)
	ds_store_b128 v5, v[1:4]
	s_waitcnt lgkmcnt(0)
	s_barrier
	buffer_gl0_inv
	v_cmpx_gt_u32_e32 36, v124
	s_cbranch_execz .LBB38_159
; %bb.156:
	v_dual_mov_b32 v1, 0 :: v_dual_add_nc_u32 v8, 0x270, v13
	v_dual_mov_b32 v2, 0 :: v_dual_add_nc_u32 v7, -1, v124
	v_or_b32_e32 v9, 8, v14
	s_mov_b32 s3, 0
	s_delay_alu instid0(VALU_DEP_2)
	v_dual_mov_b32 v4, v2 :: v_dual_mov_b32 v3, v1
	.p2align	6
.LBB38_157:                             ; =>This Inner Loop Header: Depth=1
	scratch_load_b128 v[15:18], v9, off offset:-8
	ds_load_b128 v[19:22], v8
	v_add_nc_u32_e32 v7, 1, v7
	v_add_nc_u32_e32 v8, 16, v8
	;; [unrolled: 1-line block ×3, first 2 shown]
	s_delay_alu instid0(VALU_DEP_3) | instskip(SKIP_4) | instid1(VALU_DEP_2)
	v_cmp_lt_u32_e32 vcc_lo, 34, v7
	s_or_b32 s3, vcc_lo, s3
	s_waitcnt vmcnt(0) lgkmcnt(0)
	v_mul_f64 v[10:11], v[21:22], v[17:18]
	v_mul_f64 v[17:18], v[19:20], v[17:18]
	v_fma_f64 v[10:11], v[19:20], v[15:16], -v[10:11]
	s_delay_alu instid0(VALU_DEP_2) | instskip(NEXT) | instid1(VALU_DEP_2)
	v_fma_f64 v[15:16], v[21:22], v[15:16], v[17:18]
	v_add_f64 v[3:4], v[3:4], v[10:11]
	s_delay_alu instid0(VALU_DEP_2)
	v_add_f64 v[1:2], v[1:2], v[15:16]
	s_and_not1_b32 exec_lo, exec_lo, s3
	s_cbranch_execnz .LBB38_157
; %bb.158:
	s_or_b32 exec_lo, exec_lo, s3
	v_mov_b32_e32 v7, 0
	ds_load_b128 v[7:10], v7 offset:576
	s_waitcnt lgkmcnt(0)
	v_mul_f64 v[11:12], v[1:2], v[9:10]
	v_mul_f64 v[15:16], v[3:4], v[9:10]
	s_delay_alu instid0(VALU_DEP_2) | instskip(NEXT) | instid1(VALU_DEP_2)
	v_fma_f64 v[9:10], v[3:4], v[7:8], -v[11:12]
	v_fma_f64 v[11:12], v[1:2], v[7:8], v[15:16]
	scratch_store_b128 off, v[9:12], off offset:576
.LBB38_159:
	s_or_b32 exec_lo, exec_lo, s2
	s_waitcnt_vscnt null, 0x0
	s_barrier
	buffer_gl0_inv
	scratch_load_b128 v[1:4], v130, off
	s_mov_b32 s2, exec_lo
	s_waitcnt vmcnt(0)
	ds_store_b128 v5, v[1:4]
	s_waitcnt lgkmcnt(0)
	s_barrier
	buffer_gl0_inv
	v_cmpx_gt_u32_e32 37, v124
	s_cbranch_execz .LBB38_163
; %bb.160:
	v_dual_mov_b32 v1, 0 :: v_dual_add_nc_u32 v8, 0x270, v13
	v_dual_mov_b32 v2, 0 :: v_dual_add_nc_u32 v7, -1, v124
	v_or_b32_e32 v9, 8, v14
	s_mov_b32 s3, 0
	s_delay_alu instid0(VALU_DEP_2)
	v_dual_mov_b32 v4, v2 :: v_dual_mov_b32 v3, v1
	.p2align	6
.LBB38_161:                             ; =>This Inner Loop Header: Depth=1
	scratch_load_b128 v[10:13], v9, off offset:-8
	ds_load_b128 v[15:18], v8
	v_add_nc_u32_e32 v7, 1, v7
	v_add_nc_u32_e32 v8, 16, v8
	;; [unrolled: 1-line block ×3, first 2 shown]
	s_delay_alu instid0(VALU_DEP_3) | instskip(SKIP_4) | instid1(VALU_DEP_2)
	v_cmp_lt_u32_e32 vcc_lo, 35, v7
	s_or_b32 s3, vcc_lo, s3
	s_waitcnt vmcnt(0) lgkmcnt(0)
	v_mul_f64 v[19:20], v[17:18], v[12:13]
	v_mul_f64 v[12:13], v[15:16], v[12:13]
	v_fma_f64 v[15:16], v[15:16], v[10:11], -v[19:20]
	s_delay_alu instid0(VALU_DEP_2) | instskip(NEXT) | instid1(VALU_DEP_2)
	v_fma_f64 v[10:11], v[17:18], v[10:11], v[12:13]
	v_add_f64 v[3:4], v[3:4], v[15:16]
	s_delay_alu instid0(VALU_DEP_2)
	v_add_f64 v[1:2], v[1:2], v[10:11]
	s_and_not1_b32 exec_lo, exec_lo, s3
	s_cbranch_execnz .LBB38_161
; %bb.162:
	s_or_b32 exec_lo, exec_lo, s3
	v_mov_b32_e32 v7, 0
	ds_load_b128 v[7:10], v7 offset:592
	s_waitcnt lgkmcnt(0)
	v_mul_f64 v[11:12], v[1:2], v[9:10]
	v_mul_f64 v[15:16], v[3:4], v[9:10]
	s_delay_alu instid0(VALU_DEP_2) | instskip(NEXT) | instid1(VALU_DEP_2)
	v_fma_f64 v[9:10], v[3:4], v[7:8], -v[11:12]
	v_fma_f64 v[11:12], v[1:2], v[7:8], v[15:16]
	scratch_store_b128 off, v[9:12], off offset:592
.LBB38_163:
	s_or_b32 exec_lo, exec_lo, s2
	s_waitcnt_vscnt null, 0x0
	s_barrier
	buffer_gl0_inv
	scratch_load_b128 v[1:4], v129, off
	s_mov_b32 s2, exec_lo
	s_waitcnt vmcnt(0)
	ds_store_b128 v5, v[1:4]
	s_waitcnt lgkmcnt(0)
	s_barrier
	buffer_gl0_inv
	v_cmpx_ne_u32_e32 38, v124
	s_cbranch_execz .LBB38_167
; %bb.164:
	v_mov_b32_e32 v1, 0
	v_mov_b32_e32 v2, 0
	v_or_b32_e32 v7, 8, v14
	s_mov_b32 s3, 0
	s_delay_alu instid0(VALU_DEP_2)
	v_dual_mov_b32 v4, v2 :: v_dual_mov_b32 v3, v1
	.p2align	6
.LBB38_165:                             ; =>This Inner Loop Header: Depth=1
	scratch_load_b128 v[8:11], v7, off offset:-8
	ds_load_b128 v[12:15], v5
	v_add_nc_u32_e32 v6, 1, v6
	v_add_nc_u32_e32 v5, 16, v5
	;; [unrolled: 1-line block ×3, first 2 shown]
	s_delay_alu instid0(VALU_DEP_3) | instskip(SKIP_4) | instid1(VALU_DEP_2)
	v_cmp_lt_u32_e32 vcc_lo, 36, v6
	s_or_b32 s3, vcc_lo, s3
	s_waitcnt vmcnt(0) lgkmcnt(0)
	v_mul_f64 v[16:17], v[14:15], v[10:11]
	v_mul_f64 v[10:11], v[12:13], v[10:11]
	v_fma_f64 v[12:13], v[12:13], v[8:9], -v[16:17]
	s_delay_alu instid0(VALU_DEP_2) | instskip(NEXT) | instid1(VALU_DEP_2)
	v_fma_f64 v[8:9], v[14:15], v[8:9], v[10:11]
	v_add_f64 v[3:4], v[3:4], v[12:13]
	s_delay_alu instid0(VALU_DEP_2)
	v_add_f64 v[1:2], v[1:2], v[8:9]
	s_and_not1_b32 exec_lo, exec_lo, s3
	s_cbranch_execnz .LBB38_165
; %bb.166:
	s_or_b32 exec_lo, exec_lo, s3
	v_mov_b32_e32 v5, 0
	ds_load_b128 v[5:8], v5 offset:608
	s_waitcnt lgkmcnt(0)
	v_mul_f64 v[9:10], v[1:2], v[7:8]
	v_mul_f64 v[7:8], v[3:4], v[7:8]
	s_delay_alu instid0(VALU_DEP_2) | instskip(NEXT) | instid1(VALU_DEP_2)
	v_fma_f64 v[3:4], v[3:4], v[5:6], -v[9:10]
	v_fma_f64 v[5:6], v[1:2], v[5:6], v[7:8]
	scratch_store_b128 off, v[3:6], off offset:608
.LBB38_167:
	s_or_b32 exec_lo, exec_lo, s2
	s_mov_b32 s3, -1
	s_waitcnt_vscnt null, 0x0
	s_barrier
	buffer_gl0_inv
.LBB38_168:
	s_and_b32 vcc_lo, exec_lo, s3
	s_cbranch_vccz .LBB38_170
; %bb.169:
	s_lshl_b64 s[2:3], s[18:19], 2
	v_mov_b32_e32 v1, 0
	s_add_u32 s2, s6, s2
	s_addc_u32 s3, s7, s3
	global_load_b32 v1, v1, s[2:3]
	s_waitcnt vmcnt(0)
	v_cmp_ne_u32_e32 vcc_lo, 0, v1
	s_cbranch_vccz .LBB38_171
.LBB38_170:
	s_endpgm
.LBB38_171:
	v_lshl_add_u32 v163, v124, 4, 0x270
	s_mov_b32 s2, exec_lo
	v_cmpx_eq_u32_e32 38, v124
	s_cbranch_execz .LBB38_173
; %bb.172:
	scratch_load_b128 v[1:4], v130, off
	v_mov_b32_e32 v5, 0
	s_delay_alu instid0(VALU_DEP_1)
	v_mov_b32_e32 v6, v5
	v_mov_b32_e32 v7, v5
	;; [unrolled: 1-line block ×3, first 2 shown]
	scratch_store_b128 off, v[5:8], off offset:592
	s_waitcnt vmcnt(0)
	ds_store_b128 v163, v[1:4]
.LBB38_173:
	s_or_b32 exec_lo, exec_lo, s2
	s_waitcnt lgkmcnt(0)
	s_waitcnt_vscnt null, 0x0
	s_barrier
	buffer_gl0_inv
	s_clause 0x1
	scratch_load_b128 v[2:5], off, off offset:608
	scratch_load_b128 v[6:9], off, off offset:592
	v_mov_b32_e32 v1, 0
	s_mov_b32 s2, exec_lo
	ds_load_b128 v[10:13], v1 offset:1232
	s_waitcnt vmcnt(1) lgkmcnt(0)
	v_mul_f64 v[14:15], v[12:13], v[4:5]
	v_mul_f64 v[4:5], v[10:11], v[4:5]
	s_delay_alu instid0(VALU_DEP_2) | instskip(NEXT) | instid1(VALU_DEP_2)
	v_fma_f64 v[10:11], v[10:11], v[2:3], -v[14:15]
	v_fma_f64 v[2:3], v[12:13], v[2:3], v[4:5]
	s_delay_alu instid0(VALU_DEP_2) | instskip(NEXT) | instid1(VALU_DEP_2)
	v_add_f64 v[4:5], v[10:11], 0
	v_add_f64 v[10:11], v[2:3], 0
	s_waitcnt vmcnt(0)
	s_delay_alu instid0(VALU_DEP_2) | instskip(NEXT) | instid1(VALU_DEP_2)
	v_add_f64 v[2:3], v[6:7], -v[4:5]
	v_add_f64 v[4:5], v[8:9], -v[10:11]
	scratch_store_b128 off, v[2:5], off offset:592
	v_cmpx_lt_u32_e32 36, v124
	s_cbranch_execz .LBB38_175
; %bb.174:
	scratch_load_b128 v[5:8], v133, off
	v_mov_b32_e32 v2, v1
	v_mov_b32_e32 v3, v1
	;; [unrolled: 1-line block ×3, first 2 shown]
	scratch_store_b128 off, v[1:4], off offset:576
	s_waitcnt vmcnt(0)
	ds_store_b128 v163, v[5:8]
.LBB38_175:
	s_or_b32 exec_lo, exec_lo, s2
	s_waitcnt lgkmcnt(0)
	s_waitcnt_vscnt null, 0x0
	s_barrier
	buffer_gl0_inv
	s_clause 0x2
	scratch_load_b128 v[2:5], off, off offset:592
	scratch_load_b128 v[6:9], off, off offset:608
	;; [unrolled: 1-line block ×3, first 2 shown]
	ds_load_b128 v[14:17], v1 offset:1216
	ds_load_b128 v[18:21], v1 offset:1232
	s_mov_b32 s2, exec_lo
	s_waitcnt vmcnt(2) lgkmcnt(1)
	v_mul_f64 v[22:23], v[16:17], v[4:5]
	v_mul_f64 v[4:5], v[14:15], v[4:5]
	s_waitcnt vmcnt(1) lgkmcnt(0)
	v_mul_f64 v[24:25], v[18:19], v[8:9]
	v_mul_f64 v[8:9], v[20:21], v[8:9]
	s_delay_alu instid0(VALU_DEP_4) | instskip(NEXT) | instid1(VALU_DEP_4)
	v_fma_f64 v[14:15], v[14:15], v[2:3], -v[22:23]
	v_fma_f64 v[1:2], v[16:17], v[2:3], v[4:5]
	s_delay_alu instid0(VALU_DEP_4) | instskip(NEXT) | instid1(VALU_DEP_4)
	v_fma_f64 v[3:4], v[20:21], v[6:7], v[24:25]
	v_fma_f64 v[5:6], v[18:19], v[6:7], -v[8:9]
	s_delay_alu instid0(VALU_DEP_4) | instskip(NEXT) | instid1(VALU_DEP_4)
	v_add_f64 v[7:8], v[14:15], 0
	v_add_f64 v[1:2], v[1:2], 0
	s_delay_alu instid0(VALU_DEP_2) | instskip(NEXT) | instid1(VALU_DEP_2)
	v_add_f64 v[5:6], v[7:8], v[5:6]
	v_add_f64 v[3:4], v[1:2], v[3:4]
	s_waitcnt vmcnt(0)
	s_delay_alu instid0(VALU_DEP_2) | instskip(NEXT) | instid1(VALU_DEP_2)
	v_add_f64 v[1:2], v[10:11], -v[5:6]
	v_add_f64 v[3:4], v[12:13], -v[3:4]
	scratch_store_b128 off, v[1:4], off offset:576
	v_cmpx_lt_u32_e32 35, v124
	s_cbranch_execz .LBB38_177
; %bb.176:
	scratch_load_b128 v[1:4], v135, off
	v_mov_b32_e32 v5, 0
	s_delay_alu instid0(VALU_DEP_1)
	v_mov_b32_e32 v6, v5
	v_mov_b32_e32 v7, v5
	;; [unrolled: 1-line block ×3, first 2 shown]
	scratch_store_b128 off, v[5:8], off offset:560
	s_waitcnt vmcnt(0)
	ds_store_b128 v163, v[1:4]
.LBB38_177:
	s_or_b32 exec_lo, exec_lo, s2
	s_waitcnt lgkmcnt(0)
	s_waitcnt_vscnt null, 0x0
	s_barrier
	buffer_gl0_inv
	s_clause 0x3
	scratch_load_b128 v[2:5], off, off offset:576
	scratch_load_b128 v[6:9], off, off offset:592
	;; [unrolled: 1-line block ×4, first 2 shown]
	v_mov_b32_e32 v1, 0
	ds_load_b128 v[18:21], v1 offset:1200
	ds_load_b128 v[22:25], v1 offset:1216
	s_mov_b32 s2, exec_lo
	s_waitcnt vmcnt(3) lgkmcnt(1)
	v_mul_f64 v[26:27], v[20:21], v[4:5]
	v_mul_f64 v[4:5], v[18:19], v[4:5]
	s_waitcnt vmcnt(2) lgkmcnt(0)
	v_mul_f64 v[28:29], v[22:23], v[8:9]
	v_mul_f64 v[8:9], v[24:25], v[8:9]
	s_delay_alu instid0(VALU_DEP_4) | instskip(NEXT) | instid1(VALU_DEP_4)
	v_fma_f64 v[18:19], v[18:19], v[2:3], -v[26:27]
	v_fma_f64 v[20:21], v[20:21], v[2:3], v[4:5]
	ds_load_b128 v[2:5], v1 offset:1232
	v_fma_f64 v[24:25], v[24:25], v[6:7], v[28:29]
	v_fma_f64 v[6:7], v[22:23], v[6:7], -v[8:9]
	s_waitcnt vmcnt(1) lgkmcnt(0)
	v_mul_f64 v[26:27], v[2:3], v[12:13]
	v_mul_f64 v[12:13], v[4:5], v[12:13]
	v_add_f64 v[8:9], v[18:19], 0
	v_add_f64 v[18:19], v[20:21], 0
	s_delay_alu instid0(VALU_DEP_4) | instskip(NEXT) | instid1(VALU_DEP_4)
	v_fma_f64 v[4:5], v[4:5], v[10:11], v[26:27]
	v_fma_f64 v[2:3], v[2:3], v[10:11], -v[12:13]
	s_delay_alu instid0(VALU_DEP_4) | instskip(NEXT) | instid1(VALU_DEP_4)
	v_add_f64 v[6:7], v[8:9], v[6:7]
	v_add_f64 v[8:9], v[18:19], v[24:25]
	s_delay_alu instid0(VALU_DEP_2) | instskip(NEXT) | instid1(VALU_DEP_2)
	v_add_f64 v[2:3], v[6:7], v[2:3]
	v_add_f64 v[4:5], v[8:9], v[4:5]
	s_waitcnt vmcnt(0)
	s_delay_alu instid0(VALU_DEP_2) | instskip(NEXT) | instid1(VALU_DEP_2)
	v_add_f64 v[2:3], v[14:15], -v[2:3]
	v_add_f64 v[4:5], v[16:17], -v[4:5]
	scratch_store_b128 off, v[2:5], off offset:560
	v_cmpx_lt_u32_e32 34, v124
	s_cbranch_execz .LBB38_179
; %bb.178:
	scratch_load_b128 v[5:8], v137, off
	v_mov_b32_e32 v2, v1
	v_mov_b32_e32 v3, v1
	;; [unrolled: 1-line block ×3, first 2 shown]
	scratch_store_b128 off, v[1:4], off offset:544
	s_waitcnt vmcnt(0)
	ds_store_b128 v163, v[5:8]
.LBB38_179:
	s_or_b32 exec_lo, exec_lo, s2
	s_waitcnt lgkmcnt(0)
	s_waitcnt_vscnt null, 0x0
	s_barrier
	buffer_gl0_inv
	s_clause 0x4
	scratch_load_b128 v[2:5], off, off offset:560
	scratch_load_b128 v[6:9], off, off offset:576
	;; [unrolled: 1-line block ×5, first 2 shown]
	ds_load_b128 v[22:25], v1 offset:1184
	ds_load_b128 v[26:29], v1 offset:1200
	s_mov_b32 s2, exec_lo
	s_waitcnt vmcnt(4) lgkmcnt(1)
	v_mul_f64 v[30:31], v[24:25], v[4:5]
	v_mul_f64 v[4:5], v[22:23], v[4:5]
	s_waitcnt vmcnt(3) lgkmcnt(0)
	v_mul_f64 v[32:33], v[26:27], v[8:9]
	v_mul_f64 v[8:9], v[28:29], v[8:9]
	s_delay_alu instid0(VALU_DEP_4) | instskip(NEXT) | instid1(VALU_DEP_4)
	v_fma_f64 v[30:31], v[22:23], v[2:3], -v[30:31]
	v_fma_f64 v[34:35], v[24:25], v[2:3], v[4:5]
	ds_load_b128 v[2:5], v1 offset:1216
	ds_load_b128 v[22:25], v1 offset:1232
	v_fma_f64 v[28:29], v[28:29], v[6:7], v[32:33]
	v_fma_f64 v[6:7], v[26:27], v[6:7], -v[8:9]
	s_waitcnt vmcnt(2) lgkmcnt(1)
	v_mul_f64 v[36:37], v[2:3], v[12:13]
	v_mul_f64 v[12:13], v[4:5], v[12:13]
	v_add_f64 v[8:9], v[30:31], 0
	v_add_f64 v[26:27], v[34:35], 0
	s_waitcnt vmcnt(1) lgkmcnt(0)
	v_mul_f64 v[30:31], v[22:23], v[16:17]
	v_mul_f64 v[16:17], v[24:25], v[16:17]
	v_fma_f64 v[4:5], v[4:5], v[10:11], v[36:37]
	v_fma_f64 v[1:2], v[2:3], v[10:11], -v[12:13]
	v_add_f64 v[6:7], v[8:9], v[6:7]
	v_add_f64 v[8:9], v[26:27], v[28:29]
	v_fma_f64 v[10:11], v[24:25], v[14:15], v[30:31]
	v_fma_f64 v[12:13], v[22:23], v[14:15], -v[16:17]
	s_delay_alu instid0(VALU_DEP_4) | instskip(NEXT) | instid1(VALU_DEP_4)
	v_add_f64 v[1:2], v[6:7], v[1:2]
	v_add_f64 v[3:4], v[8:9], v[4:5]
	s_delay_alu instid0(VALU_DEP_2) | instskip(NEXT) | instid1(VALU_DEP_2)
	v_add_f64 v[1:2], v[1:2], v[12:13]
	v_add_f64 v[3:4], v[3:4], v[10:11]
	s_waitcnt vmcnt(0)
	s_delay_alu instid0(VALU_DEP_2) | instskip(NEXT) | instid1(VALU_DEP_2)
	v_add_f64 v[1:2], v[18:19], -v[1:2]
	v_add_f64 v[3:4], v[20:21], -v[3:4]
	scratch_store_b128 off, v[1:4], off offset:544
	v_cmpx_lt_u32_e32 33, v124
	s_cbranch_execz .LBB38_181
; %bb.180:
	scratch_load_b128 v[1:4], v139, off
	v_mov_b32_e32 v5, 0
	s_delay_alu instid0(VALU_DEP_1)
	v_mov_b32_e32 v6, v5
	v_mov_b32_e32 v7, v5
	;; [unrolled: 1-line block ×3, first 2 shown]
	scratch_store_b128 off, v[5:8], off offset:528
	s_waitcnt vmcnt(0)
	ds_store_b128 v163, v[1:4]
.LBB38_181:
	s_or_b32 exec_lo, exec_lo, s2
	s_waitcnt lgkmcnt(0)
	s_waitcnt_vscnt null, 0x0
	s_barrier
	buffer_gl0_inv
	s_clause 0x5
	scratch_load_b128 v[2:5], off, off offset:544
	scratch_load_b128 v[6:9], off, off offset:560
	;; [unrolled: 1-line block ×6, first 2 shown]
	v_mov_b32_e32 v1, 0
	ds_load_b128 v[26:29], v1 offset:1168
	ds_load_b128 v[30:33], v1 offset:1184
	s_mov_b32 s2, exec_lo
	s_waitcnt vmcnt(5) lgkmcnt(1)
	v_mul_f64 v[34:35], v[28:29], v[4:5]
	v_mul_f64 v[4:5], v[26:27], v[4:5]
	s_waitcnt vmcnt(4) lgkmcnt(0)
	v_mul_f64 v[36:37], v[30:31], v[8:9]
	v_mul_f64 v[8:9], v[32:33], v[8:9]
	s_delay_alu instid0(VALU_DEP_4) | instskip(NEXT) | instid1(VALU_DEP_4)
	v_fma_f64 v[34:35], v[26:27], v[2:3], -v[34:35]
	v_fma_f64 v[38:39], v[28:29], v[2:3], v[4:5]
	ds_load_b128 v[2:5], v1 offset:1200
	ds_load_b128 v[26:29], v1 offset:1216
	v_fma_f64 v[32:33], v[32:33], v[6:7], v[36:37]
	v_fma_f64 v[6:7], v[30:31], v[6:7], -v[8:9]
	s_waitcnt vmcnt(3) lgkmcnt(1)
	v_mul_f64 v[40:41], v[2:3], v[12:13]
	v_mul_f64 v[12:13], v[4:5], v[12:13]
	v_add_f64 v[8:9], v[34:35], 0
	v_add_f64 v[30:31], v[38:39], 0
	s_waitcnt vmcnt(2) lgkmcnt(0)
	v_mul_f64 v[34:35], v[26:27], v[16:17]
	v_mul_f64 v[16:17], v[28:29], v[16:17]
	v_fma_f64 v[36:37], v[4:5], v[10:11], v[40:41]
	v_fma_f64 v[10:11], v[2:3], v[10:11], -v[12:13]
	ds_load_b128 v[2:5], v1 offset:1232
	v_add_f64 v[6:7], v[8:9], v[6:7]
	v_add_f64 v[8:9], v[30:31], v[32:33]
	v_fma_f64 v[28:29], v[28:29], v[14:15], v[34:35]
	v_fma_f64 v[14:15], v[26:27], v[14:15], -v[16:17]
	s_waitcnt vmcnt(1) lgkmcnt(0)
	v_mul_f64 v[12:13], v[2:3], v[20:21]
	v_mul_f64 v[20:21], v[4:5], v[20:21]
	v_add_f64 v[6:7], v[6:7], v[10:11]
	v_add_f64 v[8:9], v[8:9], v[36:37]
	s_delay_alu instid0(VALU_DEP_4) | instskip(NEXT) | instid1(VALU_DEP_4)
	v_fma_f64 v[4:5], v[4:5], v[18:19], v[12:13]
	v_fma_f64 v[2:3], v[2:3], v[18:19], -v[20:21]
	s_delay_alu instid0(VALU_DEP_4) | instskip(NEXT) | instid1(VALU_DEP_4)
	v_add_f64 v[6:7], v[6:7], v[14:15]
	v_add_f64 v[8:9], v[8:9], v[28:29]
	s_delay_alu instid0(VALU_DEP_2) | instskip(NEXT) | instid1(VALU_DEP_2)
	v_add_f64 v[2:3], v[6:7], v[2:3]
	v_add_f64 v[4:5], v[8:9], v[4:5]
	s_waitcnt vmcnt(0)
	s_delay_alu instid0(VALU_DEP_2) | instskip(NEXT) | instid1(VALU_DEP_2)
	v_add_f64 v[2:3], v[22:23], -v[2:3]
	v_add_f64 v[4:5], v[24:25], -v[4:5]
	scratch_store_b128 off, v[2:5], off offset:528
	v_cmpx_lt_u32_e32 32, v124
	s_cbranch_execz .LBB38_183
; %bb.182:
	scratch_load_b128 v[5:8], v143, off
	v_mov_b32_e32 v2, v1
	v_mov_b32_e32 v3, v1
	;; [unrolled: 1-line block ×3, first 2 shown]
	scratch_store_b128 off, v[1:4], off offset:512
	s_waitcnt vmcnt(0)
	ds_store_b128 v163, v[5:8]
.LBB38_183:
	s_or_b32 exec_lo, exec_lo, s2
	s_waitcnt lgkmcnt(0)
	s_waitcnt_vscnt null, 0x0
	s_barrier
	buffer_gl0_inv
	s_clause 0x5
	scratch_load_b128 v[2:5], off, off offset:528
	scratch_load_b128 v[6:9], off, off offset:544
	;; [unrolled: 1-line block ×6, first 2 shown]
	ds_load_b128 v[26:29], v1 offset:1152
	ds_load_b128 v[34:37], v1 offset:1168
	scratch_load_b128 v[30:33], off, off offset:512
	s_mov_b32 s2, exec_lo
	s_waitcnt vmcnt(6) lgkmcnt(1)
	v_mul_f64 v[38:39], v[28:29], v[4:5]
	v_mul_f64 v[4:5], v[26:27], v[4:5]
	s_waitcnt vmcnt(5) lgkmcnt(0)
	v_mul_f64 v[40:41], v[34:35], v[8:9]
	v_mul_f64 v[8:9], v[36:37], v[8:9]
	s_delay_alu instid0(VALU_DEP_4) | instskip(NEXT) | instid1(VALU_DEP_4)
	v_fma_f64 v[38:39], v[26:27], v[2:3], -v[38:39]
	v_fma_f64 v[42:43], v[28:29], v[2:3], v[4:5]
	ds_load_b128 v[2:5], v1 offset:1184
	ds_load_b128 v[26:29], v1 offset:1200
	v_fma_f64 v[36:37], v[36:37], v[6:7], v[40:41]
	v_fma_f64 v[6:7], v[34:35], v[6:7], -v[8:9]
	s_waitcnt vmcnt(4) lgkmcnt(1)
	v_mul_f64 v[44:45], v[2:3], v[12:13]
	v_mul_f64 v[12:13], v[4:5], v[12:13]
	v_add_f64 v[8:9], v[38:39], 0
	v_add_f64 v[34:35], v[42:43], 0
	s_waitcnt vmcnt(3) lgkmcnt(0)
	v_mul_f64 v[38:39], v[26:27], v[16:17]
	v_mul_f64 v[16:17], v[28:29], v[16:17]
	v_fma_f64 v[40:41], v[4:5], v[10:11], v[44:45]
	v_fma_f64 v[10:11], v[2:3], v[10:11], -v[12:13]
	v_add_f64 v[12:13], v[8:9], v[6:7]
	v_add_f64 v[34:35], v[34:35], v[36:37]
	ds_load_b128 v[2:5], v1 offset:1216
	ds_load_b128 v[6:9], v1 offset:1232
	v_fma_f64 v[28:29], v[28:29], v[14:15], v[38:39]
	v_fma_f64 v[14:15], v[26:27], v[14:15], -v[16:17]
	s_waitcnt vmcnt(2) lgkmcnt(1)
	v_mul_f64 v[36:37], v[2:3], v[20:21]
	v_mul_f64 v[20:21], v[4:5], v[20:21]
	s_waitcnt vmcnt(1) lgkmcnt(0)
	v_mul_f64 v[16:17], v[6:7], v[24:25]
	v_mul_f64 v[24:25], v[8:9], v[24:25]
	v_add_f64 v[10:11], v[12:13], v[10:11]
	v_add_f64 v[12:13], v[34:35], v[40:41]
	v_fma_f64 v[4:5], v[4:5], v[18:19], v[36:37]
	v_fma_f64 v[1:2], v[2:3], v[18:19], -v[20:21]
	v_fma_f64 v[8:9], v[8:9], v[22:23], v[16:17]
	v_fma_f64 v[6:7], v[6:7], v[22:23], -v[24:25]
	v_add_f64 v[10:11], v[10:11], v[14:15]
	v_add_f64 v[12:13], v[12:13], v[28:29]
	s_delay_alu instid0(VALU_DEP_2) | instskip(NEXT) | instid1(VALU_DEP_2)
	v_add_f64 v[1:2], v[10:11], v[1:2]
	v_add_f64 v[3:4], v[12:13], v[4:5]
	s_delay_alu instid0(VALU_DEP_2) | instskip(NEXT) | instid1(VALU_DEP_2)
	v_add_f64 v[1:2], v[1:2], v[6:7]
	v_add_f64 v[3:4], v[3:4], v[8:9]
	s_waitcnt vmcnt(0)
	s_delay_alu instid0(VALU_DEP_2) | instskip(NEXT) | instid1(VALU_DEP_2)
	v_add_f64 v[1:2], v[30:31], -v[1:2]
	v_add_f64 v[3:4], v[32:33], -v[3:4]
	scratch_store_b128 off, v[1:4], off offset:512
	v_cmpx_lt_u32_e32 31, v124
	s_cbranch_execz .LBB38_185
; %bb.184:
	scratch_load_b128 v[1:4], v145, off
	v_mov_b32_e32 v5, 0
	s_delay_alu instid0(VALU_DEP_1)
	v_mov_b32_e32 v6, v5
	v_mov_b32_e32 v7, v5
	;; [unrolled: 1-line block ×3, first 2 shown]
	scratch_store_b128 off, v[5:8], off offset:496
	s_waitcnt vmcnt(0)
	ds_store_b128 v163, v[1:4]
.LBB38_185:
	s_or_b32 exec_lo, exec_lo, s2
	s_waitcnt lgkmcnt(0)
	s_waitcnt_vscnt null, 0x0
	s_barrier
	buffer_gl0_inv
	s_clause 0x6
	scratch_load_b128 v[2:5], off, off offset:512
	scratch_load_b128 v[6:9], off, off offset:528
	;; [unrolled: 1-line block ×7, first 2 shown]
	v_mov_b32_e32 v1, 0
	scratch_load_b128 v[38:41], off, off offset:496
	s_mov_b32 s2, exec_lo
	ds_load_b128 v[30:33], v1 offset:1136
	ds_load_b128 v[34:37], v1 offset:1152
	s_waitcnt vmcnt(7) lgkmcnt(1)
	v_mul_f64 v[42:43], v[32:33], v[4:5]
	v_mul_f64 v[4:5], v[30:31], v[4:5]
	s_waitcnt vmcnt(6) lgkmcnt(0)
	v_mul_f64 v[44:45], v[34:35], v[8:9]
	v_mul_f64 v[8:9], v[36:37], v[8:9]
	s_delay_alu instid0(VALU_DEP_4) | instskip(NEXT) | instid1(VALU_DEP_4)
	v_fma_f64 v[30:31], v[30:31], v[2:3], -v[42:43]
	v_fma_f64 v[32:33], v[32:33], v[2:3], v[4:5]
	ds_load_b128 v[2:5], v1 offset:1168
	v_fma_f64 v[36:37], v[36:37], v[6:7], v[44:45]
	v_fma_f64 v[34:35], v[34:35], v[6:7], -v[8:9]
	ds_load_b128 v[6:9], v1 offset:1184
	s_waitcnt vmcnt(5) lgkmcnt(1)
	v_mul_f64 v[42:43], v[2:3], v[12:13]
	v_mul_f64 v[12:13], v[4:5], v[12:13]
	s_waitcnt vmcnt(4) lgkmcnt(0)
	v_mul_f64 v[44:45], v[6:7], v[16:17]
	v_mul_f64 v[16:17], v[8:9], v[16:17]
	v_add_f64 v[30:31], v[30:31], 0
	v_add_f64 v[32:33], v[32:33], 0
	v_fma_f64 v[42:43], v[4:5], v[10:11], v[42:43]
	v_fma_f64 v[10:11], v[2:3], v[10:11], -v[12:13]
	ds_load_b128 v[2:5], v1 offset:1200
	v_add_f64 v[12:13], v[30:31], v[34:35]
	v_add_f64 v[30:31], v[32:33], v[36:37]
	v_fma_f64 v[34:35], v[8:9], v[14:15], v[44:45]
	v_fma_f64 v[14:15], v[6:7], v[14:15], -v[16:17]
	ds_load_b128 v[6:9], v1 offset:1216
	s_waitcnt vmcnt(3) lgkmcnt(1)
	v_mul_f64 v[32:33], v[2:3], v[20:21]
	v_mul_f64 v[20:21], v[4:5], v[20:21]
	s_waitcnt vmcnt(2) lgkmcnt(0)
	v_mul_f64 v[16:17], v[6:7], v[24:25]
	v_mul_f64 v[24:25], v[8:9], v[24:25]
	v_add_f64 v[10:11], v[12:13], v[10:11]
	v_add_f64 v[12:13], v[30:31], v[42:43]
	v_fma_f64 v[30:31], v[4:5], v[18:19], v[32:33]
	v_fma_f64 v[18:19], v[2:3], v[18:19], -v[20:21]
	ds_load_b128 v[2:5], v1 offset:1232
	v_fma_f64 v[8:9], v[8:9], v[22:23], v[16:17]
	v_fma_f64 v[6:7], v[6:7], v[22:23], -v[24:25]
	s_waitcnt vmcnt(1) lgkmcnt(0)
	v_mul_f64 v[20:21], v[4:5], v[28:29]
	v_add_f64 v[10:11], v[10:11], v[14:15]
	v_add_f64 v[12:13], v[12:13], v[34:35]
	v_mul_f64 v[14:15], v[2:3], v[28:29]
	s_delay_alu instid0(VALU_DEP_4) | instskip(NEXT) | instid1(VALU_DEP_4)
	v_fma_f64 v[2:3], v[2:3], v[26:27], -v[20:21]
	v_add_f64 v[10:11], v[10:11], v[18:19]
	s_delay_alu instid0(VALU_DEP_4) | instskip(NEXT) | instid1(VALU_DEP_4)
	v_add_f64 v[12:13], v[12:13], v[30:31]
	v_fma_f64 v[4:5], v[4:5], v[26:27], v[14:15]
	s_delay_alu instid0(VALU_DEP_3) | instskip(NEXT) | instid1(VALU_DEP_3)
	v_add_f64 v[6:7], v[10:11], v[6:7]
	v_add_f64 v[8:9], v[12:13], v[8:9]
	s_delay_alu instid0(VALU_DEP_2) | instskip(NEXT) | instid1(VALU_DEP_2)
	v_add_f64 v[2:3], v[6:7], v[2:3]
	v_add_f64 v[4:5], v[8:9], v[4:5]
	s_waitcnt vmcnt(0)
	s_delay_alu instid0(VALU_DEP_2) | instskip(NEXT) | instid1(VALU_DEP_2)
	v_add_f64 v[2:3], v[38:39], -v[2:3]
	v_add_f64 v[4:5], v[40:41], -v[4:5]
	scratch_store_b128 off, v[2:5], off offset:496
	v_cmpx_lt_u32_e32 30, v124
	s_cbranch_execz .LBB38_187
; %bb.186:
	scratch_load_b128 v[5:8], v149, off
	v_mov_b32_e32 v2, v1
	v_mov_b32_e32 v3, v1
	;; [unrolled: 1-line block ×3, first 2 shown]
	scratch_store_b128 off, v[1:4], off offset:480
	s_waitcnt vmcnt(0)
	ds_store_b128 v163, v[5:8]
.LBB38_187:
	s_or_b32 exec_lo, exec_lo, s2
	s_waitcnt lgkmcnt(0)
	s_waitcnt_vscnt null, 0x0
	s_barrier
	buffer_gl0_inv
	s_clause 0x7
	scratch_load_b128 v[2:5], off, off offset:496
	scratch_load_b128 v[6:9], off, off offset:512
	;; [unrolled: 1-line block ×8, first 2 shown]
	ds_load_b128 v[34:37], v1 offset:1120
	ds_load_b128 v[38:41], v1 offset:1136
	s_mov_b32 s2, exec_lo
	s_waitcnt vmcnt(7) lgkmcnt(1)
	v_mul_f64 v[42:43], v[36:37], v[4:5]
	v_mul_f64 v[4:5], v[34:35], v[4:5]
	s_waitcnt vmcnt(6) lgkmcnt(0)
	v_mul_f64 v[44:45], v[38:39], v[8:9]
	v_mul_f64 v[8:9], v[40:41], v[8:9]
	s_delay_alu instid0(VALU_DEP_4) | instskip(NEXT) | instid1(VALU_DEP_4)
	v_fma_f64 v[42:43], v[34:35], v[2:3], -v[42:43]
	v_fma_f64 v[164:165], v[36:37], v[2:3], v[4:5]
	ds_load_b128 v[2:5], v1 offset:1152
	scratch_load_b128 v[34:37], off, off offset:480
	v_fma_f64 v[40:41], v[40:41], v[6:7], v[44:45]
	v_fma_f64 v[38:39], v[38:39], v[6:7], -v[8:9]
	ds_load_b128 v[6:9], v1 offset:1168
	s_waitcnt vmcnt(6) lgkmcnt(1)
	v_mul_f64 v[166:167], v[2:3], v[12:13]
	v_mul_f64 v[12:13], v[4:5], v[12:13]
	v_add_f64 v[42:43], v[42:43], 0
	v_add_f64 v[44:45], v[164:165], 0
	s_waitcnt vmcnt(5) lgkmcnt(0)
	v_mul_f64 v[164:165], v[6:7], v[16:17]
	v_mul_f64 v[16:17], v[8:9], v[16:17]
	v_fma_f64 v[166:167], v[4:5], v[10:11], v[166:167]
	v_fma_f64 v[10:11], v[2:3], v[10:11], -v[12:13]
	ds_load_b128 v[2:5], v1 offset:1184
	v_add_f64 v[12:13], v[42:43], v[38:39]
	v_add_f64 v[38:39], v[44:45], v[40:41]
	v_fma_f64 v[42:43], v[8:9], v[14:15], v[164:165]
	v_fma_f64 v[14:15], v[6:7], v[14:15], -v[16:17]
	ds_load_b128 v[6:9], v1 offset:1200
	s_waitcnt vmcnt(4) lgkmcnt(1)
	v_mul_f64 v[40:41], v[2:3], v[20:21]
	v_mul_f64 v[20:21], v[4:5], v[20:21]
	s_waitcnt vmcnt(3) lgkmcnt(0)
	v_mul_f64 v[16:17], v[6:7], v[24:25]
	v_mul_f64 v[24:25], v[8:9], v[24:25]
	v_add_f64 v[10:11], v[12:13], v[10:11]
	v_add_f64 v[12:13], v[38:39], v[166:167]
	v_fma_f64 v[38:39], v[4:5], v[18:19], v[40:41]
	v_fma_f64 v[18:19], v[2:3], v[18:19], -v[20:21]
	ds_load_b128 v[2:5], v1 offset:1216
	v_fma_f64 v[16:17], v[8:9], v[22:23], v[16:17]
	v_fma_f64 v[22:23], v[6:7], v[22:23], -v[24:25]
	ds_load_b128 v[6:9], v1 offset:1232
	s_waitcnt vmcnt(2) lgkmcnt(1)
	v_mul_f64 v[20:21], v[4:5], v[28:29]
	v_add_f64 v[10:11], v[10:11], v[14:15]
	v_add_f64 v[12:13], v[12:13], v[42:43]
	v_mul_f64 v[14:15], v[2:3], v[28:29]
	s_waitcnt vmcnt(1) lgkmcnt(0)
	v_mul_f64 v[24:25], v[8:9], v[32:33]
	v_fma_f64 v[1:2], v[2:3], v[26:27], -v[20:21]
	v_add_f64 v[10:11], v[10:11], v[18:19]
	v_add_f64 v[12:13], v[12:13], v[38:39]
	v_mul_f64 v[18:19], v[6:7], v[32:33]
	v_fma_f64 v[4:5], v[4:5], v[26:27], v[14:15]
	v_fma_f64 v[6:7], v[6:7], v[30:31], -v[24:25]
	v_add_f64 v[10:11], v[10:11], v[22:23]
	v_add_f64 v[12:13], v[12:13], v[16:17]
	v_fma_f64 v[8:9], v[8:9], v[30:31], v[18:19]
	s_delay_alu instid0(VALU_DEP_3) | instskip(NEXT) | instid1(VALU_DEP_3)
	v_add_f64 v[1:2], v[10:11], v[1:2]
	v_add_f64 v[3:4], v[12:13], v[4:5]
	s_delay_alu instid0(VALU_DEP_2) | instskip(NEXT) | instid1(VALU_DEP_2)
	v_add_f64 v[1:2], v[1:2], v[6:7]
	v_add_f64 v[3:4], v[3:4], v[8:9]
	s_waitcnt vmcnt(0)
	s_delay_alu instid0(VALU_DEP_2) | instskip(NEXT) | instid1(VALU_DEP_2)
	v_add_f64 v[1:2], v[34:35], -v[1:2]
	v_add_f64 v[3:4], v[36:37], -v[3:4]
	scratch_store_b128 off, v[1:4], off offset:480
	v_cmpx_lt_u32_e32 29, v124
	s_cbranch_execz .LBB38_189
; %bb.188:
	scratch_load_b128 v[1:4], v152, off
	v_mov_b32_e32 v5, 0
	s_delay_alu instid0(VALU_DEP_1)
	v_mov_b32_e32 v6, v5
	v_mov_b32_e32 v7, v5
	v_mov_b32_e32 v8, v5
	scratch_store_b128 off, v[5:8], off offset:464
	s_waitcnt vmcnt(0)
	ds_store_b128 v163, v[1:4]
.LBB38_189:
	s_or_b32 exec_lo, exec_lo, s2
	s_waitcnt lgkmcnt(0)
	s_waitcnt_vscnt null, 0x0
	s_barrier
	buffer_gl0_inv
	s_clause 0x7
	scratch_load_b128 v[2:5], off, off offset:480
	scratch_load_b128 v[6:9], off, off offset:496
	;; [unrolled: 1-line block ×8, first 2 shown]
	v_mov_b32_e32 v1, 0
	s_mov_b32 s2, exec_lo
	ds_load_b128 v[34:37], v1 offset:1104
	s_clause 0x1
	scratch_load_b128 v[38:41], off, off offset:608
	scratch_load_b128 v[42:45], off, off offset:464
	ds_load_b128 v[164:167], v1 offset:1120
	s_waitcnt vmcnt(9) lgkmcnt(1)
	v_mul_f64 v[168:169], v[36:37], v[4:5]
	v_mul_f64 v[4:5], v[34:35], v[4:5]
	s_waitcnt vmcnt(8) lgkmcnt(0)
	v_mul_f64 v[170:171], v[164:165], v[8:9]
	v_mul_f64 v[8:9], v[166:167], v[8:9]
	s_delay_alu instid0(VALU_DEP_4) | instskip(NEXT) | instid1(VALU_DEP_4)
	v_fma_f64 v[168:169], v[34:35], v[2:3], -v[168:169]
	v_fma_f64 v[172:173], v[36:37], v[2:3], v[4:5]
	ds_load_b128 v[2:5], v1 offset:1136
	ds_load_b128 v[34:37], v1 offset:1152
	v_fma_f64 v[166:167], v[166:167], v[6:7], v[170:171]
	v_fma_f64 v[6:7], v[164:165], v[6:7], -v[8:9]
	s_waitcnt vmcnt(7) lgkmcnt(1)
	v_mul_f64 v[174:175], v[2:3], v[12:13]
	v_mul_f64 v[12:13], v[4:5], v[12:13]
	v_add_f64 v[8:9], v[168:169], 0
	v_add_f64 v[164:165], v[172:173], 0
	s_waitcnt vmcnt(6) lgkmcnt(0)
	v_mul_f64 v[168:169], v[34:35], v[16:17]
	v_mul_f64 v[16:17], v[36:37], v[16:17]
	v_fma_f64 v[170:171], v[4:5], v[10:11], v[174:175]
	v_fma_f64 v[10:11], v[2:3], v[10:11], -v[12:13]
	v_add_f64 v[12:13], v[8:9], v[6:7]
	v_add_f64 v[164:165], v[164:165], v[166:167]
	ds_load_b128 v[2:5], v1 offset:1168
	ds_load_b128 v[6:9], v1 offset:1184
	v_fma_f64 v[36:37], v[36:37], v[14:15], v[168:169]
	v_fma_f64 v[14:15], v[34:35], v[14:15], -v[16:17]
	s_waitcnt vmcnt(5) lgkmcnt(1)
	v_mul_f64 v[166:167], v[2:3], v[20:21]
	v_mul_f64 v[20:21], v[4:5], v[20:21]
	s_waitcnt vmcnt(4) lgkmcnt(0)
	v_mul_f64 v[16:17], v[6:7], v[24:25]
	v_mul_f64 v[24:25], v[8:9], v[24:25]
	v_add_f64 v[10:11], v[12:13], v[10:11]
	v_add_f64 v[12:13], v[164:165], v[170:171]
	v_fma_f64 v[34:35], v[4:5], v[18:19], v[166:167]
	v_fma_f64 v[18:19], v[2:3], v[18:19], -v[20:21]
	v_fma_f64 v[8:9], v[8:9], v[22:23], v[16:17]
	v_fma_f64 v[6:7], v[6:7], v[22:23], -v[24:25]
	v_add_f64 v[14:15], v[10:11], v[14:15]
	v_add_f64 v[20:21], v[12:13], v[36:37]
	ds_load_b128 v[2:5], v1 offset:1200
	ds_load_b128 v[10:13], v1 offset:1216
	s_waitcnt vmcnt(3) lgkmcnt(1)
	v_mul_f64 v[36:37], v[2:3], v[28:29]
	v_mul_f64 v[28:29], v[4:5], v[28:29]
	v_add_f64 v[14:15], v[14:15], v[18:19]
	v_add_f64 v[16:17], v[20:21], v[34:35]
	s_waitcnt vmcnt(2) lgkmcnt(0)
	v_mul_f64 v[18:19], v[10:11], v[32:33]
	v_mul_f64 v[20:21], v[12:13], v[32:33]
	v_fma_f64 v[22:23], v[4:5], v[26:27], v[36:37]
	v_fma_f64 v[24:25], v[2:3], v[26:27], -v[28:29]
	ds_load_b128 v[2:5], v1 offset:1232
	v_add_f64 v[6:7], v[14:15], v[6:7]
	v_add_f64 v[8:9], v[16:17], v[8:9]
	v_fma_f64 v[12:13], v[12:13], v[30:31], v[18:19]
	v_fma_f64 v[10:11], v[10:11], v[30:31], -v[20:21]
	s_waitcnt vmcnt(1) lgkmcnt(0)
	v_mul_f64 v[14:15], v[2:3], v[40:41]
	v_mul_f64 v[16:17], v[4:5], v[40:41]
	v_add_f64 v[6:7], v[6:7], v[24:25]
	v_add_f64 v[8:9], v[8:9], v[22:23]
	s_delay_alu instid0(VALU_DEP_4) | instskip(NEXT) | instid1(VALU_DEP_4)
	v_fma_f64 v[4:5], v[4:5], v[38:39], v[14:15]
	v_fma_f64 v[2:3], v[2:3], v[38:39], -v[16:17]
	s_delay_alu instid0(VALU_DEP_4) | instskip(NEXT) | instid1(VALU_DEP_4)
	v_add_f64 v[6:7], v[6:7], v[10:11]
	v_add_f64 v[8:9], v[8:9], v[12:13]
	s_delay_alu instid0(VALU_DEP_2) | instskip(NEXT) | instid1(VALU_DEP_2)
	v_add_f64 v[2:3], v[6:7], v[2:3]
	v_add_f64 v[4:5], v[8:9], v[4:5]
	s_waitcnt vmcnt(0)
	s_delay_alu instid0(VALU_DEP_2) | instskip(NEXT) | instid1(VALU_DEP_2)
	v_add_f64 v[2:3], v[42:43], -v[2:3]
	v_add_f64 v[4:5], v[44:45], -v[4:5]
	scratch_store_b128 off, v[2:5], off offset:464
	v_cmpx_lt_u32_e32 28, v124
	s_cbranch_execz .LBB38_191
; %bb.190:
	scratch_load_b128 v[5:8], v157, off
	v_mov_b32_e32 v2, v1
	v_mov_b32_e32 v3, v1
	;; [unrolled: 1-line block ×3, first 2 shown]
	scratch_store_b128 off, v[1:4], off offset:448
	s_waitcnt vmcnt(0)
	ds_store_b128 v163, v[5:8]
.LBB38_191:
	s_or_b32 exec_lo, exec_lo, s2
	s_waitcnt lgkmcnt(0)
	s_waitcnt_vscnt null, 0x0
	s_barrier
	buffer_gl0_inv
	s_clause 0x8
	scratch_load_b128 v[2:5], off, off offset:464
	scratch_load_b128 v[6:9], off, off offset:480
	;; [unrolled: 1-line block ×9, first 2 shown]
	ds_load_b128 v[38:41], v1 offset:1088
	ds_load_b128 v[42:45], v1 offset:1104
	s_clause 0x1
	scratch_load_b128 v[164:167], off, off offset:448
	scratch_load_b128 v[168:171], off, off offset:608
	s_mov_b32 s2, exec_lo
	s_waitcnt vmcnt(10) lgkmcnt(1)
	v_mul_f64 v[172:173], v[40:41], v[4:5]
	v_mul_f64 v[4:5], v[38:39], v[4:5]
	s_waitcnt vmcnt(9) lgkmcnt(0)
	v_mul_f64 v[174:175], v[42:43], v[8:9]
	v_mul_f64 v[8:9], v[44:45], v[8:9]
	s_delay_alu instid0(VALU_DEP_4) | instskip(NEXT) | instid1(VALU_DEP_4)
	v_fma_f64 v[172:173], v[38:39], v[2:3], -v[172:173]
	v_fma_f64 v[176:177], v[40:41], v[2:3], v[4:5]
	ds_load_b128 v[2:5], v1 offset:1120
	ds_load_b128 v[38:41], v1 offset:1136
	v_fma_f64 v[44:45], v[44:45], v[6:7], v[174:175]
	v_fma_f64 v[6:7], v[42:43], v[6:7], -v[8:9]
	s_waitcnt vmcnt(8) lgkmcnt(1)
	v_mul_f64 v[178:179], v[2:3], v[12:13]
	v_mul_f64 v[12:13], v[4:5], v[12:13]
	v_add_f64 v[8:9], v[172:173], 0
	v_add_f64 v[42:43], v[176:177], 0
	s_waitcnt vmcnt(7) lgkmcnt(0)
	v_mul_f64 v[172:173], v[38:39], v[16:17]
	v_mul_f64 v[16:17], v[40:41], v[16:17]
	v_fma_f64 v[174:175], v[4:5], v[10:11], v[178:179]
	v_fma_f64 v[10:11], v[2:3], v[10:11], -v[12:13]
	v_add_f64 v[12:13], v[8:9], v[6:7]
	v_add_f64 v[42:43], v[42:43], v[44:45]
	ds_load_b128 v[2:5], v1 offset:1152
	ds_load_b128 v[6:9], v1 offset:1168
	v_fma_f64 v[40:41], v[40:41], v[14:15], v[172:173]
	v_fma_f64 v[14:15], v[38:39], v[14:15], -v[16:17]
	s_waitcnt vmcnt(6) lgkmcnt(1)
	v_mul_f64 v[44:45], v[2:3], v[20:21]
	v_mul_f64 v[20:21], v[4:5], v[20:21]
	s_waitcnt vmcnt(5) lgkmcnt(0)
	v_mul_f64 v[16:17], v[6:7], v[24:25]
	v_mul_f64 v[24:25], v[8:9], v[24:25]
	v_add_f64 v[10:11], v[12:13], v[10:11]
	v_add_f64 v[12:13], v[42:43], v[174:175]
	v_fma_f64 v[38:39], v[4:5], v[18:19], v[44:45]
	v_fma_f64 v[18:19], v[2:3], v[18:19], -v[20:21]
	v_fma_f64 v[8:9], v[8:9], v[22:23], v[16:17]
	v_fma_f64 v[6:7], v[6:7], v[22:23], -v[24:25]
	v_add_f64 v[14:15], v[10:11], v[14:15]
	v_add_f64 v[20:21], v[12:13], v[40:41]
	ds_load_b128 v[2:5], v1 offset:1184
	ds_load_b128 v[10:13], v1 offset:1200
	s_waitcnt vmcnt(4) lgkmcnt(1)
	v_mul_f64 v[40:41], v[2:3], v[28:29]
	v_mul_f64 v[28:29], v[4:5], v[28:29]
	v_add_f64 v[14:15], v[14:15], v[18:19]
	v_add_f64 v[16:17], v[20:21], v[38:39]
	s_waitcnt vmcnt(3) lgkmcnt(0)
	v_mul_f64 v[18:19], v[10:11], v[32:33]
	v_mul_f64 v[20:21], v[12:13], v[32:33]
	v_fma_f64 v[22:23], v[4:5], v[26:27], v[40:41]
	v_fma_f64 v[24:25], v[2:3], v[26:27], -v[28:29]
	v_add_f64 v[14:15], v[14:15], v[6:7]
	v_add_f64 v[16:17], v[16:17], v[8:9]
	ds_load_b128 v[2:5], v1 offset:1216
	ds_load_b128 v[6:9], v1 offset:1232
	v_fma_f64 v[12:13], v[12:13], v[30:31], v[18:19]
	v_fma_f64 v[10:11], v[10:11], v[30:31], -v[20:21]
	s_waitcnt vmcnt(2) lgkmcnt(1)
	v_mul_f64 v[26:27], v[2:3], v[36:37]
	v_mul_f64 v[28:29], v[4:5], v[36:37]
	s_waitcnt vmcnt(0) lgkmcnt(0)
	v_mul_f64 v[18:19], v[6:7], v[170:171]
	v_mul_f64 v[20:21], v[8:9], v[170:171]
	v_add_f64 v[14:15], v[14:15], v[24:25]
	v_add_f64 v[16:17], v[16:17], v[22:23]
	v_fma_f64 v[4:5], v[4:5], v[34:35], v[26:27]
	v_fma_f64 v[1:2], v[2:3], v[34:35], -v[28:29]
	v_fma_f64 v[8:9], v[8:9], v[168:169], v[18:19]
	v_fma_f64 v[6:7], v[6:7], v[168:169], -v[20:21]
	v_add_f64 v[10:11], v[14:15], v[10:11]
	v_add_f64 v[12:13], v[16:17], v[12:13]
	s_delay_alu instid0(VALU_DEP_2) | instskip(NEXT) | instid1(VALU_DEP_2)
	v_add_f64 v[1:2], v[10:11], v[1:2]
	v_add_f64 v[3:4], v[12:13], v[4:5]
	s_delay_alu instid0(VALU_DEP_2) | instskip(NEXT) | instid1(VALU_DEP_2)
	;; [unrolled: 3-line block ×3, first 2 shown]
	v_add_f64 v[1:2], v[164:165], -v[1:2]
	v_add_f64 v[3:4], v[166:167], -v[3:4]
	scratch_store_b128 off, v[1:4], off offset:448
	v_cmpx_lt_u32_e32 27, v124
	s_cbranch_execz .LBB38_193
; %bb.192:
	scratch_load_b128 v[1:4], v160, off
	v_mov_b32_e32 v5, 0
	s_delay_alu instid0(VALU_DEP_1)
	v_mov_b32_e32 v6, v5
	v_mov_b32_e32 v7, v5
	;; [unrolled: 1-line block ×3, first 2 shown]
	scratch_store_b128 off, v[5:8], off offset:432
	s_waitcnt vmcnt(0)
	ds_store_b128 v163, v[1:4]
.LBB38_193:
	s_or_b32 exec_lo, exec_lo, s2
	s_waitcnt lgkmcnt(0)
	s_waitcnt_vscnt null, 0x0
	s_barrier
	buffer_gl0_inv
	s_clause 0x7
	scratch_load_b128 v[2:5], off, off offset:448
	scratch_load_b128 v[6:9], off, off offset:464
	;; [unrolled: 1-line block ×8, first 2 shown]
	v_mov_b32_e32 v1, 0
	s_mov_b32 s2, exec_lo
	ds_load_b128 v[34:37], v1 offset:1072
	s_clause 0x1
	scratch_load_b128 v[38:41], off, off offset:576
	scratch_load_b128 v[42:45], off, off offset:432
	ds_load_b128 v[164:167], v1 offset:1088
	scratch_load_b128 v[168:171], off, off offset:592
	s_waitcnt vmcnt(10) lgkmcnt(1)
	v_mul_f64 v[172:173], v[36:37], v[4:5]
	v_mul_f64 v[4:5], v[34:35], v[4:5]
	s_delay_alu instid0(VALU_DEP_2) | instskip(NEXT) | instid1(VALU_DEP_2)
	v_fma_f64 v[178:179], v[34:35], v[2:3], -v[172:173]
	v_fma_f64 v[180:181], v[36:37], v[2:3], v[4:5]
	scratch_load_b128 v[34:37], off, off offset:608
	ds_load_b128 v[2:5], v1 offset:1104
	s_waitcnt vmcnt(10) lgkmcnt(1)
	v_mul_f64 v[176:177], v[164:165], v[8:9]
	v_mul_f64 v[8:9], v[166:167], v[8:9]
	ds_load_b128 v[172:175], v1 offset:1120
	s_waitcnt vmcnt(9) lgkmcnt(1)
	v_mul_f64 v[182:183], v[2:3], v[12:13]
	v_mul_f64 v[12:13], v[4:5], v[12:13]
	v_fma_f64 v[166:167], v[166:167], v[6:7], v[176:177]
	v_fma_f64 v[6:7], v[164:165], v[6:7], -v[8:9]
	v_add_f64 v[8:9], v[178:179], 0
	v_add_f64 v[164:165], v[180:181], 0
	s_waitcnt vmcnt(8) lgkmcnt(0)
	v_mul_f64 v[176:177], v[172:173], v[16:17]
	v_mul_f64 v[16:17], v[174:175], v[16:17]
	v_fma_f64 v[178:179], v[4:5], v[10:11], v[182:183]
	v_fma_f64 v[10:11], v[2:3], v[10:11], -v[12:13]
	v_add_f64 v[12:13], v[8:9], v[6:7]
	v_add_f64 v[164:165], v[164:165], v[166:167]
	ds_load_b128 v[2:5], v1 offset:1136
	ds_load_b128 v[6:9], v1 offset:1152
	v_fma_f64 v[174:175], v[174:175], v[14:15], v[176:177]
	v_fma_f64 v[14:15], v[172:173], v[14:15], -v[16:17]
	s_waitcnt vmcnt(7) lgkmcnt(1)
	v_mul_f64 v[166:167], v[2:3], v[20:21]
	v_mul_f64 v[20:21], v[4:5], v[20:21]
	s_waitcnt vmcnt(6) lgkmcnt(0)
	v_mul_f64 v[16:17], v[6:7], v[24:25]
	v_mul_f64 v[24:25], v[8:9], v[24:25]
	v_add_f64 v[10:11], v[12:13], v[10:11]
	v_add_f64 v[12:13], v[164:165], v[178:179]
	v_fma_f64 v[164:165], v[4:5], v[18:19], v[166:167]
	v_fma_f64 v[18:19], v[2:3], v[18:19], -v[20:21]
	v_fma_f64 v[8:9], v[8:9], v[22:23], v[16:17]
	v_fma_f64 v[6:7], v[6:7], v[22:23], -v[24:25]
	v_add_f64 v[14:15], v[10:11], v[14:15]
	v_add_f64 v[20:21], v[12:13], v[174:175]
	ds_load_b128 v[2:5], v1 offset:1168
	ds_load_b128 v[10:13], v1 offset:1184
	s_waitcnt vmcnt(5) lgkmcnt(1)
	v_mul_f64 v[166:167], v[2:3], v[28:29]
	v_mul_f64 v[28:29], v[4:5], v[28:29]
	v_add_f64 v[14:15], v[14:15], v[18:19]
	v_add_f64 v[16:17], v[20:21], v[164:165]
	s_waitcnt vmcnt(4) lgkmcnt(0)
	v_mul_f64 v[18:19], v[10:11], v[32:33]
	v_mul_f64 v[20:21], v[12:13], v[32:33]
	v_fma_f64 v[22:23], v[4:5], v[26:27], v[166:167]
	v_fma_f64 v[24:25], v[2:3], v[26:27], -v[28:29]
	v_add_f64 v[14:15], v[14:15], v[6:7]
	v_add_f64 v[16:17], v[16:17], v[8:9]
	ds_load_b128 v[2:5], v1 offset:1200
	ds_load_b128 v[6:9], v1 offset:1216
	v_fma_f64 v[12:13], v[12:13], v[30:31], v[18:19]
	v_fma_f64 v[10:11], v[10:11], v[30:31], -v[20:21]
	s_waitcnt vmcnt(3) lgkmcnt(1)
	v_mul_f64 v[26:27], v[2:3], v[40:41]
	v_mul_f64 v[28:29], v[4:5], v[40:41]
	s_waitcnt vmcnt(1) lgkmcnt(0)
	v_mul_f64 v[18:19], v[6:7], v[170:171]
	v_mul_f64 v[20:21], v[8:9], v[170:171]
	v_add_f64 v[14:15], v[14:15], v[24:25]
	v_add_f64 v[16:17], v[16:17], v[22:23]
	v_fma_f64 v[22:23], v[4:5], v[38:39], v[26:27]
	v_fma_f64 v[24:25], v[2:3], v[38:39], -v[28:29]
	ds_load_b128 v[2:5], v1 offset:1232
	v_fma_f64 v[8:9], v[8:9], v[168:169], v[18:19]
	v_fma_f64 v[6:7], v[6:7], v[168:169], -v[20:21]
	v_add_f64 v[10:11], v[14:15], v[10:11]
	v_add_f64 v[12:13], v[16:17], v[12:13]
	s_waitcnt vmcnt(0) lgkmcnt(0)
	v_mul_f64 v[14:15], v[2:3], v[36:37]
	v_mul_f64 v[16:17], v[4:5], v[36:37]
	s_delay_alu instid0(VALU_DEP_4) | instskip(NEXT) | instid1(VALU_DEP_4)
	v_add_f64 v[10:11], v[10:11], v[24:25]
	v_add_f64 v[12:13], v[12:13], v[22:23]
	s_delay_alu instid0(VALU_DEP_4) | instskip(NEXT) | instid1(VALU_DEP_4)
	v_fma_f64 v[4:5], v[4:5], v[34:35], v[14:15]
	v_fma_f64 v[2:3], v[2:3], v[34:35], -v[16:17]
	s_delay_alu instid0(VALU_DEP_4) | instskip(NEXT) | instid1(VALU_DEP_4)
	v_add_f64 v[6:7], v[10:11], v[6:7]
	v_add_f64 v[8:9], v[12:13], v[8:9]
	s_delay_alu instid0(VALU_DEP_2) | instskip(NEXT) | instid1(VALU_DEP_2)
	v_add_f64 v[2:3], v[6:7], v[2:3]
	v_add_f64 v[4:5], v[8:9], v[4:5]
	s_delay_alu instid0(VALU_DEP_2) | instskip(NEXT) | instid1(VALU_DEP_2)
	v_add_f64 v[2:3], v[42:43], -v[2:3]
	v_add_f64 v[4:5], v[44:45], -v[4:5]
	scratch_store_b128 off, v[2:5], off offset:432
	v_cmpx_lt_u32_e32 26, v124
	s_cbranch_execz .LBB38_195
; %bb.194:
	scratch_load_b128 v[5:8], v131, off
	v_mov_b32_e32 v2, v1
	v_mov_b32_e32 v3, v1
	;; [unrolled: 1-line block ×3, first 2 shown]
	scratch_store_b128 off, v[1:4], off offset:416
	s_waitcnt vmcnt(0)
	ds_store_b128 v163, v[5:8]
.LBB38_195:
	s_or_b32 exec_lo, exec_lo, s2
	s_waitcnt lgkmcnt(0)
	s_waitcnt_vscnt null, 0x0
	s_barrier
	buffer_gl0_inv
	s_clause 0x8
	scratch_load_b128 v[2:5], off, off offset:432
	scratch_load_b128 v[6:9], off, off offset:448
	;; [unrolled: 1-line block ×9, first 2 shown]
	ds_load_b128 v[38:41], v1 offset:1056
	ds_load_b128 v[42:45], v1 offset:1072
	s_clause 0x1
	scratch_load_b128 v[164:167], off, off offset:416
	scratch_load_b128 v[168:171], off, off offset:576
	s_mov_b32 s2, exec_lo
	s_waitcnt vmcnt(10) lgkmcnt(1)
	v_mul_f64 v[172:173], v[40:41], v[4:5]
	v_mul_f64 v[4:5], v[38:39], v[4:5]
	s_waitcnt vmcnt(9) lgkmcnt(0)
	v_mul_f64 v[176:177], v[42:43], v[8:9]
	v_mul_f64 v[8:9], v[44:45], v[8:9]
	s_delay_alu instid0(VALU_DEP_4) | instskip(NEXT) | instid1(VALU_DEP_4)
	v_fma_f64 v[178:179], v[38:39], v[2:3], -v[172:173]
	v_fma_f64 v[180:181], v[40:41], v[2:3], v[4:5]
	ds_load_b128 v[2:5], v1 offset:1088
	ds_load_b128 v[172:175], v1 offset:1104
	scratch_load_b128 v[38:41], off, off offset:592
	v_fma_f64 v[44:45], v[44:45], v[6:7], v[176:177]
	v_fma_f64 v[42:43], v[42:43], v[6:7], -v[8:9]
	scratch_load_b128 v[6:9], off, off offset:608
	s_waitcnt vmcnt(10) lgkmcnt(1)
	v_mul_f64 v[182:183], v[2:3], v[12:13]
	v_mul_f64 v[12:13], v[4:5], v[12:13]
	v_add_f64 v[176:177], v[178:179], 0
	v_add_f64 v[178:179], v[180:181], 0
	s_waitcnt vmcnt(9) lgkmcnt(0)
	v_mul_f64 v[180:181], v[172:173], v[16:17]
	v_mul_f64 v[16:17], v[174:175], v[16:17]
	v_fma_f64 v[182:183], v[4:5], v[10:11], v[182:183]
	v_fma_f64 v[184:185], v[2:3], v[10:11], -v[12:13]
	ds_load_b128 v[2:5], v1 offset:1120
	ds_load_b128 v[10:13], v1 offset:1136
	v_add_f64 v[42:43], v[176:177], v[42:43]
	v_add_f64 v[44:45], v[178:179], v[44:45]
	v_fma_f64 v[174:175], v[174:175], v[14:15], v[180:181]
	v_fma_f64 v[14:15], v[172:173], v[14:15], -v[16:17]
	s_waitcnt vmcnt(8) lgkmcnt(1)
	v_mul_f64 v[176:177], v[2:3], v[20:21]
	v_mul_f64 v[20:21], v[4:5], v[20:21]
	v_add_f64 v[16:17], v[42:43], v[184:185]
	v_add_f64 v[42:43], v[44:45], v[182:183]
	s_waitcnt vmcnt(7) lgkmcnt(0)
	v_mul_f64 v[44:45], v[10:11], v[24:25]
	v_mul_f64 v[24:25], v[12:13], v[24:25]
	v_fma_f64 v[172:173], v[4:5], v[18:19], v[176:177]
	v_fma_f64 v[18:19], v[2:3], v[18:19], -v[20:21]
	v_add_f64 v[20:21], v[16:17], v[14:15]
	v_add_f64 v[42:43], v[42:43], v[174:175]
	ds_load_b128 v[2:5], v1 offset:1152
	ds_load_b128 v[14:17], v1 offset:1168
	v_fma_f64 v[12:13], v[12:13], v[22:23], v[44:45]
	v_fma_f64 v[10:11], v[10:11], v[22:23], -v[24:25]
	s_waitcnt vmcnt(6) lgkmcnt(1)
	v_mul_f64 v[174:175], v[2:3], v[28:29]
	v_mul_f64 v[28:29], v[4:5], v[28:29]
	s_waitcnt vmcnt(5) lgkmcnt(0)
	v_mul_f64 v[22:23], v[14:15], v[32:33]
	v_mul_f64 v[24:25], v[16:17], v[32:33]
	v_add_f64 v[18:19], v[20:21], v[18:19]
	v_add_f64 v[20:21], v[42:43], v[172:173]
	v_fma_f64 v[32:33], v[4:5], v[26:27], v[174:175]
	v_fma_f64 v[26:27], v[2:3], v[26:27], -v[28:29]
	v_fma_f64 v[16:17], v[16:17], v[30:31], v[22:23]
	v_fma_f64 v[14:15], v[14:15], v[30:31], -v[24:25]
	v_add_f64 v[18:19], v[18:19], v[10:11]
	v_add_f64 v[20:21], v[20:21], v[12:13]
	ds_load_b128 v[2:5], v1 offset:1184
	ds_load_b128 v[10:13], v1 offset:1200
	s_waitcnt vmcnt(4) lgkmcnt(1)
	v_mul_f64 v[28:29], v[2:3], v[36:37]
	v_mul_f64 v[36:37], v[4:5], v[36:37]
	s_waitcnt vmcnt(2) lgkmcnt(0)
	v_mul_f64 v[22:23], v[10:11], v[170:171]
	v_mul_f64 v[24:25], v[12:13], v[170:171]
	v_add_f64 v[18:19], v[18:19], v[26:27]
	v_add_f64 v[20:21], v[20:21], v[32:33]
	v_fma_f64 v[26:27], v[4:5], v[34:35], v[28:29]
	v_fma_f64 v[28:29], v[2:3], v[34:35], -v[36:37]
	v_fma_f64 v[12:13], v[12:13], v[168:169], v[22:23]
	v_fma_f64 v[10:11], v[10:11], v[168:169], -v[24:25]
	v_add_f64 v[18:19], v[18:19], v[14:15]
	v_add_f64 v[20:21], v[20:21], v[16:17]
	ds_load_b128 v[2:5], v1 offset:1216
	ds_load_b128 v[14:17], v1 offset:1232
	s_waitcnt vmcnt(1) lgkmcnt(1)
	v_mul_f64 v[30:31], v[2:3], v[40:41]
	v_mul_f64 v[32:33], v[4:5], v[40:41]
	s_waitcnt vmcnt(0) lgkmcnt(0)
	v_mul_f64 v[22:23], v[14:15], v[8:9]
	v_mul_f64 v[8:9], v[16:17], v[8:9]
	v_add_f64 v[18:19], v[18:19], v[28:29]
	v_add_f64 v[20:21], v[20:21], v[26:27]
	v_fma_f64 v[4:5], v[4:5], v[38:39], v[30:31]
	v_fma_f64 v[1:2], v[2:3], v[38:39], -v[32:33]
	v_fma_f64 v[16:17], v[16:17], v[6:7], v[22:23]
	v_fma_f64 v[6:7], v[14:15], v[6:7], -v[8:9]
	v_add_f64 v[10:11], v[18:19], v[10:11]
	v_add_f64 v[12:13], v[20:21], v[12:13]
	s_delay_alu instid0(VALU_DEP_2) | instskip(NEXT) | instid1(VALU_DEP_2)
	v_add_f64 v[1:2], v[10:11], v[1:2]
	v_add_f64 v[3:4], v[12:13], v[4:5]
	s_delay_alu instid0(VALU_DEP_2) | instskip(NEXT) | instid1(VALU_DEP_2)
	;; [unrolled: 3-line block ×3, first 2 shown]
	v_add_f64 v[1:2], v[164:165], -v[1:2]
	v_add_f64 v[3:4], v[166:167], -v[3:4]
	scratch_store_b128 off, v[1:4], off offset:416
	v_cmpx_lt_u32_e32 25, v124
	s_cbranch_execz .LBB38_197
; %bb.196:
	scratch_load_b128 v[1:4], v132, off
	v_mov_b32_e32 v5, 0
	s_delay_alu instid0(VALU_DEP_1)
	v_mov_b32_e32 v6, v5
	v_mov_b32_e32 v7, v5
	;; [unrolled: 1-line block ×3, first 2 shown]
	scratch_store_b128 off, v[5:8], off offset:400
	s_waitcnt vmcnt(0)
	ds_store_b128 v163, v[1:4]
.LBB38_197:
	s_or_b32 exec_lo, exec_lo, s2
	s_waitcnt lgkmcnt(0)
	s_waitcnt_vscnt null, 0x0
	s_barrier
	buffer_gl0_inv
	s_clause 0x7
	scratch_load_b128 v[2:5], off, off offset:416
	scratch_load_b128 v[6:9], off, off offset:432
	;; [unrolled: 1-line block ×8, first 2 shown]
	v_mov_b32_e32 v1, 0
	s_mov_b32 s2, exec_lo
	ds_load_b128 v[34:37], v1 offset:1040
	s_clause 0x1
	scratch_load_b128 v[38:41], off, off offset:544
	scratch_load_b128 v[42:45], off, off offset:400
	ds_load_b128 v[164:167], v1 offset:1056
	scratch_load_b128 v[168:171], off, off offset:560
	s_waitcnt vmcnt(10) lgkmcnt(1)
	v_mul_f64 v[172:173], v[36:37], v[4:5]
	v_mul_f64 v[4:5], v[34:35], v[4:5]
	s_delay_alu instid0(VALU_DEP_2) | instskip(NEXT) | instid1(VALU_DEP_2)
	v_fma_f64 v[178:179], v[34:35], v[2:3], -v[172:173]
	v_fma_f64 v[180:181], v[36:37], v[2:3], v[4:5]
	scratch_load_b128 v[34:37], off, off offset:576
	ds_load_b128 v[2:5], v1 offset:1072
	s_waitcnt vmcnt(10) lgkmcnt(1)
	v_mul_f64 v[176:177], v[164:165], v[8:9]
	v_mul_f64 v[8:9], v[166:167], v[8:9]
	ds_load_b128 v[172:175], v1 offset:1088
	s_waitcnt vmcnt(9) lgkmcnt(1)
	v_mul_f64 v[182:183], v[2:3], v[12:13]
	v_mul_f64 v[12:13], v[4:5], v[12:13]
	v_fma_f64 v[166:167], v[166:167], v[6:7], v[176:177]
	v_fma_f64 v[164:165], v[164:165], v[6:7], -v[8:9]
	v_add_f64 v[176:177], v[178:179], 0
	v_add_f64 v[178:179], v[180:181], 0
	scratch_load_b128 v[6:9], off, off offset:592
	v_fma_f64 v[182:183], v[4:5], v[10:11], v[182:183]
	v_fma_f64 v[184:185], v[2:3], v[10:11], -v[12:13]
	scratch_load_b128 v[10:13], off, off offset:608
	ds_load_b128 v[2:5], v1 offset:1104
	s_waitcnt vmcnt(10) lgkmcnt(1)
	v_mul_f64 v[180:181], v[172:173], v[16:17]
	v_mul_f64 v[16:17], v[174:175], v[16:17]
	v_add_f64 v[176:177], v[176:177], v[164:165]
	v_add_f64 v[178:179], v[178:179], v[166:167]
	s_waitcnt vmcnt(9) lgkmcnt(0)
	v_mul_f64 v[186:187], v[2:3], v[20:21]
	v_mul_f64 v[20:21], v[4:5], v[20:21]
	ds_load_b128 v[164:167], v1 offset:1120
	v_fma_f64 v[174:175], v[174:175], v[14:15], v[180:181]
	v_fma_f64 v[14:15], v[172:173], v[14:15], -v[16:17]
	v_add_f64 v[16:17], v[176:177], v[184:185]
	v_add_f64 v[172:173], v[178:179], v[182:183]
	s_waitcnt vmcnt(8) lgkmcnt(0)
	v_mul_f64 v[176:177], v[164:165], v[24:25]
	v_mul_f64 v[24:25], v[166:167], v[24:25]
	v_fma_f64 v[178:179], v[4:5], v[18:19], v[186:187]
	v_fma_f64 v[18:19], v[2:3], v[18:19], -v[20:21]
	v_add_f64 v[20:21], v[16:17], v[14:15]
	v_add_f64 v[172:173], v[172:173], v[174:175]
	ds_load_b128 v[2:5], v1 offset:1136
	ds_load_b128 v[14:17], v1 offset:1152
	v_fma_f64 v[166:167], v[166:167], v[22:23], v[176:177]
	v_fma_f64 v[22:23], v[164:165], v[22:23], -v[24:25]
	s_waitcnt vmcnt(7) lgkmcnt(1)
	v_mul_f64 v[174:175], v[2:3], v[28:29]
	v_mul_f64 v[28:29], v[4:5], v[28:29]
	s_waitcnt vmcnt(6) lgkmcnt(0)
	v_mul_f64 v[24:25], v[14:15], v[32:33]
	v_mul_f64 v[32:33], v[16:17], v[32:33]
	v_add_f64 v[18:19], v[20:21], v[18:19]
	v_add_f64 v[20:21], v[172:173], v[178:179]
	v_fma_f64 v[164:165], v[4:5], v[26:27], v[174:175]
	v_fma_f64 v[26:27], v[2:3], v[26:27], -v[28:29]
	v_fma_f64 v[16:17], v[16:17], v[30:31], v[24:25]
	v_fma_f64 v[14:15], v[14:15], v[30:31], -v[32:33]
	v_add_f64 v[22:23], v[18:19], v[22:23]
	v_add_f64 v[28:29], v[20:21], v[166:167]
	ds_load_b128 v[2:5], v1 offset:1168
	ds_load_b128 v[18:21], v1 offset:1184
	s_waitcnt vmcnt(5) lgkmcnt(1)
	v_mul_f64 v[166:167], v[2:3], v[40:41]
	v_mul_f64 v[40:41], v[4:5], v[40:41]
	v_add_f64 v[22:23], v[22:23], v[26:27]
	v_add_f64 v[24:25], v[28:29], v[164:165]
	s_waitcnt vmcnt(3) lgkmcnt(0)
	v_mul_f64 v[26:27], v[18:19], v[170:171]
	v_mul_f64 v[28:29], v[20:21], v[170:171]
	v_fma_f64 v[30:31], v[4:5], v[38:39], v[166:167]
	v_fma_f64 v[32:33], v[2:3], v[38:39], -v[40:41]
	v_add_f64 v[22:23], v[22:23], v[14:15]
	v_add_f64 v[24:25], v[24:25], v[16:17]
	ds_load_b128 v[2:5], v1 offset:1200
	ds_load_b128 v[14:17], v1 offset:1216
	v_fma_f64 v[20:21], v[20:21], v[168:169], v[26:27]
	v_fma_f64 v[18:19], v[18:19], v[168:169], -v[28:29]
	s_waitcnt vmcnt(2) lgkmcnt(1)
	v_mul_f64 v[38:39], v[2:3], v[36:37]
	v_mul_f64 v[36:37], v[4:5], v[36:37]
	v_add_f64 v[22:23], v[22:23], v[32:33]
	v_add_f64 v[24:25], v[24:25], v[30:31]
	s_waitcnt vmcnt(1) lgkmcnt(0)
	v_mul_f64 v[26:27], v[14:15], v[8:9]
	v_mul_f64 v[8:9], v[16:17], v[8:9]
	v_fma_f64 v[28:29], v[4:5], v[34:35], v[38:39]
	v_fma_f64 v[30:31], v[2:3], v[34:35], -v[36:37]
	ds_load_b128 v[2:5], v1 offset:1232
	v_add_f64 v[18:19], v[22:23], v[18:19]
	v_add_f64 v[20:21], v[24:25], v[20:21]
	s_waitcnt vmcnt(0) lgkmcnt(0)
	v_mul_f64 v[22:23], v[2:3], v[12:13]
	v_mul_f64 v[12:13], v[4:5], v[12:13]
	v_fma_f64 v[16:17], v[16:17], v[6:7], v[26:27]
	v_fma_f64 v[6:7], v[14:15], v[6:7], -v[8:9]
	v_add_f64 v[8:9], v[18:19], v[30:31]
	v_add_f64 v[14:15], v[20:21], v[28:29]
	v_fma_f64 v[4:5], v[4:5], v[10:11], v[22:23]
	v_fma_f64 v[2:3], v[2:3], v[10:11], -v[12:13]
	s_delay_alu instid0(VALU_DEP_4) | instskip(NEXT) | instid1(VALU_DEP_4)
	v_add_f64 v[6:7], v[8:9], v[6:7]
	v_add_f64 v[8:9], v[14:15], v[16:17]
	s_delay_alu instid0(VALU_DEP_2) | instskip(NEXT) | instid1(VALU_DEP_2)
	v_add_f64 v[2:3], v[6:7], v[2:3]
	v_add_f64 v[4:5], v[8:9], v[4:5]
	s_delay_alu instid0(VALU_DEP_2) | instskip(NEXT) | instid1(VALU_DEP_2)
	v_add_f64 v[2:3], v[42:43], -v[2:3]
	v_add_f64 v[4:5], v[44:45], -v[4:5]
	scratch_store_b128 off, v[2:5], off offset:400
	v_cmpx_lt_u32_e32 24, v124
	s_cbranch_execz .LBB38_199
; %bb.198:
	scratch_load_b128 v[5:8], v134, off
	v_mov_b32_e32 v2, v1
	v_mov_b32_e32 v3, v1
	;; [unrolled: 1-line block ×3, first 2 shown]
	scratch_store_b128 off, v[1:4], off offset:384
	s_waitcnt vmcnt(0)
	ds_store_b128 v163, v[5:8]
.LBB38_199:
	s_or_b32 exec_lo, exec_lo, s2
	s_waitcnt lgkmcnt(0)
	s_waitcnt_vscnt null, 0x0
	s_barrier
	buffer_gl0_inv
	s_clause 0x8
	scratch_load_b128 v[2:5], off, off offset:400
	scratch_load_b128 v[6:9], off, off offset:416
	;; [unrolled: 1-line block ×9, first 2 shown]
	ds_load_b128 v[38:41], v1 offset:1024
	ds_load_b128 v[42:45], v1 offset:1040
	s_clause 0x1
	scratch_load_b128 v[164:167], off, off offset:384
	scratch_load_b128 v[168:171], off, off offset:544
	s_mov_b32 s2, exec_lo
	s_waitcnt vmcnt(10) lgkmcnt(1)
	v_mul_f64 v[172:173], v[40:41], v[4:5]
	v_mul_f64 v[4:5], v[38:39], v[4:5]
	s_waitcnt vmcnt(9) lgkmcnt(0)
	v_mul_f64 v[176:177], v[42:43], v[8:9]
	v_mul_f64 v[8:9], v[44:45], v[8:9]
	s_delay_alu instid0(VALU_DEP_4) | instskip(NEXT) | instid1(VALU_DEP_4)
	v_fma_f64 v[178:179], v[38:39], v[2:3], -v[172:173]
	v_fma_f64 v[180:181], v[40:41], v[2:3], v[4:5]
	ds_load_b128 v[2:5], v1 offset:1056
	ds_load_b128 v[172:175], v1 offset:1072
	scratch_load_b128 v[38:41], off, off offset:560
	v_fma_f64 v[44:45], v[44:45], v[6:7], v[176:177]
	v_fma_f64 v[42:43], v[42:43], v[6:7], -v[8:9]
	scratch_load_b128 v[6:9], off, off offset:576
	s_waitcnt vmcnt(10) lgkmcnt(1)
	v_mul_f64 v[182:183], v[2:3], v[12:13]
	v_mul_f64 v[12:13], v[4:5], v[12:13]
	v_add_f64 v[176:177], v[178:179], 0
	v_add_f64 v[178:179], v[180:181], 0
	s_waitcnt vmcnt(9) lgkmcnt(0)
	v_mul_f64 v[180:181], v[172:173], v[16:17]
	v_mul_f64 v[16:17], v[174:175], v[16:17]
	v_fma_f64 v[182:183], v[4:5], v[10:11], v[182:183]
	v_fma_f64 v[184:185], v[2:3], v[10:11], -v[12:13]
	ds_load_b128 v[2:5], v1 offset:1088
	scratch_load_b128 v[10:13], off, off offset:592
	v_add_f64 v[176:177], v[176:177], v[42:43]
	v_add_f64 v[178:179], v[178:179], v[44:45]
	ds_load_b128 v[42:45], v1 offset:1104
	v_fma_f64 v[174:175], v[174:175], v[14:15], v[180:181]
	v_fma_f64 v[172:173], v[172:173], v[14:15], -v[16:17]
	scratch_load_b128 v[14:17], off, off offset:608
	s_waitcnt vmcnt(10) lgkmcnt(1)
	v_mul_f64 v[186:187], v[2:3], v[20:21]
	v_mul_f64 v[20:21], v[4:5], v[20:21]
	s_waitcnt vmcnt(9) lgkmcnt(0)
	v_mul_f64 v[180:181], v[42:43], v[24:25]
	v_mul_f64 v[24:25], v[44:45], v[24:25]
	v_add_f64 v[176:177], v[176:177], v[184:185]
	v_add_f64 v[178:179], v[178:179], v[182:183]
	v_fma_f64 v[182:183], v[4:5], v[18:19], v[186:187]
	v_fma_f64 v[184:185], v[2:3], v[18:19], -v[20:21]
	ds_load_b128 v[2:5], v1 offset:1120
	ds_load_b128 v[18:21], v1 offset:1136
	v_fma_f64 v[44:45], v[44:45], v[22:23], v[180:181]
	v_fma_f64 v[22:23], v[42:43], v[22:23], -v[24:25]
	v_add_f64 v[172:173], v[176:177], v[172:173]
	v_add_f64 v[174:175], v[178:179], v[174:175]
	s_waitcnt vmcnt(8) lgkmcnt(1)
	v_mul_f64 v[176:177], v[2:3], v[28:29]
	v_mul_f64 v[28:29], v[4:5], v[28:29]
	s_delay_alu instid0(VALU_DEP_4) | instskip(NEXT) | instid1(VALU_DEP_4)
	v_add_f64 v[24:25], v[172:173], v[184:185]
	v_add_f64 v[42:43], v[174:175], v[182:183]
	s_waitcnt vmcnt(7) lgkmcnt(0)
	v_mul_f64 v[172:173], v[18:19], v[32:33]
	v_mul_f64 v[32:33], v[20:21], v[32:33]
	v_fma_f64 v[174:175], v[4:5], v[26:27], v[176:177]
	v_fma_f64 v[26:27], v[2:3], v[26:27], -v[28:29]
	v_add_f64 v[28:29], v[24:25], v[22:23]
	v_add_f64 v[42:43], v[42:43], v[44:45]
	ds_load_b128 v[2:5], v1 offset:1152
	ds_load_b128 v[22:25], v1 offset:1168
	v_fma_f64 v[20:21], v[20:21], v[30:31], v[172:173]
	v_fma_f64 v[18:19], v[18:19], v[30:31], -v[32:33]
	s_waitcnt vmcnt(6) lgkmcnt(1)
	v_mul_f64 v[44:45], v[2:3], v[36:37]
	v_mul_f64 v[36:37], v[4:5], v[36:37]
	s_waitcnt vmcnt(4) lgkmcnt(0)
	v_mul_f64 v[30:31], v[22:23], v[170:171]
	v_mul_f64 v[32:33], v[24:25], v[170:171]
	v_add_f64 v[26:27], v[28:29], v[26:27]
	v_add_f64 v[28:29], v[42:43], v[174:175]
	v_fma_f64 v[42:43], v[4:5], v[34:35], v[44:45]
	v_fma_f64 v[34:35], v[2:3], v[34:35], -v[36:37]
	v_fma_f64 v[24:25], v[24:25], v[168:169], v[30:31]
	v_fma_f64 v[22:23], v[22:23], v[168:169], -v[32:33]
	v_add_f64 v[26:27], v[26:27], v[18:19]
	v_add_f64 v[28:29], v[28:29], v[20:21]
	ds_load_b128 v[2:5], v1 offset:1184
	ds_load_b128 v[18:21], v1 offset:1200
	s_waitcnt vmcnt(3) lgkmcnt(1)
	v_mul_f64 v[36:37], v[2:3], v[40:41]
	v_mul_f64 v[40:41], v[4:5], v[40:41]
	s_waitcnt vmcnt(2) lgkmcnt(0)
	v_mul_f64 v[30:31], v[18:19], v[8:9]
	v_mul_f64 v[8:9], v[20:21], v[8:9]
	v_add_f64 v[26:27], v[26:27], v[34:35]
	v_add_f64 v[28:29], v[28:29], v[42:43]
	v_fma_f64 v[32:33], v[4:5], v[38:39], v[36:37]
	v_fma_f64 v[34:35], v[2:3], v[38:39], -v[40:41]
	v_fma_f64 v[20:21], v[20:21], v[6:7], v[30:31]
	v_fma_f64 v[6:7], v[18:19], v[6:7], -v[8:9]
	v_add_f64 v[26:27], v[26:27], v[22:23]
	v_add_f64 v[28:29], v[28:29], v[24:25]
	ds_load_b128 v[2:5], v1 offset:1216
	ds_load_b128 v[22:25], v1 offset:1232
	s_waitcnt vmcnt(1) lgkmcnt(1)
	v_mul_f64 v[36:37], v[2:3], v[12:13]
	v_mul_f64 v[12:13], v[4:5], v[12:13]
	v_add_f64 v[8:9], v[26:27], v[34:35]
	v_add_f64 v[18:19], v[28:29], v[32:33]
	s_waitcnt vmcnt(0) lgkmcnt(0)
	v_mul_f64 v[26:27], v[22:23], v[16:17]
	v_mul_f64 v[16:17], v[24:25], v[16:17]
	v_fma_f64 v[4:5], v[4:5], v[10:11], v[36:37]
	v_fma_f64 v[1:2], v[2:3], v[10:11], -v[12:13]
	v_add_f64 v[6:7], v[8:9], v[6:7]
	v_add_f64 v[8:9], v[18:19], v[20:21]
	v_fma_f64 v[10:11], v[24:25], v[14:15], v[26:27]
	v_fma_f64 v[12:13], v[22:23], v[14:15], -v[16:17]
	s_delay_alu instid0(VALU_DEP_4) | instskip(NEXT) | instid1(VALU_DEP_4)
	v_add_f64 v[1:2], v[6:7], v[1:2]
	v_add_f64 v[3:4], v[8:9], v[4:5]
	s_delay_alu instid0(VALU_DEP_2) | instskip(NEXT) | instid1(VALU_DEP_2)
	v_add_f64 v[1:2], v[1:2], v[12:13]
	v_add_f64 v[3:4], v[3:4], v[10:11]
	s_delay_alu instid0(VALU_DEP_2) | instskip(NEXT) | instid1(VALU_DEP_2)
	v_add_f64 v[1:2], v[164:165], -v[1:2]
	v_add_f64 v[3:4], v[166:167], -v[3:4]
	scratch_store_b128 off, v[1:4], off offset:384
	v_cmpx_lt_u32_e32 23, v124
	s_cbranch_execz .LBB38_201
; %bb.200:
	scratch_load_b128 v[1:4], v136, off
	v_mov_b32_e32 v5, 0
	s_delay_alu instid0(VALU_DEP_1)
	v_mov_b32_e32 v6, v5
	v_mov_b32_e32 v7, v5
	;; [unrolled: 1-line block ×3, first 2 shown]
	scratch_store_b128 off, v[5:8], off offset:368
	s_waitcnt vmcnt(0)
	ds_store_b128 v163, v[1:4]
.LBB38_201:
	s_or_b32 exec_lo, exec_lo, s2
	s_waitcnt lgkmcnt(0)
	s_waitcnt_vscnt null, 0x0
	s_barrier
	buffer_gl0_inv
	s_clause 0x7
	scratch_load_b128 v[2:5], off, off offset:384
	scratch_load_b128 v[6:9], off, off offset:400
	;; [unrolled: 1-line block ×8, first 2 shown]
	v_mov_b32_e32 v1, 0
	s_mov_b32 s2, exec_lo
	ds_load_b128 v[34:37], v1 offset:1008
	s_clause 0x1
	scratch_load_b128 v[38:41], off, off offset:512
	scratch_load_b128 v[42:45], off, off offset:368
	ds_load_b128 v[164:167], v1 offset:1024
	scratch_load_b128 v[168:171], off, off offset:528
	s_waitcnt vmcnt(10) lgkmcnt(1)
	v_mul_f64 v[172:173], v[36:37], v[4:5]
	v_mul_f64 v[4:5], v[34:35], v[4:5]
	s_delay_alu instid0(VALU_DEP_2) | instskip(NEXT) | instid1(VALU_DEP_2)
	v_fma_f64 v[178:179], v[34:35], v[2:3], -v[172:173]
	v_fma_f64 v[180:181], v[36:37], v[2:3], v[4:5]
	scratch_load_b128 v[34:37], off, off offset:544
	ds_load_b128 v[2:5], v1 offset:1040
	s_waitcnt vmcnt(10) lgkmcnt(1)
	v_mul_f64 v[176:177], v[164:165], v[8:9]
	v_mul_f64 v[8:9], v[166:167], v[8:9]
	ds_load_b128 v[172:175], v1 offset:1056
	s_waitcnt vmcnt(9) lgkmcnt(1)
	v_mul_f64 v[182:183], v[2:3], v[12:13]
	v_mul_f64 v[12:13], v[4:5], v[12:13]
	v_fma_f64 v[166:167], v[166:167], v[6:7], v[176:177]
	v_fma_f64 v[164:165], v[164:165], v[6:7], -v[8:9]
	v_add_f64 v[176:177], v[178:179], 0
	v_add_f64 v[178:179], v[180:181], 0
	scratch_load_b128 v[6:9], off, off offset:560
	v_fma_f64 v[182:183], v[4:5], v[10:11], v[182:183]
	v_fma_f64 v[184:185], v[2:3], v[10:11], -v[12:13]
	scratch_load_b128 v[10:13], off, off offset:576
	ds_load_b128 v[2:5], v1 offset:1072
	s_waitcnt vmcnt(10) lgkmcnt(1)
	v_mul_f64 v[180:181], v[172:173], v[16:17]
	v_mul_f64 v[16:17], v[174:175], v[16:17]
	v_add_f64 v[176:177], v[176:177], v[164:165]
	v_add_f64 v[178:179], v[178:179], v[166:167]
	s_waitcnt vmcnt(9) lgkmcnt(0)
	v_mul_f64 v[186:187], v[2:3], v[20:21]
	v_mul_f64 v[20:21], v[4:5], v[20:21]
	ds_load_b128 v[164:167], v1 offset:1088
	v_fma_f64 v[174:175], v[174:175], v[14:15], v[180:181]
	v_fma_f64 v[172:173], v[172:173], v[14:15], -v[16:17]
	scratch_load_b128 v[14:17], off, off offset:592
	v_add_f64 v[176:177], v[176:177], v[184:185]
	v_add_f64 v[178:179], v[178:179], v[182:183]
	v_fma_f64 v[182:183], v[4:5], v[18:19], v[186:187]
	v_fma_f64 v[184:185], v[2:3], v[18:19], -v[20:21]
	scratch_load_b128 v[18:21], off, off offset:608
	ds_load_b128 v[2:5], v1 offset:1104
	s_waitcnt vmcnt(10) lgkmcnt(1)
	v_mul_f64 v[180:181], v[164:165], v[24:25]
	v_mul_f64 v[24:25], v[166:167], v[24:25]
	s_waitcnt vmcnt(9) lgkmcnt(0)
	v_mul_f64 v[186:187], v[2:3], v[28:29]
	v_mul_f64 v[28:29], v[4:5], v[28:29]
	v_add_f64 v[176:177], v[176:177], v[172:173]
	v_add_f64 v[178:179], v[178:179], v[174:175]
	ds_load_b128 v[172:175], v1 offset:1120
	v_fma_f64 v[166:167], v[166:167], v[22:23], v[180:181]
	v_fma_f64 v[22:23], v[164:165], v[22:23], -v[24:25]
	v_add_f64 v[24:25], v[176:177], v[184:185]
	v_add_f64 v[164:165], v[178:179], v[182:183]
	s_waitcnt vmcnt(8) lgkmcnt(0)
	v_mul_f64 v[176:177], v[172:173], v[32:33]
	v_mul_f64 v[32:33], v[174:175], v[32:33]
	v_fma_f64 v[178:179], v[4:5], v[26:27], v[186:187]
	v_fma_f64 v[26:27], v[2:3], v[26:27], -v[28:29]
	v_add_f64 v[28:29], v[24:25], v[22:23]
	v_add_f64 v[164:165], v[164:165], v[166:167]
	ds_load_b128 v[2:5], v1 offset:1136
	ds_load_b128 v[22:25], v1 offset:1152
	v_fma_f64 v[174:175], v[174:175], v[30:31], v[176:177]
	v_fma_f64 v[30:31], v[172:173], v[30:31], -v[32:33]
	s_waitcnt vmcnt(7) lgkmcnt(1)
	v_mul_f64 v[166:167], v[2:3], v[40:41]
	v_mul_f64 v[40:41], v[4:5], v[40:41]
	s_waitcnt vmcnt(5) lgkmcnt(0)
	v_mul_f64 v[32:33], v[22:23], v[170:171]
	v_add_f64 v[26:27], v[28:29], v[26:27]
	v_add_f64 v[28:29], v[164:165], v[178:179]
	v_mul_f64 v[164:165], v[24:25], v[170:171]
	v_fma_f64 v[166:167], v[4:5], v[38:39], v[166:167]
	v_fma_f64 v[38:39], v[2:3], v[38:39], -v[40:41]
	v_fma_f64 v[24:25], v[24:25], v[168:169], v[32:33]
	v_add_f64 v[30:31], v[26:27], v[30:31]
	v_add_f64 v[40:41], v[28:29], v[174:175]
	ds_load_b128 v[2:5], v1 offset:1168
	ds_load_b128 v[26:29], v1 offset:1184
	v_fma_f64 v[22:23], v[22:23], v[168:169], -v[164:165]
	s_waitcnt vmcnt(4) lgkmcnt(1)
	v_mul_f64 v[170:171], v[2:3], v[36:37]
	v_mul_f64 v[36:37], v[4:5], v[36:37]
	v_add_f64 v[30:31], v[30:31], v[38:39]
	v_add_f64 v[32:33], v[40:41], v[166:167]
	s_waitcnt vmcnt(3) lgkmcnt(0)
	v_mul_f64 v[38:39], v[26:27], v[8:9]
	v_mul_f64 v[8:9], v[28:29], v[8:9]
	v_fma_f64 v[40:41], v[4:5], v[34:35], v[170:171]
	v_fma_f64 v[34:35], v[2:3], v[34:35], -v[36:37]
	v_add_f64 v[30:31], v[30:31], v[22:23]
	v_add_f64 v[32:33], v[32:33], v[24:25]
	ds_load_b128 v[2:5], v1 offset:1200
	ds_load_b128 v[22:25], v1 offset:1216
	v_fma_f64 v[28:29], v[28:29], v[6:7], v[38:39]
	v_fma_f64 v[6:7], v[26:27], v[6:7], -v[8:9]
	s_waitcnt vmcnt(2) lgkmcnt(1)
	v_mul_f64 v[36:37], v[2:3], v[12:13]
	v_mul_f64 v[12:13], v[4:5], v[12:13]
	v_add_f64 v[8:9], v[30:31], v[34:35]
	v_add_f64 v[26:27], v[32:33], v[40:41]
	s_waitcnt vmcnt(1) lgkmcnt(0)
	v_mul_f64 v[30:31], v[22:23], v[16:17]
	v_mul_f64 v[16:17], v[24:25], v[16:17]
	v_fma_f64 v[32:33], v[4:5], v[10:11], v[36:37]
	v_fma_f64 v[10:11], v[2:3], v[10:11], -v[12:13]
	ds_load_b128 v[2:5], v1 offset:1232
	v_add_f64 v[6:7], v[8:9], v[6:7]
	v_add_f64 v[8:9], v[26:27], v[28:29]
	v_fma_f64 v[24:25], v[24:25], v[14:15], v[30:31]
	v_fma_f64 v[14:15], v[22:23], v[14:15], -v[16:17]
	s_waitcnt vmcnt(0) lgkmcnt(0)
	v_mul_f64 v[12:13], v[2:3], v[20:21]
	v_mul_f64 v[20:21], v[4:5], v[20:21]
	v_add_f64 v[6:7], v[6:7], v[10:11]
	v_add_f64 v[8:9], v[8:9], v[32:33]
	s_delay_alu instid0(VALU_DEP_4) | instskip(NEXT) | instid1(VALU_DEP_4)
	v_fma_f64 v[4:5], v[4:5], v[18:19], v[12:13]
	v_fma_f64 v[2:3], v[2:3], v[18:19], -v[20:21]
	s_delay_alu instid0(VALU_DEP_4) | instskip(NEXT) | instid1(VALU_DEP_4)
	v_add_f64 v[6:7], v[6:7], v[14:15]
	v_add_f64 v[8:9], v[8:9], v[24:25]
	s_delay_alu instid0(VALU_DEP_2) | instskip(NEXT) | instid1(VALU_DEP_2)
	v_add_f64 v[2:3], v[6:7], v[2:3]
	v_add_f64 v[4:5], v[8:9], v[4:5]
	s_delay_alu instid0(VALU_DEP_2) | instskip(NEXT) | instid1(VALU_DEP_2)
	v_add_f64 v[2:3], v[42:43], -v[2:3]
	v_add_f64 v[4:5], v[44:45], -v[4:5]
	scratch_store_b128 off, v[2:5], off offset:368
	v_cmpx_lt_u32_e32 22, v124
	s_cbranch_execz .LBB38_203
; %bb.202:
	scratch_load_b128 v[5:8], v138, off
	v_mov_b32_e32 v2, v1
	v_mov_b32_e32 v3, v1
	;; [unrolled: 1-line block ×3, first 2 shown]
	scratch_store_b128 off, v[1:4], off offset:352
	s_waitcnt vmcnt(0)
	ds_store_b128 v163, v[5:8]
.LBB38_203:
	s_or_b32 exec_lo, exec_lo, s2
	s_waitcnt lgkmcnt(0)
	s_waitcnt_vscnt null, 0x0
	s_barrier
	buffer_gl0_inv
	s_clause 0x8
	scratch_load_b128 v[2:5], off, off offset:368
	scratch_load_b128 v[6:9], off, off offset:384
	;; [unrolled: 1-line block ×9, first 2 shown]
	ds_load_b128 v[38:41], v1 offset:992
	ds_load_b128 v[42:45], v1 offset:1008
	s_clause 0x1
	scratch_load_b128 v[164:167], off, off offset:352
	scratch_load_b128 v[168:171], off, off offset:512
	s_mov_b32 s2, exec_lo
	s_waitcnt vmcnt(10) lgkmcnt(1)
	v_mul_f64 v[172:173], v[40:41], v[4:5]
	v_mul_f64 v[4:5], v[38:39], v[4:5]
	s_waitcnt vmcnt(9) lgkmcnt(0)
	v_mul_f64 v[176:177], v[42:43], v[8:9]
	v_mul_f64 v[8:9], v[44:45], v[8:9]
	s_delay_alu instid0(VALU_DEP_4) | instskip(NEXT) | instid1(VALU_DEP_4)
	v_fma_f64 v[178:179], v[38:39], v[2:3], -v[172:173]
	v_fma_f64 v[180:181], v[40:41], v[2:3], v[4:5]
	ds_load_b128 v[2:5], v1 offset:1024
	ds_load_b128 v[172:175], v1 offset:1040
	scratch_load_b128 v[38:41], off, off offset:528
	v_fma_f64 v[44:45], v[44:45], v[6:7], v[176:177]
	v_fma_f64 v[42:43], v[42:43], v[6:7], -v[8:9]
	scratch_load_b128 v[6:9], off, off offset:544
	s_waitcnt vmcnt(10) lgkmcnt(1)
	v_mul_f64 v[182:183], v[2:3], v[12:13]
	v_mul_f64 v[12:13], v[4:5], v[12:13]
	v_add_f64 v[176:177], v[178:179], 0
	v_add_f64 v[178:179], v[180:181], 0
	s_waitcnt vmcnt(9) lgkmcnt(0)
	v_mul_f64 v[180:181], v[172:173], v[16:17]
	v_mul_f64 v[16:17], v[174:175], v[16:17]
	v_fma_f64 v[182:183], v[4:5], v[10:11], v[182:183]
	v_fma_f64 v[184:185], v[2:3], v[10:11], -v[12:13]
	ds_load_b128 v[2:5], v1 offset:1056
	scratch_load_b128 v[10:13], off, off offset:560
	v_add_f64 v[176:177], v[176:177], v[42:43]
	v_add_f64 v[178:179], v[178:179], v[44:45]
	ds_load_b128 v[42:45], v1 offset:1072
	v_fma_f64 v[174:175], v[174:175], v[14:15], v[180:181]
	v_fma_f64 v[172:173], v[172:173], v[14:15], -v[16:17]
	scratch_load_b128 v[14:17], off, off offset:576
	s_waitcnt vmcnt(10) lgkmcnt(1)
	v_mul_f64 v[186:187], v[2:3], v[20:21]
	v_mul_f64 v[20:21], v[4:5], v[20:21]
	s_waitcnt vmcnt(9) lgkmcnt(0)
	v_mul_f64 v[180:181], v[42:43], v[24:25]
	v_mul_f64 v[24:25], v[44:45], v[24:25]
	v_add_f64 v[176:177], v[176:177], v[184:185]
	v_add_f64 v[178:179], v[178:179], v[182:183]
	v_fma_f64 v[182:183], v[4:5], v[18:19], v[186:187]
	v_fma_f64 v[184:185], v[2:3], v[18:19], -v[20:21]
	ds_load_b128 v[2:5], v1 offset:1088
	scratch_load_b128 v[18:21], off, off offset:592
	v_fma_f64 v[44:45], v[44:45], v[22:23], v[180:181]
	v_fma_f64 v[42:43], v[42:43], v[22:23], -v[24:25]
	scratch_load_b128 v[22:25], off, off offset:608
	v_add_f64 v[176:177], v[176:177], v[172:173]
	v_add_f64 v[178:179], v[178:179], v[174:175]
	ds_load_b128 v[172:175], v1 offset:1104
	s_waitcnt vmcnt(10) lgkmcnt(1)
	v_mul_f64 v[186:187], v[2:3], v[28:29]
	v_mul_f64 v[28:29], v[4:5], v[28:29]
	s_waitcnt vmcnt(9) lgkmcnt(0)
	v_mul_f64 v[180:181], v[172:173], v[32:33]
	v_mul_f64 v[32:33], v[174:175], v[32:33]
	v_add_f64 v[176:177], v[176:177], v[184:185]
	v_add_f64 v[178:179], v[178:179], v[182:183]
	v_fma_f64 v[182:183], v[4:5], v[26:27], v[186:187]
	v_fma_f64 v[184:185], v[2:3], v[26:27], -v[28:29]
	ds_load_b128 v[2:5], v1 offset:1120
	ds_load_b128 v[26:29], v1 offset:1136
	v_fma_f64 v[174:175], v[174:175], v[30:31], v[180:181]
	v_fma_f64 v[30:31], v[172:173], v[30:31], -v[32:33]
	v_add_f64 v[42:43], v[176:177], v[42:43]
	v_add_f64 v[44:45], v[178:179], v[44:45]
	s_waitcnt vmcnt(8) lgkmcnt(1)
	v_mul_f64 v[176:177], v[2:3], v[36:37]
	v_mul_f64 v[36:37], v[4:5], v[36:37]
	s_delay_alu instid0(VALU_DEP_4) | instskip(NEXT) | instid1(VALU_DEP_4)
	v_add_f64 v[32:33], v[42:43], v[184:185]
	v_add_f64 v[42:43], v[44:45], v[182:183]
	s_waitcnt vmcnt(6) lgkmcnt(0)
	v_mul_f64 v[44:45], v[26:27], v[170:171]
	v_mul_f64 v[170:171], v[28:29], v[170:171]
	v_fma_f64 v[172:173], v[4:5], v[34:35], v[176:177]
	v_fma_f64 v[34:35], v[2:3], v[34:35], -v[36:37]
	v_add_f64 v[36:37], v[32:33], v[30:31]
	v_add_f64 v[42:43], v[42:43], v[174:175]
	ds_load_b128 v[2:5], v1 offset:1152
	ds_load_b128 v[30:33], v1 offset:1168
	v_fma_f64 v[28:29], v[28:29], v[168:169], v[44:45]
	v_fma_f64 v[26:27], v[26:27], v[168:169], -v[170:171]
	s_waitcnt vmcnt(5) lgkmcnt(1)
	v_mul_f64 v[174:175], v[2:3], v[40:41]
	v_mul_f64 v[40:41], v[4:5], v[40:41]
	v_add_f64 v[34:35], v[36:37], v[34:35]
	v_add_f64 v[36:37], v[42:43], v[172:173]
	s_waitcnt vmcnt(4) lgkmcnt(0)
	v_mul_f64 v[42:43], v[30:31], v[8:9]
	v_mul_f64 v[8:9], v[32:33], v[8:9]
	v_fma_f64 v[44:45], v[4:5], v[38:39], v[174:175]
	v_fma_f64 v[38:39], v[2:3], v[38:39], -v[40:41]
	v_add_f64 v[34:35], v[34:35], v[26:27]
	v_add_f64 v[36:37], v[36:37], v[28:29]
	ds_load_b128 v[2:5], v1 offset:1184
	ds_load_b128 v[26:29], v1 offset:1200
	v_fma_f64 v[32:33], v[32:33], v[6:7], v[42:43]
	v_fma_f64 v[6:7], v[30:31], v[6:7], -v[8:9]
	s_waitcnt vmcnt(3) lgkmcnt(1)
	v_mul_f64 v[40:41], v[2:3], v[12:13]
	v_mul_f64 v[12:13], v[4:5], v[12:13]
	;; [unrolled: 16-line block ×3, first 2 shown]
	s_waitcnt vmcnt(0) lgkmcnt(0)
	v_mul_f64 v[16:17], v[6:7], v[24:25]
	v_mul_f64 v[24:25], v[8:9], v[24:25]
	v_add_f64 v[10:11], v[12:13], v[10:11]
	v_add_f64 v[12:13], v[30:31], v[36:37]
	v_fma_f64 v[4:5], v[4:5], v[18:19], v[32:33]
	v_fma_f64 v[1:2], v[2:3], v[18:19], -v[20:21]
	v_fma_f64 v[8:9], v[8:9], v[22:23], v[16:17]
	v_fma_f64 v[6:7], v[6:7], v[22:23], -v[24:25]
	v_add_f64 v[10:11], v[10:11], v[14:15]
	v_add_f64 v[12:13], v[12:13], v[28:29]
	s_delay_alu instid0(VALU_DEP_2) | instskip(NEXT) | instid1(VALU_DEP_2)
	v_add_f64 v[1:2], v[10:11], v[1:2]
	v_add_f64 v[3:4], v[12:13], v[4:5]
	s_delay_alu instid0(VALU_DEP_2) | instskip(NEXT) | instid1(VALU_DEP_2)
	;; [unrolled: 3-line block ×3, first 2 shown]
	v_add_f64 v[1:2], v[164:165], -v[1:2]
	v_add_f64 v[3:4], v[166:167], -v[3:4]
	scratch_store_b128 off, v[1:4], off offset:352
	v_cmpx_lt_u32_e32 21, v124
	s_cbranch_execz .LBB38_205
; %bb.204:
	scratch_load_b128 v[1:4], v140, off
	v_mov_b32_e32 v5, 0
	s_delay_alu instid0(VALU_DEP_1)
	v_mov_b32_e32 v6, v5
	v_mov_b32_e32 v7, v5
	;; [unrolled: 1-line block ×3, first 2 shown]
	scratch_store_b128 off, v[5:8], off offset:336
	s_waitcnt vmcnt(0)
	ds_store_b128 v163, v[1:4]
.LBB38_205:
	s_or_b32 exec_lo, exec_lo, s2
	s_waitcnt lgkmcnt(0)
	s_waitcnt_vscnt null, 0x0
	s_barrier
	buffer_gl0_inv
	s_clause 0x7
	scratch_load_b128 v[2:5], off, off offset:352
	scratch_load_b128 v[6:9], off, off offset:368
	;; [unrolled: 1-line block ×8, first 2 shown]
	v_mov_b32_e32 v1, 0
	s_mov_b32 s2, exec_lo
	ds_load_b128 v[34:37], v1 offset:976
	s_clause 0x1
	scratch_load_b128 v[38:41], off, off offset:480
	scratch_load_b128 v[42:45], off, off offset:336
	ds_load_b128 v[164:167], v1 offset:992
	scratch_load_b128 v[168:171], off, off offset:496
	s_waitcnt vmcnt(10) lgkmcnt(1)
	v_mul_f64 v[172:173], v[36:37], v[4:5]
	v_mul_f64 v[4:5], v[34:35], v[4:5]
	s_delay_alu instid0(VALU_DEP_2) | instskip(NEXT) | instid1(VALU_DEP_2)
	v_fma_f64 v[178:179], v[34:35], v[2:3], -v[172:173]
	v_fma_f64 v[180:181], v[36:37], v[2:3], v[4:5]
	scratch_load_b128 v[34:37], off, off offset:512
	ds_load_b128 v[2:5], v1 offset:1008
	s_waitcnt vmcnt(10) lgkmcnt(1)
	v_mul_f64 v[176:177], v[164:165], v[8:9]
	v_mul_f64 v[8:9], v[166:167], v[8:9]
	ds_load_b128 v[172:175], v1 offset:1024
	s_waitcnt vmcnt(9) lgkmcnt(1)
	v_mul_f64 v[182:183], v[2:3], v[12:13]
	v_mul_f64 v[12:13], v[4:5], v[12:13]
	v_fma_f64 v[166:167], v[166:167], v[6:7], v[176:177]
	v_fma_f64 v[164:165], v[164:165], v[6:7], -v[8:9]
	v_add_f64 v[176:177], v[178:179], 0
	v_add_f64 v[178:179], v[180:181], 0
	scratch_load_b128 v[6:9], off, off offset:528
	v_fma_f64 v[182:183], v[4:5], v[10:11], v[182:183]
	v_fma_f64 v[184:185], v[2:3], v[10:11], -v[12:13]
	scratch_load_b128 v[10:13], off, off offset:544
	ds_load_b128 v[2:5], v1 offset:1040
	s_waitcnt vmcnt(10) lgkmcnt(1)
	v_mul_f64 v[180:181], v[172:173], v[16:17]
	v_mul_f64 v[16:17], v[174:175], v[16:17]
	v_add_f64 v[176:177], v[176:177], v[164:165]
	v_add_f64 v[178:179], v[178:179], v[166:167]
	s_waitcnt vmcnt(9) lgkmcnt(0)
	v_mul_f64 v[186:187], v[2:3], v[20:21]
	v_mul_f64 v[20:21], v[4:5], v[20:21]
	ds_load_b128 v[164:167], v1 offset:1056
	v_fma_f64 v[174:175], v[174:175], v[14:15], v[180:181]
	v_fma_f64 v[172:173], v[172:173], v[14:15], -v[16:17]
	scratch_load_b128 v[14:17], off, off offset:560
	v_add_f64 v[176:177], v[176:177], v[184:185]
	v_add_f64 v[178:179], v[178:179], v[182:183]
	v_fma_f64 v[182:183], v[4:5], v[18:19], v[186:187]
	v_fma_f64 v[184:185], v[2:3], v[18:19], -v[20:21]
	scratch_load_b128 v[18:21], off, off offset:576
	ds_load_b128 v[2:5], v1 offset:1072
	s_waitcnt vmcnt(10) lgkmcnt(1)
	v_mul_f64 v[180:181], v[164:165], v[24:25]
	v_mul_f64 v[24:25], v[166:167], v[24:25]
	s_waitcnt vmcnt(9) lgkmcnt(0)
	v_mul_f64 v[186:187], v[2:3], v[28:29]
	v_mul_f64 v[28:29], v[4:5], v[28:29]
	v_add_f64 v[176:177], v[176:177], v[172:173]
	v_add_f64 v[178:179], v[178:179], v[174:175]
	ds_load_b128 v[172:175], v1 offset:1088
	v_fma_f64 v[166:167], v[166:167], v[22:23], v[180:181]
	v_fma_f64 v[164:165], v[164:165], v[22:23], -v[24:25]
	scratch_load_b128 v[22:25], off, off offset:592
	v_add_f64 v[176:177], v[176:177], v[184:185]
	v_add_f64 v[178:179], v[178:179], v[182:183]
	v_fma_f64 v[182:183], v[4:5], v[26:27], v[186:187]
	v_fma_f64 v[184:185], v[2:3], v[26:27], -v[28:29]
	scratch_load_b128 v[26:29], off, off offset:608
	ds_load_b128 v[2:5], v1 offset:1104
	s_waitcnt vmcnt(10) lgkmcnt(1)
	v_mul_f64 v[180:181], v[172:173], v[32:33]
	v_mul_f64 v[32:33], v[174:175], v[32:33]
	s_waitcnt vmcnt(9) lgkmcnt(0)
	v_mul_f64 v[186:187], v[2:3], v[40:41]
	v_mul_f64 v[40:41], v[4:5], v[40:41]
	v_add_f64 v[176:177], v[176:177], v[164:165]
	v_add_f64 v[178:179], v[178:179], v[166:167]
	ds_load_b128 v[164:167], v1 offset:1120
	v_fma_f64 v[174:175], v[174:175], v[30:31], v[180:181]
	v_fma_f64 v[30:31], v[172:173], v[30:31], -v[32:33]
	v_add_f64 v[32:33], v[176:177], v[184:185]
	v_add_f64 v[172:173], v[178:179], v[182:183]
	s_waitcnt vmcnt(7) lgkmcnt(0)
	v_mul_f64 v[176:177], v[164:165], v[170:171]
	v_mul_f64 v[170:171], v[166:167], v[170:171]
	v_fma_f64 v[178:179], v[4:5], v[38:39], v[186:187]
	v_fma_f64 v[38:39], v[2:3], v[38:39], -v[40:41]
	v_add_f64 v[40:41], v[32:33], v[30:31]
	v_add_f64 v[172:173], v[172:173], v[174:175]
	ds_load_b128 v[2:5], v1 offset:1136
	ds_load_b128 v[30:33], v1 offset:1152
	v_fma_f64 v[166:167], v[166:167], v[168:169], v[176:177]
	v_fma_f64 v[164:165], v[164:165], v[168:169], -v[170:171]
	s_waitcnt vmcnt(6) lgkmcnt(1)
	v_mul_f64 v[174:175], v[2:3], v[36:37]
	v_mul_f64 v[36:37], v[4:5], v[36:37]
	v_add_f64 v[38:39], v[40:41], v[38:39]
	v_add_f64 v[40:41], v[172:173], v[178:179]
	s_waitcnt vmcnt(5) lgkmcnt(0)
	v_mul_f64 v[168:169], v[30:31], v[8:9]
	v_mul_f64 v[8:9], v[32:33], v[8:9]
	v_fma_f64 v[170:171], v[4:5], v[34:35], v[174:175]
	v_fma_f64 v[172:173], v[2:3], v[34:35], -v[36:37]
	ds_load_b128 v[2:5], v1 offset:1168
	ds_load_b128 v[34:37], v1 offset:1184
	v_add_f64 v[38:39], v[38:39], v[164:165]
	v_add_f64 v[40:41], v[40:41], v[166:167]
	s_waitcnt vmcnt(4) lgkmcnt(1)
	v_mul_f64 v[164:165], v[2:3], v[12:13]
	v_mul_f64 v[12:13], v[4:5], v[12:13]
	v_fma_f64 v[32:33], v[32:33], v[6:7], v[168:169]
	v_fma_f64 v[6:7], v[30:31], v[6:7], -v[8:9]
	v_add_f64 v[8:9], v[38:39], v[172:173]
	v_add_f64 v[30:31], v[40:41], v[170:171]
	s_waitcnt vmcnt(3) lgkmcnt(0)
	v_mul_f64 v[38:39], v[34:35], v[16:17]
	v_mul_f64 v[16:17], v[36:37], v[16:17]
	v_fma_f64 v[40:41], v[4:5], v[10:11], v[164:165]
	v_fma_f64 v[10:11], v[2:3], v[10:11], -v[12:13]
	v_add_f64 v[12:13], v[8:9], v[6:7]
	v_add_f64 v[30:31], v[30:31], v[32:33]
	ds_load_b128 v[2:5], v1 offset:1200
	ds_load_b128 v[6:9], v1 offset:1216
	v_fma_f64 v[36:37], v[36:37], v[14:15], v[38:39]
	v_fma_f64 v[14:15], v[34:35], v[14:15], -v[16:17]
	s_waitcnt vmcnt(2) lgkmcnt(1)
	v_mul_f64 v[32:33], v[2:3], v[20:21]
	v_mul_f64 v[20:21], v[4:5], v[20:21]
	s_waitcnt vmcnt(1) lgkmcnt(0)
	v_mul_f64 v[16:17], v[6:7], v[24:25]
	v_mul_f64 v[24:25], v[8:9], v[24:25]
	v_add_f64 v[10:11], v[12:13], v[10:11]
	v_add_f64 v[12:13], v[30:31], v[40:41]
	v_fma_f64 v[30:31], v[4:5], v[18:19], v[32:33]
	v_fma_f64 v[18:19], v[2:3], v[18:19], -v[20:21]
	ds_load_b128 v[2:5], v1 offset:1232
	v_fma_f64 v[8:9], v[8:9], v[22:23], v[16:17]
	v_fma_f64 v[6:7], v[6:7], v[22:23], -v[24:25]
	v_add_f64 v[10:11], v[10:11], v[14:15]
	v_add_f64 v[12:13], v[12:13], v[36:37]
	s_waitcnt vmcnt(0) lgkmcnt(0)
	v_mul_f64 v[14:15], v[2:3], v[28:29]
	v_mul_f64 v[20:21], v[4:5], v[28:29]
	s_delay_alu instid0(VALU_DEP_4) | instskip(NEXT) | instid1(VALU_DEP_4)
	v_add_f64 v[10:11], v[10:11], v[18:19]
	v_add_f64 v[12:13], v[12:13], v[30:31]
	s_delay_alu instid0(VALU_DEP_4) | instskip(NEXT) | instid1(VALU_DEP_4)
	v_fma_f64 v[4:5], v[4:5], v[26:27], v[14:15]
	v_fma_f64 v[2:3], v[2:3], v[26:27], -v[20:21]
	s_delay_alu instid0(VALU_DEP_4) | instskip(NEXT) | instid1(VALU_DEP_4)
	v_add_f64 v[6:7], v[10:11], v[6:7]
	v_add_f64 v[8:9], v[12:13], v[8:9]
	s_delay_alu instid0(VALU_DEP_2) | instskip(NEXT) | instid1(VALU_DEP_2)
	v_add_f64 v[2:3], v[6:7], v[2:3]
	v_add_f64 v[4:5], v[8:9], v[4:5]
	s_delay_alu instid0(VALU_DEP_2) | instskip(NEXT) | instid1(VALU_DEP_2)
	v_add_f64 v[2:3], v[42:43], -v[2:3]
	v_add_f64 v[4:5], v[44:45], -v[4:5]
	scratch_store_b128 off, v[2:5], off offset:336
	v_cmpx_lt_u32_e32 20, v124
	s_cbranch_execz .LBB38_207
; %bb.206:
	scratch_load_b128 v[5:8], v141, off
	v_mov_b32_e32 v2, v1
	v_mov_b32_e32 v3, v1
	v_mov_b32_e32 v4, v1
	scratch_store_b128 off, v[1:4], off offset:320
	s_waitcnt vmcnt(0)
	ds_store_b128 v163, v[5:8]
.LBB38_207:
	s_or_b32 exec_lo, exec_lo, s2
	s_waitcnt lgkmcnt(0)
	s_waitcnt_vscnt null, 0x0
	s_barrier
	buffer_gl0_inv
	s_clause 0x8
	scratch_load_b128 v[2:5], off, off offset:336
	scratch_load_b128 v[6:9], off, off offset:352
	;; [unrolled: 1-line block ×9, first 2 shown]
	ds_load_b128 v[38:41], v1 offset:960
	ds_load_b128 v[42:45], v1 offset:976
	s_clause 0x1
	scratch_load_b128 v[164:167], off, off offset:320
	scratch_load_b128 v[168:171], off, off offset:480
	s_mov_b32 s2, exec_lo
	s_waitcnt vmcnt(10) lgkmcnt(1)
	v_mul_f64 v[172:173], v[40:41], v[4:5]
	v_mul_f64 v[4:5], v[38:39], v[4:5]
	s_waitcnt vmcnt(9) lgkmcnt(0)
	v_mul_f64 v[176:177], v[42:43], v[8:9]
	v_mul_f64 v[8:9], v[44:45], v[8:9]
	s_delay_alu instid0(VALU_DEP_4) | instskip(NEXT) | instid1(VALU_DEP_4)
	v_fma_f64 v[178:179], v[38:39], v[2:3], -v[172:173]
	v_fma_f64 v[180:181], v[40:41], v[2:3], v[4:5]
	ds_load_b128 v[2:5], v1 offset:992
	ds_load_b128 v[172:175], v1 offset:1008
	scratch_load_b128 v[38:41], off, off offset:496
	v_fma_f64 v[44:45], v[44:45], v[6:7], v[176:177]
	v_fma_f64 v[42:43], v[42:43], v[6:7], -v[8:9]
	scratch_load_b128 v[6:9], off, off offset:512
	s_waitcnt vmcnt(10) lgkmcnt(1)
	v_mul_f64 v[182:183], v[2:3], v[12:13]
	v_mul_f64 v[12:13], v[4:5], v[12:13]
	v_add_f64 v[176:177], v[178:179], 0
	v_add_f64 v[178:179], v[180:181], 0
	s_waitcnt vmcnt(9) lgkmcnt(0)
	v_mul_f64 v[180:181], v[172:173], v[16:17]
	v_mul_f64 v[16:17], v[174:175], v[16:17]
	v_fma_f64 v[182:183], v[4:5], v[10:11], v[182:183]
	v_fma_f64 v[184:185], v[2:3], v[10:11], -v[12:13]
	ds_load_b128 v[2:5], v1 offset:1024
	scratch_load_b128 v[10:13], off, off offset:528
	v_add_f64 v[176:177], v[176:177], v[42:43]
	v_add_f64 v[178:179], v[178:179], v[44:45]
	ds_load_b128 v[42:45], v1 offset:1040
	v_fma_f64 v[174:175], v[174:175], v[14:15], v[180:181]
	v_fma_f64 v[172:173], v[172:173], v[14:15], -v[16:17]
	scratch_load_b128 v[14:17], off, off offset:544
	s_waitcnt vmcnt(10) lgkmcnt(1)
	v_mul_f64 v[186:187], v[2:3], v[20:21]
	v_mul_f64 v[20:21], v[4:5], v[20:21]
	s_waitcnt vmcnt(9) lgkmcnt(0)
	v_mul_f64 v[180:181], v[42:43], v[24:25]
	v_mul_f64 v[24:25], v[44:45], v[24:25]
	v_add_f64 v[176:177], v[176:177], v[184:185]
	v_add_f64 v[178:179], v[178:179], v[182:183]
	v_fma_f64 v[182:183], v[4:5], v[18:19], v[186:187]
	v_fma_f64 v[184:185], v[2:3], v[18:19], -v[20:21]
	ds_load_b128 v[2:5], v1 offset:1056
	scratch_load_b128 v[18:21], off, off offset:560
	v_fma_f64 v[44:45], v[44:45], v[22:23], v[180:181]
	v_fma_f64 v[42:43], v[42:43], v[22:23], -v[24:25]
	scratch_load_b128 v[22:25], off, off offset:576
	v_add_f64 v[176:177], v[176:177], v[172:173]
	v_add_f64 v[178:179], v[178:179], v[174:175]
	ds_load_b128 v[172:175], v1 offset:1072
	s_waitcnt vmcnt(10) lgkmcnt(1)
	v_mul_f64 v[186:187], v[2:3], v[28:29]
	v_mul_f64 v[28:29], v[4:5], v[28:29]
	s_waitcnt vmcnt(9) lgkmcnt(0)
	v_mul_f64 v[180:181], v[172:173], v[32:33]
	v_mul_f64 v[32:33], v[174:175], v[32:33]
	v_add_f64 v[176:177], v[176:177], v[184:185]
	v_add_f64 v[178:179], v[178:179], v[182:183]
	v_fma_f64 v[182:183], v[4:5], v[26:27], v[186:187]
	v_fma_f64 v[184:185], v[2:3], v[26:27], -v[28:29]
	ds_load_b128 v[2:5], v1 offset:1088
	scratch_load_b128 v[26:29], off, off offset:592
	v_fma_f64 v[174:175], v[174:175], v[30:31], v[180:181]
	v_fma_f64 v[172:173], v[172:173], v[30:31], -v[32:33]
	scratch_load_b128 v[30:33], off, off offset:608
	v_add_f64 v[176:177], v[176:177], v[42:43]
	v_add_f64 v[178:179], v[178:179], v[44:45]
	ds_load_b128 v[42:45], v1 offset:1104
	s_waitcnt vmcnt(10) lgkmcnt(1)
	v_mul_f64 v[186:187], v[2:3], v[36:37]
	v_mul_f64 v[36:37], v[4:5], v[36:37]
	s_waitcnt vmcnt(8) lgkmcnt(0)
	v_mul_f64 v[180:181], v[42:43], v[170:171]
	v_mul_f64 v[170:171], v[44:45], v[170:171]
	v_add_f64 v[176:177], v[176:177], v[184:185]
	v_add_f64 v[178:179], v[178:179], v[182:183]
	v_fma_f64 v[182:183], v[4:5], v[34:35], v[186:187]
	v_fma_f64 v[184:185], v[2:3], v[34:35], -v[36:37]
	ds_load_b128 v[2:5], v1 offset:1120
	ds_load_b128 v[34:37], v1 offset:1136
	v_fma_f64 v[44:45], v[44:45], v[168:169], v[180:181]
	v_fma_f64 v[42:43], v[42:43], v[168:169], -v[170:171]
	v_add_f64 v[172:173], v[176:177], v[172:173]
	v_add_f64 v[174:175], v[178:179], v[174:175]
	s_waitcnt vmcnt(7) lgkmcnt(1)
	v_mul_f64 v[176:177], v[2:3], v[40:41]
	v_mul_f64 v[40:41], v[4:5], v[40:41]
	s_delay_alu instid0(VALU_DEP_4) | instskip(NEXT) | instid1(VALU_DEP_4)
	v_add_f64 v[168:169], v[172:173], v[184:185]
	v_add_f64 v[170:171], v[174:175], v[182:183]
	s_waitcnt vmcnt(6) lgkmcnt(0)
	v_mul_f64 v[172:173], v[34:35], v[8:9]
	v_mul_f64 v[8:9], v[36:37], v[8:9]
	v_fma_f64 v[174:175], v[4:5], v[38:39], v[176:177]
	v_fma_f64 v[176:177], v[2:3], v[38:39], -v[40:41]
	ds_load_b128 v[2:5], v1 offset:1152
	ds_load_b128 v[38:41], v1 offset:1168
	v_add_f64 v[42:43], v[168:169], v[42:43]
	v_add_f64 v[44:45], v[170:171], v[44:45]
	v_fma_f64 v[36:37], v[36:37], v[6:7], v[172:173]
	s_waitcnt vmcnt(5) lgkmcnt(1)
	v_mul_f64 v[168:169], v[2:3], v[12:13]
	v_mul_f64 v[12:13], v[4:5], v[12:13]
	v_fma_f64 v[6:7], v[34:35], v[6:7], -v[8:9]
	v_add_f64 v[8:9], v[42:43], v[176:177]
	v_add_f64 v[34:35], v[44:45], v[174:175]
	s_waitcnt vmcnt(4) lgkmcnt(0)
	v_mul_f64 v[42:43], v[38:39], v[16:17]
	v_mul_f64 v[16:17], v[40:41], v[16:17]
	v_fma_f64 v[44:45], v[4:5], v[10:11], v[168:169]
	v_fma_f64 v[10:11], v[2:3], v[10:11], -v[12:13]
	v_add_f64 v[12:13], v[8:9], v[6:7]
	v_add_f64 v[34:35], v[34:35], v[36:37]
	ds_load_b128 v[2:5], v1 offset:1184
	ds_load_b128 v[6:9], v1 offset:1200
	v_fma_f64 v[40:41], v[40:41], v[14:15], v[42:43]
	v_fma_f64 v[14:15], v[38:39], v[14:15], -v[16:17]
	s_waitcnt vmcnt(3) lgkmcnt(1)
	v_mul_f64 v[36:37], v[2:3], v[20:21]
	v_mul_f64 v[20:21], v[4:5], v[20:21]
	s_waitcnt vmcnt(2) lgkmcnt(0)
	v_mul_f64 v[16:17], v[6:7], v[24:25]
	v_mul_f64 v[24:25], v[8:9], v[24:25]
	v_add_f64 v[10:11], v[12:13], v[10:11]
	v_add_f64 v[12:13], v[34:35], v[44:45]
	v_fma_f64 v[34:35], v[4:5], v[18:19], v[36:37]
	v_fma_f64 v[18:19], v[2:3], v[18:19], -v[20:21]
	v_fma_f64 v[8:9], v[8:9], v[22:23], v[16:17]
	v_fma_f64 v[6:7], v[6:7], v[22:23], -v[24:25]
	v_add_f64 v[14:15], v[10:11], v[14:15]
	v_add_f64 v[20:21], v[12:13], v[40:41]
	ds_load_b128 v[2:5], v1 offset:1216
	ds_load_b128 v[10:13], v1 offset:1232
	s_waitcnt vmcnt(1) lgkmcnt(1)
	v_mul_f64 v[36:37], v[2:3], v[28:29]
	v_mul_f64 v[28:29], v[4:5], v[28:29]
	v_add_f64 v[14:15], v[14:15], v[18:19]
	v_add_f64 v[16:17], v[20:21], v[34:35]
	s_waitcnt vmcnt(0) lgkmcnt(0)
	v_mul_f64 v[18:19], v[10:11], v[32:33]
	v_mul_f64 v[20:21], v[12:13], v[32:33]
	v_fma_f64 v[4:5], v[4:5], v[26:27], v[36:37]
	v_fma_f64 v[1:2], v[2:3], v[26:27], -v[28:29]
	v_add_f64 v[6:7], v[14:15], v[6:7]
	v_add_f64 v[8:9], v[16:17], v[8:9]
	v_fma_f64 v[12:13], v[12:13], v[30:31], v[18:19]
	v_fma_f64 v[10:11], v[10:11], v[30:31], -v[20:21]
	s_delay_alu instid0(VALU_DEP_4) | instskip(NEXT) | instid1(VALU_DEP_4)
	v_add_f64 v[1:2], v[6:7], v[1:2]
	v_add_f64 v[3:4], v[8:9], v[4:5]
	s_delay_alu instid0(VALU_DEP_2) | instskip(NEXT) | instid1(VALU_DEP_2)
	v_add_f64 v[1:2], v[1:2], v[10:11]
	v_add_f64 v[3:4], v[3:4], v[12:13]
	s_delay_alu instid0(VALU_DEP_2) | instskip(NEXT) | instid1(VALU_DEP_2)
	v_add_f64 v[1:2], v[164:165], -v[1:2]
	v_add_f64 v[3:4], v[166:167], -v[3:4]
	scratch_store_b128 off, v[1:4], off offset:320
	v_cmpx_lt_u32_e32 19, v124
	s_cbranch_execz .LBB38_209
; %bb.208:
	scratch_load_b128 v[1:4], v142, off
	v_mov_b32_e32 v5, 0
	s_delay_alu instid0(VALU_DEP_1)
	v_mov_b32_e32 v6, v5
	v_mov_b32_e32 v7, v5
	;; [unrolled: 1-line block ×3, first 2 shown]
	scratch_store_b128 off, v[5:8], off offset:304
	s_waitcnt vmcnt(0)
	ds_store_b128 v163, v[1:4]
.LBB38_209:
	s_or_b32 exec_lo, exec_lo, s2
	s_waitcnt lgkmcnt(0)
	s_waitcnt_vscnt null, 0x0
	s_barrier
	buffer_gl0_inv
	s_clause 0x7
	scratch_load_b128 v[2:5], off, off offset:320
	scratch_load_b128 v[6:9], off, off offset:336
	;; [unrolled: 1-line block ×8, first 2 shown]
	v_mov_b32_e32 v1, 0
	s_mov_b32 s2, exec_lo
	ds_load_b128 v[34:37], v1 offset:944
	s_clause 0x1
	scratch_load_b128 v[38:41], off, off offset:448
	scratch_load_b128 v[42:45], off, off offset:304
	ds_load_b128 v[164:167], v1 offset:960
	scratch_load_b128 v[168:171], off, off offset:464
	s_waitcnt vmcnt(10) lgkmcnt(1)
	v_mul_f64 v[172:173], v[36:37], v[4:5]
	v_mul_f64 v[4:5], v[34:35], v[4:5]
	s_delay_alu instid0(VALU_DEP_2) | instskip(NEXT) | instid1(VALU_DEP_2)
	v_fma_f64 v[178:179], v[34:35], v[2:3], -v[172:173]
	v_fma_f64 v[180:181], v[36:37], v[2:3], v[4:5]
	scratch_load_b128 v[34:37], off, off offset:480
	ds_load_b128 v[2:5], v1 offset:976
	s_waitcnt vmcnt(10) lgkmcnt(1)
	v_mul_f64 v[176:177], v[164:165], v[8:9]
	v_mul_f64 v[8:9], v[166:167], v[8:9]
	ds_load_b128 v[172:175], v1 offset:992
	s_waitcnt vmcnt(9) lgkmcnt(1)
	v_mul_f64 v[182:183], v[2:3], v[12:13]
	v_mul_f64 v[12:13], v[4:5], v[12:13]
	v_fma_f64 v[166:167], v[166:167], v[6:7], v[176:177]
	v_fma_f64 v[164:165], v[164:165], v[6:7], -v[8:9]
	v_add_f64 v[176:177], v[178:179], 0
	v_add_f64 v[178:179], v[180:181], 0
	scratch_load_b128 v[6:9], off, off offset:496
	v_fma_f64 v[182:183], v[4:5], v[10:11], v[182:183]
	v_fma_f64 v[184:185], v[2:3], v[10:11], -v[12:13]
	scratch_load_b128 v[10:13], off, off offset:512
	ds_load_b128 v[2:5], v1 offset:1008
	s_waitcnt vmcnt(10) lgkmcnt(1)
	v_mul_f64 v[180:181], v[172:173], v[16:17]
	v_mul_f64 v[16:17], v[174:175], v[16:17]
	v_add_f64 v[176:177], v[176:177], v[164:165]
	v_add_f64 v[178:179], v[178:179], v[166:167]
	s_waitcnt vmcnt(9) lgkmcnt(0)
	v_mul_f64 v[186:187], v[2:3], v[20:21]
	v_mul_f64 v[20:21], v[4:5], v[20:21]
	ds_load_b128 v[164:167], v1 offset:1024
	v_fma_f64 v[174:175], v[174:175], v[14:15], v[180:181]
	v_fma_f64 v[172:173], v[172:173], v[14:15], -v[16:17]
	scratch_load_b128 v[14:17], off, off offset:528
	v_add_f64 v[176:177], v[176:177], v[184:185]
	v_add_f64 v[178:179], v[178:179], v[182:183]
	v_fma_f64 v[182:183], v[4:5], v[18:19], v[186:187]
	v_fma_f64 v[184:185], v[2:3], v[18:19], -v[20:21]
	scratch_load_b128 v[18:21], off, off offset:544
	ds_load_b128 v[2:5], v1 offset:1040
	s_waitcnt vmcnt(10) lgkmcnt(1)
	v_mul_f64 v[180:181], v[164:165], v[24:25]
	v_mul_f64 v[24:25], v[166:167], v[24:25]
	s_waitcnt vmcnt(9) lgkmcnt(0)
	v_mul_f64 v[186:187], v[2:3], v[28:29]
	v_mul_f64 v[28:29], v[4:5], v[28:29]
	v_add_f64 v[176:177], v[176:177], v[172:173]
	v_add_f64 v[178:179], v[178:179], v[174:175]
	ds_load_b128 v[172:175], v1 offset:1056
	v_fma_f64 v[166:167], v[166:167], v[22:23], v[180:181]
	v_fma_f64 v[164:165], v[164:165], v[22:23], -v[24:25]
	scratch_load_b128 v[22:25], off, off offset:560
	v_add_f64 v[176:177], v[176:177], v[184:185]
	v_add_f64 v[178:179], v[178:179], v[182:183]
	v_fma_f64 v[182:183], v[4:5], v[26:27], v[186:187]
	v_fma_f64 v[184:185], v[2:3], v[26:27], -v[28:29]
	scratch_load_b128 v[26:29], off, off offset:576
	ds_load_b128 v[2:5], v1 offset:1072
	s_waitcnt vmcnt(10) lgkmcnt(1)
	v_mul_f64 v[180:181], v[172:173], v[32:33]
	v_mul_f64 v[32:33], v[174:175], v[32:33]
	s_waitcnt vmcnt(9) lgkmcnt(0)
	v_mul_f64 v[186:187], v[2:3], v[40:41]
	v_mul_f64 v[40:41], v[4:5], v[40:41]
	v_add_f64 v[176:177], v[176:177], v[164:165]
	v_add_f64 v[178:179], v[178:179], v[166:167]
	ds_load_b128 v[164:167], v1 offset:1088
	v_fma_f64 v[174:175], v[174:175], v[30:31], v[180:181]
	v_fma_f64 v[172:173], v[172:173], v[30:31], -v[32:33]
	scratch_load_b128 v[30:33], off, off offset:592
	v_add_f64 v[176:177], v[176:177], v[184:185]
	v_add_f64 v[178:179], v[178:179], v[182:183]
	v_fma_f64 v[184:185], v[4:5], v[38:39], v[186:187]
	v_fma_f64 v[186:187], v[2:3], v[38:39], -v[40:41]
	scratch_load_b128 v[38:41], off, off offset:608
	ds_load_b128 v[2:5], v1 offset:1104
	s_waitcnt vmcnt(9) lgkmcnt(1)
	v_mul_f64 v[180:181], v[164:165], v[170:171]
	v_mul_f64 v[182:183], v[166:167], v[170:171]
	v_add_f64 v[176:177], v[176:177], v[172:173]
	v_add_f64 v[174:175], v[178:179], v[174:175]
	ds_load_b128 v[170:173], v1 offset:1120
	v_fma_f64 v[166:167], v[166:167], v[168:169], v[180:181]
	v_fma_f64 v[164:165], v[164:165], v[168:169], -v[182:183]
	s_waitcnt vmcnt(8) lgkmcnt(1)
	v_mul_f64 v[178:179], v[2:3], v[36:37]
	v_mul_f64 v[36:37], v[4:5], v[36:37]
	v_add_f64 v[168:169], v[176:177], v[186:187]
	v_add_f64 v[174:175], v[174:175], v[184:185]
	s_delay_alu instid0(VALU_DEP_4) | instskip(NEXT) | instid1(VALU_DEP_4)
	v_fma_f64 v[178:179], v[4:5], v[34:35], v[178:179]
	v_fma_f64 v[180:181], v[2:3], v[34:35], -v[36:37]
	ds_load_b128 v[2:5], v1 offset:1136
	ds_load_b128 v[34:37], v1 offset:1152
	s_waitcnt vmcnt(7) lgkmcnt(2)
	v_mul_f64 v[176:177], v[170:171], v[8:9]
	v_mul_f64 v[8:9], v[172:173], v[8:9]
	v_add_f64 v[164:165], v[168:169], v[164:165]
	v_add_f64 v[166:167], v[174:175], v[166:167]
	s_waitcnt vmcnt(6) lgkmcnt(1)
	v_mul_f64 v[168:169], v[2:3], v[12:13]
	v_mul_f64 v[12:13], v[4:5], v[12:13]
	v_fma_f64 v[172:173], v[172:173], v[6:7], v[176:177]
	v_fma_f64 v[6:7], v[170:171], v[6:7], -v[8:9]
	v_add_f64 v[8:9], v[164:165], v[180:181]
	v_add_f64 v[164:165], v[166:167], v[178:179]
	s_waitcnt vmcnt(5) lgkmcnt(0)
	v_mul_f64 v[166:167], v[34:35], v[16:17]
	v_mul_f64 v[16:17], v[36:37], v[16:17]
	v_fma_f64 v[168:169], v[4:5], v[10:11], v[168:169]
	v_fma_f64 v[10:11], v[2:3], v[10:11], -v[12:13]
	v_add_f64 v[12:13], v[8:9], v[6:7]
	v_add_f64 v[164:165], v[164:165], v[172:173]
	ds_load_b128 v[2:5], v1 offset:1168
	ds_load_b128 v[6:9], v1 offset:1184
	v_fma_f64 v[36:37], v[36:37], v[14:15], v[166:167]
	v_fma_f64 v[14:15], v[34:35], v[14:15], -v[16:17]
	s_waitcnt vmcnt(4) lgkmcnt(1)
	v_mul_f64 v[170:171], v[2:3], v[20:21]
	v_mul_f64 v[20:21], v[4:5], v[20:21]
	s_waitcnt vmcnt(3) lgkmcnt(0)
	v_mul_f64 v[16:17], v[6:7], v[24:25]
	v_mul_f64 v[24:25], v[8:9], v[24:25]
	v_add_f64 v[10:11], v[12:13], v[10:11]
	v_add_f64 v[12:13], v[164:165], v[168:169]
	v_fma_f64 v[34:35], v[4:5], v[18:19], v[170:171]
	v_fma_f64 v[18:19], v[2:3], v[18:19], -v[20:21]
	v_fma_f64 v[8:9], v[8:9], v[22:23], v[16:17]
	v_fma_f64 v[6:7], v[6:7], v[22:23], -v[24:25]
	v_add_f64 v[14:15], v[10:11], v[14:15]
	v_add_f64 v[20:21], v[12:13], v[36:37]
	ds_load_b128 v[2:5], v1 offset:1200
	ds_load_b128 v[10:13], v1 offset:1216
	s_waitcnt vmcnt(2) lgkmcnt(1)
	v_mul_f64 v[36:37], v[2:3], v[28:29]
	v_mul_f64 v[28:29], v[4:5], v[28:29]
	v_add_f64 v[14:15], v[14:15], v[18:19]
	v_add_f64 v[16:17], v[20:21], v[34:35]
	s_waitcnt vmcnt(1) lgkmcnt(0)
	v_mul_f64 v[18:19], v[10:11], v[32:33]
	v_mul_f64 v[20:21], v[12:13], v[32:33]
	v_fma_f64 v[22:23], v[4:5], v[26:27], v[36:37]
	v_fma_f64 v[24:25], v[2:3], v[26:27], -v[28:29]
	ds_load_b128 v[2:5], v1 offset:1232
	v_add_f64 v[6:7], v[14:15], v[6:7]
	v_add_f64 v[8:9], v[16:17], v[8:9]
	v_fma_f64 v[12:13], v[12:13], v[30:31], v[18:19]
	v_fma_f64 v[10:11], v[10:11], v[30:31], -v[20:21]
	s_waitcnt vmcnt(0) lgkmcnt(0)
	v_mul_f64 v[14:15], v[2:3], v[40:41]
	v_mul_f64 v[16:17], v[4:5], v[40:41]
	v_add_f64 v[6:7], v[6:7], v[24:25]
	v_add_f64 v[8:9], v[8:9], v[22:23]
	s_delay_alu instid0(VALU_DEP_4) | instskip(NEXT) | instid1(VALU_DEP_4)
	v_fma_f64 v[4:5], v[4:5], v[38:39], v[14:15]
	v_fma_f64 v[2:3], v[2:3], v[38:39], -v[16:17]
	s_delay_alu instid0(VALU_DEP_4) | instskip(NEXT) | instid1(VALU_DEP_4)
	v_add_f64 v[6:7], v[6:7], v[10:11]
	v_add_f64 v[8:9], v[8:9], v[12:13]
	s_delay_alu instid0(VALU_DEP_2) | instskip(NEXT) | instid1(VALU_DEP_2)
	v_add_f64 v[2:3], v[6:7], v[2:3]
	v_add_f64 v[4:5], v[8:9], v[4:5]
	s_delay_alu instid0(VALU_DEP_2) | instskip(NEXT) | instid1(VALU_DEP_2)
	v_add_f64 v[2:3], v[42:43], -v[2:3]
	v_add_f64 v[4:5], v[44:45], -v[4:5]
	scratch_store_b128 off, v[2:5], off offset:304
	v_cmpx_lt_u32_e32 18, v124
	s_cbranch_execz .LBB38_211
; %bb.210:
	scratch_load_b128 v[5:8], v144, off
	v_mov_b32_e32 v2, v1
	v_mov_b32_e32 v3, v1
	;; [unrolled: 1-line block ×3, first 2 shown]
	scratch_store_b128 off, v[1:4], off offset:288
	s_waitcnt vmcnt(0)
	ds_store_b128 v163, v[5:8]
.LBB38_211:
	s_or_b32 exec_lo, exec_lo, s2
	s_waitcnt lgkmcnt(0)
	s_waitcnt_vscnt null, 0x0
	s_barrier
	buffer_gl0_inv
	s_clause 0x8
	scratch_load_b128 v[2:5], off, off offset:304
	scratch_load_b128 v[6:9], off, off offset:320
	;; [unrolled: 1-line block ×9, first 2 shown]
	ds_load_b128 v[38:41], v1 offset:928
	ds_load_b128 v[42:45], v1 offset:944
	s_clause 0x1
	scratch_load_b128 v[164:167], off, off offset:288
	scratch_load_b128 v[168:171], off, off offset:448
	s_mov_b32 s2, exec_lo
	s_waitcnt vmcnt(10) lgkmcnt(1)
	v_mul_f64 v[172:173], v[40:41], v[4:5]
	v_mul_f64 v[4:5], v[38:39], v[4:5]
	s_waitcnt vmcnt(9) lgkmcnt(0)
	v_mul_f64 v[176:177], v[42:43], v[8:9]
	v_mul_f64 v[8:9], v[44:45], v[8:9]
	s_delay_alu instid0(VALU_DEP_4) | instskip(NEXT) | instid1(VALU_DEP_4)
	v_fma_f64 v[178:179], v[38:39], v[2:3], -v[172:173]
	v_fma_f64 v[180:181], v[40:41], v[2:3], v[4:5]
	ds_load_b128 v[2:5], v1 offset:960
	ds_load_b128 v[172:175], v1 offset:976
	scratch_load_b128 v[38:41], off, off offset:464
	v_fma_f64 v[44:45], v[44:45], v[6:7], v[176:177]
	v_fma_f64 v[42:43], v[42:43], v[6:7], -v[8:9]
	scratch_load_b128 v[6:9], off, off offset:480
	s_waitcnt vmcnt(10) lgkmcnt(1)
	v_mul_f64 v[182:183], v[2:3], v[12:13]
	v_mul_f64 v[12:13], v[4:5], v[12:13]
	v_add_f64 v[176:177], v[178:179], 0
	v_add_f64 v[178:179], v[180:181], 0
	s_waitcnt vmcnt(9) lgkmcnt(0)
	v_mul_f64 v[180:181], v[172:173], v[16:17]
	v_mul_f64 v[16:17], v[174:175], v[16:17]
	v_fma_f64 v[182:183], v[4:5], v[10:11], v[182:183]
	v_fma_f64 v[184:185], v[2:3], v[10:11], -v[12:13]
	ds_load_b128 v[2:5], v1 offset:992
	scratch_load_b128 v[10:13], off, off offset:496
	v_add_f64 v[176:177], v[176:177], v[42:43]
	v_add_f64 v[178:179], v[178:179], v[44:45]
	ds_load_b128 v[42:45], v1 offset:1008
	v_fma_f64 v[174:175], v[174:175], v[14:15], v[180:181]
	v_fma_f64 v[172:173], v[172:173], v[14:15], -v[16:17]
	scratch_load_b128 v[14:17], off, off offset:512
	s_waitcnt vmcnt(10) lgkmcnt(1)
	v_mul_f64 v[186:187], v[2:3], v[20:21]
	v_mul_f64 v[20:21], v[4:5], v[20:21]
	s_waitcnt vmcnt(9) lgkmcnt(0)
	v_mul_f64 v[180:181], v[42:43], v[24:25]
	v_mul_f64 v[24:25], v[44:45], v[24:25]
	v_add_f64 v[176:177], v[176:177], v[184:185]
	v_add_f64 v[178:179], v[178:179], v[182:183]
	v_fma_f64 v[182:183], v[4:5], v[18:19], v[186:187]
	v_fma_f64 v[184:185], v[2:3], v[18:19], -v[20:21]
	ds_load_b128 v[2:5], v1 offset:1024
	scratch_load_b128 v[18:21], off, off offset:528
	v_fma_f64 v[44:45], v[44:45], v[22:23], v[180:181]
	v_fma_f64 v[42:43], v[42:43], v[22:23], -v[24:25]
	scratch_load_b128 v[22:25], off, off offset:544
	v_add_f64 v[176:177], v[176:177], v[172:173]
	v_add_f64 v[178:179], v[178:179], v[174:175]
	ds_load_b128 v[172:175], v1 offset:1040
	s_waitcnt vmcnt(10) lgkmcnt(1)
	v_mul_f64 v[186:187], v[2:3], v[28:29]
	v_mul_f64 v[28:29], v[4:5], v[28:29]
	s_waitcnt vmcnt(9) lgkmcnt(0)
	v_mul_f64 v[180:181], v[172:173], v[32:33]
	v_mul_f64 v[32:33], v[174:175], v[32:33]
	v_add_f64 v[176:177], v[176:177], v[184:185]
	v_add_f64 v[178:179], v[178:179], v[182:183]
	v_fma_f64 v[182:183], v[4:5], v[26:27], v[186:187]
	v_fma_f64 v[184:185], v[2:3], v[26:27], -v[28:29]
	ds_load_b128 v[2:5], v1 offset:1056
	scratch_load_b128 v[26:29], off, off offset:560
	v_fma_f64 v[174:175], v[174:175], v[30:31], v[180:181]
	v_fma_f64 v[172:173], v[172:173], v[30:31], -v[32:33]
	scratch_load_b128 v[30:33], off, off offset:576
	v_add_f64 v[176:177], v[176:177], v[42:43]
	v_add_f64 v[178:179], v[178:179], v[44:45]
	ds_load_b128 v[42:45], v1 offset:1072
	s_waitcnt vmcnt(10) lgkmcnt(1)
	v_mul_f64 v[186:187], v[2:3], v[36:37]
	v_mul_f64 v[36:37], v[4:5], v[36:37]
	s_waitcnt vmcnt(8) lgkmcnt(0)
	v_mul_f64 v[180:181], v[42:43], v[170:171]
	v_add_f64 v[176:177], v[176:177], v[184:185]
	v_add_f64 v[178:179], v[178:179], v[182:183]
	v_mul_f64 v[182:183], v[44:45], v[170:171]
	v_fma_f64 v[184:185], v[4:5], v[34:35], v[186:187]
	v_fma_f64 v[186:187], v[2:3], v[34:35], -v[36:37]
	ds_load_b128 v[2:5], v1 offset:1088
	scratch_load_b128 v[34:37], off, off offset:592
	v_fma_f64 v[44:45], v[44:45], v[168:169], v[180:181]
	v_add_f64 v[176:177], v[176:177], v[172:173]
	v_add_f64 v[174:175], v[178:179], v[174:175]
	ds_load_b128 v[170:173], v1 offset:1104
	v_fma_f64 v[168:169], v[42:43], v[168:169], -v[182:183]
	s_waitcnt vmcnt(8) lgkmcnt(1)
	v_mul_f64 v[178:179], v[2:3], v[40:41]
	v_mul_f64 v[188:189], v[4:5], v[40:41]
	scratch_load_b128 v[40:43], off, off offset:608
	s_waitcnt vmcnt(8) lgkmcnt(0)
	v_mul_f64 v[180:181], v[170:171], v[8:9]
	v_mul_f64 v[8:9], v[172:173], v[8:9]
	v_add_f64 v[176:177], v[176:177], v[186:187]
	v_add_f64 v[174:175], v[174:175], v[184:185]
	v_fma_f64 v[178:179], v[4:5], v[38:39], v[178:179]
	v_fma_f64 v[38:39], v[2:3], v[38:39], -v[188:189]
	v_fma_f64 v[172:173], v[172:173], v[6:7], v[180:181]
	v_fma_f64 v[6:7], v[170:171], v[6:7], -v[8:9]
	v_add_f64 v[168:169], v[176:177], v[168:169]
	v_add_f64 v[44:45], v[174:175], v[44:45]
	ds_load_b128 v[2:5], v1 offset:1120
	ds_load_b128 v[174:177], v1 offset:1136
	s_waitcnt vmcnt(7) lgkmcnt(1)
	v_mul_f64 v[182:183], v[2:3], v[12:13]
	v_mul_f64 v[12:13], v[4:5], v[12:13]
	v_add_f64 v[8:9], v[168:169], v[38:39]
	v_add_f64 v[38:39], v[44:45], v[178:179]
	s_waitcnt vmcnt(6) lgkmcnt(0)
	v_mul_f64 v[44:45], v[174:175], v[16:17]
	v_mul_f64 v[16:17], v[176:177], v[16:17]
	v_fma_f64 v[168:169], v[4:5], v[10:11], v[182:183]
	v_fma_f64 v[10:11], v[2:3], v[10:11], -v[12:13]
	v_add_f64 v[12:13], v[8:9], v[6:7]
	v_add_f64 v[38:39], v[38:39], v[172:173]
	ds_load_b128 v[2:5], v1 offset:1152
	ds_load_b128 v[6:9], v1 offset:1168
	v_fma_f64 v[44:45], v[176:177], v[14:15], v[44:45]
	v_fma_f64 v[14:15], v[174:175], v[14:15], -v[16:17]
	s_waitcnt vmcnt(5) lgkmcnt(1)
	v_mul_f64 v[170:171], v[2:3], v[20:21]
	v_mul_f64 v[20:21], v[4:5], v[20:21]
	s_waitcnt vmcnt(4) lgkmcnt(0)
	v_mul_f64 v[16:17], v[6:7], v[24:25]
	v_mul_f64 v[24:25], v[8:9], v[24:25]
	v_add_f64 v[10:11], v[12:13], v[10:11]
	v_add_f64 v[12:13], v[38:39], v[168:169]
	v_fma_f64 v[38:39], v[4:5], v[18:19], v[170:171]
	v_fma_f64 v[18:19], v[2:3], v[18:19], -v[20:21]
	v_fma_f64 v[8:9], v[8:9], v[22:23], v[16:17]
	v_fma_f64 v[6:7], v[6:7], v[22:23], -v[24:25]
	v_add_f64 v[14:15], v[10:11], v[14:15]
	v_add_f64 v[20:21], v[12:13], v[44:45]
	ds_load_b128 v[2:5], v1 offset:1184
	ds_load_b128 v[10:13], v1 offset:1200
	s_waitcnt vmcnt(3) lgkmcnt(1)
	v_mul_f64 v[44:45], v[2:3], v[28:29]
	v_mul_f64 v[28:29], v[4:5], v[28:29]
	v_add_f64 v[14:15], v[14:15], v[18:19]
	v_add_f64 v[16:17], v[20:21], v[38:39]
	s_waitcnt vmcnt(2) lgkmcnt(0)
	v_mul_f64 v[18:19], v[10:11], v[32:33]
	v_mul_f64 v[20:21], v[12:13], v[32:33]
	v_fma_f64 v[22:23], v[4:5], v[26:27], v[44:45]
	v_fma_f64 v[24:25], v[2:3], v[26:27], -v[28:29]
	v_add_f64 v[14:15], v[14:15], v[6:7]
	v_add_f64 v[16:17], v[16:17], v[8:9]
	ds_load_b128 v[2:5], v1 offset:1216
	ds_load_b128 v[6:9], v1 offset:1232
	v_fma_f64 v[12:13], v[12:13], v[30:31], v[18:19]
	v_fma_f64 v[10:11], v[10:11], v[30:31], -v[20:21]
	s_waitcnt vmcnt(1) lgkmcnt(1)
	v_mul_f64 v[26:27], v[2:3], v[36:37]
	v_mul_f64 v[28:29], v[4:5], v[36:37]
	s_waitcnt vmcnt(0) lgkmcnt(0)
	v_mul_f64 v[18:19], v[6:7], v[42:43]
	v_add_f64 v[14:15], v[14:15], v[24:25]
	v_add_f64 v[16:17], v[16:17], v[22:23]
	v_mul_f64 v[20:21], v[8:9], v[42:43]
	v_fma_f64 v[4:5], v[4:5], v[34:35], v[26:27]
	v_fma_f64 v[1:2], v[2:3], v[34:35], -v[28:29]
	v_fma_f64 v[8:9], v[8:9], v[40:41], v[18:19]
	v_add_f64 v[10:11], v[14:15], v[10:11]
	v_add_f64 v[12:13], v[16:17], v[12:13]
	v_fma_f64 v[6:7], v[6:7], v[40:41], -v[20:21]
	s_delay_alu instid0(VALU_DEP_3) | instskip(NEXT) | instid1(VALU_DEP_3)
	v_add_f64 v[1:2], v[10:11], v[1:2]
	v_add_f64 v[3:4], v[12:13], v[4:5]
	s_delay_alu instid0(VALU_DEP_2) | instskip(NEXT) | instid1(VALU_DEP_2)
	v_add_f64 v[1:2], v[1:2], v[6:7]
	v_add_f64 v[3:4], v[3:4], v[8:9]
	s_delay_alu instid0(VALU_DEP_2) | instskip(NEXT) | instid1(VALU_DEP_2)
	v_add_f64 v[1:2], v[164:165], -v[1:2]
	v_add_f64 v[3:4], v[166:167], -v[3:4]
	scratch_store_b128 off, v[1:4], off offset:288
	v_cmpx_lt_u32_e32 17, v124
	s_cbranch_execz .LBB38_213
; %bb.212:
	scratch_load_b128 v[1:4], v146, off
	v_mov_b32_e32 v5, 0
	s_delay_alu instid0(VALU_DEP_1)
	v_mov_b32_e32 v6, v5
	v_mov_b32_e32 v7, v5
	;; [unrolled: 1-line block ×3, first 2 shown]
	scratch_store_b128 off, v[5:8], off offset:272
	s_waitcnt vmcnt(0)
	ds_store_b128 v163, v[1:4]
.LBB38_213:
	s_or_b32 exec_lo, exec_lo, s2
	s_waitcnt lgkmcnt(0)
	s_waitcnt_vscnt null, 0x0
	s_barrier
	buffer_gl0_inv
	s_clause 0x7
	scratch_load_b128 v[2:5], off, off offset:288
	scratch_load_b128 v[6:9], off, off offset:304
	scratch_load_b128 v[10:13], off, off offset:320
	scratch_load_b128 v[14:17], off, off offset:336
	scratch_load_b128 v[18:21], off, off offset:352
	scratch_load_b128 v[22:25], off, off offset:368
	scratch_load_b128 v[26:29], off, off offset:384
	scratch_load_b128 v[30:33], off, off offset:400
	v_mov_b32_e32 v1, 0
	s_mov_b32 s2, exec_lo
	ds_load_b128 v[34:37], v1 offset:912
	s_clause 0x1
	scratch_load_b128 v[38:41], off, off offset:416
	scratch_load_b128 v[42:45], off, off offset:272
	ds_load_b128 v[164:167], v1 offset:928
	scratch_load_b128 v[168:171], off, off offset:432
	s_waitcnt vmcnt(10) lgkmcnt(1)
	v_mul_f64 v[172:173], v[36:37], v[4:5]
	v_mul_f64 v[4:5], v[34:35], v[4:5]
	s_delay_alu instid0(VALU_DEP_2) | instskip(NEXT) | instid1(VALU_DEP_2)
	v_fma_f64 v[178:179], v[34:35], v[2:3], -v[172:173]
	v_fma_f64 v[180:181], v[36:37], v[2:3], v[4:5]
	scratch_load_b128 v[34:37], off, off offset:448
	ds_load_b128 v[2:5], v1 offset:944
	s_waitcnt vmcnt(10) lgkmcnt(1)
	v_mul_f64 v[176:177], v[164:165], v[8:9]
	v_mul_f64 v[8:9], v[166:167], v[8:9]
	ds_load_b128 v[172:175], v1 offset:960
	s_waitcnt vmcnt(9) lgkmcnt(1)
	v_mul_f64 v[182:183], v[2:3], v[12:13]
	v_mul_f64 v[12:13], v[4:5], v[12:13]
	v_fma_f64 v[166:167], v[166:167], v[6:7], v[176:177]
	v_fma_f64 v[164:165], v[164:165], v[6:7], -v[8:9]
	v_add_f64 v[176:177], v[178:179], 0
	v_add_f64 v[178:179], v[180:181], 0
	scratch_load_b128 v[6:9], off, off offset:464
	v_fma_f64 v[182:183], v[4:5], v[10:11], v[182:183]
	v_fma_f64 v[184:185], v[2:3], v[10:11], -v[12:13]
	scratch_load_b128 v[10:13], off, off offset:480
	ds_load_b128 v[2:5], v1 offset:976
	s_waitcnt vmcnt(10) lgkmcnt(1)
	v_mul_f64 v[180:181], v[172:173], v[16:17]
	v_mul_f64 v[16:17], v[174:175], v[16:17]
	v_add_f64 v[176:177], v[176:177], v[164:165]
	v_add_f64 v[178:179], v[178:179], v[166:167]
	s_waitcnt vmcnt(9) lgkmcnt(0)
	v_mul_f64 v[186:187], v[2:3], v[20:21]
	v_mul_f64 v[20:21], v[4:5], v[20:21]
	ds_load_b128 v[164:167], v1 offset:992
	v_fma_f64 v[174:175], v[174:175], v[14:15], v[180:181]
	v_fma_f64 v[172:173], v[172:173], v[14:15], -v[16:17]
	scratch_load_b128 v[14:17], off, off offset:496
	v_add_f64 v[176:177], v[176:177], v[184:185]
	v_add_f64 v[178:179], v[178:179], v[182:183]
	v_fma_f64 v[182:183], v[4:5], v[18:19], v[186:187]
	v_fma_f64 v[184:185], v[2:3], v[18:19], -v[20:21]
	scratch_load_b128 v[18:21], off, off offset:512
	ds_load_b128 v[2:5], v1 offset:1008
	s_waitcnt vmcnt(10) lgkmcnt(1)
	v_mul_f64 v[180:181], v[164:165], v[24:25]
	v_mul_f64 v[24:25], v[166:167], v[24:25]
	s_waitcnt vmcnt(9) lgkmcnt(0)
	v_mul_f64 v[186:187], v[2:3], v[28:29]
	v_mul_f64 v[28:29], v[4:5], v[28:29]
	v_add_f64 v[176:177], v[176:177], v[172:173]
	v_add_f64 v[178:179], v[178:179], v[174:175]
	ds_load_b128 v[172:175], v1 offset:1024
	v_fma_f64 v[166:167], v[166:167], v[22:23], v[180:181]
	v_fma_f64 v[164:165], v[164:165], v[22:23], -v[24:25]
	scratch_load_b128 v[22:25], off, off offset:528
	v_add_f64 v[176:177], v[176:177], v[184:185]
	v_add_f64 v[178:179], v[178:179], v[182:183]
	v_fma_f64 v[182:183], v[4:5], v[26:27], v[186:187]
	v_fma_f64 v[184:185], v[2:3], v[26:27], -v[28:29]
	scratch_load_b128 v[26:29], off, off offset:544
	ds_load_b128 v[2:5], v1 offset:1040
	s_waitcnt vmcnt(10) lgkmcnt(1)
	v_mul_f64 v[180:181], v[172:173], v[32:33]
	v_mul_f64 v[32:33], v[174:175], v[32:33]
	s_waitcnt vmcnt(9) lgkmcnt(0)
	v_mul_f64 v[186:187], v[2:3], v[40:41]
	v_mul_f64 v[40:41], v[4:5], v[40:41]
	v_add_f64 v[176:177], v[176:177], v[164:165]
	v_add_f64 v[178:179], v[178:179], v[166:167]
	ds_load_b128 v[164:167], v1 offset:1056
	v_fma_f64 v[174:175], v[174:175], v[30:31], v[180:181]
	v_fma_f64 v[172:173], v[172:173], v[30:31], -v[32:33]
	scratch_load_b128 v[30:33], off, off offset:560
	v_add_f64 v[176:177], v[176:177], v[184:185]
	v_add_f64 v[178:179], v[178:179], v[182:183]
	v_fma_f64 v[184:185], v[4:5], v[38:39], v[186:187]
	v_fma_f64 v[186:187], v[2:3], v[38:39], -v[40:41]
	scratch_load_b128 v[38:41], off, off offset:576
	ds_load_b128 v[2:5], v1 offset:1072
	s_waitcnt vmcnt(9) lgkmcnt(1)
	v_mul_f64 v[180:181], v[164:165], v[170:171]
	v_mul_f64 v[182:183], v[166:167], v[170:171]
	v_add_f64 v[176:177], v[176:177], v[172:173]
	v_add_f64 v[174:175], v[178:179], v[174:175]
	ds_load_b128 v[170:173], v1 offset:1088
	v_fma_f64 v[180:181], v[166:167], v[168:169], v[180:181]
	v_fma_f64 v[168:169], v[164:165], v[168:169], -v[182:183]
	scratch_load_b128 v[164:167], off, off offset:592
	s_waitcnt vmcnt(9) lgkmcnt(1)
	v_mul_f64 v[178:179], v[2:3], v[36:37]
	v_mul_f64 v[36:37], v[4:5], v[36:37]
	v_add_f64 v[176:177], v[176:177], v[186:187]
	v_add_f64 v[174:175], v[174:175], v[184:185]
	s_delay_alu instid0(VALU_DEP_4) | instskip(NEXT) | instid1(VALU_DEP_4)
	v_fma_f64 v[178:179], v[4:5], v[34:35], v[178:179]
	v_fma_f64 v[184:185], v[2:3], v[34:35], -v[36:37]
	scratch_load_b128 v[34:37], off, off offset:608
	ds_load_b128 v[2:5], v1 offset:1104
	s_waitcnt vmcnt(9) lgkmcnt(1)
	v_mul_f64 v[182:183], v[170:171], v[8:9]
	v_mul_f64 v[8:9], v[172:173], v[8:9]
	s_waitcnt vmcnt(8) lgkmcnt(0)
	v_mul_f64 v[186:187], v[2:3], v[12:13]
	v_mul_f64 v[12:13], v[4:5], v[12:13]
	v_add_f64 v[168:169], v[176:177], v[168:169]
	v_add_f64 v[180:181], v[174:175], v[180:181]
	ds_load_b128 v[174:177], v1 offset:1120
	v_fma_f64 v[172:173], v[172:173], v[6:7], v[182:183]
	v_fma_f64 v[6:7], v[170:171], v[6:7], -v[8:9]
	v_add_f64 v[8:9], v[168:169], v[184:185]
	v_add_f64 v[168:169], v[180:181], v[178:179]
	s_waitcnt vmcnt(7) lgkmcnt(0)
	v_mul_f64 v[170:171], v[174:175], v[16:17]
	v_mul_f64 v[16:17], v[176:177], v[16:17]
	v_fma_f64 v[178:179], v[4:5], v[10:11], v[186:187]
	v_fma_f64 v[10:11], v[2:3], v[10:11], -v[12:13]
	v_add_f64 v[12:13], v[8:9], v[6:7]
	v_add_f64 v[168:169], v[168:169], v[172:173]
	ds_load_b128 v[2:5], v1 offset:1136
	ds_load_b128 v[6:9], v1 offset:1152
	v_fma_f64 v[170:171], v[176:177], v[14:15], v[170:171]
	v_fma_f64 v[14:15], v[174:175], v[14:15], -v[16:17]
	s_waitcnt vmcnt(6) lgkmcnt(1)
	v_mul_f64 v[172:173], v[2:3], v[20:21]
	v_mul_f64 v[20:21], v[4:5], v[20:21]
	s_waitcnt vmcnt(5) lgkmcnt(0)
	v_mul_f64 v[16:17], v[6:7], v[24:25]
	v_mul_f64 v[24:25], v[8:9], v[24:25]
	v_add_f64 v[10:11], v[12:13], v[10:11]
	v_add_f64 v[12:13], v[168:169], v[178:179]
	v_fma_f64 v[168:169], v[4:5], v[18:19], v[172:173]
	v_fma_f64 v[18:19], v[2:3], v[18:19], -v[20:21]
	v_fma_f64 v[8:9], v[8:9], v[22:23], v[16:17]
	v_fma_f64 v[6:7], v[6:7], v[22:23], -v[24:25]
	v_add_f64 v[14:15], v[10:11], v[14:15]
	v_add_f64 v[20:21], v[12:13], v[170:171]
	ds_load_b128 v[2:5], v1 offset:1168
	ds_load_b128 v[10:13], v1 offset:1184
	s_waitcnt vmcnt(4) lgkmcnt(1)
	v_mul_f64 v[170:171], v[2:3], v[28:29]
	v_mul_f64 v[28:29], v[4:5], v[28:29]
	v_add_f64 v[14:15], v[14:15], v[18:19]
	v_add_f64 v[16:17], v[20:21], v[168:169]
	s_waitcnt vmcnt(3) lgkmcnt(0)
	v_mul_f64 v[18:19], v[10:11], v[32:33]
	v_mul_f64 v[20:21], v[12:13], v[32:33]
	v_fma_f64 v[22:23], v[4:5], v[26:27], v[170:171]
	v_fma_f64 v[24:25], v[2:3], v[26:27], -v[28:29]
	v_add_f64 v[14:15], v[14:15], v[6:7]
	v_add_f64 v[16:17], v[16:17], v[8:9]
	ds_load_b128 v[2:5], v1 offset:1200
	ds_load_b128 v[6:9], v1 offset:1216
	v_fma_f64 v[12:13], v[12:13], v[30:31], v[18:19]
	v_fma_f64 v[10:11], v[10:11], v[30:31], -v[20:21]
	s_waitcnt vmcnt(2) lgkmcnt(1)
	v_mul_f64 v[26:27], v[2:3], v[40:41]
	v_mul_f64 v[28:29], v[4:5], v[40:41]
	s_waitcnt vmcnt(1) lgkmcnt(0)
	v_mul_f64 v[18:19], v[6:7], v[166:167]
	v_mul_f64 v[20:21], v[8:9], v[166:167]
	v_add_f64 v[14:15], v[14:15], v[24:25]
	v_add_f64 v[16:17], v[16:17], v[22:23]
	v_fma_f64 v[22:23], v[4:5], v[38:39], v[26:27]
	v_fma_f64 v[24:25], v[2:3], v[38:39], -v[28:29]
	ds_load_b128 v[2:5], v1 offset:1232
	v_fma_f64 v[8:9], v[8:9], v[164:165], v[18:19]
	v_fma_f64 v[6:7], v[6:7], v[164:165], -v[20:21]
	v_add_f64 v[10:11], v[14:15], v[10:11]
	v_add_f64 v[12:13], v[16:17], v[12:13]
	s_waitcnt vmcnt(0) lgkmcnt(0)
	v_mul_f64 v[14:15], v[2:3], v[36:37]
	v_mul_f64 v[16:17], v[4:5], v[36:37]
	s_delay_alu instid0(VALU_DEP_4) | instskip(NEXT) | instid1(VALU_DEP_4)
	v_add_f64 v[10:11], v[10:11], v[24:25]
	v_add_f64 v[12:13], v[12:13], v[22:23]
	s_delay_alu instid0(VALU_DEP_4) | instskip(NEXT) | instid1(VALU_DEP_4)
	v_fma_f64 v[4:5], v[4:5], v[34:35], v[14:15]
	v_fma_f64 v[2:3], v[2:3], v[34:35], -v[16:17]
	s_delay_alu instid0(VALU_DEP_4) | instskip(NEXT) | instid1(VALU_DEP_4)
	v_add_f64 v[6:7], v[10:11], v[6:7]
	v_add_f64 v[8:9], v[12:13], v[8:9]
	s_delay_alu instid0(VALU_DEP_2) | instskip(NEXT) | instid1(VALU_DEP_2)
	v_add_f64 v[2:3], v[6:7], v[2:3]
	v_add_f64 v[4:5], v[8:9], v[4:5]
	s_delay_alu instid0(VALU_DEP_2) | instskip(NEXT) | instid1(VALU_DEP_2)
	v_add_f64 v[2:3], v[42:43], -v[2:3]
	v_add_f64 v[4:5], v[44:45], -v[4:5]
	scratch_store_b128 off, v[2:5], off offset:272
	v_cmpx_lt_u32_e32 16, v124
	s_cbranch_execz .LBB38_215
; %bb.214:
	scratch_load_b128 v[5:8], v147, off
	v_mov_b32_e32 v2, v1
	v_mov_b32_e32 v3, v1
	;; [unrolled: 1-line block ×3, first 2 shown]
	scratch_store_b128 off, v[1:4], off offset:256
	s_waitcnt vmcnt(0)
	ds_store_b128 v163, v[5:8]
.LBB38_215:
	s_or_b32 exec_lo, exec_lo, s2
	s_waitcnt lgkmcnt(0)
	s_waitcnt_vscnt null, 0x0
	s_barrier
	buffer_gl0_inv
	s_clause 0x8
	scratch_load_b128 v[2:5], off, off offset:272
	scratch_load_b128 v[6:9], off, off offset:288
	;; [unrolled: 1-line block ×9, first 2 shown]
	ds_load_b128 v[38:41], v1 offset:896
	ds_load_b128 v[42:45], v1 offset:912
	s_clause 0x1
	scratch_load_b128 v[164:167], off, off offset:256
	scratch_load_b128 v[168:171], off, off offset:416
	s_mov_b32 s2, exec_lo
	s_waitcnt vmcnt(10) lgkmcnt(1)
	v_mul_f64 v[172:173], v[40:41], v[4:5]
	v_mul_f64 v[4:5], v[38:39], v[4:5]
	s_waitcnt vmcnt(9) lgkmcnt(0)
	v_mul_f64 v[176:177], v[42:43], v[8:9]
	v_mul_f64 v[8:9], v[44:45], v[8:9]
	s_delay_alu instid0(VALU_DEP_4) | instskip(NEXT) | instid1(VALU_DEP_4)
	v_fma_f64 v[178:179], v[38:39], v[2:3], -v[172:173]
	v_fma_f64 v[180:181], v[40:41], v[2:3], v[4:5]
	ds_load_b128 v[2:5], v1 offset:928
	ds_load_b128 v[172:175], v1 offset:944
	scratch_load_b128 v[38:41], off, off offset:432
	v_fma_f64 v[44:45], v[44:45], v[6:7], v[176:177]
	v_fma_f64 v[42:43], v[42:43], v[6:7], -v[8:9]
	scratch_load_b128 v[6:9], off, off offset:448
	s_waitcnt vmcnt(10) lgkmcnt(1)
	v_mul_f64 v[182:183], v[2:3], v[12:13]
	v_mul_f64 v[12:13], v[4:5], v[12:13]
	v_add_f64 v[176:177], v[178:179], 0
	v_add_f64 v[178:179], v[180:181], 0
	s_waitcnt vmcnt(9) lgkmcnt(0)
	v_mul_f64 v[180:181], v[172:173], v[16:17]
	v_mul_f64 v[16:17], v[174:175], v[16:17]
	v_fma_f64 v[182:183], v[4:5], v[10:11], v[182:183]
	v_fma_f64 v[184:185], v[2:3], v[10:11], -v[12:13]
	ds_load_b128 v[2:5], v1 offset:960
	scratch_load_b128 v[10:13], off, off offset:464
	v_add_f64 v[176:177], v[176:177], v[42:43]
	v_add_f64 v[178:179], v[178:179], v[44:45]
	ds_load_b128 v[42:45], v1 offset:976
	v_fma_f64 v[174:175], v[174:175], v[14:15], v[180:181]
	v_fma_f64 v[172:173], v[172:173], v[14:15], -v[16:17]
	scratch_load_b128 v[14:17], off, off offset:480
	s_waitcnt vmcnt(10) lgkmcnt(1)
	v_mul_f64 v[186:187], v[2:3], v[20:21]
	v_mul_f64 v[20:21], v[4:5], v[20:21]
	s_waitcnt vmcnt(9) lgkmcnt(0)
	v_mul_f64 v[180:181], v[42:43], v[24:25]
	v_mul_f64 v[24:25], v[44:45], v[24:25]
	v_add_f64 v[176:177], v[176:177], v[184:185]
	v_add_f64 v[178:179], v[178:179], v[182:183]
	v_fma_f64 v[182:183], v[4:5], v[18:19], v[186:187]
	v_fma_f64 v[184:185], v[2:3], v[18:19], -v[20:21]
	ds_load_b128 v[2:5], v1 offset:992
	scratch_load_b128 v[18:21], off, off offset:496
	v_fma_f64 v[44:45], v[44:45], v[22:23], v[180:181]
	v_fma_f64 v[42:43], v[42:43], v[22:23], -v[24:25]
	scratch_load_b128 v[22:25], off, off offset:512
	v_add_f64 v[176:177], v[176:177], v[172:173]
	v_add_f64 v[178:179], v[178:179], v[174:175]
	ds_load_b128 v[172:175], v1 offset:1008
	s_waitcnt vmcnt(10) lgkmcnt(1)
	v_mul_f64 v[186:187], v[2:3], v[28:29]
	v_mul_f64 v[28:29], v[4:5], v[28:29]
	s_waitcnt vmcnt(9) lgkmcnt(0)
	v_mul_f64 v[180:181], v[172:173], v[32:33]
	v_mul_f64 v[32:33], v[174:175], v[32:33]
	v_add_f64 v[176:177], v[176:177], v[184:185]
	v_add_f64 v[178:179], v[178:179], v[182:183]
	v_fma_f64 v[182:183], v[4:5], v[26:27], v[186:187]
	v_fma_f64 v[184:185], v[2:3], v[26:27], -v[28:29]
	ds_load_b128 v[2:5], v1 offset:1024
	scratch_load_b128 v[26:29], off, off offset:528
	v_fma_f64 v[174:175], v[174:175], v[30:31], v[180:181]
	v_fma_f64 v[172:173], v[172:173], v[30:31], -v[32:33]
	scratch_load_b128 v[30:33], off, off offset:544
	v_add_f64 v[176:177], v[176:177], v[42:43]
	v_add_f64 v[178:179], v[178:179], v[44:45]
	ds_load_b128 v[42:45], v1 offset:1040
	s_waitcnt vmcnt(10) lgkmcnt(1)
	v_mul_f64 v[186:187], v[2:3], v[36:37]
	v_mul_f64 v[36:37], v[4:5], v[36:37]
	s_waitcnt vmcnt(8) lgkmcnt(0)
	v_mul_f64 v[180:181], v[42:43], v[170:171]
	v_add_f64 v[176:177], v[176:177], v[184:185]
	v_add_f64 v[178:179], v[178:179], v[182:183]
	v_mul_f64 v[182:183], v[44:45], v[170:171]
	v_fma_f64 v[184:185], v[4:5], v[34:35], v[186:187]
	v_fma_f64 v[186:187], v[2:3], v[34:35], -v[36:37]
	ds_load_b128 v[2:5], v1 offset:1056
	scratch_load_b128 v[34:37], off, off offset:560
	v_fma_f64 v[44:45], v[44:45], v[168:169], v[180:181]
	v_add_f64 v[176:177], v[176:177], v[172:173]
	v_add_f64 v[174:175], v[178:179], v[174:175]
	ds_load_b128 v[170:173], v1 offset:1072
	v_fma_f64 v[168:169], v[42:43], v[168:169], -v[182:183]
	s_waitcnt vmcnt(8) lgkmcnt(1)
	v_mul_f64 v[178:179], v[2:3], v[40:41]
	v_mul_f64 v[188:189], v[4:5], v[40:41]
	scratch_load_b128 v[40:43], off, off offset:576
	s_waitcnt vmcnt(8) lgkmcnt(0)
	v_mul_f64 v[182:183], v[170:171], v[8:9]
	v_mul_f64 v[8:9], v[172:173], v[8:9]
	v_add_f64 v[176:177], v[176:177], v[186:187]
	v_add_f64 v[174:175], v[174:175], v[184:185]
	v_fma_f64 v[184:185], v[4:5], v[38:39], v[178:179]
	v_fma_f64 v[38:39], v[2:3], v[38:39], -v[188:189]
	ds_load_b128 v[2:5], v1 offset:1088
	ds_load_b128 v[178:181], v1 offset:1104
	v_fma_f64 v[172:173], v[172:173], v[6:7], v[182:183]
	v_fma_f64 v[170:171], v[170:171], v[6:7], -v[8:9]
	scratch_load_b128 v[6:9], off, off offset:608
	v_add_f64 v[168:169], v[176:177], v[168:169]
	v_add_f64 v[44:45], v[174:175], v[44:45]
	scratch_load_b128 v[174:177], off, off offset:592
	s_waitcnt vmcnt(9) lgkmcnt(1)
	v_mul_f64 v[186:187], v[2:3], v[12:13]
	v_mul_f64 v[12:13], v[4:5], v[12:13]
	v_add_f64 v[38:39], v[168:169], v[38:39]
	v_add_f64 v[44:45], v[44:45], v[184:185]
	s_waitcnt vmcnt(8) lgkmcnt(0)
	v_mul_f64 v[168:169], v[178:179], v[16:17]
	v_mul_f64 v[16:17], v[180:181], v[16:17]
	v_fma_f64 v[182:183], v[4:5], v[10:11], v[186:187]
	v_fma_f64 v[184:185], v[2:3], v[10:11], -v[12:13]
	ds_load_b128 v[2:5], v1 offset:1120
	ds_load_b128 v[10:13], v1 offset:1136
	v_add_f64 v[38:39], v[38:39], v[170:171]
	v_add_f64 v[44:45], v[44:45], v[172:173]
	s_waitcnt vmcnt(7) lgkmcnt(1)
	v_mul_f64 v[170:171], v[2:3], v[20:21]
	v_mul_f64 v[20:21], v[4:5], v[20:21]
	v_fma_f64 v[168:169], v[180:181], v[14:15], v[168:169]
	v_fma_f64 v[14:15], v[178:179], v[14:15], -v[16:17]
	v_add_f64 v[16:17], v[38:39], v[184:185]
	v_add_f64 v[38:39], v[44:45], v[182:183]
	s_waitcnt vmcnt(6) lgkmcnt(0)
	v_mul_f64 v[44:45], v[10:11], v[24:25]
	v_mul_f64 v[24:25], v[12:13], v[24:25]
	v_fma_f64 v[170:171], v[4:5], v[18:19], v[170:171]
	v_fma_f64 v[18:19], v[2:3], v[18:19], -v[20:21]
	v_add_f64 v[20:21], v[16:17], v[14:15]
	v_add_f64 v[38:39], v[38:39], v[168:169]
	ds_load_b128 v[2:5], v1 offset:1152
	ds_load_b128 v[14:17], v1 offset:1168
	v_fma_f64 v[12:13], v[12:13], v[22:23], v[44:45]
	v_fma_f64 v[10:11], v[10:11], v[22:23], -v[24:25]
	s_waitcnt vmcnt(5) lgkmcnt(1)
	v_mul_f64 v[168:169], v[2:3], v[28:29]
	v_mul_f64 v[28:29], v[4:5], v[28:29]
	s_waitcnt vmcnt(4) lgkmcnt(0)
	v_mul_f64 v[22:23], v[14:15], v[32:33]
	v_mul_f64 v[24:25], v[16:17], v[32:33]
	v_add_f64 v[18:19], v[20:21], v[18:19]
	v_add_f64 v[20:21], v[38:39], v[170:171]
	v_fma_f64 v[32:33], v[4:5], v[26:27], v[168:169]
	v_fma_f64 v[26:27], v[2:3], v[26:27], -v[28:29]
	v_fma_f64 v[16:17], v[16:17], v[30:31], v[22:23]
	v_fma_f64 v[14:15], v[14:15], v[30:31], -v[24:25]
	v_add_f64 v[18:19], v[18:19], v[10:11]
	v_add_f64 v[20:21], v[20:21], v[12:13]
	ds_load_b128 v[2:5], v1 offset:1184
	ds_load_b128 v[10:13], v1 offset:1200
	s_waitcnt vmcnt(3) lgkmcnt(1)
	v_mul_f64 v[28:29], v[2:3], v[36:37]
	v_mul_f64 v[36:37], v[4:5], v[36:37]
	s_waitcnt vmcnt(2) lgkmcnt(0)
	v_mul_f64 v[22:23], v[10:11], v[42:43]
	v_add_f64 v[18:19], v[18:19], v[26:27]
	v_add_f64 v[20:21], v[20:21], v[32:33]
	v_mul_f64 v[24:25], v[12:13], v[42:43]
	v_fma_f64 v[26:27], v[4:5], v[34:35], v[28:29]
	v_fma_f64 v[28:29], v[2:3], v[34:35], -v[36:37]
	v_fma_f64 v[12:13], v[12:13], v[40:41], v[22:23]
	v_add_f64 v[18:19], v[18:19], v[14:15]
	v_add_f64 v[20:21], v[20:21], v[16:17]
	ds_load_b128 v[2:5], v1 offset:1216
	ds_load_b128 v[14:17], v1 offset:1232
	v_fma_f64 v[10:11], v[10:11], v[40:41], -v[24:25]
	s_waitcnt vmcnt(0) lgkmcnt(1)
	v_mul_f64 v[30:31], v[2:3], v[176:177]
	v_mul_f64 v[32:33], v[4:5], v[176:177]
	s_waitcnt lgkmcnt(0)
	v_mul_f64 v[22:23], v[14:15], v[8:9]
	v_mul_f64 v[8:9], v[16:17], v[8:9]
	v_add_f64 v[18:19], v[18:19], v[28:29]
	v_add_f64 v[20:21], v[20:21], v[26:27]
	v_fma_f64 v[4:5], v[4:5], v[174:175], v[30:31]
	v_fma_f64 v[1:2], v[2:3], v[174:175], -v[32:33]
	v_fma_f64 v[16:17], v[16:17], v[6:7], v[22:23]
	v_fma_f64 v[6:7], v[14:15], v[6:7], -v[8:9]
	v_add_f64 v[10:11], v[18:19], v[10:11]
	v_add_f64 v[12:13], v[20:21], v[12:13]
	s_delay_alu instid0(VALU_DEP_2) | instskip(NEXT) | instid1(VALU_DEP_2)
	v_add_f64 v[1:2], v[10:11], v[1:2]
	v_add_f64 v[3:4], v[12:13], v[4:5]
	s_delay_alu instid0(VALU_DEP_2) | instskip(NEXT) | instid1(VALU_DEP_2)
	;; [unrolled: 3-line block ×3, first 2 shown]
	v_add_f64 v[1:2], v[164:165], -v[1:2]
	v_add_f64 v[3:4], v[166:167], -v[3:4]
	scratch_store_b128 off, v[1:4], off offset:256
	v_cmpx_lt_u32_e32 15, v124
	s_cbranch_execz .LBB38_217
; %bb.216:
	scratch_load_b128 v[1:4], v148, off
	v_mov_b32_e32 v5, 0
	s_delay_alu instid0(VALU_DEP_1)
	v_mov_b32_e32 v6, v5
	v_mov_b32_e32 v7, v5
	;; [unrolled: 1-line block ×3, first 2 shown]
	scratch_store_b128 off, v[5:8], off offset:240
	s_waitcnt vmcnt(0)
	ds_store_b128 v163, v[1:4]
.LBB38_217:
	s_or_b32 exec_lo, exec_lo, s2
	s_waitcnt lgkmcnt(0)
	s_waitcnt_vscnt null, 0x0
	s_barrier
	buffer_gl0_inv
	s_clause 0x7
	scratch_load_b128 v[2:5], off, off offset:256
	scratch_load_b128 v[6:9], off, off offset:272
	;; [unrolled: 1-line block ×8, first 2 shown]
	v_mov_b32_e32 v1, 0
	s_mov_b32 s2, exec_lo
	ds_load_b128 v[34:37], v1 offset:880
	s_clause 0x1
	scratch_load_b128 v[38:41], off, off offset:384
	scratch_load_b128 v[42:45], off, off offset:240
	ds_load_b128 v[164:167], v1 offset:896
	scratch_load_b128 v[168:171], off, off offset:400
	s_waitcnt vmcnt(10) lgkmcnt(1)
	v_mul_f64 v[172:173], v[36:37], v[4:5]
	v_mul_f64 v[4:5], v[34:35], v[4:5]
	s_delay_alu instid0(VALU_DEP_2) | instskip(NEXT) | instid1(VALU_DEP_2)
	v_fma_f64 v[178:179], v[34:35], v[2:3], -v[172:173]
	v_fma_f64 v[180:181], v[36:37], v[2:3], v[4:5]
	scratch_load_b128 v[34:37], off, off offset:416
	ds_load_b128 v[2:5], v1 offset:912
	s_waitcnt vmcnt(10) lgkmcnt(1)
	v_mul_f64 v[176:177], v[164:165], v[8:9]
	v_mul_f64 v[8:9], v[166:167], v[8:9]
	ds_load_b128 v[172:175], v1 offset:928
	s_waitcnt vmcnt(9) lgkmcnt(1)
	v_mul_f64 v[182:183], v[2:3], v[12:13]
	v_mul_f64 v[12:13], v[4:5], v[12:13]
	v_fma_f64 v[166:167], v[166:167], v[6:7], v[176:177]
	v_fma_f64 v[164:165], v[164:165], v[6:7], -v[8:9]
	v_add_f64 v[176:177], v[178:179], 0
	v_add_f64 v[178:179], v[180:181], 0
	scratch_load_b128 v[6:9], off, off offset:432
	v_fma_f64 v[182:183], v[4:5], v[10:11], v[182:183]
	v_fma_f64 v[184:185], v[2:3], v[10:11], -v[12:13]
	scratch_load_b128 v[10:13], off, off offset:448
	ds_load_b128 v[2:5], v1 offset:944
	s_waitcnt vmcnt(10) lgkmcnt(1)
	v_mul_f64 v[180:181], v[172:173], v[16:17]
	v_mul_f64 v[16:17], v[174:175], v[16:17]
	v_add_f64 v[176:177], v[176:177], v[164:165]
	v_add_f64 v[178:179], v[178:179], v[166:167]
	s_waitcnt vmcnt(9) lgkmcnt(0)
	v_mul_f64 v[186:187], v[2:3], v[20:21]
	v_mul_f64 v[20:21], v[4:5], v[20:21]
	ds_load_b128 v[164:167], v1 offset:960
	v_fma_f64 v[174:175], v[174:175], v[14:15], v[180:181]
	v_fma_f64 v[172:173], v[172:173], v[14:15], -v[16:17]
	scratch_load_b128 v[14:17], off, off offset:464
	v_add_f64 v[176:177], v[176:177], v[184:185]
	v_add_f64 v[178:179], v[178:179], v[182:183]
	v_fma_f64 v[182:183], v[4:5], v[18:19], v[186:187]
	v_fma_f64 v[184:185], v[2:3], v[18:19], -v[20:21]
	scratch_load_b128 v[18:21], off, off offset:480
	ds_load_b128 v[2:5], v1 offset:976
	s_waitcnt vmcnt(10) lgkmcnt(1)
	v_mul_f64 v[180:181], v[164:165], v[24:25]
	v_mul_f64 v[24:25], v[166:167], v[24:25]
	s_waitcnt vmcnt(9) lgkmcnt(0)
	v_mul_f64 v[186:187], v[2:3], v[28:29]
	v_mul_f64 v[28:29], v[4:5], v[28:29]
	v_add_f64 v[176:177], v[176:177], v[172:173]
	v_add_f64 v[178:179], v[178:179], v[174:175]
	ds_load_b128 v[172:175], v1 offset:992
	v_fma_f64 v[166:167], v[166:167], v[22:23], v[180:181]
	v_fma_f64 v[164:165], v[164:165], v[22:23], -v[24:25]
	scratch_load_b128 v[22:25], off, off offset:496
	v_add_f64 v[176:177], v[176:177], v[184:185]
	v_add_f64 v[178:179], v[178:179], v[182:183]
	v_fma_f64 v[182:183], v[4:5], v[26:27], v[186:187]
	v_fma_f64 v[184:185], v[2:3], v[26:27], -v[28:29]
	scratch_load_b128 v[26:29], off, off offset:512
	ds_load_b128 v[2:5], v1 offset:1008
	s_waitcnt vmcnt(10) lgkmcnt(1)
	v_mul_f64 v[180:181], v[172:173], v[32:33]
	v_mul_f64 v[32:33], v[174:175], v[32:33]
	s_waitcnt vmcnt(9) lgkmcnt(0)
	v_mul_f64 v[186:187], v[2:3], v[40:41]
	v_mul_f64 v[40:41], v[4:5], v[40:41]
	v_add_f64 v[176:177], v[176:177], v[164:165]
	v_add_f64 v[178:179], v[178:179], v[166:167]
	ds_load_b128 v[164:167], v1 offset:1024
	v_fma_f64 v[174:175], v[174:175], v[30:31], v[180:181]
	v_fma_f64 v[172:173], v[172:173], v[30:31], -v[32:33]
	scratch_load_b128 v[30:33], off, off offset:528
	v_add_f64 v[176:177], v[176:177], v[184:185]
	v_add_f64 v[178:179], v[178:179], v[182:183]
	v_fma_f64 v[184:185], v[4:5], v[38:39], v[186:187]
	v_fma_f64 v[186:187], v[2:3], v[38:39], -v[40:41]
	scratch_load_b128 v[38:41], off, off offset:544
	ds_load_b128 v[2:5], v1 offset:1040
	s_waitcnt vmcnt(9) lgkmcnt(1)
	v_mul_f64 v[180:181], v[164:165], v[170:171]
	v_mul_f64 v[182:183], v[166:167], v[170:171]
	v_add_f64 v[176:177], v[176:177], v[172:173]
	v_add_f64 v[174:175], v[178:179], v[174:175]
	ds_load_b128 v[170:173], v1 offset:1056
	v_fma_f64 v[180:181], v[166:167], v[168:169], v[180:181]
	v_fma_f64 v[168:169], v[164:165], v[168:169], -v[182:183]
	scratch_load_b128 v[164:167], off, off offset:560
	s_waitcnt vmcnt(9) lgkmcnt(1)
	v_mul_f64 v[178:179], v[2:3], v[36:37]
	v_mul_f64 v[36:37], v[4:5], v[36:37]
	v_add_f64 v[176:177], v[176:177], v[186:187]
	v_add_f64 v[174:175], v[174:175], v[184:185]
	s_delay_alu instid0(VALU_DEP_4) | instskip(NEXT) | instid1(VALU_DEP_4)
	v_fma_f64 v[178:179], v[4:5], v[34:35], v[178:179]
	v_fma_f64 v[184:185], v[2:3], v[34:35], -v[36:37]
	scratch_load_b128 v[34:37], off, off offset:576
	ds_load_b128 v[2:5], v1 offset:1072
	s_waitcnt vmcnt(9) lgkmcnt(1)
	v_mul_f64 v[182:183], v[170:171], v[8:9]
	v_mul_f64 v[8:9], v[172:173], v[8:9]
	s_waitcnt vmcnt(8) lgkmcnt(0)
	v_mul_f64 v[186:187], v[2:3], v[12:13]
	v_mul_f64 v[12:13], v[4:5], v[12:13]
	v_add_f64 v[168:169], v[176:177], v[168:169]
	v_add_f64 v[180:181], v[174:175], v[180:181]
	ds_load_b128 v[174:177], v1 offset:1088
	v_fma_f64 v[172:173], v[172:173], v[6:7], v[182:183]
	v_fma_f64 v[170:171], v[170:171], v[6:7], -v[8:9]
	scratch_load_b128 v[6:9], off, off offset:592
	v_fma_f64 v[182:183], v[4:5], v[10:11], v[186:187]
	v_add_f64 v[168:169], v[168:169], v[184:185]
	v_add_f64 v[178:179], v[180:181], v[178:179]
	v_fma_f64 v[184:185], v[2:3], v[10:11], -v[12:13]
	scratch_load_b128 v[10:13], off, off offset:608
	ds_load_b128 v[2:5], v1 offset:1104
	s_waitcnt vmcnt(9) lgkmcnt(1)
	v_mul_f64 v[180:181], v[174:175], v[16:17]
	v_mul_f64 v[16:17], v[176:177], v[16:17]
	v_add_f64 v[186:187], v[168:169], v[170:171]
	v_add_f64 v[172:173], v[178:179], v[172:173]
	s_waitcnt vmcnt(8) lgkmcnt(0)
	v_mul_f64 v[178:179], v[2:3], v[20:21]
	v_mul_f64 v[20:21], v[4:5], v[20:21]
	ds_load_b128 v[168:171], v1 offset:1120
	v_fma_f64 v[176:177], v[176:177], v[14:15], v[180:181]
	v_fma_f64 v[14:15], v[174:175], v[14:15], -v[16:17]
	s_waitcnt vmcnt(7) lgkmcnt(0)
	v_mul_f64 v[174:175], v[168:169], v[24:25]
	v_mul_f64 v[24:25], v[170:171], v[24:25]
	v_add_f64 v[16:17], v[186:187], v[184:185]
	v_add_f64 v[172:173], v[172:173], v[182:183]
	v_fma_f64 v[178:179], v[4:5], v[18:19], v[178:179]
	v_fma_f64 v[18:19], v[2:3], v[18:19], -v[20:21]
	v_fma_f64 v[170:171], v[170:171], v[22:23], v[174:175]
	v_fma_f64 v[22:23], v[168:169], v[22:23], -v[24:25]
	v_add_f64 v[20:21], v[16:17], v[14:15]
	v_add_f64 v[172:173], v[172:173], v[176:177]
	ds_load_b128 v[2:5], v1 offset:1136
	ds_load_b128 v[14:17], v1 offset:1152
	s_waitcnt vmcnt(6) lgkmcnt(1)
	v_mul_f64 v[176:177], v[2:3], v[28:29]
	v_mul_f64 v[28:29], v[4:5], v[28:29]
	s_waitcnt vmcnt(5) lgkmcnt(0)
	v_mul_f64 v[24:25], v[14:15], v[32:33]
	v_mul_f64 v[32:33], v[16:17], v[32:33]
	v_add_f64 v[18:19], v[20:21], v[18:19]
	v_add_f64 v[20:21], v[172:173], v[178:179]
	v_fma_f64 v[168:169], v[4:5], v[26:27], v[176:177]
	v_fma_f64 v[26:27], v[2:3], v[26:27], -v[28:29]
	v_fma_f64 v[16:17], v[16:17], v[30:31], v[24:25]
	v_fma_f64 v[14:15], v[14:15], v[30:31], -v[32:33]
	v_add_f64 v[22:23], v[18:19], v[22:23]
	v_add_f64 v[28:29], v[20:21], v[170:171]
	ds_load_b128 v[2:5], v1 offset:1168
	ds_load_b128 v[18:21], v1 offset:1184
	s_waitcnt vmcnt(4) lgkmcnt(1)
	v_mul_f64 v[170:171], v[2:3], v[40:41]
	v_mul_f64 v[40:41], v[4:5], v[40:41]
	v_add_f64 v[22:23], v[22:23], v[26:27]
	v_add_f64 v[24:25], v[28:29], v[168:169]
	s_waitcnt vmcnt(3) lgkmcnt(0)
	v_mul_f64 v[26:27], v[18:19], v[166:167]
	v_mul_f64 v[28:29], v[20:21], v[166:167]
	v_fma_f64 v[30:31], v[4:5], v[38:39], v[170:171]
	v_fma_f64 v[32:33], v[2:3], v[38:39], -v[40:41]
	v_add_f64 v[22:23], v[22:23], v[14:15]
	v_add_f64 v[24:25], v[24:25], v[16:17]
	ds_load_b128 v[2:5], v1 offset:1200
	ds_load_b128 v[14:17], v1 offset:1216
	v_fma_f64 v[20:21], v[20:21], v[164:165], v[26:27]
	v_fma_f64 v[18:19], v[18:19], v[164:165], -v[28:29]
	s_waitcnt vmcnt(2) lgkmcnt(1)
	v_mul_f64 v[38:39], v[2:3], v[36:37]
	v_mul_f64 v[36:37], v[4:5], v[36:37]
	s_waitcnt vmcnt(1) lgkmcnt(0)
	v_mul_f64 v[26:27], v[14:15], v[8:9]
	v_mul_f64 v[8:9], v[16:17], v[8:9]
	v_add_f64 v[22:23], v[22:23], v[32:33]
	v_add_f64 v[24:25], v[24:25], v[30:31]
	v_fma_f64 v[28:29], v[4:5], v[34:35], v[38:39]
	v_fma_f64 v[30:31], v[2:3], v[34:35], -v[36:37]
	ds_load_b128 v[2:5], v1 offset:1232
	v_fma_f64 v[16:17], v[16:17], v[6:7], v[26:27]
	v_fma_f64 v[6:7], v[14:15], v[6:7], -v[8:9]
	v_add_f64 v[18:19], v[22:23], v[18:19]
	v_add_f64 v[20:21], v[24:25], v[20:21]
	s_waitcnt vmcnt(0) lgkmcnt(0)
	v_mul_f64 v[22:23], v[2:3], v[12:13]
	v_mul_f64 v[12:13], v[4:5], v[12:13]
	s_delay_alu instid0(VALU_DEP_4) | instskip(NEXT) | instid1(VALU_DEP_4)
	v_add_f64 v[8:9], v[18:19], v[30:31]
	v_add_f64 v[14:15], v[20:21], v[28:29]
	s_delay_alu instid0(VALU_DEP_4) | instskip(NEXT) | instid1(VALU_DEP_4)
	v_fma_f64 v[4:5], v[4:5], v[10:11], v[22:23]
	v_fma_f64 v[2:3], v[2:3], v[10:11], -v[12:13]
	s_delay_alu instid0(VALU_DEP_4) | instskip(NEXT) | instid1(VALU_DEP_4)
	v_add_f64 v[6:7], v[8:9], v[6:7]
	v_add_f64 v[8:9], v[14:15], v[16:17]
	s_delay_alu instid0(VALU_DEP_2) | instskip(NEXT) | instid1(VALU_DEP_2)
	v_add_f64 v[2:3], v[6:7], v[2:3]
	v_add_f64 v[4:5], v[8:9], v[4:5]
	s_delay_alu instid0(VALU_DEP_2) | instskip(NEXT) | instid1(VALU_DEP_2)
	v_add_f64 v[2:3], v[42:43], -v[2:3]
	v_add_f64 v[4:5], v[44:45], -v[4:5]
	scratch_store_b128 off, v[2:5], off offset:240
	v_cmpx_lt_u32_e32 14, v124
	s_cbranch_execz .LBB38_219
; %bb.218:
	scratch_load_b128 v[5:8], v150, off
	v_mov_b32_e32 v2, v1
	v_mov_b32_e32 v3, v1
	;; [unrolled: 1-line block ×3, first 2 shown]
	scratch_store_b128 off, v[1:4], off offset:224
	s_waitcnt vmcnt(0)
	ds_store_b128 v163, v[5:8]
.LBB38_219:
	s_or_b32 exec_lo, exec_lo, s2
	s_waitcnt lgkmcnt(0)
	s_waitcnt_vscnt null, 0x0
	s_barrier
	buffer_gl0_inv
	s_clause 0x8
	scratch_load_b128 v[2:5], off, off offset:240
	scratch_load_b128 v[6:9], off, off offset:256
	;; [unrolled: 1-line block ×9, first 2 shown]
	ds_load_b128 v[38:41], v1 offset:864
	ds_load_b128 v[42:45], v1 offset:880
	s_clause 0x1
	scratch_load_b128 v[164:167], off, off offset:224
	scratch_load_b128 v[168:171], off, off offset:384
	s_mov_b32 s2, exec_lo
	s_waitcnt vmcnt(10) lgkmcnt(1)
	v_mul_f64 v[172:173], v[40:41], v[4:5]
	v_mul_f64 v[4:5], v[38:39], v[4:5]
	s_waitcnt vmcnt(9) lgkmcnt(0)
	v_mul_f64 v[176:177], v[42:43], v[8:9]
	v_mul_f64 v[8:9], v[44:45], v[8:9]
	s_delay_alu instid0(VALU_DEP_4) | instskip(NEXT) | instid1(VALU_DEP_4)
	v_fma_f64 v[178:179], v[38:39], v[2:3], -v[172:173]
	v_fma_f64 v[180:181], v[40:41], v[2:3], v[4:5]
	ds_load_b128 v[2:5], v1 offset:896
	ds_load_b128 v[172:175], v1 offset:912
	scratch_load_b128 v[38:41], off, off offset:400
	v_fma_f64 v[44:45], v[44:45], v[6:7], v[176:177]
	v_fma_f64 v[42:43], v[42:43], v[6:7], -v[8:9]
	scratch_load_b128 v[6:9], off, off offset:416
	s_waitcnt vmcnt(10) lgkmcnt(1)
	v_mul_f64 v[182:183], v[2:3], v[12:13]
	v_mul_f64 v[12:13], v[4:5], v[12:13]
	v_add_f64 v[176:177], v[178:179], 0
	v_add_f64 v[178:179], v[180:181], 0
	s_waitcnt vmcnt(9) lgkmcnt(0)
	v_mul_f64 v[180:181], v[172:173], v[16:17]
	v_mul_f64 v[16:17], v[174:175], v[16:17]
	v_fma_f64 v[182:183], v[4:5], v[10:11], v[182:183]
	v_fma_f64 v[184:185], v[2:3], v[10:11], -v[12:13]
	ds_load_b128 v[2:5], v1 offset:928
	scratch_load_b128 v[10:13], off, off offset:432
	v_add_f64 v[176:177], v[176:177], v[42:43]
	v_add_f64 v[178:179], v[178:179], v[44:45]
	ds_load_b128 v[42:45], v1 offset:944
	v_fma_f64 v[174:175], v[174:175], v[14:15], v[180:181]
	v_fma_f64 v[172:173], v[172:173], v[14:15], -v[16:17]
	scratch_load_b128 v[14:17], off, off offset:448
	s_waitcnt vmcnt(10) lgkmcnt(1)
	v_mul_f64 v[186:187], v[2:3], v[20:21]
	v_mul_f64 v[20:21], v[4:5], v[20:21]
	s_waitcnt vmcnt(9) lgkmcnt(0)
	v_mul_f64 v[180:181], v[42:43], v[24:25]
	v_mul_f64 v[24:25], v[44:45], v[24:25]
	v_add_f64 v[176:177], v[176:177], v[184:185]
	v_add_f64 v[178:179], v[178:179], v[182:183]
	v_fma_f64 v[182:183], v[4:5], v[18:19], v[186:187]
	v_fma_f64 v[184:185], v[2:3], v[18:19], -v[20:21]
	ds_load_b128 v[2:5], v1 offset:960
	scratch_load_b128 v[18:21], off, off offset:464
	v_fma_f64 v[44:45], v[44:45], v[22:23], v[180:181]
	v_fma_f64 v[42:43], v[42:43], v[22:23], -v[24:25]
	scratch_load_b128 v[22:25], off, off offset:480
	v_add_f64 v[176:177], v[176:177], v[172:173]
	v_add_f64 v[178:179], v[178:179], v[174:175]
	ds_load_b128 v[172:175], v1 offset:976
	s_waitcnt vmcnt(10) lgkmcnt(1)
	v_mul_f64 v[186:187], v[2:3], v[28:29]
	v_mul_f64 v[28:29], v[4:5], v[28:29]
	s_waitcnt vmcnt(9) lgkmcnt(0)
	v_mul_f64 v[180:181], v[172:173], v[32:33]
	v_mul_f64 v[32:33], v[174:175], v[32:33]
	v_add_f64 v[176:177], v[176:177], v[184:185]
	v_add_f64 v[178:179], v[178:179], v[182:183]
	v_fma_f64 v[182:183], v[4:5], v[26:27], v[186:187]
	v_fma_f64 v[184:185], v[2:3], v[26:27], -v[28:29]
	ds_load_b128 v[2:5], v1 offset:992
	scratch_load_b128 v[26:29], off, off offset:496
	v_fma_f64 v[174:175], v[174:175], v[30:31], v[180:181]
	v_fma_f64 v[172:173], v[172:173], v[30:31], -v[32:33]
	scratch_load_b128 v[30:33], off, off offset:512
	v_add_f64 v[176:177], v[176:177], v[42:43]
	v_add_f64 v[178:179], v[178:179], v[44:45]
	ds_load_b128 v[42:45], v1 offset:1008
	s_waitcnt vmcnt(10) lgkmcnt(1)
	v_mul_f64 v[186:187], v[2:3], v[36:37]
	v_mul_f64 v[36:37], v[4:5], v[36:37]
	s_waitcnt vmcnt(8) lgkmcnt(0)
	v_mul_f64 v[180:181], v[42:43], v[170:171]
	v_add_f64 v[176:177], v[176:177], v[184:185]
	v_add_f64 v[178:179], v[178:179], v[182:183]
	v_mul_f64 v[182:183], v[44:45], v[170:171]
	v_fma_f64 v[184:185], v[4:5], v[34:35], v[186:187]
	v_fma_f64 v[186:187], v[2:3], v[34:35], -v[36:37]
	ds_load_b128 v[2:5], v1 offset:1024
	scratch_load_b128 v[34:37], off, off offset:528
	v_fma_f64 v[44:45], v[44:45], v[168:169], v[180:181]
	v_add_f64 v[176:177], v[176:177], v[172:173]
	v_add_f64 v[174:175], v[178:179], v[174:175]
	ds_load_b128 v[170:173], v1 offset:1040
	v_fma_f64 v[168:169], v[42:43], v[168:169], -v[182:183]
	s_waitcnt vmcnt(8) lgkmcnt(1)
	v_mul_f64 v[178:179], v[2:3], v[40:41]
	v_mul_f64 v[188:189], v[4:5], v[40:41]
	scratch_load_b128 v[40:43], off, off offset:544
	s_waitcnt vmcnt(8) lgkmcnt(0)
	v_mul_f64 v[182:183], v[170:171], v[8:9]
	v_mul_f64 v[8:9], v[172:173], v[8:9]
	v_add_f64 v[176:177], v[176:177], v[186:187]
	v_add_f64 v[174:175], v[174:175], v[184:185]
	v_fma_f64 v[184:185], v[4:5], v[38:39], v[178:179]
	v_fma_f64 v[38:39], v[2:3], v[38:39], -v[188:189]
	ds_load_b128 v[2:5], v1 offset:1056
	ds_load_b128 v[178:181], v1 offset:1072
	v_fma_f64 v[172:173], v[172:173], v[6:7], v[182:183]
	v_fma_f64 v[170:171], v[170:171], v[6:7], -v[8:9]
	scratch_load_b128 v[6:9], off, off offset:576
	v_add_f64 v[168:169], v[176:177], v[168:169]
	v_add_f64 v[44:45], v[174:175], v[44:45]
	scratch_load_b128 v[174:177], off, off offset:560
	s_waitcnt vmcnt(9) lgkmcnt(1)
	v_mul_f64 v[186:187], v[2:3], v[12:13]
	v_mul_f64 v[12:13], v[4:5], v[12:13]
	s_waitcnt vmcnt(8) lgkmcnt(0)
	v_mul_f64 v[182:183], v[178:179], v[16:17]
	v_mul_f64 v[16:17], v[180:181], v[16:17]
	v_add_f64 v[38:39], v[168:169], v[38:39]
	v_add_f64 v[44:45], v[44:45], v[184:185]
	v_fma_f64 v[184:185], v[4:5], v[10:11], v[186:187]
	v_fma_f64 v[186:187], v[2:3], v[10:11], -v[12:13]
	ds_load_b128 v[2:5], v1 offset:1088
	scratch_load_b128 v[10:13], off, off offset:592
	v_fma_f64 v[180:181], v[180:181], v[14:15], v[182:183]
	v_fma_f64 v[178:179], v[178:179], v[14:15], -v[16:17]
	scratch_load_b128 v[14:17], off, off offset:608
	v_add_f64 v[38:39], v[38:39], v[170:171]
	v_add_f64 v[44:45], v[44:45], v[172:173]
	ds_load_b128 v[168:171], v1 offset:1104
	s_waitcnt vmcnt(9) lgkmcnt(1)
	v_mul_f64 v[172:173], v[2:3], v[20:21]
	v_mul_f64 v[20:21], v[4:5], v[20:21]
	s_waitcnt vmcnt(8) lgkmcnt(0)
	v_mul_f64 v[182:183], v[168:169], v[24:25]
	v_mul_f64 v[24:25], v[170:171], v[24:25]
	v_add_f64 v[38:39], v[38:39], v[186:187]
	v_add_f64 v[44:45], v[44:45], v[184:185]
	v_fma_f64 v[172:173], v[4:5], v[18:19], v[172:173]
	v_fma_f64 v[184:185], v[2:3], v[18:19], -v[20:21]
	ds_load_b128 v[2:5], v1 offset:1120
	ds_load_b128 v[18:21], v1 offset:1136
	v_fma_f64 v[170:171], v[170:171], v[22:23], v[182:183]
	v_fma_f64 v[22:23], v[168:169], v[22:23], -v[24:25]
	v_add_f64 v[38:39], v[38:39], v[178:179]
	v_add_f64 v[44:45], v[44:45], v[180:181]
	s_waitcnt vmcnt(7) lgkmcnt(1)
	v_mul_f64 v[178:179], v[2:3], v[28:29]
	v_mul_f64 v[28:29], v[4:5], v[28:29]
	s_delay_alu instid0(VALU_DEP_4) | instskip(NEXT) | instid1(VALU_DEP_4)
	v_add_f64 v[24:25], v[38:39], v[184:185]
	v_add_f64 v[38:39], v[44:45], v[172:173]
	s_waitcnt vmcnt(6) lgkmcnt(0)
	v_mul_f64 v[44:45], v[18:19], v[32:33]
	v_mul_f64 v[32:33], v[20:21], v[32:33]
	v_fma_f64 v[168:169], v[4:5], v[26:27], v[178:179]
	v_fma_f64 v[26:27], v[2:3], v[26:27], -v[28:29]
	v_add_f64 v[28:29], v[24:25], v[22:23]
	v_add_f64 v[38:39], v[38:39], v[170:171]
	ds_load_b128 v[2:5], v1 offset:1152
	ds_load_b128 v[22:25], v1 offset:1168
	v_fma_f64 v[20:21], v[20:21], v[30:31], v[44:45]
	v_fma_f64 v[18:19], v[18:19], v[30:31], -v[32:33]
	s_waitcnt vmcnt(5) lgkmcnt(1)
	v_mul_f64 v[170:171], v[2:3], v[36:37]
	v_mul_f64 v[36:37], v[4:5], v[36:37]
	s_waitcnt vmcnt(4) lgkmcnt(0)
	v_mul_f64 v[30:31], v[22:23], v[42:43]
	v_add_f64 v[26:27], v[28:29], v[26:27]
	v_add_f64 v[28:29], v[38:39], v[168:169]
	v_mul_f64 v[32:33], v[24:25], v[42:43]
	v_fma_f64 v[38:39], v[4:5], v[34:35], v[170:171]
	v_fma_f64 v[34:35], v[2:3], v[34:35], -v[36:37]
	v_fma_f64 v[24:25], v[24:25], v[40:41], v[30:31]
	v_add_f64 v[26:27], v[26:27], v[18:19]
	v_add_f64 v[28:29], v[28:29], v[20:21]
	ds_load_b128 v[2:5], v1 offset:1184
	ds_load_b128 v[18:21], v1 offset:1200
	v_fma_f64 v[22:23], v[22:23], v[40:41], -v[32:33]
	s_waitcnt vmcnt(2) lgkmcnt(1)
	v_mul_f64 v[36:37], v[2:3], v[176:177]
	v_mul_f64 v[42:43], v[4:5], v[176:177]
	s_waitcnt lgkmcnt(0)
	v_mul_f64 v[30:31], v[18:19], v[8:9]
	v_mul_f64 v[8:9], v[20:21], v[8:9]
	v_add_f64 v[26:27], v[26:27], v[34:35]
	v_add_f64 v[28:29], v[28:29], v[38:39]
	v_fma_f64 v[32:33], v[4:5], v[174:175], v[36:37]
	v_fma_f64 v[34:35], v[2:3], v[174:175], -v[42:43]
	v_fma_f64 v[20:21], v[20:21], v[6:7], v[30:31]
	v_fma_f64 v[6:7], v[18:19], v[6:7], -v[8:9]
	v_add_f64 v[26:27], v[26:27], v[22:23]
	v_add_f64 v[28:29], v[28:29], v[24:25]
	ds_load_b128 v[2:5], v1 offset:1216
	ds_load_b128 v[22:25], v1 offset:1232
	s_waitcnt vmcnt(1) lgkmcnt(1)
	v_mul_f64 v[36:37], v[2:3], v[12:13]
	v_mul_f64 v[12:13], v[4:5], v[12:13]
	v_add_f64 v[8:9], v[26:27], v[34:35]
	v_add_f64 v[18:19], v[28:29], v[32:33]
	s_waitcnt vmcnt(0) lgkmcnt(0)
	v_mul_f64 v[26:27], v[22:23], v[16:17]
	v_mul_f64 v[16:17], v[24:25], v[16:17]
	v_fma_f64 v[4:5], v[4:5], v[10:11], v[36:37]
	v_fma_f64 v[1:2], v[2:3], v[10:11], -v[12:13]
	v_add_f64 v[6:7], v[8:9], v[6:7]
	v_add_f64 v[8:9], v[18:19], v[20:21]
	v_fma_f64 v[10:11], v[24:25], v[14:15], v[26:27]
	v_fma_f64 v[12:13], v[22:23], v[14:15], -v[16:17]
	s_delay_alu instid0(VALU_DEP_4) | instskip(NEXT) | instid1(VALU_DEP_4)
	v_add_f64 v[1:2], v[6:7], v[1:2]
	v_add_f64 v[3:4], v[8:9], v[4:5]
	s_delay_alu instid0(VALU_DEP_2) | instskip(NEXT) | instid1(VALU_DEP_2)
	v_add_f64 v[1:2], v[1:2], v[12:13]
	v_add_f64 v[3:4], v[3:4], v[10:11]
	s_delay_alu instid0(VALU_DEP_2) | instskip(NEXT) | instid1(VALU_DEP_2)
	v_add_f64 v[1:2], v[164:165], -v[1:2]
	v_add_f64 v[3:4], v[166:167], -v[3:4]
	scratch_store_b128 off, v[1:4], off offset:224
	v_cmpx_lt_u32_e32 13, v124
	s_cbranch_execz .LBB38_221
; %bb.220:
	scratch_load_b128 v[1:4], v153, off
	v_mov_b32_e32 v5, 0
	s_delay_alu instid0(VALU_DEP_1)
	v_mov_b32_e32 v6, v5
	v_mov_b32_e32 v7, v5
	v_mov_b32_e32 v8, v5
	scratch_store_b128 off, v[5:8], off offset:208
	s_waitcnt vmcnt(0)
	ds_store_b128 v163, v[1:4]
.LBB38_221:
	s_or_b32 exec_lo, exec_lo, s2
	s_waitcnt lgkmcnt(0)
	s_waitcnt_vscnt null, 0x0
	s_barrier
	buffer_gl0_inv
	s_clause 0x7
	scratch_load_b128 v[2:5], off, off offset:224
	scratch_load_b128 v[6:9], off, off offset:240
	;; [unrolled: 1-line block ×8, first 2 shown]
	v_mov_b32_e32 v1, 0
	s_mov_b32 s2, exec_lo
	ds_load_b128 v[34:37], v1 offset:848
	s_clause 0x1
	scratch_load_b128 v[38:41], off, off offset:352
	scratch_load_b128 v[42:45], off, off offset:208
	ds_load_b128 v[164:167], v1 offset:864
	scratch_load_b128 v[168:171], off, off offset:368
	s_waitcnt vmcnt(10) lgkmcnt(1)
	v_mul_f64 v[172:173], v[36:37], v[4:5]
	v_mul_f64 v[4:5], v[34:35], v[4:5]
	s_delay_alu instid0(VALU_DEP_2) | instskip(NEXT) | instid1(VALU_DEP_2)
	v_fma_f64 v[178:179], v[34:35], v[2:3], -v[172:173]
	v_fma_f64 v[180:181], v[36:37], v[2:3], v[4:5]
	scratch_load_b128 v[34:37], off, off offset:384
	ds_load_b128 v[2:5], v1 offset:880
	s_waitcnt vmcnt(10) lgkmcnt(1)
	v_mul_f64 v[176:177], v[164:165], v[8:9]
	v_mul_f64 v[8:9], v[166:167], v[8:9]
	ds_load_b128 v[172:175], v1 offset:896
	s_waitcnt vmcnt(9) lgkmcnt(1)
	v_mul_f64 v[182:183], v[2:3], v[12:13]
	v_mul_f64 v[12:13], v[4:5], v[12:13]
	v_fma_f64 v[166:167], v[166:167], v[6:7], v[176:177]
	v_fma_f64 v[164:165], v[164:165], v[6:7], -v[8:9]
	v_add_f64 v[176:177], v[178:179], 0
	v_add_f64 v[178:179], v[180:181], 0
	scratch_load_b128 v[6:9], off, off offset:400
	v_fma_f64 v[182:183], v[4:5], v[10:11], v[182:183]
	v_fma_f64 v[184:185], v[2:3], v[10:11], -v[12:13]
	scratch_load_b128 v[10:13], off, off offset:416
	ds_load_b128 v[2:5], v1 offset:912
	s_waitcnt vmcnt(10) lgkmcnt(1)
	v_mul_f64 v[180:181], v[172:173], v[16:17]
	v_mul_f64 v[16:17], v[174:175], v[16:17]
	v_add_f64 v[176:177], v[176:177], v[164:165]
	v_add_f64 v[178:179], v[178:179], v[166:167]
	s_waitcnt vmcnt(9) lgkmcnt(0)
	v_mul_f64 v[186:187], v[2:3], v[20:21]
	v_mul_f64 v[20:21], v[4:5], v[20:21]
	ds_load_b128 v[164:167], v1 offset:928
	v_fma_f64 v[174:175], v[174:175], v[14:15], v[180:181]
	v_fma_f64 v[172:173], v[172:173], v[14:15], -v[16:17]
	scratch_load_b128 v[14:17], off, off offset:432
	v_add_f64 v[176:177], v[176:177], v[184:185]
	v_add_f64 v[178:179], v[178:179], v[182:183]
	v_fma_f64 v[182:183], v[4:5], v[18:19], v[186:187]
	v_fma_f64 v[184:185], v[2:3], v[18:19], -v[20:21]
	scratch_load_b128 v[18:21], off, off offset:448
	ds_load_b128 v[2:5], v1 offset:944
	s_waitcnt vmcnt(10) lgkmcnt(1)
	v_mul_f64 v[180:181], v[164:165], v[24:25]
	v_mul_f64 v[24:25], v[166:167], v[24:25]
	s_waitcnt vmcnt(9) lgkmcnt(0)
	v_mul_f64 v[186:187], v[2:3], v[28:29]
	v_mul_f64 v[28:29], v[4:5], v[28:29]
	v_add_f64 v[176:177], v[176:177], v[172:173]
	v_add_f64 v[178:179], v[178:179], v[174:175]
	ds_load_b128 v[172:175], v1 offset:960
	v_fma_f64 v[166:167], v[166:167], v[22:23], v[180:181]
	v_fma_f64 v[164:165], v[164:165], v[22:23], -v[24:25]
	scratch_load_b128 v[22:25], off, off offset:464
	v_add_f64 v[176:177], v[176:177], v[184:185]
	v_add_f64 v[178:179], v[178:179], v[182:183]
	v_fma_f64 v[182:183], v[4:5], v[26:27], v[186:187]
	v_fma_f64 v[184:185], v[2:3], v[26:27], -v[28:29]
	scratch_load_b128 v[26:29], off, off offset:480
	ds_load_b128 v[2:5], v1 offset:976
	s_waitcnt vmcnt(10) lgkmcnt(1)
	v_mul_f64 v[180:181], v[172:173], v[32:33]
	v_mul_f64 v[32:33], v[174:175], v[32:33]
	s_waitcnt vmcnt(9) lgkmcnt(0)
	v_mul_f64 v[186:187], v[2:3], v[40:41]
	v_mul_f64 v[40:41], v[4:5], v[40:41]
	v_add_f64 v[176:177], v[176:177], v[164:165]
	v_add_f64 v[178:179], v[178:179], v[166:167]
	ds_load_b128 v[164:167], v1 offset:992
	v_fma_f64 v[174:175], v[174:175], v[30:31], v[180:181]
	v_fma_f64 v[172:173], v[172:173], v[30:31], -v[32:33]
	scratch_load_b128 v[30:33], off, off offset:496
	v_add_f64 v[176:177], v[176:177], v[184:185]
	v_add_f64 v[178:179], v[178:179], v[182:183]
	v_fma_f64 v[184:185], v[4:5], v[38:39], v[186:187]
	v_fma_f64 v[186:187], v[2:3], v[38:39], -v[40:41]
	scratch_load_b128 v[38:41], off, off offset:512
	ds_load_b128 v[2:5], v1 offset:1008
	s_waitcnt vmcnt(9) lgkmcnt(1)
	v_mul_f64 v[180:181], v[164:165], v[170:171]
	v_mul_f64 v[182:183], v[166:167], v[170:171]
	v_add_f64 v[176:177], v[176:177], v[172:173]
	v_add_f64 v[174:175], v[178:179], v[174:175]
	ds_load_b128 v[170:173], v1 offset:1024
	v_fma_f64 v[180:181], v[166:167], v[168:169], v[180:181]
	v_fma_f64 v[168:169], v[164:165], v[168:169], -v[182:183]
	scratch_load_b128 v[164:167], off, off offset:528
	s_waitcnt vmcnt(9) lgkmcnt(1)
	v_mul_f64 v[178:179], v[2:3], v[36:37]
	v_mul_f64 v[36:37], v[4:5], v[36:37]
	v_add_f64 v[176:177], v[176:177], v[186:187]
	v_add_f64 v[174:175], v[174:175], v[184:185]
	s_delay_alu instid0(VALU_DEP_4) | instskip(NEXT) | instid1(VALU_DEP_4)
	v_fma_f64 v[178:179], v[4:5], v[34:35], v[178:179]
	v_fma_f64 v[184:185], v[2:3], v[34:35], -v[36:37]
	scratch_load_b128 v[34:37], off, off offset:544
	ds_load_b128 v[2:5], v1 offset:1040
	s_waitcnt vmcnt(9) lgkmcnt(1)
	v_mul_f64 v[182:183], v[170:171], v[8:9]
	v_mul_f64 v[8:9], v[172:173], v[8:9]
	s_waitcnt vmcnt(8) lgkmcnt(0)
	v_mul_f64 v[186:187], v[2:3], v[12:13]
	v_mul_f64 v[12:13], v[4:5], v[12:13]
	v_add_f64 v[168:169], v[176:177], v[168:169]
	v_add_f64 v[180:181], v[174:175], v[180:181]
	ds_load_b128 v[174:177], v1 offset:1056
	v_fma_f64 v[172:173], v[172:173], v[6:7], v[182:183]
	v_fma_f64 v[170:171], v[170:171], v[6:7], -v[8:9]
	scratch_load_b128 v[6:9], off, off offset:560
	v_fma_f64 v[182:183], v[4:5], v[10:11], v[186:187]
	v_add_f64 v[168:169], v[168:169], v[184:185]
	v_add_f64 v[178:179], v[180:181], v[178:179]
	v_fma_f64 v[184:185], v[2:3], v[10:11], -v[12:13]
	scratch_load_b128 v[10:13], off, off offset:576
	ds_load_b128 v[2:5], v1 offset:1072
	s_waitcnt vmcnt(9) lgkmcnt(1)
	v_mul_f64 v[180:181], v[174:175], v[16:17]
	v_mul_f64 v[16:17], v[176:177], v[16:17]
	v_add_f64 v[186:187], v[168:169], v[170:171]
	v_add_f64 v[172:173], v[178:179], v[172:173]
	s_waitcnt vmcnt(8) lgkmcnt(0)
	v_mul_f64 v[178:179], v[2:3], v[20:21]
	v_mul_f64 v[20:21], v[4:5], v[20:21]
	ds_load_b128 v[168:171], v1 offset:1088
	v_fma_f64 v[176:177], v[176:177], v[14:15], v[180:181]
	v_fma_f64 v[174:175], v[174:175], v[14:15], -v[16:17]
	scratch_load_b128 v[14:17], off, off offset:592
	v_add_f64 v[180:181], v[186:187], v[184:185]
	v_add_f64 v[172:173], v[172:173], v[182:183]
	v_fma_f64 v[178:179], v[4:5], v[18:19], v[178:179]
	v_fma_f64 v[184:185], v[2:3], v[18:19], -v[20:21]
	scratch_load_b128 v[18:21], off, off offset:608
	ds_load_b128 v[2:5], v1 offset:1104
	s_waitcnt vmcnt(9) lgkmcnt(1)
	v_mul_f64 v[182:183], v[168:169], v[24:25]
	v_mul_f64 v[24:25], v[170:171], v[24:25]
	s_waitcnt vmcnt(8) lgkmcnt(0)
	v_mul_f64 v[186:187], v[2:3], v[28:29]
	v_mul_f64 v[28:29], v[4:5], v[28:29]
	v_add_f64 v[180:181], v[180:181], v[174:175]
	v_add_f64 v[176:177], v[172:173], v[176:177]
	ds_load_b128 v[172:175], v1 offset:1120
	v_fma_f64 v[170:171], v[170:171], v[22:23], v[182:183]
	v_fma_f64 v[22:23], v[168:169], v[22:23], -v[24:25]
	v_add_f64 v[24:25], v[180:181], v[184:185]
	v_add_f64 v[168:169], v[176:177], v[178:179]
	s_waitcnt vmcnt(7) lgkmcnt(0)
	v_mul_f64 v[176:177], v[172:173], v[32:33]
	v_mul_f64 v[32:33], v[174:175], v[32:33]
	v_fma_f64 v[178:179], v[4:5], v[26:27], v[186:187]
	v_fma_f64 v[26:27], v[2:3], v[26:27], -v[28:29]
	v_add_f64 v[28:29], v[24:25], v[22:23]
	v_add_f64 v[168:169], v[168:169], v[170:171]
	ds_load_b128 v[2:5], v1 offset:1136
	ds_load_b128 v[22:25], v1 offset:1152
	v_fma_f64 v[174:175], v[174:175], v[30:31], v[176:177]
	v_fma_f64 v[30:31], v[172:173], v[30:31], -v[32:33]
	s_waitcnt vmcnt(6) lgkmcnt(1)
	v_mul_f64 v[170:171], v[2:3], v[40:41]
	v_mul_f64 v[40:41], v[4:5], v[40:41]
	s_waitcnt vmcnt(5) lgkmcnt(0)
	v_mul_f64 v[32:33], v[22:23], v[166:167]
	v_mul_f64 v[166:167], v[24:25], v[166:167]
	v_add_f64 v[26:27], v[28:29], v[26:27]
	v_add_f64 v[28:29], v[168:169], v[178:179]
	v_fma_f64 v[168:169], v[4:5], v[38:39], v[170:171]
	v_fma_f64 v[38:39], v[2:3], v[38:39], -v[40:41]
	v_fma_f64 v[24:25], v[24:25], v[164:165], v[32:33]
	v_fma_f64 v[22:23], v[22:23], v[164:165], -v[166:167]
	v_add_f64 v[30:31], v[26:27], v[30:31]
	v_add_f64 v[40:41], v[28:29], v[174:175]
	ds_load_b128 v[2:5], v1 offset:1168
	ds_load_b128 v[26:29], v1 offset:1184
	s_waitcnt vmcnt(4) lgkmcnt(1)
	v_mul_f64 v[170:171], v[2:3], v[36:37]
	v_mul_f64 v[36:37], v[4:5], v[36:37]
	v_add_f64 v[30:31], v[30:31], v[38:39]
	v_add_f64 v[32:33], v[40:41], v[168:169]
	s_waitcnt vmcnt(3) lgkmcnt(0)
	v_mul_f64 v[38:39], v[26:27], v[8:9]
	v_mul_f64 v[8:9], v[28:29], v[8:9]
	v_fma_f64 v[40:41], v[4:5], v[34:35], v[170:171]
	v_fma_f64 v[34:35], v[2:3], v[34:35], -v[36:37]
	v_add_f64 v[30:31], v[30:31], v[22:23]
	v_add_f64 v[32:33], v[32:33], v[24:25]
	ds_load_b128 v[2:5], v1 offset:1200
	ds_load_b128 v[22:25], v1 offset:1216
	v_fma_f64 v[28:29], v[28:29], v[6:7], v[38:39]
	v_fma_f64 v[6:7], v[26:27], v[6:7], -v[8:9]
	s_waitcnt vmcnt(2) lgkmcnt(1)
	v_mul_f64 v[36:37], v[2:3], v[12:13]
	v_mul_f64 v[12:13], v[4:5], v[12:13]
	v_add_f64 v[8:9], v[30:31], v[34:35]
	v_add_f64 v[26:27], v[32:33], v[40:41]
	s_waitcnt vmcnt(1) lgkmcnt(0)
	v_mul_f64 v[30:31], v[22:23], v[16:17]
	v_mul_f64 v[16:17], v[24:25], v[16:17]
	v_fma_f64 v[32:33], v[4:5], v[10:11], v[36:37]
	v_fma_f64 v[10:11], v[2:3], v[10:11], -v[12:13]
	ds_load_b128 v[2:5], v1 offset:1232
	v_add_f64 v[6:7], v[8:9], v[6:7]
	v_add_f64 v[8:9], v[26:27], v[28:29]
	v_fma_f64 v[24:25], v[24:25], v[14:15], v[30:31]
	v_fma_f64 v[14:15], v[22:23], v[14:15], -v[16:17]
	s_waitcnt vmcnt(0) lgkmcnt(0)
	v_mul_f64 v[12:13], v[2:3], v[20:21]
	v_mul_f64 v[20:21], v[4:5], v[20:21]
	v_add_f64 v[6:7], v[6:7], v[10:11]
	v_add_f64 v[8:9], v[8:9], v[32:33]
	s_delay_alu instid0(VALU_DEP_4) | instskip(NEXT) | instid1(VALU_DEP_4)
	v_fma_f64 v[4:5], v[4:5], v[18:19], v[12:13]
	v_fma_f64 v[2:3], v[2:3], v[18:19], -v[20:21]
	s_delay_alu instid0(VALU_DEP_4) | instskip(NEXT) | instid1(VALU_DEP_4)
	v_add_f64 v[6:7], v[6:7], v[14:15]
	v_add_f64 v[8:9], v[8:9], v[24:25]
	s_delay_alu instid0(VALU_DEP_2) | instskip(NEXT) | instid1(VALU_DEP_2)
	v_add_f64 v[2:3], v[6:7], v[2:3]
	v_add_f64 v[4:5], v[8:9], v[4:5]
	s_delay_alu instid0(VALU_DEP_2) | instskip(NEXT) | instid1(VALU_DEP_2)
	v_add_f64 v[2:3], v[42:43], -v[2:3]
	v_add_f64 v[4:5], v[44:45], -v[4:5]
	scratch_store_b128 off, v[2:5], off offset:208
	v_cmpx_lt_u32_e32 12, v124
	s_cbranch_execz .LBB38_223
; %bb.222:
	scratch_load_b128 v[5:8], v151, off
	v_mov_b32_e32 v2, v1
	v_mov_b32_e32 v3, v1
	;; [unrolled: 1-line block ×3, first 2 shown]
	scratch_store_b128 off, v[1:4], off offset:192
	s_waitcnt vmcnt(0)
	ds_store_b128 v163, v[5:8]
.LBB38_223:
	s_or_b32 exec_lo, exec_lo, s2
	s_waitcnt lgkmcnt(0)
	s_waitcnt_vscnt null, 0x0
	s_barrier
	buffer_gl0_inv
	s_clause 0x8
	scratch_load_b128 v[2:5], off, off offset:208
	scratch_load_b128 v[6:9], off, off offset:224
	scratch_load_b128 v[10:13], off, off offset:240
	scratch_load_b128 v[14:17], off, off offset:256
	scratch_load_b128 v[18:21], off, off offset:272
	scratch_load_b128 v[22:25], off, off offset:288
	scratch_load_b128 v[26:29], off, off offset:304
	scratch_load_b128 v[30:33], off, off offset:320
	scratch_load_b128 v[34:37], off, off offset:336
	ds_load_b128 v[38:41], v1 offset:832
	ds_load_b128 v[42:45], v1 offset:848
	s_clause 0x1
	scratch_load_b128 v[164:167], off, off offset:192
	scratch_load_b128 v[168:171], off, off offset:352
	s_mov_b32 s2, exec_lo
	s_waitcnt vmcnt(10) lgkmcnt(1)
	v_mul_f64 v[172:173], v[40:41], v[4:5]
	v_mul_f64 v[4:5], v[38:39], v[4:5]
	s_waitcnt vmcnt(9) lgkmcnt(0)
	v_mul_f64 v[176:177], v[42:43], v[8:9]
	v_mul_f64 v[8:9], v[44:45], v[8:9]
	s_delay_alu instid0(VALU_DEP_4) | instskip(NEXT) | instid1(VALU_DEP_4)
	v_fma_f64 v[178:179], v[38:39], v[2:3], -v[172:173]
	v_fma_f64 v[180:181], v[40:41], v[2:3], v[4:5]
	ds_load_b128 v[2:5], v1 offset:864
	ds_load_b128 v[172:175], v1 offset:880
	scratch_load_b128 v[38:41], off, off offset:368
	v_fma_f64 v[44:45], v[44:45], v[6:7], v[176:177]
	v_fma_f64 v[42:43], v[42:43], v[6:7], -v[8:9]
	scratch_load_b128 v[6:9], off, off offset:384
	s_waitcnt vmcnt(10) lgkmcnt(1)
	v_mul_f64 v[182:183], v[2:3], v[12:13]
	v_mul_f64 v[12:13], v[4:5], v[12:13]
	v_add_f64 v[176:177], v[178:179], 0
	v_add_f64 v[178:179], v[180:181], 0
	s_waitcnt vmcnt(9) lgkmcnt(0)
	v_mul_f64 v[180:181], v[172:173], v[16:17]
	v_mul_f64 v[16:17], v[174:175], v[16:17]
	v_fma_f64 v[182:183], v[4:5], v[10:11], v[182:183]
	v_fma_f64 v[184:185], v[2:3], v[10:11], -v[12:13]
	ds_load_b128 v[2:5], v1 offset:896
	scratch_load_b128 v[10:13], off, off offset:400
	v_add_f64 v[176:177], v[176:177], v[42:43]
	v_add_f64 v[178:179], v[178:179], v[44:45]
	ds_load_b128 v[42:45], v1 offset:912
	v_fma_f64 v[174:175], v[174:175], v[14:15], v[180:181]
	v_fma_f64 v[172:173], v[172:173], v[14:15], -v[16:17]
	scratch_load_b128 v[14:17], off, off offset:416
	s_waitcnt vmcnt(10) lgkmcnt(1)
	v_mul_f64 v[186:187], v[2:3], v[20:21]
	v_mul_f64 v[20:21], v[4:5], v[20:21]
	s_waitcnt vmcnt(9) lgkmcnt(0)
	v_mul_f64 v[180:181], v[42:43], v[24:25]
	v_mul_f64 v[24:25], v[44:45], v[24:25]
	v_add_f64 v[176:177], v[176:177], v[184:185]
	v_add_f64 v[178:179], v[178:179], v[182:183]
	v_fma_f64 v[182:183], v[4:5], v[18:19], v[186:187]
	v_fma_f64 v[184:185], v[2:3], v[18:19], -v[20:21]
	ds_load_b128 v[2:5], v1 offset:928
	scratch_load_b128 v[18:21], off, off offset:432
	v_fma_f64 v[44:45], v[44:45], v[22:23], v[180:181]
	v_fma_f64 v[42:43], v[42:43], v[22:23], -v[24:25]
	scratch_load_b128 v[22:25], off, off offset:448
	v_add_f64 v[176:177], v[176:177], v[172:173]
	v_add_f64 v[178:179], v[178:179], v[174:175]
	ds_load_b128 v[172:175], v1 offset:944
	s_waitcnt vmcnt(10) lgkmcnt(1)
	v_mul_f64 v[186:187], v[2:3], v[28:29]
	v_mul_f64 v[28:29], v[4:5], v[28:29]
	s_waitcnt vmcnt(9) lgkmcnt(0)
	v_mul_f64 v[180:181], v[172:173], v[32:33]
	v_mul_f64 v[32:33], v[174:175], v[32:33]
	v_add_f64 v[176:177], v[176:177], v[184:185]
	v_add_f64 v[178:179], v[178:179], v[182:183]
	v_fma_f64 v[182:183], v[4:5], v[26:27], v[186:187]
	v_fma_f64 v[184:185], v[2:3], v[26:27], -v[28:29]
	ds_load_b128 v[2:5], v1 offset:960
	scratch_load_b128 v[26:29], off, off offset:464
	v_fma_f64 v[174:175], v[174:175], v[30:31], v[180:181]
	v_fma_f64 v[172:173], v[172:173], v[30:31], -v[32:33]
	scratch_load_b128 v[30:33], off, off offset:480
	v_add_f64 v[176:177], v[176:177], v[42:43]
	v_add_f64 v[178:179], v[178:179], v[44:45]
	ds_load_b128 v[42:45], v1 offset:976
	s_waitcnt vmcnt(10) lgkmcnt(1)
	v_mul_f64 v[186:187], v[2:3], v[36:37]
	v_mul_f64 v[36:37], v[4:5], v[36:37]
	s_waitcnt vmcnt(8) lgkmcnt(0)
	v_mul_f64 v[180:181], v[42:43], v[170:171]
	v_add_f64 v[176:177], v[176:177], v[184:185]
	v_add_f64 v[178:179], v[178:179], v[182:183]
	v_mul_f64 v[182:183], v[44:45], v[170:171]
	v_fma_f64 v[184:185], v[4:5], v[34:35], v[186:187]
	v_fma_f64 v[186:187], v[2:3], v[34:35], -v[36:37]
	ds_load_b128 v[2:5], v1 offset:992
	scratch_load_b128 v[34:37], off, off offset:496
	v_fma_f64 v[44:45], v[44:45], v[168:169], v[180:181]
	v_add_f64 v[176:177], v[176:177], v[172:173]
	v_add_f64 v[174:175], v[178:179], v[174:175]
	ds_load_b128 v[170:173], v1 offset:1008
	v_fma_f64 v[168:169], v[42:43], v[168:169], -v[182:183]
	s_waitcnt vmcnt(8) lgkmcnt(1)
	v_mul_f64 v[178:179], v[2:3], v[40:41]
	v_mul_f64 v[188:189], v[4:5], v[40:41]
	scratch_load_b128 v[40:43], off, off offset:512
	s_waitcnt vmcnt(8) lgkmcnt(0)
	v_mul_f64 v[182:183], v[170:171], v[8:9]
	v_mul_f64 v[8:9], v[172:173], v[8:9]
	v_add_f64 v[176:177], v[176:177], v[186:187]
	v_add_f64 v[174:175], v[174:175], v[184:185]
	v_fma_f64 v[184:185], v[4:5], v[38:39], v[178:179]
	v_fma_f64 v[38:39], v[2:3], v[38:39], -v[188:189]
	ds_load_b128 v[2:5], v1 offset:1024
	ds_load_b128 v[178:181], v1 offset:1040
	v_fma_f64 v[172:173], v[172:173], v[6:7], v[182:183]
	v_fma_f64 v[170:171], v[170:171], v[6:7], -v[8:9]
	scratch_load_b128 v[6:9], off, off offset:544
	v_add_f64 v[168:169], v[176:177], v[168:169]
	v_add_f64 v[44:45], v[174:175], v[44:45]
	scratch_load_b128 v[174:177], off, off offset:528
	s_waitcnt vmcnt(9) lgkmcnt(1)
	v_mul_f64 v[186:187], v[2:3], v[12:13]
	v_mul_f64 v[12:13], v[4:5], v[12:13]
	s_waitcnt vmcnt(8) lgkmcnt(0)
	v_mul_f64 v[182:183], v[178:179], v[16:17]
	v_mul_f64 v[16:17], v[180:181], v[16:17]
	v_add_f64 v[38:39], v[168:169], v[38:39]
	v_add_f64 v[44:45], v[44:45], v[184:185]
	v_fma_f64 v[184:185], v[4:5], v[10:11], v[186:187]
	v_fma_f64 v[186:187], v[2:3], v[10:11], -v[12:13]
	ds_load_b128 v[2:5], v1 offset:1056
	scratch_load_b128 v[10:13], off, off offset:560
	v_fma_f64 v[180:181], v[180:181], v[14:15], v[182:183]
	v_fma_f64 v[178:179], v[178:179], v[14:15], -v[16:17]
	scratch_load_b128 v[14:17], off, off offset:576
	v_add_f64 v[38:39], v[38:39], v[170:171]
	v_add_f64 v[44:45], v[44:45], v[172:173]
	ds_load_b128 v[168:171], v1 offset:1072
	s_waitcnt vmcnt(9) lgkmcnt(1)
	v_mul_f64 v[172:173], v[2:3], v[20:21]
	v_mul_f64 v[20:21], v[4:5], v[20:21]
	s_waitcnt vmcnt(8) lgkmcnt(0)
	v_mul_f64 v[182:183], v[168:169], v[24:25]
	v_mul_f64 v[24:25], v[170:171], v[24:25]
	v_add_f64 v[38:39], v[38:39], v[186:187]
	v_add_f64 v[44:45], v[44:45], v[184:185]
	v_fma_f64 v[172:173], v[4:5], v[18:19], v[172:173]
	v_fma_f64 v[184:185], v[2:3], v[18:19], -v[20:21]
	ds_load_b128 v[2:5], v1 offset:1088
	scratch_load_b128 v[18:21], off, off offset:592
	v_fma_f64 v[170:171], v[170:171], v[22:23], v[182:183]
	v_fma_f64 v[168:169], v[168:169], v[22:23], -v[24:25]
	scratch_load_b128 v[22:25], off, off offset:608
	v_add_f64 v[38:39], v[38:39], v[178:179]
	v_add_f64 v[44:45], v[44:45], v[180:181]
	ds_load_b128 v[178:181], v1 offset:1104
	s_waitcnt vmcnt(9) lgkmcnt(1)
	v_mul_f64 v[186:187], v[2:3], v[28:29]
	v_mul_f64 v[28:29], v[4:5], v[28:29]
	v_add_f64 v[38:39], v[38:39], v[184:185]
	v_add_f64 v[44:45], v[44:45], v[172:173]
	s_waitcnt vmcnt(8) lgkmcnt(0)
	v_mul_f64 v[172:173], v[178:179], v[32:33]
	v_mul_f64 v[32:33], v[180:181], v[32:33]
	v_fma_f64 v[182:183], v[4:5], v[26:27], v[186:187]
	v_fma_f64 v[184:185], v[2:3], v[26:27], -v[28:29]
	ds_load_b128 v[2:5], v1 offset:1120
	ds_load_b128 v[26:29], v1 offset:1136
	v_add_f64 v[38:39], v[38:39], v[168:169]
	v_add_f64 v[44:45], v[44:45], v[170:171]
	s_waitcnt vmcnt(7) lgkmcnt(1)
	v_mul_f64 v[168:169], v[2:3], v[36:37]
	v_mul_f64 v[36:37], v[4:5], v[36:37]
	v_fma_f64 v[170:171], v[180:181], v[30:31], v[172:173]
	v_fma_f64 v[30:31], v[178:179], v[30:31], -v[32:33]
	v_add_f64 v[32:33], v[38:39], v[184:185]
	v_add_f64 v[38:39], v[44:45], v[182:183]
	s_waitcnt vmcnt(6) lgkmcnt(0)
	v_mul_f64 v[44:45], v[26:27], v[42:43]
	v_mul_f64 v[42:43], v[28:29], v[42:43]
	v_fma_f64 v[168:169], v[4:5], v[34:35], v[168:169]
	v_fma_f64 v[34:35], v[2:3], v[34:35], -v[36:37]
	v_add_f64 v[36:37], v[32:33], v[30:31]
	v_add_f64 v[38:39], v[38:39], v[170:171]
	ds_load_b128 v[2:5], v1 offset:1152
	ds_load_b128 v[30:33], v1 offset:1168
	v_fma_f64 v[28:29], v[28:29], v[40:41], v[44:45]
	v_fma_f64 v[26:27], v[26:27], v[40:41], -v[42:43]
	s_waitcnt vmcnt(4) lgkmcnt(1)
	v_mul_f64 v[170:171], v[2:3], v[176:177]
	v_mul_f64 v[172:173], v[4:5], v[176:177]
	v_add_f64 v[34:35], v[36:37], v[34:35]
	v_add_f64 v[36:37], v[38:39], v[168:169]
	s_waitcnt lgkmcnt(0)
	v_mul_f64 v[38:39], v[30:31], v[8:9]
	v_mul_f64 v[8:9], v[32:33], v[8:9]
	v_fma_f64 v[40:41], v[4:5], v[174:175], v[170:171]
	v_fma_f64 v[42:43], v[2:3], v[174:175], -v[172:173]
	v_add_f64 v[34:35], v[34:35], v[26:27]
	v_add_f64 v[36:37], v[36:37], v[28:29]
	ds_load_b128 v[2:5], v1 offset:1184
	ds_load_b128 v[26:29], v1 offset:1200
	v_fma_f64 v[32:33], v[32:33], v[6:7], v[38:39]
	v_fma_f64 v[6:7], v[30:31], v[6:7], -v[8:9]
	s_waitcnt vmcnt(3) lgkmcnt(1)
	v_mul_f64 v[44:45], v[2:3], v[12:13]
	v_mul_f64 v[12:13], v[4:5], v[12:13]
	v_add_f64 v[8:9], v[34:35], v[42:43]
	v_add_f64 v[30:31], v[36:37], v[40:41]
	s_waitcnt vmcnt(2) lgkmcnt(0)
	v_mul_f64 v[34:35], v[26:27], v[16:17]
	v_mul_f64 v[16:17], v[28:29], v[16:17]
	v_fma_f64 v[36:37], v[4:5], v[10:11], v[44:45]
	v_fma_f64 v[10:11], v[2:3], v[10:11], -v[12:13]
	v_add_f64 v[12:13], v[8:9], v[6:7]
	v_add_f64 v[30:31], v[30:31], v[32:33]
	ds_load_b128 v[2:5], v1 offset:1216
	ds_load_b128 v[6:9], v1 offset:1232
	v_fma_f64 v[28:29], v[28:29], v[14:15], v[34:35]
	v_fma_f64 v[14:15], v[26:27], v[14:15], -v[16:17]
	s_waitcnt vmcnt(1) lgkmcnt(1)
	v_mul_f64 v[32:33], v[2:3], v[20:21]
	v_mul_f64 v[20:21], v[4:5], v[20:21]
	s_waitcnt vmcnt(0) lgkmcnt(0)
	v_mul_f64 v[16:17], v[6:7], v[24:25]
	v_mul_f64 v[24:25], v[8:9], v[24:25]
	v_add_f64 v[10:11], v[12:13], v[10:11]
	v_add_f64 v[12:13], v[30:31], v[36:37]
	v_fma_f64 v[4:5], v[4:5], v[18:19], v[32:33]
	v_fma_f64 v[1:2], v[2:3], v[18:19], -v[20:21]
	v_fma_f64 v[8:9], v[8:9], v[22:23], v[16:17]
	v_fma_f64 v[6:7], v[6:7], v[22:23], -v[24:25]
	v_add_f64 v[10:11], v[10:11], v[14:15]
	v_add_f64 v[12:13], v[12:13], v[28:29]
	s_delay_alu instid0(VALU_DEP_2) | instskip(NEXT) | instid1(VALU_DEP_2)
	v_add_f64 v[1:2], v[10:11], v[1:2]
	v_add_f64 v[3:4], v[12:13], v[4:5]
	s_delay_alu instid0(VALU_DEP_2) | instskip(NEXT) | instid1(VALU_DEP_2)
	;; [unrolled: 3-line block ×3, first 2 shown]
	v_add_f64 v[1:2], v[164:165], -v[1:2]
	v_add_f64 v[3:4], v[166:167], -v[3:4]
	scratch_store_b128 off, v[1:4], off offset:192
	v_cmpx_lt_u32_e32 11, v124
	s_cbranch_execz .LBB38_225
; %bb.224:
	scratch_load_b128 v[1:4], v154, off
	v_mov_b32_e32 v5, 0
	s_delay_alu instid0(VALU_DEP_1)
	v_mov_b32_e32 v6, v5
	v_mov_b32_e32 v7, v5
	;; [unrolled: 1-line block ×3, first 2 shown]
	scratch_store_b128 off, v[5:8], off offset:176
	s_waitcnt vmcnt(0)
	ds_store_b128 v163, v[1:4]
.LBB38_225:
	s_or_b32 exec_lo, exec_lo, s2
	s_waitcnt lgkmcnt(0)
	s_waitcnt_vscnt null, 0x0
	s_barrier
	buffer_gl0_inv
	s_clause 0x7
	scratch_load_b128 v[2:5], off, off offset:192
	scratch_load_b128 v[6:9], off, off offset:208
	;; [unrolled: 1-line block ×8, first 2 shown]
	v_mov_b32_e32 v1, 0
	s_mov_b32 s2, exec_lo
	ds_load_b128 v[38:41], v1 offset:816
	s_clause 0x1
	scratch_load_b128 v[34:37], off, off offset:320
	scratch_load_b128 v[42:45], off, off offset:176
	ds_load_b128 v[164:167], v1 offset:832
	scratch_load_b128 v[168:171], off, off offset:336
	s_waitcnt vmcnt(10) lgkmcnt(1)
	v_mul_f64 v[172:173], v[40:41], v[4:5]
	v_mul_f64 v[4:5], v[38:39], v[4:5]
	s_delay_alu instid0(VALU_DEP_2) | instskip(NEXT) | instid1(VALU_DEP_2)
	v_fma_f64 v[178:179], v[38:39], v[2:3], -v[172:173]
	v_fma_f64 v[180:181], v[40:41], v[2:3], v[4:5]
	scratch_load_b128 v[38:41], off, off offset:352
	ds_load_b128 v[2:5], v1 offset:848
	s_waitcnt vmcnt(10) lgkmcnt(1)
	v_mul_f64 v[176:177], v[164:165], v[8:9]
	v_mul_f64 v[8:9], v[166:167], v[8:9]
	ds_load_b128 v[172:175], v1 offset:864
	s_waitcnt vmcnt(9) lgkmcnt(1)
	v_mul_f64 v[182:183], v[2:3], v[12:13]
	v_mul_f64 v[12:13], v[4:5], v[12:13]
	v_fma_f64 v[166:167], v[166:167], v[6:7], v[176:177]
	v_fma_f64 v[164:165], v[164:165], v[6:7], -v[8:9]
	v_add_f64 v[176:177], v[178:179], 0
	v_add_f64 v[178:179], v[180:181], 0
	scratch_load_b128 v[6:9], off, off offset:368
	v_fma_f64 v[182:183], v[4:5], v[10:11], v[182:183]
	v_fma_f64 v[184:185], v[2:3], v[10:11], -v[12:13]
	scratch_load_b128 v[10:13], off, off offset:384
	ds_load_b128 v[2:5], v1 offset:880
	s_waitcnt vmcnt(10) lgkmcnt(1)
	v_mul_f64 v[180:181], v[172:173], v[16:17]
	v_mul_f64 v[16:17], v[174:175], v[16:17]
	v_add_f64 v[176:177], v[176:177], v[164:165]
	v_add_f64 v[178:179], v[178:179], v[166:167]
	s_waitcnt vmcnt(9) lgkmcnt(0)
	v_mul_f64 v[186:187], v[2:3], v[20:21]
	v_mul_f64 v[20:21], v[4:5], v[20:21]
	ds_load_b128 v[164:167], v1 offset:896
	v_fma_f64 v[174:175], v[174:175], v[14:15], v[180:181]
	v_fma_f64 v[172:173], v[172:173], v[14:15], -v[16:17]
	scratch_load_b128 v[14:17], off, off offset:400
	v_add_f64 v[176:177], v[176:177], v[184:185]
	v_add_f64 v[178:179], v[178:179], v[182:183]
	v_fma_f64 v[182:183], v[4:5], v[18:19], v[186:187]
	v_fma_f64 v[184:185], v[2:3], v[18:19], -v[20:21]
	scratch_load_b128 v[18:21], off, off offset:416
	ds_load_b128 v[2:5], v1 offset:912
	s_waitcnt vmcnt(10) lgkmcnt(1)
	v_mul_f64 v[180:181], v[164:165], v[24:25]
	v_mul_f64 v[24:25], v[166:167], v[24:25]
	s_waitcnt vmcnt(9) lgkmcnt(0)
	v_mul_f64 v[186:187], v[2:3], v[28:29]
	v_mul_f64 v[28:29], v[4:5], v[28:29]
	v_add_f64 v[176:177], v[176:177], v[172:173]
	v_add_f64 v[178:179], v[178:179], v[174:175]
	ds_load_b128 v[172:175], v1 offset:928
	v_fma_f64 v[166:167], v[166:167], v[22:23], v[180:181]
	v_fma_f64 v[164:165], v[164:165], v[22:23], -v[24:25]
	scratch_load_b128 v[22:25], off, off offset:432
	v_add_f64 v[176:177], v[176:177], v[184:185]
	v_add_f64 v[178:179], v[178:179], v[182:183]
	v_fma_f64 v[182:183], v[4:5], v[26:27], v[186:187]
	v_fma_f64 v[184:185], v[2:3], v[26:27], -v[28:29]
	scratch_load_b128 v[26:29], off, off offset:448
	ds_load_b128 v[2:5], v1 offset:944
	s_waitcnt vmcnt(10) lgkmcnt(1)
	v_mul_f64 v[180:181], v[172:173], v[32:33]
	v_mul_f64 v[32:33], v[174:175], v[32:33]
	s_waitcnt vmcnt(9) lgkmcnt(0)
	v_mul_f64 v[186:187], v[2:3], v[36:37]
	v_mul_f64 v[36:37], v[4:5], v[36:37]
	v_add_f64 v[176:177], v[176:177], v[164:165]
	v_add_f64 v[178:179], v[178:179], v[166:167]
	ds_load_b128 v[164:167], v1 offset:960
	v_fma_f64 v[174:175], v[174:175], v[30:31], v[180:181]
	v_fma_f64 v[172:173], v[172:173], v[30:31], -v[32:33]
	scratch_load_b128 v[30:33], off, off offset:464
	v_add_f64 v[176:177], v[176:177], v[184:185]
	v_add_f64 v[178:179], v[178:179], v[182:183]
	v_fma_f64 v[184:185], v[4:5], v[34:35], v[186:187]
	v_fma_f64 v[186:187], v[2:3], v[34:35], -v[36:37]
	scratch_load_b128 v[34:37], off, off offset:480
	ds_load_b128 v[2:5], v1 offset:976
	s_waitcnt vmcnt(9) lgkmcnt(1)
	v_mul_f64 v[180:181], v[164:165], v[170:171]
	v_mul_f64 v[182:183], v[166:167], v[170:171]
	v_add_f64 v[176:177], v[176:177], v[172:173]
	v_add_f64 v[174:175], v[178:179], v[174:175]
	ds_load_b128 v[170:173], v1 offset:992
	v_fma_f64 v[180:181], v[166:167], v[168:169], v[180:181]
	v_fma_f64 v[168:169], v[164:165], v[168:169], -v[182:183]
	scratch_load_b128 v[164:167], off, off offset:496
	s_waitcnt vmcnt(9) lgkmcnt(1)
	v_mul_f64 v[178:179], v[2:3], v[40:41]
	v_mul_f64 v[40:41], v[4:5], v[40:41]
	v_add_f64 v[176:177], v[176:177], v[186:187]
	v_add_f64 v[174:175], v[174:175], v[184:185]
	s_delay_alu instid0(VALU_DEP_4) | instskip(NEXT) | instid1(VALU_DEP_4)
	v_fma_f64 v[178:179], v[4:5], v[38:39], v[178:179]
	v_fma_f64 v[184:185], v[2:3], v[38:39], -v[40:41]
	scratch_load_b128 v[38:41], off, off offset:512
	ds_load_b128 v[2:5], v1 offset:1008
	s_waitcnt vmcnt(9) lgkmcnt(1)
	v_mul_f64 v[182:183], v[170:171], v[8:9]
	v_mul_f64 v[8:9], v[172:173], v[8:9]
	s_waitcnt vmcnt(8) lgkmcnt(0)
	v_mul_f64 v[186:187], v[2:3], v[12:13]
	v_mul_f64 v[12:13], v[4:5], v[12:13]
	v_add_f64 v[168:169], v[176:177], v[168:169]
	v_add_f64 v[180:181], v[174:175], v[180:181]
	ds_load_b128 v[174:177], v1 offset:1024
	v_fma_f64 v[172:173], v[172:173], v[6:7], v[182:183]
	v_fma_f64 v[170:171], v[170:171], v[6:7], -v[8:9]
	scratch_load_b128 v[6:9], off, off offset:528
	v_fma_f64 v[182:183], v[4:5], v[10:11], v[186:187]
	v_add_f64 v[168:169], v[168:169], v[184:185]
	v_add_f64 v[178:179], v[180:181], v[178:179]
	v_fma_f64 v[184:185], v[2:3], v[10:11], -v[12:13]
	scratch_load_b128 v[10:13], off, off offset:544
	ds_load_b128 v[2:5], v1 offset:1040
	s_waitcnt vmcnt(9) lgkmcnt(1)
	v_mul_f64 v[180:181], v[174:175], v[16:17]
	v_mul_f64 v[16:17], v[176:177], v[16:17]
	v_add_f64 v[186:187], v[168:169], v[170:171]
	v_add_f64 v[172:173], v[178:179], v[172:173]
	s_waitcnt vmcnt(8) lgkmcnt(0)
	v_mul_f64 v[178:179], v[2:3], v[20:21]
	v_mul_f64 v[20:21], v[4:5], v[20:21]
	ds_load_b128 v[168:171], v1 offset:1056
	v_fma_f64 v[176:177], v[176:177], v[14:15], v[180:181]
	v_fma_f64 v[174:175], v[174:175], v[14:15], -v[16:17]
	scratch_load_b128 v[14:17], off, off offset:560
	v_add_f64 v[180:181], v[186:187], v[184:185]
	v_add_f64 v[172:173], v[172:173], v[182:183]
	v_fma_f64 v[178:179], v[4:5], v[18:19], v[178:179]
	v_fma_f64 v[184:185], v[2:3], v[18:19], -v[20:21]
	scratch_load_b128 v[18:21], off, off offset:576
	ds_load_b128 v[2:5], v1 offset:1072
	s_waitcnt vmcnt(9) lgkmcnt(1)
	v_mul_f64 v[182:183], v[168:169], v[24:25]
	v_mul_f64 v[24:25], v[170:171], v[24:25]
	s_waitcnt vmcnt(8) lgkmcnt(0)
	v_mul_f64 v[186:187], v[2:3], v[28:29]
	v_mul_f64 v[28:29], v[4:5], v[28:29]
	v_add_f64 v[180:181], v[180:181], v[174:175]
	v_add_f64 v[176:177], v[172:173], v[176:177]
	ds_load_b128 v[172:175], v1 offset:1088
	v_fma_f64 v[170:171], v[170:171], v[22:23], v[182:183]
	v_fma_f64 v[168:169], v[168:169], v[22:23], -v[24:25]
	scratch_load_b128 v[22:25], off, off offset:592
	v_fma_f64 v[182:183], v[4:5], v[26:27], v[186:187]
	v_add_f64 v[180:181], v[180:181], v[184:185]
	v_add_f64 v[176:177], v[176:177], v[178:179]
	v_fma_f64 v[184:185], v[2:3], v[26:27], -v[28:29]
	scratch_load_b128 v[26:29], off, off offset:608
	ds_load_b128 v[2:5], v1 offset:1104
	s_waitcnt vmcnt(9) lgkmcnt(1)
	v_mul_f64 v[178:179], v[172:173], v[32:33]
	v_mul_f64 v[32:33], v[174:175], v[32:33]
	s_waitcnt vmcnt(8) lgkmcnt(0)
	v_mul_f64 v[186:187], v[2:3], v[36:37]
	v_mul_f64 v[36:37], v[4:5], v[36:37]
	v_add_f64 v[180:181], v[180:181], v[168:169]
	v_add_f64 v[176:177], v[176:177], v[170:171]
	ds_load_b128 v[168:171], v1 offset:1120
	v_fma_f64 v[174:175], v[174:175], v[30:31], v[178:179]
	v_fma_f64 v[30:31], v[172:173], v[30:31], -v[32:33]
	v_fma_f64 v[178:179], v[4:5], v[34:35], v[186:187]
	v_fma_f64 v[34:35], v[2:3], v[34:35], -v[36:37]
	v_add_f64 v[32:33], v[180:181], v[184:185]
	v_add_f64 v[172:173], v[176:177], v[182:183]
	s_waitcnt vmcnt(7) lgkmcnt(0)
	v_mul_f64 v[176:177], v[168:169], v[166:167]
	v_mul_f64 v[166:167], v[170:171], v[166:167]
	s_delay_alu instid0(VALU_DEP_4) | instskip(NEXT) | instid1(VALU_DEP_4)
	v_add_f64 v[36:37], v[32:33], v[30:31]
	v_add_f64 v[172:173], v[172:173], v[174:175]
	ds_load_b128 v[2:5], v1 offset:1136
	ds_load_b128 v[30:33], v1 offset:1152
	v_fma_f64 v[170:171], v[170:171], v[164:165], v[176:177]
	v_fma_f64 v[164:165], v[168:169], v[164:165], -v[166:167]
	s_waitcnt vmcnt(6) lgkmcnt(1)
	v_mul_f64 v[174:175], v[2:3], v[40:41]
	v_mul_f64 v[40:41], v[4:5], v[40:41]
	s_waitcnt vmcnt(5) lgkmcnt(0)
	v_mul_f64 v[166:167], v[30:31], v[8:9]
	v_mul_f64 v[8:9], v[32:33], v[8:9]
	v_add_f64 v[34:35], v[36:37], v[34:35]
	v_add_f64 v[36:37], v[172:173], v[178:179]
	v_fma_f64 v[168:169], v[4:5], v[38:39], v[174:175]
	v_fma_f64 v[38:39], v[2:3], v[38:39], -v[40:41]
	v_fma_f64 v[32:33], v[32:33], v[6:7], v[166:167]
	v_fma_f64 v[6:7], v[30:31], v[6:7], -v[8:9]
	v_add_f64 v[40:41], v[34:35], v[164:165]
	v_add_f64 v[164:165], v[36:37], v[170:171]
	ds_load_b128 v[2:5], v1 offset:1168
	ds_load_b128 v[34:37], v1 offset:1184
	s_waitcnt vmcnt(4) lgkmcnt(1)
	v_mul_f64 v[170:171], v[2:3], v[12:13]
	v_mul_f64 v[12:13], v[4:5], v[12:13]
	v_add_f64 v[8:9], v[40:41], v[38:39]
	v_add_f64 v[30:31], v[164:165], v[168:169]
	s_waitcnt vmcnt(3) lgkmcnt(0)
	v_mul_f64 v[38:39], v[34:35], v[16:17]
	v_mul_f64 v[16:17], v[36:37], v[16:17]
	v_fma_f64 v[40:41], v[4:5], v[10:11], v[170:171]
	v_fma_f64 v[10:11], v[2:3], v[10:11], -v[12:13]
	v_add_f64 v[12:13], v[8:9], v[6:7]
	v_add_f64 v[30:31], v[30:31], v[32:33]
	ds_load_b128 v[2:5], v1 offset:1200
	ds_load_b128 v[6:9], v1 offset:1216
	v_fma_f64 v[36:37], v[36:37], v[14:15], v[38:39]
	v_fma_f64 v[14:15], v[34:35], v[14:15], -v[16:17]
	s_waitcnt vmcnt(2) lgkmcnt(1)
	v_mul_f64 v[32:33], v[2:3], v[20:21]
	v_mul_f64 v[20:21], v[4:5], v[20:21]
	s_waitcnt vmcnt(1) lgkmcnt(0)
	v_mul_f64 v[16:17], v[6:7], v[24:25]
	v_mul_f64 v[24:25], v[8:9], v[24:25]
	v_add_f64 v[10:11], v[12:13], v[10:11]
	v_add_f64 v[12:13], v[30:31], v[40:41]
	v_fma_f64 v[30:31], v[4:5], v[18:19], v[32:33]
	v_fma_f64 v[18:19], v[2:3], v[18:19], -v[20:21]
	ds_load_b128 v[2:5], v1 offset:1232
	v_fma_f64 v[8:9], v[8:9], v[22:23], v[16:17]
	v_fma_f64 v[6:7], v[6:7], v[22:23], -v[24:25]
	v_add_f64 v[10:11], v[10:11], v[14:15]
	v_add_f64 v[12:13], v[12:13], v[36:37]
	s_waitcnt vmcnt(0) lgkmcnt(0)
	v_mul_f64 v[14:15], v[2:3], v[28:29]
	v_mul_f64 v[20:21], v[4:5], v[28:29]
	s_delay_alu instid0(VALU_DEP_4) | instskip(NEXT) | instid1(VALU_DEP_4)
	v_add_f64 v[10:11], v[10:11], v[18:19]
	v_add_f64 v[12:13], v[12:13], v[30:31]
	s_delay_alu instid0(VALU_DEP_4) | instskip(NEXT) | instid1(VALU_DEP_4)
	v_fma_f64 v[4:5], v[4:5], v[26:27], v[14:15]
	v_fma_f64 v[2:3], v[2:3], v[26:27], -v[20:21]
	s_delay_alu instid0(VALU_DEP_4) | instskip(NEXT) | instid1(VALU_DEP_4)
	v_add_f64 v[6:7], v[10:11], v[6:7]
	v_add_f64 v[8:9], v[12:13], v[8:9]
	s_delay_alu instid0(VALU_DEP_2) | instskip(NEXT) | instid1(VALU_DEP_2)
	v_add_f64 v[2:3], v[6:7], v[2:3]
	v_add_f64 v[4:5], v[8:9], v[4:5]
	s_delay_alu instid0(VALU_DEP_2) | instskip(NEXT) | instid1(VALU_DEP_2)
	v_add_f64 v[2:3], v[42:43], -v[2:3]
	v_add_f64 v[4:5], v[44:45], -v[4:5]
	scratch_store_b128 off, v[2:5], off offset:176
	v_cmpx_lt_u32_e32 10, v124
	s_cbranch_execz .LBB38_227
; %bb.226:
	scratch_load_b128 v[5:8], v155, off
	v_mov_b32_e32 v2, v1
	v_mov_b32_e32 v3, v1
	;; [unrolled: 1-line block ×3, first 2 shown]
	scratch_store_b128 off, v[1:4], off offset:160
	s_waitcnt vmcnt(0)
	ds_store_b128 v163, v[5:8]
.LBB38_227:
	s_or_b32 exec_lo, exec_lo, s2
	s_waitcnt lgkmcnt(0)
	s_waitcnt_vscnt null, 0x0
	s_barrier
	buffer_gl0_inv
	s_clause 0x8
	scratch_load_b128 v[2:5], off, off offset:176
	scratch_load_b128 v[6:9], off, off offset:192
	;; [unrolled: 1-line block ×9, first 2 shown]
	ds_load_b128 v[42:45], v1 offset:800
	ds_load_b128 v[38:41], v1 offset:816
	s_clause 0x1
	scratch_load_b128 v[164:167], off, off offset:160
	scratch_load_b128 v[168:171], off, off offset:320
	s_mov_b32 s2, exec_lo
	s_waitcnt vmcnt(10) lgkmcnt(1)
	v_mul_f64 v[172:173], v[44:45], v[4:5]
	v_mul_f64 v[4:5], v[42:43], v[4:5]
	s_waitcnt vmcnt(9) lgkmcnt(0)
	v_mul_f64 v[176:177], v[38:39], v[8:9]
	v_mul_f64 v[8:9], v[40:41], v[8:9]
	s_delay_alu instid0(VALU_DEP_4) | instskip(NEXT) | instid1(VALU_DEP_4)
	v_fma_f64 v[178:179], v[42:43], v[2:3], -v[172:173]
	v_fma_f64 v[180:181], v[44:45], v[2:3], v[4:5]
	ds_load_b128 v[2:5], v1 offset:832
	ds_load_b128 v[172:175], v1 offset:848
	scratch_load_b128 v[42:45], off, off offset:336
	v_fma_f64 v[40:41], v[40:41], v[6:7], v[176:177]
	v_fma_f64 v[38:39], v[38:39], v[6:7], -v[8:9]
	scratch_load_b128 v[6:9], off, off offset:352
	s_waitcnt vmcnt(10) lgkmcnt(1)
	v_mul_f64 v[182:183], v[2:3], v[12:13]
	v_mul_f64 v[12:13], v[4:5], v[12:13]
	v_add_f64 v[176:177], v[178:179], 0
	v_add_f64 v[178:179], v[180:181], 0
	s_waitcnt vmcnt(9) lgkmcnt(0)
	v_mul_f64 v[180:181], v[172:173], v[16:17]
	v_mul_f64 v[16:17], v[174:175], v[16:17]
	v_fma_f64 v[182:183], v[4:5], v[10:11], v[182:183]
	v_fma_f64 v[184:185], v[2:3], v[10:11], -v[12:13]
	ds_load_b128 v[2:5], v1 offset:864
	scratch_load_b128 v[10:13], off, off offset:368
	v_add_f64 v[176:177], v[176:177], v[38:39]
	v_add_f64 v[178:179], v[178:179], v[40:41]
	ds_load_b128 v[38:41], v1 offset:880
	v_fma_f64 v[174:175], v[174:175], v[14:15], v[180:181]
	v_fma_f64 v[172:173], v[172:173], v[14:15], -v[16:17]
	scratch_load_b128 v[14:17], off, off offset:384
	s_waitcnt vmcnt(10) lgkmcnt(1)
	v_mul_f64 v[186:187], v[2:3], v[20:21]
	v_mul_f64 v[20:21], v[4:5], v[20:21]
	s_waitcnt vmcnt(9) lgkmcnt(0)
	v_mul_f64 v[180:181], v[38:39], v[24:25]
	v_mul_f64 v[24:25], v[40:41], v[24:25]
	v_add_f64 v[176:177], v[176:177], v[184:185]
	v_add_f64 v[178:179], v[178:179], v[182:183]
	v_fma_f64 v[182:183], v[4:5], v[18:19], v[186:187]
	v_fma_f64 v[184:185], v[2:3], v[18:19], -v[20:21]
	ds_load_b128 v[2:5], v1 offset:896
	scratch_load_b128 v[18:21], off, off offset:400
	v_fma_f64 v[40:41], v[40:41], v[22:23], v[180:181]
	v_fma_f64 v[38:39], v[38:39], v[22:23], -v[24:25]
	scratch_load_b128 v[22:25], off, off offset:416
	v_add_f64 v[176:177], v[176:177], v[172:173]
	v_add_f64 v[178:179], v[178:179], v[174:175]
	ds_load_b128 v[172:175], v1 offset:912
	s_waitcnt vmcnt(10) lgkmcnt(1)
	v_mul_f64 v[186:187], v[2:3], v[28:29]
	v_mul_f64 v[28:29], v[4:5], v[28:29]
	s_waitcnt vmcnt(9) lgkmcnt(0)
	v_mul_f64 v[180:181], v[172:173], v[32:33]
	v_mul_f64 v[32:33], v[174:175], v[32:33]
	v_add_f64 v[176:177], v[176:177], v[184:185]
	v_add_f64 v[178:179], v[178:179], v[182:183]
	v_fma_f64 v[182:183], v[4:5], v[26:27], v[186:187]
	v_fma_f64 v[184:185], v[2:3], v[26:27], -v[28:29]
	ds_load_b128 v[2:5], v1 offset:928
	scratch_load_b128 v[26:29], off, off offset:432
	v_fma_f64 v[174:175], v[174:175], v[30:31], v[180:181]
	v_fma_f64 v[172:173], v[172:173], v[30:31], -v[32:33]
	scratch_load_b128 v[30:33], off, off offset:448
	v_add_f64 v[176:177], v[176:177], v[38:39]
	v_add_f64 v[178:179], v[178:179], v[40:41]
	ds_load_b128 v[38:41], v1 offset:944
	s_waitcnt vmcnt(10) lgkmcnt(1)
	v_mul_f64 v[186:187], v[2:3], v[36:37]
	v_mul_f64 v[36:37], v[4:5], v[36:37]
	s_waitcnt vmcnt(8) lgkmcnt(0)
	v_mul_f64 v[180:181], v[38:39], v[170:171]
	v_add_f64 v[176:177], v[176:177], v[184:185]
	v_add_f64 v[178:179], v[178:179], v[182:183]
	v_mul_f64 v[182:183], v[40:41], v[170:171]
	v_fma_f64 v[184:185], v[4:5], v[34:35], v[186:187]
	v_fma_f64 v[186:187], v[2:3], v[34:35], -v[36:37]
	ds_load_b128 v[2:5], v1 offset:960
	scratch_load_b128 v[34:37], off, off offset:464
	v_fma_f64 v[180:181], v[40:41], v[168:169], v[180:181]
	v_add_f64 v[176:177], v[176:177], v[172:173]
	v_add_f64 v[174:175], v[178:179], v[174:175]
	ds_load_b128 v[170:173], v1 offset:976
	v_fma_f64 v[168:169], v[38:39], v[168:169], -v[182:183]
	scratch_load_b128 v[38:41], off, off offset:480
	s_waitcnt vmcnt(9) lgkmcnt(1)
	v_mul_f64 v[178:179], v[2:3], v[44:45]
	v_mul_f64 v[44:45], v[4:5], v[44:45]
	s_waitcnt vmcnt(8) lgkmcnt(0)
	v_mul_f64 v[182:183], v[170:171], v[8:9]
	v_mul_f64 v[8:9], v[172:173], v[8:9]
	v_add_f64 v[176:177], v[176:177], v[186:187]
	v_add_f64 v[174:175], v[174:175], v[184:185]
	v_fma_f64 v[178:179], v[4:5], v[42:43], v[178:179]
	v_fma_f64 v[184:185], v[2:3], v[42:43], -v[44:45]
	ds_load_b128 v[2:5], v1 offset:992
	scratch_load_b128 v[42:45], off, off offset:496
	v_fma_f64 v[172:173], v[172:173], v[6:7], v[182:183]
	v_fma_f64 v[170:171], v[170:171], v[6:7], -v[8:9]
	scratch_load_b128 v[6:9], off, off offset:512
	v_add_f64 v[168:169], v[176:177], v[168:169]
	v_add_f64 v[180:181], v[174:175], v[180:181]
	ds_load_b128 v[174:177], v1 offset:1008
	s_waitcnt vmcnt(9) lgkmcnt(1)
	v_mul_f64 v[186:187], v[2:3], v[12:13]
	v_mul_f64 v[12:13], v[4:5], v[12:13]
	v_add_f64 v[168:169], v[168:169], v[184:185]
	v_add_f64 v[178:179], v[180:181], v[178:179]
	s_waitcnt vmcnt(8) lgkmcnt(0)
	v_mul_f64 v[180:181], v[174:175], v[16:17]
	v_mul_f64 v[16:17], v[176:177], v[16:17]
	v_fma_f64 v[182:183], v[4:5], v[10:11], v[186:187]
	v_fma_f64 v[184:185], v[2:3], v[10:11], -v[12:13]
	ds_load_b128 v[2:5], v1 offset:1024
	scratch_load_b128 v[10:13], off, off offset:528
	v_add_f64 v[186:187], v[168:169], v[170:171]
	v_add_f64 v[172:173], v[178:179], v[172:173]
	ds_load_b128 v[168:171], v1 offset:1040
	s_waitcnt vmcnt(8) lgkmcnt(1)
	v_mul_f64 v[178:179], v[2:3], v[20:21]
	v_mul_f64 v[20:21], v[4:5], v[20:21]
	v_fma_f64 v[176:177], v[176:177], v[14:15], v[180:181]
	v_fma_f64 v[174:175], v[174:175], v[14:15], -v[16:17]
	scratch_load_b128 v[14:17], off, off offset:544
	v_add_f64 v[180:181], v[186:187], v[184:185]
	v_add_f64 v[172:173], v[172:173], v[182:183]
	s_waitcnt vmcnt(8) lgkmcnt(0)
	v_mul_f64 v[182:183], v[168:169], v[24:25]
	v_mul_f64 v[24:25], v[170:171], v[24:25]
	v_fma_f64 v[178:179], v[4:5], v[18:19], v[178:179]
	v_fma_f64 v[184:185], v[2:3], v[18:19], -v[20:21]
	ds_load_b128 v[2:5], v1 offset:1056
	scratch_load_b128 v[18:21], off, off offset:560
	v_add_f64 v[180:181], v[180:181], v[174:175]
	v_add_f64 v[176:177], v[172:173], v[176:177]
	ds_load_b128 v[172:175], v1 offset:1072
	s_waitcnt vmcnt(8) lgkmcnt(1)
	v_mul_f64 v[186:187], v[2:3], v[28:29]
	v_mul_f64 v[28:29], v[4:5], v[28:29]
	v_fma_f64 v[170:171], v[170:171], v[22:23], v[182:183]
	v_fma_f64 v[168:169], v[168:169], v[22:23], -v[24:25]
	scratch_load_b128 v[22:25], off, off offset:576
	;; [unrolled: 18-line block ×3, first 2 shown]
	v_add_f64 v[178:179], v[180:181], v[184:185]
	v_add_f64 v[176:177], v[176:177], v[182:183]
	s_waitcnt vmcnt(8) lgkmcnt(0)
	v_mul_f64 v[180:181], v[168:169], v[40:41]
	v_mul_f64 v[40:41], v[170:171], v[40:41]
	v_fma_f64 v[182:183], v[4:5], v[34:35], v[186:187]
	v_fma_f64 v[184:185], v[2:3], v[34:35], -v[36:37]
	ds_load_b128 v[2:5], v1 offset:1120
	ds_load_b128 v[34:37], v1 offset:1136
	v_add_f64 v[172:173], v[178:179], v[172:173]
	v_add_f64 v[174:175], v[176:177], v[174:175]
	s_waitcnt vmcnt(7) lgkmcnt(1)
	v_mul_f64 v[176:177], v[2:3], v[44:45]
	v_mul_f64 v[44:45], v[4:5], v[44:45]
	v_fma_f64 v[170:171], v[170:171], v[38:39], v[180:181]
	v_fma_f64 v[38:39], v[168:169], v[38:39], -v[40:41]
	v_add_f64 v[40:41], v[172:173], v[184:185]
	v_add_f64 v[168:169], v[174:175], v[182:183]
	s_waitcnt vmcnt(6) lgkmcnt(0)
	v_mul_f64 v[172:173], v[34:35], v[8:9]
	v_mul_f64 v[8:9], v[36:37], v[8:9]
	v_fma_f64 v[174:175], v[4:5], v[42:43], v[176:177]
	v_fma_f64 v[42:43], v[2:3], v[42:43], -v[44:45]
	v_add_f64 v[44:45], v[40:41], v[38:39]
	v_add_f64 v[168:169], v[168:169], v[170:171]
	ds_load_b128 v[2:5], v1 offset:1152
	ds_load_b128 v[38:41], v1 offset:1168
	v_fma_f64 v[36:37], v[36:37], v[6:7], v[172:173]
	v_fma_f64 v[6:7], v[34:35], v[6:7], -v[8:9]
	s_waitcnt vmcnt(5) lgkmcnt(1)
	v_mul_f64 v[170:171], v[2:3], v[12:13]
	v_mul_f64 v[12:13], v[4:5], v[12:13]
	v_add_f64 v[8:9], v[44:45], v[42:43]
	v_add_f64 v[34:35], v[168:169], v[174:175]
	s_waitcnt vmcnt(4) lgkmcnt(0)
	v_mul_f64 v[42:43], v[38:39], v[16:17]
	v_mul_f64 v[16:17], v[40:41], v[16:17]
	v_fma_f64 v[44:45], v[4:5], v[10:11], v[170:171]
	v_fma_f64 v[10:11], v[2:3], v[10:11], -v[12:13]
	v_add_f64 v[12:13], v[8:9], v[6:7]
	v_add_f64 v[34:35], v[34:35], v[36:37]
	ds_load_b128 v[2:5], v1 offset:1184
	ds_load_b128 v[6:9], v1 offset:1200
	v_fma_f64 v[40:41], v[40:41], v[14:15], v[42:43]
	v_fma_f64 v[14:15], v[38:39], v[14:15], -v[16:17]
	s_waitcnt vmcnt(3) lgkmcnt(1)
	v_mul_f64 v[36:37], v[2:3], v[20:21]
	v_mul_f64 v[20:21], v[4:5], v[20:21]
	s_waitcnt vmcnt(2) lgkmcnt(0)
	v_mul_f64 v[16:17], v[6:7], v[24:25]
	v_mul_f64 v[24:25], v[8:9], v[24:25]
	v_add_f64 v[10:11], v[12:13], v[10:11]
	v_add_f64 v[12:13], v[34:35], v[44:45]
	v_fma_f64 v[34:35], v[4:5], v[18:19], v[36:37]
	v_fma_f64 v[18:19], v[2:3], v[18:19], -v[20:21]
	v_fma_f64 v[8:9], v[8:9], v[22:23], v[16:17]
	v_fma_f64 v[6:7], v[6:7], v[22:23], -v[24:25]
	v_add_f64 v[14:15], v[10:11], v[14:15]
	v_add_f64 v[20:21], v[12:13], v[40:41]
	ds_load_b128 v[2:5], v1 offset:1216
	ds_load_b128 v[10:13], v1 offset:1232
	s_waitcnt vmcnt(1) lgkmcnt(1)
	v_mul_f64 v[36:37], v[2:3], v[28:29]
	v_mul_f64 v[28:29], v[4:5], v[28:29]
	v_add_f64 v[14:15], v[14:15], v[18:19]
	v_add_f64 v[16:17], v[20:21], v[34:35]
	s_waitcnt vmcnt(0) lgkmcnt(0)
	v_mul_f64 v[18:19], v[10:11], v[32:33]
	v_mul_f64 v[20:21], v[12:13], v[32:33]
	v_fma_f64 v[4:5], v[4:5], v[26:27], v[36:37]
	v_fma_f64 v[1:2], v[2:3], v[26:27], -v[28:29]
	v_add_f64 v[6:7], v[14:15], v[6:7]
	v_add_f64 v[8:9], v[16:17], v[8:9]
	v_fma_f64 v[12:13], v[12:13], v[30:31], v[18:19]
	v_fma_f64 v[10:11], v[10:11], v[30:31], -v[20:21]
	s_delay_alu instid0(VALU_DEP_4) | instskip(NEXT) | instid1(VALU_DEP_4)
	v_add_f64 v[1:2], v[6:7], v[1:2]
	v_add_f64 v[3:4], v[8:9], v[4:5]
	s_delay_alu instid0(VALU_DEP_2) | instskip(NEXT) | instid1(VALU_DEP_2)
	v_add_f64 v[1:2], v[1:2], v[10:11]
	v_add_f64 v[3:4], v[3:4], v[12:13]
	s_delay_alu instid0(VALU_DEP_2) | instskip(NEXT) | instid1(VALU_DEP_2)
	v_add_f64 v[1:2], v[164:165], -v[1:2]
	v_add_f64 v[3:4], v[166:167], -v[3:4]
	scratch_store_b128 off, v[1:4], off offset:160
	v_cmpx_lt_u32_e32 9, v124
	s_cbranch_execz .LBB38_229
; %bb.228:
	scratch_load_b128 v[1:4], v158, off
	v_mov_b32_e32 v5, 0
	s_delay_alu instid0(VALU_DEP_1)
	v_mov_b32_e32 v6, v5
	v_mov_b32_e32 v7, v5
	;; [unrolled: 1-line block ×3, first 2 shown]
	scratch_store_b128 off, v[5:8], off offset:144
	s_waitcnt vmcnt(0)
	ds_store_b128 v163, v[1:4]
.LBB38_229:
	s_or_b32 exec_lo, exec_lo, s2
	s_waitcnt lgkmcnt(0)
	s_waitcnt_vscnt null, 0x0
	s_barrier
	buffer_gl0_inv
	s_clause 0x7
	scratch_load_b128 v[2:5], off, off offset:160
	scratch_load_b128 v[6:9], off, off offset:176
	;; [unrolled: 1-line block ×8, first 2 shown]
	v_mov_b32_e32 v1, 0
	s_mov_b32 s2, exec_lo
	ds_load_b128 v[38:41], v1 offset:784
	s_clause 0x1
	scratch_load_b128 v[34:37], off, off offset:288
	scratch_load_b128 v[42:45], off, off offset:144
	ds_load_b128 v[164:167], v1 offset:800
	scratch_load_b128 v[168:171], off, off offset:304
	s_waitcnt vmcnt(10) lgkmcnt(1)
	v_mul_f64 v[172:173], v[40:41], v[4:5]
	v_mul_f64 v[4:5], v[38:39], v[4:5]
	s_delay_alu instid0(VALU_DEP_2) | instskip(NEXT) | instid1(VALU_DEP_2)
	v_fma_f64 v[178:179], v[38:39], v[2:3], -v[172:173]
	v_fma_f64 v[180:181], v[40:41], v[2:3], v[4:5]
	scratch_load_b128 v[38:41], off, off offset:320
	ds_load_b128 v[2:5], v1 offset:816
	s_waitcnt vmcnt(10) lgkmcnt(1)
	v_mul_f64 v[176:177], v[164:165], v[8:9]
	v_mul_f64 v[8:9], v[166:167], v[8:9]
	ds_load_b128 v[172:175], v1 offset:832
	s_waitcnt vmcnt(9) lgkmcnt(1)
	v_mul_f64 v[182:183], v[2:3], v[12:13]
	v_mul_f64 v[12:13], v[4:5], v[12:13]
	v_fma_f64 v[166:167], v[166:167], v[6:7], v[176:177]
	v_fma_f64 v[164:165], v[164:165], v[6:7], -v[8:9]
	v_add_f64 v[176:177], v[178:179], 0
	v_add_f64 v[178:179], v[180:181], 0
	scratch_load_b128 v[6:9], off, off offset:336
	v_fma_f64 v[182:183], v[4:5], v[10:11], v[182:183]
	v_fma_f64 v[184:185], v[2:3], v[10:11], -v[12:13]
	scratch_load_b128 v[10:13], off, off offset:352
	ds_load_b128 v[2:5], v1 offset:848
	s_waitcnt vmcnt(10) lgkmcnt(1)
	v_mul_f64 v[180:181], v[172:173], v[16:17]
	v_mul_f64 v[16:17], v[174:175], v[16:17]
	v_add_f64 v[176:177], v[176:177], v[164:165]
	v_add_f64 v[178:179], v[178:179], v[166:167]
	s_waitcnt vmcnt(9) lgkmcnt(0)
	v_mul_f64 v[186:187], v[2:3], v[20:21]
	v_mul_f64 v[20:21], v[4:5], v[20:21]
	ds_load_b128 v[164:167], v1 offset:864
	v_fma_f64 v[174:175], v[174:175], v[14:15], v[180:181]
	v_fma_f64 v[172:173], v[172:173], v[14:15], -v[16:17]
	scratch_load_b128 v[14:17], off, off offset:368
	v_add_f64 v[176:177], v[176:177], v[184:185]
	v_add_f64 v[178:179], v[178:179], v[182:183]
	v_fma_f64 v[182:183], v[4:5], v[18:19], v[186:187]
	v_fma_f64 v[184:185], v[2:3], v[18:19], -v[20:21]
	scratch_load_b128 v[18:21], off, off offset:384
	ds_load_b128 v[2:5], v1 offset:880
	s_waitcnt vmcnt(10) lgkmcnt(1)
	v_mul_f64 v[180:181], v[164:165], v[24:25]
	v_mul_f64 v[24:25], v[166:167], v[24:25]
	s_waitcnt vmcnt(9) lgkmcnt(0)
	v_mul_f64 v[186:187], v[2:3], v[28:29]
	v_mul_f64 v[28:29], v[4:5], v[28:29]
	v_add_f64 v[176:177], v[176:177], v[172:173]
	v_add_f64 v[178:179], v[178:179], v[174:175]
	ds_load_b128 v[172:175], v1 offset:896
	v_fma_f64 v[166:167], v[166:167], v[22:23], v[180:181]
	v_fma_f64 v[164:165], v[164:165], v[22:23], -v[24:25]
	scratch_load_b128 v[22:25], off, off offset:400
	v_add_f64 v[176:177], v[176:177], v[184:185]
	v_add_f64 v[178:179], v[178:179], v[182:183]
	v_fma_f64 v[182:183], v[4:5], v[26:27], v[186:187]
	v_fma_f64 v[184:185], v[2:3], v[26:27], -v[28:29]
	scratch_load_b128 v[26:29], off, off offset:416
	ds_load_b128 v[2:5], v1 offset:912
	s_waitcnt vmcnt(10) lgkmcnt(1)
	v_mul_f64 v[180:181], v[172:173], v[32:33]
	v_mul_f64 v[32:33], v[174:175], v[32:33]
	s_waitcnt vmcnt(9) lgkmcnt(0)
	v_mul_f64 v[186:187], v[2:3], v[36:37]
	v_mul_f64 v[36:37], v[4:5], v[36:37]
	v_add_f64 v[176:177], v[176:177], v[164:165]
	v_add_f64 v[178:179], v[178:179], v[166:167]
	ds_load_b128 v[164:167], v1 offset:928
	v_fma_f64 v[174:175], v[174:175], v[30:31], v[180:181]
	v_fma_f64 v[172:173], v[172:173], v[30:31], -v[32:33]
	scratch_load_b128 v[30:33], off, off offset:432
	v_add_f64 v[176:177], v[176:177], v[184:185]
	v_add_f64 v[178:179], v[178:179], v[182:183]
	v_fma_f64 v[184:185], v[4:5], v[34:35], v[186:187]
	v_fma_f64 v[186:187], v[2:3], v[34:35], -v[36:37]
	scratch_load_b128 v[34:37], off, off offset:448
	ds_load_b128 v[2:5], v1 offset:944
	s_waitcnt vmcnt(9) lgkmcnt(1)
	v_mul_f64 v[180:181], v[164:165], v[170:171]
	v_mul_f64 v[182:183], v[166:167], v[170:171]
	v_add_f64 v[176:177], v[176:177], v[172:173]
	v_add_f64 v[174:175], v[178:179], v[174:175]
	ds_load_b128 v[170:173], v1 offset:960
	v_fma_f64 v[180:181], v[166:167], v[168:169], v[180:181]
	v_fma_f64 v[168:169], v[164:165], v[168:169], -v[182:183]
	scratch_load_b128 v[164:167], off, off offset:464
	s_waitcnt vmcnt(9) lgkmcnt(1)
	v_mul_f64 v[178:179], v[2:3], v[40:41]
	v_mul_f64 v[40:41], v[4:5], v[40:41]
	v_add_f64 v[176:177], v[176:177], v[186:187]
	v_add_f64 v[174:175], v[174:175], v[184:185]
	s_delay_alu instid0(VALU_DEP_4) | instskip(NEXT) | instid1(VALU_DEP_4)
	v_fma_f64 v[178:179], v[4:5], v[38:39], v[178:179]
	v_fma_f64 v[184:185], v[2:3], v[38:39], -v[40:41]
	scratch_load_b128 v[38:41], off, off offset:480
	ds_load_b128 v[2:5], v1 offset:976
	s_waitcnt vmcnt(9) lgkmcnt(1)
	v_mul_f64 v[182:183], v[170:171], v[8:9]
	v_mul_f64 v[8:9], v[172:173], v[8:9]
	s_waitcnt vmcnt(8) lgkmcnt(0)
	v_mul_f64 v[186:187], v[2:3], v[12:13]
	v_mul_f64 v[12:13], v[4:5], v[12:13]
	v_add_f64 v[168:169], v[176:177], v[168:169]
	v_add_f64 v[180:181], v[174:175], v[180:181]
	ds_load_b128 v[174:177], v1 offset:992
	v_fma_f64 v[172:173], v[172:173], v[6:7], v[182:183]
	v_fma_f64 v[170:171], v[170:171], v[6:7], -v[8:9]
	scratch_load_b128 v[6:9], off, off offset:496
	v_fma_f64 v[182:183], v[4:5], v[10:11], v[186:187]
	v_add_f64 v[168:169], v[168:169], v[184:185]
	v_add_f64 v[178:179], v[180:181], v[178:179]
	v_fma_f64 v[184:185], v[2:3], v[10:11], -v[12:13]
	scratch_load_b128 v[10:13], off, off offset:512
	ds_load_b128 v[2:5], v1 offset:1008
	s_waitcnt vmcnt(9) lgkmcnt(1)
	v_mul_f64 v[180:181], v[174:175], v[16:17]
	v_mul_f64 v[16:17], v[176:177], v[16:17]
	v_add_f64 v[186:187], v[168:169], v[170:171]
	v_add_f64 v[172:173], v[178:179], v[172:173]
	s_waitcnt vmcnt(8) lgkmcnt(0)
	v_mul_f64 v[178:179], v[2:3], v[20:21]
	v_mul_f64 v[20:21], v[4:5], v[20:21]
	ds_load_b128 v[168:171], v1 offset:1024
	v_fma_f64 v[176:177], v[176:177], v[14:15], v[180:181]
	v_fma_f64 v[174:175], v[174:175], v[14:15], -v[16:17]
	scratch_load_b128 v[14:17], off, off offset:528
	v_add_f64 v[180:181], v[186:187], v[184:185]
	v_add_f64 v[172:173], v[172:173], v[182:183]
	v_fma_f64 v[178:179], v[4:5], v[18:19], v[178:179]
	v_fma_f64 v[184:185], v[2:3], v[18:19], -v[20:21]
	scratch_load_b128 v[18:21], off, off offset:544
	ds_load_b128 v[2:5], v1 offset:1040
	s_waitcnt vmcnt(9) lgkmcnt(1)
	v_mul_f64 v[182:183], v[168:169], v[24:25]
	v_mul_f64 v[24:25], v[170:171], v[24:25]
	s_waitcnt vmcnt(8) lgkmcnt(0)
	v_mul_f64 v[186:187], v[2:3], v[28:29]
	v_mul_f64 v[28:29], v[4:5], v[28:29]
	v_add_f64 v[180:181], v[180:181], v[174:175]
	v_add_f64 v[176:177], v[172:173], v[176:177]
	ds_load_b128 v[172:175], v1 offset:1056
	v_fma_f64 v[170:171], v[170:171], v[22:23], v[182:183]
	v_fma_f64 v[168:169], v[168:169], v[22:23], -v[24:25]
	scratch_load_b128 v[22:25], off, off offset:560
	v_fma_f64 v[182:183], v[4:5], v[26:27], v[186:187]
	v_add_f64 v[180:181], v[180:181], v[184:185]
	v_add_f64 v[176:177], v[176:177], v[178:179]
	v_fma_f64 v[184:185], v[2:3], v[26:27], -v[28:29]
	scratch_load_b128 v[26:29], off, off offset:576
	ds_load_b128 v[2:5], v1 offset:1072
	s_waitcnt vmcnt(9) lgkmcnt(1)
	v_mul_f64 v[178:179], v[172:173], v[32:33]
	v_mul_f64 v[32:33], v[174:175], v[32:33]
	s_waitcnt vmcnt(8) lgkmcnt(0)
	v_mul_f64 v[186:187], v[2:3], v[36:37]
	v_mul_f64 v[36:37], v[4:5], v[36:37]
	v_add_f64 v[180:181], v[180:181], v[168:169]
	v_add_f64 v[176:177], v[176:177], v[170:171]
	ds_load_b128 v[168:171], v1 offset:1088
	v_fma_f64 v[174:175], v[174:175], v[30:31], v[178:179]
	v_fma_f64 v[172:173], v[172:173], v[30:31], -v[32:33]
	scratch_load_b128 v[30:33], off, off offset:592
	v_add_f64 v[178:179], v[180:181], v[184:185]
	v_add_f64 v[176:177], v[176:177], v[182:183]
	v_fma_f64 v[182:183], v[4:5], v[34:35], v[186:187]
	v_fma_f64 v[184:185], v[2:3], v[34:35], -v[36:37]
	scratch_load_b128 v[34:37], off, off offset:608
	ds_load_b128 v[2:5], v1 offset:1104
	s_waitcnt vmcnt(9) lgkmcnt(1)
	v_mul_f64 v[180:181], v[168:169], v[166:167]
	v_mul_f64 v[166:167], v[170:171], v[166:167]
	s_waitcnt vmcnt(8) lgkmcnt(0)
	v_mul_f64 v[186:187], v[2:3], v[40:41]
	v_mul_f64 v[40:41], v[4:5], v[40:41]
	v_add_f64 v[178:179], v[178:179], v[172:173]
	v_add_f64 v[176:177], v[176:177], v[174:175]
	ds_load_b128 v[172:175], v1 offset:1120
	v_fma_f64 v[170:171], v[170:171], v[164:165], v[180:181]
	v_fma_f64 v[164:165], v[168:169], v[164:165], -v[166:167]
	v_fma_f64 v[180:181], v[2:3], v[38:39], -v[40:41]
	v_add_f64 v[166:167], v[178:179], v[184:185]
	v_add_f64 v[168:169], v[176:177], v[182:183]
	s_waitcnt vmcnt(7) lgkmcnt(0)
	v_mul_f64 v[176:177], v[172:173], v[8:9]
	v_mul_f64 v[8:9], v[174:175], v[8:9]
	v_fma_f64 v[178:179], v[4:5], v[38:39], v[186:187]
	ds_load_b128 v[2:5], v1 offset:1136
	ds_load_b128 v[38:41], v1 offset:1152
	v_add_f64 v[164:165], v[166:167], v[164:165]
	v_add_f64 v[166:167], v[168:169], v[170:171]
	s_waitcnt vmcnt(6) lgkmcnt(1)
	v_mul_f64 v[168:169], v[2:3], v[12:13]
	v_mul_f64 v[12:13], v[4:5], v[12:13]
	v_fma_f64 v[170:171], v[174:175], v[6:7], v[176:177]
	v_fma_f64 v[6:7], v[172:173], v[6:7], -v[8:9]
	v_add_f64 v[8:9], v[164:165], v[180:181]
	v_add_f64 v[164:165], v[166:167], v[178:179]
	s_waitcnt vmcnt(5) lgkmcnt(0)
	v_mul_f64 v[166:167], v[38:39], v[16:17]
	v_mul_f64 v[16:17], v[40:41], v[16:17]
	v_fma_f64 v[168:169], v[4:5], v[10:11], v[168:169]
	v_fma_f64 v[10:11], v[2:3], v[10:11], -v[12:13]
	v_add_f64 v[12:13], v[8:9], v[6:7]
	v_add_f64 v[164:165], v[164:165], v[170:171]
	ds_load_b128 v[2:5], v1 offset:1168
	ds_load_b128 v[6:9], v1 offset:1184
	v_fma_f64 v[40:41], v[40:41], v[14:15], v[166:167]
	v_fma_f64 v[14:15], v[38:39], v[14:15], -v[16:17]
	s_waitcnt vmcnt(4) lgkmcnt(1)
	v_mul_f64 v[170:171], v[2:3], v[20:21]
	v_mul_f64 v[20:21], v[4:5], v[20:21]
	s_waitcnt vmcnt(3) lgkmcnt(0)
	v_mul_f64 v[16:17], v[6:7], v[24:25]
	v_mul_f64 v[24:25], v[8:9], v[24:25]
	v_add_f64 v[10:11], v[12:13], v[10:11]
	v_add_f64 v[12:13], v[164:165], v[168:169]
	v_fma_f64 v[38:39], v[4:5], v[18:19], v[170:171]
	v_fma_f64 v[18:19], v[2:3], v[18:19], -v[20:21]
	v_fma_f64 v[8:9], v[8:9], v[22:23], v[16:17]
	v_fma_f64 v[6:7], v[6:7], v[22:23], -v[24:25]
	v_add_f64 v[14:15], v[10:11], v[14:15]
	v_add_f64 v[20:21], v[12:13], v[40:41]
	ds_load_b128 v[2:5], v1 offset:1200
	ds_load_b128 v[10:13], v1 offset:1216
	s_waitcnt vmcnt(2) lgkmcnt(1)
	v_mul_f64 v[40:41], v[2:3], v[28:29]
	v_mul_f64 v[28:29], v[4:5], v[28:29]
	v_add_f64 v[14:15], v[14:15], v[18:19]
	v_add_f64 v[16:17], v[20:21], v[38:39]
	s_waitcnt vmcnt(1) lgkmcnt(0)
	v_mul_f64 v[18:19], v[10:11], v[32:33]
	v_mul_f64 v[20:21], v[12:13], v[32:33]
	v_fma_f64 v[22:23], v[4:5], v[26:27], v[40:41]
	v_fma_f64 v[24:25], v[2:3], v[26:27], -v[28:29]
	ds_load_b128 v[2:5], v1 offset:1232
	v_add_f64 v[6:7], v[14:15], v[6:7]
	v_add_f64 v[8:9], v[16:17], v[8:9]
	v_fma_f64 v[12:13], v[12:13], v[30:31], v[18:19]
	v_fma_f64 v[10:11], v[10:11], v[30:31], -v[20:21]
	s_waitcnt vmcnt(0) lgkmcnt(0)
	v_mul_f64 v[14:15], v[2:3], v[36:37]
	v_mul_f64 v[16:17], v[4:5], v[36:37]
	v_add_f64 v[6:7], v[6:7], v[24:25]
	v_add_f64 v[8:9], v[8:9], v[22:23]
	s_delay_alu instid0(VALU_DEP_4) | instskip(NEXT) | instid1(VALU_DEP_4)
	v_fma_f64 v[4:5], v[4:5], v[34:35], v[14:15]
	v_fma_f64 v[2:3], v[2:3], v[34:35], -v[16:17]
	s_delay_alu instid0(VALU_DEP_4) | instskip(NEXT) | instid1(VALU_DEP_4)
	v_add_f64 v[6:7], v[6:7], v[10:11]
	v_add_f64 v[8:9], v[8:9], v[12:13]
	s_delay_alu instid0(VALU_DEP_2) | instskip(NEXT) | instid1(VALU_DEP_2)
	v_add_f64 v[2:3], v[6:7], v[2:3]
	v_add_f64 v[4:5], v[8:9], v[4:5]
	s_delay_alu instid0(VALU_DEP_2) | instskip(NEXT) | instid1(VALU_DEP_2)
	v_add_f64 v[2:3], v[42:43], -v[2:3]
	v_add_f64 v[4:5], v[44:45], -v[4:5]
	scratch_store_b128 off, v[2:5], off offset:144
	v_cmpx_lt_u32_e32 8, v124
	s_cbranch_execz .LBB38_231
; %bb.230:
	scratch_load_b128 v[5:8], v156, off
	v_mov_b32_e32 v2, v1
	v_mov_b32_e32 v3, v1
	;; [unrolled: 1-line block ×3, first 2 shown]
	scratch_store_b128 off, v[1:4], off offset:128
	s_waitcnt vmcnt(0)
	ds_store_b128 v163, v[5:8]
.LBB38_231:
	s_or_b32 exec_lo, exec_lo, s2
	s_waitcnt lgkmcnt(0)
	s_waitcnt_vscnt null, 0x0
	s_barrier
	buffer_gl0_inv
	s_clause 0x8
	scratch_load_b128 v[2:5], off, off offset:144
	scratch_load_b128 v[6:9], off, off offset:160
	;; [unrolled: 1-line block ×9, first 2 shown]
	ds_load_b128 v[42:45], v1 offset:768
	ds_load_b128 v[38:41], v1 offset:784
	s_clause 0x1
	scratch_load_b128 v[164:167], off, off offset:128
	scratch_load_b128 v[168:171], off, off offset:288
	s_mov_b32 s2, exec_lo
	s_waitcnt vmcnt(10) lgkmcnt(1)
	v_mul_f64 v[172:173], v[44:45], v[4:5]
	v_mul_f64 v[4:5], v[42:43], v[4:5]
	s_waitcnt vmcnt(9) lgkmcnt(0)
	v_mul_f64 v[176:177], v[38:39], v[8:9]
	v_mul_f64 v[8:9], v[40:41], v[8:9]
	s_delay_alu instid0(VALU_DEP_4) | instskip(NEXT) | instid1(VALU_DEP_4)
	v_fma_f64 v[178:179], v[42:43], v[2:3], -v[172:173]
	v_fma_f64 v[180:181], v[44:45], v[2:3], v[4:5]
	ds_load_b128 v[2:5], v1 offset:800
	ds_load_b128 v[172:175], v1 offset:816
	scratch_load_b128 v[42:45], off, off offset:304
	v_fma_f64 v[40:41], v[40:41], v[6:7], v[176:177]
	v_fma_f64 v[38:39], v[38:39], v[6:7], -v[8:9]
	scratch_load_b128 v[6:9], off, off offset:320
	s_waitcnt vmcnt(10) lgkmcnt(1)
	v_mul_f64 v[182:183], v[2:3], v[12:13]
	v_mul_f64 v[12:13], v[4:5], v[12:13]
	v_add_f64 v[176:177], v[178:179], 0
	v_add_f64 v[178:179], v[180:181], 0
	s_waitcnt vmcnt(9) lgkmcnt(0)
	v_mul_f64 v[180:181], v[172:173], v[16:17]
	v_mul_f64 v[16:17], v[174:175], v[16:17]
	v_fma_f64 v[182:183], v[4:5], v[10:11], v[182:183]
	v_fma_f64 v[184:185], v[2:3], v[10:11], -v[12:13]
	ds_load_b128 v[2:5], v1 offset:832
	scratch_load_b128 v[10:13], off, off offset:336
	v_add_f64 v[176:177], v[176:177], v[38:39]
	v_add_f64 v[178:179], v[178:179], v[40:41]
	ds_load_b128 v[38:41], v1 offset:848
	v_fma_f64 v[174:175], v[174:175], v[14:15], v[180:181]
	v_fma_f64 v[172:173], v[172:173], v[14:15], -v[16:17]
	scratch_load_b128 v[14:17], off, off offset:352
	s_waitcnt vmcnt(10) lgkmcnt(1)
	v_mul_f64 v[186:187], v[2:3], v[20:21]
	v_mul_f64 v[20:21], v[4:5], v[20:21]
	s_waitcnt vmcnt(9) lgkmcnt(0)
	v_mul_f64 v[180:181], v[38:39], v[24:25]
	v_mul_f64 v[24:25], v[40:41], v[24:25]
	v_add_f64 v[176:177], v[176:177], v[184:185]
	v_add_f64 v[178:179], v[178:179], v[182:183]
	v_fma_f64 v[182:183], v[4:5], v[18:19], v[186:187]
	v_fma_f64 v[184:185], v[2:3], v[18:19], -v[20:21]
	ds_load_b128 v[2:5], v1 offset:864
	scratch_load_b128 v[18:21], off, off offset:368
	v_fma_f64 v[40:41], v[40:41], v[22:23], v[180:181]
	v_fma_f64 v[38:39], v[38:39], v[22:23], -v[24:25]
	scratch_load_b128 v[22:25], off, off offset:384
	v_add_f64 v[176:177], v[176:177], v[172:173]
	v_add_f64 v[178:179], v[178:179], v[174:175]
	ds_load_b128 v[172:175], v1 offset:880
	s_waitcnt vmcnt(10) lgkmcnt(1)
	v_mul_f64 v[186:187], v[2:3], v[28:29]
	v_mul_f64 v[28:29], v[4:5], v[28:29]
	s_waitcnt vmcnt(9) lgkmcnt(0)
	v_mul_f64 v[180:181], v[172:173], v[32:33]
	v_mul_f64 v[32:33], v[174:175], v[32:33]
	v_add_f64 v[176:177], v[176:177], v[184:185]
	v_add_f64 v[178:179], v[178:179], v[182:183]
	v_fma_f64 v[182:183], v[4:5], v[26:27], v[186:187]
	v_fma_f64 v[184:185], v[2:3], v[26:27], -v[28:29]
	ds_load_b128 v[2:5], v1 offset:896
	scratch_load_b128 v[26:29], off, off offset:400
	v_fma_f64 v[174:175], v[174:175], v[30:31], v[180:181]
	v_fma_f64 v[172:173], v[172:173], v[30:31], -v[32:33]
	scratch_load_b128 v[30:33], off, off offset:416
	v_add_f64 v[176:177], v[176:177], v[38:39]
	v_add_f64 v[178:179], v[178:179], v[40:41]
	ds_load_b128 v[38:41], v1 offset:912
	s_waitcnt vmcnt(10) lgkmcnt(1)
	v_mul_f64 v[186:187], v[2:3], v[36:37]
	v_mul_f64 v[36:37], v[4:5], v[36:37]
	s_waitcnt vmcnt(8) lgkmcnt(0)
	v_mul_f64 v[180:181], v[38:39], v[170:171]
	v_add_f64 v[176:177], v[176:177], v[184:185]
	v_add_f64 v[178:179], v[178:179], v[182:183]
	v_mul_f64 v[182:183], v[40:41], v[170:171]
	v_fma_f64 v[184:185], v[4:5], v[34:35], v[186:187]
	v_fma_f64 v[186:187], v[2:3], v[34:35], -v[36:37]
	ds_load_b128 v[2:5], v1 offset:928
	scratch_load_b128 v[34:37], off, off offset:432
	v_fma_f64 v[180:181], v[40:41], v[168:169], v[180:181]
	v_add_f64 v[176:177], v[176:177], v[172:173]
	v_add_f64 v[174:175], v[178:179], v[174:175]
	ds_load_b128 v[170:173], v1 offset:944
	v_fma_f64 v[168:169], v[38:39], v[168:169], -v[182:183]
	scratch_load_b128 v[38:41], off, off offset:448
	s_waitcnt vmcnt(9) lgkmcnt(1)
	v_mul_f64 v[178:179], v[2:3], v[44:45]
	v_mul_f64 v[44:45], v[4:5], v[44:45]
	s_waitcnt vmcnt(8) lgkmcnt(0)
	v_mul_f64 v[182:183], v[170:171], v[8:9]
	v_mul_f64 v[8:9], v[172:173], v[8:9]
	v_add_f64 v[176:177], v[176:177], v[186:187]
	v_add_f64 v[174:175], v[174:175], v[184:185]
	v_fma_f64 v[178:179], v[4:5], v[42:43], v[178:179]
	v_fma_f64 v[184:185], v[2:3], v[42:43], -v[44:45]
	ds_load_b128 v[2:5], v1 offset:960
	scratch_load_b128 v[42:45], off, off offset:464
	v_fma_f64 v[172:173], v[172:173], v[6:7], v[182:183]
	v_fma_f64 v[170:171], v[170:171], v[6:7], -v[8:9]
	scratch_load_b128 v[6:9], off, off offset:480
	v_add_f64 v[168:169], v[176:177], v[168:169]
	v_add_f64 v[180:181], v[174:175], v[180:181]
	ds_load_b128 v[174:177], v1 offset:976
	s_waitcnt vmcnt(9) lgkmcnt(1)
	v_mul_f64 v[186:187], v[2:3], v[12:13]
	v_mul_f64 v[12:13], v[4:5], v[12:13]
	v_add_f64 v[168:169], v[168:169], v[184:185]
	v_add_f64 v[178:179], v[180:181], v[178:179]
	s_waitcnt vmcnt(8) lgkmcnt(0)
	v_mul_f64 v[180:181], v[174:175], v[16:17]
	v_mul_f64 v[16:17], v[176:177], v[16:17]
	v_fma_f64 v[182:183], v[4:5], v[10:11], v[186:187]
	v_fma_f64 v[184:185], v[2:3], v[10:11], -v[12:13]
	ds_load_b128 v[2:5], v1 offset:992
	scratch_load_b128 v[10:13], off, off offset:496
	v_add_f64 v[186:187], v[168:169], v[170:171]
	v_add_f64 v[172:173], v[178:179], v[172:173]
	ds_load_b128 v[168:171], v1 offset:1008
	s_waitcnt vmcnt(8) lgkmcnt(1)
	v_mul_f64 v[178:179], v[2:3], v[20:21]
	v_mul_f64 v[20:21], v[4:5], v[20:21]
	v_fma_f64 v[176:177], v[176:177], v[14:15], v[180:181]
	v_fma_f64 v[174:175], v[174:175], v[14:15], -v[16:17]
	scratch_load_b128 v[14:17], off, off offset:512
	v_add_f64 v[180:181], v[186:187], v[184:185]
	v_add_f64 v[172:173], v[172:173], v[182:183]
	s_waitcnt vmcnt(8) lgkmcnt(0)
	v_mul_f64 v[182:183], v[168:169], v[24:25]
	v_mul_f64 v[24:25], v[170:171], v[24:25]
	v_fma_f64 v[178:179], v[4:5], v[18:19], v[178:179]
	v_fma_f64 v[184:185], v[2:3], v[18:19], -v[20:21]
	ds_load_b128 v[2:5], v1 offset:1024
	scratch_load_b128 v[18:21], off, off offset:528
	v_add_f64 v[180:181], v[180:181], v[174:175]
	v_add_f64 v[176:177], v[172:173], v[176:177]
	ds_load_b128 v[172:175], v1 offset:1040
	s_waitcnt vmcnt(8) lgkmcnt(1)
	v_mul_f64 v[186:187], v[2:3], v[28:29]
	v_mul_f64 v[28:29], v[4:5], v[28:29]
	v_fma_f64 v[170:171], v[170:171], v[22:23], v[182:183]
	v_fma_f64 v[168:169], v[168:169], v[22:23], -v[24:25]
	scratch_load_b128 v[22:25], off, off offset:544
	;; [unrolled: 18-line block ×4, first 2 shown]
	s_waitcnt vmcnt(8) lgkmcnt(0)
	v_mul_f64 v[180:181], v[172:173], v[8:9]
	v_mul_f64 v[8:9], v[174:175], v[8:9]
	v_add_f64 v[178:179], v[178:179], v[184:185]
	v_add_f64 v[176:177], v[176:177], v[182:183]
	v_fma_f64 v[182:183], v[4:5], v[42:43], v[186:187]
	v_fma_f64 v[184:185], v[2:3], v[42:43], -v[44:45]
	ds_load_b128 v[2:5], v1 offset:1120
	ds_load_b128 v[42:45], v1 offset:1136
	v_fma_f64 v[174:175], v[174:175], v[6:7], v[180:181]
	v_fma_f64 v[6:7], v[172:173], v[6:7], -v[8:9]
	v_add_f64 v[168:169], v[178:179], v[168:169]
	v_add_f64 v[170:171], v[176:177], v[170:171]
	s_waitcnt vmcnt(7) lgkmcnt(1)
	v_mul_f64 v[176:177], v[2:3], v[12:13]
	v_mul_f64 v[12:13], v[4:5], v[12:13]
	s_delay_alu instid0(VALU_DEP_4) | instskip(NEXT) | instid1(VALU_DEP_4)
	v_add_f64 v[8:9], v[168:169], v[184:185]
	v_add_f64 v[168:169], v[170:171], v[182:183]
	s_waitcnt vmcnt(6) lgkmcnt(0)
	v_mul_f64 v[170:171], v[42:43], v[16:17]
	v_mul_f64 v[16:17], v[44:45], v[16:17]
	v_fma_f64 v[172:173], v[4:5], v[10:11], v[176:177]
	v_fma_f64 v[10:11], v[2:3], v[10:11], -v[12:13]
	v_add_f64 v[12:13], v[8:9], v[6:7]
	v_add_f64 v[168:169], v[168:169], v[174:175]
	ds_load_b128 v[2:5], v1 offset:1152
	ds_load_b128 v[6:9], v1 offset:1168
	v_fma_f64 v[44:45], v[44:45], v[14:15], v[170:171]
	v_fma_f64 v[14:15], v[42:43], v[14:15], -v[16:17]
	s_waitcnt vmcnt(5) lgkmcnt(1)
	v_mul_f64 v[174:175], v[2:3], v[20:21]
	v_mul_f64 v[20:21], v[4:5], v[20:21]
	s_waitcnt vmcnt(4) lgkmcnt(0)
	v_mul_f64 v[16:17], v[6:7], v[24:25]
	v_mul_f64 v[24:25], v[8:9], v[24:25]
	v_add_f64 v[10:11], v[12:13], v[10:11]
	v_add_f64 v[12:13], v[168:169], v[172:173]
	v_fma_f64 v[42:43], v[4:5], v[18:19], v[174:175]
	v_fma_f64 v[18:19], v[2:3], v[18:19], -v[20:21]
	v_fma_f64 v[8:9], v[8:9], v[22:23], v[16:17]
	v_fma_f64 v[6:7], v[6:7], v[22:23], -v[24:25]
	v_add_f64 v[14:15], v[10:11], v[14:15]
	v_add_f64 v[20:21], v[12:13], v[44:45]
	ds_load_b128 v[2:5], v1 offset:1184
	ds_load_b128 v[10:13], v1 offset:1200
	s_waitcnt vmcnt(3) lgkmcnt(1)
	v_mul_f64 v[44:45], v[2:3], v[28:29]
	v_mul_f64 v[28:29], v[4:5], v[28:29]
	v_add_f64 v[14:15], v[14:15], v[18:19]
	v_add_f64 v[16:17], v[20:21], v[42:43]
	s_waitcnt vmcnt(2) lgkmcnt(0)
	v_mul_f64 v[18:19], v[10:11], v[32:33]
	v_mul_f64 v[20:21], v[12:13], v[32:33]
	v_fma_f64 v[22:23], v[4:5], v[26:27], v[44:45]
	v_fma_f64 v[24:25], v[2:3], v[26:27], -v[28:29]
	v_add_f64 v[14:15], v[14:15], v[6:7]
	v_add_f64 v[16:17], v[16:17], v[8:9]
	ds_load_b128 v[2:5], v1 offset:1216
	ds_load_b128 v[6:9], v1 offset:1232
	v_fma_f64 v[12:13], v[12:13], v[30:31], v[18:19]
	v_fma_f64 v[10:11], v[10:11], v[30:31], -v[20:21]
	s_waitcnt vmcnt(1) lgkmcnt(1)
	v_mul_f64 v[26:27], v[2:3], v[36:37]
	v_mul_f64 v[28:29], v[4:5], v[36:37]
	s_waitcnt vmcnt(0) lgkmcnt(0)
	v_mul_f64 v[18:19], v[6:7], v[40:41]
	v_mul_f64 v[20:21], v[8:9], v[40:41]
	v_add_f64 v[14:15], v[14:15], v[24:25]
	v_add_f64 v[16:17], v[16:17], v[22:23]
	v_fma_f64 v[4:5], v[4:5], v[34:35], v[26:27]
	v_fma_f64 v[1:2], v[2:3], v[34:35], -v[28:29]
	v_fma_f64 v[8:9], v[8:9], v[38:39], v[18:19]
	v_fma_f64 v[6:7], v[6:7], v[38:39], -v[20:21]
	v_add_f64 v[10:11], v[14:15], v[10:11]
	v_add_f64 v[12:13], v[16:17], v[12:13]
	s_delay_alu instid0(VALU_DEP_2) | instskip(NEXT) | instid1(VALU_DEP_2)
	v_add_f64 v[1:2], v[10:11], v[1:2]
	v_add_f64 v[3:4], v[12:13], v[4:5]
	s_delay_alu instid0(VALU_DEP_2) | instskip(NEXT) | instid1(VALU_DEP_2)
	v_add_f64 v[1:2], v[1:2], v[6:7]
	v_add_f64 v[3:4], v[3:4], v[8:9]
	s_delay_alu instid0(VALU_DEP_2) | instskip(NEXT) | instid1(VALU_DEP_2)
	v_add_f64 v[1:2], v[164:165], -v[1:2]
	v_add_f64 v[3:4], v[166:167], -v[3:4]
	scratch_store_b128 off, v[1:4], off offset:128
	v_cmpx_lt_u32_e32 7, v124
	s_cbranch_execz .LBB38_233
; %bb.232:
	scratch_load_b128 v[1:4], v159, off
	v_mov_b32_e32 v5, 0
	s_delay_alu instid0(VALU_DEP_1)
	v_mov_b32_e32 v6, v5
	v_mov_b32_e32 v7, v5
	;; [unrolled: 1-line block ×3, first 2 shown]
	scratch_store_b128 off, v[5:8], off offset:112
	s_waitcnt vmcnt(0)
	ds_store_b128 v163, v[1:4]
.LBB38_233:
	s_or_b32 exec_lo, exec_lo, s2
	s_waitcnt lgkmcnt(0)
	s_waitcnt_vscnt null, 0x0
	s_barrier
	buffer_gl0_inv
	s_clause 0x7
	scratch_load_b128 v[2:5], off, off offset:128
	scratch_load_b128 v[6:9], off, off offset:144
	;; [unrolled: 1-line block ×8, first 2 shown]
	v_mov_b32_e32 v1, 0
	s_mov_b32 s2, exec_lo
	ds_load_b128 v[38:41], v1 offset:752
	s_clause 0x1
	scratch_load_b128 v[34:37], off, off offset:256
	scratch_load_b128 v[42:45], off, off offset:112
	ds_load_b128 v[164:167], v1 offset:768
	scratch_load_b128 v[168:171], off, off offset:272
	s_waitcnt vmcnt(10) lgkmcnt(1)
	v_mul_f64 v[172:173], v[40:41], v[4:5]
	v_mul_f64 v[4:5], v[38:39], v[4:5]
	s_delay_alu instid0(VALU_DEP_2) | instskip(NEXT) | instid1(VALU_DEP_2)
	v_fma_f64 v[178:179], v[38:39], v[2:3], -v[172:173]
	v_fma_f64 v[180:181], v[40:41], v[2:3], v[4:5]
	scratch_load_b128 v[38:41], off, off offset:288
	ds_load_b128 v[2:5], v1 offset:784
	s_waitcnt vmcnt(10) lgkmcnt(1)
	v_mul_f64 v[176:177], v[164:165], v[8:9]
	v_mul_f64 v[8:9], v[166:167], v[8:9]
	ds_load_b128 v[172:175], v1 offset:800
	s_waitcnt vmcnt(9) lgkmcnt(1)
	v_mul_f64 v[182:183], v[2:3], v[12:13]
	v_mul_f64 v[12:13], v[4:5], v[12:13]
	v_fma_f64 v[166:167], v[166:167], v[6:7], v[176:177]
	v_fma_f64 v[164:165], v[164:165], v[6:7], -v[8:9]
	v_add_f64 v[176:177], v[178:179], 0
	v_add_f64 v[178:179], v[180:181], 0
	scratch_load_b128 v[6:9], off, off offset:304
	v_fma_f64 v[182:183], v[4:5], v[10:11], v[182:183]
	v_fma_f64 v[184:185], v[2:3], v[10:11], -v[12:13]
	scratch_load_b128 v[10:13], off, off offset:320
	ds_load_b128 v[2:5], v1 offset:816
	s_waitcnt vmcnt(10) lgkmcnt(1)
	v_mul_f64 v[180:181], v[172:173], v[16:17]
	v_mul_f64 v[16:17], v[174:175], v[16:17]
	v_add_f64 v[176:177], v[176:177], v[164:165]
	v_add_f64 v[178:179], v[178:179], v[166:167]
	s_waitcnt vmcnt(9) lgkmcnt(0)
	v_mul_f64 v[186:187], v[2:3], v[20:21]
	v_mul_f64 v[20:21], v[4:5], v[20:21]
	ds_load_b128 v[164:167], v1 offset:832
	v_fma_f64 v[174:175], v[174:175], v[14:15], v[180:181]
	v_fma_f64 v[172:173], v[172:173], v[14:15], -v[16:17]
	scratch_load_b128 v[14:17], off, off offset:336
	v_add_f64 v[176:177], v[176:177], v[184:185]
	v_add_f64 v[178:179], v[178:179], v[182:183]
	v_fma_f64 v[182:183], v[4:5], v[18:19], v[186:187]
	v_fma_f64 v[184:185], v[2:3], v[18:19], -v[20:21]
	scratch_load_b128 v[18:21], off, off offset:352
	ds_load_b128 v[2:5], v1 offset:848
	s_waitcnt vmcnt(10) lgkmcnt(1)
	v_mul_f64 v[180:181], v[164:165], v[24:25]
	v_mul_f64 v[24:25], v[166:167], v[24:25]
	s_waitcnt vmcnt(9) lgkmcnt(0)
	v_mul_f64 v[186:187], v[2:3], v[28:29]
	v_mul_f64 v[28:29], v[4:5], v[28:29]
	v_add_f64 v[176:177], v[176:177], v[172:173]
	v_add_f64 v[178:179], v[178:179], v[174:175]
	ds_load_b128 v[172:175], v1 offset:864
	v_fma_f64 v[166:167], v[166:167], v[22:23], v[180:181]
	v_fma_f64 v[164:165], v[164:165], v[22:23], -v[24:25]
	scratch_load_b128 v[22:25], off, off offset:368
	v_add_f64 v[176:177], v[176:177], v[184:185]
	v_add_f64 v[178:179], v[178:179], v[182:183]
	v_fma_f64 v[182:183], v[4:5], v[26:27], v[186:187]
	v_fma_f64 v[184:185], v[2:3], v[26:27], -v[28:29]
	scratch_load_b128 v[26:29], off, off offset:384
	ds_load_b128 v[2:5], v1 offset:880
	s_waitcnt vmcnt(10) lgkmcnt(1)
	v_mul_f64 v[180:181], v[172:173], v[32:33]
	v_mul_f64 v[32:33], v[174:175], v[32:33]
	s_waitcnt vmcnt(9) lgkmcnt(0)
	v_mul_f64 v[186:187], v[2:3], v[36:37]
	v_mul_f64 v[36:37], v[4:5], v[36:37]
	v_add_f64 v[176:177], v[176:177], v[164:165]
	v_add_f64 v[178:179], v[178:179], v[166:167]
	ds_load_b128 v[164:167], v1 offset:896
	v_fma_f64 v[174:175], v[174:175], v[30:31], v[180:181]
	v_fma_f64 v[172:173], v[172:173], v[30:31], -v[32:33]
	scratch_load_b128 v[30:33], off, off offset:400
	v_add_f64 v[176:177], v[176:177], v[184:185]
	v_add_f64 v[178:179], v[178:179], v[182:183]
	v_fma_f64 v[184:185], v[4:5], v[34:35], v[186:187]
	v_fma_f64 v[186:187], v[2:3], v[34:35], -v[36:37]
	scratch_load_b128 v[34:37], off, off offset:416
	ds_load_b128 v[2:5], v1 offset:912
	s_waitcnt vmcnt(9) lgkmcnt(1)
	v_mul_f64 v[180:181], v[164:165], v[170:171]
	v_mul_f64 v[182:183], v[166:167], v[170:171]
	v_add_f64 v[176:177], v[176:177], v[172:173]
	v_add_f64 v[174:175], v[178:179], v[174:175]
	ds_load_b128 v[170:173], v1 offset:928
	v_fma_f64 v[180:181], v[166:167], v[168:169], v[180:181]
	v_fma_f64 v[168:169], v[164:165], v[168:169], -v[182:183]
	scratch_load_b128 v[164:167], off, off offset:432
	s_waitcnt vmcnt(9) lgkmcnt(1)
	v_mul_f64 v[178:179], v[2:3], v[40:41]
	v_mul_f64 v[40:41], v[4:5], v[40:41]
	v_add_f64 v[176:177], v[176:177], v[186:187]
	v_add_f64 v[174:175], v[174:175], v[184:185]
	s_delay_alu instid0(VALU_DEP_4) | instskip(NEXT) | instid1(VALU_DEP_4)
	v_fma_f64 v[178:179], v[4:5], v[38:39], v[178:179]
	v_fma_f64 v[184:185], v[2:3], v[38:39], -v[40:41]
	scratch_load_b128 v[38:41], off, off offset:448
	ds_load_b128 v[2:5], v1 offset:944
	s_waitcnt vmcnt(9) lgkmcnt(1)
	v_mul_f64 v[182:183], v[170:171], v[8:9]
	v_mul_f64 v[8:9], v[172:173], v[8:9]
	s_waitcnt vmcnt(8) lgkmcnt(0)
	v_mul_f64 v[186:187], v[2:3], v[12:13]
	v_mul_f64 v[12:13], v[4:5], v[12:13]
	v_add_f64 v[168:169], v[176:177], v[168:169]
	v_add_f64 v[180:181], v[174:175], v[180:181]
	ds_load_b128 v[174:177], v1 offset:960
	v_fma_f64 v[172:173], v[172:173], v[6:7], v[182:183]
	v_fma_f64 v[170:171], v[170:171], v[6:7], -v[8:9]
	scratch_load_b128 v[6:9], off, off offset:464
	v_fma_f64 v[182:183], v[4:5], v[10:11], v[186:187]
	v_add_f64 v[168:169], v[168:169], v[184:185]
	v_add_f64 v[178:179], v[180:181], v[178:179]
	v_fma_f64 v[184:185], v[2:3], v[10:11], -v[12:13]
	scratch_load_b128 v[10:13], off, off offset:480
	ds_load_b128 v[2:5], v1 offset:976
	s_waitcnt vmcnt(9) lgkmcnt(1)
	v_mul_f64 v[180:181], v[174:175], v[16:17]
	v_mul_f64 v[16:17], v[176:177], v[16:17]
	v_add_f64 v[186:187], v[168:169], v[170:171]
	v_add_f64 v[172:173], v[178:179], v[172:173]
	s_waitcnt vmcnt(8) lgkmcnt(0)
	v_mul_f64 v[178:179], v[2:3], v[20:21]
	v_mul_f64 v[20:21], v[4:5], v[20:21]
	ds_load_b128 v[168:171], v1 offset:992
	v_fma_f64 v[176:177], v[176:177], v[14:15], v[180:181]
	v_fma_f64 v[174:175], v[174:175], v[14:15], -v[16:17]
	scratch_load_b128 v[14:17], off, off offset:496
	v_add_f64 v[180:181], v[186:187], v[184:185]
	v_add_f64 v[172:173], v[172:173], v[182:183]
	v_fma_f64 v[178:179], v[4:5], v[18:19], v[178:179]
	v_fma_f64 v[184:185], v[2:3], v[18:19], -v[20:21]
	scratch_load_b128 v[18:21], off, off offset:512
	ds_load_b128 v[2:5], v1 offset:1008
	s_waitcnt vmcnt(9) lgkmcnt(1)
	v_mul_f64 v[182:183], v[168:169], v[24:25]
	v_mul_f64 v[24:25], v[170:171], v[24:25]
	s_waitcnt vmcnt(8) lgkmcnt(0)
	v_mul_f64 v[186:187], v[2:3], v[28:29]
	v_mul_f64 v[28:29], v[4:5], v[28:29]
	v_add_f64 v[180:181], v[180:181], v[174:175]
	v_add_f64 v[176:177], v[172:173], v[176:177]
	ds_load_b128 v[172:175], v1 offset:1024
	v_fma_f64 v[170:171], v[170:171], v[22:23], v[182:183]
	v_fma_f64 v[168:169], v[168:169], v[22:23], -v[24:25]
	scratch_load_b128 v[22:25], off, off offset:528
	v_fma_f64 v[182:183], v[4:5], v[26:27], v[186:187]
	v_add_f64 v[180:181], v[180:181], v[184:185]
	v_add_f64 v[176:177], v[176:177], v[178:179]
	v_fma_f64 v[184:185], v[2:3], v[26:27], -v[28:29]
	scratch_load_b128 v[26:29], off, off offset:544
	ds_load_b128 v[2:5], v1 offset:1040
	s_waitcnt vmcnt(9) lgkmcnt(1)
	v_mul_f64 v[178:179], v[172:173], v[32:33]
	v_mul_f64 v[32:33], v[174:175], v[32:33]
	s_waitcnt vmcnt(8) lgkmcnt(0)
	v_mul_f64 v[186:187], v[2:3], v[36:37]
	v_mul_f64 v[36:37], v[4:5], v[36:37]
	v_add_f64 v[180:181], v[180:181], v[168:169]
	v_add_f64 v[176:177], v[176:177], v[170:171]
	ds_load_b128 v[168:171], v1 offset:1056
	v_fma_f64 v[174:175], v[174:175], v[30:31], v[178:179]
	v_fma_f64 v[172:173], v[172:173], v[30:31], -v[32:33]
	scratch_load_b128 v[30:33], off, off offset:560
	v_add_f64 v[178:179], v[180:181], v[184:185]
	v_add_f64 v[176:177], v[176:177], v[182:183]
	v_fma_f64 v[182:183], v[4:5], v[34:35], v[186:187]
	v_fma_f64 v[184:185], v[2:3], v[34:35], -v[36:37]
	scratch_load_b128 v[34:37], off, off offset:576
	ds_load_b128 v[2:5], v1 offset:1072
	s_waitcnt vmcnt(9) lgkmcnt(1)
	v_mul_f64 v[180:181], v[168:169], v[166:167]
	v_mul_f64 v[166:167], v[170:171], v[166:167]
	s_waitcnt vmcnt(8) lgkmcnt(0)
	v_mul_f64 v[186:187], v[2:3], v[40:41]
	v_mul_f64 v[40:41], v[4:5], v[40:41]
	v_add_f64 v[178:179], v[178:179], v[172:173]
	v_add_f64 v[176:177], v[176:177], v[174:175]
	ds_load_b128 v[172:175], v1 offset:1088
	v_fma_f64 v[170:171], v[170:171], v[164:165], v[180:181]
	v_fma_f64 v[168:169], v[168:169], v[164:165], -v[166:167]
	scratch_load_b128 v[164:167], off, off offset:592
	v_add_f64 v[178:179], v[178:179], v[184:185]
	v_add_f64 v[176:177], v[176:177], v[182:183]
	v_fma_f64 v[182:183], v[4:5], v[38:39], v[186:187]
	v_fma_f64 v[184:185], v[2:3], v[38:39], -v[40:41]
	scratch_load_b128 v[38:41], off, off offset:608
	ds_load_b128 v[2:5], v1 offset:1104
	s_waitcnt vmcnt(9) lgkmcnt(1)
	v_mul_f64 v[180:181], v[172:173], v[8:9]
	v_mul_f64 v[8:9], v[174:175], v[8:9]
	s_waitcnt vmcnt(8) lgkmcnt(0)
	v_mul_f64 v[186:187], v[2:3], v[12:13]
	v_mul_f64 v[12:13], v[4:5], v[12:13]
	v_add_f64 v[178:179], v[178:179], v[168:169]
	v_add_f64 v[176:177], v[176:177], v[170:171]
	ds_load_b128 v[168:171], v1 offset:1120
	v_fma_f64 v[174:175], v[174:175], v[6:7], v[180:181]
	v_fma_f64 v[6:7], v[172:173], v[6:7], -v[8:9]
	v_add_f64 v[8:9], v[178:179], v[184:185]
	v_add_f64 v[172:173], v[176:177], v[182:183]
	s_waitcnt vmcnt(7) lgkmcnt(0)
	v_mul_f64 v[176:177], v[168:169], v[16:17]
	v_mul_f64 v[16:17], v[170:171], v[16:17]
	v_fma_f64 v[178:179], v[4:5], v[10:11], v[186:187]
	v_fma_f64 v[10:11], v[2:3], v[10:11], -v[12:13]
	v_add_f64 v[12:13], v[8:9], v[6:7]
	v_add_f64 v[172:173], v[172:173], v[174:175]
	ds_load_b128 v[2:5], v1 offset:1136
	ds_load_b128 v[6:9], v1 offset:1152
	v_fma_f64 v[170:171], v[170:171], v[14:15], v[176:177]
	v_fma_f64 v[14:15], v[168:169], v[14:15], -v[16:17]
	s_waitcnt vmcnt(6) lgkmcnt(1)
	v_mul_f64 v[174:175], v[2:3], v[20:21]
	v_mul_f64 v[20:21], v[4:5], v[20:21]
	s_waitcnt vmcnt(5) lgkmcnt(0)
	v_mul_f64 v[16:17], v[6:7], v[24:25]
	v_mul_f64 v[24:25], v[8:9], v[24:25]
	v_add_f64 v[10:11], v[12:13], v[10:11]
	v_add_f64 v[12:13], v[172:173], v[178:179]
	v_fma_f64 v[168:169], v[4:5], v[18:19], v[174:175]
	v_fma_f64 v[18:19], v[2:3], v[18:19], -v[20:21]
	v_fma_f64 v[8:9], v[8:9], v[22:23], v[16:17]
	v_fma_f64 v[6:7], v[6:7], v[22:23], -v[24:25]
	v_add_f64 v[14:15], v[10:11], v[14:15]
	v_add_f64 v[20:21], v[12:13], v[170:171]
	ds_load_b128 v[2:5], v1 offset:1168
	ds_load_b128 v[10:13], v1 offset:1184
	s_waitcnt vmcnt(4) lgkmcnt(1)
	v_mul_f64 v[170:171], v[2:3], v[28:29]
	v_mul_f64 v[28:29], v[4:5], v[28:29]
	v_add_f64 v[14:15], v[14:15], v[18:19]
	v_add_f64 v[16:17], v[20:21], v[168:169]
	s_waitcnt vmcnt(3) lgkmcnt(0)
	v_mul_f64 v[18:19], v[10:11], v[32:33]
	v_mul_f64 v[20:21], v[12:13], v[32:33]
	v_fma_f64 v[22:23], v[4:5], v[26:27], v[170:171]
	v_fma_f64 v[24:25], v[2:3], v[26:27], -v[28:29]
	v_add_f64 v[14:15], v[14:15], v[6:7]
	v_add_f64 v[16:17], v[16:17], v[8:9]
	ds_load_b128 v[2:5], v1 offset:1200
	ds_load_b128 v[6:9], v1 offset:1216
	v_fma_f64 v[12:13], v[12:13], v[30:31], v[18:19]
	v_fma_f64 v[10:11], v[10:11], v[30:31], -v[20:21]
	s_waitcnt vmcnt(2) lgkmcnt(1)
	v_mul_f64 v[26:27], v[2:3], v[36:37]
	v_mul_f64 v[28:29], v[4:5], v[36:37]
	s_waitcnt vmcnt(1) lgkmcnt(0)
	v_mul_f64 v[18:19], v[6:7], v[166:167]
	v_mul_f64 v[20:21], v[8:9], v[166:167]
	v_add_f64 v[14:15], v[14:15], v[24:25]
	v_add_f64 v[16:17], v[16:17], v[22:23]
	v_fma_f64 v[22:23], v[4:5], v[34:35], v[26:27]
	v_fma_f64 v[24:25], v[2:3], v[34:35], -v[28:29]
	ds_load_b128 v[2:5], v1 offset:1232
	v_fma_f64 v[8:9], v[8:9], v[164:165], v[18:19]
	v_fma_f64 v[6:7], v[6:7], v[164:165], -v[20:21]
	v_add_f64 v[10:11], v[14:15], v[10:11]
	v_add_f64 v[12:13], v[16:17], v[12:13]
	s_waitcnt vmcnt(0) lgkmcnt(0)
	v_mul_f64 v[14:15], v[2:3], v[40:41]
	v_mul_f64 v[16:17], v[4:5], v[40:41]
	s_delay_alu instid0(VALU_DEP_4) | instskip(NEXT) | instid1(VALU_DEP_4)
	v_add_f64 v[10:11], v[10:11], v[24:25]
	v_add_f64 v[12:13], v[12:13], v[22:23]
	s_delay_alu instid0(VALU_DEP_4) | instskip(NEXT) | instid1(VALU_DEP_4)
	v_fma_f64 v[4:5], v[4:5], v[38:39], v[14:15]
	v_fma_f64 v[2:3], v[2:3], v[38:39], -v[16:17]
	s_delay_alu instid0(VALU_DEP_4) | instskip(NEXT) | instid1(VALU_DEP_4)
	v_add_f64 v[6:7], v[10:11], v[6:7]
	v_add_f64 v[8:9], v[12:13], v[8:9]
	s_delay_alu instid0(VALU_DEP_2) | instskip(NEXT) | instid1(VALU_DEP_2)
	v_add_f64 v[2:3], v[6:7], v[2:3]
	v_add_f64 v[4:5], v[8:9], v[4:5]
	s_delay_alu instid0(VALU_DEP_2) | instskip(NEXT) | instid1(VALU_DEP_2)
	v_add_f64 v[2:3], v[42:43], -v[2:3]
	v_add_f64 v[4:5], v[44:45], -v[4:5]
	scratch_store_b128 off, v[2:5], off offset:112
	v_cmpx_lt_u32_e32 6, v124
	s_cbranch_execz .LBB38_235
; %bb.234:
	scratch_load_b128 v[5:8], v161, off
	v_mov_b32_e32 v2, v1
	v_mov_b32_e32 v3, v1
	;; [unrolled: 1-line block ×3, first 2 shown]
	scratch_store_b128 off, v[1:4], off offset:96
	s_waitcnt vmcnt(0)
	ds_store_b128 v163, v[5:8]
.LBB38_235:
	s_or_b32 exec_lo, exec_lo, s2
	s_waitcnt lgkmcnt(0)
	s_waitcnt_vscnt null, 0x0
	s_barrier
	buffer_gl0_inv
	s_clause 0x8
	scratch_load_b128 v[2:5], off, off offset:112
	scratch_load_b128 v[6:9], off, off offset:128
	;; [unrolled: 1-line block ×9, first 2 shown]
	ds_load_b128 v[42:45], v1 offset:736
	ds_load_b128 v[38:41], v1 offset:752
	s_clause 0x1
	scratch_load_b128 v[164:167], off, off offset:96
	scratch_load_b128 v[168:171], off, off offset:256
	s_mov_b32 s2, exec_lo
	s_waitcnt vmcnt(10) lgkmcnt(1)
	v_mul_f64 v[172:173], v[44:45], v[4:5]
	v_mul_f64 v[4:5], v[42:43], v[4:5]
	s_waitcnt vmcnt(9) lgkmcnt(0)
	v_mul_f64 v[176:177], v[38:39], v[8:9]
	v_mul_f64 v[8:9], v[40:41], v[8:9]
	s_delay_alu instid0(VALU_DEP_4) | instskip(NEXT) | instid1(VALU_DEP_4)
	v_fma_f64 v[178:179], v[42:43], v[2:3], -v[172:173]
	v_fma_f64 v[180:181], v[44:45], v[2:3], v[4:5]
	ds_load_b128 v[2:5], v1 offset:768
	ds_load_b128 v[172:175], v1 offset:784
	scratch_load_b128 v[42:45], off, off offset:272
	v_fma_f64 v[40:41], v[40:41], v[6:7], v[176:177]
	v_fma_f64 v[38:39], v[38:39], v[6:7], -v[8:9]
	scratch_load_b128 v[6:9], off, off offset:288
	s_waitcnt vmcnt(10) lgkmcnt(1)
	v_mul_f64 v[182:183], v[2:3], v[12:13]
	v_mul_f64 v[12:13], v[4:5], v[12:13]
	v_add_f64 v[176:177], v[178:179], 0
	v_add_f64 v[178:179], v[180:181], 0
	s_waitcnt vmcnt(9) lgkmcnt(0)
	v_mul_f64 v[180:181], v[172:173], v[16:17]
	v_mul_f64 v[16:17], v[174:175], v[16:17]
	v_fma_f64 v[182:183], v[4:5], v[10:11], v[182:183]
	v_fma_f64 v[184:185], v[2:3], v[10:11], -v[12:13]
	ds_load_b128 v[2:5], v1 offset:800
	scratch_load_b128 v[10:13], off, off offset:304
	v_add_f64 v[176:177], v[176:177], v[38:39]
	v_add_f64 v[178:179], v[178:179], v[40:41]
	ds_load_b128 v[38:41], v1 offset:816
	v_fma_f64 v[174:175], v[174:175], v[14:15], v[180:181]
	v_fma_f64 v[172:173], v[172:173], v[14:15], -v[16:17]
	scratch_load_b128 v[14:17], off, off offset:320
	s_waitcnt vmcnt(10) lgkmcnt(1)
	v_mul_f64 v[186:187], v[2:3], v[20:21]
	v_mul_f64 v[20:21], v[4:5], v[20:21]
	s_waitcnt vmcnt(9) lgkmcnt(0)
	v_mul_f64 v[180:181], v[38:39], v[24:25]
	v_mul_f64 v[24:25], v[40:41], v[24:25]
	v_add_f64 v[176:177], v[176:177], v[184:185]
	v_add_f64 v[178:179], v[178:179], v[182:183]
	v_fma_f64 v[182:183], v[4:5], v[18:19], v[186:187]
	v_fma_f64 v[184:185], v[2:3], v[18:19], -v[20:21]
	ds_load_b128 v[2:5], v1 offset:832
	scratch_load_b128 v[18:21], off, off offset:336
	v_fma_f64 v[40:41], v[40:41], v[22:23], v[180:181]
	v_fma_f64 v[38:39], v[38:39], v[22:23], -v[24:25]
	scratch_load_b128 v[22:25], off, off offset:352
	v_add_f64 v[176:177], v[176:177], v[172:173]
	v_add_f64 v[178:179], v[178:179], v[174:175]
	ds_load_b128 v[172:175], v1 offset:848
	s_waitcnt vmcnt(10) lgkmcnt(1)
	v_mul_f64 v[186:187], v[2:3], v[28:29]
	v_mul_f64 v[28:29], v[4:5], v[28:29]
	s_waitcnt vmcnt(9) lgkmcnt(0)
	v_mul_f64 v[180:181], v[172:173], v[32:33]
	v_mul_f64 v[32:33], v[174:175], v[32:33]
	v_add_f64 v[176:177], v[176:177], v[184:185]
	v_add_f64 v[178:179], v[178:179], v[182:183]
	v_fma_f64 v[182:183], v[4:5], v[26:27], v[186:187]
	v_fma_f64 v[184:185], v[2:3], v[26:27], -v[28:29]
	ds_load_b128 v[2:5], v1 offset:864
	scratch_load_b128 v[26:29], off, off offset:368
	v_fma_f64 v[174:175], v[174:175], v[30:31], v[180:181]
	v_fma_f64 v[172:173], v[172:173], v[30:31], -v[32:33]
	scratch_load_b128 v[30:33], off, off offset:384
	v_add_f64 v[176:177], v[176:177], v[38:39]
	v_add_f64 v[178:179], v[178:179], v[40:41]
	ds_load_b128 v[38:41], v1 offset:880
	s_waitcnt vmcnt(10) lgkmcnt(1)
	v_mul_f64 v[186:187], v[2:3], v[36:37]
	v_mul_f64 v[36:37], v[4:5], v[36:37]
	s_waitcnt vmcnt(8) lgkmcnt(0)
	v_mul_f64 v[180:181], v[38:39], v[170:171]
	v_add_f64 v[176:177], v[176:177], v[184:185]
	v_add_f64 v[178:179], v[178:179], v[182:183]
	v_mul_f64 v[182:183], v[40:41], v[170:171]
	v_fma_f64 v[184:185], v[4:5], v[34:35], v[186:187]
	v_fma_f64 v[186:187], v[2:3], v[34:35], -v[36:37]
	ds_load_b128 v[2:5], v1 offset:896
	scratch_load_b128 v[34:37], off, off offset:400
	v_fma_f64 v[180:181], v[40:41], v[168:169], v[180:181]
	v_add_f64 v[176:177], v[176:177], v[172:173]
	v_add_f64 v[174:175], v[178:179], v[174:175]
	ds_load_b128 v[170:173], v1 offset:912
	v_fma_f64 v[168:169], v[38:39], v[168:169], -v[182:183]
	scratch_load_b128 v[38:41], off, off offset:416
	s_waitcnt vmcnt(9) lgkmcnt(1)
	v_mul_f64 v[178:179], v[2:3], v[44:45]
	v_mul_f64 v[44:45], v[4:5], v[44:45]
	s_waitcnt vmcnt(8) lgkmcnt(0)
	v_mul_f64 v[182:183], v[170:171], v[8:9]
	v_mul_f64 v[8:9], v[172:173], v[8:9]
	v_add_f64 v[176:177], v[176:177], v[186:187]
	v_add_f64 v[174:175], v[174:175], v[184:185]
	v_fma_f64 v[178:179], v[4:5], v[42:43], v[178:179]
	v_fma_f64 v[184:185], v[2:3], v[42:43], -v[44:45]
	ds_load_b128 v[2:5], v1 offset:928
	scratch_load_b128 v[42:45], off, off offset:432
	v_fma_f64 v[172:173], v[172:173], v[6:7], v[182:183]
	v_fma_f64 v[170:171], v[170:171], v[6:7], -v[8:9]
	scratch_load_b128 v[6:9], off, off offset:448
	v_add_f64 v[168:169], v[176:177], v[168:169]
	v_add_f64 v[180:181], v[174:175], v[180:181]
	ds_load_b128 v[174:177], v1 offset:944
	s_waitcnt vmcnt(9) lgkmcnt(1)
	v_mul_f64 v[186:187], v[2:3], v[12:13]
	v_mul_f64 v[12:13], v[4:5], v[12:13]
	v_add_f64 v[168:169], v[168:169], v[184:185]
	v_add_f64 v[178:179], v[180:181], v[178:179]
	s_waitcnt vmcnt(8) lgkmcnt(0)
	v_mul_f64 v[180:181], v[174:175], v[16:17]
	v_mul_f64 v[16:17], v[176:177], v[16:17]
	v_fma_f64 v[182:183], v[4:5], v[10:11], v[186:187]
	v_fma_f64 v[184:185], v[2:3], v[10:11], -v[12:13]
	ds_load_b128 v[2:5], v1 offset:960
	scratch_load_b128 v[10:13], off, off offset:464
	v_add_f64 v[186:187], v[168:169], v[170:171]
	v_add_f64 v[172:173], v[178:179], v[172:173]
	ds_load_b128 v[168:171], v1 offset:976
	s_waitcnt vmcnt(8) lgkmcnt(1)
	v_mul_f64 v[178:179], v[2:3], v[20:21]
	v_mul_f64 v[20:21], v[4:5], v[20:21]
	v_fma_f64 v[176:177], v[176:177], v[14:15], v[180:181]
	v_fma_f64 v[174:175], v[174:175], v[14:15], -v[16:17]
	scratch_load_b128 v[14:17], off, off offset:480
	v_add_f64 v[180:181], v[186:187], v[184:185]
	v_add_f64 v[172:173], v[172:173], v[182:183]
	s_waitcnt vmcnt(8) lgkmcnt(0)
	v_mul_f64 v[182:183], v[168:169], v[24:25]
	v_mul_f64 v[24:25], v[170:171], v[24:25]
	v_fma_f64 v[178:179], v[4:5], v[18:19], v[178:179]
	v_fma_f64 v[184:185], v[2:3], v[18:19], -v[20:21]
	ds_load_b128 v[2:5], v1 offset:992
	scratch_load_b128 v[18:21], off, off offset:496
	v_add_f64 v[180:181], v[180:181], v[174:175]
	v_add_f64 v[176:177], v[172:173], v[176:177]
	ds_load_b128 v[172:175], v1 offset:1008
	s_waitcnt vmcnt(8) lgkmcnt(1)
	v_mul_f64 v[186:187], v[2:3], v[28:29]
	v_mul_f64 v[28:29], v[4:5], v[28:29]
	v_fma_f64 v[170:171], v[170:171], v[22:23], v[182:183]
	v_fma_f64 v[168:169], v[168:169], v[22:23], -v[24:25]
	scratch_load_b128 v[22:25], off, off offset:512
	;; [unrolled: 18-line block ×4, first 2 shown]
	s_waitcnt vmcnt(8) lgkmcnt(0)
	v_mul_f64 v[180:181], v[172:173], v[8:9]
	v_mul_f64 v[8:9], v[174:175], v[8:9]
	v_add_f64 v[178:179], v[178:179], v[184:185]
	v_add_f64 v[176:177], v[176:177], v[182:183]
	v_fma_f64 v[182:183], v[4:5], v[42:43], v[186:187]
	v_fma_f64 v[184:185], v[2:3], v[42:43], -v[44:45]
	ds_load_b128 v[2:5], v1 offset:1088
	scratch_load_b128 v[42:45], off, off offset:592
	v_fma_f64 v[174:175], v[174:175], v[6:7], v[180:181]
	v_fma_f64 v[172:173], v[172:173], v[6:7], -v[8:9]
	scratch_load_b128 v[6:9], off, off offset:608
	v_add_f64 v[178:179], v[178:179], v[168:169]
	v_add_f64 v[176:177], v[176:177], v[170:171]
	ds_load_b128 v[168:171], v1 offset:1104
	s_waitcnt vmcnt(9) lgkmcnt(1)
	v_mul_f64 v[186:187], v[2:3], v[12:13]
	v_mul_f64 v[12:13], v[4:5], v[12:13]
	s_waitcnt vmcnt(8) lgkmcnt(0)
	v_mul_f64 v[180:181], v[168:169], v[16:17]
	v_mul_f64 v[16:17], v[170:171], v[16:17]
	v_add_f64 v[178:179], v[178:179], v[184:185]
	v_add_f64 v[176:177], v[176:177], v[182:183]
	v_fma_f64 v[182:183], v[4:5], v[10:11], v[186:187]
	v_fma_f64 v[184:185], v[2:3], v[10:11], -v[12:13]
	ds_load_b128 v[2:5], v1 offset:1120
	ds_load_b128 v[10:13], v1 offset:1136
	v_fma_f64 v[170:171], v[170:171], v[14:15], v[180:181]
	v_fma_f64 v[14:15], v[168:169], v[14:15], -v[16:17]
	v_add_f64 v[172:173], v[178:179], v[172:173]
	v_add_f64 v[174:175], v[176:177], v[174:175]
	s_waitcnt vmcnt(7) lgkmcnt(1)
	v_mul_f64 v[176:177], v[2:3], v[20:21]
	v_mul_f64 v[20:21], v[4:5], v[20:21]
	s_delay_alu instid0(VALU_DEP_4) | instskip(NEXT) | instid1(VALU_DEP_4)
	v_add_f64 v[16:17], v[172:173], v[184:185]
	v_add_f64 v[168:169], v[174:175], v[182:183]
	s_waitcnt vmcnt(6) lgkmcnt(0)
	v_mul_f64 v[172:173], v[10:11], v[24:25]
	v_mul_f64 v[24:25], v[12:13], v[24:25]
	v_fma_f64 v[174:175], v[4:5], v[18:19], v[176:177]
	v_fma_f64 v[18:19], v[2:3], v[18:19], -v[20:21]
	v_add_f64 v[20:21], v[16:17], v[14:15]
	v_add_f64 v[168:169], v[168:169], v[170:171]
	ds_load_b128 v[2:5], v1 offset:1152
	ds_load_b128 v[14:17], v1 offset:1168
	v_fma_f64 v[12:13], v[12:13], v[22:23], v[172:173]
	v_fma_f64 v[10:11], v[10:11], v[22:23], -v[24:25]
	s_waitcnt vmcnt(5) lgkmcnt(1)
	v_mul_f64 v[170:171], v[2:3], v[28:29]
	v_mul_f64 v[28:29], v[4:5], v[28:29]
	s_waitcnt vmcnt(4) lgkmcnt(0)
	v_mul_f64 v[22:23], v[14:15], v[32:33]
	v_mul_f64 v[24:25], v[16:17], v[32:33]
	v_add_f64 v[18:19], v[20:21], v[18:19]
	v_add_f64 v[20:21], v[168:169], v[174:175]
	v_fma_f64 v[32:33], v[4:5], v[26:27], v[170:171]
	v_fma_f64 v[26:27], v[2:3], v[26:27], -v[28:29]
	v_fma_f64 v[16:17], v[16:17], v[30:31], v[22:23]
	v_fma_f64 v[14:15], v[14:15], v[30:31], -v[24:25]
	v_add_f64 v[18:19], v[18:19], v[10:11]
	v_add_f64 v[20:21], v[20:21], v[12:13]
	ds_load_b128 v[2:5], v1 offset:1184
	ds_load_b128 v[10:13], v1 offset:1200
	s_waitcnt vmcnt(3) lgkmcnt(1)
	v_mul_f64 v[28:29], v[2:3], v[36:37]
	v_mul_f64 v[36:37], v[4:5], v[36:37]
	s_waitcnt vmcnt(2) lgkmcnt(0)
	v_mul_f64 v[22:23], v[10:11], v[40:41]
	v_mul_f64 v[24:25], v[12:13], v[40:41]
	v_add_f64 v[18:19], v[18:19], v[26:27]
	v_add_f64 v[20:21], v[20:21], v[32:33]
	v_fma_f64 v[26:27], v[4:5], v[34:35], v[28:29]
	v_fma_f64 v[28:29], v[2:3], v[34:35], -v[36:37]
	v_fma_f64 v[12:13], v[12:13], v[38:39], v[22:23]
	v_fma_f64 v[10:11], v[10:11], v[38:39], -v[24:25]
	v_add_f64 v[18:19], v[18:19], v[14:15]
	v_add_f64 v[20:21], v[20:21], v[16:17]
	ds_load_b128 v[2:5], v1 offset:1216
	ds_load_b128 v[14:17], v1 offset:1232
	s_waitcnt vmcnt(1) lgkmcnt(1)
	v_mul_f64 v[30:31], v[2:3], v[44:45]
	v_mul_f64 v[32:33], v[4:5], v[44:45]
	s_waitcnt vmcnt(0) lgkmcnt(0)
	v_mul_f64 v[22:23], v[14:15], v[8:9]
	v_mul_f64 v[8:9], v[16:17], v[8:9]
	v_add_f64 v[18:19], v[18:19], v[28:29]
	v_add_f64 v[20:21], v[20:21], v[26:27]
	v_fma_f64 v[4:5], v[4:5], v[42:43], v[30:31]
	v_fma_f64 v[1:2], v[2:3], v[42:43], -v[32:33]
	v_fma_f64 v[16:17], v[16:17], v[6:7], v[22:23]
	v_fma_f64 v[6:7], v[14:15], v[6:7], -v[8:9]
	v_add_f64 v[10:11], v[18:19], v[10:11]
	v_add_f64 v[12:13], v[20:21], v[12:13]
	s_delay_alu instid0(VALU_DEP_2) | instskip(NEXT) | instid1(VALU_DEP_2)
	v_add_f64 v[1:2], v[10:11], v[1:2]
	v_add_f64 v[3:4], v[12:13], v[4:5]
	s_delay_alu instid0(VALU_DEP_2) | instskip(NEXT) | instid1(VALU_DEP_2)
	;; [unrolled: 3-line block ×3, first 2 shown]
	v_add_f64 v[1:2], v[164:165], -v[1:2]
	v_add_f64 v[3:4], v[166:167], -v[3:4]
	scratch_store_b128 off, v[1:4], off offset:96
	v_cmpx_lt_u32_e32 5, v124
	s_cbranch_execz .LBB38_237
; %bb.236:
	scratch_load_b128 v[1:4], v162, off
	v_mov_b32_e32 v5, 0
	s_delay_alu instid0(VALU_DEP_1)
	v_mov_b32_e32 v6, v5
	v_mov_b32_e32 v7, v5
	;; [unrolled: 1-line block ×3, first 2 shown]
	scratch_store_b128 off, v[5:8], off offset:80
	s_waitcnt vmcnt(0)
	ds_store_b128 v163, v[1:4]
.LBB38_237:
	s_or_b32 exec_lo, exec_lo, s2
	s_waitcnt lgkmcnt(0)
	s_waitcnt_vscnt null, 0x0
	s_barrier
	buffer_gl0_inv
	s_clause 0x7
	scratch_load_b128 v[2:5], off, off offset:96
	scratch_load_b128 v[6:9], off, off offset:112
	;; [unrolled: 1-line block ×8, first 2 shown]
	v_mov_b32_e32 v1, 0
	s_mov_b32 s2, exec_lo
	ds_load_b128 v[38:41], v1 offset:720
	s_clause 0x1
	scratch_load_b128 v[34:37], off, off offset:224
	scratch_load_b128 v[42:45], off, off offset:80
	ds_load_b128 v[164:167], v1 offset:736
	scratch_load_b128 v[168:171], off, off offset:240
	s_waitcnt vmcnt(10) lgkmcnt(1)
	v_mul_f64 v[172:173], v[40:41], v[4:5]
	v_mul_f64 v[4:5], v[38:39], v[4:5]
	s_delay_alu instid0(VALU_DEP_2) | instskip(NEXT) | instid1(VALU_DEP_2)
	v_fma_f64 v[178:179], v[38:39], v[2:3], -v[172:173]
	v_fma_f64 v[180:181], v[40:41], v[2:3], v[4:5]
	scratch_load_b128 v[38:41], off, off offset:256
	ds_load_b128 v[2:5], v1 offset:752
	s_waitcnt vmcnt(10) lgkmcnt(1)
	v_mul_f64 v[176:177], v[164:165], v[8:9]
	v_mul_f64 v[8:9], v[166:167], v[8:9]
	ds_load_b128 v[172:175], v1 offset:768
	s_waitcnt vmcnt(9) lgkmcnt(1)
	v_mul_f64 v[182:183], v[2:3], v[12:13]
	v_mul_f64 v[12:13], v[4:5], v[12:13]
	v_fma_f64 v[166:167], v[166:167], v[6:7], v[176:177]
	v_fma_f64 v[164:165], v[164:165], v[6:7], -v[8:9]
	v_add_f64 v[176:177], v[178:179], 0
	v_add_f64 v[178:179], v[180:181], 0
	scratch_load_b128 v[6:9], off, off offset:272
	v_fma_f64 v[182:183], v[4:5], v[10:11], v[182:183]
	v_fma_f64 v[184:185], v[2:3], v[10:11], -v[12:13]
	scratch_load_b128 v[10:13], off, off offset:288
	ds_load_b128 v[2:5], v1 offset:784
	s_waitcnt vmcnt(10) lgkmcnt(1)
	v_mul_f64 v[180:181], v[172:173], v[16:17]
	v_mul_f64 v[16:17], v[174:175], v[16:17]
	v_add_f64 v[176:177], v[176:177], v[164:165]
	v_add_f64 v[178:179], v[178:179], v[166:167]
	s_waitcnt vmcnt(9) lgkmcnt(0)
	v_mul_f64 v[186:187], v[2:3], v[20:21]
	v_mul_f64 v[20:21], v[4:5], v[20:21]
	ds_load_b128 v[164:167], v1 offset:800
	v_fma_f64 v[174:175], v[174:175], v[14:15], v[180:181]
	v_fma_f64 v[172:173], v[172:173], v[14:15], -v[16:17]
	scratch_load_b128 v[14:17], off, off offset:304
	v_add_f64 v[176:177], v[176:177], v[184:185]
	v_add_f64 v[178:179], v[178:179], v[182:183]
	v_fma_f64 v[182:183], v[4:5], v[18:19], v[186:187]
	v_fma_f64 v[184:185], v[2:3], v[18:19], -v[20:21]
	scratch_load_b128 v[18:21], off, off offset:320
	ds_load_b128 v[2:5], v1 offset:816
	s_waitcnt vmcnt(10) lgkmcnt(1)
	v_mul_f64 v[180:181], v[164:165], v[24:25]
	v_mul_f64 v[24:25], v[166:167], v[24:25]
	s_waitcnt vmcnt(9) lgkmcnt(0)
	v_mul_f64 v[186:187], v[2:3], v[28:29]
	v_mul_f64 v[28:29], v[4:5], v[28:29]
	v_add_f64 v[176:177], v[176:177], v[172:173]
	v_add_f64 v[178:179], v[178:179], v[174:175]
	ds_load_b128 v[172:175], v1 offset:832
	v_fma_f64 v[166:167], v[166:167], v[22:23], v[180:181]
	v_fma_f64 v[164:165], v[164:165], v[22:23], -v[24:25]
	scratch_load_b128 v[22:25], off, off offset:336
	v_add_f64 v[176:177], v[176:177], v[184:185]
	v_add_f64 v[178:179], v[178:179], v[182:183]
	v_fma_f64 v[182:183], v[4:5], v[26:27], v[186:187]
	v_fma_f64 v[184:185], v[2:3], v[26:27], -v[28:29]
	scratch_load_b128 v[26:29], off, off offset:352
	ds_load_b128 v[2:5], v1 offset:848
	s_waitcnt vmcnt(10) lgkmcnt(1)
	v_mul_f64 v[180:181], v[172:173], v[32:33]
	v_mul_f64 v[32:33], v[174:175], v[32:33]
	s_waitcnt vmcnt(9) lgkmcnt(0)
	v_mul_f64 v[186:187], v[2:3], v[36:37]
	v_mul_f64 v[36:37], v[4:5], v[36:37]
	v_add_f64 v[176:177], v[176:177], v[164:165]
	v_add_f64 v[178:179], v[178:179], v[166:167]
	ds_load_b128 v[164:167], v1 offset:864
	v_fma_f64 v[174:175], v[174:175], v[30:31], v[180:181]
	v_fma_f64 v[172:173], v[172:173], v[30:31], -v[32:33]
	scratch_load_b128 v[30:33], off, off offset:368
	v_add_f64 v[176:177], v[176:177], v[184:185]
	v_add_f64 v[178:179], v[178:179], v[182:183]
	v_fma_f64 v[184:185], v[4:5], v[34:35], v[186:187]
	v_fma_f64 v[186:187], v[2:3], v[34:35], -v[36:37]
	scratch_load_b128 v[34:37], off, off offset:384
	ds_load_b128 v[2:5], v1 offset:880
	s_waitcnt vmcnt(9) lgkmcnt(1)
	v_mul_f64 v[180:181], v[164:165], v[170:171]
	v_mul_f64 v[182:183], v[166:167], v[170:171]
	v_add_f64 v[176:177], v[176:177], v[172:173]
	v_add_f64 v[174:175], v[178:179], v[174:175]
	ds_load_b128 v[170:173], v1 offset:896
	v_fma_f64 v[180:181], v[166:167], v[168:169], v[180:181]
	v_fma_f64 v[168:169], v[164:165], v[168:169], -v[182:183]
	scratch_load_b128 v[164:167], off, off offset:400
	s_waitcnt vmcnt(9) lgkmcnt(1)
	v_mul_f64 v[178:179], v[2:3], v[40:41]
	v_mul_f64 v[40:41], v[4:5], v[40:41]
	v_add_f64 v[176:177], v[176:177], v[186:187]
	v_add_f64 v[174:175], v[174:175], v[184:185]
	s_delay_alu instid0(VALU_DEP_4) | instskip(NEXT) | instid1(VALU_DEP_4)
	v_fma_f64 v[178:179], v[4:5], v[38:39], v[178:179]
	v_fma_f64 v[184:185], v[2:3], v[38:39], -v[40:41]
	scratch_load_b128 v[38:41], off, off offset:416
	ds_load_b128 v[2:5], v1 offset:912
	s_waitcnt vmcnt(9) lgkmcnt(1)
	v_mul_f64 v[182:183], v[170:171], v[8:9]
	v_mul_f64 v[8:9], v[172:173], v[8:9]
	s_waitcnt vmcnt(8) lgkmcnt(0)
	v_mul_f64 v[186:187], v[2:3], v[12:13]
	v_mul_f64 v[12:13], v[4:5], v[12:13]
	v_add_f64 v[168:169], v[176:177], v[168:169]
	v_add_f64 v[180:181], v[174:175], v[180:181]
	ds_load_b128 v[174:177], v1 offset:928
	v_fma_f64 v[172:173], v[172:173], v[6:7], v[182:183]
	v_fma_f64 v[170:171], v[170:171], v[6:7], -v[8:9]
	scratch_load_b128 v[6:9], off, off offset:432
	v_fma_f64 v[182:183], v[4:5], v[10:11], v[186:187]
	v_add_f64 v[168:169], v[168:169], v[184:185]
	v_add_f64 v[178:179], v[180:181], v[178:179]
	v_fma_f64 v[184:185], v[2:3], v[10:11], -v[12:13]
	scratch_load_b128 v[10:13], off, off offset:448
	ds_load_b128 v[2:5], v1 offset:944
	s_waitcnt vmcnt(9) lgkmcnt(1)
	v_mul_f64 v[180:181], v[174:175], v[16:17]
	v_mul_f64 v[16:17], v[176:177], v[16:17]
	v_add_f64 v[186:187], v[168:169], v[170:171]
	v_add_f64 v[172:173], v[178:179], v[172:173]
	s_waitcnt vmcnt(8) lgkmcnt(0)
	v_mul_f64 v[178:179], v[2:3], v[20:21]
	v_mul_f64 v[20:21], v[4:5], v[20:21]
	ds_load_b128 v[168:171], v1 offset:960
	v_fma_f64 v[176:177], v[176:177], v[14:15], v[180:181]
	v_fma_f64 v[174:175], v[174:175], v[14:15], -v[16:17]
	scratch_load_b128 v[14:17], off, off offset:464
	v_add_f64 v[180:181], v[186:187], v[184:185]
	v_add_f64 v[172:173], v[172:173], v[182:183]
	v_fma_f64 v[178:179], v[4:5], v[18:19], v[178:179]
	v_fma_f64 v[184:185], v[2:3], v[18:19], -v[20:21]
	scratch_load_b128 v[18:21], off, off offset:480
	ds_load_b128 v[2:5], v1 offset:976
	s_waitcnt vmcnt(9) lgkmcnt(1)
	v_mul_f64 v[182:183], v[168:169], v[24:25]
	v_mul_f64 v[24:25], v[170:171], v[24:25]
	s_waitcnt vmcnt(8) lgkmcnt(0)
	v_mul_f64 v[186:187], v[2:3], v[28:29]
	v_mul_f64 v[28:29], v[4:5], v[28:29]
	v_add_f64 v[180:181], v[180:181], v[174:175]
	v_add_f64 v[176:177], v[172:173], v[176:177]
	ds_load_b128 v[172:175], v1 offset:992
	v_fma_f64 v[170:171], v[170:171], v[22:23], v[182:183]
	v_fma_f64 v[168:169], v[168:169], v[22:23], -v[24:25]
	scratch_load_b128 v[22:25], off, off offset:496
	v_fma_f64 v[182:183], v[4:5], v[26:27], v[186:187]
	v_add_f64 v[180:181], v[180:181], v[184:185]
	v_add_f64 v[176:177], v[176:177], v[178:179]
	v_fma_f64 v[184:185], v[2:3], v[26:27], -v[28:29]
	scratch_load_b128 v[26:29], off, off offset:512
	ds_load_b128 v[2:5], v1 offset:1008
	s_waitcnt vmcnt(9) lgkmcnt(1)
	v_mul_f64 v[178:179], v[172:173], v[32:33]
	v_mul_f64 v[32:33], v[174:175], v[32:33]
	s_waitcnt vmcnt(8) lgkmcnt(0)
	v_mul_f64 v[186:187], v[2:3], v[36:37]
	v_mul_f64 v[36:37], v[4:5], v[36:37]
	v_add_f64 v[180:181], v[180:181], v[168:169]
	v_add_f64 v[176:177], v[176:177], v[170:171]
	ds_load_b128 v[168:171], v1 offset:1024
	v_fma_f64 v[174:175], v[174:175], v[30:31], v[178:179]
	v_fma_f64 v[172:173], v[172:173], v[30:31], -v[32:33]
	scratch_load_b128 v[30:33], off, off offset:528
	v_add_f64 v[178:179], v[180:181], v[184:185]
	v_add_f64 v[176:177], v[176:177], v[182:183]
	v_fma_f64 v[182:183], v[4:5], v[34:35], v[186:187]
	v_fma_f64 v[184:185], v[2:3], v[34:35], -v[36:37]
	scratch_load_b128 v[34:37], off, off offset:544
	ds_load_b128 v[2:5], v1 offset:1040
	s_waitcnt vmcnt(9) lgkmcnt(1)
	v_mul_f64 v[180:181], v[168:169], v[166:167]
	v_mul_f64 v[166:167], v[170:171], v[166:167]
	s_waitcnt vmcnt(8) lgkmcnt(0)
	v_mul_f64 v[186:187], v[2:3], v[40:41]
	v_mul_f64 v[40:41], v[4:5], v[40:41]
	v_add_f64 v[178:179], v[178:179], v[172:173]
	v_add_f64 v[176:177], v[176:177], v[174:175]
	ds_load_b128 v[172:175], v1 offset:1056
	v_fma_f64 v[170:171], v[170:171], v[164:165], v[180:181]
	v_fma_f64 v[168:169], v[168:169], v[164:165], -v[166:167]
	scratch_load_b128 v[164:167], off, off offset:560
	v_add_f64 v[178:179], v[178:179], v[184:185]
	v_add_f64 v[176:177], v[176:177], v[182:183]
	v_fma_f64 v[182:183], v[4:5], v[38:39], v[186:187]
	;; [unrolled: 18-line block ×3, first 2 shown]
	v_fma_f64 v[184:185], v[2:3], v[10:11], -v[12:13]
	scratch_load_b128 v[10:13], off, off offset:608
	ds_load_b128 v[2:5], v1 offset:1104
	s_waitcnt vmcnt(9) lgkmcnt(1)
	v_mul_f64 v[180:181], v[168:169], v[16:17]
	v_mul_f64 v[16:17], v[170:171], v[16:17]
	s_waitcnt vmcnt(8) lgkmcnt(0)
	v_mul_f64 v[186:187], v[2:3], v[20:21]
	v_mul_f64 v[20:21], v[4:5], v[20:21]
	v_add_f64 v[178:179], v[178:179], v[172:173]
	v_add_f64 v[176:177], v[176:177], v[174:175]
	ds_load_b128 v[172:175], v1 offset:1120
	v_fma_f64 v[170:171], v[170:171], v[14:15], v[180:181]
	v_fma_f64 v[14:15], v[168:169], v[14:15], -v[16:17]
	v_add_f64 v[16:17], v[178:179], v[184:185]
	v_add_f64 v[168:169], v[176:177], v[182:183]
	s_waitcnt vmcnt(7) lgkmcnt(0)
	v_mul_f64 v[176:177], v[172:173], v[24:25]
	v_mul_f64 v[24:25], v[174:175], v[24:25]
	v_fma_f64 v[178:179], v[4:5], v[18:19], v[186:187]
	v_fma_f64 v[18:19], v[2:3], v[18:19], -v[20:21]
	v_add_f64 v[20:21], v[16:17], v[14:15]
	v_add_f64 v[168:169], v[168:169], v[170:171]
	ds_load_b128 v[2:5], v1 offset:1136
	ds_load_b128 v[14:17], v1 offset:1152
	v_fma_f64 v[174:175], v[174:175], v[22:23], v[176:177]
	v_fma_f64 v[22:23], v[172:173], v[22:23], -v[24:25]
	s_waitcnt vmcnt(6) lgkmcnt(1)
	v_mul_f64 v[170:171], v[2:3], v[28:29]
	v_mul_f64 v[28:29], v[4:5], v[28:29]
	s_waitcnt vmcnt(5) lgkmcnt(0)
	v_mul_f64 v[24:25], v[14:15], v[32:33]
	v_mul_f64 v[32:33], v[16:17], v[32:33]
	v_add_f64 v[18:19], v[20:21], v[18:19]
	v_add_f64 v[20:21], v[168:169], v[178:179]
	v_fma_f64 v[168:169], v[4:5], v[26:27], v[170:171]
	v_fma_f64 v[26:27], v[2:3], v[26:27], -v[28:29]
	v_fma_f64 v[16:17], v[16:17], v[30:31], v[24:25]
	v_fma_f64 v[14:15], v[14:15], v[30:31], -v[32:33]
	v_add_f64 v[22:23], v[18:19], v[22:23]
	v_add_f64 v[28:29], v[20:21], v[174:175]
	ds_load_b128 v[2:5], v1 offset:1168
	ds_load_b128 v[18:21], v1 offset:1184
	s_waitcnt vmcnt(4) lgkmcnt(1)
	v_mul_f64 v[170:171], v[2:3], v[36:37]
	v_mul_f64 v[36:37], v[4:5], v[36:37]
	v_add_f64 v[22:23], v[22:23], v[26:27]
	v_add_f64 v[24:25], v[28:29], v[168:169]
	s_waitcnt vmcnt(3) lgkmcnt(0)
	v_mul_f64 v[26:27], v[18:19], v[166:167]
	v_mul_f64 v[28:29], v[20:21], v[166:167]
	v_fma_f64 v[30:31], v[4:5], v[34:35], v[170:171]
	v_fma_f64 v[32:33], v[2:3], v[34:35], -v[36:37]
	v_add_f64 v[22:23], v[22:23], v[14:15]
	v_add_f64 v[24:25], v[24:25], v[16:17]
	ds_load_b128 v[2:5], v1 offset:1200
	ds_load_b128 v[14:17], v1 offset:1216
	v_fma_f64 v[20:21], v[20:21], v[164:165], v[26:27]
	v_fma_f64 v[18:19], v[18:19], v[164:165], -v[28:29]
	s_waitcnt vmcnt(2) lgkmcnt(1)
	v_mul_f64 v[34:35], v[2:3], v[40:41]
	v_mul_f64 v[36:37], v[4:5], v[40:41]
	s_waitcnt vmcnt(1) lgkmcnt(0)
	v_mul_f64 v[26:27], v[14:15], v[8:9]
	v_mul_f64 v[8:9], v[16:17], v[8:9]
	v_add_f64 v[22:23], v[22:23], v[32:33]
	v_add_f64 v[24:25], v[24:25], v[30:31]
	v_fma_f64 v[28:29], v[4:5], v[38:39], v[34:35]
	v_fma_f64 v[30:31], v[2:3], v[38:39], -v[36:37]
	ds_load_b128 v[2:5], v1 offset:1232
	v_fma_f64 v[16:17], v[16:17], v[6:7], v[26:27]
	v_fma_f64 v[6:7], v[14:15], v[6:7], -v[8:9]
	v_add_f64 v[18:19], v[22:23], v[18:19]
	v_add_f64 v[20:21], v[24:25], v[20:21]
	s_waitcnt vmcnt(0) lgkmcnt(0)
	v_mul_f64 v[22:23], v[2:3], v[12:13]
	v_mul_f64 v[12:13], v[4:5], v[12:13]
	s_delay_alu instid0(VALU_DEP_4) | instskip(NEXT) | instid1(VALU_DEP_4)
	v_add_f64 v[8:9], v[18:19], v[30:31]
	v_add_f64 v[14:15], v[20:21], v[28:29]
	s_delay_alu instid0(VALU_DEP_4) | instskip(NEXT) | instid1(VALU_DEP_4)
	v_fma_f64 v[4:5], v[4:5], v[10:11], v[22:23]
	v_fma_f64 v[2:3], v[2:3], v[10:11], -v[12:13]
	s_delay_alu instid0(VALU_DEP_4) | instskip(NEXT) | instid1(VALU_DEP_4)
	v_add_f64 v[6:7], v[8:9], v[6:7]
	v_add_f64 v[8:9], v[14:15], v[16:17]
	s_delay_alu instid0(VALU_DEP_2) | instskip(NEXT) | instid1(VALU_DEP_2)
	v_add_f64 v[2:3], v[6:7], v[2:3]
	v_add_f64 v[4:5], v[8:9], v[4:5]
	s_delay_alu instid0(VALU_DEP_2) | instskip(NEXT) | instid1(VALU_DEP_2)
	v_add_f64 v[2:3], v[42:43], -v[2:3]
	v_add_f64 v[4:5], v[44:45], -v[4:5]
	scratch_store_b128 off, v[2:5], off offset:80
	v_cmpx_lt_u32_e32 4, v124
	s_cbranch_execz .LBB38_239
; %bb.238:
	scratch_load_b128 v[5:8], v125, off
	v_mov_b32_e32 v2, v1
	v_mov_b32_e32 v3, v1
	;; [unrolled: 1-line block ×3, first 2 shown]
	scratch_store_b128 off, v[1:4], off offset:64
	s_waitcnt vmcnt(0)
	ds_store_b128 v163, v[5:8]
.LBB38_239:
	s_or_b32 exec_lo, exec_lo, s2
	s_waitcnt lgkmcnt(0)
	s_waitcnt_vscnt null, 0x0
	s_barrier
	buffer_gl0_inv
	s_clause 0x8
	scratch_load_b128 v[2:5], off, off offset:80
	scratch_load_b128 v[6:9], off, off offset:96
	;; [unrolled: 1-line block ×9, first 2 shown]
	ds_load_b128 v[42:45], v1 offset:704
	ds_load_b128 v[38:41], v1 offset:720
	s_clause 0x1
	scratch_load_b128 v[164:167], off, off offset:64
	scratch_load_b128 v[168:171], off, off offset:224
	s_mov_b32 s2, exec_lo
	s_waitcnt vmcnt(10) lgkmcnt(1)
	v_mul_f64 v[172:173], v[44:45], v[4:5]
	v_mul_f64 v[4:5], v[42:43], v[4:5]
	s_waitcnt vmcnt(9) lgkmcnt(0)
	v_mul_f64 v[176:177], v[38:39], v[8:9]
	v_mul_f64 v[8:9], v[40:41], v[8:9]
	s_delay_alu instid0(VALU_DEP_4) | instskip(NEXT) | instid1(VALU_DEP_4)
	v_fma_f64 v[178:179], v[42:43], v[2:3], -v[172:173]
	v_fma_f64 v[180:181], v[44:45], v[2:3], v[4:5]
	ds_load_b128 v[2:5], v1 offset:736
	ds_load_b128 v[172:175], v1 offset:752
	scratch_load_b128 v[42:45], off, off offset:240
	v_fma_f64 v[40:41], v[40:41], v[6:7], v[176:177]
	v_fma_f64 v[38:39], v[38:39], v[6:7], -v[8:9]
	scratch_load_b128 v[6:9], off, off offset:256
	s_waitcnt vmcnt(10) lgkmcnt(1)
	v_mul_f64 v[182:183], v[2:3], v[12:13]
	v_mul_f64 v[12:13], v[4:5], v[12:13]
	v_add_f64 v[176:177], v[178:179], 0
	v_add_f64 v[178:179], v[180:181], 0
	s_waitcnt vmcnt(9) lgkmcnt(0)
	v_mul_f64 v[180:181], v[172:173], v[16:17]
	v_mul_f64 v[16:17], v[174:175], v[16:17]
	v_fma_f64 v[182:183], v[4:5], v[10:11], v[182:183]
	v_fma_f64 v[184:185], v[2:3], v[10:11], -v[12:13]
	ds_load_b128 v[2:5], v1 offset:768
	scratch_load_b128 v[10:13], off, off offset:272
	v_add_f64 v[176:177], v[176:177], v[38:39]
	v_add_f64 v[178:179], v[178:179], v[40:41]
	ds_load_b128 v[38:41], v1 offset:784
	v_fma_f64 v[174:175], v[174:175], v[14:15], v[180:181]
	v_fma_f64 v[172:173], v[172:173], v[14:15], -v[16:17]
	scratch_load_b128 v[14:17], off, off offset:288
	s_waitcnt vmcnt(10) lgkmcnt(1)
	v_mul_f64 v[186:187], v[2:3], v[20:21]
	v_mul_f64 v[20:21], v[4:5], v[20:21]
	s_waitcnt vmcnt(9) lgkmcnt(0)
	v_mul_f64 v[180:181], v[38:39], v[24:25]
	v_mul_f64 v[24:25], v[40:41], v[24:25]
	v_add_f64 v[176:177], v[176:177], v[184:185]
	v_add_f64 v[178:179], v[178:179], v[182:183]
	v_fma_f64 v[182:183], v[4:5], v[18:19], v[186:187]
	v_fma_f64 v[184:185], v[2:3], v[18:19], -v[20:21]
	ds_load_b128 v[2:5], v1 offset:800
	scratch_load_b128 v[18:21], off, off offset:304
	v_fma_f64 v[40:41], v[40:41], v[22:23], v[180:181]
	v_fma_f64 v[38:39], v[38:39], v[22:23], -v[24:25]
	scratch_load_b128 v[22:25], off, off offset:320
	v_add_f64 v[176:177], v[176:177], v[172:173]
	v_add_f64 v[178:179], v[178:179], v[174:175]
	ds_load_b128 v[172:175], v1 offset:816
	s_waitcnt vmcnt(10) lgkmcnt(1)
	v_mul_f64 v[186:187], v[2:3], v[28:29]
	v_mul_f64 v[28:29], v[4:5], v[28:29]
	s_waitcnt vmcnt(9) lgkmcnt(0)
	v_mul_f64 v[180:181], v[172:173], v[32:33]
	v_mul_f64 v[32:33], v[174:175], v[32:33]
	v_add_f64 v[176:177], v[176:177], v[184:185]
	v_add_f64 v[178:179], v[178:179], v[182:183]
	v_fma_f64 v[182:183], v[4:5], v[26:27], v[186:187]
	v_fma_f64 v[184:185], v[2:3], v[26:27], -v[28:29]
	ds_load_b128 v[2:5], v1 offset:832
	scratch_load_b128 v[26:29], off, off offset:336
	v_fma_f64 v[174:175], v[174:175], v[30:31], v[180:181]
	v_fma_f64 v[172:173], v[172:173], v[30:31], -v[32:33]
	scratch_load_b128 v[30:33], off, off offset:352
	v_add_f64 v[176:177], v[176:177], v[38:39]
	v_add_f64 v[178:179], v[178:179], v[40:41]
	ds_load_b128 v[38:41], v1 offset:848
	s_waitcnt vmcnt(10) lgkmcnt(1)
	v_mul_f64 v[186:187], v[2:3], v[36:37]
	v_mul_f64 v[36:37], v[4:5], v[36:37]
	s_waitcnt vmcnt(8) lgkmcnt(0)
	v_mul_f64 v[180:181], v[38:39], v[170:171]
	v_add_f64 v[176:177], v[176:177], v[184:185]
	v_add_f64 v[178:179], v[178:179], v[182:183]
	v_mul_f64 v[182:183], v[40:41], v[170:171]
	v_fma_f64 v[184:185], v[4:5], v[34:35], v[186:187]
	v_fma_f64 v[186:187], v[2:3], v[34:35], -v[36:37]
	ds_load_b128 v[2:5], v1 offset:864
	scratch_load_b128 v[34:37], off, off offset:368
	v_fma_f64 v[180:181], v[40:41], v[168:169], v[180:181]
	v_add_f64 v[176:177], v[176:177], v[172:173]
	v_add_f64 v[174:175], v[178:179], v[174:175]
	ds_load_b128 v[170:173], v1 offset:880
	v_fma_f64 v[168:169], v[38:39], v[168:169], -v[182:183]
	scratch_load_b128 v[38:41], off, off offset:384
	s_waitcnt vmcnt(9) lgkmcnt(1)
	v_mul_f64 v[178:179], v[2:3], v[44:45]
	v_mul_f64 v[44:45], v[4:5], v[44:45]
	s_waitcnt vmcnt(8) lgkmcnt(0)
	v_mul_f64 v[182:183], v[170:171], v[8:9]
	v_mul_f64 v[8:9], v[172:173], v[8:9]
	v_add_f64 v[176:177], v[176:177], v[186:187]
	v_add_f64 v[174:175], v[174:175], v[184:185]
	v_fma_f64 v[178:179], v[4:5], v[42:43], v[178:179]
	v_fma_f64 v[184:185], v[2:3], v[42:43], -v[44:45]
	ds_load_b128 v[2:5], v1 offset:896
	scratch_load_b128 v[42:45], off, off offset:400
	v_fma_f64 v[172:173], v[172:173], v[6:7], v[182:183]
	v_fma_f64 v[170:171], v[170:171], v[6:7], -v[8:9]
	scratch_load_b128 v[6:9], off, off offset:416
	v_add_f64 v[168:169], v[176:177], v[168:169]
	v_add_f64 v[180:181], v[174:175], v[180:181]
	ds_load_b128 v[174:177], v1 offset:912
	s_waitcnt vmcnt(9) lgkmcnt(1)
	v_mul_f64 v[186:187], v[2:3], v[12:13]
	v_mul_f64 v[12:13], v[4:5], v[12:13]
	v_add_f64 v[168:169], v[168:169], v[184:185]
	v_add_f64 v[178:179], v[180:181], v[178:179]
	s_waitcnt vmcnt(8) lgkmcnt(0)
	v_mul_f64 v[180:181], v[174:175], v[16:17]
	v_mul_f64 v[16:17], v[176:177], v[16:17]
	v_fma_f64 v[182:183], v[4:5], v[10:11], v[186:187]
	v_fma_f64 v[184:185], v[2:3], v[10:11], -v[12:13]
	ds_load_b128 v[2:5], v1 offset:928
	scratch_load_b128 v[10:13], off, off offset:432
	v_add_f64 v[186:187], v[168:169], v[170:171]
	v_add_f64 v[172:173], v[178:179], v[172:173]
	ds_load_b128 v[168:171], v1 offset:944
	s_waitcnt vmcnt(8) lgkmcnt(1)
	v_mul_f64 v[178:179], v[2:3], v[20:21]
	v_mul_f64 v[20:21], v[4:5], v[20:21]
	v_fma_f64 v[176:177], v[176:177], v[14:15], v[180:181]
	v_fma_f64 v[174:175], v[174:175], v[14:15], -v[16:17]
	scratch_load_b128 v[14:17], off, off offset:448
	v_add_f64 v[180:181], v[186:187], v[184:185]
	v_add_f64 v[172:173], v[172:173], v[182:183]
	s_waitcnt vmcnt(8) lgkmcnt(0)
	v_mul_f64 v[182:183], v[168:169], v[24:25]
	v_mul_f64 v[24:25], v[170:171], v[24:25]
	v_fma_f64 v[178:179], v[4:5], v[18:19], v[178:179]
	v_fma_f64 v[184:185], v[2:3], v[18:19], -v[20:21]
	ds_load_b128 v[2:5], v1 offset:960
	scratch_load_b128 v[18:21], off, off offset:464
	v_add_f64 v[180:181], v[180:181], v[174:175]
	v_add_f64 v[176:177], v[172:173], v[176:177]
	ds_load_b128 v[172:175], v1 offset:976
	s_waitcnt vmcnt(8) lgkmcnt(1)
	v_mul_f64 v[186:187], v[2:3], v[28:29]
	v_mul_f64 v[28:29], v[4:5], v[28:29]
	v_fma_f64 v[170:171], v[170:171], v[22:23], v[182:183]
	v_fma_f64 v[168:169], v[168:169], v[22:23], -v[24:25]
	scratch_load_b128 v[22:25], off, off offset:480
	;; [unrolled: 18-line block ×4, first 2 shown]
	s_waitcnt vmcnt(8) lgkmcnt(0)
	v_mul_f64 v[180:181], v[172:173], v[8:9]
	v_mul_f64 v[8:9], v[174:175], v[8:9]
	v_add_f64 v[178:179], v[178:179], v[184:185]
	v_add_f64 v[176:177], v[176:177], v[182:183]
	v_fma_f64 v[182:183], v[4:5], v[42:43], v[186:187]
	v_fma_f64 v[184:185], v[2:3], v[42:43], -v[44:45]
	ds_load_b128 v[2:5], v1 offset:1056
	scratch_load_b128 v[42:45], off, off offset:560
	v_fma_f64 v[174:175], v[174:175], v[6:7], v[180:181]
	v_fma_f64 v[172:173], v[172:173], v[6:7], -v[8:9]
	scratch_load_b128 v[6:9], off, off offset:576
	v_add_f64 v[178:179], v[178:179], v[168:169]
	v_add_f64 v[176:177], v[176:177], v[170:171]
	ds_load_b128 v[168:171], v1 offset:1072
	s_waitcnt vmcnt(9) lgkmcnt(1)
	v_mul_f64 v[186:187], v[2:3], v[12:13]
	v_mul_f64 v[12:13], v[4:5], v[12:13]
	s_waitcnt vmcnt(8) lgkmcnt(0)
	v_mul_f64 v[180:181], v[168:169], v[16:17]
	v_mul_f64 v[16:17], v[170:171], v[16:17]
	v_add_f64 v[178:179], v[178:179], v[184:185]
	v_add_f64 v[176:177], v[176:177], v[182:183]
	v_fma_f64 v[182:183], v[4:5], v[10:11], v[186:187]
	v_fma_f64 v[184:185], v[2:3], v[10:11], -v[12:13]
	ds_load_b128 v[2:5], v1 offset:1088
	scratch_load_b128 v[10:13], off, off offset:592
	v_fma_f64 v[170:171], v[170:171], v[14:15], v[180:181]
	v_fma_f64 v[168:169], v[168:169], v[14:15], -v[16:17]
	scratch_load_b128 v[14:17], off, off offset:608
	v_add_f64 v[178:179], v[178:179], v[172:173]
	v_add_f64 v[176:177], v[176:177], v[174:175]
	ds_load_b128 v[172:175], v1 offset:1104
	s_waitcnt vmcnt(9) lgkmcnt(1)
	v_mul_f64 v[186:187], v[2:3], v[20:21]
	v_mul_f64 v[20:21], v[4:5], v[20:21]
	s_waitcnt vmcnt(8) lgkmcnt(0)
	v_mul_f64 v[180:181], v[172:173], v[24:25]
	v_mul_f64 v[24:25], v[174:175], v[24:25]
	v_add_f64 v[178:179], v[178:179], v[184:185]
	v_add_f64 v[176:177], v[176:177], v[182:183]
	v_fma_f64 v[182:183], v[4:5], v[18:19], v[186:187]
	v_fma_f64 v[184:185], v[2:3], v[18:19], -v[20:21]
	ds_load_b128 v[2:5], v1 offset:1120
	ds_load_b128 v[18:21], v1 offset:1136
	v_fma_f64 v[174:175], v[174:175], v[22:23], v[180:181]
	v_fma_f64 v[22:23], v[172:173], v[22:23], -v[24:25]
	v_add_f64 v[168:169], v[178:179], v[168:169]
	v_add_f64 v[170:171], v[176:177], v[170:171]
	s_waitcnt vmcnt(7) lgkmcnt(1)
	v_mul_f64 v[176:177], v[2:3], v[28:29]
	v_mul_f64 v[28:29], v[4:5], v[28:29]
	s_delay_alu instid0(VALU_DEP_4) | instskip(NEXT) | instid1(VALU_DEP_4)
	v_add_f64 v[24:25], v[168:169], v[184:185]
	v_add_f64 v[168:169], v[170:171], v[182:183]
	s_waitcnt vmcnt(6) lgkmcnt(0)
	v_mul_f64 v[170:171], v[18:19], v[32:33]
	v_mul_f64 v[32:33], v[20:21], v[32:33]
	v_fma_f64 v[172:173], v[4:5], v[26:27], v[176:177]
	v_fma_f64 v[26:27], v[2:3], v[26:27], -v[28:29]
	v_add_f64 v[28:29], v[24:25], v[22:23]
	v_add_f64 v[168:169], v[168:169], v[174:175]
	ds_load_b128 v[2:5], v1 offset:1152
	ds_load_b128 v[22:25], v1 offset:1168
	v_fma_f64 v[20:21], v[20:21], v[30:31], v[170:171]
	v_fma_f64 v[18:19], v[18:19], v[30:31], -v[32:33]
	s_waitcnt vmcnt(5) lgkmcnt(1)
	v_mul_f64 v[174:175], v[2:3], v[36:37]
	v_mul_f64 v[36:37], v[4:5], v[36:37]
	s_waitcnt vmcnt(4) lgkmcnt(0)
	v_mul_f64 v[30:31], v[22:23], v[40:41]
	v_mul_f64 v[32:33], v[24:25], v[40:41]
	v_add_f64 v[26:27], v[28:29], v[26:27]
	v_add_f64 v[28:29], v[168:169], v[172:173]
	v_fma_f64 v[40:41], v[4:5], v[34:35], v[174:175]
	v_fma_f64 v[34:35], v[2:3], v[34:35], -v[36:37]
	v_fma_f64 v[24:25], v[24:25], v[38:39], v[30:31]
	v_fma_f64 v[22:23], v[22:23], v[38:39], -v[32:33]
	v_add_f64 v[26:27], v[26:27], v[18:19]
	v_add_f64 v[28:29], v[28:29], v[20:21]
	ds_load_b128 v[2:5], v1 offset:1184
	ds_load_b128 v[18:21], v1 offset:1200
	s_waitcnt vmcnt(3) lgkmcnt(1)
	v_mul_f64 v[36:37], v[2:3], v[44:45]
	v_mul_f64 v[44:45], v[4:5], v[44:45]
	s_waitcnt vmcnt(2) lgkmcnt(0)
	v_mul_f64 v[30:31], v[18:19], v[8:9]
	v_mul_f64 v[8:9], v[20:21], v[8:9]
	v_add_f64 v[26:27], v[26:27], v[34:35]
	v_add_f64 v[28:29], v[28:29], v[40:41]
	v_fma_f64 v[32:33], v[4:5], v[42:43], v[36:37]
	v_fma_f64 v[34:35], v[2:3], v[42:43], -v[44:45]
	v_fma_f64 v[20:21], v[20:21], v[6:7], v[30:31]
	v_fma_f64 v[6:7], v[18:19], v[6:7], -v[8:9]
	v_add_f64 v[26:27], v[26:27], v[22:23]
	v_add_f64 v[28:29], v[28:29], v[24:25]
	ds_load_b128 v[2:5], v1 offset:1216
	ds_load_b128 v[22:25], v1 offset:1232
	s_waitcnt vmcnt(1) lgkmcnt(1)
	v_mul_f64 v[36:37], v[2:3], v[12:13]
	v_mul_f64 v[12:13], v[4:5], v[12:13]
	v_add_f64 v[8:9], v[26:27], v[34:35]
	v_add_f64 v[18:19], v[28:29], v[32:33]
	s_waitcnt vmcnt(0) lgkmcnt(0)
	v_mul_f64 v[26:27], v[22:23], v[16:17]
	v_mul_f64 v[16:17], v[24:25], v[16:17]
	v_fma_f64 v[4:5], v[4:5], v[10:11], v[36:37]
	v_fma_f64 v[1:2], v[2:3], v[10:11], -v[12:13]
	v_add_f64 v[6:7], v[8:9], v[6:7]
	v_add_f64 v[8:9], v[18:19], v[20:21]
	v_fma_f64 v[10:11], v[24:25], v[14:15], v[26:27]
	v_fma_f64 v[12:13], v[22:23], v[14:15], -v[16:17]
	s_delay_alu instid0(VALU_DEP_4) | instskip(NEXT) | instid1(VALU_DEP_4)
	v_add_f64 v[1:2], v[6:7], v[1:2]
	v_add_f64 v[3:4], v[8:9], v[4:5]
	s_delay_alu instid0(VALU_DEP_2) | instskip(NEXT) | instid1(VALU_DEP_2)
	v_add_f64 v[1:2], v[1:2], v[12:13]
	v_add_f64 v[3:4], v[3:4], v[10:11]
	s_delay_alu instid0(VALU_DEP_2) | instskip(NEXT) | instid1(VALU_DEP_2)
	v_add_f64 v[1:2], v[164:165], -v[1:2]
	v_add_f64 v[3:4], v[166:167], -v[3:4]
	scratch_store_b128 off, v[1:4], off offset:64
	v_cmpx_lt_u32_e32 3, v124
	s_cbranch_execz .LBB38_241
; %bb.240:
	scratch_load_b128 v[1:4], v126, off
	v_mov_b32_e32 v5, 0
	s_delay_alu instid0(VALU_DEP_1)
	v_mov_b32_e32 v6, v5
	v_mov_b32_e32 v7, v5
	;; [unrolled: 1-line block ×3, first 2 shown]
	scratch_store_b128 off, v[5:8], off offset:48
	s_waitcnt vmcnt(0)
	ds_store_b128 v163, v[1:4]
.LBB38_241:
	s_or_b32 exec_lo, exec_lo, s2
	s_waitcnt lgkmcnt(0)
	s_waitcnt_vscnt null, 0x0
	s_barrier
	buffer_gl0_inv
	s_clause 0x7
	scratch_load_b128 v[2:5], off, off offset:64
	scratch_load_b128 v[6:9], off, off offset:80
	;; [unrolled: 1-line block ×8, first 2 shown]
	v_mov_b32_e32 v1, 0
	s_mov_b32 s2, exec_lo
	ds_load_b128 v[38:41], v1 offset:688
	s_clause 0x1
	scratch_load_b128 v[34:37], off, off offset:192
	scratch_load_b128 v[42:45], off, off offset:48
	ds_load_b128 v[164:167], v1 offset:704
	scratch_load_b128 v[168:171], off, off offset:208
	s_waitcnt vmcnt(10) lgkmcnt(1)
	v_mul_f64 v[172:173], v[40:41], v[4:5]
	v_mul_f64 v[4:5], v[38:39], v[4:5]
	s_delay_alu instid0(VALU_DEP_2) | instskip(NEXT) | instid1(VALU_DEP_2)
	v_fma_f64 v[178:179], v[38:39], v[2:3], -v[172:173]
	v_fma_f64 v[180:181], v[40:41], v[2:3], v[4:5]
	scratch_load_b128 v[38:41], off, off offset:224
	ds_load_b128 v[2:5], v1 offset:720
	s_waitcnt vmcnt(10) lgkmcnt(1)
	v_mul_f64 v[176:177], v[164:165], v[8:9]
	v_mul_f64 v[8:9], v[166:167], v[8:9]
	ds_load_b128 v[172:175], v1 offset:736
	s_waitcnt vmcnt(9) lgkmcnt(1)
	v_mul_f64 v[182:183], v[2:3], v[12:13]
	v_mul_f64 v[12:13], v[4:5], v[12:13]
	v_fma_f64 v[166:167], v[166:167], v[6:7], v[176:177]
	v_fma_f64 v[164:165], v[164:165], v[6:7], -v[8:9]
	v_add_f64 v[176:177], v[178:179], 0
	v_add_f64 v[178:179], v[180:181], 0
	scratch_load_b128 v[6:9], off, off offset:240
	v_fma_f64 v[182:183], v[4:5], v[10:11], v[182:183]
	v_fma_f64 v[184:185], v[2:3], v[10:11], -v[12:13]
	scratch_load_b128 v[10:13], off, off offset:256
	ds_load_b128 v[2:5], v1 offset:752
	s_waitcnt vmcnt(10) lgkmcnt(1)
	v_mul_f64 v[180:181], v[172:173], v[16:17]
	v_mul_f64 v[16:17], v[174:175], v[16:17]
	v_add_f64 v[176:177], v[176:177], v[164:165]
	v_add_f64 v[178:179], v[178:179], v[166:167]
	s_waitcnt vmcnt(9) lgkmcnt(0)
	v_mul_f64 v[186:187], v[2:3], v[20:21]
	v_mul_f64 v[20:21], v[4:5], v[20:21]
	ds_load_b128 v[164:167], v1 offset:768
	v_fma_f64 v[174:175], v[174:175], v[14:15], v[180:181]
	v_fma_f64 v[172:173], v[172:173], v[14:15], -v[16:17]
	scratch_load_b128 v[14:17], off, off offset:272
	v_add_f64 v[176:177], v[176:177], v[184:185]
	v_add_f64 v[178:179], v[178:179], v[182:183]
	v_fma_f64 v[182:183], v[4:5], v[18:19], v[186:187]
	v_fma_f64 v[184:185], v[2:3], v[18:19], -v[20:21]
	scratch_load_b128 v[18:21], off, off offset:288
	ds_load_b128 v[2:5], v1 offset:784
	s_waitcnt vmcnt(10) lgkmcnt(1)
	v_mul_f64 v[180:181], v[164:165], v[24:25]
	v_mul_f64 v[24:25], v[166:167], v[24:25]
	s_waitcnt vmcnt(9) lgkmcnt(0)
	v_mul_f64 v[186:187], v[2:3], v[28:29]
	v_mul_f64 v[28:29], v[4:5], v[28:29]
	v_add_f64 v[176:177], v[176:177], v[172:173]
	v_add_f64 v[178:179], v[178:179], v[174:175]
	ds_load_b128 v[172:175], v1 offset:800
	v_fma_f64 v[166:167], v[166:167], v[22:23], v[180:181]
	v_fma_f64 v[164:165], v[164:165], v[22:23], -v[24:25]
	scratch_load_b128 v[22:25], off, off offset:304
	v_add_f64 v[176:177], v[176:177], v[184:185]
	v_add_f64 v[178:179], v[178:179], v[182:183]
	v_fma_f64 v[182:183], v[4:5], v[26:27], v[186:187]
	v_fma_f64 v[184:185], v[2:3], v[26:27], -v[28:29]
	scratch_load_b128 v[26:29], off, off offset:320
	ds_load_b128 v[2:5], v1 offset:816
	s_waitcnt vmcnt(10) lgkmcnt(1)
	v_mul_f64 v[180:181], v[172:173], v[32:33]
	v_mul_f64 v[32:33], v[174:175], v[32:33]
	s_waitcnt vmcnt(9) lgkmcnt(0)
	v_mul_f64 v[186:187], v[2:3], v[36:37]
	v_mul_f64 v[36:37], v[4:5], v[36:37]
	v_add_f64 v[176:177], v[176:177], v[164:165]
	v_add_f64 v[178:179], v[178:179], v[166:167]
	ds_load_b128 v[164:167], v1 offset:832
	v_fma_f64 v[174:175], v[174:175], v[30:31], v[180:181]
	v_fma_f64 v[172:173], v[172:173], v[30:31], -v[32:33]
	scratch_load_b128 v[30:33], off, off offset:336
	v_add_f64 v[176:177], v[176:177], v[184:185]
	v_add_f64 v[178:179], v[178:179], v[182:183]
	v_fma_f64 v[184:185], v[4:5], v[34:35], v[186:187]
	v_fma_f64 v[186:187], v[2:3], v[34:35], -v[36:37]
	scratch_load_b128 v[34:37], off, off offset:352
	ds_load_b128 v[2:5], v1 offset:848
	s_waitcnt vmcnt(9) lgkmcnt(1)
	v_mul_f64 v[180:181], v[164:165], v[170:171]
	v_mul_f64 v[182:183], v[166:167], v[170:171]
	v_add_f64 v[176:177], v[176:177], v[172:173]
	v_add_f64 v[174:175], v[178:179], v[174:175]
	ds_load_b128 v[170:173], v1 offset:864
	v_fma_f64 v[180:181], v[166:167], v[168:169], v[180:181]
	v_fma_f64 v[168:169], v[164:165], v[168:169], -v[182:183]
	scratch_load_b128 v[164:167], off, off offset:368
	s_waitcnt vmcnt(9) lgkmcnt(1)
	v_mul_f64 v[178:179], v[2:3], v[40:41]
	v_mul_f64 v[40:41], v[4:5], v[40:41]
	v_add_f64 v[176:177], v[176:177], v[186:187]
	v_add_f64 v[174:175], v[174:175], v[184:185]
	s_delay_alu instid0(VALU_DEP_4) | instskip(NEXT) | instid1(VALU_DEP_4)
	v_fma_f64 v[178:179], v[4:5], v[38:39], v[178:179]
	v_fma_f64 v[184:185], v[2:3], v[38:39], -v[40:41]
	scratch_load_b128 v[38:41], off, off offset:384
	ds_load_b128 v[2:5], v1 offset:880
	s_waitcnt vmcnt(9) lgkmcnt(1)
	v_mul_f64 v[182:183], v[170:171], v[8:9]
	v_mul_f64 v[8:9], v[172:173], v[8:9]
	s_waitcnt vmcnt(8) lgkmcnt(0)
	v_mul_f64 v[186:187], v[2:3], v[12:13]
	v_mul_f64 v[12:13], v[4:5], v[12:13]
	v_add_f64 v[168:169], v[176:177], v[168:169]
	v_add_f64 v[180:181], v[174:175], v[180:181]
	ds_load_b128 v[174:177], v1 offset:896
	v_fma_f64 v[172:173], v[172:173], v[6:7], v[182:183]
	v_fma_f64 v[170:171], v[170:171], v[6:7], -v[8:9]
	scratch_load_b128 v[6:9], off, off offset:400
	v_fma_f64 v[182:183], v[4:5], v[10:11], v[186:187]
	v_add_f64 v[168:169], v[168:169], v[184:185]
	v_add_f64 v[178:179], v[180:181], v[178:179]
	v_fma_f64 v[184:185], v[2:3], v[10:11], -v[12:13]
	scratch_load_b128 v[10:13], off, off offset:416
	ds_load_b128 v[2:5], v1 offset:912
	s_waitcnt vmcnt(9) lgkmcnt(1)
	v_mul_f64 v[180:181], v[174:175], v[16:17]
	v_mul_f64 v[16:17], v[176:177], v[16:17]
	v_add_f64 v[186:187], v[168:169], v[170:171]
	v_add_f64 v[172:173], v[178:179], v[172:173]
	s_waitcnt vmcnt(8) lgkmcnt(0)
	v_mul_f64 v[178:179], v[2:3], v[20:21]
	v_mul_f64 v[20:21], v[4:5], v[20:21]
	ds_load_b128 v[168:171], v1 offset:928
	v_fma_f64 v[176:177], v[176:177], v[14:15], v[180:181]
	v_fma_f64 v[174:175], v[174:175], v[14:15], -v[16:17]
	scratch_load_b128 v[14:17], off, off offset:432
	v_add_f64 v[180:181], v[186:187], v[184:185]
	v_add_f64 v[172:173], v[172:173], v[182:183]
	v_fma_f64 v[178:179], v[4:5], v[18:19], v[178:179]
	v_fma_f64 v[184:185], v[2:3], v[18:19], -v[20:21]
	scratch_load_b128 v[18:21], off, off offset:448
	ds_load_b128 v[2:5], v1 offset:944
	s_waitcnt vmcnt(9) lgkmcnt(1)
	v_mul_f64 v[182:183], v[168:169], v[24:25]
	v_mul_f64 v[24:25], v[170:171], v[24:25]
	s_waitcnt vmcnt(8) lgkmcnt(0)
	v_mul_f64 v[186:187], v[2:3], v[28:29]
	v_mul_f64 v[28:29], v[4:5], v[28:29]
	v_add_f64 v[180:181], v[180:181], v[174:175]
	v_add_f64 v[176:177], v[172:173], v[176:177]
	ds_load_b128 v[172:175], v1 offset:960
	v_fma_f64 v[170:171], v[170:171], v[22:23], v[182:183]
	v_fma_f64 v[168:169], v[168:169], v[22:23], -v[24:25]
	scratch_load_b128 v[22:25], off, off offset:464
	v_fma_f64 v[182:183], v[4:5], v[26:27], v[186:187]
	v_add_f64 v[180:181], v[180:181], v[184:185]
	v_add_f64 v[176:177], v[176:177], v[178:179]
	v_fma_f64 v[184:185], v[2:3], v[26:27], -v[28:29]
	scratch_load_b128 v[26:29], off, off offset:480
	ds_load_b128 v[2:5], v1 offset:976
	s_waitcnt vmcnt(9) lgkmcnt(1)
	v_mul_f64 v[178:179], v[172:173], v[32:33]
	v_mul_f64 v[32:33], v[174:175], v[32:33]
	s_waitcnt vmcnt(8) lgkmcnt(0)
	v_mul_f64 v[186:187], v[2:3], v[36:37]
	v_mul_f64 v[36:37], v[4:5], v[36:37]
	v_add_f64 v[180:181], v[180:181], v[168:169]
	v_add_f64 v[176:177], v[176:177], v[170:171]
	ds_load_b128 v[168:171], v1 offset:992
	v_fma_f64 v[174:175], v[174:175], v[30:31], v[178:179]
	v_fma_f64 v[172:173], v[172:173], v[30:31], -v[32:33]
	scratch_load_b128 v[30:33], off, off offset:496
	v_add_f64 v[178:179], v[180:181], v[184:185]
	v_add_f64 v[176:177], v[176:177], v[182:183]
	v_fma_f64 v[182:183], v[4:5], v[34:35], v[186:187]
	v_fma_f64 v[184:185], v[2:3], v[34:35], -v[36:37]
	scratch_load_b128 v[34:37], off, off offset:512
	ds_load_b128 v[2:5], v1 offset:1008
	s_waitcnt vmcnt(9) lgkmcnt(1)
	v_mul_f64 v[180:181], v[168:169], v[166:167]
	v_mul_f64 v[166:167], v[170:171], v[166:167]
	s_waitcnt vmcnt(8) lgkmcnt(0)
	v_mul_f64 v[186:187], v[2:3], v[40:41]
	v_mul_f64 v[40:41], v[4:5], v[40:41]
	v_add_f64 v[178:179], v[178:179], v[172:173]
	v_add_f64 v[176:177], v[176:177], v[174:175]
	ds_load_b128 v[172:175], v1 offset:1024
	v_fma_f64 v[170:171], v[170:171], v[164:165], v[180:181]
	v_fma_f64 v[168:169], v[168:169], v[164:165], -v[166:167]
	scratch_load_b128 v[164:167], off, off offset:528
	v_add_f64 v[178:179], v[178:179], v[184:185]
	v_add_f64 v[176:177], v[176:177], v[182:183]
	v_fma_f64 v[182:183], v[4:5], v[38:39], v[186:187]
	v_fma_f64 v[184:185], v[2:3], v[38:39], -v[40:41]
	scratch_load_b128 v[38:41], off, off offset:544
	ds_load_b128 v[2:5], v1 offset:1040
	s_waitcnt vmcnt(9) lgkmcnt(1)
	v_mul_f64 v[180:181], v[172:173], v[8:9]
	v_mul_f64 v[8:9], v[174:175], v[8:9]
	s_waitcnt vmcnt(8) lgkmcnt(0)
	v_mul_f64 v[186:187], v[2:3], v[12:13]
	v_mul_f64 v[12:13], v[4:5], v[12:13]
	v_add_f64 v[178:179], v[178:179], v[168:169]
	v_add_f64 v[176:177], v[176:177], v[170:171]
	ds_load_b128 v[168:171], v1 offset:1056
	v_fma_f64 v[174:175], v[174:175], v[6:7], v[180:181]
	v_fma_f64 v[172:173], v[172:173], v[6:7], -v[8:9]
	scratch_load_b128 v[6:9], off, off offset:560
	v_add_f64 v[178:179], v[178:179], v[184:185]
	v_add_f64 v[176:177], v[176:177], v[182:183]
	v_fma_f64 v[182:183], v[4:5], v[10:11], v[186:187]
	v_fma_f64 v[184:185], v[2:3], v[10:11], -v[12:13]
	scratch_load_b128 v[10:13], off, off offset:576
	ds_load_b128 v[2:5], v1 offset:1072
	s_waitcnt vmcnt(9) lgkmcnt(1)
	v_mul_f64 v[180:181], v[168:169], v[16:17]
	v_mul_f64 v[16:17], v[170:171], v[16:17]
	s_waitcnt vmcnt(8) lgkmcnt(0)
	v_mul_f64 v[186:187], v[2:3], v[20:21]
	v_mul_f64 v[20:21], v[4:5], v[20:21]
	v_add_f64 v[178:179], v[178:179], v[172:173]
	v_add_f64 v[176:177], v[176:177], v[174:175]
	ds_load_b128 v[172:175], v1 offset:1088
	v_fma_f64 v[170:171], v[170:171], v[14:15], v[180:181]
	v_fma_f64 v[168:169], v[168:169], v[14:15], -v[16:17]
	scratch_load_b128 v[14:17], off, off offset:592
	v_add_f64 v[178:179], v[178:179], v[184:185]
	v_add_f64 v[176:177], v[176:177], v[182:183]
	v_fma_f64 v[182:183], v[4:5], v[18:19], v[186:187]
	v_fma_f64 v[184:185], v[2:3], v[18:19], -v[20:21]
	scratch_load_b128 v[18:21], off, off offset:608
	ds_load_b128 v[2:5], v1 offset:1104
	s_waitcnt vmcnt(9) lgkmcnt(1)
	v_mul_f64 v[180:181], v[172:173], v[24:25]
	v_mul_f64 v[24:25], v[174:175], v[24:25]
	s_waitcnt vmcnt(8) lgkmcnt(0)
	v_mul_f64 v[186:187], v[2:3], v[28:29]
	v_mul_f64 v[28:29], v[4:5], v[28:29]
	v_add_f64 v[178:179], v[178:179], v[168:169]
	v_add_f64 v[176:177], v[176:177], v[170:171]
	ds_load_b128 v[168:171], v1 offset:1120
	v_fma_f64 v[174:175], v[174:175], v[22:23], v[180:181]
	v_fma_f64 v[22:23], v[172:173], v[22:23], -v[24:25]
	v_add_f64 v[24:25], v[178:179], v[184:185]
	v_add_f64 v[172:173], v[176:177], v[182:183]
	s_waitcnt vmcnt(7) lgkmcnt(0)
	v_mul_f64 v[176:177], v[168:169], v[32:33]
	v_mul_f64 v[32:33], v[170:171], v[32:33]
	v_fma_f64 v[178:179], v[4:5], v[26:27], v[186:187]
	v_fma_f64 v[26:27], v[2:3], v[26:27], -v[28:29]
	v_add_f64 v[28:29], v[24:25], v[22:23]
	v_add_f64 v[172:173], v[172:173], v[174:175]
	ds_load_b128 v[2:5], v1 offset:1136
	ds_load_b128 v[22:25], v1 offset:1152
	v_fma_f64 v[170:171], v[170:171], v[30:31], v[176:177]
	v_fma_f64 v[30:31], v[168:169], v[30:31], -v[32:33]
	s_waitcnt vmcnt(6) lgkmcnt(1)
	v_mul_f64 v[174:175], v[2:3], v[36:37]
	v_mul_f64 v[36:37], v[4:5], v[36:37]
	s_waitcnt vmcnt(5) lgkmcnt(0)
	v_mul_f64 v[32:33], v[22:23], v[166:167]
	v_mul_f64 v[166:167], v[24:25], v[166:167]
	v_add_f64 v[26:27], v[28:29], v[26:27]
	v_add_f64 v[28:29], v[172:173], v[178:179]
	v_fma_f64 v[168:169], v[4:5], v[34:35], v[174:175]
	v_fma_f64 v[34:35], v[2:3], v[34:35], -v[36:37]
	v_fma_f64 v[24:25], v[24:25], v[164:165], v[32:33]
	v_fma_f64 v[22:23], v[22:23], v[164:165], -v[166:167]
	v_add_f64 v[30:31], v[26:27], v[30:31]
	v_add_f64 v[36:37], v[28:29], v[170:171]
	ds_load_b128 v[2:5], v1 offset:1168
	ds_load_b128 v[26:29], v1 offset:1184
	s_waitcnt vmcnt(4) lgkmcnt(1)
	v_mul_f64 v[170:171], v[2:3], v[40:41]
	v_mul_f64 v[40:41], v[4:5], v[40:41]
	v_add_f64 v[30:31], v[30:31], v[34:35]
	v_add_f64 v[32:33], v[36:37], v[168:169]
	s_waitcnt vmcnt(3) lgkmcnt(0)
	v_mul_f64 v[34:35], v[26:27], v[8:9]
	v_mul_f64 v[8:9], v[28:29], v[8:9]
	v_fma_f64 v[36:37], v[4:5], v[38:39], v[170:171]
	v_fma_f64 v[38:39], v[2:3], v[38:39], -v[40:41]
	v_add_f64 v[30:31], v[30:31], v[22:23]
	v_add_f64 v[32:33], v[32:33], v[24:25]
	ds_load_b128 v[2:5], v1 offset:1200
	ds_load_b128 v[22:25], v1 offset:1216
	v_fma_f64 v[28:29], v[28:29], v[6:7], v[34:35]
	v_fma_f64 v[6:7], v[26:27], v[6:7], -v[8:9]
	s_waitcnt vmcnt(2) lgkmcnt(1)
	v_mul_f64 v[40:41], v[2:3], v[12:13]
	v_mul_f64 v[12:13], v[4:5], v[12:13]
	v_add_f64 v[8:9], v[30:31], v[38:39]
	v_add_f64 v[26:27], v[32:33], v[36:37]
	s_waitcnt vmcnt(1) lgkmcnt(0)
	v_mul_f64 v[30:31], v[22:23], v[16:17]
	v_mul_f64 v[16:17], v[24:25], v[16:17]
	v_fma_f64 v[32:33], v[4:5], v[10:11], v[40:41]
	v_fma_f64 v[10:11], v[2:3], v[10:11], -v[12:13]
	ds_load_b128 v[2:5], v1 offset:1232
	v_add_f64 v[6:7], v[8:9], v[6:7]
	v_add_f64 v[8:9], v[26:27], v[28:29]
	v_fma_f64 v[24:25], v[24:25], v[14:15], v[30:31]
	v_fma_f64 v[14:15], v[22:23], v[14:15], -v[16:17]
	s_waitcnt vmcnt(0) lgkmcnt(0)
	v_mul_f64 v[12:13], v[2:3], v[20:21]
	v_mul_f64 v[20:21], v[4:5], v[20:21]
	v_add_f64 v[6:7], v[6:7], v[10:11]
	v_add_f64 v[8:9], v[8:9], v[32:33]
	s_delay_alu instid0(VALU_DEP_4) | instskip(NEXT) | instid1(VALU_DEP_4)
	v_fma_f64 v[4:5], v[4:5], v[18:19], v[12:13]
	v_fma_f64 v[2:3], v[2:3], v[18:19], -v[20:21]
	s_delay_alu instid0(VALU_DEP_4) | instskip(NEXT) | instid1(VALU_DEP_4)
	v_add_f64 v[6:7], v[6:7], v[14:15]
	v_add_f64 v[8:9], v[8:9], v[24:25]
	s_delay_alu instid0(VALU_DEP_2) | instskip(NEXT) | instid1(VALU_DEP_2)
	v_add_f64 v[2:3], v[6:7], v[2:3]
	v_add_f64 v[4:5], v[8:9], v[4:5]
	s_delay_alu instid0(VALU_DEP_2) | instskip(NEXT) | instid1(VALU_DEP_2)
	v_add_f64 v[2:3], v[42:43], -v[2:3]
	v_add_f64 v[4:5], v[44:45], -v[4:5]
	scratch_store_b128 off, v[2:5], off offset:48
	v_cmpx_lt_u32_e32 2, v124
	s_cbranch_execz .LBB38_243
; %bb.242:
	scratch_load_b128 v[5:8], v127, off
	v_mov_b32_e32 v2, v1
	v_mov_b32_e32 v3, v1
	v_mov_b32_e32 v4, v1
	scratch_store_b128 off, v[1:4], off offset:32
	s_waitcnt vmcnt(0)
	ds_store_b128 v163, v[5:8]
.LBB38_243:
	s_or_b32 exec_lo, exec_lo, s2
	s_waitcnt lgkmcnt(0)
	s_waitcnt_vscnt null, 0x0
	s_barrier
	buffer_gl0_inv
	s_clause 0x8
	scratch_load_b128 v[2:5], off, off offset:48
	scratch_load_b128 v[6:9], off, off offset:64
	;; [unrolled: 1-line block ×9, first 2 shown]
	ds_load_b128 v[42:45], v1 offset:672
	ds_load_b128 v[38:41], v1 offset:688
	s_clause 0x1
	scratch_load_b128 v[164:167], off, off offset:32
	scratch_load_b128 v[168:171], off, off offset:192
	s_mov_b32 s2, exec_lo
	s_waitcnt vmcnt(10) lgkmcnt(1)
	v_mul_f64 v[172:173], v[44:45], v[4:5]
	v_mul_f64 v[4:5], v[42:43], v[4:5]
	s_waitcnt vmcnt(9) lgkmcnt(0)
	v_mul_f64 v[176:177], v[38:39], v[8:9]
	v_mul_f64 v[8:9], v[40:41], v[8:9]
	s_delay_alu instid0(VALU_DEP_4) | instskip(NEXT) | instid1(VALU_DEP_4)
	v_fma_f64 v[178:179], v[42:43], v[2:3], -v[172:173]
	v_fma_f64 v[180:181], v[44:45], v[2:3], v[4:5]
	ds_load_b128 v[2:5], v1 offset:704
	ds_load_b128 v[172:175], v1 offset:720
	scratch_load_b128 v[42:45], off, off offset:208
	v_fma_f64 v[40:41], v[40:41], v[6:7], v[176:177]
	v_fma_f64 v[38:39], v[38:39], v[6:7], -v[8:9]
	scratch_load_b128 v[6:9], off, off offset:224
	s_waitcnt vmcnt(10) lgkmcnt(1)
	v_mul_f64 v[182:183], v[2:3], v[12:13]
	v_mul_f64 v[12:13], v[4:5], v[12:13]
	v_add_f64 v[176:177], v[178:179], 0
	v_add_f64 v[178:179], v[180:181], 0
	s_waitcnt vmcnt(9) lgkmcnt(0)
	v_mul_f64 v[180:181], v[172:173], v[16:17]
	v_mul_f64 v[16:17], v[174:175], v[16:17]
	v_fma_f64 v[182:183], v[4:5], v[10:11], v[182:183]
	v_fma_f64 v[184:185], v[2:3], v[10:11], -v[12:13]
	ds_load_b128 v[2:5], v1 offset:736
	scratch_load_b128 v[10:13], off, off offset:240
	v_add_f64 v[176:177], v[176:177], v[38:39]
	v_add_f64 v[178:179], v[178:179], v[40:41]
	ds_load_b128 v[38:41], v1 offset:752
	v_fma_f64 v[174:175], v[174:175], v[14:15], v[180:181]
	v_fma_f64 v[172:173], v[172:173], v[14:15], -v[16:17]
	scratch_load_b128 v[14:17], off, off offset:256
	s_waitcnt vmcnt(10) lgkmcnt(1)
	v_mul_f64 v[186:187], v[2:3], v[20:21]
	v_mul_f64 v[20:21], v[4:5], v[20:21]
	s_waitcnt vmcnt(9) lgkmcnt(0)
	v_mul_f64 v[180:181], v[38:39], v[24:25]
	v_mul_f64 v[24:25], v[40:41], v[24:25]
	v_add_f64 v[176:177], v[176:177], v[184:185]
	v_add_f64 v[178:179], v[178:179], v[182:183]
	v_fma_f64 v[182:183], v[4:5], v[18:19], v[186:187]
	v_fma_f64 v[184:185], v[2:3], v[18:19], -v[20:21]
	ds_load_b128 v[2:5], v1 offset:768
	scratch_load_b128 v[18:21], off, off offset:272
	v_fma_f64 v[40:41], v[40:41], v[22:23], v[180:181]
	v_fma_f64 v[38:39], v[38:39], v[22:23], -v[24:25]
	scratch_load_b128 v[22:25], off, off offset:288
	v_add_f64 v[176:177], v[176:177], v[172:173]
	v_add_f64 v[178:179], v[178:179], v[174:175]
	ds_load_b128 v[172:175], v1 offset:784
	s_waitcnt vmcnt(10) lgkmcnt(1)
	v_mul_f64 v[186:187], v[2:3], v[28:29]
	v_mul_f64 v[28:29], v[4:5], v[28:29]
	s_waitcnt vmcnt(9) lgkmcnt(0)
	v_mul_f64 v[180:181], v[172:173], v[32:33]
	v_mul_f64 v[32:33], v[174:175], v[32:33]
	v_add_f64 v[176:177], v[176:177], v[184:185]
	v_add_f64 v[178:179], v[178:179], v[182:183]
	v_fma_f64 v[182:183], v[4:5], v[26:27], v[186:187]
	v_fma_f64 v[184:185], v[2:3], v[26:27], -v[28:29]
	ds_load_b128 v[2:5], v1 offset:800
	scratch_load_b128 v[26:29], off, off offset:304
	v_fma_f64 v[174:175], v[174:175], v[30:31], v[180:181]
	v_fma_f64 v[172:173], v[172:173], v[30:31], -v[32:33]
	scratch_load_b128 v[30:33], off, off offset:320
	v_add_f64 v[176:177], v[176:177], v[38:39]
	v_add_f64 v[178:179], v[178:179], v[40:41]
	ds_load_b128 v[38:41], v1 offset:816
	s_waitcnt vmcnt(10) lgkmcnt(1)
	v_mul_f64 v[186:187], v[2:3], v[36:37]
	v_mul_f64 v[36:37], v[4:5], v[36:37]
	s_waitcnt vmcnt(8) lgkmcnt(0)
	v_mul_f64 v[180:181], v[38:39], v[170:171]
	v_add_f64 v[176:177], v[176:177], v[184:185]
	v_add_f64 v[178:179], v[178:179], v[182:183]
	v_mul_f64 v[182:183], v[40:41], v[170:171]
	v_fma_f64 v[184:185], v[4:5], v[34:35], v[186:187]
	v_fma_f64 v[186:187], v[2:3], v[34:35], -v[36:37]
	ds_load_b128 v[2:5], v1 offset:832
	scratch_load_b128 v[34:37], off, off offset:336
	v_fma_f64 v[180:181], v[40:41], v[168:169], v[180:181]
	v_add_f64 v[176:177], v[176:177], v[172:173]
	v_add_f64 v[174:175], v[178:179], v[174:175]
	ds_load_b128 v[170:173], v1 offset:848
	v_fma_f64 v[168:169], v[38:39], v[168:169], -v[182:183]
	scratch_load_b128 v[38:41], off, off offset:352
	s_waitcnt vmcnt(9) lgkmcnt(1)
	v_mul_f64 v[178:179], v[2:3], v[44:45]
	v_mul_f64 v[44:45], v[4:5], v[44:45]
	s_waitcnt vmcnt(8) lgkmcnt(0)
	v_mul_f64 v[182:183], v[170:171], v[8:9]
	v_mul_f64 v[8:9], v[172:173], v[8:9]
	v_add_f64 v[176:177], v[176:177], v[186:187]
	v_add_f64 v[174:175], v[174:175], v[184:185]
	v_fma_f64 v[178:179], v[4:5], v[42:43], v[178:179]
	v_fma_f64 v[184:185], v[2:3], v[42:43], -v[44:45]
	ds_load_b128 v[2:5], v1 offset:864
	scratch_load_b128 v[42:45], off, off offset:368
	v_fma_f64 v[172:173], v[172:173], v[6:7], v[182:183]
	v_fma_f64 v[170:171], v[170:171], v[6:7], -v[8:9]
	scratch_load_b128 v[6:9], off, off offset:384
	v_add_f64 v[168:169], v[176:177], v[168:169]
	v_add_f64 v[180:181], v[174:175], v[180:181]
	ds_load_b128 v[174:177], v1 offset:880
	s_waitcnt vmcnt(9) lgkmcnt(1)
	v_mul_f64 v[186:187], v[2:3], v[12:13]
	v_mul_f64 v[12:13], v[4:5], v[12:13]
	v_add_f64 v[168:169], v[168:169], v[184:185]
	v_add_f64 v[178:179], v[180:181], v[178:179]
	s_waitcnt vmcnt(8) lgkmcnt(0)
	v_mul_f64 v[180:181], v[174:175], v[16:17]
	v_mul_f64 v[16:17], v[176:177], v[16:17]
	v_fma_f64 v[182:183], v[4:5], v[10:11], v[186:187]
	v_fma_f64 v[184:185], v[2:3], v[10:11], -v[12:13]
	ds_load_b128 v[2:5], v1 offset:896
	scratch_load_b128 v[10:13], off, off offset:400
	v_add_f64 v[186:187], v[168:169], v[170:171]
	v_add_f64 v[172:173], v[178:179], v[172:173]
	ds_load_b128 v[168:171], v1 offset:912
	s_waitcnt vmcnt(8) lgkmcnt(1)
	v_mul_f64 v[178:179], v[2:3], v[20:21]
	v_mul_f64 v[20:21], v[4:5], v[20:21]
	v_fma_f64 v[176:177], v[176:177], v[14:15], v[180:181]
	v_fma_f64 v[174:175], v[174:175], v[14:15], -v[16:17]
	scratch_load_b128 v[14:17], off, off offset:416
	v_add_f64 v[180:181], v[186:187], v[184:185]
	v_add_f64 v[172:173], v[172:173], v[182:183]
	s_waitcnt vmcnt(8) lgkmcnt(0)
	v_mul_f64 v[182:183], v[168:169], v[24:25]
	v_mul_f64 v[24:25], v[170:171], v[24:25]
	v_fma_f64 v[178:179], v[4:5], v[18:19], v[178:179]
	v_fma_f64 v[184:185], v[2:3], v[18:19], -v[20:21]
	ds_load_b128 v[2:5], v1 offset:928
	scratch_load_b128 v[18:21], off, off offset:432
	v_add_f64 v[180:181], v[180:181], v[174:175]
	v_add_f64 v[176:177], v[172:173], v[176:177]
	ds_load_b128 v[172:175], v1 offset:944
	s_waitcnt vmcnt(8) lgkmcnt(1)
	v_mul_f64 v[186:187], v[2:3], v[28:29]
	v_mul_f64 v[28:29], v[4:5], v[28:29]
	v_fma_f64 v[170:171], v[170:171], v[22:23], v[182:183]
	v_fma_f64 v[168:169], v[168:169], v[22:23], -v[24:25]
	scratch_load_b128 v[22:25], off, off offset:448
	;; [unrolled: 18-line block ×4, first 2 shown]
	s_waitcnt vmcnt(8) lgkmcnt(0)
	v_mul_f64 v[180:181], v[172:173], v[8:9]
	v_mul_f64 v[8:9], v[174:175], v[8:9]
	v_add_f64 v[178:179], v[178:179], v[184:185]
	v_add_f64 v[176:177], v[176:177], v[182:183]
	v_fma_f64 v[182:183], v[4:5], v[42:43], v[186:187]
	v_fma_f64 v[184:185], v[2:3], v[42:43], -v[44:45]
	ds_load_b128 v[2:5], v1 offset:1024
	scratch_load_b128 v[42:45], off, off offset:528
	v_fma_f64 v[174:175], v[174:175], v[6:7], v[180:181]
	v_fma_f64 v[172:173], v[172:173], v[6:7], -v[8:9]
	scratch_load_b128 v[6:9], off, off offset:544
	v_add_f64 v[178:179], v[178:179], v[168:169]
	v_add_f64 v[176:177], v[176:177], v[170:171]
	ds_load_b128 v[168:171], v1 offset:1040
	s_waitcnt vmcnt(9) lgkmcnt(1)
	v_mul_f64 v[186:187], v[2:3], v[12:13]
	v_mul_f64 v[12:13], v[4:5], v[12:13]
	s_waitcnt vmcnt(8) lgkmcnt(0)
	v_mul_f64 v[180:181], v[168:169], v[16:17]
	v_mul_f64 v[16:17], v[170:171], v[16:17]
	v_add_f64 v[178:179], v[178:179], v[184:185]
	v_add_f64 v[176:177], v[176:177], v[182:183]
	v_fma_f64 v[182:183], v[4:5], v[10:11], v[186:187]
	v_fma_f64 v[184:185], v[2:3], v[10:11], -v[12:13]
	ds_load_b128 v[2:5], v1 offset:1056
	scratch_load_b128 v[10:13], off, off offset:560
	v_fma_f64 v[170:171], v[170:171], v[14:15], v[180:181]
	v_fma_f64 v[168:169], v[168:169], v[14:15], -v[16:17]
	scratch_load_b128 v[14:17], off, off offset:576
	v_add_f64 v[178:179], v[178:179], v[172:173]
	v_add_f64 v[176:177], v[176:177], v[174:175]
	ds_load_b128 v[172:175], v1 offset:1072
	s_waitcnt vmcnt(9) lgkmcnt(1)
	v_mul_f64 v[186:187], v[2:3], v[20:21]
	v_mul_f64 v[20:21], v[4:5], v[20:21]
	;; [unrolled: 18-line block ×3, first 2 shown]
	s_waitcnt vmcnt(8) lgkmcnt(0)
	v_mul_f64 v[180:181], v[168:169], v[32:33]
	v_mul_f64 v[32:33], v[170:171], v[32:33]
	v_add_f64 v[178:179], v[178:179], v[184:185]
	v_add_f64 v[176:177], v[176:177], v[182:183]
	v_fma_f64 v[182:183], v[4:5], v[26:27], v[186:187]
	v_fma_f64 v[184:185], v[2:3], v[26:27], -v[28:29]
	ds_load_b128 v[2:5], v1 offset:1120
	ds_load_b128 v[26:29], v1 offset:1136
	v_fma_f64 v[170:171], v[170:171], v[30:31], v[180:181]
	v_fma_f64 v[30:31], v[168:169], v[30:31], -v[32:33]
	v_add_f64 v[172:173], v[178:179], v[172:173]
	v_add_f64 v[174:175], v[176:177], v[174:175]
	s_waitcnt vmcnt(7) lgkmcnt(1)
	v_mul_f64 v[176:177], v[2:3], v[36:37]
	v_mul_f64 v[36:37], v[4:5], v[36:37]
	s_delay_alu instid0(VALU_DEP_4) | instskip(NEXT) | instid1(VALU_DEP_4)
	v_add_f64 v[32:33], v[172:173], v[184:185]
	v_add_f64 v[168:169], v[174:175], v[182:183]
	s_waitcnt vmcnt(6) lgkmcnt(0)
	v_mul_f64 v[172:173], v[26:27], v[40:41]
	v_mul_f64 v[40:41], v[28:29], v[40:41]
	v_fma_f64 v[174:175], v[4:5], v[34:35], v[176:177]
	v_fma_f64 v[34:35], v[2:3], v[34:35], -v[36:37]
	v_add_f64 v[36:37], v[32:33], v[30:31]
	v_add_f64 v[168:169], v[168:169], v[170:171]
	ds_load_b128 v[2:5], v1 offset:1152
	ds_load_b128 v[30:33], v1 offset:1168
	v_fma_f64 v[28:29], v[28:29], v[38:39], v[172:173]
	v_fma_f64 v[26:27], v[26:27], v[38:39], -v[40:41]
	s_waitcnt vmcnt(5) lgkmcnt(1)
	v_mul_f64 v[170:171], v[2:3], v[44:45]
	v_mul_f64 v[44:45], v[4:5], v[44:45]
	s_waitcnt vmcnt(4) lgkmcnt(0)
	v_mul_f64 v[38:39], v[30:31], v[8:9]
	v_mul_f64 v[8:9], v[32:33], v[8:9]
	v_add_f64 v[34:35], v[36:37], v[34:35]
	v_add_f64 v[36:37], v[168:169], v[174:175]
	v_fma_f64 v[40:41], v[4:5], v[42:43], v[170:171]
	v_fma_f64 v[42:43], v[2:3], v[42:43], -v[44:45]
	v_fma_f64 v[32:33], v[32:33], v[6:7], v[38:39]
	v_fma_f64 v[6:7], v[30:31], v[6:7], -v[8:9]
	v_add_f64 v[34:35], v[34:35], v[26:27]
	v_add_f64 v[36:37], v[36:37], v[28:29]
	ds_load_b128 v[2:5], v1 offset:1184
	ds_load_b128 v[26:29], v1 offset:1200
	s_waitcnt vmcnt(3) lgkmcnt(1)
	v_mul_f64 v[44:45], v[2:3], v[12:13]
	v_mul_f64 v[12:13], v[4:5], v[12:13]
	v_add_f64 v[8:9], v[34:35], v[42:43]
	v_add_f64 v[30:31], v[36:37], v[40:41]
	s_waitcnt vmcnt(2) lgkmcnt(0)
	v_mul_f64 v[34:35], v[26:27], v[16:17]
	v_mul_f64 v[16:17], v[28:29], v[16:17]
	v_fma_f64 v[36:37], v[4:5], v[10:11], v[44:45]
	v_fma_f64 v[10:11], v[2:3], v[10:11], -v[12:13]
	v_add_f64 v[12:13], v[8:9], v[6:7]
	v_add_f64 v[30:31], v[30:31], v[32:33]
	ds_load_b128 v[2:5], v1 offset:1216
	ds_load_b128 v[6:9], v1 offset:1232
	v_fma_f64 v[28:29], v[28:29], v[14:15], v[34:35]
	v_fma_f64 v[14:15], v[26:27], v[14:15], -v[16:17]
	s_waitcnt vmcnt(1) lgkmcnt(1)
	v_mul_f64 v[32:33], v[2:3], v[20:21]
	v_mul_f64 v[20:21], v[4:5], v[20:21]
	s_waitcnt vmcnt(0) lgkmcnt(0)
	v_mul_f64 v[16:17], v[6:7], v[24:25]
	v_mul_f64 v[24:25], v[8:9], v[24:25]
	v_add_f64 v[10:11], v[12:13], v[10:11]
	v_add_f64 v[12:13], v[30:31], v[36:37]
	v_fma_f64 v[4:5], v[4:5], v[18:19], v[32:33]
	v_fma_f64 v[1:2], v[2:3], v[18:19], -v[20:21]
	v_fma_f64 v[8:9], v[8:9], v[22:23], v[16:17]
	v_fma_f64 v[6:7], v[6:7], v[22:23], -v[24:25]
	v_add_f64 v[10:11], v[10:11], v[14:15]
	v_add_f64 v[12:13], v[12:13], v[28:29]
	s_delay_alu instid0(VALU_DEP_2) | instskip(NEXT) | instid1(VALU_DEP_2)
	v_add_f64 v[1:2], v[10:11], v[1:2]
	v_add_f64 v[3:4], v[12:13], v[4:5]
	s_delay_alu instid0(VALU_DEP_2) | instskip(NEXT) | instid1(VALU_DEP_2)
	;; [unrolled: 3-line block ×3, first 2 shown]
	v_add_f64 v[1:2], v[164:165], -v[1:2]
	v_add_f64 v[3:4], v[166:167], -v[3:4]
	scratch_store_b128 off, v[1:4], off offset:32
	v_cmpx_lt_u32_e32 1, v124
	s_cbranch_execz .LBB38_245
; %bb.244:
	scratch_load_b128 v[1:4], v128, off
	v_mov_b32_e32 v5, 0
	s_delay_alu instid0(VALU_DEP_1)
	v_mov_b32_e32 v6, v5
	v_mov_b32_e32 v7, v5
	;; [unrolled: 1-line block ×3, first 2 shown]
	scratch_store_b128 off, v[5:8], off offset:16
	s_waitcnt vmcnt(0)
	ds_store_b128 v163, v[1:4]
.LBB38_245:
	s_or_b32 exec_lo, exec_lo, s2
	s_waitcnt lgkmcnt(0)
	s_waitcnt_vscnt null, 0x0
	s_barrier
	buffer_gl0_inv
	s_clause 0x7
	scratch_load_b128 v[2:5], off, off offset:32
	scratch_load_b128 v[6:9], off, off offset:48
	;; [unrolled: 1-line block ×8, first 2 shown]
	v_mov_b32_e32 v1, 0
	s_mov_b32 s2, exec_lo
	ds_load_b128 v[38:41], v1 offset:656
	s_clause 0x1
	scratch_load_b128 v[34:37], off, off offset:160
	scratch_load_b128 v[42:45], off, off offset:16
	ds_load_b128 v[164:167], v1 offset:672
	scratch_load_b128 v[168:171], off, off offset:176
	s_waitcnt vmcnt(10) lgkmcnt(1)
	v_mul_f64 v[172:173], v[40:41], v[4:5]
	v_mul_f64 v[4:5], v[38:39], v[4:5]
	s_delay_alu instid0(VALU_DEP_2) | instskip(NEXT) | instid1(VALU_DEP_2)
	v_fma_f64 v[178:179], v[38:39], v[2:3], -v[172:173]
	v_fma_f64 v[180:181], v[40:41], v[2:3], v[4:5]
	scratch_load_b128 v[38:41], off, off offset:192
	ds_load_b128 v[2:5], v1 offset:688
	s_waitcnt vmcnt(10) lgkmcnt(1)
	v_mul_f64 v[176:177], v[164:165], v[8:9]
	v_mul_f64 v[8:9], v[166:167], v[8:9]
	ds_load_b128 v[172:175], v1 offset:704
	s_waitcnt vmcnt(9) lgkmcnt(1)
	v_mul_f64 v[182:183], v[2:3], v[12:13]
	v_mul_f64 v[12:13], v[4:5], v[12:13]
	v_fma_f64 v[166:167], v[166:167], v[6:7], v[176:177]
	v_fma_f64 v[164:165], v[164:165], v[6:7], -v[8:9]
	v_add_f64 v[176:177], v[178:179], 0
	v_add_f64 v[178:179], v[180:181], 0
	scratch_load_b128 v[6:9], off, off offset:208
	v_fma_f64 v[182:183], v[4:5], v[10:11], v[182:183]
	v_fma_f64 v[184:185], v[2:3], v[10:11], -v[12:13]
	scratch_load_b128 v[10:13], off, off offset:224
	ds_load_b128 v[2:5], v1 offset:720
	s_waitcnt vmcnt(10) lgkmcnt(1)
	v_mul_f64 v[180:181], v[172:173], v[16:17]
	v_mul_f64 v[16:17], v[174:175], v[16:17]
	v_add_f64 v[176:177], v[176:177], v[164:165]
	v_add_f64 v[178:179], v[178:179], v[166:167]
	s_waitcnt vmcnt(9) lgkmcnt(0)
	v_mul_f64 v[186:187], v[2:3], v[20:21]
	v_mul_f64 v[20:21], v[4:5], v[20:21]
	ds_load_b128 v[164:167], v1 offset:736
	v_fma_f64 v[174:175], v[174:175], v[14:15], v[180:181]
	v_fma_f64 v[172:173], v[172:173], v[14:15], -v[16:17]
	scratch_load_b128 v[14:17], off, off offset:240
	v_add_f64 v[176:177], v[176:177], v[184:185]
	v_add_f64 v[178:179], v[178:179], v[182:183]
	v_fma_f64 v[182:183], v[4:5], v[18:19], v[186:187]
	v_fma_f64 v[184:185], v[2:3], v[18:19], -v[20:21]
	scratch_load_b128 v[18:21], off, off offset:256
	ds_load_b128 v[2:5], v1 offset:752
	s_waitcnt vmcnt(10) lgkmcnt(1)
	v_mul_f64 v[180:181], v[164:165], v[24:25]
	v_mul_f64 v[24:25], v[166:167], v[24:25]
	s_waitcnt vmcnt(9) lgkmcnt(0)
	v_mul_f64 v[186:187], v[2:3], v[28:29]
	v_mul_f64 v[28:29], v[4:5], v[28:29]
	v_add_f64 v[176:177], v[176:177], v[172:173]
	v_add_f64 v[178:179], v[178:179], v[174:175]
	ds_load_b128 v[172:175], v1 offset:768
	v_fma_f64 v[166:167], v[166:167], v[22:23], v[180:181]
	v_fma_f64 v[164:165], v[164:165], v[22:23], -v[24:25]
	scratch_load_b128 v[22:25], off, off offset:272
	v_add_f64 v[176:177], v[176:177], v[184:185]
	v_add_f64 v[178:179], v[178:179], v[182:183]
	v_fma_f64 v[182:183], v[4:5], v[26:27], v[186:187]
	v_fma_f64 v[184:185], v[2:3], v[26:27], -v[28:29]
	scratch_load_b128 v[26:29], off, off offset:288
	ds_load_b128 v[2:5], v1 offset:784
	s_waitcnt vmcnt(10) lgkmcnt(1)
	v_mul_f64 v[180:181], v[172:173], v[32:33]
	v_mul_f64 v[32:33], v[174:175], v[32:33]
	s_waitcnt vmcnt(9) lgkmcnt(0)
	v_mul_f64 v[186:187], v[2:3], v[36:37]
	v_mul_f64 v[36:37], v[4:5], v[36:37]
	v_add_f64 v[176:177], v[176:177], v[164:165]
	v_add_f64 v[178:179], v[178:179], v[166:167]
	ds_load_b128 v[164:167], v1 offset:800
	v_fma_f64 v[174:175], v[174:175], v[30:31], v[180:181]
	v_fma_f64 v[172:173], v[172:173], v[30:31], -v[32:33]
	scratch_load_b128 v[30:33], off, off offset:304
	v_add_f64 v[176:177], v[176:177], v[184:185]
	v_add_f64 v[178:179], v[178:179], v[182:183]
	v_fma_f64 v[184:185], v[4:5], v[34:35], v[186:187]
	v_fma_f64 v[186:187], v[2:3], v[34:35], -v[36:37]
	scratch_load_b128 v[34:37], off, off offset:320
	ds_load_b128 v[2:5], v1 offset:816
	s_waitcnt vmcnt(9) lgkmcnt(1)
	v_mul_f64 v[180:181], v[164:165], v[170:171]
	v_mul_f64 v[182:183], v[166:167], v[170:171]
	v_add_f64 v[176:177], v[176:177], v[172:173]
	v_add_f64 v[174:175], v[178:179], v[174:175]
	ds_load_b128 v[170:173], v1 offset:832
	v_fma_f64 v[180:181], v[166:167], v[168:169], v[180:181]
	v_fma_f64 v[168:169], v[164:165], v[168:169], -v[182:183]
	scratch_load_b128 v[164:167], off, off offset:336
	s_waitcnt vmcnt(9) lgkmcnt(1)
	v_mul_f64 v[178:179], v[2:3], v[40:41]
	v_mul_f64 v[40:41], v[4:5], v[40:41]
	v_add_f64 v[176:177], v[176:177], v[186:187]
	v_add_f64 v[174:175], v[174:175], v[184:185]
	s_delay_alu instid0(VALU_DEP_4) | instskip(NEXT) | instid1(VALU_DEP_4)
	v_fma_f64 v[178:179], v[4:5], v[38:39], v[178:179]
	v_fma_f64 v[184:185], v[2:3], v[38:39], -v[40:41]
	scratch_load_b128 v[38:41], off, off offset:352
	ds_load_b128 v[2:5], v1 offset:848
	s_waitcnt vmcnt(9) lgkmcnt(1)
	v_mul_f64 v[182:183], v[170:171], v[8:9]
	v_mul_f64 v[8:9], v[172:173], v[8:9]
	s_waitcnt vmcnt(8) lgkmcnt(0)
	v_mul_f64 v[186:187], v[2:3], v[12:13]
	v_mul_f64 v[12:13], v[4:5], v[12:13]
	v_add_f64 v[168:169], v[176:177], v[168:169]
	v_add_f64 v[180:181], v[174:175], v[180:181]
	ds_load_b128 v[174:177], v1 offset:864
	v_fma_f64 v[172:173], v[172:173], v[6:7], v[182:183]
	v_fma_f64 v[170:171], v[170:171], v[6:7], -v[8:9]
	scratch_load_b128 v[6:9], off, off offset:368
	v_fma_f64 v[182:183], v[4:5], v[10:11], v[186:187]
	v_add_f64 v[168:169], v[168:169], v[184:185]
	v_add_f64 v[178:179], v[180:181], v[178:179]
	v_fma_f64 v[184:185], v[2:3], v[10:11], -v[12:13]
	scratch_load_b128 v[10:13], off, off offset:384
	ds_load_b128 v[2:5], v1 offset:880
	s_waitcnt vmcnt(9) lgkmcnt(1)
	v_mul_f64 v[180:181], v[174:175], v[16:17]
	v_mul_f64 v[16:17], v[176:177], v[16:17]
	v_add_f64 v[186:187], v[168:169], v[170:171]
	v_add_f64 v[172:173], v[178:179], v[172:173]
	s_waitcnt vmcnt(8) lgkmcnt(0)
	v_mul_f64 v[178:179], v[2:3], v[20:21]
	v_mul_f64 v[20:21], v[4:5], v[20:21]
	ds_load_b128 v[168:171], v1 offset:896
	v_fma_f64 v[176:177], v[176:177], v[14:15], v[180:181]
	v_fma_f64 v[174:175], v[174:175], v[14:15], -v[16:17]
	scratch_load_b128 v[14:17], off, off offset:400
	v_add_f64 v[180:181], v[186:187], v[184:185]
	v_add_f64 v[172:173], v[172:173], v[182:183]
	v_fma_f64 v[178:179], v[4:5], v[18:19], v[178:179]
	v_fma_f64 v[184:185], v[2:3], v[18:19], -v[20:21]
	scratch_load_b128 v[18:21], off, off offset:416
	ds_load_b128 v[2:5], v1 offset:912
	s_waitcnt vmcnt(9) lgkmcnt(1)
	v_mul_f64 v[182:183], v[168:169], v[24:25]
	v_mul_f64 v[24:25], v[170:171], v[24:25]
	s_waitcnt vmcnt(8) lgkmcnt(0)
	v_mul_f64 v[186:187], v[2:3], v[28:29]
	v_mul_f64 v[28:29], v[4:5], v[28:29]
	v_add_f64 v[180:181], v[180:181], v[174:175]
	v_add_f64 v[176:177], v[172:173], v[176:177]
	ds_load_b128 v[172:175], v1 offset:928
	v_fma_f64 v[170:171], v[170:171], v[22:23], v[182:183]
	v_fma_f64 v[168:169], v[168:169], v[22:23], -v[24:25]
	scratch_load_b128 v[22:25], off, off offset:432
	v_fma_f64 v[182:183], v[4:5], v[26:27], v[186:187]
	v_add_f64 v[180:181], v[180:181], v[184:185]
	v_add_f64 v[176:177], v[176:177], v[178:179]
	v_fma_f64 v[184:185], v[2:3], v[26:27], -v[28:29]
	scratch_load_b128 v[26:29], off, off offset:448
	ds_load_b128 v[2:5], v1 offset:944
	s_waitcnt vmcnt(9) lgkmcnt(1)
	v_mul_f64 v[178:179], v[172:173], v[32:33]
	v_mul_f64 v[32:33], v[174:175], v[32:33]
	s_waitcnt vmcnt(8) lgkmcnt(0)
	v_mul_f64 v[186:187], v[2:3], v[36:37]
	v_mul_f64 v[36:37], v[4:5], v[36:37]
	v_add_f64 v[180:181], v[180:181], v[168:169]
	v_add_f64 v[176:177], v[176:177], v[170:171]
	ds_load_b128 v[168:171], v1 offset:960
	v_fma_f64 v[174:175], v[174:175], v[30:31], v[178:179]
	v_fma_f64 v[172:173], v[172:173], v[30:31], -v[32:33]
	scratch_load_b128 v[30:33], off, off offset:464
	v_add_f64 v[178:179], v[180:181], v[184:185]
	v_add_f64 v[176:177], v[176:177], v[182:183]
	v_fma_f64 v[182:183], v[4:5], v[34:35], v[186:187]
	v_fma_f64 v[184:185], v[2:3], v[34:35], -v[36:37]
	scratch_load_b128 v[34:37], off, off offset:480
	ds_load_b128 v[2:5], v1 offset:976
	s_waitcnt vmcnt(9) lgkmcnt(1)
	v_mul_f64 v[180:181], v[168:169], v[166:167]
	v_mul_f64 v[166:167], v[170:171], v[166:167]
	s_waitcnt vmcnt(8) lgkmcnt(0)
	v_mul_f64 v[186:187], v[2:3], v[40:41]
	v_mul_f64 v[40:41], v[4:5], v[40:41]
	v_add_f64 v[178:179], v[178:179], v[172:173]
	v_add_f64 v[176:177], v[176:177], v[174:175]
	ds_load_b128 v[172:175], v1 offset:992
	v_fma_f64 v[170:171], v[170:171], v[164:165], v[180:181]
	v_fma_f64 v[168:169], v[168:169], v[164:165], -v[166:167]
	scratch_load_b128 v[164:167], off, off offset:496
	v_add_f64 v[178:179], v[178:179], v[184:185]
	v_add_f64 v[176:177], v[176:177], v[182:183]
	v_fma_f64 v[182:183], v[4:5], v[38:39], v[186:187]
	v_fma_f64 v[184:185], v[2:3], v[38:39], -v[40:41]
	scratch_load_b128 v[38:41], off, off offset:512
	ds_load_b128 v[2:5], v1 offset:1008
	s_waitcnt vmcnt(9) lgkmcnt(1)
	v_mul_f64 v[180:181], v[172:173], v[8:9]
	v_mul_f64 v[8:9], v[174:175], v[8:9]
	s_waitcnt vmcnt(8) lgkmcnt(0)
	v_mul_f64 v[186:187], v[2:3], v[12:13]
	v_mul_f64 v[12:13], v[4:5], v[12:13]
	v_add_f64 v[178:179], v[178:179], v[168:169]
	v_add_f64 v[176:177], v[176:177], v[170:171]
	ds_load_b128 v[168:171], v1 offset:1024
	v_fma_f64 v[174:175], v[174:175], v[6:7], v[180:181]
	v_fma_f64 v[172:173], v[172:173], v[6:7], -v[8:9]
	scratch_load_b128 v[6:9], off, off offset:528
	v_add_f64 v[178:179], v[178:179], v[184:185]
	v_add_f64 v[176:177], v[176:177], v[182:183]
	v_fma_f64 v[182:183], v[4:5], v[10:11], v[186:187]
	v_fma_f64 v[184:185], v[2:3], v[10:11], -v[12:13]
	scratch_load_b128 v[10:13], off, off offset:544
	ds_load_b128 v[2:5], v1 offset:1040
	s_waitcnt vmcnt(9) lgkmcnt(1)
	v_mul_f64 v[180:181], v[168:169], v[16:17]
	v_mul_f64 v[16:17], v[170:171], v[16:17]
	s_waitcnt vmcnt(8) lgkmcnt(0)
	v_mul_f64 v[186:187], v[2:3], v[20:21]
	v_mul_f64 v[20:21], v[4:5], v[20:21]
	v_add_f64 v[178:179], v[178:179], v[172:173]
	v_add_f64 v[176:177], v[176:177], v[174:175]
	ds_load_b128 v[172:175], v1 offset:1056
	v_fma_f64 v[170:171], v[170:171], v[14:15], v[180:181]
	v_fma_f64 v[168:169], v[168:169], v[14:15], -v[16:17]
	scratch_load_b128 v[14:17], off, off offset:560
	v_add_f64 v[178:179], v[178:179], v[184:185]
	v_add_f64 v[176:177], v[176:177], v[182:183]
	v_fma_f64 v[182:183], v[4:5], v[18:19], v[186:187]
	v_fma_f64 v[184:185], v[2:3], v[18:19], -v[20:21]
	scratch_load_b128 v[18:21], off, off offset:576
	ds_load_b128 v[2:5], v1 offset:1072
	s_waitcnt vmcnt(9) lgkmcnt(1)
	v_mul_f64 v[180:181], v[172:173], v[24:25]
	v_mul_f64 v[24:25], v[174:175], v[24:25]
	s_waitcnt vmcnt(8) lgkmcnt(0)
	v_mul_f64 v[186:187], v[2:3], v[28:29]
	v_mul_f64 v[28:29], v[4:5], v[28:29]
	v_add_f64 v[178:179], v[178:179], v[168:169]
	v_add_f64 v[176:177], v[176:177], v[170:171]
	ds_load_b128 v[168:171], v1 offset:1088
	v_fma_f64 v[174:175], v[174:175], v[22:23], v[180:181]
	v_fma_f64 v[172:173], v[172:173], v[22:23], -v[24:25]
	scratch_load_b128 v[22:25], off, off offset:592
	v_add_f64 v[178:179], v[178:179], v[184:185]
	v_add_f64 v[176:177], v[176:177], v[182:183]
	v_fma_f64 v[182:183], v[4:5], v[26:27], v[186:187]
	v_fma_f64 v[184:185], v[2:3], v[26:27], -v[28:29]
	scratch_load_b128 v[26:29], off, off offset:608
	ds_load_b128 v[2:5], v1 offset:1104
	s_waitcnt vmcnt(9) lgkmcnt(1)
	v_mul_f64 v[180:181], v[168:169], v[32:33]
	v_mul_f64 v[32:33], v[170:171], v[32:33]
	s_waitcnt vmcnt(8) lgkmcnt(0)
	v_mul_f64 v[186:187], v[2:3], v[36:37]
	v_mul_f64 v[36:37], v[4:5], v[36:37]
	v_add_f64 v[178:179], v[178:179], v[172:173]
	v_add_f64 v[176:177], v[176:177], v[174:175]
	ds_load_b128 v[172:175], v1 offset:1120
	v_fma_f64 v[170:171], v[170:171], v[30:31], v[180:181]
	v_fma_f64 v[30:31], v[168:169], v[30:31], -v[32:33]
	v_add_f64 v[32:33], v[178:179], v[184:185]
	v_add_f64 v[168:169], v[176:177], v[182:183]
	s_waitcnt vmcnt(7) lgkmcnt(0)
	v_mul_f64 v[176:177], v[172:173], v[166:167]
	v_mul_f64 v[166:167], v[174:175], v[166:167]
	v_fma_f64 v[178:179], v[4:5], v[34:35], v[186:187]
	v_fma_f64 v[34:35], v[2:3], v[34:35], -v[36:37]
	v_add_f64 v[36:37], v[32:33], v[30:31]
	v_add_f64 v[168:169], v[168:169], v[170:171]
	ds_load_b128 v[2:5], v1 offset:1136
	ds_load_b128 v[30:33], v1 offset:1152
	v_fma_f64 v[174:175], v[174:175], v[164:165], v[176:177]
	v_fma_f64 v[164:165], v[172:173], v[164:165], -v[166:167]
	s_waitcnt vmcnt(6) lgkmcnt(1)
	v_mul_f64 v[170:171], v[2:3], v[40:41]
	v_mul_f64 v[40:41], v[4:5], v[40:41]
	s_waitcnt vmcnt(5) lgkmcnt(0)
	v_mul_f64 v[166:167], v[30:31], v[8:9]
	v_mul_f64 v[8:9], v[32:33], v[8:9]
	v_add_f64 v[34:35], v[36:37], v[34:35]
	v_add_f64 v[36:37], v[168:169], v[178:179]
	v_fma_f64 v[168:169], v[4:5], v[38:39], v[170:171]
	v_fma_f64 v[38:39], v[2:3], v[38:39], -v[40:41]
	v_fma_f64 v[32:33], v[32:33], v[6:7], v[166:167]
	v_fma_f64 v[6:7], v[30:31], v[6:7], -v[8:9]
	v_add_f64 v[40:41], v[34:35], v[164:165]
	v_add_f64 v[164:165], v[36:37], v[174:175]
	ds_load_b128 v[2:5], v1 offset:1168
	ds_load_b128 v[34:37], v1 offset:1184
	s_waitcnt vmcnt(4) lgkmcnt(1)
	v_mul_f64 v[170:171], v[2:3], v[12:13]
	v_mul_f64 v[12:13], v[4:5], v[12:13]
	v_add_f64 v[8:9], v[40:41], v[38:39]
	v_add_f64 v[30:31], v[164:165], v[168:169]
	s_waitcnt vmcnt(3) lgkmcnt(0)
	v_mul_f64 v[38:39], v[34:35], v[16:17]
	v_mul_f64 v[16:17], v[36:37], v[16:17]
	v_fma_f64 v[40:41], v[4:5], v[10:11], v[170:171]
	v_fma_f64 v[10:11], v[2:3], v[10:11], -v[12:13]
	v_add_f64 v[12:13], v[8:9], v[6:7]
	v_add_f64 v[30:31], v[30:31], v[32:33]
	ds_load_b128 v[2:5], v1 offset:1200
	ds_load_b128 v[6:9], v1 offset:1216
	v_fma_f64 v[36:37], v[36:37], v[14:15], v[38:39]
	v_fma_f64 v[14:15], v[34:35], v[14:15], -v[16:17]
	s_waitcnt vmcnt(2) lgkmcnt(1)
	v_mul_f64 v[32:33], v[2:3], v[20:21]
	v_mul_f64 v[20:21], v[4:5], v[20:21]
	s_waitcnt vmcnt(1) lgkmcnt(0)
	v_mul_f64 v[16:17], v[6:7], v[24:25]
	v_mul_f64 v[24:25], v[8:9], v[24:25]
	v_add_f64 v[10:11], v[12:13], v[10:11]
	v_add_f64 v[12:13], v[30:31], v[40:41]
	v_fma_f64 v[30:31], v[4:5], v[18:19], v[32:33]
	v_fma_f64 v[18:19], v[2:3], v[18:19], -v[20:21]
	ds_load_b128 v[2:5], v1 offset:1232
	v_fma_f64 v[8:9], v[8:9], v[22:23], v[16:17]
	v_fma_f64 v[6:7], v[6:7], v[22:23], -v[24:25]
	v_add_f64 v[10:11], v[10:11], v[14:15]
	v_add_f64 v[12:13], v[12:13], v[36:37]
	s_waitcnt vmcnt(0) lgkmcnt(0)
	v_mul_f64 v[14:15], v[2:3], v[28:29]
	v_mul_f64 v[20:21], v[4:5], v[28:29]
	s_delay_alu instid0(VALU_DEP_4) | instskip(NEXT) | instid1(VALU_DEP_4)
	v_add_f64 v[10:11], v[10:11], v[18:19]
	v_add_f64 v[12:13], v[12:13], v[30:31]
	s_delay_alu instid0(VALU_DEP_4) | instskip(NEXT) | instid1(VALU_DEP_4)
	v_fma_f64 v[4:5], v[4:5], v[26:27], v[14:15]
	v_fma_f64 v[2:3], v[2:3], v[26:27], -v[20:21]
	s_delay_alu instid0(VALU_DEP_4) | instskip(NEXT) | instid1(VALU_DEP_4)
	v_add_f64 v[6:7], v[10:11], v[6:7]
	v_add_f64 v[8:9], v[12:13], v[8:9]
	s_delay_alu instid0(VALU_DEP_2) | instskip(NEXT) | instid1(VALU_DEP_2)
	v_add_f64 v[2:3], v[6:7], v[2:3]
	v_add_f64 v[4:5], v[8:9], v[4:5]
	s_delay_alu instid0(VALU_DEP_2) | instskip(NEXT) | instid1(VALU_DEP_2)
	v_add_f64 v[2:3], v[42:43], -v[2:3]
	v_add_f64 v[4:5], v[44:45], -v[4:5]
	scratch_store_b128 off, v[2:5], off offset:16
	v_cmpx_ne_u32_e32 0, v124
	s_cbranch_execz .LBB38_247
; %bb.246:
	scratch_load_b128 v[5:8], off, off
	v_mov_b32_e32 v2, v1
	v_mov_b32_e32 v3, v1
	;; [unrolled: 1-line block ×3, first 2 shown]
	scratch_store_b128 off, v[1:4], off
	s_waitcnt vmcnt(0)
	ds_store_b128 v163, v[5:8]
.LBB38_247:
	s_or_b32 exec_lo, exec_lo, s2
	s_waitcnt lgkmcnt(0)
	s_waitcnt_vscnt null, 0x0
	s_barrier
	buffer_gl0_inv
	s_clause 0x8
	scratch_load_b128 v[2:5], off, off offset:16
	scratch_load_b128 v[6:9], off, off offset:32
	;; [unrolled: 1-line block ×9, first 2 shown]
	ds_load_b128 v[42:45], v1 offset:640
	ds_load_b128 v[38:41], v1 offset:656
	s_clause 0x1
	scratch_load_b128 v[163:166], off, off
	scratch_load_b128 v[167:170], off, off offset:160
	s_and_b32 vcc_lo, exec_lo, s20
	s_waitcnt vmcnt(10) lgkmcnt(1)
	v_mul_f64 v[171:172], v[44:45], v[4:5]
	v_mul_f64 v[4:5], v[42:43], v[4:5]
	s_waitcnt vmcnt(9) lgkmcnt(0)
	v_mul_f64 v[175:176], v[38:39], v[8:9]
	v_mul_f64 v[8:9], v[40:41], v[8:9]
	s_delay_alu instid0(VALU_DEP_4) | instskip(NEXT) | instid1(VALU_DEP_4)
	v_fma_f64 v[177:178], v[42:43], v[2:3], -v[171:172]
	v_fma_f64 v[179:180], v[44:45], v[2:3], v[4:5]
	ds_load_b128 v[2:5], v1 offset:672
	ds_load_b128 v[171:174], v1 offset:688
	scratch_load_b128 v[42:45], off, off offset:176
	v_fma_f64 v[40:41], v[40:41], v[6:7], v[175:176]
	v_fma_f64 v[38:39], v[38:39], v[6:7], -v[8:9]
	scratch_load_b128 v[6:9], off, off offset:192
	s_waitcnt vmcnt(10) lgkmcnt(1)
	v_mul_f64 v[181:182], v[2:3], v[12:13]
	v_mul_f64 v[12:13], v[4:5], v[12:13]
	v_add_f64 v[175:176], v[177:178], 0
	v_add_f64 v[177:178], v[179:180], 0
	s_waitcnt vmcnt(9) lgkmcnt(0)
	v_mul_f64 v[179:180], v[171:172], v[16:17]
	v_mul_f64 v[16:17], v[173:174], v[16:17]
	v_fma_f64 v[181:182], v[4:5], v[10:11], v[181:182]
	v_fma_f64 v[183:184], v[2:3], v[10:11], -v[12:13]
	ds_load_b128 v[2:5], v1 offset:704
	scratch_load_b128 v[10:13], off, off offset:208
	v_add_f64 v[175:176], v[175:176], v[38:39]
	v_add_f64 v[177:178], v[177:178], v[40:41]
	ds_load_b128 v[38:41], v1 offset:720
	v_fma_f64 v[173:174], v[173:174], v[14:15], v[179:180]
	v_fma_f64 v[171:172], v[171:172], v[14:15], -v[16:17]
	scratch_load_b128 v[14:17], off, off offset:224
	s_waitcnt vmcnt(10) lgkmcnt(1)
	v_mul_f64 v[185:186], v[2:3], v[20:21]
	v_mul_f64 v[20:21], v[4:5], v[20:21]
	s_waitcnt vmcnt(9) lgkmcnt(0)
	v_mul_f64 v[179:180], v[38:39], v[24:25]
	v_mul_f64 v[24:25], v[40:41], v[24:25]
	v_add_f64 v[175:176], v[175:176], v[183:184]
	v_add_f64 v[177:178], v[177:178], v[181:182]
	v_fma_f64 v[181:182], v[4:5], v[18:19], v[185:186]
	v_fma_f64 v[183:184], v[2:3], v[18:19], -v[20:21]
	ds_load_b128 v[2:5], v1 offset:736
	scratch_load_b128 v[18:21], off, off offset:240
	v_fma_f64 v[40:41], v[40:41], v[22:23], v[179:180]
	v_fma_f64 v[38:39], v[38:39], v[22:23], -v[24:25]
	scratch_load_b128 v[22:25], off, off offset:256
	v_add_f64 v[175:176], v[175:176], v[171:172]
	v_add_f64 v[177:178], v[177:178], v[173:174]
	ds_load_b128 v[171:174], v1 offset:752
	s_waitcnt vmcnt(10) lgkmcnt(1)
	v_mul_f64 v[185:186], v[2:3], v[28:29]
	v_mul_f64 v[28:29], v[4:5], v[28:29]
	s_waitcnt vmcnt(9) lgkmcnt(0)
	v_mul_f64 v[179:180], v[171:172], v[32:33]
	v_mul_f64 v[32:33], v[173:174], v[32:33]
	v_add_f64 v[175:176], v[175:176], v[183:184]
	v_add_f64 v[177:178], v[177:178], v[181:182]
	v_fma_f64 v[181:182], v[4:5], v[26:27], v[185:186]
	v_fma_f64 v[183:184], v[2:3], v[26:27], -v[28:29]
	ds_load_b128 v[2:5], v1 offset:768
	scratch_load_b128 v[26:29], off, off offset:272
	v_fma_f64 v[173:174], v[173:174], v[30:31], v[179:180]
	v_fma_f64 v[171:172], v[171:172], v[30:31], -v[32:33]
	scratch_load_b128 v[30:33], off, off offset:288
	v_add_f64 v[175:176], v[175:176], v[38:39]
	v_add_f64 v[177:178], v[177:178], v[40:41]
	ds_load_b128 v[38:41], v1 offset:784
	s_waitcnt vmcnt(10) lgkmcnt(1)
	v_mul_f64 v[185:186], v[2:3], v[36:37]
	v_mul_f64 v[36:37], v[4:5], v[36:37]
	s_waitcnt vmcnt(8) lgkmcnt(0)
	v_mul_f64 v[179:180], v[38:39], v[169:170]
	v_add_f64 v[175:176], v[175:176], v[183:184]
	v_add_f64 v[177:178], v[177:178], v[181:182]
	v_mul_f64 v[181:182], v[40:41], v[169:170]
	v_fma_f64 v[183:184], v[4:5], v[34:35], v[185:186]
	v_fma_f64 v[185:186], v[2:3], v[34:35], -v[36:37]
	ds_load_b128 v[2:5], v1 offset:800
	scratch_load_b128 v[34:37], off, off offset:304
	v_fma_f64 v[179:180], v[40:41], v[167:168], v[179:180]
	v_add_f64 v[175:176], v[175:176], v[171:172]
	v_add_f64 v[173:174], v[177:178], v[173:174]
	ds_load_b128 v[169:172], v1 offset:816
	v_fma_f64 v[167:168], v[38:39], v[167:168], -v[181:182]
	scratch_load_b128 v[38:41], off, off offset:320
	s_waitcnt vmcnt(9) lgkmcnt(1)
	v_mul_f64 v[177:178], v[2:3], v[44:45]
	v_mul_f64 v[44:45], v[4:5], v[44:45]
	s_waitcnt vmcnt(8) lgkmcnt(0)
	v_mul_f64 v[181:182], v[169:170], v[8:9]
	v_mul_f64 v[8:9], v[171:172], v[8:9]
	v_add_f64 v[175:176], v[175:176], v[185:186]
	v_add_f64 v[173:174], v[173:174], v[183:184]
	v_fma_f64 v[177:178], v[4:5], v[42:43], v[177:178]
	v_fma_f64 v[183:184], v[2:3], v[42:43], -v[44:45]
	ds_load_b128 v[2:5], v1 offset:832
	scratch_load_b128 v[42:45], off, off offset:336
	v_fma_f64 v[171:172], v[171:172], v[6:7], v[181:182]
	v_fma_f64 v[169:170], v[169:170], v[6:7], -v[8:9]
	scratch_load_b128 v[6:9], off, off offset:352
	v_add_f64 v[167:168], v[175:176], v[167:168]
	v_add_f64 v[179:180], v[173:174], v[179:180]
	ds_load_b128 v[173:176], v1 offset:848
	s_waitcnt vmcnt(9) lgkmcnt(1)
	v_mul_f64 v[185:186], v[2:3], v[12:13]
	v_mul_f64 v[12:13], v[4:5], v[12:13]
	v_add_f64 v[167:168], v[167:168], v[183:184]
	v_add_f64 v[177:178], v[179:180], v[177:178]
	s_waitcnt vmcnt(8) lgkmcnt(0)
	v_mul_f64 v[179:180], v[173:174], v[16:17]
	v_mul_f64 v[16:17], v[175:176], v[16:17]
	v_fma_f64 v[181:182], v[4:5], v[10:11], v[185:186]
	v_fma_f64 v[183:184], v[2:3], v[10:11], -v[12:13]
	ds_load_b128 v[2:5], v1 offset:864
	scratch_load_b128 v[10:13], off, off offset:368
	v_add_f64 v[185:186], v[167:168], v[169:170]
	v_add_f64 v[171:172], v[177:178], v[171:172]
	ds_load_b128 v[167:170], v1 offset:880
	s_waitcnt vmcnt(8) lgkmcnt(1)
	v_mul_f64 v[177:178], v[2:3], v[20:21]
	v_mul_f64 v[20:21], v[4:5], v[20:21]
	v_fma_f64 v[175:176], v[175:176], v[14:15], v[179:180]
	v_fma_f64 v[173:174], v[173:174], v[14:15], -v[16:17]
	scratch_load_b128 v[14:17], off, off offset:384
	v_add_f64 v[179:180], v[185:186], v[183:184]
	v_add_f64 v[171:172], v[171:172], v[181:182]
	s_waitcnt vmcnt(8) lgkmcnt(0)
	v_mul_f64 v[181:182], v[167:168], v[24:25]
	v_mul_f64 v[24:25], v[169:170], v[24:25]
	v_fma_f64 v[177:178], v[4:5], v[18:19], v[177:178]
	v_fma_f64 v[183:184], v[2:3], v[18:19], -v[20:21]
	ds_load_b128 v[2:5], v1 offset:896
	scratch_load_b128 v[18:21], off, off offset:400
	v_add_f64 v[179:180], v[179:180], v[173:174]
	v_add_f64 v[175:176], v[171:172], v[175:176]
	ds_load_b128 v[171:174], v1 offset:912
	s_waitcnt vmcnt(8) lgkmcnt(1)
	v_mul_f64 v[185:186], v[2:3], v[28:29]
	v_mul_f64 v[28:29], v[4:5], v[28:29]
	v_fma_f64 v[169:170], v[169:170], v[22:23], v[181:182]
	v_fma_f64 v[167:168], v[167:168], v[22:23], -v[24:25]
	scratch_load_b128 v[22:25], off, off offset:416
	v_add_f64 v[179:180], v[179:180], v[183:184]
	v_add_f64 v[175:176], v[175:176], v[177:178]
	s_waitcnt vmcnt(8) lgkmcnt(0)
	v_mul_f64 v[177:178], v[171:172], v[32:33]
	v_mul_f64 v[32:33], v[173:174], v[32:33]
	v_fma_f64 v[181:182], v[4:5], v[26:27], v[185:186]
	v_fma_f64 v[183:184], v[2:3], v[26:27], -v[28:29]
	ds_load_b128 v[2:5], v1 offset:928
	scratch_load_b128 v[26:29], off, off offset:432
	v_add_f64 v[179:180], v[179:180], v[167:168]
	v_add_f64 v[175:176], v[175:176], v[169:170]
	ds_load_b128 v[167:170], v1 offset:944
	s_waitcnt vmcnt(8) lgkmcnt(1)
	v_mul_f64 v[185:186], v[2:3], v[36:37]
	v_mul_f64 v[36:37], v[4:5], v[36:37]
	v_fma_f64 v[173:174], v[173:174], v[30:31], v[177:178]
	v_fma_f64 v[171:172], v[171:172], v[30:31], -v[32:33]
	scratch_load_b128 v[30:33], off, off offset:448
	v_add_f64 v[177:178], v[179:180], v[183:184]
	v_add_f64 v[175:176], v[175:176], v[181:182]
	s_waitcnt vmcnt(8) lgkmcnt(0)
	v_mul_f64 v[179:180], v[167:168], v[40:41]
	v_mul_f64 v[40:41], v[169:170], v[40:41]
	v_fma_f64 v[181:182], v[4:5], v[34:35], v[185:186]
	v_fma_f64 v[183:184], v[2:3], v[34:35], -v[36:37]
	ds_load_b128 v[2:5], v1 offset:960
	scratch_load_b128 v[34:37], off, off offset:464
	v_add_f64 v[177:178], v[177:178], v[171:172]
	v_add_f64 v[175:176], v[175:176], v[173:174]
	ds_load_b128 v[171:174], v1 offset:976
	s_waitcnt vmcnt(8) lgkmcnt(1)
	v_mul_f64 v[185:186], v[2:3], v[44:45]
	v_mul_f64 v[44:45], v[4:5], v[44:45]
	v_fma_f64 v[169:170], v[169:170], v[38:39], v[179:180]
	v_fma_f64 v[167:168], v[167:168], v[38:39], -v[40:41]
	scratch_load_b128 v[38:41], off, off offset:480
	s_waitcnt vmcnt(8) lgkmcnt(0)
	v_mul_f64 v[179:180], v[171:172], v[8:9]
	v_mul_f64 v[8:9], v[173:174], v[8:9]
	v_add_f64 v[177:178], v[177:178], v[183:184]
	v_add_f64 v[175:176], v[175:176], v[181:182]
	v_fma_f64 v[181:182], v[4:5], v[42:43], v[185:186]
	v_fma_f64 v[183:184], v[2:3], v[42:43], -v[44:45]
	ds_load_b128 v[2:5], v1 offset:992
	scratch_load_b128 v[42:45], off, off offset:496
	v_fma_f64 v[173:174], v[173:174], v[6:7], v[179:180]
	v_fma_f64 v[171:172], v[171:172], v[6:7], -v[8:9]
	scratch_load_b128 v[6:9], off, off offset:512
	v_add_f64 v[177:178], v[177:178], v[167:168]
	v_add_f64 v[175:176], v[175:176], v[169:170]
	ds_load_b128 v[167:170], v1 offset:1008
	s_waitcnt vmcnt(9) lgkmcnt(1)
	v_mul_f64 v[185:186], v[2:3], v[12:13]
	v_mul_f64 v[12:13], v[4:5], v[12:13]
	s_waitcnt vmcnt(8) lgkmcnt(0)
	v_mul_f64 v[179:180], v[167:168], v[16:17]
	v_mul_f64 v[16:17], v[169:170], v[16:17]
	v_add_f64 v[177:178], v[177:178], v[183:184]
	v_add_f64 v[175:176], v[175:176], v[181:182]
	v_fma_f64 v[181:182], v[4:5], v[10:11], v[185:186]
	v_fma_f64 v[183:184], v[2:3], v[10:11], -v[12:13]
	ds_load_b128 v[2:5], v1 offset:1024
	scratch_load_b128 v[10:13], off, off offset:528
	v_fma_f64 v[169:170], v[169:170], v[14:15], v[179:180]
	v_fma_f64 v[167:168], v[167:168], v[14:15], -v[16:17]
	scratch_load_b128 v[14:17], off, off offset:544
	v_add_f64 v[177:178], v[177:178], v[171:172]
	v_add_f64 v[175:176], v[175:176], v[173:174]
	ds_load_b128 v[171:174], v1 offset:1040
	s_waitcnt vmcnt(9) lgkmcnt(1)
	v_mul_f64 v[185:186], v[2:3], v[20:21]
	v_mul_f64 v[20:21], v[4:5], v[20:21]
	;; [unrolled: 18-line block ×4, first 2 shown]
	s_waitcnt vmcnt(8) lgkmcnt(0)
	v_mul_f64 v[179:180], v[171:172], v[40:41]
	v_mul_f64 v[40:41], v[173:174], v[40:41]
	v_add_f64 v[177:178], v[177:178], v[183:184]
	v_add_f64 v[175:176], v[175:176], v[181:182]
	v_fma_f64 v[181:182], v[4:5], v[34:35], v[185:186]
	v_fma_f64 v[183:184], v[2:3], v[34:35], -v[36:37]
	ds_load_b128 v[2:5], v1 offset:1120
	ds_load_b128 v[34:37], v1 offset:1136
	v_fma_f64 v[173:174], v[173:174], v[38:39], v[179:180]
	v_fma_f64 v[38:39], v[171:172], v[38:39], -v[40:41]
	v_add_f64 v[167:168], v[177:178], v[167:168]
	v_add_f64 v[169:170], v[175:176], v[169:170]
	s_waitcnt vmcnt(7) lgkmcnt(1)
	v_mul_f64 v[175:176], v[2:3], v[44:45]
	v_mul_f64 v[44:45], v[4:5], v[44:45]
	s_delay_alu instid0(VALU_DEP_4) | instskip(NEXT) | instid1(VALU_DEP_4)
	v_add_f64 v[40:41], v[167:168], v[183:184]
	v_add_f64 v[167:168], v[169:170], v[181:182]
	s_waitcnt vmcnt(6) lgkmcnt(0)
	v_mul_f64 v[169:170], v[34:35], v[8:9]
	v_mul_f64 v[8:9], v[36:37], v[8:9]
	v_fma_f64 v[171:172], v[4:5], v[42:43], v[175:176]
	v_fma_f64 v[42:43], v[2:3], v[42:43], -v[44:45]
	v_add_f64 v[44:45], v[40:41], v[38:39]
	v_add_f64 v[167:168], v[167:168], v[173:174]
	ds_load_b128 v[2:5], v1 offset:1152
	ds_load_b128 v[38:41], v1 offset:1168
	v_fma_f64 v[36:37], v[36:37], v[6:7], v[169:170]
	v_fma_f64 v[6:7], v[34:35], v[6:7], -v[8:9]
	s_waitcnt vmcnt(5) lgkmcnt(1)
	v_mul_f64 v[173:174], v[2:3], v[12:13]
	v_mul_f64 v[12:13], v[4:5], v[12:13]
	v_add_f64 v[8:9], v[44:45], v[42:43]
	v_add_f64 v[34:35], v[167:168], v[171:172]
	s_waitcnt vmcnt(4) lgkmcnt(0)
	v_mul_f64 v[42:43], v[38:39], v[16:17]
	v_mul_f64 v[16:17], v[40:41], v[16:17]
	v_fma_f64 v[44:45], v[4:5], v[10:11], v[173:174]
	v_fma_f64 v[10:11], v[2:3], v[10:11], -v[12:13]
	v_add_f64 v[12:13], v[8:9], v[6:7]
	v_add_f64 v[34:35], v[34:35], v[36:37]
	ds_load_b128 v[2:5], v1 offset:1184
	ds_load_b128 v[6:9], v1 offset:1200
	v_fma_f64 v[40:41], v[40:41], v[14:15], v[42:43]
	v_fma_f64 v[14:15], v[38:39], v[14:15], -v[16:17]
	s_waitcnt vmcnt(3) lgkmcnt(1)
	v_mul_f64 v[36:37], v[2:3], v[20:21]
	v_mul_f64 v[20:21], v[4:5], v[20:21]
	s_waitcnt vmcnt(2) lgkmcnt(0)
	v_mul_f64 v[16:17], v[6:7], v[24:25]
	v_mul_f64 v[24:25], v[8:9], v[24:25]
	v_add_f64 v[10:11], v[12:13], v[10:11]
	v_add_f64 v[12:13], v[34:35], v[44:45]
	v_fma_f64 v[34:35], v[4:5], v[18:19], v[36:37]
	v_fma_f64 v[18:19], v[2:3], v[18:19], -v[20:21]
	v_fma_f64 v[8:9], v[8:9], v[22:23], v[16:17]
	v_fma_f64 v[6:7], v[6:7], v[22:23], -v[24:25]
	v_add_f64 v[14:15], v[10:11], v[14:15]
	v_add_f64 v[20:21], v[12:13], v[40:41]
	ds_load_b128 v[2:5], v1 offset:1216
	ds_load_b128 v[10:13], v1 offset:1232
	s_waitcnt vmcnt(1) lgkmcnt(1)
	v_mul_f64 v[36:37], v[2:3], v[28:29]
	v_mul_f64 v[28:29], v[4:5], v[28:29]
	v_add_f64 v[14:15], v[14:15], v[18:19]
	v_add_f64 v[16:17], v[20:21], v[34:35]
	s_waitcnt vmcnt(0) lgkmcnt(0)
	v_mul_f64 v[18:19], v[10:11], v[32:33]
	v_mul_f64 v[20:21], v[12:13], v[32:33]
	v_fma_f64 v[4:5], v[4:5], v[26:27], v[36:37]
	v_fma_f64 v[1:2], v[2:3], v[26:27], -v[28:29]
	v_add_f64 v[6:7], v[14:15], v[6:7]
	v_add_f64 v[8:9], v[16:17], v[8:9]
	v_fma_f64 v[12:13], v[12:13], v[30:31], v[18:19]
	v_fma_f64 v[10:11], v[10:11], v[30:31], -v[20:21]
	s_delay_alu instid0(VALU_DEP_4) | instskip(NEXT) | instid1(VALU_DEP_4)
	v_add_f64 v[1:2], v[6:7], v[1:2]
	v_add_f64 v[3:4], v[8:9], v[4:5]
	s_delay_alu instid0(VALU_DEP_2) | instskip(NEXT) | instid1(VALU_DEP_2)
	v_add_f64 v[1:2], v[1:2], v[10:11]
	v_add_f64 v[3:4], v[3:4], v[12:13]
	s_delay_alu instid0(VALU_DEP_2) | instskip(NEXT) | instid1(VALU_DEP_2)
	v_add_f64 v[1:2], v[163:164], -v[1:2]
	v_add_f64 v[3:4], v[165:166], -v[3:4]
	scratch_store_b128 off, v[1:4], off
	s_cbranch_vccz .LBB38_325
; %bb.248:
	v_dual_mov_b32 v1, s16 :: v_dual_mov_b32 v2, s17
	s_load_b64 s[0:1], s[0:1], 0x4
	flat_load_b32 v1, v[1:2] offset:148
	v_bfe_u32 v2, v0, 10, 10
	v_bfe_u32 v0, v0, 20, 10
	s_waitcnt lgkmcnt(0)
	s_lshr_b32 s0, s0, 16
	s_delay_alu instid0(VALU_DEP_2) | instskip(SKIP_1) | instid1(SALU_CYCLE_1)
	v_mul_u32_u24_e32 v2, s1, v2
	s_mul_i32 s0, s0, s1
	v_mul_u32_u24_e32 v3, s0, v124
	s_mov_b32 s0, exec_lo
	s_delay_alu instid0(VALU_DEP_1) | instskip(NEXT) | instid1(VALU_DEP_1)
	v_add3_u32 v0, v3, v2, v0
	v_lshl_add_u32 v0, v0, 4, 0x4e8
	s_waitcnt vmcnt(0)
	v_cmpx_ne_u32_e32 38, v1
	s_cbranch_execz .LBB38_250
; %bb.249:
	v_lshl_add_u32 v9, v1, 4, 0
	s_clause 0x1
	scratch_load_b128 v[1:4], v130, off
	scratch_load_b128 v[5:8], v9, off offset:-16
	s_waitcnt vmcnt(1)
	ds_store_2addr_b64 v0, v[1:2], v[3:4] offset1:1
	s_waitcnt vmcnt(0)
	s_clause 0x1
	scratch_store_b128 v130, v[5:8], off
	scratch_store_b128 v9, v[1:4], off offset:-16
.LBB38_250:
	s_or_b32 exec_lo, exec_lo, s0
	v_dual_mov_b32 v1, s16 :: v_dual_mov_b32 v2, s17
	s_mov_b32 s0, exec_lo
	flat_load_b32 v1, v[1:2] offset:144
	s_waitcnt vmcnt(0) lgkmcnt(0)
	v_cmpx_ne_u32_e32 37, v1
	s_cbranch_execz .LBB38_252
; %bb.251:
	v_lshl_add_u32 v9, v1, 4, 0
	s_clause 0x1
	scratch_load_b128 v[1:4], v133, off
	scratch_load_b128 v[5:8], v9, off offset:-16
	s_waitcnt vmcnt(1)
	ds_store_2addr_b64 v0, v[1:2], v[3:4] offset1:1
	s_waitcnt vmcnt(0)
	s_clause 0x1
	scratch_store_b128 v133, v[5:8], off
	scratch_store_b128 v9, v[1:4], off offset:-16
.LBB38_252:
	s_or_b32 exec_lo, exec_lo, s0
	v_dual_mov_b32 v1, s16 :: v_dual_mov_b32 v2, s17
	s_mov_b32 s0, exec_lo
	flat_load_b32 v1, v[1:2] offset:140
	s_waitcnt vmcnt(0) lgkmcnt(0)
	;; [unrolled: 19-line block ×36, first 2 shown]
	v_cmpx_ne_u32_e32 2, v1
	s_cbranch_execz .LBB38_322
; %bb.321:
	v_lshl_add_u32 v9, v1, 4, 0
	s_clause 0x1
	scratch_load_b128 v[1:4], v128, off
	scratch_load_b128 v[5:8], v9, off offset:-16
	s_waitcnt vmcnt(1)
	ds_store_2addr_b64 v0, v[1:2], v[3:4] offset1:1
	s_waitcnt vmcnt(0)
	s_clause 0x1
	scratch_store_b128 v128, v[5:8], off
	scratch_store_b128 v9, v[1:4], off offset:-16
.LBB38_322:
	s_or_b32 exec_lo, exec_lo, s0
	v_dual_mov_b32 v1, s16 :: v_dual_mov_b32 v2, s17
	s_mov_b32 s0, exec_lo
	flat_load_b32 v1, v[1:2]
	s_waitcnt vmcnt(0) lgkmcnt(0)
	v_cmpx_ne_u32_e32 1, v1
	s_cbranch_execz .LBB38_324
; %bb.323:
	v_lshl_add_u32 v9, v1, 4, 0
	scratch_load_b128 v[1:4], off, off
	scratch_load_b128 v[5:8], v9, off offset:-16
	s_waitcnt vmcnt(1)
	ds_store_2addr_b64 v0, v[1:2], v[3:4] offset1:1
	s_waitcnt vmcnt(0)
	scratch_store_b128 off, v[5:8], off
	scratch_store_b128 v9, v[1:4], off offset:-16
.LBB38_324:
	s_or_b32 exec_lo, exec_lo, s0
.LBB38_325:
	scratch_load_b128 v[0:3], off, off
	s_clause 0x15
	scratch_load_b128 v[4:7], v128, off
	scratch_load_b128 v[8:11], v127, off
	;; [unrolled: 1-line block ×22, first 2 shown]
	s_waitcnt vmcnt(22)
	global_store_b128 v[46:47], v[0:3], off
	s_clause 0x1
	scratch_load_b128 v[0:3], v136, off
	scratch_load_b128 v[44:47], v134, off
	s_waitcnt vmcnt(23)
	global_store_b128 v[48:49], v[4:7], off
	s_clause 0x1
	scratch_load_b128 v[4:7], v132, off
	scratch_load_b128 v[201:204], v131, off
	;; [unrolled: 5-line block ×8, first 2 shown]
	s_waitcnt vmcnt(30)
	global_store_b128 v[62:63], v[32:35], off
	s_waitcnt vmcnt(29)
	global_store_b128 v[64:65], v[36:39], off
	;; [unrolled: 2-line block ×31, first 2 shown]
	s_endpgm
	.section	.rodata,"a",@progbits
	.p2align	6, 0x0
	.amdhsa_kernel _ZN9rocsolver6v33100L18getri_kernel_smallILi39E19rocblas_complex_numIdEPS3_EEvT1_iilPiilS6_bb
		.amdhsa_group_segment_fixed_size 2280
		.amdhsa_private_segment_fixed_size 640
		.amdhsa_kernarg_size 60
		.amdhsa_user_sgpr_count 15
		.amdhsa_user_sgpr_dispatch_ptr 1
		.amdhsa_user_sgpr_queue_ptr 0
		.amdhsa_user_sgpr_kernarg_segment_ptr 1
		.amdhsa_user_sgpr_dispatch_id 0
		.amdhsa_user_sgpr_private_segment_size 0
		.amdhsa_wavefront_size32 1
		.amdhsa_uses_dynamic_stack 0
		.amdhsa_enable_private_segment 1
		.amdhsa_system_sgpr_workgroup_id_x 1
		.amdhsa_system_sgpr_workgroup_id_y 0
		.amdhsa_system_sgpr_workgroup_id_z 0
		.amdhsa_system_sgpr_workgroup_info 0
		.amdhsa_system_vgpr_workitem_id 2
		.amdhsa_next_free_vgpr 211
		.amdhsa_next_free_sgpr 46
		.amdhsa_reserve_vcc 1
		.amdhsa_float_round_mode_32 0
		.amdhsa_float_round_mode_16_64 0
		.amdhsa_float_denorm_mode_32 3
		.amdhsa_float_denorm_mode_16_64 3
		.amdhsa_dx10_clamp 1
		.amdhsa_ieee_mode 1
		.amdhsa_fp16_overflow 0
		.amdhsa_workgroup_processor_mode 1
		.amdhsa_memory_ordered 1
		.amdhsa_forward_progress 0
		.amdhsa_shared_vgpr_count 0
		.amdhsa_exception_fp_ieee_invalid_op 0
		.amdhsa_exception_fp_denorm_src 0
		.amdhsa_exception_fp_ieee_div_zero 0
		.amdhsa_exception_fp_ieee_overflow 0
		.amdhsa_exception_fp_ieee_underflow 0
		.amdhsa_exception_fp_ieee_inexact 0
		.amdhsa_exception_int_div_zero 0
	.end_amdhsa_kernel
	.section	.text._ZN9rocsolver6v33100L18getri_kernel_smallILi39E19rocblas_complex_numIdEPS3_EEvT1_iilPiilS6_bb,"axG",@progbits,_ZN9rocsolver6v33100L18getri_kernel_smallILi39E19rocblas_complex_numIdEPS3_EEvT1_iilPiilS6_bb,comdat
.Lfunc_end38:
	.size	_ZN9rocsolver6v33100L18getri_kernel_smallILi39E19rocblas_complex_numIdEPS3_EEvT1_iilPiilS6_bb, .Lfunc_end38-_ZN9rocsolver6v33100L18getri_kernel_smallILi39E19rocblas_complex_numIdEPS3_EEvT1_iilPiilS6_bb
                                        ; -- End function
	.section	.AMDGPU.csdata,"",@progbits
; Kernel info:
; codeLenInByte = 74720
; NumSgprs: 48
; NumVgprs: 211
; ScratchSize: 640
; MemoryBound: 0
; FloatMode: 240
; IeeeMode: 1
; LDSByteSize: 2280 bytes/workgroup (compile time only)
; SGPRBlocks: 5
; VGPRBlocks: 26
; NumSGPRsForWavesPerEU: 48
; NumVGPRsForWavesPerEU: 211
; Occupancy: 7
; WaveLimiterHint : 1
; COMPUTE_PGM_RSRC2:SCRATCH_EN: 1
; COMPUTE_PGM_RSRC2:USER_SGPR: 15
; COMPUTE_PGM_RSRC2:TRAP_HANDLER: 0
; COMPUTE_PGM_RSRC2:TGID_X_EN: 1
; COMPUTE_PGM_RSRC2:TGID_Y_EN: 0
; COMPUTE_PGM_RSRC2:TGID_Z_EN: 0
; COMPUTE_PGM_RSRC2:TIDIG_COMP_CNT: 2
	.section	.text._ZN9rocsolver6v33100L18getri_kernel_smallILi40E19rocblas_complex_numIdEPS3_EEvT1_iilPiilS6_bb,"axG",@progbits,_ZN9rocsolver6v33100L18getri_kernel_smallILi40E19rocblas_complex_numIdEPS3_EEvT1_iilPiilS6_bb,comdat
	.globl	_ZN9rocsolver6v33100L18getri_kernel_smallILi40E19rocblas_complex_numIdEPS3_EEvT1_iilPiilS6_bb ; -- Begin function _ZN9rocsolver6v33100L18getri_kernel_smallILi40E19rocblas_complex_numIdEPS3_EEvT1_iilPiilS6_bb
	.p2align	8
	.type	_ZN9rocsolver6v33100L18getri_kernel_smallILi40E19rocblas_complex_numIdEPS3_EEvT1_iilPiilS6_bb,@function
_ZN9rocsolver6v33100L18getri_kernel_smallILi40E19rocblas_complex_numIdEPS3_EEvT1_iilPiilS6_bb: ; @_ZN9rocsolver6v33100L18getri_kernel_smallILi40E19rocblas_complex_numIdEPS3_EEvT1_iilPiilS6_bb
; %bb.0:
	v_and_b32_e32 v122, 0x3ff, v0
	s_mov_b32 s4, exec_lo
	s_delay_alu instid0(VALU_DEP_1)
	v_cmpx_gt_u32_e32 40, v122
	s_cbranch_execz .LBB39_174
; %bb.1:
	s_mov_b32 s18, s15
	s_clause 0x2
	s_load_b32 s21, s[2:3], 0x38
	s_load_b128 s[12:15], s[2:3], 0x10
	s_load_b128 s[4:7], s[2:3], 0x28
                                        ; implicit-def: $sgpr16_sgpr17
	s_waitcnt lgkmcnt(0)
	s_bitcmp1_b32 s21, 8
	s_cselect_b32 s20, -1, 0
	s_bfe_u32 s8, s21, 0x10008
	s_ashr_i32 s19, s18, 31
	s_cmp_eq_u32 s8, 0
	s_cbranch_scc1 .LBB39_3
; %bb.2:
	s_load_b32 s8, s[2:3], 0x20
	s_mul_i32 s5, s18, s5
	s_mul_hi_u32 s9, s18, s4
	s_mul_i32 s10, s19, s4
	s_add_i32 s5, s9, s5
	s_mul_i32 s4, s18, s4
	s_add_i32 s5, s5, s10
	s_delay_alu instid0(SALU_CYCLE_1)
	s_lshl_b64 s[4:5], s[4:5], 2
	s_waitcnt lgkmcnt(0)
	s_ashr_i32 s9, s8, 31
	s_add_u32 s10, s14, s4
	s_addc_u32 s11, s15, s5
	s_lshl_b64 s[4:5], s[8:9], 2
	s_delay_alu instid0(SALU_CYCLE_1)
	s_add_u32 s16, s10, s4
	s_addc_u32 s17, s11, s5
.LBB39_3:
	s_load_b128 s[8:11], s[2:3], 0x0
	s_mul_i32 s2, s18, s13
	s_mul_hi_u32 s3, s18, s12
	s_mul_i32 s4, s19, s12
	s_add_i32 s3, s3, s2
	s_mul_i32 s2, s18, s12
	s_add_i32 s3, s3, s4
	v_lshlrev_b32_e32 v13, 4, v122
	s_lshl_b64 s[2:3], s[2:3], 4
	s_movk_i32 s12, 0xd0
	s_movk_i32 s13, 0xe0
	;; [unrolled: 1-line block ×11, first 2 shown]
	s_waitcnt lgkmcnt(0)
	v_add3_u32 v1, s11, s11, v122
	s_ashr_i32 s5, s10, 31
	s_mov_b32 s4, s10
	s_add_u32 s8, s8, s2
	s_addc_u32 s9, s9, s3
	v_add_nc_u32_e32 v11, s11, v1
	s_lshl_b64 s[2:3], s[4:5], 4
	v_ashrrev_i32_e32 v2, 31, v1
	s_add_u32 s2, s8, s2
	s_addc_u32 s3, s9, s3
	v_add_nc_u32_e32 v14, s11, v11
	v_add_co_u32 v44, s8, s2, v13
	s_mov_b32 s4, s11
	s_ashr_i32 s5, s11, 31
	v_add_co_ci_u32_e64 v45, null, s3, 0, s8
	v_ashrrev_i32_e32 v12, 31, v11
	v_lshlrev_b64 v[1:2], 4, v[1:2]
	s_lshl_b64 s[4:5], s[4:5], 4
	v_add_nc_u32_e32 v22, s11, v14
	v_add_co_u32 v42, vcc_lo, v44, s4
	v_add_co_ci_u32_e32 v43, vcc_lo, s5, v45, vcc_lo
	v_lshlrev_b64 v[11:12], 4, v[11:12]
	v_add_co_u32 v50, vcc_lo, s2, v1
	v_add_nc_u32_e32 v1, s11, v22
	v_ashrrev_i32_e32 v15, 31, v14
	v_add_co_ci_u32_e32 v51, vcc_lo, s3, v2, vcc_lo
	v_add_co_u32 v46, vcc_lo, s2, v11
	s_delay_alu instid0(VALU_DEP_4)
	v_add_nc_u32_e32 v11, s11, v1
	v_ashrrev_i32_e32 v23, 31, v22
	v_lshlrev_b64 v[24:25], 4, v[14:15]
	v_ashrrev_i32_e32 v2, 31, v1
	v_add_co_ci_u32_e32 v47, vcc_lo, s3, v12, vcc_lo
	v_add_nc_u32_e32 v30, s11, v11
	v_lshlrev_b64 v[22:23], 4, v[22:23]
	v_add_co_u32 v52, vcc_lo, s2, v24
	v_lshlrev_b64 v[1:2], 4, v[1:2]
	v_ashrrev_i32_e32 v12, 31, v11
	v_add_nc_u32_e32 v38, s11, v30
	v_add_co_ci_u32_e32 v53, vcc_lo, s3, v25, vcc_lo
	v_add_co_u32 v48, vcc_lo, s2, v22
	v_add_co_ci_u32_e32 v49, vcc_lo, s3, v23, vcc_lo
	v_ashrrev_i32_e32 v31, 31, v30
	v_lshlrev_b64 v[11:12], 4, v[11:12]
	v_add_co_u32 v54, vcc_lo, s2, v1
	v_add_nc_u32_e32 v1, s11, v38
	v_ashrrev_i32_e32 v39, 31, v38
	v_lshlrev_b64 v[40:41], 4, v[30:31]
	v_add_co_ci_u32_e32 v55, vcc_lo, s3, v2, vcc_lo
	s_delay_alu instid0(VALU_DEP_4)
	v_ashrrev_i32_e32 v2, 31, v1
	v_add_co_u32 v56, vcc_lo, s2, v11
	v_add_nc_u32_e32 v11, s11, v1
	v_lshlrev_b64 v[38:39], 4, v[38:39]
	v_add_co_ci_u32_e32 v57, vcc_lo, s3, v12, vcc_lo
	v_add_co_u32 v58, vcc_lo, s2, v40
	v_lshlrev_b64 v[1:2], 4, v[1:2]
	v_add_nc_u32_e32 v64, s11, v11
	v_add_co_ci_u32_e32 v59, vcc_lo, s3, v41, vcc_lo
	v_add_co_u32 v60, vcc_lo, s2, v38
	v_ashrrev_i32_e32 v12, 31, v11
	v_add_co_ci_u32_e32 v61, vcc_lo, s3, v39, vcc_lo
	s_clause 0x1
	global_load_b128 v[3:6], v13, s[2:3]
	global_load_b128 v[7:10], v[42:43], off
	v_ashrrev_i32_e32 v65, 31, v64
	v_add_co_u32 v62, vcc_lo, s2, v1
	s_clause 0x3
	global_load_b128 v[14:17], v[50:51], off
	global_load_b128 v[22:25], v[52:53], off
	;; [unrolled: 1-line block ×4, first 2 shown]
	v_add_co_ci_u32_e32 v63, vcc_lo, s3, v2, vcc_lo
	v_lshlrev_b64 v[1:2], 4, v[11:12]
	s_clause 0x3
	global_load_b128 v[30:33], v[54:55], off
	global_load_b128 v[34:37], v[56:57], off
	;; [unrolled: 1-line block ×4, first 2 shown]
	v_lshlrev_b64 v[11:12], 4, v[64:65]
	v_add_nc_u32_e32 v70, s11, v64
	v_add_co_u32 v64, vcc_lo, s2, v1
	v_add_co_ci_u32_e32 v65, vcc_lo, s3, v2, vcc_lo
	s_delay_alu instid0(VALU_DEP_4)
	v_add_co_u32 v66, vcc_lo, s2, v11
	v_add_co_ci_u32_e32 v67, vcc_lo, s3, v12, vcc_lo
	s_clause 0x2
	global_load_b128 v[123:126], v[62:63], off
	global_load_b128 v[127:130], v[64:65], off
	;; [unrolled: 1-line block ×3, first 2 shown]
	v_ashrrev_i32_e32 v71, 31, v70
	s_movk_i32 s4, 0x70
	s_movk_i32 s5, 0x80
	;; [unrolled: 1-line block ×4, first 2 shown]
	v_lshlrev_b64 v[1:2], 4, v[70:71]
	s_movk_i32 s10, 0xb0
	s_movk_i32 s29, 0x180
	;; [unrolled: 1-line block ×5, first 2 shown]
	v_add_co_u32 v68, vcc_lo, s2, v1
	v_add_nc_u32_e32 v1, s11, v70
	v_add_co_ci_u32_e32 v69, vcc_lo, s3, v2, vcc_lo
	s_movk_i32 s34, 0x1c0
	s_movk_i32 s35, 0x1d0
	s_delay_alu instid0(VALU_DEP_2)
	v_add_nc_u32_e32 v11, s11, v1
	v_ashrrev_i32_e32 v2, 31, v1
	global_load_b128 v[135:138], v[68:69], off
	s_movk_i32 s36, 0x1e0
	s_movk_i32 s37, 0x1f0
	v_add_nc_u32_e32 v72, s11, v11
	v_lshlrev_b64 v[1:2], 4, v[1:2]
	v_ashrrev_i32_e32 v12, 31, v11
	s_movk_i32 s38, 0x200
	s_movk_i32 s39, 0x210
	v_add_nc_u32_e32 v74, s11, v72
	v_ashrrev_i32_e32 v73, 31, v72
	v_add_co_u32 v70, vcc_lo, s2, v1
	v_lshlrev_b64 v[11:12], 4, v[11:12]
	s_delay_alu instid0(VALU_DEP_4) | instskip(SKIP_3) | instid1(VALU_DEP_4)
	v_add_nc_u32_e32 v76, s11, v74
	v_ashrrev_i32_e32 v75, 31, v74
	v_add_co_ci_u32_e32 v71, vcc_lo, s3, v2, vcc_lo
	v_lshlrev_b64 v[89:90], 4, v[72:73]
	v_add_nc_u32_e32 v78, s11, v76
	v_add_co_u32 v72, vcc_lo, s2, v11
	global_load_b128 v[144:147], v[70:71], off
	v_add_co_ci_u32_e32 v73, vcc_lo, s3, v12, vcc_lo
	v_add_nc_u32_e32 v80, s11, v78
	v_ashrrev_i32_e32 v77, 31, v76
	v_lshlrev_b64 v[11:12], 4, v[74:75]
	v_add_co_u32 v74, vcc_lo, s2, v89
	s_delay_alu instid0(VALU_DEP_4) | instskip(SKIP_3) | instid1(VALU_DEP_4)
	v_add_nc_u32_e32 v82, s11, v80
	v_ashrrev_i32_e32 v79, 31, v78
	v_add_co_ci_u32_e32 v75, vcc_lo, s3, v90, vcc_lo
	v_lshlrev_b64 v[89:90], 4, v[76:77]
	v_add_nc_u32_e32 v84, s11, v82
	v_add_co_u32 v76, vcc_lo, s2, v11
	v_add_co_ci_u32_e32 v77, vcc_lo, s3, v12, vcc_lo
	s_delay_alu instid0(VALU_DEP_3) | instskip(SKIP_3) | instid1(VALU_DEP_4)
	v_add_nc_u32_e32 v86, s11, v84
	v_ashrrev_i32_e32 v81, 31, v80
	v_lshlrev_b64 v[11:12], 4, v[78:79]
	v_add_co_u32 v78, vcc_lo, s2, v89
	v_add_nc_u32_e32 v88, s11, v86
	v_ashrrev_i32_e32 v83, 31, v82
	v_add_co_ci_u32_e32 v79, vcc_lo, s3, v90, vcc_lo
	v_lshlrev_b64 v[89:90], 4, v[80:81]
	s_delay_alu instid0(VALU_DEP_4) | instskip(SKIP_2) | instid1(VALU_DEP_3)
	v_add_nc_u32_e32 v1, s11, v88
	v_add_co_u32 v80, vcc_lo, s2, v11
	v_add_co_ci_u32_e32 v81, vcc_lo, s3, v12, vcc_lo
	v_add_nc_u32_e32 v92, s11, v1
	v_ashrrev_i32_e32 v85, 31, v84
	v_lshlrev_b64 v[11:12], 4, v[82:83]
	v_add_co_u32 v82, vcc_lo, s2, v89
	s_delay_alu instid0(VALU_DEP_4) | instskip(SKIP_3) | instid1(VALU_DEP_4)
	v_add_nc_u32_e32 v96, s11, v92
	v_ashrrev_i32_e32 v87, 31, v86
	v_add_co_ci_u32_e32 v83, vcc_lo, s3, v90, vcc_lo
	v_lshlrev_b64 v[90:91], 4, v[84:85]
	v_add_nc_u32_e32 v98, s11, v96
	v_add_co_u32 v84, vcc_lo, s2, v11
	v_add_co_ci_u32_e32 v85, vcc_lo, s3, v12, vcc_lo
	s_delay_alu instid0(VALU_DEP_3) | instskip(SKIP_3) | instid1(VALU_DEP_4)
	v_add_nc_u32_e32 v100, s11, v98
	v_lshlrev_b64 v[11:12], 4, v[86:87]
	v_ashrrev_i32_e32 v89, 31, v88
	v_add_co_u32 v86, vcc_lo, s2, v90
	v_add_nc_u32_e32 v102, s11, v100
	v_add_co_ci_u32_e32 v87, vcc_lo, s3, v91, vcc_lo
	s_delay_alu instid0(VALU_DEP_4) | instskip(SKIP_1) | instid1(VALU_DEP_4)
	v_lshlrev_b64 v[90:91], 4, v[88:89]
	v_add_co_u32 v88, vcc_lo, s2, v11
	v_add_nc_u32_e32 v104, s11, v102
	v_ashrrev_i32_e32 v2, 31, v1
	v_add_co_ci_u32_e32 v89, vcc_lo, s3, v12, vcc_lo
	v_ashrrev_i32_e32 v93, 31, v92
	s_delay_alu instid0(VALU_DEP_4) | instskip(NEXT) | instid1(VALU_DEP_4)
	v_add_nc_u32_e32 v106, s11, v104
	v_lshlrev_b64 v[1:2], 4, v[1:2]
	v_add_co_u32 v90, vcc_lo, s2, v90
	v_ashrrev_i32_e32 v97, 31, v96
	s_delay_alu instid0(VALU_DEP_4) | instskip(SKIP_3) | instid1(VALU_DEP_4)
	v_add_nc_u32_e32 v108, s11, v106
	v_add_co_ci_u32_e32 v91, vcc_lo, s3, v91, vcc_lo
	v_lshlrev_b64 v[140:141], 4, v[92:93]
	v_add_co_u32 v94, vcc_lo, s2, v1
	v_add_nc_u32_e32 v110, s11, v108
	v_ashrrev_i32_e32 v99, 31, v98
	v_add_co_ci_u32_e32 v95, vcc_lo, s3, v2, vcc_lo
	v_lshlrev_b64 v[142:143], 4, v[96:97]
	s_delay_alu instid0(VALU_DEP_4)
	v_add_nc_u32_e32 v112, s11, v110
	v_ashrrev_i32_e32 v101, 31, v100
	v_ashrrev_i32_e32 v103, 31, v102
	;; [unrolled: 1-line block ×4, first 2 shown]
	v_add_nc_u32_e32 v118, s11, v112
	v_ashrrev_i32_e32 v109, 31, v108
	v_ashrrev_i32_e32 v111, 31, v110
	;; [unrolled: 1-line block ×3, first 2 shown]
	s_clause 0x1
	global_load_b128 v[148:151], v[72:73], off
	global_load_b128 v[162:165], v[74:75], off
	v_add_nc_u32_e32 v120, s11, v118
	v_ashrrev_i32_e32 v119, 31, v118
	s_clause 0x5
	global_load_b128 v[166:169], v[76:77], off
	global_load_b128 v[170:173], v[78:79], off
	;; [unrolled: 1-line block ×6, first 2 shown]
	v_add_nc_u32_e32 v139, s11, v120
	s_clause 0x1
	global_load_b128 v[190:193], v[88:89], off
	global_load_b128 v[194:197], v[90:91], off
	v_ashrrev_i32_e32 v121, 31, v120
	v_lshlrev_b64 v[118:119], 4, v[118:119]
	s_movk_i32 s40, 0x220
	v_add_nc_u32_e32 v11, s11, v139
	s_movk_i32 s11, 0xc0
	v_lshlrev_b64 v[120:121], 4, v[120:121]
	s_movk_i32 s41, 0x230
	s_movk_i32 s42, 0x240
	v_ashrrev_i32_e32 v12, 31, v11
	s_movk_i32 s43, 0x250
	s_movk_i32 s44, 0x260
	;; [unrolled: 1-line block ×3, first 2 shown]
	v_add_nc_u32_e64 v160, s4, 0
	v_lshlrev_b64 v[11:12], 4, v[11:12]
	v_add_nc_u32_e64 v158, s5, 0
	v_add_nc_u32_e64 v157, s8, 0
	;; [unrolled: 1-line block ×5, first 2 shown]
	v_add_co_u32 v92, vcc_lo, s2, v11
	v_add_co_ci_u32_e32 v93, vcc_lo, s3, v12, vcc_lo
	v_add_co_u32 v96, vcc_lo, s2, v140
	v_lshlrev_b64 v[11:12], 4, v[98:99]
	v_add_co_ci_u32_e32 v97, vcc_lo, s3, v141, vcc_lo
	v_add_co_u32 v98, vcc_lo, s2, v142
	v_lshlrev_b64 v[140:141], 4, v[100:101]
	v_add_co_ci_u32_e32 v99, vcc_lo, s3, v143, vcc_lo
	v_add_co_u32 v100, vcc_lo, s2, v11
	v_add_co_ci_u32_e32 v101, vcc_lo, s3, v12, vcc_lo
	v_lshlrev_b64 v[142:143], 4, v[102:103]
	v_add_co_u32 v102, vcc_lo, s2, v140
	v_add_co_ci_u32_e32 v103, vcc_lo, s3, v141, vcc_lo
	v_lshlrev_b64 v[140:141], 4, v[104:105]
	s_delay_alu instid0(VALU_DEP_4) | instskip(SKIP_2) | instid1(VALU_DEP_4)
	v_add_co_u32 v104, vcc_lo, s2, v142
	v_add_co_ci_u32_e32 v105, vcc_lo, s3, v143, vcc_lo
	v_lshlrev_b64 v[142:143], 4, v[106:107]
	v_add_co_u32 v106, vcc_lo, s2, v140
	v_add_co_ci_u32_e32 v107, vcc_lo, s3, v141, vcc_lo
	v_lshlrev_b64 v[140:141], 4, v[108:109]
	s_delay_alu instid0(VALU_DEP_4) | instskip(SKIP_2) | instid1(VALU_DEP_4)
	v_add_co_u32 v108, vcc_lo, s2, v142
	v_add_co_ci_u32_e32 v109, vcc_lo, s3, v143, vcc_lo
	v_lshlrev_b64 v[142:143], 4, v[110:111]
	v_add_co_u32 v110, vcc_lo, s2, v140
	v_add_co_ci_u32_e32 v111, vcc_lo, s3, v141, vcc_lo
	v_lshlrev_b64 v[140:141], 4, v[112:113]
	global_load_b128 v[198:201], v[92:93], off
	v_add_co_u32 v112, vcc_lo, s2, v142
	v_add_co_ci_u32_e32 v113, vcc_lo, s3, v143, vcc_lo
	v_add_nc_u32_e64 v143, 0, 16
	v_add_nc_u32_e64 v142, 0, 48
	;; [unrolled: 1-line block ×4, first 2 shown]
	s_bitcmp0_b32 s21, 0
	s_waitcnt vmcnt(25)
	scratch_store_b128 off, v[3:6], off
	s_waitcnt vmcnt(24)
	scratch_store_b128 off, v[7:10], off offset:16
	s_clause 0x1
	global_load_b128 v[1:4], v[94:95], off
	global_load_b128 v[5:8], v[96:97], off
	s_waitcnt vmcnt(25)
	scratch_store_b128 off, v[14:17], off offset:32
	s_waitcnt vmcnt(23)
	scratch_store_b128 off, v[18:21], off offset:48
	s_clause 0x1
	global_load_b128 v[9:12], v[98:99], off
	global_load_b128 v[14:17], v[100:101], off
	scratch_store_b128 off, v[22:25], off offset:64
	s_waitcnt vmcnt(24)
	scratch_store_b128 off, v[26:29], off offset:80
	s_clause 0x1
	global_load_b128 v[18:21], v[102:103], off
	global_load_b128 v[22:25], v[104:105], off
	s_waitcnt vmcnt(25)
	scratch_store_b128 off, v[30:33], off offset:96
	s_waitcnt vmcnt(24)
	scratch_store_b128 off, v[34:37], off offset:112
	s_clause 0x1
	global_load_b128 v[26:29], v[106:107], off
	global_load_b128 v[30:33], v[108:109], off
	s_waitcnt vmcnt(25)
	scratch_store_b128 off, v[38:41], off offset:128
	s_waitcnt vmcnt(24)
	scratch_store_b128 off, v[114:117], off offset:144
	v_add_co_u32 v114, vcc_lo, s2, v140
	v_ashrrev_i32_e32 v140, 31, v139
	v_add_co_ci_u32_e32 v115, vcc_lo, s3, v141, vcc_lo
	v_add_co_u32 v116, vcc_lo, s2, v118
	s_delay_alu instid0(VALU_DEP_3) | instskip(SKIP_3) | instid1(VALU_DEP_4)
	v_lshlrev_b64 v[139:140], 4, v[139:140]
	v_add_co_ci_u32_e32 v117, vcc_lo, s3, v119, vcc_lo
	v_add_co_u32 v118, vcc_lo, s2, v120
	v_add_co_ci_u32_e32 v119, vcc_lo, s3, v121, vcc_lo
	v_add_co_u32 v120, vcc_lo, s2, v139
	s_clause 0x1
	global_load_b128 v[34:37], v[110:111], off
	global_load_b128 v[38:41], v[112:113], off
	s_waitcnt vmcnt(25)
	scratch_store_b128 off, v[123:126], off offset:160
	s_waitcnt vmcnt(24)
	scratch_store_b128 off, v[127:130], off offset:176
	s_clause 0x1
	global_load_b128 v[202:205], v[114:115], off
	global_load_b128 v[206:209], v[116:117], off
	v_add_co_ci_u32_e32 v121, vcc_lo, s3, v140, vcc_lo
	s_waitcnt vmcnt(25)
	scratch_store_b128 off, v[131:134], off offset:192
	global_load_b128 v[128:131], v[118:119], off
	s_movk_i32 s2, 0x50
	global_load_b128 v[210:213], v[120:121], off
	s_movk_i32 s3, 0x60
	v_add_nc_u32_e64 v140, 0, 32
	v_add_nc_u32_e64 v139, 0, 64
	;; [unrolled: 1-line block ×8, first 2 shown]
	s_waitcnt vmcnt(26)
	scratch_store_b128 off, v[135:138], off offset:208
	v_add_nc_u32_e64 v138, s29, 0
	v_add_nc_u32_e64 v137, s30, 0
	;; [unrolled: 1-line block ×9, first 2 shown]
	s_mov_b32 s3, -1
	s_waitcnt vmcnt(25)
	scratch_store_b128 off, v[144:147], off offset:224
	v_add_nc_u32_e64 v147, s24, 0
	v_add_nc_u32_e64 v146, s25, 0
	;; [unrolled: 1-line block ×4, first 2 shown]
	s_waitcnt vmcnt(24)
	scratch_store_b128 off, v[148:151], off offset:240
	s_waitcnt vmcnt(23)
	scratch_store_b128 off, v[162:165], off offset:256
	v_add_nc_u32_e64 v151, s14, 0
	s_waitcnt vmcnt(22)
	scratch_store_b128 off, v[166:169], off offset:272
	v_add_nc_u32_e64 v150, s15, 0
	v_add_nc_u32_e64 v149, s22, 0
	;; [unrolled: 1-line block ×3, first 2 shown]
	s_waitcnt vmcnt(21)
	scratch_store_b128 off, v[170:173], off offset:288
	s_waitcnt vmcnt(20)
	scratch_store_b128 off, v[174:177], off offset:304
	;; [unrolled: 2-line block ×20, first 2 shown]
	v_add_nc_u32_e64 v131, s42, 0
	v_add_nc_u32_e64 v130, s43, 0
	v_add_nc_u32_e64 v129, s44, 0
	v_add_nc_u32_e64 v128, s45, 0
	s_waitcnt vmcnt(0)
	s_clause 0x1
	scratch_store_b128 off, v[210:213], off offset:608
	scratch_store_b128 off, v[198:201], off offset:624
	s_cbranch_scc1 .LBB39_172
; %bb.4:
	v_cmp_eq_u32_e64 s2, 0, v122
	s_delay_alu instid0(VALU_DEP_1)
	s_and_saveexec_b32 s3, s2
	s_cbranch_execz .LBB39_6
; %bb.5:
	v_mov_b32_e32 v1, 0
	ds_store_b32 v1, v1 offset:1280
.LBB39_6:
	s_or_b32 exec_lo, exec_lo, s3
	s_waitcnt lgkmcnt(0)
	s_waitcnt_vscnt null, 0x0
	s_barrier
	buffer_gl0_inv
	scratch_load_b128 v[1:4], v13, off
	s_waitcnt vmcnt(0)
	v_cmp_eq_f64_e32 vcc_lo, 0, v[1:2]
	v_cmp_eq_f64_e64 s3, 0, v[3:4]
	s_delay_alu instid0(VALU_DEP_1) | instskip(NEXT) | instid1(SALU_CYCLE_1)
	s_and_b32 s3, vcc_lo, s3
	s_and_saveexec_b32 s4, s3
	s_cbranch_execz .LBB39_10
; %bb.7:
	v_mov_b32_e32 v1, 0
	s_mov_b32 s5, 0
	ds_load_b32 v2, v1 offset:1280
	s_waitcnt lgkmcnt(0)
	v_readfirstlane_b32 s3, v2
	v_add_nc_u32_e32 v2, 1, v122
	s_delay_alu instid0(VALU_DEP_2) | instskip(NEXT) | instid1(VALU_DEP_1)
	s_cmp_eq_u32 s3, 0
	v_cmp_gt_i32_e32 vcc_lo, s3, v2
	s_cselect_b32 s8, -1, 0
	s_delay_alu instid0(SALU_CYCLE_1) | instskip(NEXT) | instid1(SALU_CYCLE_1)
	s_or_b32 s8, s8, vcc_lo
	s_and_b32 exec_lo, exec_lo, s8
	s_cbranch_execz .LBB39_10
; %bb.8:
	v_mov_b32_e32 v3, s3
.LBB39_9:                               ; =>This Inner Loop Header: Depth=1
	ds_cmpstore_rtn_b32 v3, v1, v2, v3 offset:1280
	s_waitcnt lgkmcnt(0)
	v_cmp_ne_u32_e32 vcc_lo, 0, v3
	v_cmp_le_i32_e64 s3, v3, v2
	s_delay_alu instid0(VALU_DEP_1) | instskip(NEXT) | instid1(SALU_CYCLE_1)
	s_and_b32 s3, vcc_lo, s3
	s_and_b32 s3, exec_lo, s3
	s_delay_alu instid0(SALU_CYCLE_1) | instskip(NEXT) | instid1(SALU_CYCLE_1)
	s_or_b32 s5, s3, s5
	s_and_not1_b32 exec_lo, exec_lo, s5
	s_cbranch_execnz .LBB39_9
.LBB39_10:
	s_or_b32 exec_lo, exec_lo, s4
	v_mov_b32_e32 v1, 0
	s_barrier
	buffer_gl0_inv
	ds_load_b32 v2, v1 offset:1280
	s_and_saveexec_b32 s3, s2
	s_cbranch_execz .LBB39_12
; %bb.11:
	s_lshl_b64 s[4:5], s[18:19], 2
	s_delay_alu instid0(SALU_CYCLE_1)
	s_add_u32 s4, s6, s4
	s_addc_u32 s5, s7, s5
	s_waitcnt lgkmcnt(0)
	global_store_b32 v1, v2, s[4:5]
.LBB39_12:
	s_or_b32 exec_lo, exec_lo, s3
	s_waitcnt lgkmcnt(0)
	v_cmp_ne_u32_e32 vcc_lo, 0, v2
	s_mov_b32 s3, 0
	s_cbranch_vccnz .LBB39_172
; %bb.13:
	v_add_nc_u32_e32 v14, 0, v13
                                        ; implicit-def: $vgpr9_vgpr10
	scratch_load_b128 v[1:4], v14, off
	s_waitcnt vmcnt(0)
	v_mov_b32_e32 v5, v1
	v_cmp_gt_f64_e32 vcc_lo, 0, v[1:2]
	v_xor_b32_e32 v6, 0x80000000, v2
	v_xor_b32_e32 v7, 0x80000000, v4
	s_delay_alu instid0(VALU_DEP_2) | instskip(SKIP_1) | instid1(VALU_DEP_3)
	v_cndmask_b32_e32 v6, v2, v6, vcc_lo
	v_cmp_gt_f64_e32 vcc_lo, 0, v[3:4]
	v_dual_cndmask_b32 v8, v4, v7 :: v_dual_mov_b32 v7, v3
	s_delay_alu instid0(VALU_DEP_1) | instskip(SKIP_1) | instid1(SALU_CYCLE_1)
	v_cmp_ngt_f64_e32 vcc_lo, v[5:6], v[7:8]
                                        ; implicit-def: $vgpr5_vgpr6
	s_and_saveexec_b32 s3, vcc_lo
	s_xor_b32 s3, exec_lo, s3
	s_cbranch_execz .LBB39_15
; %bb.14:
	v_div_scale_f64 v[5:6], null, v[3:4], v[3:4], v[1:2]
	v_div_scale_f64 v[11:12], vcc_lo, v[1:2], v[3:4], v[1:2]
	s_delay_alu instid0(VALU_DEP_2) | instskip(SKIP_2) | instid1(VALU_DEP_1)
	v_rcp_f64_e32 v[7:8], v[5:6]
	s_waitcnt_depctr 0xfff
	v_fma_f64 v[9:10], -v[5:6], v[7:8], 1.0
	v_fma_f64 v[7:8], v[7:8], v[9:10], v[7:8]
	s_delay_alu instid0(VALU_DEP_1) | instskip(NEXT) | instid1(VALU_DEP_1)
	v_fma_f64 v[9:10], -v[5:6], v[7:8], 1.0
	v_fma_f64 v[7:8], v[7:8], v[9:10], v[7:8]
	s_delay_alu instid0(VALU_DEP_1) | instskip(NEXT) | instid1(VALU_DEP_1)
	v_mul_f64 v[9:10], v[11:12], v[7:8]
	v_fma_f64 v[5:6], -v[5:6], v[9:10], v[11:12]
	s_delay_alu instid0(VALU_DEP_1) | instskip(NEXT) | instid1(VALU_DEP_1)
	v_div_fmas_f64 v[5:6], v[5:6], v[7:8], v[9:10]
	v_div_fixup_f64 v[5:6], v[5:6], v[3:4], v[1:2]
	s_delay_alu instid0(VALU_DEP_1) | instskip(NEXT) | instid1(VALU_DEP_1)
	v_fma_f64 v[1:2], v[1:2], v[5:6], v[3:4]
	v_div_scale_f64 v[3:4], null, v[1:2], v[1:2], 1.0
	v_div_scale_f64 v[11:12], vcc_lo, 1.0, v[1:2], 1.0
	s_delay_alu instid0(VALU_DEP_2) | instskip(SKIP_2) | instid1(VALU_DEP_1)
	v_rcp_f64_e32 v[7:8], v[3:4]
	s_waitcnt_depctr 0xfff
	v_fma_f64 v[9:10], -v[3:4], v[7:8], 1.0
	v_fma_f64 v[7:8], v[7:8], v[9:10], v[7:8]
	s_delay_alu instid0(VALU_DEP_1) | instskip(NEXT) | instid1(VALU_DEP_1)
	v_fma_f64 v[9:10], -v[3:4], v[7:8], 1.0
	v_fma_f64 v[7:8], v[7:8], v[9:10], v[7:8]
	s_delay_alu instid0(VALU_DEP_1) | instskip(NEXT) | instid1(VALU_DEP_1)
	v_mul_f64 v[9:10], v[11:12], v[7:8]
	v_fma_f64 v[3:4], -v[3:4], v[9:10], v[11:12]
	s_delay_alu instid0(VALU_DEP_1) | instskip(NEXT) | instid1(VALU_DEP_1)
	v_div_fmas_f64 v[3:4], v[3:4], v[7:8], v[9:10]
	v_div_fixup_f64 v[7:8], v[3:4], v[1:2], 1.0
                                        ; implicit-def: $vgpr1_vgpr2
	s_delay_alu instid0(VALU_DEP_1) | instskip(SKIP_1) | instid1(VALU_DEP_2)
	v_mul_f64 v[5:6], v[5:6], v[7:8]
	v_xor_b32_e32 v8, 0x80000000, v8
	v_xor_b32_e32 v10, 0x80000000, v6
	s_delay_alu instid0(VALU_DEP_3)
	v_mov_b32_e32 v9, v5
.LBB39_15:
	s_and_not1_saveexec_b32 s3, s3
	s_cbranch_execz .LBB39_17
; %bb.16:
	v_div_scale_f64 v[5:6], null, v[1:2], v[1:2], v[3:4]
	v_div_scale_f64 v[11:12], vcc_lo, v[3:4], v[1:2], v[3:4]
	s_delay_alu instid0(VALU_DEP_2) | instskip(SKIP_2) | instid1(VALU_DEP_1)
	v_rcp_f64_e32 v[7:8], v[5:6]
	s_waitcnt_depctr 0xfff
	v_fma_f64 v[9:10], -v[5:6], v[7:8], 1.0
	v_fma_f64 v[7:8], v[7:8], v[9:10], v[7:8]
	s_delay_alu instid0(VALU_DEP_1) | instskip(NEXT) | instid1(VALU_DEP_1)
	v_fma_f64 v[9:10], -v[5:6], v[7:8], 1.0
	v_fma_f64 v[7:8], v[7:8], v[9:10], v[7:8]
	s_delay_alu instid0(VALU_DEP_1) | instskip(NEXT) | instid1(VALU_DEP_1)
	v_mul_f64 v[9:10], v[11:12], v[7:8]
	v_fma_f64 v[5:6], -v[5:6], v[9:10], v[11:12]
	s_delay_alu instid0(VALU_DEP_1) | instskip(NEXT) | instid1(VALU_DEP_1)
	v_div_fmas_f64 v[5:6], v[5:6], v[7:8], v[9:10]
	v_div_fixup_f64 v[7:8], v[5:6], v[1:2], v[3:4]
	s_delay_alu instid0(VALU_DEP_1) | instskip(NEXT) | instid1(VALU_DEP_1)
	v_fma_f64 v[1:2], v[3:4], v[7:8], v[1:2]
	v_div_scale_f64 v[3:4], null, v[1:2], v[1:2], 1.0
	s_delay_alu instid0(VALU_DEP_1) | instskip(SKIP_2) | instid1(VALU_DEP_1)
	v_rcp_f64_e32 v[5:6], v[3:4]
	s_waitcnt_depctr 0xfff
	v_fma_f64 v[9:10], -v[3:4], v[5:6], 1.0
	v_fma_f64 v[5:6], v[5:6], v[9:10], v[5:6]
	s_delay_alu instid0(VALU_DEP_1) | instskip(NEXT) | instid1(VALU_DEP_1)
	v_fma_f64 v[9:10], -v[3:4], v[5:6], 1.0
	v_fma_f64 v[5:6], v[5:6], v[9:10], v[5:6]
	v_div_scale_f64 v[9:10], vcc_lo, 1.0, v[1:2], 1.0
	s_delay_alu instid0(VALU_DEP_1) | instskip(NEXT) | instid1(VALU_DEP_1)
	v_mul_f64 v[11:12], v[9:10], v[5:6]
	v_fma_f64 v[3:4], -v[3:4], v[11:12], v[9:10]
	s_delay_alu instid0(VALU_DEP_1) | instskip(NEXT) | instid1(VALU_DEP_1)
	v_div_fmas_f64 v[3:4], v[3:4], v[5:6], v[11:12]
	v_div_fixup_f64 v[5:6], v[3:4], v[1:2], 1.0
	s_delay_alu instid0(VALU_DEP_1)
	v_mul_f64 v[7:8], v[7:8], -v[5:6]
	v_xor_b32_e32 v10, 0x80000000, v6
	v_mov_b32_e32 v9, v5
.LBB39_17:
	s_or_b32 exec_lo, exec_lo, s3
	scratch_store_b128 v14, v[5:8], off
	scratch_load_b128 v[1:4], v143, off
	v_xor_b32_e32 v12, 0x80000000, v8
	v_mov_b32_e32 v11, v7
	v_add_nc_u32_e32 v5, 0x280, v13
	ds_store_b128 v13, v[9:12]
	s_waitcnt vmcnt(0)
	ds_store_b128 v13, v[1:4] offset:640
	s_waitcnt lgkmcnt(0)
	s_waitcnt_vscnt null, 0x0
	s_barrier
	buffer_gl0_inv
	s_and_saveexec_b32 s3, s2
	s_cbranch_execz .LBB39_19
; %bb.18:
	scratch_load_b128 v[1:4], v14, off
	ds_load_b128 v[6:9], v5
	v_mov_b32_e32 v10, 0
	ds_load_b128 v[15:18], v10 offset:16
	s_waitcnt vmcnt(0) lgkmcnt(1)
	v_mul_f64 v[10:11], v[6:7], v[3:4]
	v_mul_f64 v[3:4], v[8:9], v[3:4]
	s_delay_alu instid0(VALU_DEP_2) | instskip(NEXT) | instid1(VALU_DEP_2)
	v_fma_f64 v[8:9], v[8:9], v[1:2], v[10:11]
	v_fma_f64 v[1:2], v[6:7], v[1:2], -v[3:4]
	s_delay_alu instid0(VALU_DEP_2) | instskip(NEXT) | instid1(VALU_DEP_2)
	v_add_f64 v[3:4], v[8:9], 0
	v_add_f64 v[1:2], v[1:2], 0
	s_waitcnt lgkmcnt(0)
	s_delay_alu instid0(VALU_DEP_2) | instskip(NEXT) | instid1(VALU_DEP_2)
	v_mul_f64 v[6:7], v[3:4], v[17:18]
	v_mul_f64 v[8:9], v[1:2], v[17:18]
	s_delay_alu instid0(VALU_DEP_2) | instskip(NEXT) | instid1(VALU_DEP_2)
	v_fma_f64 v[1:2], v[1:2], v[15:16], -v[6:7]
	v_fma_f64 v[3:4], v[3:4], v[15:16], v[8:9]
	scratch_store_b128 off, v[1:4], off offset:16
.LBB39_19:
	s_or_b32 exec_lo, exec_lo, s3
	s_waitcnt_vscnt null, 0x0
	s_barrier
	buffer_gl0_inv
	scratch_load_b128 v[1:4], v140, off
	s_mov_b32 s3, exec_lo
	s_waitcnt vmcnt(0)
	ds_store_b128 v5, v[1:4]
	s_waitcnt lgkmcnt(0)
	s_barrier
	buffer_gl0_inv
	v_cmpx_gt_u32_e32 2, v122
	s_cbranch_execz .LBB39_23
; %bb.20:
	scratch_load_b128 v[1:4], v14, off
	ds_load_b128 v[6:9], v5
	s_waitcnt vmcnt(0) lgkmcnt(0)
	v_mul_f64 v[10:11], v[8:9], v[3:4]
	v_mul_f64 v[3:4], v[6:7], v[3:4]
	s_delay_alu instid0(VALU_DEP_2) | instskip(NEXT) | instid1(VALU_DEP_2)
	v_fma_f64 v[6:7], v[6:7], v[1:2], -v[10:11]
	v_fma_f64 v[3:4], v[8:9], v[1:2], v[3:4]
	s_delay_alu instid0(VALU_DEP_2) | instskip(NEXT) | instid1(VALU_DEP_2)
	v_add_f64 v[1:2], v[6:7], 0
	v_add_f64 v[3:4], v[3:4], 0
	s_and_saveexec_b32 s4, s2
	s_cbranch_execz .LBB39_22
; %bb.21:
	scratch_load_b128 v[6:9], off, off offset:16
	v_mov_b32_e32 v10, 0
	ds_load_b128 v[15:18], v10 offset:656
	s_waitcnt vmcnt(0) lgkmcnt(0)
	v_mul_f64 v[10:11], v[15:16], v[8:9]
	v_mul_f64 v[8:9], v[17:18], v[8:9]
	s_delay_alu instid0(VALU_DEP_2) | instskip(NEXT) | instid1(VALU_DEP_2)
	v_fma_f64 v[10:11], v[17:18], v[6:7], v[10:11]
	v_fma_f64 v[6:7], v[15:16], v[6:7], -v[8:9]
	s_delay_alu instid0(VALU_DEP_2) | instskip(NEXT) | instid1(VALU_DEP_2)
	v_add_f64 v[3:4], v[3:4], v[10:11]
	v_add_f64 v[1:2], v[1:2], v[6:7]
.LBB39_22:
	s_or_b32 exec_lo, exec_lo, s4
	v_mov_b32_e32 v6, 0
	ds_load_b128 v[6:9], v6 offset:32
	s_waitcnt lgkmcnt(0)
	v_mul_f64 v[10:11], v[3:4], v[8:9]
	v_mul_f64 v[8:9], v[1:2], v[8:9]
	s_delay_alu instid0(VALU_DEP_2) | instskip(NEXT) | instid1(VALU_DEP_2)
	v_fma_f64 v[1:2], v[1:2], v[6:7], -v[10:11]
	v_fma_f64 v[3:4], v[3:4], v[6:7], v[8:9]
	scratch_store_b128 off, v[1:4], off offset:32
.LBB39_23:
	s_or_b32 exec_lo, exec_lo, s3
	s_waitcnt_vscnt null, 0x0
	s_barrier
	buffer_gl0_inv
	scratch_load_b128 v[1:4], v142, off
	v_add_nc_u32_e32 v6, -1, v122
	s_mov_b32 s2, exec_lo
	s_waitcnt vmcnt(0)
	ds_store_b128 v5, v[1:4]
	s_waitcnt lgkmcnt(0)
	s_barrier
	buffer_gl0_inv
	v_cmpx_gt_u32_e32 3, v122
	s_cbranch_execz .LBB39_27
; %bb.24:
	v_dual_mov_b32 v1, 0 :: v_dual_add_nc_u32 v8, 0x280, v13
	v_dual_mov_b32 v2, 0 :: v_dual_add_nc_u32 v7, -1, v122
	v_or_b32_e32 v9, 8, v14
	s_mov_b32 s3, 0
	s_delay_alu instid0(VALU_DEP_2)
	v_dual_mov_b32 v4, v2 :: v_dual_mov_b32 v3, v1
	.p2align	6
.LBB39_25:                              ; =>This Inner Loop Header: Depth=1
	scratch_load_b128 v[15:18], v9, off offset:-8
	ds_load_b128 v[19:22], v8
	v_add_nc_u32_e32 v7, 1, v7
	v_add_nc_u32_e32 v8, 16, v8
	v_add_nc_u32_e32 v9, 16, v9
	s_delay_alu instid0(VALU_DEP_3) | instskip(SKIP_4) | instid1(VALU_DEP_2)
	v_cmp_lt_u32_e32 vcc_lo, 1, v7
	s_or_b32 s3, vcc_lo, s3
	s_waitcnt vmcnt(0) lgkmcnt(0)
	v_mul_f64 v[10:11], v[21:22], v[17:18]
	v_mul_f64 v[17:18], v[19:20], v[17:18]
	v_fma_f64 v[10:11], v[19:20], v[15:16], -v[10:11]
	s_delay_alu instid0(VALU_DEP_2) | instskip(NEXT) | instid1(VALU_DEP_2)
	v_fma_f64 v[15:16], v[21:22], v[15:16], v[17:18]
	v_add_f64 v[3:4], v[3:4], v[10:11]
	s_delay_alu instid0(VALU_DEP_2)
	v_add_f64 v[1:2], v[1:2], v[15:16]
	s_and_not1_b32 exec_lo, exec_lo, s3
	s_cbranch_execnz .LBB39_25
; %bb.26:
	s_or_b32 exec_lo, exec_lo, s3
	v_mov_b32_e32 v7, 0
	ds_load_b128 v[7:10], v7 offset:48
	s_waitcnt lgkmcnt(0)
	v_mul_f64 v[11:12], v[1:2], v[9:10]
	v_mul_f64 v[15:16], v[3:4], v[9:10]
	s_delay_alu instid0(VALU_DEP_2) | instskip(NEXT) | instid1(VALU_DEP_2)
	v_fma_f64 v[9:10], v[3:4], v[7:8], -v[11:12]
	v_fma_f64 v[11:12], v[1:2], v[7:8], v[15:16]
	scratch_store_b128 off, v[9:12], off offset:48
.LBB39_27:
	s_or_b32 exec_lo, exec_lo, s2
	s_waitcnt_vscnt null, 0x0
	s_barrier
	buffer_gl0_inv
	scratch_load_b128 v[1:4], v139, off
	s_mov_b32 s2, exec_lo
	s_waitcnt vmcnt(0)
	ds_store_b128 v5, v[1:4]
	s_waitcnt lgkmcnt(0)
	s_barrier
	buffer_gl0_inv
	v_cmpx_gt_u32_e32 4, v122
	s_cbranch_execz .LBB39_31
; %bb.28:
	v_dual_mov_b32 v1, 0 :: v_dual_add_nc_u32 v8, 0x280, v13
	v_dual_mov_b32 v2, 0 :: v_dual_add_nc_u32 v7, -1, v122
	v_or_b32_e32 v9, 8, v14
	s_mov_b32 s3, 0
	s_delay_alu instid0(VALU_DEP_2)
	v_dual_mov_b32 v4, v2 :: v_dual_mov_b32 v3, v1
	.p2align	6
.LBB39_29:                              ; =>This Inner Loop Header: Depth=1
	scratch_load_b128 v[15:18], v9, off offset:-8
	ds_load_b128 v[19:22], v8
	v_add_nc_u32_e32 v7, 1, v7
	v_add_nc_u32_e32 v8, 16, v8
	;; [unrolled: 1-line block ×3, first 2 shown]
	s_delay_alu instid0(VALU_DEP_3) | instskip(SKIP_4) | instid1(VALU_DEP_2)
	v_cmp_lt_u32_e32 vcc_lo, 2, v7
	s_or_b32 s3, vcc_lo, s3
	s_waitcnt vmcnt(0) lgkmcnt(0)
	v_mul_f64 v[10:11], v[21:22], v[17:18]
	v_mul_f64 v[17:18], v[19:20], v[17:18]
	v_fma_f64 v[10:11], v[19:20], v[15:16], -v[10:11]
	s_delay_alu instid0(VALU_DEP_2) | instskip(NEXT) | instid1(VALU_DEP_2)
	v_fma_f64 v[15:16], v[21:22], v[15:16], v[17:18]
	v_add_f64 v[3:4], v[3:4], v[10:11]
	s_delay_alu instid0(VALU_DEP_2)
	v_add_f64 v[1:2], v[1:2], v[15:16]
	s_and_not1_b32 exec_lo, exec_lo, s3
	s_cbranch_execnz .LBB39_29
; %bb.30:
	s_or_b32 exec_lo, exec_lo, s3
	v_mov_b32_e32 v7, 0
	ds_load_b128 v[7:10], v7 offset:64
	s_waitcnt lgkmcnt(0)
	v_mul_f64 v[11:12], v[1:2], v[9:10]
	v_mul_f64 v[15:16], v[3:4], v[9:10]
	s_delay_alu instid0(VALU_DEP_2) | instskip(NEXT) | instid1(VALU_DEP_2)
	v_fma_f64 v[9:10], v[3:4], v[7:8], -v[11:12]
	v_fma_f64 v[11:12], v[1:2], v[7:8], v[15:16]
	scratch_store_b128 off, v[9:12], off offset:64
.LBB39_31:
	s_or_b32 exec_lo, exec_lo, s2
	s_waitcnt_vscnt null, 0x0
	s_barrier
	buffer_gl0_inv
	scratch_load_b128 v[1:4], v161, off
	s_mov_b32 s2, exec_lo
	s_waitcnt vmcnt(0)
	ds_store_b128 v5, v[1:4]
	s_waitcnt lgkmcnt(0)
	s_barrier
	buffer_gl0_inv
	v_cmpx_gt_u32_e32 5, v122
	s_cbranch_execz .LBB39_35
; %bb.32:
	v_dual_mov_b32 v1, 0 :: v_dual_add_nc_u32 v8, 0x280, v13
	v_dual_mov_b32 v2, 0 :: v_dual_add_nc_u32 v7, -1, v122
	v_or_b32_e32 v9, 8, v14
	s_mov_b32 s3, 0
	s_delay_alu instid0(VALU_DEP_2)
	v_dual_mov_b32 v4, v2 :: v_dual_mov_b32 v3, v1
	.p2align	6
.LBB39_33:                              ; =>This Inner Loop Header: Depth=1
	scratch_load_b128 v[15:18], v9, off offset:-8
	ds_load_b128 v[19:22], v8
	v_add_nc_u32_e32 v7, 1, v7
	v_add_nc_u32_e32 v8, 16, v8
	;; [unrolled: 1-line block ×3, first 2 shown]
	s_delay_alu instid0(VALU_DEP_3) | instskip(SKIP_4) | instid1(VALU_DEP_2)
	v_cmp_lt_u32_e32 vcc_lo, 3, v7
	s_or_b32 s3, vcc_lo, s3
	s_waitcnt vmcnt(0) lgkmcnt(0)
	v_mul_f64 v[10:11], v[21:22], v[17:18]
	v_mul_f64 v[17:18], v[19:20], v[17:18]
	v_fma_f64 v[10:11], v[19:20], v[15:16], -v[10:11]
	s_delay_alu instid0(VALU_DEP_2) | instskip(NEXT) | instid1(VALU_DEP_2)
	v_fma_f64 v[15:16], v[21:22], v[15:16], v[17:18]
	v_add_f64 v[3:4], v[3:4], v[10:11]
	s_delay_alu instid0(VALU_DEP_2)
	v_add_f64 v[1:2], v[1:2], v[15:16]
	s_and_not1_b32 exec_lo, exec_lo, s3
	s_cbranch_execnz .LBB39_33
; %bb.34:
	s_or_b32 exec_lo, exec_lo, s3
	v_mov_b32_e32 v7, 0
	ds_load_b128 v[7:10], v7 offset:80
	s_waitcnt lgkmcnt(0)
	v_mul_f64 v[11:12], v[1:2], v[9:10]
	v_mul_f64 v[15:16], v[3:4], v[9:10]
	s_delay_alu instid0(VALU_DEP_2) | instskip(NEXT) | instid1(VALU_DEP_2)
	v_fma_f64 v[9:10], v[3:4], v[7:8], -v[11:12]
	v_fma_f64 v[11:12], v[1:2], v[7:8], v[15:16]
	scratch_store_b128 off, v[9:12], off offset:80
.LBB39_35:
	s_or_b32 exec_lo, exec_lo, s2
	s_waitcnt_vscnt null, 0x0
	s_barrier
	buffer_gl0_inv
	scratch_load_b128 v[1:4], v159, off
	s_mov_b32 s2, exec_lo
	s_waitcnt vmcnt(0)
	ds_store_b128 v5, v[1:4]
	s_waitcnt lgkmcnt(0)
	s_barrier
	buffer_gl0_inv
	v_cmpx_gt_u32_e32 6, v122
	s_cbranch_execz .LBB39_39
; %bb.36:
	v_dual_mov_b32 v1, 0 :: v_dual_add_nc_u32 v8, 0x280, v13
	v_dual_mov_b32 v2, 0 :: v_dual_add_nc_u32 v7, -1, v122
	v_or_b32_e32 v9, 8, v14
	s_mov_b32 s3, 0
	s_delay_alu instid0(VALU_DEP_2)
	v_dual_mov_b32 v4, v2 :: v_dual_mov_b32 v3, v1
	.p2align	6
.LBB39_37:                              ; =>This Inner Loop Header: Depth=1
	scratch_load_b128 v[15:18], v9, off offset:-8
	ds_load_b128 v[19:22], v8
	v_add_nc_u32_e32 v7, 1, v7
	v_add_nc_u32_e32 v8, 16, v8
	;; [unrolled: 1-line block ×3, first 2 shown]
	s_delay_alu instid0(VALU_DEP_3) | instskip(SKIP_4) | instid1(VALU_DEP_2)
	v_cmp_lt_u32_e32 vcc_lo, 4, v7
	s_or_b32 s3, vcc_lo, s3
	s_waitcnt vmcnt(0) lgkmcnt(0)
	v_mul_f64 v[10:11], v[21:22], v[17:18]
	v_mul_f64 v[17:18], v[19:20], v[17:18]
	v_fma_f64 v[10:11], v[19:20], v[15:16], -v[10:11]
	s_delay_alu instid0(VALU_DEP_2) | instskip(NEXT) | instid1(VALU_DEP_2)
	v_fma_f64 v[15:16], v[21:22], v[15:16], v[17:18]
	v_add_f64 v[3:4], v[3:4], v[10:11]
	s_delay_alu instid0(VALU_DEP_2)
	v_add_f64 v[1:2], v[1:2], v[15:16]
	s_and_not1_b32 exec_lo, exec_lo, s3
	s_cbranch_execnz .LBB39_37
; %bb.38:
	s_or_b32 exec_lo, exec_lo, s3
	v_mov_b32_e32 v7, 0
	ds_load_b128 v[7:10], v7 offset:96
	s_waitcnt lgkmcnt(0)
	v_mul_f64 v[11:12], v[1:2], v[9:10]
	v_mul_f64 v[15:16], v[3:4], v[9:10]
	s_delay_alu instid0(VALU_DEP_2) | instskip(NEXT) | instid1(VALU_DEP_2)
	v_fma_f64 v[9:10], v[3:4], v[7:8], -v[11:12]
	v_fma_f64 v[11:12], v[1:2], v[7:8], v[15:16]
	scratch_store_b128 off, v[9:12], off offset:96
.LBB39_39:
	s_or_b32 exec_lo, exec_lo, s2
	s_waitcnt_vscnt null, 0x0
	s_barrier
	buffer_gl0_inv
	scratch_load_b128 v[1:4], v160, off
	s_mov_b32 s2, exec_lo
	s_waitcnt vmcnt(0)
	ds_store_b128 v5, v[1:4]
	s_waitcnt lgkmcnt(0)
	s_barrier
	buffer_gl0_inv
	v_cmpx_gt_u32_e32 7, v122
	s_cbranch_execz .LBB39_43
; %bb.40:
	v_dual_mov_b32 v1, 0 :: v_dual_add_nc_u32 v8, 0x280, v13
	v_dual_mov_b32 v2, 0 :: v_dual_add_nc_u32 v7, -1, v122
	v_or_b32_e32 v9, 8, v14
	s_mov_b32 s3, 0
	s_delay_alu instid0(VALU_DEP_2)
	v_dual_mov_b32 v4, v2 :: v_dual_mov_b32 v3, v1
	.p2align	6
.LBB39_41:                              ; =>This Inner Loop Header: Depth=1
	scratch_load_b128 v[15:18], v9, off offset:-8
	ds_load_b128 v[19:22], v8
	v_add_nc_u32_e32 v7, 1, v7
	v_add_nc_u32_e32 v8, 16, v8
	v_add_nc_u32_e32 v9, 16, v9
	s_delay_alu instid0(VALU_DEP_3) | instskip(SKIP_4) | instid1(VALU_DEP_2)
	v_cmp_lt_u32_e32 vcc_lo, 5, v7
	s_or_b32 s3, vcc_lo, s3
	s_waitcnt vmcnt(0) lgkmcnt(0)
	v_mul_f64 v[10:11], v[21:22], v[17:18]
	v_mul_f64 v[17:18], v[19:20], v[17:18]
	v_fma_f64 v[10:11], v[19:20], v[15:16], -v[10:11]
	s_delay_alu instid0(VALU_DEP_2) | instskip(NEXT) | instid1(VALU_DEP_2)
	v_fma_f64 v[15:16], v[21:22], v[15:16], v[17:18]
	v_add_f64 v[3:4], v[3:4], v[10:11]
	s_delay_alu instid0(VALU_DEP_2)
	v_add_f64 v[1:2], v[1:2], v[15:16]
	s_and_not1_b32 exec_lo, exec_lo, s3
	s_cbranch_execnz .LBB39_41
; %bb.42:
	s_or_b32 exec_lo, exec_lo, s3
	v_mov_b32_e32 v7, 0
	ds_load_b128 v[7:10], v7 offset:112
	s_waitcnt lgkmcnt(0)
	v_mul_f64 v[11:12], v[1:2], v[9:10]
	v_mul_f64 v[15:16], v[3:4], v[9:10]
	s_delay_alu instid0(VALU_DEP_2) | instskip(NEXT) | instid1(VALU_DEP_2)
	v_fma_f64 v[9:10], v[3:4], v[7:8], -v[11:12]
	v_fma_f64 v[11:12], v[1:2], v[7:8], v[15:16]
	scratch_store_b128 off, v[9:12], off offset:112
.LBB39_43:
	s_or_b32 exec_lo, exec_lo, s2
	s_waitcnt_vscnt null, 0x0
	s_barrier
	buffer_gl0_inv
	scratch_load_b128 v[1:4], v158, off
	s_mov_b32 s2, exec_lo
	s_waitcnt vmcnt(0)
	ds_store_b128 v5, v[1:4]
	s_waitcnt lgkmcnt(0)
	s_barrier
	buffer_gl0_inv
	v_cmpx_gt_u32_e32 8, v122
	s_cbranch_execz .LBB39_47
; %bb.44:
	v_dual_mov_b32 v1, 0 :: v_dual_add_nc_u32 v8, 0x280, v13
	v_dual_mov_b32 v2, 0 :: v_dual_add_nc_u32 v7, -1, v122
	v_or_b32_e32 v9, 8, v14
	s_mov_b32 s3, 0
	s_delay_alu instid0(VALU_DEP_2)
	v_dual_mov_b32 v4, v2 :: v_dual_mov_b32 v3, v1
	.p2align	6
.LBB39_45:                              ; =>This Inner Loop Header: Depth=1
	scratch_load_b128 v[15:18], v9, off offset:-8
	ds_load_b128 v[19:22], v8
	v_add_nc_u32_e32 v7, 1, v7
	v_add_nc_u32_e32 v8, 16, v8
	;; [unrolled: 1-line block ×3, first 2 shown]
	s_delay_alu instid0(VALU_DEP_3) | instskip(SKIP_4) | instid1(VALU_DEP_2)
	v_cmp_lt_u32_e32 vcc_lo, 6, v7
	s_or_b32 s3, vcc_lo, s3
	s_waitcnt vmcnt(0) lgkmcnt(0)
	v_mul_f64 v[10:11], v[21:22], v[17:18]
	v_mul_f64 v[17:18], v[19:20], v[17:18]
	v_fma_f64 v[10:11], v[19:20], v[15:16], -v[10:11]
	s_delay_alu instid0(VALU_DEP_2) | instskip(NEXT) | instid1(VALU_DEP_2)
	v_fma_f64 v[15:16], v[21:22], v[15:16], v[17:18]
	v_add_f64 v[3:4], v[3:4], v[10:11]
	s_delay_alu instid0(VALU_DEP_2)
	v_add_f64 v[1:2], v[1:2], v[15:16]
	s_and_not1_b32 exec_lo, exec_lo, s3
	s_cbranch_execnz .LBB39_45
; %bb.46:
	s_or_b32 exec_lo, exec_lo, s3
	v_mov_b32_e32 v7, 0
	ds_load_b128 v[7:10], v7 offset:128
	s_waitcnt lgkmcnt(0)
	v_mul_f64 v[11:12], v[1:2], v[9:10]
	v_mul_f64 v[15:16], v[3:4], v[9:10]
	s_delay_alu instid0(VALU_DEP_2) | instskip(NEXT) | instid1(VALU_DEP_2)
	v_fma_f64 v[9:10], v[3:4], v[7:8], -v[11:12]
	v_fma_f64 v[11:12], v[1:2], v[7:8], v[15:16]
	scratch_store_b128 off, v[9:12], off offset:128
.LBB39_47:
	s_or_b32 exec_lo, exec_lo, s2
	s_waitcnt_vscnt null, 0x0
	s_barrier
	buffer_gl0_inv
	scratch_load_b128 v[1:4], v157, off
	s_mov_b32 s2, exec_lo
	s_waitcnt vmcnt(0)
	ds_store_b128 v5, v[1:4]
	s_waitcnt lgkmcnt(0)
	s_barrier
	buffer_gl0_inv
	v_cmpx_gt_u32_e32 9, v122
	s_cbranch_execz .LBB39_51
; %bb.48:
	v_dual_mov_b32 v1, 0 :: v_dual_add_nc_u32 v8, 0x280, v13
	v_dual_mov_b32 v2, 0 :: v_dual_add_nc_u32 v7, -1, v122
	v_or_b32_e32 v9, 8, v14
	s_mov_b32 s3, 0
	s_delay_alu instid0(VALU_DEP_2)
	v_dual_mov_b32 v4, v2 :: v_dual_mov_b32 v3, v1
	.p2align	6
.LBB39_49:                              ; =>This Inner Loop Header: Depth=1
	scratch_load_b128 v[15:18], v9, off offset:-8
	ds_load_b128 v[19:22], v8
	v_add_nc_u32_e32 v7, 1, v7
	v_add_nc_u32_e32 v8, 16, v8
	;; [unrolled: 1-line block ×3, first 2 shown]
	s_delay_alu instid0(VALU_DEP_3) | instskip(SKIP_4) | instid1(VALU_DEP_2)
	v_cmp_lt_u32_e32 vcc_lo, 7, v7
	s_or_b32 s3, vcc_lo, s3
	s_waitcnt vmcnt(0) lgkmcnt(0)
	v_mul_f64 v[10:11], v[21:22], v[17:18]
	v_mul_f64 v[17:18], v[19:20], v[17:18]
	v_fma_f64 v[10:11], v[19:20], v[15:16], -v[10:11]
	s_delay_alu instid0(VALU_DEP_2) | instskip(NEXT) | instid1(VALU_DEP_2)
	v_fma_f64 v[15:16], v[21:22], v[15:16], v[17:18]
	v_add_f64 v[3:4], v[3:4], v[10:11]
	s_delay_alu instid0(VALU_DEP_2)
	v_add_f64 v[1:2], v[1:2], v[15:16]
	s_and_not1_b32 exec_lo, exec_lo, s3
	s_cbranch_execnz .LBB39_49
; %bb.50:
	s_or_b32 exec_lo, exec_lo, s3
	v_mov_b32_e32 v7, 0
	ds_load_b128 v[7:10], v7 offset:144
	s_waitcnt lgkmcnt(0)
	v_mul_f64 v[11:12], v[1:2], v[9:10]
	v_mul_f64 v[15:16], v[3:4], v[9:10]
	s_delay_alu instid0(VALU_DEP_2) | instskip(NEXT) | instid1(VALU_DEP_2)
	v_fma_f64 v[9:10], v[3:4], v[7:8], -v[11:12]
	v_fma_f64 v[11:12], v[1:2], v[7:8], v[15:16]
	scratch_store_b128 off, v[9:12], off offset:144
.LBB39_51:
	s_or_b32 exec_lo, exec_lo, s2
	s_waitcnt_vscnt null, 0x0
	s_barrier
	buffer_gl0_inv
	scratch_load_b128 v[1:4], v155, off
	s_mov_b32 s2, exec_lo
	s_waitcnt vmcnt(0)
	ds_store_b128 v5, v[1:4]
	s_waitcnt lgkmcnt(0)
	s_barrier
	buffer_gl0_inv
	v_cmpx_gt_u32_e32 10, v122
	s_cbranch_execz .LBB39_55
; %bb.52:
	v_dual_mov_b32 v1, 0 :: v_dual_add_nc_u32 v8, 0x280, v13
	v_dual_mov_b32 v2, 0 :: v_dual_add_nc_u32 v7, -1, v122
	v_or_b32_e32 v9, 8, v14
	s_mov_b32 s3, 0
	s_delay_alu instid0(VALU_DEP_2)
	v_dual_mov_b32 v4, v2 :: v_dual_mov_b32 v3, v1
	.p2align	6
.LBB39_53:                              ; =>This Inner Loop Header: Depth=1
	scratch_load_b128 v[15:18], v9, off offset:-8
	ds_load_b128 v[19:22], v8
	v_add_nc_u32_e32 v7, 1, v7
	v_add_nc_u32_e32 v8, 16, v8
	;; [unrolled: 1-line block ×3, first 2 shown]
	s_delay_alu instid0(VALU_DEP_3) | instskip(SKIP_4) | instid1(VALU_DEP_2)
	v_cmp_lt_u32_e32 vcc_lo, 8, v7
	s_or_b32 s3, vcc_lo, s3
	s_waitcnt vmcnt(0) lgkmcnt(0)
	v_mul_f64 v[10:11], v[21:22], v[17:18]
	v_mul_f64 v[17:18], v[19:20], v[17:18]
	v_fma_f64 v[10:11], v[19:20], v[15:16], -v[10:11]
	s_delay_alu instid0(VALU_DEP_2) | instskip(NEXT) | instid1(VALU_DEP_2)
	v_fma_f64 v[15:16], v[21:22], v[15:16], v[17:18]
	v_add_f64 v[3:4], v[3:4], v[10:11]
	s_delay_alu instid0(VALU_DEP_2)
	v_add_f64 v[1:2], v[1:2], v[15:16]
	s_and_not1_b32 exec_lo, exec_lo, s3
	s_cbranch_execnz .LBB39_53
; %bb.54:
	s_or_b32 exec_lo, exec_lo, s3
	v_mov_b32_e32 v7, 0
	ds_load_b128 v[7:10], v7 offset:160
	s_waitcnt lgkmcnt(0)
	v_mul_f64 v[11:12], v[1:2], v[9:10]
	v_mul_f64 v[15:16], v[3:4], v[9:10]
	s_delay_alu instid0(VALU_DEP_2) | instskip(NEXT) | instid1(VALU_DEP_2)
	v_fma_f64 v[9:10], v[3:4], v[7:8], -v[11:12]
	v_fma_f64 v[11:12], v[1:2], v[7:8], v[15:16]
	scratch_store_b128 off, v[9:12], off offset:160
.LBB39_55:
	s_or_b32 exec_lo, exec_lo, s2
	s_waitcnt_vscnt null, 0x0
	s_barrier
	buffer_gl0_inv
	scratch_load_b128 v[1:4], v156, off
	s_mov_b32 s2, exec_lo
	s_waitcnt vmcnt(0)
	ds_store_b128 v5, v[1:4]
	s_waitcnt lgkmcnt(0)
	s_barrier
	buffer_gl0_inv
	v_cmpx_gt_u32_e32 11, v122
	s_cbranch_execz .LBB39_59
; %bb.56:
	v_dual_mov_b32 v1, 0 :: v_dual_add_nc_u32 v8, 0x280, v13
	v_dual_mov_b32 v2, 0 :: v_dual_add_nc_u32 v7, -1, v122
	v_or_b32_e32 v9, 8, v14
	s_mov_b32 s3, 0
	s_delay_alu instid0(VALU_DEP_2)
	v_dual_mov_b32 v4, v2 :: v_dual_mov_b32 v3, v1
	.p2align	6
.LBB39_57:                              ; =>This Inner Loop Header: Depth=1
	scratch_load_b128 v[15:18], v9, off offset:-8
	ds_load_b128 v[19:22], v8
	v_add_nc_u32_e32 v7, 1, v7
	v_add_nc_u32_e32 v8, 16, v8
	;; [unrolled: 1-line block ×3, first 2 shown]
	s_delay_alu instid0(VALU_DEP_3) | instskip(SKIP_4) | instid1(VALU_DEP_2)
	v_cmp_lt_u32_e32 vcc_lo, 9, v7
	s_or_b32 s3, vcc_lo, s3
	s_waitcnt vmcnt(0) lgkmcnt(0)
	v_mul_f64 v[10:11], v[21:22], v[17:18]
	v_mul_f64 v[17:18], v[19:20], v[17:18]
	v_fma_f64 v[10:11], v[19:20], v[15:16], -v[10:11]
	s_delay_alu instid0(VALU_DEP_2) | instskip(NEXT) | instid1(VALU_DEP_2)
	v_fma_f64 v[15:16], v[21:22], v[15:16], v[17:18]
	v_add_f64 v[3:4], v[3:4], v[10:11]
	s_delay_alu instid0(VALU_DEP_2)
	v_add_f64 v[1:2], v[1:2], v[15:16]
	s_and_not1_b32 exec_lo, exec_lo, s3
	s_cbranch_execnz .LBB39_57
; %bb.58:
	s_or_b32 exec_lo, exec_lo, s3
	v_mov_b32_e32 v7, 0
	ds_load_b128 v[7:10], v7 offset:176
	s_waitcnt lgkmcnt(0)
	v_mul_f64 v[11:12], v[1:2], v[9:10]
	v_mul_f64 v[15:16], v[3:4], v[9:10]
	s_delay_alu instid0(VALU_DEP_2) | instskip(NEXT) | instid1(VALU_DEP_2)
	v_fma_f64 v[9:10], v[3:4], v[7:8], -v[11:12]
	v_fma_f64 v[11:12], v[1:2], v[7:8], v[15:16]
	scratch_store_b128 off, v[9:12], off offset:176
.LBB39_59:
	s_or_b32 exec_lo, exec_lo, s2
	s_waitcnt_vscnt null, 0x0
	s_barrier
	buffer_gl0_inv
	scratch_load_b128 v[1:4], v154, off
	s_mov_b32 s2, exec_lo
	s_waitcnt vmcnt(0)
	ds_store_b128 v5, v[1:4]
	s_waitcnt lgkmcnt(0)
	s_barrier
	buffer_gl0_inv
	v_cmpx_gt_u32_e32 12, v122
	s_cbranch_execz .LBB39_63
; %bb.60:
	v_dual_mov_b32 v1, 0 :: v_dual_add_nc_u32 v8, 0x280, v13
	v_dual_mov_b32 v2, 0 :: v_dual_add_nc_u32 v7, -1, v122
	v_or_b32_e32 v9, 8, v14
	s_mov_b32 s3, 0
	s_delay_alu instid0(VALU_DEP_2)
	v_dual_mov_b32 v4, v2 :: v_dual_mov_b32 v3, v1
	.p2align	6
.LBB39_61:                              ; =>This Inner Loop Header: Depth=1
	scratch_load_b128 v[15:18], v9, off offset:-8
	ds_load_b128 v[19:22], v8
	v_add_nc_u32_e32 v7, 1, v7
	v_add_nc_u32_e32 v8, 16, v8
	;; [unrolled: 1-line block ×3, first 2 shown]
	s_delay_alu instid0(VALU_DEP_3) | instskip(SKIP_4) | instid1(VALU_DEP_2)
	v_cmp_lt_u32_e32 vcc_lo, 10, v7
	s_or_b32 s3, vcc_lo, s3
	s_waitcnt vmcnt(0) lgkmcnt(0)
	v_mul_f64 v[10:11], v[21:22], v[17:18]
	v_mul_f64 v[17:18], v[19:20], v[17:18]
	v_fma_f64 v[10:11], v[19:20], v[15:16], -v[10:11]
	s_delay_alu instid0(VALU_DEP_2) | instskip(NEXT) | instid1(VALU_DEP_2)
	v_fma_f64 v[15:16], v[21:22], v[15:16], v[17:18]
	v_add_f64 v[3:4], v[3:4], v[10:11]
	s_delay_alu instid0(VALU_DEP_2)
	v_add_f64 v[1:2], v[1:2], v[15:16]
	s_and_not1_b32 exec_lo, exec_lo, s3
	s_cbranch_execnz .LBB39_61
; %bb.62:
	s_or_b32 exec_lo, exec_lo, s3
	v_mov_b32_e32 v7, 0
	ds_load_b128 v[7:10], v7 offset:192
	s_waitcnt lgkmcnt(0)
	v_mul_f64 v[11:12], v[1:2], v[9:10]
	v_mul_f64 v[15:16], v[3:4], v[9:10]
	s_delay_alu instid0(VALU_DEP_2) | instskip(NEXT) | instid1(VALU_DEP_2)
	v_fma_f64 v[9:10], v[3:4], v[7:8], -v[11:12]
	v_fma_f64 v[11:12], v[1:2], v[7:8], v[15:16]
	scratch_store_b128 off, v[9:12], off offset:192
.LBB39_63:
	s_or_b32 exec_lo, exec_lo, s2
	s_waitcnt_vscnt null, 0x0
	s_barrier
	buffer_gl0_inv
	scratch_load_b128 v[1:4], v153, off
	s_mov_b32 s2, exec_lo
	s_waitcnt vmcnt(0)
	ds_store_b128 v5, v[1:4]
	s_waitcnt lgkmcnt(0)
	s_barrier
	buffer_gl0_inv
	v_cmpx_gt_u32_e32 13, v122
	s_cbranch_execz .LBB39_67
; %bb.64:
	v_dual_mov_b32 v1, 0 :: v_dual_add_nc_u32 v8, 0x280, v13
	v_dual_mov_b32 v2, 0 :: v_dual_add_nc_u32 v7, -1, v122
	v_or_b32_e32 v9, 8, v14
	s_mov_b32 s3, 0
	s_delay_alu instid0(VALU_DEP_2)
	v_dual_mov_b32 v4, v2 :: v_dual_mov_b32 v3, v1
	.p2align	6
.LBB39_65:                              ; =>This Inner Loop Header: Depth=1
	scratch_load_b128 v[15:18], v9, off offset:-8
	ds_load_b128 v[19:22], v8
	v_add_nc_u32_e32 v7, 1, v7
	v_add_nc_u32_e32 v8, 16, v8
	;; [unrolled: 1-line block ×3, first 2 shown]
	s_delay_alu instid0(VALU_DEP_3) | instskip(SKIP_4) | instid1(VALU_DEP_2)
	v_cmp_lt_u32_e32 vcc_lo, 11, v7
	s_or_b32 s3, vcc_lo, s3
	s_waitcnt vmcnt(0) lgkmcnt(0)
	v_mul_f64 v[10:11], v[21:22], v[17:18]
	v_mul_f64 v[17:18], v[19:20], v[17:18]
	v_fma_f64 v[10:11], v[19:20], v[15:16], -v[10:11]
	s_delay_alu instid0(VALU_DEP_2) | instskip(NEXT) | instid1(VALU_DEP_2)
	v_fma_f64 v[15:16], v[21:22], v[15:16], v[17:18]
	v_add_f64 v[3:4], v[3:4], v[10:11]
	s_delay_alu instid0(VALU_DEP_2)
	v_add_f64 v[1:2], v[1:2], v[15:16]
	s_and_not1_b32 exec_lo, exec_lo, s3
	s_cbranch_execnz .LBB39_65
; %bb.66:
	s_or_b32 exec_lo, exec_lo, s3
	v_mov_b32_e32 v7, 0
	ds_load_b128 v[7:10], v7 offset:208
	s_waitcnt lgkmcnt(0)
	v_mul_f64 v[11:12], v[1:2], v[9:10]
	v_mul_f64 v[15:16], v[3:4], v[9:10]
	s_delay_alu instid0(VALU_DEP_2) | instskip(NEXT) | instid1(VALU_DEP_2)
	v_fma_f64 v[9:10], v[3:4], v[7:8], -v[11:12]
	v_fma_f64 v[11:12], v[1:2], v[7:8], v[15:16]
	scratch_store_b128 off, v[9:12], off offset:208
.LBB39_67:
	s_or_b32 exec_lo, exec_lo, s2
	s_waitcnt_vscnt null, 0x0
	s_barrier
	buffer_gl0_inv
	scratch_load_b128 v[1:4], v152, off
	s_mov_b32 s2, exec_lo
	s_waitcnt vmcnt(0)
	ds_store_b128 v5, v[1:4]
	s_waitcnt lgkmcnt(0)
	s_barrier
	buffer_gl0_inv
	v_cmpx_gt_u32_e32 14, v122
	s_cbranch_execz .LBB39_71
; %bb.68:
	v_dual_mov_b32 v1, 0 :: v_dual_add_nc_u32 v8, 0x280, v13
	v_dual_mov_b32 v2, 0 :: v_dual_add_nc_u32 v7, -1, v122
	v_or_b32_e32 v9, 8, v14
	s_mov_b32 s3, 0
	s_delay_alu instid0(VALU_DEP_2)
	v_dual_mov_b32 v4, v2 :: v_dual_mov_b32 v3, v1
	.p2align	6
.LBB39_69:                              ; =>This Inner Loop Header: Depth=1
	scratch_load_b128 v[15:18], v9, off offset:-8
	ds_load_b128 v[19:22], v8
	v_add_nc_u32_e32 v7, 1, v7
	v_add_nc_u32_e32 v8, 16, v8
	;; [unrolled: 1-line block ×3, first 2 shown]
	s_delay_alu instid0(VALU_DEP_3) | instskip(SKIP_4) | instid1(VALU_DEP_2)
	v_cmp_lt_u32_e32 vcc_lo, 12, v7
	s_or_b32 s3, vcc_lo, s3
	s_waitcnt vmcnt(0) lgkmcnt(0)
	v_mul_f64 v[10:11], v[21:22], v[17:18]
	v_mul_f64 v[17:18], v[19:20], v[17:18]
	v_fma_f64 v[10:11], v[19:20], v[15:16], -v[10:11]
	s_delay_alu instid0(VALU_DEP_2) | instskip(NEXT) | instid1(VALU_DEP_2)
	v_fma_f64 v[15:16], v[21:22], v[15:16], v[17:18]
	v_add_f64 v[3:4], v[3:4], v[10:11]
	s_delay_alu instid0(VALU_DEP_2)
	v_add_f64 v[1:2], v[1:2], v[15:16]
	s_and_not1_b32 exec_lo, exec_lo, s3
	s_cbranch_execnz .LBB39_69
; %bb.70:
	s_or_b32 exec_lo, exec_lo, s3
	v_mov_b32_e32 v7, 0
	ds_load_b128 v[7:10], v7 offset:224
	s_waitcnt lgkmcnt(0)
	v_mul_f64 v[11:12], v[1:2], v[9:10]
	v_mul_f64 v[15:16], v[3:4], v[9:10]
	s_delay_alu instid0(VALU_DEP_2) | instskip(NEXT) | instid1(VALU_DEP_2)
	v_fma_f64 v[9:10], v[3:4], v[7:8], -v[11:12]
	v_fma_f64 v[11:12], v[1:2], v[7:8], v[15:16]
	scratch_store_b128 off, v[9:12], off offset:224
.LBB39_71:
	s_or_b32 exec_lo, exec_lo, s2
	s_waitcnt_vscnt null, 0x0
	s_barrier
	buffer_gl0_inv
	scratch_load_b128 v[1:4], v151, off
	s_mov_b32 s2, exec_lo
	s_waitcnt vmcnt(0)
	ds_store_b128 v5, v[1:4]
	s_waitcnt lgkmcnt(0)
	s_barrier
	buffer_gl0_inv
	v_cmpx_gt_u32_e32 15, v122
	s_cbranch_execz .LBB39_75
; %bb.72:
	v_dual_mov_b32 v1, 0 :: v_dual_add_nc_u32 v8, 0x280, v13
	v_dual_mov_b32 v2, 0 :: v_dual_add_nc_u32 v7, -1, v122
	v_or_b32_e32 v9, 8, v14
	s_mov_b32 s3, 0
	s_delay_alu instid0(VALU_DEP_2)
	v_dual_mov_b32 v4, v2 :: v_dual_mov_b32 v3, v1
	.p2align	6
.LBB39_73:                              ; =>This Inner Loop Header: Depth=1
	scratch_load_b128 v[15:18], v9, off offset:-8
	ds_load_b128 v[19:22], v8
	v_add_nc_u32_e32 v7, 1, v7
	v_add_nc_u32_e32 v8, 16, v8
	;; [unrolled: 1-line block ×3, first 2 shown]
	s_delay_alu instid0(VALU_DEP_3) | instskip(SKIP_4) | instid1(VALU_DEP_2)
	v_cmp_lt_u32_e32 vcc_lo, 13, v7
	s_or_b32 s3, vcc_lo, s3
	s_waitcnt vmcnt(0) lgkmcnt(0)
	v_mul_f64 v[10:11], v[21:22], v[17:18]
	v_mul_f64 v[17:18], v[19:20], v[17:18]
	v_fma_f64 v[10:11], v[19:20], v[15:16], -v[10:11]
	s_delay_alu instid0(VALU_DEP_2) | instskip(NEXT) | instid1(VALU_DEP_2)
	v_fma_f64 v[15:16], v[21:22], v[15:16], v[17:18]
	v_add_f64 v[3:4], v[3:4], v[10:11]
	s_delay_alu instid0(VALU_DEP_2)
	v_add_f64 v[1:2], v[1:2], v[15:16]
	s_and_not1_b32 exec_lo, exec_lo, s3
	s_cbranch_execnz .LBB39_73
; %bb.74:
	s_or_b32 exec_lo, exec_lo, s3
	v_mov_b32_e32 v7, 0
	ds_load_b128 v[7:10], v7 offset:240
	s_waitcnt lgkmcnt(0)
	v_mul_f64 v[11:12], v[1:2], v[9:10]
	v_mul_f64 v[15:16], v[3:4], v[9:10]
	s_delay_alu instid0(VALU_DEP_2) | instskip(NEXT) | instid1(VALU_DEP_2)
	v_fma_f64 v[9:10], v[3:4], v[7:8], -v[11:12]
	v_fma_f64 v[11:12], v[1:2], v[7:8], v[15:16]
	scratch_store_b128 off, v[9:12], off offset:240
.LBB39_75:
	s_or_b32 exec_lo, exec_lo, s2
	s_waitcnt_vscnt null, 0x0
	s_barrier
	buffer_gl0_inv
	scratch_load_b128 v[1:4], v150, off
	s_mov_b32 s2, exec_lo
	s_waitcnt vmcnt(0)
	ds_store_b128 v5, v[1:4]
	s_waitcnt lgkmcnt(0)
	s_barrier
	buffer_gl0_inv
	v_cmpx_gt_u32_e32 16, v122
	s_cbranch_execz .LBB39_79
; %bb.76:
	v_dual_mov_b32 v1, 0 :: v_dual_add_nc_u32 v8, 0x280, v13
	v_dual_mov_b32 v2, 0 :: v_dual_add_nc_u32 v7, -1, v122
	v_or_b32_e32 v9, 8, v14
	s_mov_b32 s3, 0
	s_delay_alu instid0(VALU_DEP_2)
	v_dual_mov_b32 v4, v2 :: v_dual_mov_b32 v3, v1
	.p2align	6
.LBB39_77:                              ; =>This Inner Loop Header: Depth=1
	scratch_load_b128 v[15:18], v9, off offset:-8
	ds_load_b128 v[19:22], v8
	v_add_nc_u32_e32 v7, 1, v7
	v_add_nc_u32_e32 v8, 16, v8
	;; [unrolled: 1-line block ×3, first 2 shown]
	s_delay_alu instid0(VALU_DEP_3) | instskip(SKIP_4) | instid1(VALU_DEP_2)
	v_cmp_lt_u32_e32 vcc_lo, 14, v7
	s_or_b32 s3, vcc_lo, s3
	s_waitcnt vmcnt(0) lgkmcnt(0)
	v_mul_f64 v[10:11], v[21:22], v[17:18]
	v_mul_f64 v[17:18], v[19:20], v[17:18]
	v_fma_f64 v[10:11], v[19:20], v[15:16], -v[10:11]
	s_delay_alu instid0(VALU_DEP_2) | instskip(NEXT) | instid1(VALU_DEP_2)
	v_fma_f64 v[15:16], v[21:22], v[15:16], v[17:18]
	v_add_f64 v[3:4], v[3:4], v[10:11]
	s_delay_alu instid0(VALU_DEP_2)
	v_add_f64 v[1:2], v[1:2], v[15:16]
	s_and_not1_b32 exec_lo, exec_lo, s3
	s_cbranch_execnz .LBB39_77
; %bb.78:
	s_or_b32 exec_lo, exec_lo, s3
	v_mov_b32_e32 v7, 0
	ds_load_b128 v[7:10], v7 offset:256
	s_waitcnt lgkmcnt(0)
	v_mul_f64 v[11:12], v[1:2], v[9:10]
	v_mul_f64 v[15:16], v[3:4], v[9:10]
	s_delay_alu instid0(VALU_DEP_2) | instskip(NEXT) | instid1(VALU_DEP_2)
	v_fma_f64 v[9:10], v[3:4], v[7:8], -v[11:12]
	v_fma_f64 v[11:12], v[1:2], v[7:8], v[15:16]
	scratch_store_b128 off, v[9:12], off offset:256
.LBB39_79:
	s_or_b32 exec_lo, exec_lo, s2
	s_waitcnt_vscnt null, 0x0
	s_barrier
	buffer_gl0_inv
	scratch_load_b128 v[1:4], v149, off
	s_mov_b32 s2, exec_lo
	s_waitcnt vmcnt(0)
	ds_store_b128 v5, v[1:4]
	s_waitcnt lgkmcnt(0)
	s_barrier
	buffer_gl0_inv
	v_cmpx_gt_u32_e32 17, v122
	s_cbranch_execz .LBB39_83
; %bb.80:
	v_dual_mov_b32 v1, 0 :: v_dual_add_nc_u32 v8, 0x280, v13
	v_dual_mov_b32 v2, 0 :: v_dual_add_nc_u32 v7, -1, v122
	v_or_b32_e32 v9, 8, v14
	s_mov_b32 s3, 0
	s_delay_alu instid0(VALU_DEP_2)
	v_dual_mov_b32 v4, v2 :: v_dual_mov_b32 v3, v1
	.p2align	6
.LBB39_81:                              ; =>This Inner Loop Header: Depth=1
	scratch_load_b128 v[15:18], v9, off offset:-8
	ds_load_b128 v[19:22], v8
	v_add_nc_u32_e32 v7, 1, v7
	v_add_nc_u32_e32 v8, 16, v8
	v_add_nc_u32_e32 v9, 16, v9
	s_delay_alu instid0(VALU_DEP_3) | instskip(SKIP_4) | instid1(VALU_DEP_2)
	v_cmp_lt_u32_e32 vcc_lo, 15, v7
	s_or_b32 s3, vcc_lo, s3
	s_waitcnt vmcnt(0) lgkmcnt(0)
	v_mul_f64 v[10:11], v[21:22], v[17:18]
	v_mul_f64 v[17:18], v[19:20], v[17:18]
	v_fma_f64 v[10:11], v[19:20], v[15:16], -v[10:11]
	s_delay_alu instid0(VALU_DEP_2) | instskip(NEXT) | instid1(VALU_DEP_2)
	v_fma_f64 v[15:16], v[21:22], v[15:16], v[17:18]
	v_add_f64 v[3:4], v[3:4], v[10:11]
	s_delay_alu instid0(VALU_DEP_2)
	v_add_f64 v[1:2], v[1:2], v[15:16]
	s_and_not1_b32 exec_lo, exec_lo, s3
	s_cbranch_execnz .LBB39_81
; %bb.82:
	s_or_b32 exec_lo, exec_lo, s3
	v_mov_b32_e32 v7, 0
	ds_load_b128 v[7:10], v7 offset:272
	s_waitcnt lgkmcnt(0)
	v_mul_f64 v[11:12], v[1:2], v[9:10]
	v_mul_f64 v[15:16], v[3:4], v[9:10]
	s_delay_alu instid0(VALU_DEP_2) | instskip(NEXT) | instid1(VALU_DEP_2)
	v_fma_f64 v[9:10], v[3:4], v[7:8], -v[11:12]
	v_fma_f64 v[11:12], v[1:2], v[7:8], v[15:16]
	scratch_store_b128 off, v[9:12], off offset:272
.LBB39_83:
	s_or_b32 exec_lo, exec_lo, s2
	s_waitcnt_vscnt null, 0x0
	s_barrier
	buffer_gl0_inv
	scratch_load_b128 v[1:4], v148, off
	s_mov_b32 s2, exec_lo
	s_waitcnt vmcnt(0)
	ds_store_b128 v5, v[1:4]
	s_waitcnt lgkmcnt(0)
	s_barrier
	buffer_gl0_inv
	v_cmpx_gt_u32_e32 18, v122
	s_cbranch_execz .LBB39_87
; %bb.84:
	v_dual_mov_b32 v1, 0 :: v_dual_add_nc_u32 v8, 0x280, v13
	v_dual_mov_b32 v2, 0 :: v_dual_add_nc_u32 v7, -1, v122
	v_or_b32_e32 v9, 8, v14
	s_mov_b32 s3, 0
	s_delay_alu instid0(VALU_DEP_2)
	v_dual_mov_b32 v4, v2 :: v_dual_mov_b32 v3, v1
	.p2align	6
.LBB39_85:                              ; =>This Inner Loop Header: Depth=1
	scratch_load_b128 v[15:18], v9, off offset:-8
	ds_load_b128 v[19:22], v8
	v_add_nc_u32_e32 v7, 1, v7
	v_add_nc_u32_e32 v8, 16, v8
	;; [unrolled: 1-line block ×3, first 2 shown]
	s_delay_alu instid0(VALU_DEP_3) | instskip(SKIP_4) | instid1(VALU_DEP_2)
	v_cmp_lt_u32_e32 vcc_lo, 16, v7
	s_or_b32 s3, vcc_lo, s3
	s_waitcnt vmcnt(0) lgkmcnt(0)
	v_mul_f64 v[10:11], v[21:22], v[17:18]
	v_mul_f64 v[17:18], v[19:20], v[17:18]
	v_fma_f64 v[10:11], v[19:20], v[15:16], -v[10:11]
	s_delay_alu instid0(VALU_DEP_2) | instskip(NEXT) | instid1(VALU_DEP_2)
	v_fma_f64 v[15:16], v[21:22], v[15:16], v[17:18]
	v_add_f64 v[3:4], v[3:4], v[10:11]
	s_delay_alu instid0(VALU_DEP_2)
	v_add_f64 v[1:2], v[1:2], v[15:16]
	s_and_not1_b32 exec_lo, exec_lo, s3
	s_cbranch_execnz .LBB39_85
; %bb.86:
	s_or_b32 exec_lo, exec_lo, s3
	v_mov_b32_e32 v7, 0
	ds_load_b128 v[7:10], v7 offset:288
	s_waitcnt lgkmcnt(0)
	v_mul_f64 v[11:12], v[1:2], v[9:10]
	v_mul_f64 v[15:16], v[3:4], v[9:10]
	s_delay_alu instid0(VALU_DEP_2) | instskip(NEXT) | instid1(VALU_DEP_2)
	v_fma_f64 v[9:10], v[3:4], v[7:8], -v[11:12]
	v_fma_f64 v[11:12], v[1:2], v[7:8], v[15:16]
	scratch_store_b128 off, v[9:12], off offset:288
.LBB39_87:
	s_or_b32 exec_lo, exec_lo, s2
	s_waitcnt_vscnt null, 0x0
	s_barrier
	buffer_gl0_inv
	scratch_load_b128 v[1:4], v147, off
	s_mov_b32 s2, exec_lo
	s_waitcnt vmcnt(0)
	ds_store_b128 v5, v[1:4]
	s_waitcnt lgkmcnt(0)
	s_barrier
	buffer_gl0_inv
	v_cmpx_gt_u32_e32 19, v122
	s_cbranch_execz .LBB39_91
; %bb.88:
	v_dual_mov_b32 v1, 0 :: v_dual_add_nc_u32 v8, 0x280, v13
	v_dual_mov_b32 v2, 0 :: v_dual_add_nc_u32 v7, -1, v122
	v_or_b32_e32 v9, 8, v14
	s_mov_b32 s3, 0
	s_delay_alu instid0(VALU_DEP_2)
	v_dual_mov_b32 v4, v2 :: v_dual_mov_b32 v3, v1
	.p2align	6
.LBB39_89:                              ; =>This Inner Loop Header: Depth=1
	scratch_load_b128 v[15:18], v9, off offset:-8
	ds_load_b128 v[19:22], v8
	v_add_nc_u32_e32 v7, 1, v7
	v_add_nc_u32_e32 v8, 16, v8
	;; [unrolled: 1-line block ×3, first 2 shown]
	s_delay_alu instid0(VALU_DEP_3) | instskip(SKIP_4) | instid1(VALU_DEP_2)
	v_cmp_lt_u32_e32 vcc_lo, 17, v7
	s_or_b32 s3, vcc_lo, s3
	s_waitcnt vmcnt(0) lgkmcnt(0)
	v_mul_f64 v[10:11], v[21:22], v[17:18]
	v_mul_f64 v[17:18], v[19:20], v[17:18]
	v_fma_f64 v[10:11], v[19:20], v[15:16], -v[10:11]
	s_delay_alu instid0(VALU_DEP_2) | instskip(NEXT) | instid1(VALU_DEP_2)
	v_fma_f64 v[15:16], v[21:22], v[15:16], v[17:18]
	v_add_f64 v[3:4], v[3:4], v[10:11]
	s_delay_alu instid0(VALU_DEP_2)
	v_add_f64 v[1:2], v[1:2], v[15:16]
	s_and_not1_b32 exec_lo, exec_lo, s3
	s_cbranch_execnz .LBB39_89
; %bb.90:
	s_or_b32 exec_lo, exec_lo, s3
	v_mov_b32_e32 v7, 0
	ds_load_b128 v[7:10], v7 offset:304
	s_waitcnt lgkmcnt(0)
	v_mul_f64 v[11:12], v[1:2], v[9:10]
	v_mul_f64 v[15:16], v[3:4], v[9:10]
	s_delay_alu instid0(VALU_DEP_2) | instskip(NEXT) | instid1(VALU_DEP_2)
	v_fma_f64 v[9:10], v[3:4], v[7:8], -v[11:12]
	v_fma_f64 v[11:12], v[1:2], v[7:8], v[15:16]
	scratch_store_b128 off, v[9:12], off offset:304
.LBB39_91:
	s_or_b32 exec_lo, exec_lo, s2
	s_waitcnt_vscnt null, 0x0
	s_barrier
	buffer_gl0_inv
	scratch_load_b128 v[1:4], v146, off
	s_mov_b32 s2, exec_lo
	s_waitcnt vmcnt(0)
	ds_store_b128 v5, v[1:4]
	s_waitcnt lgkmcnt(0)
	s_barrier
	buffer_gl0_inv
	v_cmpx_gt_u32_e32 20, v122
	s_cbranch_execz .LBB39_95
; %bb.92:
	v_dual_mov_b32 v1, 0 :: v_dual_add_nc_u32 v8, 0x280, v13
	v_dual_mov_b32 v2, 0 :: v_dual_add_nc_u32 v7, -1, v122
	v_or_b32_e32 v9, 8, v14
	s_mov_b32 s3, 0
	s_delay_alu instid0(VALU_DEP_2)
	v_dual_mov_b32 v4, v2 :: v_dual_mov_b32 v3, v1
	.p2align	6
.LBB39_93:                              ; =>This Inner Loop Header: Depth=1
	scratch_load_b128 v[15:18], v9, off offset:-8
	ds_load_b128 v[19:22], v8
	v_add_nc_u32_e32 v7, 1, v7
	v_add_nc_u32_e32 v8, 16, v8
	;; [unrolled: 1-line block ×3, first 2 shown]
	s_delay_alu instid0(VALU_DEP_3) | instskip(SKIP_4) | instid1(VALU_DEP_2)
	v_cmp_lt_u32_e32 vcc_lo, 18, v7
	s_or_b32 s3, vcc_lo, s3
	s_waitcnt vmcnt(0) lgkmcnt(0)
	v_mul_f64 v[10:11], v[21:22], v[17:18]
	v_mul_f64 v[17:18], v[19:20], v[17:18]
	v_fma_f64 v[10:11], v[19:20], v[15:16], -v[10:11]
	s_delay_alu instid0(VALU_DEP_2) | instskip(NEXT) | instid1(VALU_DEP_2)
	v_fma_f64 v[15:16], v[21:22], v[15:16], v[17:18]
	v_add_f64 v[3:4], v[3:4], v[10:11]
	s_delay_alu instid0(VALU_DEP_2)
	v_add_f64 v[1:2], v[1:2], v[15:16]
	s_and_not1_b32 exec_lo, exec_lo, s3
	s_cbranch_execnz .LBB39_93
; %bb.94:
	s_or_b32 exec_lo, exec_lo, s3
	v_mov_b32_e32 v7, 0
	ds_load_b128 v[7:10], v7 offset:320
	s_waitcnt lgkmcnt(0)
	v_mul_f64 v[11:12], v[1:2], v[9:10]
	v_mul_f64 v[15:16], v[3:4], v[9:10]
	s_delay_alu instid0(VALU_DEP_2) | instskip(NEXT) | instid1(VALU_DEP_2)
	v_fma_f64 v[9:10], v[3:4], v[7:8], -v[11:12]
	v_fma_f64 v[11:12], v[1:2], v[7:8], v[15:16]
	scratch_store_b128 off, v[9:12], off offset:320
.LBB39_95:
	s_or_b32 exec_lo, exec_lo, s2
	s_waitcnt_vscnt null, 0x0
	s_barrier
	buffer_gl0_inv
	scratch_load_b128 v[1:4], v145, off
	s_mov_b32 s2, exec_lo
	s_waitcnt vmcnt(0)
	ds_store_b128 v5, v[1:4]
	s_waitcnt lgkmcnt(0)
	s_barrier
	buffer_gl0_inv
	v_cmpx_gt_u32_e32 21, v122
	s_cbranch_execz .LBB39_99
; %bb.96:
	v_dual_mov_b32 v1, 0 :: v_dual_add_nc_u32 v8, 0x280, v13
	v_dual_mov_b32 v2, 0 :: v_dual_add_nc_u32 v7, -1, v122
	v_or_b32_e32 v9, 8, v14
	s_mov_b32 s3, 0
	s_delay_alu instid0(VALU_DEP_2)
	v_dual_mov_b32 v4, v2 :: v_dual_mov_b32 v3, v1
	.p2align	6
.LBB39_97:                              ; =>This Inner Loop Header: Depth=1
	scratch_load_b128 v[15:18], v9, off offset:-8
	ds_load_b128 v[19:22], v8
	v_add_nc_u32_e32 v7, 1, v7
	v_add_nc_u32_e32 v8, 16, v8
	;; [unrolled: 1-line block ×3, first 2 shown]
	s_delay_alu instid0(VALU_DEP_3) | instskip(SKIP_4) | instid1(VALU_DEP_2)
	v_cmp_lt_u32_e32 vcc_lo, 19, v7
	s_or_b32 s3, vcc_lo, s3
	s_waitcnt vmcnt(0) lgkmcnt(0)
	v_mul_f64 v[10:11], v[21:22], v[17:18]
	v_mul_f64 v[17:18], v[19:20], v[17:18]
	v_fma_f64 v[10:11], v[19:20], v[15:16], -v[10:11]
	s_delay_alu instid0(VALU_DEP_2) | instskip(NEXT) | instid1(VALU_DEP_2)
	v_fma_f64 v[15:16], v[21:22], v[15:16], v[17:18]
	v_add_f64 v[3:4], v[3:4], v[10:11]
	s_delay_alu instid0(VALU_DEP_2)
	v_add_f64 v[1:2], v[1:2], v[15:16]
	s_and_not1_b32 exec_lo, exec_lo, s3
	s_cbranch_execnz .LBB39_97
; %bb.98:
	s_or_b32 exec_lo, exec_lo, s3
	v_mov_b32_e32 v7, 0
	ds_load_b128 v[7:10], v7 offset:336
	s_waitcnt lgkmcnt(0)
	v_mul_f64 v[11:12], v[1:2], v[9:10]
	v_mul_f64 v[15:16], v[3:4], v[9:10]
	s_delay_alu instid0(VALU_DEP_2) | instskip(NEXT) | instid1(VALU_DEP_2)
	v_fma_f64 v[9:10], v[3:4], v[7:8], -v[11:12]
	v_fma_f64 v[11:12], v[1:2], v[7:8], v[15:16]
	scratch_store_b128 off, v[9:12], off offset:336
.LBB39_99:
	s_or_b32 exec_lo, exec_lo, s2
	s_waitcnt_vscnt null, 0x0
	s_barrier
	buffer_gl0_inv
	scratch_load_b128 v[1:4], v141, off
	s_mov_b32 s2, exec_lo
	s_waitcnt vmcnt(0)
	ds_store_b128 v5, v[1:4]
	s_waitcnt lgkmcnt(0)
	s_barrier
	buffer_gl0_inv
	v_cmpx_gt_u32_e32 22, v122
	s_cbranch_execz .LBB39_103
; %bb.100:
	v_dual_mov_b32 v1, 0 :: v_dual_add_nc_u32 v8, 0x280, v13
	v_dual_mov_b32 v2, 0 :: v_dual_add_nc_u32 v7, -1, v122
	v_or_b32_e32 v9, 8, v14
	s_mov_b32 s3, 0
	s_delay_alu instid0(VALU_DEP_2)
	v_dual_mov_b32 v4, v2 :: v_dual_mov_b32 v3, v1
	.p2align	6
.LBB39_101:                             ; =>This Inner Loop Header: Depth=1
	scratch_load_b128 v[15:18], v9, off offset:-8
	ds_load_b128 v[19:22], v8
	v_add_nc_u32_e32 v7, 1, v7
	v_add_nc_u32_e32 v8, 16, v8
	;; [unrolled: 1-line block ×3, first 2 shown]
	s_delay_alu instid0(VALU_DEP_3) | instskip(SKIP_4) | instid1(VALU_DEP_2)
	v_cmp_lt_u32_e32 vcc_lo, 20, v7
	s_or_b32 s3, vcc_lo, s3
	s_waitcnt vmcnt(0) lgkmcnt(0)
	v_mul_f64 v[10:11], v[21:22], v[17:18]
	v_mul_f64 v[17:18], v[19:20], v[17:18]
	v_fma_f64 v[10:11], v[19:20], v[15:16], -v[10:11]
	s_delay_alu instid0(VALU_DEP_2) | instskip(NEXT) | instid1(VALU_DEP_2)
	v_fma_f64 v[15:16], v[21:22], v[15:16], v[17:18]
	v_add_f64 v[3:4], v[3:4], v[10:11]
	s_delay_alu instid0(VALU_DEP_2)
	v_add_f64 v[1:2], v[1:2], v[15:16]
	s_and_not1_b32 exec_lo, exec_lo, s3
	s_cbranch_execnz .LBB39_101
; %bb.102:
	s_or_b32 exec_lo, exec_lo, s3
	v_mov_b32_e32 v7, 0
	ds_load_b128 v[7:10], v7 offset:352
	s_waitcnt lgkmcnt(0)
	v_mul_f64 v[11:12], v[1:2], v[9:10]
	v_mul_f64 v[15:16], v[3:4], v[9:10]
	s_delay_alu instid0(VALU_DEP_2) | instskip(NEXT) | instid1(VALU_DEP_2)
	v_fma_f64 v[9:10], v[3:4], v[7:8], -v[11:12]
	v_fma_f64 v[11:12], v[1:2], v[7:8], v[15:16]
	scratch_store_b128 off, v[9:12], off offset:352
.LBB39_103:
	s_or_b32 exec_lo, exec_lo, s2
	s_waitcnt_vscnt null, 0x0
	s_barrier
	buffer_gl0_inv
	scratch_load_b128 v[1:4], v144, off
	s_mov_b32 s2, exec_lo
	s_waitcnt vmcnt(0)
	ds_store_b128 v5, v[1:4]
	s_waitcnt lgkmcnt(0)
	s_barrier
	buffer_gl0_inv
	v_cmpx_gt_u32_e32 23, v122
	s_cbranch_execz .LBB39_107
; %bb.104:
	v_dual_mov_b32 v1, 0 :: v_dual_add_nc_u32 v8, 0x280, v13
	v_dual_mov_b32 v2, 0 :: v_dual_add_nc_u32 v7, -1, v122
	v_or_b32_e32 v9, 8, v14
	s_mov_b32 s3, 0
	s_delay_alu instid0(VALU_DEP_2)
	v_dual_mov_b32 v4, v2 :: v_dual_mov_b32 v3, v1
	.p2align	6
.LBB39_105:                             ; =>This Inner Loop Header: Depth=1
	scratch_load_b128 v[15:18], v9, off offset:-8
	ds_load_b128 v[19:22], v8
	v_add_nc_u32_e32 v7, 1, v7
	v_add_nc_u32_e32 v8, 16, v8
	;; [unrolled: 1-line block ×3, first 2 shown]
	s_delay_alu instid0(VALU_DEP_3) | instskip(SKIP_4) | instid1(VALU_DEP_2)
	v_cmp_lt_u32_e32 vcc_lo, 21, v7
	s_or_b32 s3, vcc_lo, s3
	s_waitcnt vmcnt(0) lgkmcnt(0)
	v_mul_f64 v[10:11], v[21:22], v[17:18]
	v_mul_f64 v[17:18], v[19:20], v[17:18]
	v_fma_f64 v[10:11], v[19:20], v[15:16], -v[10:11]
	s_delay_alu instid0(VALU_DEP_2) | instskip(NEXT) | instid1(VALU_DEP_2)
	v_fma_f64 v[15:16], v[21:22], v[15:16], v[17:18]
	v_add_f64 v[3:4], v[3:4], v[10:11]
	s_delay_alu instid0(VALU_DEP_2)
	v_add_f64 v[1:2], v[1:2], v[15:16]
	s_and_not1_b32 exec_lo, exec_lo, s3
	s_cbranch_execnz .LBB39_105
; %bb.106:
	s_or_b32 exec_lo, exec_lo, s3
	v_mov_b32_e32 v7, 0
	ds_load_b128 v[7:10], v7 offset:368
	s_waitcnt lgkmcnt(0)
	v_mul_f64 v[11:12], v[1:2], v[9:10]
	v_mul_f64 v[15:16], v[3:4], v[9:10]
	s_delay_alu instid0(VALU_DEP_2) | instskip(NEXT) | instid1(VALU_DEP_2)
	v_fma_f64 v[9:10], v[3:4], v[7:8], -v[11:12]
	v_fma_f64 v[11:12], v[1:2], v[7:8], v[15:16]
	scratch_store_b128 off, v[9:12], off offset:368
.LBB39_107:
	s_or_b32 exec_lo, exec_lo, s2
	s_waitcnt_vscnt null, 0x0
	s_barrier
	buffer_gl0_inv
	scratch_load_b128 v[1:4], v138, off
	s_mov_b32 s2, exec_lo
	s_waitcnt vmcnt(0)
	ds_store_b128 v5, v[1:4]
	s_waitcnt lgkmcnt(0)
	s_barrier
	buffer_gl0_inv
	v_cmpx_gt_u32_e32 24, v122
	s_cbranch_execz .LBB39_111
; %bb.108:
	v_dual_mov_b32 v1, 0 :: v_dual_add_nc_u32 v8, 0x280, v13
	v_dual_mov_b32 v2, 0 :: v_dual_add_nc_u32 v7, -1, v122
	v_or_b32_e32 v9, 8, v14
	s_mov_b32 s3, 0
	s_delay_alu instid0(VALU_DEP_2)
	v_dual_mov_b32 v4, v2 :: v_dual_mov_b32 v3, v1
	.p2align	6
.LBB39_109:                             ; =>This Inner Loop Header: Depth=1
	scratch_load_b128 v[15:18], v9, off offset:-8
	ds_load_b128 v[19:22], v8
	v_add_nc_u32_e32 v7, 1, v7
	v_add_nc_u32_e32 v8, 16, v8
	;; [unrolled: 1-line block ×3, first 2 shown]
	s_delay_alu instid0(VALU_DEP_3) | instskip(SKIP_4) | instid1(VALU_DEP_2)
	v_cmp_lt_u32_e32 vcc_lo, 22, v7
	s_or_b32 s3, vcc_lo, s3
	s_waitcnt vmcnt(0) lgkmcnt(0)
	v_mul_f64 v[10:11], v[21:22], v[17:18]
	v_mul_f64 v[17:18], v[19:20], v[17:18]
	v_fma_f64 v[10:11], v[19:20], v[15:16], -v[10:11]
	s_delay_alu instid0(VALU_DEP_2) | instskip(NEXT) | instid1(VALU_DEP_2)
	v_fma_f64 v[15:16], v[21:22], v[15:16], v[17:18]
	v_add_f64 v[3:4], v[3:4], v[10:11]
	s_delay_alu instid0(VALU_DEP_2)
	v_add_f64 v[1:2], v[1:2], v[15:16]
	s_and_not1_b32 exec_lo, exec_lo, s3
	s_cbranch_execnz .LBB39_109
; %bb.110:
	s_or_b32 exec_lo, exec_lo, s3
	v_mov_b32_e32 v7, 0
	ds_load_b128 v[7:10], v7 offset:384
	s_waitcnt lgkmcnt(0)
	v_mul_f64 v[11:12], v[1:2], v[9:10]
	v_mul_f64 v[15:16], v[3:4], v[9:10]
	s_delay_alu instid0(VALU_DEP_2) | instskip(NEXT) | instid1(VALU_DEP_2)
	v_fma_f64 v[9:10], v[3:4], v[7:8], -v[11:12]
	v_fma_f64 v[11:12], v[1:2], v[7:8], v[15:16]
	scratch_store_b128 off, v[9:12], off offset:384
.LBB39_111:
	s_or_b32 exec_lo, exec_lo, s2
	s_waitcnt_vscnt null, 0x0
	s_barrier
	buffer_gl0_inv
	scratch_load_b128 v[1:4], v137, off
	s_mov_b32 s2, exec_lo
	s_waitcnt vmcnt(0)
	ds_store_b128 v5, v[1:4]
	s_waitcnt lgkmcnt(0)
	s_barrier
	buffer_gl0_inv
	v_cmpx_gt_u32_e32 25, v122
	s_cbranch_execz .LBB39_115
; %bb.112:
	v_dual_mov_b32 v1, 0 :: v_dual_add_nc_u32 v8, 0x280, v13
	v_dual_mov_b32 v2, 0 :: v_dual_add_nc_u32 v7, -1, v122
	v_or_b32_e32 v9, 8, v14
	s_mov_b32 s3, 0
	s_delay_alu instid0(VALU_DEP_2)
	v_dual_mov_b32 v4, v2 :: v_dual_mov_b32 v3, v1
	.p2align	6
.LBB39_113:                             ; =>This Inner Loop Header: Depth=1
	scratch_load_b128 v[15:18], v9, off offset:-8
	ds_load_b128 v[19:22], v8
	v_add_nc_u32_e32 v7, 1, v7
	v_add_nc_u32_e32 v8, 16, v8
	;; [unrolled: 1-line block ×3, first 2 shown]
	s_delay_alu instid0(VALU_DEP_3) | instskip(SKIP_4) | instid1(VALU_DEP_2)
	v_cmp_lt_u32_e32 vcc_lo, 23, v7
	s_or_b32 s3, vcc_lo, s3
	s_waitcnt vmcnt(0) lgkmcnt(0)
	v_mul_f64 v[10:11], v[21:22], v[17:18]
	v_mul_f64 v[17:18], v[19:20], v[17:18]
	v_fma_f64 v[10:11], v[19:20], v[15:16], -v[10:11]
	s_delay_alu instid0(VALU_DEP_2) | instskip(NEXT) | instid1(VALU_DEP_2)
	v_fma_f64 v[15:16], v[21:22], v[15:16], v[17:18]
	v_add_f64 v[3:4], v[3:4], v[10:11]
	s_delay_alu instid0(VALU_DEP_2)
	v_add_f64 v[1:2], v[1:2], v[15:16]
	s_and_not1_b32 exec_lo, exec_lo, s3
	s_cbranch_execnz .LBB39_113
; %bb.114:
	s_or_b32 exec_lo, exec_lo, s3
	v_mov_b32_e32 v7, 0
	ds_load_b128 v[7:10], v7 offset:400
	s_waitcnt lgkmcnt(0)
	v_mul_f64 v[11:12], v[1:2], v[9:10]
	v_mul_f64 v[15:16], v[3:4], v[9:10]
	s_delay_alu instid0(VALU_DEP_2) | instskip(NEXT) | instid1(VALU_DEP_2)
	v_fma_f64 v[9:10], v[3:4], v[7:8], -v[11:12]
	v_fma_f64 v[11:12], v[1:2], v[7:8], v[15:16]
	scratch_store_b128 off, v[9:12], off offset:400
.LBB39_115:
	s_or_b32 exec_lo, exec_lo, s2
	s_waitcnt_vscnt null, 0x0
	s_barrier
	buffer_gl0_inv
	scratch_load_b128 v[1:4], v132, off
	s_mov_b32 s2, exec_lo
	s_waitcnt vmcnt(0)
	ds_store_b128 v5, v[1:4]
	s_waitcnt lgkmcnt(0)
	s_barrier
	buffer_gl0_inv
	v_cmpx_gt_u32_e32 26, v122
	s_cbranch_execz .LBB39_119
; %bb.116:
	v_dual_mov_b32 v1, 0 :: v_dual_add_nc_u32 v8, 0x280, v13
	v_dual_mov_b32 v2, 0 :: v_dual_add_nc_u32 v7, -1, v122
	v_or_b32_e32 v9, 8, v14
	s_mov_b32 s3, 0
	s_delay_alu instid0(VALU_DEP_2)
	v_dual_mov_b32 v4, v2 :: v_dual_mov_b32 v3, v1
	.p2align	6
.LBB39_117:                             ; =>This Inner Loop Header: Depth=1
	scratch_load_b128 v[15:18], v9, off offset:-8
	ds_load_b128 v[19:22], v8
	v_add_nc_u32_e32 v7, 1, v7
	v_add_nc_u32_e32 v8, 16, v8
	;; [unrolled: 1-line block ×3, first 2 shown]
	s_delay_alu instid0(VALU_DEP_3) | instskip(SKIP_4) | instid1(VALU_DEP_2)
	v_cmp_lt_u32_e32 vcc_lo, 24, v7
	s_or_b32 s3, vcc_lo, s3
	s_waitcnt vmcnt(0) lgkmcnt(0)
	v_mul_f64 v[10:11], v[21:22], v[17:18]
	v_mul_f64 v[17:18], v[19:20], v[17:18]
	v_fma_f64 v[10:11], v[19:20], v[15:16], -v[10:11]
	s_delay_alu instid0(VALU_DEP_2) | instskip(NEXT) | instid1(VALU_DEP_2)
	v_fma_f64 v[15:16], v[21:22], v[15:16], v[17:18]
	v_add_f64 v[3:4], v[3:4], v[10:11]
	s_delay_alu instid0(VALU_DEP_2)
	v_add_f64 v[1:2], v[1:2], v[15:16]
	s_and_not1_b32 exec_lo, exec_lo, s3
	s_cbranch_execnz .LBB39_117
; %bb.118:
	s_or_b32 exec_lo, exec_lo, s3
	v_mov_b32_e32 v7, 0
	ds_load_b128 v[7:10], v7 offset:416
	s_waitcnt lgkmcnt(0)
	v_mul_f64 v[11:12], v[1:2], v[9:10]
	v_mul_f64 v[15:16], v[3:4], v[9:10]
	s_delay_alu instid0(VALU_DEP_2) | instskip(NEXT) | instid1(VALU_DEP_2)
	v_fma_f64 v[9:10], v[3:4], v[7:8], -v[11:12]
	v_fma_f64 v[11:12], v[1:2], v[7:8], v[15:16]
	scratch_store_b128 off, v[9:12], off offset:416
.LBB39_119:
	s_or_b32 exec_lo, exec_lo, s2
	s_waitcnt_vscnt null, 0x0
	s_barrier
	buffer_gl0_inv
	scratch_load_b128 v[1:4], v133, off
	s_mov_b32 s2, exec_lo
	s_waitcnt vmcnt(0)
	ds_store_b128 v5, v[1:4]
	s_waitcnt lgkmcnt(0)
	s_barrier
	buffer_gl0_inv
	v_cmpx_gt_u32_e32 27, v122
	s_cbranch_execz .LBB39_123
; %bb.120:
	v_dual_mov_b32 v1, 0 :: v_dual_add_nc_u32 v8, 0x280, v13
	v_dual_mov_b32 v2, 0 :: v_dual_add_nc_u32 v7, -1, v122
	v_or_b32_e32 v9, 8, v14
	s_mov_b32 s3, 0
	s_delay_alu instid0(VALU_DEP_2)
	v_dual_mov_b32 v4, v2 :: v_dual_mov_b32 v3, v1
	.p2align	6
.LBB39_121:                             ; =>This Inner Loop Header: Depth=1
	scratch_load_b128 v[15:18], v9, off offset:-8
	ds_load_b128 v[19:22], v8
	v_add_nc_u32_e32 v7, 1, v7
	v_add_nc_u32_e32 v8, 16, v8
	;; [unrolled: 1-line block ×3, first 2 shown]
	s_delay_alu instid0(VALU_DEP_3) | instskip(SKIP_4) | instid1(VALU_DEP_2)
	v_cmp_lt_u32_e32 vcc_lo, 25, v7
	s_or_b32 s3, vcc_lo, s3
	s_waitcnt vmcnt(0) lgkmcnt(0)
	v_mul_f64 v[10:11], v[21:22], v[17:18]
	v_mul_f64 v[17:18], v[19:20], v[17:18]
	v_fma_f64 v[10:11], v[19:20], v[15:16], -v[10:11]
	s_delay_alu instid0(VALU_DEP_2) | instskip(NEXT) | instid1(VALU_DEP_2)
	v_fma_f64 v[15:16], v[21:22], v[15:16], v[17:18]
	v_add_f64 v[3:4], v[3:4], v[10:11]
	s_delay_alu instid0(VALU_DEP_2)
	v_add_f64 v[1:2], v[1:2], v[15:16]
	s_and_not1_b32 exec_lo, exec_lo, s3
	s_cbranch_execnz .LBB39_121
; %bb.122:
	s_or_b32 exec_lo, exec_lo, s3
	v_mov_b32_e32 v7, 0
	ds_load_b128 v[7:10], v7 offset:432
	s_waitcnt lgkmcnt(0)
	v_mul_f64 v[11:12], v[1:2], v[9:10]
	v_mul_f64 v[15:16], v[3:4], v[9:10]
	s_delay_alu instid0(VALU_DEP_2) | instskip(NEXT) | instid1(VALU_DEP_2)
	v_fma_f64 v[9:10], v[3:4], v[7:8], -v[11:12]
	v_fma_f64 v[11:12], v[1:2], v[7:8], v[15:16]
	scratch_store_b128 off, v[9:12], off offset:432
.LBB39_123:
	s_or_b32 exec_lo, exec_lo, s2
	s_waitcnt_vscnt null, 0x0
	s_barrier
	buffer_gl0_inv
	scratch_load_b128 v[1:4], v127, off
	s_mov_b32 s2, exec_lo
	s_waitcnt vmcnt(0)
	ds_store_b128 v5, v[1:4]
	s_waitcnt lgkmcnt(0)
	s_barrier
	buffer_gl0_inv
	v_cmpx_gt_u32_e32 28, v122
	s_cbranch_execz .LBB39_127
; %bb.124:
	v_dual_mov_b32 v1, 0 :: v_dual_add_nc_u32 v8, 0x280, v13
	v_dual_mov_b32 v2, 0 :: v_dual_add_nc_u32 v7, -1, v122
	v_or_b32_e32 v9, 8, v14
	s_mov_b32 s3, 0
	s_delay_alu instid0(VALU_DEP_2)
	v_dual_mov_b32 v4, v2 :: v_dual_mov_b32 v3, v1
	.p2align	6
.LBB39_125:                             ; =>This Inner Loop Header: Depth=1
	scratch_load_b128 v[15:18], v9, off offset:-8
	ds_load_b128 v[19:22], v8
	v_add_nc_u32_e32 v7, 1, v7
	v_add_nc_u32_e32 v8, 16, v8
	;; [unrolled: 1-line block ×3, first 2 shown]
	s_delay_alu instid0(VALU_DEP_3) | instskip(SKIP_4) | instid1(VALU_DEP_2)
	v_cmp_lt_u32_e32 vcc_lo, 26, v7
	s_or_b32 s3, vcc_lo, s3
	s_waitcnt vmcnt(0) lgkmcnt(0)
	v_mul_f64 v[10:11], v[21:22], v[17:18]
	v_mul_f64 v[17:18], v[19:20], v[17:18]
	v_fma_f64 v[10:11], v[19:20], v[15:16], -v[10:11]
	s_delay_alu instid0(VALU_DEP_2) | instskip(NEXT) | instid1(VALU_DEP_2)
	v_fma_f64 v[15:16], v[21:22], v[15:16], v[17:18]
	v_add_f64 v[3:4], v[3:4], v[10:11]
	s_delay_alu instid0(VALU_DEP_2)
	v_add_f64 v[1:2], v[1:2], v[15:16]
	s_and_not1_b32 exec_lo, exec_lo, s3
	s_cbranch_execnz .LBB39_125
; %bb.126:
	s_or_b32 exec_lo, exec_lo, s3
	v_mov_b32_e32 v7, 0
	ds_load_b128 v[7:10], v7 offset:448
	s_waitcnt lgkmcnt(0)
	v_mul_f64 v[11:12], v[1:2], v[9:10]
	v_mul_f64 v[15:16], v[3:4], v[9:10]
	s_delay_alu instid0(VALU_DEP_2) | instskip(NEXT) | instid1(VALU_DEP_2)
	v_fma_f64 v[9:10], v[3:4], v[7:8], -v[11:12]
	v_fma_f64 v[11:12], v[1:2], v[7:8], v[15:16]
	scratch_store_b128 off, v[9:12], off offset:448
.LBB39_127:
	s_or_b32 exec_lo, exec_lo, s2
	s_waitcnt_vscnt null, 0x0
	s_barrier
	buffer_gl0_inv
	scratch_load_b128 v[1:4], v126, off
	s_mov_b32 s2, exec_lo
	s_waitcnt vmcnt(0)
	ds_store_b128 v5, v[1:4]
	s_waitcnt lgkmcnt(0)
	s_barrier
	buffer_gl0_inv
	v_cmpx_gt_u32_e32 29, v122
	s_cbranch_execz .LBB39_131
; %bb.128:
	v_dual_mov_b32 v1, 0 :: v_dual_add_nc_u32 v8, 0x280, v13
	v_dual_mov_b32 v2, 0 :: v_dual_add_nc_u32 v7, -1, v122
	v_or_b32_e32 v9, 8, v14
	s_mov_b32 s3, 0
	s_delay_alu instid0(VALU_DEP_2)
	v_dual_mov_b32 v4, v2 :: v_dual_mov_b32 v3, v1
	.p2align	6
.LBB39_129:                             ; =>This Inner Loop Header: Depth=1
	scratch_load_b128 v[15:18], v9, off offset:-8
	ds_load_b128 v[19:22], v8
	v_add_nc_u32_e32 v7, 1, v7
	v_add_nc_u32_e32 v8, 16, v8
	;; [unrolled: 1-line block ×3, first 2 shown]
	s_delay_alu instid0(VALU_DEP_3) | instskip(SKIP_4) | instid1(VALU_DEP_2)
	v_cmp_lt_u32_e32 vcc_lo, 27, v7
	s_or_b32 s3, vcc_lo, s3
	s_waitcnt vmcnt(0) lgkmcnt(0)
	v_mul_f64 v[10:11], v[21:22], v[17:18]
	v_mul_f64 v[17:18], v[19:20], v[17:18]
	v_fma_f64 v[10:11], v[19:20], v[15:16], -v[10:11]
	s_delay_alu instid0(VALU_DEP_2) | instskip(NEXT) | instid1(VALU_DEP_2)
	v_fma_f64 v[15:16], v[21:22], v[15:16], v[17:18]
	v_add_f64 v[3:4], v[3:4], v[10:11]
	s_delay_alu instid0(VALU_DEP_2)
	v_add_f64 v[1:2], v[1:2], v[15:16]
	s_and_not1_b32 exec_lo, exec_lo, s3
	s_cbranch_execnz .LBB39_129
; %bb.130:
	s_or_b32 exec_lo, exec_lo, s3
	v_mov_b32_e32 v7, 0
	ds_load_b128 v[7:10], v7 offset:464
	s_waitcnt lgkmcnt(0)
	v_mul_f64 v[11:12], v[1:2], v[9:10]
	v_mul_f64 v[15:16], v[3:4], v[9:10]
	s_delay_alu instid0(VALU_DEP_2) | instskip(NEXT) | instid1(VALU_DEP_2)
	v_fma_f64 v[9:10], v[3:4], v[7:8], -v[11:12]
	v_fma_f64 v[11:12], v[1:2], v[7:8], v[15:16]
	scratch_store_b128 off, v[9:12], off offset:464
.LBB39_131:
	s_or_b32 exec_lo, exec_lo, s2
	s_waitcnt_vscnt null, 0x0
	s_barrier
	buffer_gl0_inv
	scratch_load_b128 v[1:4], v124, off
	s_mov_b32 s2, exec_lo
	s_waitcnt vmcnt(0)
	ds_store_b128 v5, v[1:4]
	s_waitcnt lgkmcnt(0)
	s_barrier
	buffer_gl0_inv
	v_cmpx_gt_u32_e32 30, v122
	s_cbranch_execz .LBB39_135
; %bb.132:
	v_dual_mov_b32 v1, 0 :: v_dual_add_nc_u32 v8, 0x280, v13
	v_dual_mov_b32 v2, 0 :: v_dual_add_nc_u32 v7, -1, v122
	v_or_b32_e32 v9, 8, v14
	s_mov_b32 s3, 0
	s_delay_alu instid0(VALU_DEP_2)
	v_dual_mov_b32 v4, v2 :: v_dual_mov_b32 v3, v1
	.p2align	6
.LBB39_133:                             ; =>This Inner Loop Header: Depth=1
	scratch_load_b128 v[15:18], v9, off offset:-8
	ds_load_b128 v[19:22], v8
	v_add_nc_u32_e32 v7, 1, v7
	v_add_nc_u32_e32 v8, 16, v8
	;; [unrolled: 1-line block ×3, first 2 shown]
	s_delay_alu instid0(VALU_DEP_3) | instskip(SKIP_4) | instid1(VALU_DEP_2)
	v_cmp_lt_u32_e32 vcc_lo, 28, v7
	s_or_b32 s3, vcc_lo, s3
	s_waitcnt vmcnt(0) lgkmcnt(0)
	v_mul_f64 v[10:11], v[21:22], v[17:18]
	v_mul_f64 v[17:18], v[19:20], v[17:18]
	v_fma_f64 v[10:11], v[19:20], v[15:16], -v[10:11]
	s_delay_alu instid0(VALU_DEP_2) | instskip(NEXT) | instid1(VALU_DEP_2)
	v_fma_f64 v[15:16], v[21:22], v[15:16], v[17:18]
	v_add_f64 v[3:4], v[3:4], v[10:11]
	s_delay_alu instid0(VALU_DEP_2)
	v_add_f64 v[1:2], v[1:2], v[15:16]
	s_and_not1_b32 exec_lo, exec_lo, s3
	s_cbranch_execnz .LBB39_133
; %bb.134:
	s_or_b32 exec_lo, exec_lo, s3
	v_mov_b32_e32 v7, 0
	ds_load_b128 v[7:10], v7 offset:480
	s_waitcnt lgkmcnt(0)
	v_mul_f64 v[11:12], v[1:2], v[9:10]
	v_mul_f64 v[15:16], v[3:4], v[9:10]
	s_delay_alu instid0(VALU_DEP_2) | instskip(NEXT) | instid1(VALU_DEP_2)
	v_fma_f64 v[9:10], v[3:4], v[7:8], -v[11:12]
	v_fma_f64 v[11:12], v[1:2], v[7:8], v[15:16]
	scratch_store_b128 off, v[9:12], off offset:480
.LBB39_135:
	s_or_b32 exec_lo, exec_lo, s2
	s_waitcnt_vscnt null, 0x0
	s_barrier
	buffer_gl0_inv
	scratch_load_b128 v[1:4], v125, off
	s_mov_b32 s2, exec_lo
	s_waitcnt vmcnt(0)
	ds_store_b128 v5, v[1:4]
	s_waitcnt lgkmcnt(0)
	s_barrier
	buffer_gl0_inv
	v_cmpx_gt_u32_e32 31, v122
	s_cbranch_execz .LBB39_139
; %bb.136:
	v_dual_mov_b32 v1, 0 :: v_dual_add_nc_u32 v8, 0x280, v13
	v_dual_mov_b32 v2, 0 :: v_dual_add_nc_u32 v7, -1, v122
	v_or_b32_e32 v9, 8, v14
	s_mov_b32 s3, 0
	s_delay_alu instid0(VALU_DEP_2)
	v_dual_mov_b32 v4, v2 :: v_dual_mov_b32 v3, v1
	.p2align	6
.LBB39_137:                             ; =>This Inner Loop Header: Depth=1
	scratch_load_b128 v[15:18], v9, off offset:-8
	ds_load_b128 v[19:22], v8
	v_add_nc_u32_e32 v7, 1, v7
	v_add_nc_u32_e32 v8, 16, v8
	;; [unrolled: 1-line block ×3, first 2 shown]
	s_delay_alu instid0(VALU_DEP_3) | instskip(SKIP_4) | instid1(VALU_DEP_2)
	v_cmp_lt_u32_e32 vcc_lo, 29, v7
	s_or_b32 s3, vcc_lo, s3
	s_waitcnt vmcnt(0) lgkmcnt(0)
	v_mul_f64 v[10:11], v[21:22], v[17:18]
	v_mul_f64 v[17:18], v[19:20], v[17:18]
	v_fma_f64 v[10:11], v[19:20], v[15:16], -v[10:11]
	s_delay_alu instid0(VALU_DEP_2) | instskip(NEXT) | instid1(VALU_DEP_2)
	v_fma_f64 v[15:16], v[21:22], v[15:16], v[17:18]
	v_add_f64 v[3:4], v[3:4], v[10:11]
	s_delay_alu instid0(VALU_DEP_2)
	v_add_f64 v[1:2], v[1:2], v[15:16]
	s_and_not1_b32 exec_lo, exec_lo, s3
	s_cbranch_execnz .LBB39_137
; %bb.138:
	s_or_b32 exec_lo, exec_lo, s3
	v_mov_b32_e32 v7, 0
	ds_load_b128 v[7:10], v7 offset:496
	s_waitcnt lgkmcnt(0)
	v_mul_f64 v[11:12], v[1:2], v[9:10]
	v_mul_f64 v[15:16], v[3:4], v[9:10]
	s_delay_alu instid0(VALU_DEP_2) | instskip(NEXT) | instid1(VALU_DEP_2)
	v_fma_f64 v[9:10], v[3:4], v[7:8], -v[11:12]
	v_fma_f64 v[11:12], v[1:2], v[7:8], v[15:16]
	scratch_store_b128 off, v[9:12], off offset:496
.LBB39_139:
	s_or_b32 exec_lo, exec_lo, s2
	s_waitcnt_vscnt null, 0x0
	s_barrier
	buffer_gl0_inv
	scratch_load_b128 v[1:4], v123, off
	s_mov_b32 s2, exec_lo
	s_waitcnt vmcnt(0)
	ds_store_b128 v5, v[1:4]
	s_waitcnt lgkmcnt(0)
	s_barrier
	buffer_gl0_inv
	v_cmpx_gt_u32_e32 32, v122
	s_cbranch_execz .LBB39_143
; %bb.140:
	v_dual_mov_b32 v1, 0 :: v_dual_add_nc_u32 v8, 0x280, v13
	v_dual_mov_b32 v2, 0 :: v_dual_add_nc_u32 v7, -1, v122
	v_or_b32_e32 v9, 8, v14
	s_mov_b32 s3, 0
	s_delay_alu instid0(VALU_DEP_2)
	v_dual_mov_b32 v4, v2 :: v_dual_mov_b32 v3, v1
	.p2align	6
.LBB39_141:                             ; =>This Inner Loop Header: Depth=1
	scratch_load_b128 v[15:18], v9, off offset:-8
	ds_load_b128 v[19:22], v8
	v_add_nc_u32_e32 v7, 1, v7
	v_add_nc_u32_e32 v8, 16, v8
	;; [unrolled: 1-line block ×3, first 2 shown]
	s_delay_alu instid0(VALU_DEP_3) | instskip(SKIP_4) | instid1(VALU_DEP_2)
	v_cmp_lt_u32_e32 vcc_lo, 30, v7
	s_or_b32 s3, vcc_lo, s3
	s_waitcnt vmcnt(0) lgkmcnt(0)
	v_mul_f64 v[10:11], v[21:22], v[17:18]
	v_mul_f64 v[17:18], v[19:20], v[17:18]
	v_fma_f64 v[10:11], v[19:20], v[15:16], -v[10:11]
	s_delay_alu instid0(VALU_DEP_2) | instskip(NEXT) | instid1(VALU_DEP_2)
	v_fma_f64 v[15:16], v[21:22], v[15:16], v[17:18]
	v_add_f64 v[3:4], v[3:4], v[10:11]
	s_delay_alu instid0(VALU_DEP_2)
	v_add_f64 v[1:2], v[1:2], v[15:16]
	s_and_not1_b32 exec_lo, exec_lo, s3
	s_cbranch_execnz .LBB39_141
; %bb.142:
	s_or_b32 exec_lo, exec_lo, s3
	v_mov_b32_e32 v7, 0
	ds_load_b128 v[7:10], v7 offset:512
	s_waitcnt lgkmcnt(0)
	v_mul_f64 v[11:12], v[1:2], v[9:10]
	v_mul_f64 v[15:16], v[3:4], v[9:10]
	s_delay_alu instid0(VALU_DEP_2) | instskip(NEXT) | instid1(VALU_DEP_2)
	v_fma_f64 v[9:10], v[3:4], v[7:8], -v[11:12]
	v_fma_f64 v[11:12], v[1:2], v[7:8], v[15:16]
	scratch_store_b128 off, v[9:12], off offset:512
.LBB39_143:
	s_or_b32 exec_lo, exec_lo, s2
	s_waitcnt_vscnt null, 0x0
	s_barrier
	buffer_gl0_inv
	scratch_load_b128 v[1:4], v136, off
	s_mov_b32 s2, exec_lo
	s_waitcnt vmcnt(0)
	ds_store_b128 v5, v[1:4]
	s_waitcnt lgkmcnt(0)
	s_barrier
	buffer_gl0_inv
	v_cmpx_gt_u32_e32 33, v122
	s_cbranch_execz .LBB39_147
; %bb.144:
	v_dual_mov_b32 v1, 0 :: v_dual_add_nc_u32 v8, 0x280, v13
	v_dual_mov_b32 v2, 0 :: v_dual_add_nc_u32 v7, -1, v122
	v_or_b32_e32 v9, 8, v14
	s_mov_b32 s3, 0
	s_delay_alu instid0(VALU_DEP_2)
	v_dual_mov_b32 v4, v2 :: v_dual_mov_b32 v3, v1
	.p2align	6
.LBB39_145:                             ; =>This Inner Loop Header: Depth=1
	scratch_load_b128 v[15:18], v9, off offset:-8
	ds_load_b128 v[19:22], v8
	v_add_nc_u32_e32 v7, 1, v7
	v_add_nc_u32_e32 v8, 16, v8
	v_add_nc_u32_e32 v9, 16, v9
	s_delay_alu instid0(VALU_DEP_3) | instskip(SKIP_4) | instid1(VALU_DEP_2)
	v_cmp_lt_u32_e32 vcc_lo, 31, v7
	s_or_b32 s3, vcc_lo, s3
	s_waitcnt vmcnt(0) lgkmcnt(0)
	v_mul_f64 v[10:11], v[21:22], v[17:18]
	v_mul_f64 v[17:18], v[19:20], v[17:18]
	v_fma_f64 v[10:11], v[19:20], v[15:16], -v[10:11]
	s_delay_alu instid0(VALU_DEP_2) | instskip(NEXT) | instid1(VALU_DEP_2)
	v_fma_f64 v[15:16], v[21:22], v[15:16], v[17:18]
	v_add_f64 v[3:4], v[3:4], v[10:11]
	s_delay_alu instid0(VALU_DEP_2)
	v_add_f64 v[1:2], v[1:2], v[15:16]
	s_and_not1_b32 exec_lo, exec_lo, s3
	s_cbranch_execnz .LBB39_145
; %bb.146:
	s_or_b32 exec_lo, exec_lo, s3
	v_mov_b32_e32 v7, 0
	ds_load_b128 v[7:10], v7 offset:528
	s_waitcnt lgkmcnt(0)
	v_mul_f64 v[11:12], v[1:2], v[9:10]
	v_mul_f64 v[15:16], v[3:4], v[9:10]
	s_delay_alu instid0(VALU_DEP_2) | instskip(NEXT) | instid1(VALU_DEP_2)
	v_fma_f64 v[9:10], v[3:4], v[7:8], -v[11:12]
	v_fma_f64 v[11:12], v[1:2], v[7:8], v[15:16]
	scratch_store_b128 off, v[9:12], off offset:528
.LBB39_147:
	s_or_b32 exec_lo, exec_lo, s2
	s_waitcnt_vscnt null, 0x0
	s_barrier
	buffer_gl0_inv
	scratch_load_b128 v[1:4], v135, off
	s_mov_b32 s2, exec_lo
	s_waitcnt vmcnt(0)
	ds_store_b128 v5, v[1:4]
	s_waitcnt lgkmcnt(0)
	s_barrier
	buffer_gl0_inv
	v_cmpx_gt_u32_e32 34, v122
	s_cbranch_execz .LBB39_151
; %bb.148:
	v_dual_mov_b32 v1, 0 :: v_dual_add_nc_u32 v8, 0x280, v13
	v_dual_mov_b32 v2, 0 :: v_dual_add_nc_u32 v7, -1, v122
	v_or_b32_e32 v9, 8, v14
	s_mov_b32 s3, 0
	s_delay_alu instid0(VALU_DEP_2)
	v_dual_mov_b32 v4, v2 :: v_dual_mov_b32 v3, v1
	.p2align	6
.LBB39_149:                             ; =>This Inner Loop Header: Depth=1
	scratch_load_b128 v[15:18], v9, off offset:-8
	ds_load_b128 v[19:22], v8
	v_add_nc_u32_e32 v7, 1, v7
	v_add_nc_u32_e32 v8, 16, v8
	;; [unrolled: 1-line block ×3, first 2 shown]
	s_delay_alu instid0(VALU_DEP_3) | instskip(SKIP_4) | instid1(VALU_DEP_2)
	v_cmp_lt_u32_e32 vcc_lo, 32, v7
	s_or_b32 s3, vcc_lo, s3
	s_waitcnt vmcnt(0) lgkmcnt(0)
	v_mul_f64 v[10:11], v[21:22], v[17:18]
	v_mul_f64 v[17:18], v[19:20], v[17:18]
	v_fma_f64 v[10:11], v[19:20], v[15:16], -v[10:11]
	s_delay_alu instid0(VALU_DEP_2) | instskip(NEXT) | instid1(VALU_DEP_2)
	v_fma_f64 v[15:16], v[21:22], v[15:16], v[17:18]
	v_add_f64 v[3:4], v[3:4], v[10:11]
	s_delay_alu instid0(VALU_DEP_2)
	v_add_f64 v[1:2], v[1:2], v[15:16]
	s_and_not1_b32 exec_lo, exec_lo, s3
	s_cbranch_execnz .LBB39_149
; %bb.150:
	s_or_b32 exec_lo, exec_lo, s3
	v_mov_b32_e32 v7, 0
	ds_load_b128 v[7:10], v7 offset:544
	s_waitcnt lgkmcnt(0)
	v_mul_f64 v[11:12], v[1:2], v[9:10]
	v_mul_f64 v[15:16], v[3:4], v[9:10]
	s_delay_alu instid0(VALU_DEP_2) | instskip(NEXT) | instid1(VALU_DEP_2)
	v_fma_f64 v[9:10], v[3:4], v[7:8], -v[11:12]
	v_fma_f64 v[11:12], v[1:2], v[7:8], v[15:16]
	scratch_store_b128 off, v[9:12], off offset:544
.LBB39_151:
	s_or_b32 exec_lo, exec_lo, s2
	s_waitcnt_vscnt null, 0x0
	s_barrier
	buffer_gl0_inv
	scratch_load_b128 v[1:4], v134, off
	s_mov_b32 s2, exec_lo
	s_waitcnt vmcnt(0)
	ds_store_b128 v5, v[1:4]
	s_waitcnt lgkmcnt(0)
	s_barrier
	buffer_gl0_inv
	v_cmpx_gt_u32_e32 35, v122
	s_cbranch_execz .LBB39_155
; %bb.152:
	v_dual_mov_b32 v1, 0 :: v_dual_add_nc_u32 v8, 0x280, v13
	v_dual_mov_b32 v2, 0 :: v_dual_add_nc_u32 v7, -1, v122
	v_or_b32_e32 v9, 8, v14
	s_mov_b32 s3, 0
	s_delay_alu instid0(VALU_DEP_2)
	v_dual_mov_b32 v4, v2 :: v_dual_mov_b32 v3, v1
	.p2align	6
.LBB39_153:                             ; =>This Inner Loop Header: Depth=1
	scratch_load_b128 v[15:18], v9, off offset:-8
	ds_load_b128 v[19:22], v8
	v_add_nc_u32_e32 v7, 1, v7
	v_add_nc_u32_e32 v8, 16, v8
	v_add_nc_u32_e32 v9, 16, v9
	s_delay_alu instid0(VALU_DEP_3) | instskip(SKIP_4) | instid1(VALU_DEP_2)
	v_cmp_lt_u32_e32 vcc_lo, 33, v7
	s_or_b32 s3, vcc_lo, s3
	s_waitcnt vmcnt(0) lgkmcnt(0)
	v_mul_f64 v[10:11], v[21:22], v[17:18]
	v_mul_f64 v[17:18], v[19:20], v[17:18]
	v_fma_f64 v[10:11], v[19:20], v[15:16], -v[10:11]
	s_delay_alu instid0(VALU_DEP_2) | instskip(NEXT) | instid1(VALU_DEP_2)
	v_fma_f64 v[15:16], v[21:22], v[15:16], v[17:18]
	v_add_f64 v[3:4], v[3:4], v[10:11]
	s_delay_alu instid0(VALU_DEP_2)
	v_add_f64 v[1:2], v[1:2], v[15:16]
	s_and_not1_b32 exec_lo, exec_lo, s3
	s_cbranch_execnz .LBB39_153
; %bb.154:
	s_or_b32 exec_lo, exec_lo, s3
	v_mov_b32_e32 v7, 0
	ds_load_b128 v[7:10], v7 offset:560
	s_waitcnt lgkmcnt(0)
	v_mul_f64 v[11:12], v[1:2], v[9:10]
	v_mul_f64 v[15:16], v[3:4], v[9:10]
	s_delay_alu instid0(VALU_DEP_2) | instskip(NEXT) | instid1(VALU_DEP_2)
	v_fma_f64 v[9:10], v[3:4], v[7:8], -v[11:12]
	v_fma_f64 v[11:12], v[1:2], v[7:8], v[15:16]
	scratch_store_b128 off, v[9:12], off offset:560
.LBB39_155:
	s_or_b32 exec_lo, exec_lo, s2
	s_waitcnt_vscnt null, 0x0
	s_barrier
	buffer_gl0_inv
	scratch_load_b128 v[1:4], v131, off
	s_mov_b32 s2, exec_lo
	s_waitcnt vmcnt(0)
	ds_store_b128 v5, v[1:4]
	s_waitcnt lgkmcnt(0)
	s_barrier
	buffer_gl0_inv
	v_cmpx_gt_u32_e32 36, v122
	s_cbranch_execz .LBB39_159
; %bb.156:
	v_dual_mov_b32 v1, 0 :: v_dual_add_nc_u32 v8, 0x280, v13
	v_dual_mov_b32 v2, 0 :: v_dual_add_nc_u32 v7, -1, v122
	v_or_b32_e32 v9, 8, v14
	s_mov_b32 s3, 0
	s_delay_alu instid0(VALU_DEP_2)
	v_dual_mov_b32 v4, v2 :: v_dual_mov_b32 v3, v1
	.p2align	6
.LBB39_157:                             ; =>This Inner Loop Header: Depth=1
	scratch_load_b128 v[15:18], v9, off offset:-8
	ds_load_b128 v[19:22], v8
	v_add_nc_u32_e32 v7, 1, v7
	v_add_nc_u32_e32 v8, 16, v8
	;; [unrolled: 1-line block ×3, first 2 shown]
	s_delay_alu instid0(VALU_DEP_3) | instskip(SKIP_4) | instid1(VALU_DEP_2)
	v_cmp_lt_u32_e32 vcc_lo, 34, v7
	s_or_b32 s3, vcc_lo, s3
	s_waitcnt vmcnt(0) lgkmcnt(0)
	v_mul_f64 v[10:11], v[21:22], v[17:18]
	v_mul_f64 v[17:18], v[19:20], v[17:18]
	v_fma_f64 v[10:11], v[19:20], v[15:16], -v[10:11]
	s_delay_alu instid0(VALU_DEP_2) | instskip(NEXT) | instid1(VALU_DEP_2)
	v_fma_f64 v[15:16], v[21:22], v[15:16], v[17:18]
	v_add_f64 v[3:4], v[3:4], v[10:11]
	s_delay_alu instid0(VALU_DEP_2)
	v_add_f64 v[1:2], v[1:2], v[15:16]
	s_and_not1_b32 exec_lo, exec_lo, s3
	s_cbranch_execnz .LBB39_157
; %bb.158:
	s_or_b32 exec_lo, exec_lo, s3
	v_mov_b32_e32 v7, 0
	ds_load_b128 v[7:10], v7 offset:576
	s_waitcnt lgkmcnt(0)
	v_mul_f64 v[11:12], v[1:2], v[9:10]
	v_mul_f64 v[15:16], v[3:4], v[9:10]
	s_delay_alu instid0(VALU_DEP_2) | instskip(NEXT) | instid1(VALU_DEP_2)
	v_fma_f64 v[9:10], v[3:4], v[7:8], -v[11:12]
	v_fma_f64 v[11:12], v[1:2], v[7:8], v[15:16]
	scratch_store_b128 off, v[9:12], off offset:576
.LBB39_159:
	s_or_b32 exec_lo, exec_lo, s2
	s_waitcnt_vscnt null, 0x0
	s_barrier
	buffer_gl0_inv
	scratch_load_b128 v[1:4], v130, off
	s_mov_b32 s2, exec_lo
	s_waitcnt vmcnt(0)
	ds_store_b128 v5, v[1:4]
	s_waitcnt lgkmcnt(0)
	s_barrier
	buffer_gl0_inv
	v_cmpx_gt_u32_e32 37, v122
	s_cbranch_execz .LBB39_163
; %bb.160:
	v_dual_mov_b32 v1, 0 :: v_dual_add_nc_u32 v8, 0x280, v13
	v_dual_mov_b32 v2, 0 :: v_dual_add_nc_u32 v7, -1, v122
	v_or_b32_e32 v9, 8, v14
	s_mov_b32 s3, 0
	s_delay_alu instid0(VALU_DEP_2)
	v_dual_mov_b32 v4, v2 :: v_dual_mov_b32 v3, v1
	.p2align	6
.LBB39_161:                             ; =>This Inner Loop Header: Depth=1
	scratch_load_b128 v[15:18], v9, off offset:-8
	ds_load_b128 v[19:22], v8
	v_add_nc_u32_e32 v7, 1, v7
	v_add_nc_u32_e32 v8, 16, v8
	;; [unrolled: 1-line block ×3, first 2 shown]
	s_delay_alu instid0(VALU_DEP_3) | instskip(SKIP_4) | instid1(VALU_DEP_2)
	v_cmp_lt_u32_e32 vcc_lo, 35, v7
	s_or_b32 s3, vcc_lo, s3
	s_waitcnt vmcnt(0) lgkmcnt(0)
	v_mul_f64 v[10:11], v[21:22], v[17:18]
	v_mul_f64 v[17:18], v[19:20], v[17:18]
	v_fma_f64 v[10:11], v[19:20], v[15:16], -v[10:11]
	s_delay_alu instid0(VALU_DEP_2) | instskip(NEXT) | instid1(VALU_DEP_2)
	v_fma_f64 v[15:16], v[21:22], v[15:16], v[17:18]
	v_add_f64 v[3:4], v[3:4], v[10:11]
	s_delay_alu instid0(VALU_DEP_2)
	v_add_f64 v[1:2], v[1:2], v[15:16]
	s_and_not1_b32 exec_lo, exec_lo, s3
	s_cbranch_execnz .LBB39_161
; %bb.162:
	s_or_b32 exec_lo, exec_lo, s3
	v_mov_b32_e32 v7, 0
	ds_load_b128 v[7:10], v7 offset:592
	s_waitcnt lgkmcnt(0)
	v_mul_f64 v[11:12], v[1:2], v[9:10]
	v_mul_f64 v[15:16], v[3:4], v[9:10]
	s_delay_alu instid0(VALU_DEP_2) | instskip(NEXT) | instid1(VALU_DEP_2)
	v_fma_f64 v[9:10], v[3:4], v[7:8], -v[11:12]
	v_fma_f64 v[11:12], v[1:2], v[7:8], v[15:16]
	scratch_store_b128 off, v[9:12], off offset:592
.LBB39_163:
	s_or_b32 exec_lo, exec_lo, s2
	s_waitcnt_vscnt null, 0x0
	s_barrier
	buffer_gl0_inv
	scratch_load_b128 v[1:4], v129, off
	s_mov_b32 s2, exec_lo
	s_waitcnt vmcnt(0)
	ds_store_b128 v5, v[1:4]
	s_waitcnt lgkmcnt(0)
	s_barrier
	buffer_gl0_inv
	v_cmpx_gt_u32_e32 38, v122
	s_cbranch_execz .LBB39_167
; %bb.164:
	v_dual_mov_b32 v1, 0 :: v_dual_add_nc_u32 v8, 0x280, v13
	v_dual_mov_b32 v2, 0 :: v_dual_add_nc_u32 v7, -1, v122
	v_or_b32_e32 v9, 8, v14
	s_mov_b32 s3, 0
	s_delay_alu instid0(VALU_DEP_2)
	v_dual_mov_b32 v4, v2 :: v_dual_mov_b32 v3, v1
	.p2align	6
.LBB39_165:                             ; =>This Inner Loop Header: Depth=1
	scratch_load_b128 v[10:13], v9, off offset:-8
	ds_load_b128 v[15:18], v8
	v_add_nc_u32_e32 v7, 1, v7
	v_add_nc_u32_e32 v8, 16, v8
	;; [unrolled: 1-line block ×3, first 2 shown]
	s_delay_alu instid0(VALU_DEP_3) | instskip(SKIP_4) | instid1(VALU_DEP_2)
	v_cmp_lt_u32_e32 vcc_lo, 36, v7
	s_or_b32 s3, vcc_lo, s3
	s_waitcnt vmcnt(0) lgkmcnt(0)
	v_mul_f64 v[19:20], v[17:18], v[12:13]
	v_mul_f64 v[12:13], v[15:16], v[12:13]
	v_fma_f64 v[15:16], v[15:16], v[10:11], -v[19:20]
	s_delay_alu instid0(VALU_DEP_2) | instskip(NEXT) | instid1(VALU_DEP_2)
	v_fma_f64 v[10:11], v[17:18], v[10:11], v[12:13]
	v_add_f64 v[3:4], v[3:4], v[15:16]
	s_delay_alu instid0(VALU_DEP_2)
	v_add_f64 v[1:2], v[1:2], v[10:11]
	s_and_not1_b32 exec_lo, exec_lo, s3
	s_cbranch_execnz .LBB39_165
; %bb.166:
	s_or_b32 exec_lo, exec_lo, s3
	v_mov_b32_e32 v7, 0
	ds_load_b128 v[7:10], v7 offset:608
	s_waitcnt lgkmcnt(0)
	v_mul_f64 v[11:12], v[1:2], v[9:10]
	v_mul_f64 v[15:16], v[3:4], v[9:10]
	s_delay_alu instid0(VALU_DEP_2) | instskip(NEXT) | instid1(VALU_DEP_2)
	v_fma_f64 v[9:10], v[3:4], v[7:8], -v[11:12]
	v_fma_f64 v[11:12], v[1:2], v[7:8], v[15:16]
	scratch_store_b128 off, v[9:12], off offset:608
.LBB39_167:
	s_or_b32 exec_lo, exec_lo, s2
	s_waitcnt_vscnt null, 0x0
	s_barrier
	buffer_gl0_inv
	scratch_load_b128 v[1:4], v128, off
	s_mov_b32 s2, exec_lo
	s_waitcnt vmcnt(0)
	ds_store_b128 v5, v[1:4]
	s_waitcnt lgkmcnt(0)
	s_barrier
	buffer_gl0_inv
	v_cmpx_ne_u32_e32 39, v122
	s_cbranch_execz .LBB39_171
; %bb.168:
	v_mov_b32_e32 v1, 0
	v_mov_b32_e32 v2, 0
	v_or_b32_e32 v7, 8, v14
	s_mov_b32 s3, 0
	s_delay_alu instid0(VALU_DEP_2)
	v_dual_mov_b32 v4, v2 :: v_dual_mov_b32 v3, v1
	.p2align	6
.LBB39_169:                             ; =>This Inner Loop Header: Depth=1
	scratch_load_b128 v[8:11], v7, off offset:-8
	ds_load_b128 v[12:15], v5
	v_add_nc_u32_e32 v6, 1, v6
	v_add_nc_u32_e32 v5, 16, v5
	;; [unrolled: 1-line block ×3, first 2 shown]
	s_delay_alu instid0(VALU_DEP_3) | instskip(SKIP_4) | instid1(VALU_DEP_2)
	v_cmp_lt_u32_e32 vcc_lo, 37, v6
	s_or_b32 s3, vcc_lo, s3
	s_waitcnt vmcnt(0) lgkmcnt(0)
	v_mul_f64 v[16:17], v[14:15], v[10:11]
	v_mul_f64 v[10:11], v[12:13], v[10:11]
	v_fma_f64 v[12:13], v[12:13], v[8:9], -v[16:17]
	s_delay_alu instid0(VALU_DEP_2) | instskip(NEXT) | instid1(VALU_DEP_2)
	v_fma_f64 v[8:9], v[14:15], v[8:9], v[10:11]
	v_add_f64 v[3:4], v[3:4], v[12:13]
	s_delay_alu instid0(VALU_DEP_2)
	v_add_f64 v[1:2], v[1:2], v[8:9]
	s_and_not1_b32 exec_lo, exec_lo, s3
	s_cbranch_execnz .LBB39_169
; %bb.170:
	s_or_b32 exec_lo, exec_lo, s3
	v_mov_b32_e32 v5, 0
	ds_load_b128 v[5:8], v5 offset:624
	s_waitcnt lgkmcnt(0)
	v_mul_f64 v[9:10], v[1:2], v[7:8]
	v_mul_f64 v[7:8], v[3:4], v[7:8]
	s_delay_alu instid0(VALU_DEP_2) | instskip(NEXT) | instid1(VALU_DEP_2)
	v_fma_f64 v[3:4], v[3:4], v[5:6], -v[9:10]
	v_fma_f64 v[5:6], v[1:2], v[5:6], v[7:8]
	scratch_store_b128 off, v[3:6], off offset:624
.LBB39_171:
	s_or_b32 exec_lo, exec_lo, s2
	s_mov_b32 s3, -1
	s_waitcnt_vscnt null, 0x0
	s_barrier
	buffer_gl0_inv
.LBB39_172:
	s_and_b32 vcc_lo, exec_lo, s3
	s_cbranch_vccz .LBB39_174
; %bb.173:
	s_lshl_b64 s[2:3], s[18:19], 2
	v_mov_b32_e32 v1, 0
	s_add_u32 s2, s6, s2
	s_addc_u32 s3, s7, s3
	global_load_b32 v1, v1, s[2:3]
	s_waitcnt vmcnt(0)
	v_cmp_ne_u32_e32 vcc_lo, 0, v1
	s_cbranch_vccz .LBB39_175
.LBB39_174:
	s_endpgm
.LBB39_175:
	v_lshl_add_u32 v162, v122, 4, 0x280
	s_mov_b32 s2, exec_lo
	v_cmpx_eq_u32_e32 39, v122
	s_cbranch_execz .LBB39_177
; %bb.176:
	scratch_load_b128 v[1:4], v129, off
	v_mov_b32_e32 v5, 0
	s_delay_alu instid0(VALU_DEP_1)
	v_mov_b32_e32 v6, v5
	v_mov_b32_e32 v7, v5
	v_mov_b32_e32 v8, v5
	scratch_store_b128 off, v[5:8], off offset:608
	s_waitcnt vmcnt(0)
	ds_store_b128 v162, v[1:4]
.LBB39_177:
	s_or_b32 exec_lo, exec_lo, s2
	s_waitcnt lgkmcnt(0)
	s_waitcnt_vscnt null, 0x0
	s_barrier
	buffer_gl0_inv
	s_clause 0x1
	scratch_load_b128 v[2:5], off, off offset:624
	scratch_load_b128 v[6:9], off, off offset:608
	v_mov_b32_e32 v1, 0
	s_mov_b32 s2, exec_lo
	ds_load_b128 v[10:13], v1 offset:1264
	s_waitcnt vmcnt(1) lgkmcnt(0)
	v_mul_f64 v[14:15], v[12:13], v[4:5]
	v_mul_f64 v[4:5], v[10:11], v[4:5]
	s_delay_alu instid0(VALU_DEP_2) | instskip(NEXT) | instid1(VALU_DEP_2)
	v_fma_f64 v[10:11], v[10:11], v[2:3], -v[14:15]
	v_fma_f64 v[2:3], v[12:13], v[2:3], v[4:5]
	s_delay_alu instid0(VALU_DEP_2) | instskip(NEXT) | instid1(VALU_DEP_2)
	v_add_f64 v[4:5], v[10:11], 0
	v_add_f64 v[10:11], v[2:3], 0
	s_waitcnt vmcnt(0)
	s_delay_alu instid0(VALU_DEP_2) | instskip(NEXT) | instid1(VALU_DEP_2)
	v_add_f64 v[2:3], v[6:7], -v[4:5]
	v_add_f64 v[4:5], v[8:9], -v[10:11]
	scratch_store_b128 off, v[2:5], off offset:608
	v_cmpx_lt_u32_e32 37, v122
	s_cbranch_execz .LBB39_179
; %bb.178:
	scratch_load_b128 v[5:8], v130, off
	v_mov_b32_e32 v2, v1
	v_mov_b32_e32 v3, v1
	;; [unrolled: 1-line block ×3, first 2 shown]
	scratch_store_b128 off, v[1:4], off offset:592
	s_waitcnt vmcnt(0)
	ds_store_b128 v162, v[5:8]
.LBB39_179:
	s_or_b32 exec_lo, exec_lo, s2
	s_waitcnt lgkmcnt(0)
	s_waitcnt_vscnt null, 0x0
	s_barrier
	buffer_gl0_inv
	s_clause 0x2
	scratch_load_b128 v[2:5], off, off offset:608
	scratch_load_b128 v[6:9], off, off offset:624
	;; [unrolled: 1-line block ×3, first 2 shown]
	ds_load_b128 v[14:17], v1 offset:1248
	ds_load_b128 v[18:21], v1 offset:1264
	s_mov_b32 s2, exec_lo
	s_waitcnt vmcnt(2) lgkmcnt(1)
	v_mul_f64 v[22:23], v[16:17], v[4:5]
	v_mul_f64 v[4:5], v[14:15], v[4:5]
	s_waitcnt vmcnt(1) lgkmcnt(0)
	v_mul_f64 v[24:25], v[18:19], v[8:9]
	v_mul_f64 v[8:9], v[20:21], v[8:9]
	s_delay_alu instid0(VALU_DEP_4) | instskip(NEXT) | instid1(VALU_DEP_4)
	v_fma_f64 v[14:15], v[14:15], v[2:3], -v[22:23]
	v_fma_f64 v[1:2], v[16:17], v[2:3], v[4:5]
	s_delay_alu instid0(VALU_DEP_4) | instskip(NEXT) | instid1(VALU_DEP_4)
	v_fma_f64 v[3:4], v[20:21], v[6:7], v[24:25]
	v_fma_f64 v[5:6], v[18:19], v[6:7], -v[8:9]
	s_delay_alu instid0(VALU_DEP_4) | instskip(NEXT) | instid1(VALU_DEP_4)
	v_add_f64 v[7:8], v[14:15], 0
	v_add_f64 v[1:2], v[1:2], 0
	s_delay_alu instid0(VALU_DEP_2) | instskip(NEXT) | instid1(VALU_DEP_2)
	v_add_f64 v[5:6], v[7:8], v[5:6]
	v_add_f64 v[3:4], v[1:2], v[3:4]
	s_waitcnt vmcnt(0)
	s_delay_alu instid0(VALU_DEP_2) | instskip(NEXT) | instid1(VALU_DEP_2)
	v_add_f64 v[1:2], v[10:11], -v[5:6]
	v_add_f64 v[3:4], v[12:13], -v[3:4]
	scratch_store_b128 off, v[1:4], off offset:592
	v_cmpx_lt_u32_e32 36, v122
	s_cbranch_execz .LBB39_181
; %bb.180:
	scratch_load_b128 v[1:4], v131, off
	v_mov_b32_e32 v5, 0
	s_delay_alu instid0(VALU_DEP_1)
	v_mov_b32_e32 v6, v5
	v_mov_b32_e32 v7, v5
	;; [unrolled: 1-line block ×3, first 2 shown]
	scratch_store_b128 off, v[5:8], off offset:576
	s_waitcnt vmcnt(0)
	ds_store_b128 v162, v[1:4]
.LBB39_181:
	s_or_b32 exec_lo, exec_lo, s2
	s_waitcnt lgkmcnt(0)
	s_waitcnt_vscnt null, 0x0
	s_barrier
	buffer_gl0_inv
	s_clause 0x3
	scratch_load_b128 v[2:5], off, off offset:592
	scratch_load_b128 v[6:9], off, off offset:608
	;; [unrolled: 1-line block ×4, first 2 shown]
	v_mov_b32_e32 v1, 0
	ds_load_b128 v[18:21], v1 offset:1232
	ds_load_b128 v[22:25], v1 offset:1248
	s_mov_b32 s2, exec_lo
	s_waitcnt vmcnt(3) lgkmcnt(1)
	v_mul_f64 v[26:27], v[20:21], v[4:5]
	v_mul_f64 v[4:5], v[18:19], v[4:5]
	s_waitcnt vmcnt(2) lgkmcnt(0)
	v_mul_f64 v[28:29], v[22:23], v[8:9]
	v_mul_f64 v[8:9], v[24:25], v[8:9]
	s_delay_alu instid0(VALU_DEP_4) | instskip(NEXT) | instid1(VALU_DEP_4)
	v_fma_f64 v[18:19], v[18:19], v[2:3], -v[26:27]
	v_fma_f64 v[20:21], v[20:21], v[2:3], v[4:5]
	ds_load_b128 v[2:5], v1 offset:1264
	v_fma_f64 v[24:25], v[24:25], v[6:7], v[28:29]
	v_fma_f64 v[6:7], v[22:23], v[6:7], -v[8:9]
	s_waitcnt vmcnt(1) lgkmcnt(0)
	v_mul_f64 v[26:27], v[2:3], v[12:13]
	v_mul_f64 v[12:13], v[4:5], v[12:13]
	v_add_f64 v[8:9], v[18:19], 0
	v_add_f64 v[18:19], v[20:21], 0
	s_delay_alu instid0(VALU_DEP_4) | instskip(NEXT) | instid1(VALU_DEP_4)
	v_fma_f64 v[4:5], v[4:5], v[10:11], v[26:27]
	v_fma_f64 v[2:3], v[2:3], v[10:11], -v[12:13]
	s_delay_alu instid0(VALU_DEP_4) | instskip(NEXT) | instid1(VALU_DEP_4)
	v_add_f64 v[6:7], v[8:9], v[6:7]
	v_add_f64 v[8:9], v[18:19], v[24:25]
	s_delay_alu instid0(VALU_DEP_2) | instskip(NEXT) | instid1(VALU_DEP_2)
	v_add_f64 v[2:3], v[6:7], v[2:3]
	v_add_f64 v[4:5], v[8:9], v[4:5]
	s_waitcnt vmcnt(0)
	s_delay_alu instid0(VALU_DEP_2) | instskip(NEXT) | instid1(VALU_DEP_2)
	v_add_f64 v[2:3], v[14:15], -v[2:3]
	v_add_f64 v[4:5], v[16:17], -v[4:5]
	scratch_store_b128 off, v[2:5], off offset:576
	v_cmpx_lt_u32_e32 35, v122
	s_cbranch_execz .LBB39_183
; %bb.182:
	scratch_load_b128 v[5:8], v134, off
	v_mov_b32_e32 v2, v1
	v_mov_b32_e32 v3, v1
	;; [unrolled: 1-line block ×3, first 2 shown]
	scratch_store_b128 off, v[1:4], off offset:560
	s_waitcnt vmcnt(0)
	ds_store_b128 v162, v[5:8]
.LBB39_183:
	s_or_b32 exec_lo, exec_lo, s2
	s_waitcnt lgkmcnt(0)
	s_waitcnt_vscnt null, 0x0
	s_barrier
	buffer_gl0_inv
	s_clause 0x4
	scratch_load_b128 v[2:5], off, off offset:576
	scratch_load_b128 v[6:9], off, off offset:592
	;; [unrolled: 1-line block ×5, first 2 shown]
	ds_load_b128 v[22:25], v1 offset:1216
	ds_load_b128 v[26:29], v1 offset:1232
	s_mov_b32 s2, exec_lo
	s_waitcnt vmcnt(4) lgkmcnt(1)
	v_mul_f64 v[30:31], v[24:25], v[4:5]
	v_mul_f64 v[4:5], v[22:23], v[4:5]
	s_waitcnt vmcnt(3) lgkmcnt(0)
	v_mul_f64 v[32:33], v[26:27], v[8:9]
	v_mul_f64 v[8:9], v[28:29], v[8:9]
	s_delay_alu instid0(VALU_DEP_4) | instskip(NEXT) | instid1(VALU_DEP_4)
	v_fma_f64 v[30:31], v[22:23], v[2:3], -v[30:31]
	v_fma_f64 v[34:35], v[24:25], v[2:3], v[4:5]
	ds_load_b128 v[2:5], v1 offset:1248
	ds_load_b128 v[22:25], v1 offset:1264
	v_fma_f64 v[28:29], v[28:29], v[6:7], v[32:33]
	v_fma_f64 v[6:7], v[26:27], v[6:7], -v[8:9]
	s_waitcnt vmcnt(2) lgkmcnt(1)
	v_mul_f64 v[36:37], v[2:3], v[12:13]
	v_mul_f64 v[12:13], v[4:5], v[12:13]
	v_add_f64 v[8:9], v[30:31], 0
	v_add_f64 v[26:27], v[34:35], 0
	s_waitcnt vmcnt(1) lgkmcnt(0)
	v_mul_f64 v[30:31], v[22:23], v[16:17]
	v_mul_f64 v[16:17], v[24:25], v[16:17]
	v_fma_f64 v[4:5], v[4:5], v[10:11], v[36:37]
	v_fma_f64 v[1:2], v[2:3], v[10:11], -v[12:13]
	v_add_f64 v[6:7], v[8:9], v[6:7]
	v_add_f64 v[8:9], v[26:27], v[28:29]
	v_fma_f64 v[10:11], v[24:25], v[14:15], v[30:31]
	v_fma_f64 v[12:13], v[22:23], v[14:15], -v[16:17]
	s_delay_alu instid0(VALU_DEP_4) | instskip(NEXT) | instid1(VALU_DEP_4)
	v_add_f64 v[1:2], v[6:7], v[1:2]
	v_add_f64 v[3:4], v[8:9], v[4:5]
	s_delay_alu instid0(VALU_DEP_2) | instskip(NEXT) | instid1(VALU_DEP_2)
	v_add_f64 v[1:2], v[1:2], v[12:13]
	v_add_f64 v[3:4], v[3:4], v[10:11]
	s_waitcnt vmcnt(0)
	s_delay_alu instid0(VALU_DEP_2) | instskip(NEXT) | instid1(VALU_DEP_2)
	v_add_f64 v[1:2], v[18:19], -v[1:2]
	v_add_f64 v[3:4], v[20:21], -v[3:4]
	scratch_store_b128 off, v[1:4], off offset:560
	v_cmpx_lt_u32_e32 34, v122
	s_cbranch_execz .LBB39_185
; %bb.184:
	scratch_load_b128 v[1:4], v135, off
	v_mov_b32_e32 v5, 0
	s_delay_alu instid0(VALU_DEP_1)
	v_mov_b32_e32 v6, v5
	v_mov_b32_e32 v7, v5
	;; [unrolled: 1-line block ×3, first 2 shown]
	scratch_store_b128 off, v[5:8], off offset:544
	s_waitcnt vmcnt(0)
	ds_store_b128 v162, v[1:4]
.LBB39_185:
	s_or_b32 exec_lo, exec_lo, s2
	s_waitcnt lgkmcnt(0)
	s_waitcnt_vscnt null, 0x0
	s_barrier
	buffer_gl0_inv
	s_clause 0x5
	scratch_load_b128 v[2:5], off, off offset:560
	scratch_load_b128 v[6:9], off, off offset:576
	;; [unrolled: 1-line block ×6, first 2 shown]
	v_mov_b32_e32 v1, 0
	ds_load_b128 v[26:29], v1 offset:1200
	ds_load_b128 v[30:33], v1 offset:1216
	s_mov_b32 s2, exec_lo
	s_waitcnt vmcnt(5) lgkmcnt(1)
	v_mul_f64 v[34:35], v[28:29], v[4:5]
	v_mul_f64 v[4:5], v[26:27], v[4:5]
	s_waitcnt vmcnt(4) lgkmcnt(0)
	v_mul_f64 v[36:37], v[30:31], v[8:9]
	v_mul_f64 v[8:9], v[32:33], v[8:9]
	s_delay_alu instid0(VALU_DEP_4) | instskip(NEXT) | instid1(VALU_DEP_4)
	v_fma_f64 v[34:35], v[26:27], v[2:3], -v[34:35]
	v_fma_f64 v[38:39], v[28:29], v[2:3], v[4:5]
	ds_load_b128 v[2:5], v1 offset:1232
	ds_load_b128 v[26:29], v1 offset:1248
	v_fma_f64 v[32:33], v[32:33], v[6:7], v[36:37]
	v_fma_f64 v[6:7], v[30:31], v[6:7], -v[8:9]
	s_waitcnt vmcnt(3) lgkmcnt(1)
	v_mul_f64 v[40:41], v[2:3], v[12:13]
	v_mul_f64 v[12:13], v[4:5], v[12:13]
	v_add_f64 v[8:9], v[34:35], 0
	v_add_f64 v[30:31], v[38:39], 0
	s_waitcnt vmcnt(2) lgkmcnt(0)
	v_mul_f64 v[34:35], v[26:27], v[16:17]
	v_mul_f64 v[16:17], v[28:29], v[16:17]
	v_fma_f64 v[36:37], v[4:5], v[10:11], v[40:41]
	v_fma_f64 v[10:11], v[2:3], v[10:11], -v[12:13]
	ds_load_b128 v[2:5], v1 offset:1264
	v_add_f64 v[6:7], v[8:9], v[6:7]
	v_add_f64 v[8:9], v[30:31], v[32:33]
	v_fma_f64 v[28:29], v[28:29], v[14:15], v[34:35]
	v_fma_f64 v[14:15], v[26:27], v[14:15], -v[16:17]
	s_waitcnt vmcnt(1) lgkmcnt(0)
	v_mul_f64 v[12:13], v[2:3], v[20:21]
	v_mul_f64 v[20:21], v[4:5], v[20:21]
	v_add_f64 v[6:7], v[6:7], v[10:11]
	v_add_f64 v[8:9], v[8:9], v[36:37]
	s_delay_alu instid0(VALU_DEP_4) | instskip(NEXT) | instid1(VALU_DEP_4)
	v_fma_f64 v[4:5], v[4:5], v[18:19], v[12:13]
	v_fma_f64 v[2:3], v[2:3], v[18:19], -v[20:21]
	s_delay_alu instid0(VALU_DEP_4) | instskip(NEXT) | instid1(VALU_DEP_4)
	v_add_f64 v[6:7], v[6:7], v[14:15]
	v_add_f64 v[8:9], v[8:9], v[28:29]
	s_delay_alu instid0(VALU_DEP_2) | instskip(NEXT) | instid1(VALU_DEP_2)
	v_add_f64 v[2:3], v[6:7], v[2:3]
	v_add_f64 v[4:5], v[8:9], v[4:5]
	s_waitcnt vmcnt(0)
	s_delay_alu instid0(VALU_DEP_2) | instskip(NEXT) | instid1(VALU_DEP_2)
	v_add_f64 v[2:3], v[22:23], -v[2:3]
	v_add_f64 v[4:5], v[24:25], -v[4:5]
	scratch_store_b128 off, v[2:5], off offset:544
	v_cmpx_lt_u32_e32 33, v122
	s_cbranch_execz .LBB39_187
; %bb.186:
	scratch_load_b128 v[5:8], v136, off
	v_mov_b32_e32 v2, v1
	v_mov_b32_e32 v3, v1
	v_mov_b32_e32 v4, v1
	scratch_store_b128 off, v[1:4], off offset:528
	s_waitcnt vmcnt(0)
	ds_store_b128 v162, v[5:8]
.LBB39_187:
	s_or_b32 exec_lo, exec_lo, s2
	s_waitcnt lgkmcnt(0)
	s_waitcnt_vscnt null, 0x0
	s_barrier
	buffer_gl0_inv
	s_clause 0x5
	scratch_load_b128 v[2:5], off, off offset:544
	scratch_load_b128 v[6:9], off, off offset:560
	;; [unrolled: 1-line block ×6, first 2 shown]
	ds_load_b128 v[26:29], v1 offset:1184
	ds_load_b128 v[34:37], v1 offset:1200
	scratch_load_b128 v[30:33], off, off offset:528
	s_mov_b32 s2, exec_lo
	s_waitcnt vmcnt(6) lgkmcnt(1)
	v_mul_f64 v[38:39], v[28:29], v[4:5]
	v_mul_f64 v[4:5], v[26:27], v[4:5]
	s_waitcnt vmcnt(5) lgkmcnt(0)
	v_mul_f64 v[40:41], v[34:35], v[8:9]
	v_mul_f64 v[8:9], v[36:37], v[8:9]
	s_delay_alu instid0(VALU_DEP_4) | instskip(NEXT) | instid1(VALU_DEP_4)
	v_fma_f64 v[38:39], v[26:27], v[2:3], -v[38:39]
	v_fma_f64 v[163:164], v[28:29], v[2:3], v[4:5]
	ds_load_b128 v[2:5], v1 offset:1216
	ds_load_b128 v[26:29], v1 offset:1232
	v_fma_f64 v[36:37], v[36:37], v[6:7], v[40:41]
	v_fma_f64 v[6:7], v[34:35], v[6:7], -v[8:9]
	s_waitcnt vmcnt(4) lgkmcnt(1)
	v_mul_f64 v[165:166], v[2:3], v[12:13]
	v_mul_f64 v[12:13], v[4:5], v[12:13]
	v_add_f64 v[8:9], v[38:39], 0
	v_add_f64 v[34:35], v[163:164], 0
	s_waitcnt vmcnt(3) lgkmcnt(0)
	v_mul_f64 v[38:39], v[26:27], v[16:17]
	v_mul_f64 v[16:17], v[28:29], v[16:17]
	v_fma_f64 v[40:41], v[4:5], v[10:11], v[165:166]
	v_fma_f64 v[10:11], v[2:3], v[10:11], -v[12:13]
	v_add_f64 v[12:13], v[8:9], v[6:7]
	v_add_f64 v[34:35], v[34:35], v[36:37]
	ds_load_b128 v[2:5], v1 offset:1248
	ds_load_b128 v[6:9], v1 offset:1264
	v_fma_f64 v[28:29], v[28:29], v[14:15], v[38:39]
	v_fma_f64 v[14:15], v[26:27], v[14:15], -v[16:17]
	s_waitcnt vmcnt(2) lgkmcnt(1)
	v_mul_f64 v[36:37], v[2:3], v[20:21]
	v_mul_f64 v[20:21], v[4:5], v[20:21]
	s_waitcnt vmcnt(1) lgkmcnt(0)
	v_mul_f64 v[16:17], v[6:7], v[24:25]
	v_mul_f64 v[24:25], v[8:9], v[24:25]
	v_add_f64 v[10:11], v[12:13], v[10:11]
	v_add_f64 v[12:13], v[34:35], v[40:41]
	v_fma_f64 v[4:5], v[4:5], v[18:19], v[36:37]
	v_fma_f64 v[1:2], v[2:3], v[18:19], -v[20:21]
	v_fma_f64 v[8:9], v[8:9], v[22:23], v[16:17]
	v_fma_f64 v[6:7], v[6:7], v[22:23], -v[24:25]
	v_add_f64 v[10:11], v[10:11], v[14:15]
	v_add_f64 v[12:13], v[12:13], v[28:29]
	s_delay_alu instid0(VALU_DEP_2) | instskip(NEXT) | instid1(VALU_DEP_2)
	v_add_f64 v[1:2], v[10:11], v[1:2]
	v_add_f64 v[3:4], v[12:13], v[4:5]
	s_delay_alu instid0(VALU_DEP_2) | instskip(NEXT) | instid1(VALU_DEP_2)
	v_add_f64 v[1:2], v[1:2], v[6:7]
	v_add_f64 v[3:4], v[3:4], v[8:9]
	s_waitcnt vmcnt(0)
	s_delay_alu instid0(VALU_DEP_2) | instskip(NEXT) | instid1(VALU_DEP_2)
	v_add_f64 v[1:2], v[30:31], -v[1:2]
	v_add_f64 v[3:4], v[32:33], -v[3:4]
	scratch_store_b128 off, v[1:4], off offset:528
	v_cmpx_lt_u32_e32 32, v122
	s_cbranch_execz .LBB39_189
; %bb.188:
	scratch_load_b128 v[1:4], v123, off
	v_mov_b32_e32 v5, 0
	s_delay_alu instid0(VALU_DEP_1)
	v_mov_b32_e32 v6, v5
	v_mov_b32_e32 v7, v5
	;; [unrolled: 1-line block ×3, first 2 shown]
	scratch_store_b128 off, v[5:8], off offset:512
	s_waitcnt vmcnt(0)
	ds_store_b128 v162, v[1:4]
.LBB39_189:
	s_or_b32 exec_lo, exec_lo, s2
	s_waitcnt lgkmcnt(0)
	s_waitcnt_vscnt null, 0x0
	s_barrier
	buffer_gl0_inv
	s_clause 0x6
	scratch_load_b128 v[2:5], off, off offset:528
	scratch_load_b128 v[6:9], off, off offset:544
	;; [unrolled: 1-line block ×7, first 2 shown]
	v_mov_b32_e32 v1, 0
	scratch_load_b128 v[34:37], off, off offset:512
	s_mov_b32 s2, exec_lo
	ds_load_b128 v[30:33], v1 offset:1168
	ds_load_b128 v[38:41], v1 offset:1184
	s_waitcnt vmcnt(7) lgkmcnt(1)
	v_mul_f64 v[163:164], v[32:33], v[4:5]
	v_mul_f64 v[4:5], v[30:31], v[4:5]
	s_waitcnt vmcnt(6) lgkmcnt(0)
	v_mul_f64 v[165:166], v[38:39], v[8:9]
	v_mul_f64 v[8:9], v[40:41], v[8:9]
	s_delay_alu instid0(VALU_DEP_4) | instskip(NEXT) | instid1(VALU_DEP_4)
	v_fma_f64 v[163:164], v[30:31], v[2:3], -v[163:164]
	v_fma_f64 v[167:168], v[32:33], v[2:3], v[4:5]
	ds_load_b128 v[2:5], v1 offset:1200
	ds_load_b128 v[30:33], v1 offset:1216
	v_fma_f64 v[40:41], v[40:41], v[6:7], v[165:166]
	v_fma_f64 v[6:7], v[38:39], v[6:7], -v[8:9]
	s_waitcnt vmcnt(5) lgkmcnt(1)
	v_mul_f64 v[169:170], v[2:3], v[12:13]
	v_mul_f64 v[12:13], v[4:5], v[12:13]
	v_add_f64 v[8:9], v[163:164], 0
	v_add_f64 v[38:39], v[167:168], 0
	s_waitcnt vmcnt(4) lgkmcnt(0)
	v_mul_f64 v[163:164], v[30:31], v[16:17]
	v_mul_f64 v[16:17], v[32:33], v[16:17]
	v_fma_f64 v[165:166], v[4:5], v[10:11], v[169:170]
	v_fma_f64 v[10:11], v[2:3], v[10:11], -v[12:13]
	v_add_f64 v[12:13], v[8:9], v[6:7]
	v_add_f64 v[38:39], v[38:39], v[40:41]
	ds_load_b128 v[2:5], v1 offset:1232
	ds_load_b128 v[6:9], v1 offset:1248
	v_fma_f64 v[32:33], v[32:33], v[14:15], v[163:164]
	v_fma_f64 v[14:15], v[30:31], v[14:15], -v[16:17]
	s_waitcnt vmcnt(3) lgkmcnt(1)
	v_mul_f64 v[40:41], v[2:3], v[20:21]
	v_mul_f64 v[20:21], v[4:5], v[20:21]
	s_waitcnt vmcnt(2) lgkmcnt(0)
	v_mul_f64 v[16:17], v[6:7], v[24:25]
	v_mul_f64 v[24:25], v[8:9], v[24:25]
	v_add_f64 v[10:11], v[12:13], v[10:11]
	v_add_f64 v[12:13], v[38:39], v[165:166]
	v_fma_f64 v[30:31], v[4:5], v[18:19], v[40:41]
	v_fma_f64 v[18:19], v[2:3], v[18:19], -v[20:21]
	ds_load_b128 v[2:5], v1 offset:1264
	v_fma_f64 v[8:9], v[8:9], v[22:23], v[16:17]
	v_fma_f64 v[6:7], v[6:7], v[22:23], -v[24:25]
	v_add_f64 v[10:11], v[10:11], v[14:15]
	v_add_f64 v[12:13], v[12:13], v[32:33]
	s_waitcnt vmcnt(1) lgkmcnt(0)
	v_mul_f64 v[14:15], v[2:3], v[28:29]
	v_mul_f64 v[20:21], v[4:5], v[28:29]
	s_delay_alu instid0(VALU_DEP_4) | instskip(NEXT) | instid1(VALU_DEP_4)
	v_add_f64 v[10:11], v[10:11], v[18:19]
	v_add_f64 v[12:13], v[12:13], v[30:31]
	s_delay_alu instid0(VALU_DEP_4) | instskip(NEXT) | instid1(VALU_DEP_4)
	v_fma_f64 v[4:5], v[4:5], v[26:27], v[14:15]
	v_fma_f64 v[2:3], v[2:3], v[26:27], -v[20:21]
	s_delay_alu instid0(VALU_DEP_4) | instskip(NEXT) | instid1(VALU_DEP_4)
	v_add_f64 v[6:7], v[10:11], v[6:7]
	v_add_f64 v[8:9], v[12:13], v[8:9]
	s_delay_alu instid0(VALU_DEP_2) | instskip(NEXT) | instid1(VALU_DEP_2)
	v_add_f64 v[2:3], v[6:7], v[2:3]
	v_add_f64 v[4:5], v[8:9], v[4:5]
	s_waitcnt vmcnt(0)
	s_delay_alu instid0(VALU_DEP_2) | instskip(NEXT) | instid1(VALU_DEP_2)
	v_add_f64 v[2:3], v[34:35], -v[2:3]
	v_add_f64 v[4:5], v[36:37], -v[4:5]
	scratch_store_b128 off, v[2:5], off offset:512
	v_cmpx_lt_u32_e32 31, v122
	s_cbranch_execz .LBB39_191
; %bb.190:
	scratch_load_b128 v[5:8], v125, off
	v_mov_b32_e32 v2, v1
	v_mov_b32_e32 v3, v1
	;; [unrolled: 1-line block ×3, first 2 shown]
	scratch_store_b128 off, v[1:4], off offset:496
	s_waitcnt vmcnt(0)
	ds_store_b128 v162, v[5:8]
.LBB39_191:
	s_or_b32 exec_lo, exec_lo, s2
	s_waitcnt lgkmcnt(0)
	s_waitcnt_vscnt null, 0x0
	s_barrier
	buffer_gl0_inv
	s_clause 0x7
	scratch_load_b128 v[2:5], off, off offset:512
	scratch_load_b128 v[6:9], off, off offset:528
	;; [unrolled: 1-line block ×8, first 2 shown]
	ds_load_b128 v[34:37], v1 offset:1152
	ds_load_b128 v[38:41], v1 offset:1168
	scratch_load_b128 v[163:166], off, off offset:496
	s_mov_b32 s2, exec_lo
	s_waitcnt vmcnt(8) lgkmcnt(1)
	v_mul_f64 v[167:168], v[36:37], v[4:5]
	v_mul_f64 v[4:5], v[34:35], v[4:5]
	s_waitcnt vmcnt(7) lgkmcnt(0)
	v_mul_f64 v[169:170], v[38:39], v[8:9]
	v_mul_f64 v[8:9], v[40:41], v[8:9]
	s_delay_alu instid0(VALU_DEP_4) | instskip(NEXT) | instid1(VALU_DEP_4)
	v_fma_f64 v[167:168], v[34:35], v[2:3], -v[167:168]
	v_fma_f64 v[171:172], v[36:37], v[2:3], v[4:5]
	ds_load_b128 v[2:5], v1 offset:1184
	ds_load_b128 v[34:37], v1 offset:1200
	v_fma_f64 v[40:41], v[40:41], v[6:7], v[169:170]
	v_fma_f64 v[6:7], v[38:39], v[6:7], -v[8:9]
	s_waitcnt vmcnt(6) lgkmcnt(1)
	v_mul_f64 v[173:174], v[2:3], v[12:13]
	v_mul_f64 v[12:13], v[4:5], v[12:13]
	v_add_f64 v[8:9], v[167:168], 0
	v_add_f64 v[38:39], v[171:172], 0
	s_waitcnt vmcnt(5) lgkmcnt(0)
	v_mul_f64 v[167:168], v[34:35], v[16:17]
	v_mul_f64 v[16:17], v[36:37], v[16:17]
	v_fma_f64 v[169:170], v[4:5], v[10:11], v[173:174]
	v_fma_f64 v[10:11], v[2:3], v[10:11], -v[12:13]
	v_add_f64 v[12:13], v[8:9], v[6:7]
	v_add_f64 v[38:39], v[38:39], v[40:41]
	ds_load_b128 v[2:5], v1 offset:1216
	ds_load_b128 v[6:9], v1 offset:1232
	v_fma_f64 v[36:37], v[36:37], v[14:15], v[167:168]
	v_fma_f64 v[14:15], v[34:35], v[14:15], -v[16:17]
	s_waitcnt vmcnt(4) lgkmcnt(1)
	v_mul_f64 v[40:41], v[2:3], v[20:21]
	v_mul_f64 v[20:21], v[4:5], v[20:21]
	s_waitcnt vmcnt(3) lgkmcnt(0)
	v_mul_f64 v[16:17], v[6:7], v[24:25]
	v_mul_f64 v[24:25], v[8:9], v[24:25]
	v_add_f64 v[10:11], v[12:13], v[10:11]
	v_add_f64 v[12:13], v[38:39], v[169:170]
	v_fma_f64 v[34:35], v[4:5], v[18:19], v[40:41]
	v_fma_f64 v[18:19], v[2:3], v[18:19], -v[20:21]
	v_fma_f64 v[8:9], v[8:9], v[22:23], v[16:17]
	v_fma_f64 v[6:7], v[6:7], v[22:23], -v[24:25]
	v_add_f64 v[14:15], v[10:11], v[14:15]
	v_add_f64 v[20:21], v[12:13], v[36:37]
	ds_load_b128 v[2:5], v1 offset:1248
	ds_load_b128 v[10:13], v1 offset:1264
	s_waitcnt vmcnt(2) lgkmcnt(1)
	v_mul_f64 v[36:37], v[2:3], v[28:29]
	v_mul_f64 v[28:29], v[4:5], v[28:29]
	v_add_f64 v[14:15], v[14:15], v[18:19]
	v_add_f64 v[16:17], v[20:21], v[34:35]
	s_waitcnt vmcnt(1) lgkmcnt(0)
	v_mul_f64 v[18:19], v[10:11], v[32:33]
	v_mul_f64 v[20:21], v[12:13], v[32:33]
	v_fma_f64 v[4:5], v[4:5], v[26:27], v[36:37]
	v_fma_f64 v[1:2], v[2:3], v[26:27], -v[28:29]
	v_add_f64 v[6:7], v[14:15], v[6:7]
	v_add_f64 v[8:9], v[16:17], v[8:9]
	v_fma_f64 v[12:13], v[12:13], v[30:31], v[18:19]
	v_fma_f64 v[10:11], v[10:11], v[30:31], -v[20:21]
	s_delay_alu instid0(VALU_DEP_4) | instskip(NEXT) | instid1(VALU_DEP_4)
	v_add_f64 v[1:2], v[6:7], v[1:2]
	v_add_f64 v[3:4], v[8:9], v[4:5]
	s_delay_alu instid0(VALU_DEP_2) | instskip(NEXT) | instid1(VALU_DEP_2)
	v_add_f64 v[1:2], v[1:2], v[10:11]
	v_add_f64 v[3:4], v[3:4], v[12:13]
	s_waitcnt vmcnt(0)
	s_delay_alu instid0(VALU_DEP_2) | instskip(NEXT) | instid1(VALU_DEP_2)
	v_add_f64 v[1:2], v[163:164], -v[1:2]
	v_add_f64 v[3:4], v[165:166], -v[3:4]
	scratch_store_b128 off, v[1:4], off offset:496
	v_cmpx_lt_u32_e32 30, v122
	s_cbranch_execz .LBB39_193
; %bb.192:
	scratch_load_b128 v[1:4], v124, off
	v_mov_b32_e32 v5, 0
	s_delay_alu instid0(VALU_DEP_1)
	v_mov_b32_e32 v6, v5
	v_mov_b32_e32 v7, v5
	;; [unrolled: 1-line block ×3, first 2 shown]
	scratch_store_b128 off, v[5:8], off offset:480
	s_waitcnt vmcnt(0)
	ds_store_b128 v162, v[1:4]
.LBB39_193:
	s_or_b32 exec_lo, exec_lo, s2
	s_waitcnt lgkmcnt(0)
	s_waitcnt_vscnt null, 0x0
	s_barrier
	buffer_gl0_inv
	s_clause 0x7
	scratch_load_b128 v[2:5], off, off offset:496
	scratch_load_b128 v[6:9], off, off offset:512
	;; [unrolled: 1-line block ×8, first 2 shown]
	v_mov_b32_e32 v1, 0
	s_mov_b32 s2, exec_lo
	ds_load_b128 v[34:37], v1 offset:1136
	s_clause 0x1
	scratch_load_b128 v[38:41], off, off offset:624
	scratch_load_b128 v[163:166], off, off offset:480
	ds_load_b128 v[167:170], v1 offset:1152
	s_waitcnt vmcnt(9) lgkmcnt(1)
	v_mul_f64 v[171:172], v[36:37], v[4:5]
	v_mul_f64 v[4:5], v[34:35], v[4:5]
	s_waitcnt vmcnt(8) lgkmcnt(0)
	v_mul_f64 v[173:174], v[167:168], v[8:9]
	v_mul_f64 v[8:9], v[169:170], v[8:9]
	s_delay_alu instid0(VALU_DEP_4) | instskip(NEXT) | instid1(VALU_DEP_4)
	v_fma_f64 v[171:172], v[34:35], v[2:3], -v[171:172]
	v_fma_f64 v[175:176], v[36:37], v[2:3], v[4:5]
	ds_load_b128 v[2:5], v1 offset:1168
	ds_load_b128 v[34:37], v1 offset:1184
	v_fma_f64 v[169:170], v[169:170], v[6:7], v[173:174]
	v_fma_f64 v[6:7], v[167:168], v[6:7], -v[8:9]
	s_waitcnt vmcnt(7) lgkmcnt(1)
	v_mul_f64 v[177:178], v[2:3], v[12:13]
	v_mul_f64 v[12:13], v[4:5], v[12:13]
	v_add_f64 v[8:9], v[171:172], 0
	v_add_f64 v[167:168], v[175:176], 0
	s_waitcnt vmcnt(6) lgkmcnt(0)
	v_mul_f64 v[171:172], v[34:35], v[16:17]
	v_mul_f64 v[16:17], v[36:37], v[16:17]
	v_fma_f64 v[173:174], v[4:5], v[10:11], v[177:178]
	v_fma_f64 v[10:11], v[2:3], v[10:11], -v[12:13]
	v_add_f64 v[12:13], v[8:9], v[6:7]
	v_add_f64 v[167:168], v[167:168], v[169:170]
	ds_load_b128 v[2:5], v1 offset:1200
	ds_load_b128 v[6:9], v1 offset:1216
	v_fma_f64 v[36:37], v[36:37], v[14:15], v[171:172]
	v_fma_f64 v[14:15], v[34:35], v[14:15], -v[16:17]
	s_waitcnt vmcnt(5) lgkmcnt(1)
	v_mul_f64 v[169:170], v[2:3], v[20:21]
	v_mul_f64 v[20:21], v[4:5], v[20:21]
	s_waitcnt vmcnt(4) lgkmcnt(0)
	v_mul_f64 v[16:17], v[6:7], v[24:25]
	v_mul_f64 v[24:25], v[8:9], v[24:25]
	v_add_f64 v[10:11], v[12:13], v[10:11]
	v_add_f64 v[12:13], v[167:168], v[173:174]
	v_fma_f64 v[34:35], v[4:5], v[18:19], v[169:170]
	v_fma_f64 v[18:19], v[2:3], v[18:19], -v[20:21]
	v_fma_f64 v[8:9], v[8:9], v[22:23], v[16:17]
	v_fma_f64 v[6:7], v[6:7], v[22:23], -v[24:25]
	v_add_f64 v[14:15], v[10:11], v[14:15]
	v_add_f64 v[20:21], v[12:13], v[36:37]
	ds_load_b128 v[2:5], v1 offset:1232
	ds_load_b128 v[10:13], v1 offset:1248
	s_waitcnt vmcnt(3) lgkmcnt(1)
	v_mul_f64 v[36:37], v[2:3], v[28:29]
	v_mul_f64 v[28:29], v[4:5], v[28:29]
	v_add_f64 v[14:15], v[14:15], v[18:19]
	v_add_f64 v[16:17], v[20:21], v[34:35]
	s_waitcnt vmcnt(2) lgkmcnt(0)
	v_mul_f64 v[18:19], v[10:11], v[32:33]
	v_mul_f64 v[20:21], v[12:13], v[32:33]
	v_fma_f64 v[22:23], v[4:5], v[26:27], v[36:37]
	v_fma_f64 v[24:25], v[2:3], v[26:27], -v[28:29]
	ds_load_b128 v[2:5], v1 offset:1264
	v_add_f64 v[6:7], v[14:15], v[6:7]
	v_add_f64 v[8:9], v[16:17], v[8:9]
	v_fma_f64 v[12:13], v[12:13], v[30:31], v[18:19]
	v_fma_f64 v[10:11], v[10:11], v[30:31], -v[20:21]
	s_waitcnt vmcnt(1) lgkmcnt(0)
	v_mul_f64 v[14:15], v[2:3], v[40:41]
	v_mul_f64 v[16:17], v[4:5], v[40:41]
	v_add_f64 v[6:7], v[6:7], v[24:25]
	v_add_f64 v[8:9], v[8:9], v[22:23]
	s_delay_alu instid0(VALU_DEP_4) | instskip(NEXT) | instid1(VALU_DEP_4)
	v_fma_f64 v[4:5], v[4:5], v[38:39], v[14:15]
	v_fma_f64 v[2:3], v[2:3], v[38:39], -v[16:17]
	s_delay_alu instid0(VALU_DEP_4) | instskip(NEXT) | instid1(VALU_DEP_4)
	v_add_f64 v[6:7], v[6:7], v[10:11]
	v_add_f64 v[8:9], v[8:9], v[12:13]
	s_delay_alu instid0(VALU_DEP_2) | instskip(NEXT) | instid1(VALU_DEP_2)
	v_add_f64 v[2:3], v[6:7], v[2:3]
	v_add_f64 v[4:5], v[8:9], v[4:5]
	s_waitcnt vmcnt(0)
	s_delay_alu instid0(VALU_DEP_2) | instskip(NEXT) | instid1(VALU_DEP_2)
	v_add_f64 v[2:3], v[163:164], -v[2:3]
	v_add_f64 v[4:5], v[165:166], -v[4:5]
	scratch_store_b128 off, v[2:5], off offset:480
	v_cmpx_lt_u32_e32 29, v122
	s_cbranch_execz .LBB39_195
; %bb.194:
	scratch_load_b128 v[5:8], v126, off
	v_mov_b32_e32 v2, v1
	v_mov_b32_e32 v3, v1
	;; [unrolled: 1-line block ×3, first 2 shown]
	scratch_store_b128 off, v[1:4], off offset:464
	s_waitcnt vmcnt(0)
	ds_store_b128 v162, v[5:8]
.LBB39_195:
	s_or_b32 exec_lo, exec_lo, s2
	s_waitcnt lgkmcnt(0)
	s_waitcnt_vscnt null, 0x0
	s_barrier
	buffer_gl0_inv
	s_clause 0x8
	scratch_load_b128 v[2:5], off, off offset:480
	scratch_load_b128 v[6:9], off, off offset:496
	;; [unrolled: 1-line block ×9, first 2 shown]
	ds_load_b128 v[38:41], v1 offset:1120
	ds_load_b128 v[163:166], v1 offset:1136
	s_clause 0x1
	scratch_load_b128 v[167:170], off, off offset:464
	scratch_load_b128 v[171:174], off, off offset:624
	s_mov_b32 s2, exec_lo
	s_waitcnt vmcnt(10) lgkmcnt(1)
	v_mul_f64 v[175:176], v[40:41], v[4:5]
	v_mul_f64 v[4:5], v[38:39], v[4:5]
	s_waitcnt vmcnt(9) lgkmcnt(0)
	v_mul_f64 v[177:178], v[163:164], v[8:9]
	v_mul_f64 v[8:9], v[165:166], v[8:9]
	s_delay_alu instid0(VALU_DEP_4) | instskip(NEXT) | instid1(VALU_DEP_4)
	v_fma_f64 v[175:176], v[38:39], v[2:3], -v[175:176]
	v_fma_f64 v[179:180], v[40:41], v[2:3], v[4:5]
	ds_load_b128 v[2:5], v1 offset:1152
	ds_load_b128 v[38:41], v1 offset:1168
	v_fma_f64 v[165:166], v[165:166], v[6:7], v[177:178]
	v_fma_f64 v[6:7], v[163:164], v[6:7], -v[8:9]
	s_waitcnt vmcnt(8) lgkmcnt(1)
	v_mul_f64 v[181:182], v[2:3], v[12:13]
	v_mul_f64 v[12:13], v[4:5], v[12:13]
	v_add_f64 v[8:9], v[175:176], 0
	v_add_f64 v[163:164], v[179:180], 0
	s_waitcnt vmcnt(7) lgkmcnt(0)
	v_mul_f64 v[175:176], v[38:39], v[16:17]
	v_mul_f64 v[16:17], v[40:41], v[16:17]
	v_fma_f64 v[177:178], v[4:5], v[10:11], v[181:182]
	v_fma_f64 v[10:11], v[2:3], v[10:11], -v[12:13]
	v_add_f64 v[12:13], v[8:9], v[6:7]
	v_add_f64 v[163:164], v[163:164], v[165:166]
	ds_load_b128 v[2:5], v1 offset:1184
	ds_load_b128 v[6:9], v1 offset:1200
	v_fma_f64 v[40:41], v[40:41], v[14:15], v[175:176]
	v_fma_f64 v[14:15], v[38:39], v[14:15], -v[16:17]
	s_waitcnt vmcnt(6) lgkmcnt(1)
	v_mul_f64 v[165:166], v[2:3], v[20:21]
	v_mul_f64 v[20:21], v[4:5], v[20:21]
	s_waitcnt vmcnt(5) lgkmcnt(0)
	v_mul_f64 v[16:17], v[6:7], v[24:25]
	v_mul_f64 v[24:25], v[8:9], v[24:25]
	v_add_f64 v[10:11], v[12:13], v[10:11]
	v_add_f64 v[12:13], v[163:164], v[177:178]
	v_fma_f64 v[38:39], v[4:5], v[18:19], v[165:166]
	v_fma_f64 v[18:19], v[2:3], v[18:19], -v[20:21]
	v_fma_f64 v[8:9], v[8:9], v[22:23], v[16:17]
	v_fma_f64 v[6:7], v[6:7], v[22:23], -v[24:25]
	v_add_f64 v[14:15], v[10:11], v[14:15]
	v_add_f64 v[20:21], v[12:13], v[40:41]
	ds_load_b128 v[2:5], v1 offset:1216
	ds_load_b128 v[10:13], v1 offset:1232
	s_waitcnt vmcnt(4) lgkmcnt(1)
	v_mul_f64 v[40:41], v[2:3], v[28:29]
	v_mul_f64 v[28:29], v[4:5], v[28:29]
	v_add_f64 v[14:15], v[14:15], v[18:19]
	v_add_f64 v[16:17], v[20:21], v[38:39]
	s_waitcnt vmcnt(3) lgkmcnt(0)
	v_mul_f64 v[18:19], v[10:11], v[32:33]
	v_mul_f64 v[20:21], v[12:13], v[32:33]
	v_fma_f64 v[22:23], v[4:5], v[26:27], v[40:41]
	v_fma_f64 v[24:25], v[2:3], v[26:27], -v[28:29]
	v_add_f64 v[14:15], v[14:15], v[6:7]
	v_add_f64 v[16:17], v[16:17], v[8:9]
	ds_load_b128 v[2:5], v1 offset:1248
	ds_load_b128 v[6:9], v1 offset:1264
	v_fma_f64 v[12:13], v[12:13], v[30:31], v[18:19]
	v_fma_f64 v[10:11], v[10:11], v[30:31], -v[20:21]
	s_waitcnt vmcnt(2) lgkmcnt(1)
	v_mul_f64 v[26:27], v[2:3], v[36:37]
	v_mul_f64 v[28:29], v[4:5], v[36:37]
	s_waitcnt vmcnt(0) lgkmcnt(0)
	v_mul_f64 v[18:19], v[6:7], v[173:174]
	v_mul_f64 v[20:21], v[8:9], v[173:174]
	v_add_f64 v[14:15], v[14:15], v[24:25]
	v_add_f64 v[16:17], v[16:17], v[22:23]
	v_fma_f64 v[4:5], v[4:5], v[34:35], v[26:27]
	v_fma_f64 v[1:2], v[2:3], v[34:35], -v[28:29]
	v_fma_f64 v[8:9], v[8:9], v[171:172], v[18:19]
	v_fma_f64 v[6:7], v[6:7], v[171:172], -v[20:21]
	v_add_f64 v[10:11], v[14:15], v[10:11]
	v_add_f64 v[12:13], v[16:17], v[12:13]
	s_delay_alu instid0(VALU_DEP_2) | instskip(NEXT) | instid1(VALU_DEP_2)
	v_add_f64 v[1:2], v[10:11], v[1:2]
	v_add_f64 v[3:4], v[12:13], v[4:5]
	s_delay_alu instid0(VALU_DEP_2) | instskip(NEXT) | instid1(VALU_DEP_2)
	;; [unrolled: 3-line block ×3, first 2 shown]
	v_add_f64 v[1:2], v[167:168], -v[1:2]
	v_add_f64 v[3:4], v[169:170], -v[3:4]
	scratch_store_b128 off, v[1:4], off offset:464
	v_cmpx_lt_u32_e32 28, v122
	s_cbranch_execz .LBB39_197
; %bb.196:
	scratch_load_b128 v[1:4], v127, off
	v_mov_b32_e32 v5, 0
	s_delay_alu instid0(VALU_DEP_1)
	v_mov_b32_e32 v6, v5
	v_mov_b32_e32 v7, v5
	;; [unrolled: 1-line block ×3, first 2 shown]
	scratch_store_b128 off, v[5:8], off offset:448
	s_waitcnt vmcnt(0)
	ds_store_b128 v162, v[1:4]
.LBB39_197:
	s_or_b32 exec_lo, exec_lo, s2
	s_waitcnt lgkmcnt(0)
	s_waitcnt_vscnt null, 0x0
	s_barrier
	buffer_gl0_inv
	s_clause 0x7
	scratch_load_b128 v[2:5], off, off offset:464
	scratch_load_b128 v[6:9], off, off offset:480
	;; [unrolled: 1-line block ×8, first 2 shown]
	v_mov_b32_e32 v1, 0
	s_mov_b32 s2, exec_lo
	ds_load_b128 v[34:37], v1 offset:1104
	s_clause 0x1
	scratch_load_b128 v[38:41], off, off offset:592
	scratch_load_b128 v[163:166], off, off offset:448
	ds_load_b128 v[167:170], v1 offset:1120
	scratch_load_b128 v[171:174], off, off offset:608
	s_waitcnt vmcnt(10) lgkmcnt(1)
	v_mul_f64 v[175:176], v[36:37], v[4:5]
	v_mul_f64 v[4:5], v[34:35], v[4:5]
	s_delay_alu instid0(VALU_DEP_2) | instskip(NEXT) | instid1(VALU_DEP_2)
	v_fma_f64 v[181:182], v[34:35], v[2:3], -v[175:176]
	v_fma_f64 v[183:184], v[36:37], v[2:3], v[4:5]
	scratch_load_b128 v[34:37], off, off offset:624
	ds_load_b128 v[2:5], v1 offset:1136
	s_waitcnt vmcnt(10) lgkmcnt(1)
	v_mul_f64 v[179:180], v[167:168], v[8:9]
	v_mul_f64 v[8:9], v[169:170], v[8:9]
	ds_load_b128 v[175:178], v1 offset:1152
	s_waitcnt vmcnt(9) lgkmcnt(1)
	v_mul_f64 v[185:186], v[2:3], v[12:13]
	v_mul_f64 v[12:13], v[4:5], v[12:13]
	v_fma_f64 v[169:170], v[169:170], v[6:7], v[179:180]
	v_fma_f64 v[6:7], v[167:168], v[6:7], -v[8:9]
	v_add_f64 v[8:9], v[181:182], 0
	v_add_f64 v[167:168], v[183:184], 0
	s_waitcnt vmcnt(8) lgkmcnt(0)
	v_mul_f64 v[179:180], v[175:176], v[16:17]
	v_mul_f64 v[16:17], v[177:178], v[16:17]
	v_fma_f64 v[181:182], v[4:5], v[10:11], v[185:186]
	v_fma_f64 v[10:11], v[2:3], v[10:11], -v[12:13]
	v_add_f64 v[12:13], v[8:9], v[6:7]
	v_add_f64 v[167:168], v[167:168], v[169:170]
	ds_load_b128 v[2:5], v1 offset:1168
	ds_load_b128 v[6:9], v1 offset:1184
	v_fma_f64 v[177:178], v[177:178], v[14:15], v[179:180]
	v_fma_f64 v[14:15], v[175:176], v[14:15], -v[16:17]
	s_waitcnt vmcnt(7) lgkmcnt(1)
	v_mul_f64 v[169:170], v[2:3], v[20:21]
	v_mul_f64 v[20:21], v[4:5], v[20:21]
	s_waitcnt vmcnt(6) lgkmcnt(0)
	v_mul_f64 v[16:17], v[6:7], v[24:25]
	v_mul_f64 v[24:25], v[8:9], v[24:25]
	v_add_f64 v[10:11], v[12:13], v[10:11]
	v_add_f64 v[12:13], v[167:168], v[181:182]
	v_fma_f64 v[167:168], v[4:5], v[18:19], v[169:170]
	v_fma_f64 v[18:19], v[2:3], v[18:19], -v[20:21]
	v_fma_f64 v[8:9], v[8:9], v[22:23], v[16:17]
	v_fma_f64 v[6:7], v[6:7], v[22:23], -v[24:25]
	v_add_f64 v[14:15], v[10:11], v[14:15]
	v_add_f64 v[20:21], v[12:13], v[177:178]
	ds_load_b128 v[2:5], v1 offset:1200
	ds_load_b128 v[10:13], v1 offset:1216
	s_waitcnt vmcnt(5) lgkmcnt(1)
	v_mul_f64 v[169:170], v[2:3], v[28:29]
	v_mul_f64 v[28:29], v[4:5], v[28:29]
	v_add_f64 v[14:15], v[14:15], v[18:19]
	v_add_f64 v[16:17], v[20:21], v[167:168]
	s_waitcnt vmcnt(4) lgkmcnt(0)
	v_mul_f64 v[18:19], v[10:11], v[32:33]
	v_mul_f64 v[20:21], v[12:13], v[32:33]
	v_fma_f64 v[22:23], v[4:5], v[26:27], v[169:170]
	v_fma_f64 v[24:25], v[2:3], v[26:27], -v[28:29]
	v_add_f64 v[14:15], v[14:15], v[6:7]
	v_add_f64 v[16:17], v[16:17], v[8:9]
	ds_load_b128 v[2:5], v1 offset:1232
	ds_load_b128 v[6:9], v1 offset:1248
	v_fma_f64 v[12:13], v[12:13], v[30:31], v[18:19]
	v_fma_f64 v[10:11], v[10:11], v[30:31], -v[20:21]
	s_waitcnt vmcnt(3) lgkmcnt(1)
	v_mul_f64 v[26:27], v[2:3], v[40:41]
	v_mul_f64 v[28:29], v[4:5], v[40:41]
	s_waitcnt vmcnt(1) lgkmcnt(0)
	v_mul_f64 v[18:19], v[6:7], v[173:174]
	v_mul_f64 v[20:21], v[8:9], v[173:174]
	v_add_f64 v[14:15], v[14:15], v[24:25]
	v_add_f64 v[16:17], v[16:17], v[22:23]
	v_fma_f64 v[22:23], v[4:5], v[38:39], v[26:27]
	v_fma_f64 v[24:25], v[2:3], v[38:39], -v[28:29]
	ds_load_b128 v[2:5], v1 offset:1264
	v_fma_f64 v[8:9], v[8:9], v[171:172], v[18:19]
	v_fma_f64 v[6:7], v[6:7], v[171:172], -v[20:21]
	v_add_f64 v[10:11], v[14:15], v[10:11]
	v_add_f64 v[12:13], v[16:17], v[12:13]
	s_waitcnt vmcnt(0) lgkmcnt(0)
	v_mul_f64 v[14:15], v[2:3], v[36:37]
	v_mul_f64 v[16:17], v[4:5], v[36:37]
	s_delay_alu instid0(VALU_DEP_4) | instskip(NEXT) | instid1(VALU_DEP_4)
	v_add_f64 v[10:11], v[10:11], v[24:25]
	v_add_f64 v[12:13], v[12:13], v[22:23]
	s_delay_alu instid0(VALU_DEP_4) | instskip(NEXT) | instid1(VALU_DEP_4)
	v_fma_f64 v[4:5], v[4:5], v[34:35], v[14:15]
	v_fma_f64 v[2:3], v[2:3], v[34:35], -v[16:17]
	s_delay_alu instid0(VALU_DEP_4) | instskip(NEXT) | instid1(VALU_DEP_4)
	v_add_f64 v[6:7], v[10:11], v[6:7]
	v_add_f64 v[8:9], v[12:13], v[8:9]
	s_delay_alu instid0(VALU_DEP_2) | instskip(NEXT) | instid1(VALU_DEP_2)
	v_add_f64 v[2:3], v[6:7], v[2:3]
	v_add_f64 v[4:5], v[8:9], v[4:5]
	s_delay_alu instid0(VALU_DEP_2) | instskip(NEXT) | instid1(VALU_DEP_2)
	v_add_f64 v[2:3], v[163:164], -v[2:3]
	v_add_f64 v[4:5], v[165:166], -v[4:5]
	scratch_store_b128 off, v[2:5], off offset:448
	v_cmpx_lt_u32_e32 27, v122
	s_cbranch_execz .LBB39_199
; %bb.198:
	scratch_load_b128 v[5:8], v133, off
	v_mov_b32_e32 v2, v1
	v_mov_b32_e32 v3, v1
	;; [unrolled: 1-line block ×3, first 2 shown]
	scratch_store_b128 off, v[1:4], off offset:432
	s_waitcnt vmcnt(0)
	ds_store_b128 v162, v[5:8]
.LBB39_199:
	s_or_b32 exec_lo, exec_lo, s2
	s_waitcnt lgkmcnt(0)
	s_waitcnt_vscnt null, 0x0
	s_barrier
	buffer_gl0_inv
	s_clause 0x8
	scratch_load_b128 v[2:5], off, off offset:448
	scratch_load_b128 v[6:9], off, off offset:464
	;; [unrolled: 1-line block ×9, first 2 shown]
	ds_load_b128 v[38:41], v1 offset:1088
	ds_load_b128 v[163:166], v1 offset:1104
	s_clause 0x1
	scratch_load_b128 v[167:170], off, off offset:432
	scratch_load_b128 v[171:174], off, off offset:592
	s_mov_b32 s2, exec_lo
	s_waitcnt vmcnt(10) lgkmcnt(1)
	v_mul_f64 v[175:176], v[40:41], v[4:5]
	v_mul_f64 v[4:5], v[38:39], v[4:5]
	s_waitcnt vmcnt(9) lgkmcnt(0)
	v_mul_f64 v[179:180], v[163:164], v[8:9]
	v_mul_f64 v[8:9], v[165:166], v[8:9]
	s_delay_alu instid0(VALU_DEP_4) | instskip(NEXT) | instid1(VALU_DEP_4)
	v_fma_f64 v[181:182], v[38:39], v[2:3], -v[175:176]
	v_fma_f64 v[183:184], v[40:41], v[2:3], v[4:5]
	ds_load_b128 v[2:5], v1 offset:1120
	ds_load_b128 v[175:178], v1 offset:1136
	scratch_load_b128 v[38:41], off, off offset:608
	v_fma_f64 v[165:166], v[165:166], v[6:7], v[179:180]
	v_fma_f64 v[163:164], v[163:164], v[6:7], -v[8:9]
	scratch_load_b128 v[6:9], off, off offset:624
	s_waitcnt vmcnt(10) lgkmcnt(1)
	v_mul_f64 v[185:186], v[2:3], v[12:13]
	v_mul_f64 v[12:13], v[4:5], v[12:13]
	v_add_f64 v[179:180], v[181:182], 0
	v_add_f64 v[181:182], v[183:184], 0
	s_waitcnt vmcnt(9) lgkmcnt(0)
	v_mul_f64 v[183:184], v[175:176], v[16:17]
	v_mul_f64 v[16:17], v[177:178], v[16:17]
	v_fma_f64 v[185:186], v[4:5], v[10:11], v[185:186]
	v_fma_f64 v[187:188], v[2:3], v[10:11], -v[12:13]
	ds_load_b128 v[2:5], v1 offset:1152
	ds_load_b128 v[10:13], v1 offset:1168
	v_add_f64 v[163:164], v[179:180], v[163:164]
	v_add_f64 v[165:166], v[181:182], v[165:166]
	v_fma_f64 v[177:178], v[177:178], v[14:15], v[183:184]
	v_fma_f64 v[14:15], v[175:176], v[14:15], -v[16:17]
	s_waitcnt vmcnt(8) lgkmcnt(1)
	v_mul_f64 v[179:180], v[2:3], v[20:21]
	v_mul_f64 v[20:21], v[4:5], v[20:21]
	v_add_f64 v[16:17], v[163:164], v[187:188]
	v_add_f64 v[163:164], v[165:166], v[185:186]
	s_waitcnt vmcnt(7) lgkmcnt(0)
	v_mul_f64 v[165:166], v[10:11], v[24:25]
	v_mul_f64 v[24:25], v[12:13], v[24:25]
	v_fma_f64 v[175:176], v[4:5], v[18:19], v[179:180]
	v_fma_f64 v[18:19], v[2:3], v[18:19], -v[20:21]
	v_add_f64 v[20:21], v[16:17], v[14:15]
	v_add_f64 v[163:164], v[163:164], v[177:178]
	ds_load_b128 v[2:5], v1 offset:1184
	ds_load_b128 v[14:17], v1 offset:1200
	v_fma_f64 v[12:13], v[12:13], v[22:23], v[165:166]
	v_fma_f64 v[10:11], v[10:11], v[22:23], -v[24:25]
	s_waitcnt vmcnt(6) lgkmcnt(1)
	v_mul_f64 v[177:178], v[2:3], v[28:29]
	v_mul_f64 v[28:29], v[4:5], v[28:29]
	s_waitcnt vmcnt(5) lgkmcnt(0)
	v_mul_f64 v[22:23], v[14:15], v[32:33]
	v_mul_f64 v[24:25], v[16:17], v[32:33]
	v_add_f64 v[18:19], v[20:21], v[18:19]
	v_add_f64 v[20:21], v[163:164], v[175:176]
	v_fma_f64 v[32:33], v[4:5], v[26:27], v[177:178]
	v_fma_f64 v[26:27], v[2:3], v[26:27], -v[28:29]
	v_fma_f64 v[16:17], v[16:17], v[30:31], v[22:23]
	v_fma_f64 v[14:15], v[14:15], v[30:31], -v[24:25]
	v_add_f64 v[18:19], v[18:19], v[10:11]
	v_add_f64 v[20:21], v[20:21], v[12:13]
	ds_load_b128 v[2:5], v1 offset:1216
	ds_load_b128 v[10:13], v1 offset:1232
	s_waitcnt vmcnt(4) lgkmcnt(1)
	v_mul_f64 v[28:29], v[2:3], v[36:37]
	v_mul_f64 v[36:37], v[4:5], v[36:37]
	s_waitcnt vmcnt(2) lgkmcnt(0)
	v_mul_f64 v[22:23], v[10:11], v[173:174]
	v_mul_f64 v[24:25], v[12:13], v[173:174]
	v_add_f64 v[18:19], v[18:19], v[26:27]
	v_add_f64 v[20:21], v[20:21], v[32:33]
	v_fma_f64 v[26:27], v[4:5], v[34:35], v[28:29]
	v_fma_f64 v[28:29], v[2:3], v[34:35], -v[36:37]
	v_fma_f64 v[12:13], v[12:13], v[171:172], v[22:23]
	v_fma_f64 v[10:11], v[10:11], v[171:172], -v[24:25]
	v_add_f64 v[18:19], v[18:19], v[14:15]
	v_add_f64 v[20:21], v[20:21], v[16:17]
	ds_load_b128 v[2:5], v1 offset:1248
	ds_load_b128 v[14:17], v1 offset:1264
	s_waitcnt vmcnt(1) lgkmcnt(1)
	v_mul_f64 v[30:31], v[2:3], v[40:41]
	v_mul_f64 v[32:33], v[4:5], v[40:41]
	s_waitcnt vmcnt(0) lgkmcnt(0)
	v_mul_f64 v[22:23], v[14:15], v[8:9]
	v_mul_f64 v[8:9], v[16:17], v[8:9]
	v_add_f64 v[18:19], v[18:19], v[28:29]
	v_add_f64 v[20:21], v[20:21], v[26:27]
	v_fma_f64 v[4:5], v[4:5], v[38:39], v[30:31]
	v_fma_f64 v[1:2], v[2:3], v[38:39], -v[32:33]
	v_fma_f64 v[16:17], v[16:17], v[6:7], v[22:23]
	v_fma_f64 v[6:7], v[14:15], v[6:7], -v[8:9]
	v_add_f64 v[10:11], v[18:19], v[10:11]
	v_add_f64 v[12:13], v[20:21], v[12:13]
	s_delay_alu instid0(VALU_DEP_2) | instskip(NEXT) | instid1(VALU_DEP_2)
	v_add_f64 v[1:2], v[10:11], v[1:2]
	v_add_f64 v[3:4], v[12:13], v[4:5]
	s_delay_alu instid0(VALU_DEP_2) | instskip(NEXT) | instid1(VALU_DEP_2)
	v_add_f64 v[1:2], v[1:2], v[6:7]
	v_add_f64 v[3:4], v[3:4], v[16:17]
	s_delay_alu instid0(VALU_DEP_2) | instskip(NEXT) | instid1(VALU_DEP_2)
	v_add_f64 v[1:2], v[167:168], -v[1:2]
	v_add_f64 v[3:4], v[169:170], -v[3:4]
	scratch_store_b128 off, v[1:4], off offset:432
	v_cmpx_lt_u32_e32 26, v122
	s_cbranch_execz .LBB39_201
; %bb.200:
	scratch_load_b128 v[1:4], v132, off
	v_mov_b32_e32 v5, 0
	s_delay_alu instid0(VALU_DEP_1)
	v_mov_b32_e32 v6, v5
	v_mov_b32_e32 v7, v5
	;; [unrolled: 1-line block ×3, first 2 shown]
	scratch_store_b128 off, v[5:8], off offset:416
	s_waitcnt vmcnt(0)
	ds_store_b128 v162, v[1:4]
.LBB39_201:
	s_or_b32 exec_lo, exec_lo, s2
	s_waitcnt lgkmcnt(0)
	s_waitcnt_vscnt null, 0x0
	s_barrier
	buffer_gl0_inv
	s_clause 0x7
	scratch_load_b128 v[2:5], off, off offset:432
	scratch_load_b128 v[6:9], off, off offset:448
	;; [unrolled: 1-line block ×8, first 2 shown]
	v_mov_b32_e32 v1, 0
	s_clause 0x1
	scratch_load_b128 v[38:41], off, off offset:560
	scratch_load_b128 v[167:170], off, off offset:576
	s_mov_b32 s2, exec_lo
	ds_load_b128 v[34:37], v1 offset:1072
	ds_load_b128 v[163:166], v1 offset:1088
	s_waitcnt vmcnt(9) lgkmcnt(1)
	v_mul_f64 v[171:172], v[36:37], v[4:5]
	v_mul_f64 v[4:5], v[34:35], v[4:5]
	s_waitcnt vmcnt(8) lgkmcnt(0)
	v_mul_f64 v[173:174], v[163:164], v[8:9]
	v_mul_f64 v[8:9], v[165:166], v[8:9]
	s_delay_alu instid0(VALU_DEP_4) | instskip(NEXT) | instid1(VALU_DEP_4)
	v_fma_f64 v[171:172], v[34:35], v[2:3], -v[171:172]
	v_fma_f64 v[175:176], v[36:37], v[2:3], v[4:5]
	ds_load_b128 v[2:5], v1 offset:1104
	scratch_load_b128 v[34:37], off, off offset:592
	v_fma_f64 v[173:174], v[165:166], v[6:7], v[173:174]
	v_fma_f64 v[179:180], v[163:164], v[6:7], -v[8:9]
	ds_load_b128 v[6:9], v1 offset:1120
	scratch_load_b128 v[163:166], off, off offset:608
	s_waitcnt vmcnt(9) lgkmcnt(1)
	v_mul_f64 v[177:178], v[2:3], v[12:13]
	v_mul_f64 v[12:13], v[4:5], v[12:13]
	s_waitcnt vmcnt(8) lgkmcnt(0)
	v_mul_f64 v[181:182], v[6:7], v[16:17]
	v_mul_f64 v[16:17], v[8:9], v[16:17]
	v_add_f64 v[171:172], v[171:172], 0
	v_add_f64 v[175:176], v[175:176], 0
	v_fma_f64 v[177:178], v[4:5], v[10:11], v[177:178]
	v_fma_f64 v[183:184], v[2:3], v[10:11], -v[12:13]
	scratch_load_b128 v[10:13], off, off offset:624
	ds_load_b128 v[2:5], v1 offset:1136
	v_add_f64 v[171:172], v[171:172], v[179:180]
	v_add_f64 v[173:174], v[175:176], v[173:174]
	v_fma_f64 v[179:180], v[8:9], v[14:15], v[181:182]
	v_fma_f64 v[14:15], v[6:7], v[14:15], -v[16:17]
	ds_load_b128 v[6:9], v1 offset:1152
	s_waitcnt vmcnt(8) lgkmcnt(1)
	v_mul_f64 v[175:176], v[2:3], v[20:21]
	v_mul_f64 v[20:21], v[4:5], v[20:21]
	v_add_f64 v[16:17], v[171:172], v[183:184]
	v_add_f64 v[171:172], v[173:174], v[177:178]
	s_waitcnt vmcnt(7) lgkmcnt(0)
	v_mul_f64 v[173:174], v[6:7], v[24:25]
	v_mul_f64 v[24:25], v[8:9], v[24:25]
	v_fma_f64 v[175:176], v[4:5], v[18:19], v[175:176]
	v_fma_f64 v[18:19], v[2:3], v[18:19], -v[20:21]
	ds_load_b128 v[2:5], v1 offset:1168
	v_add_f64 v[14:15], v[16:17], v[14:15]
	v_add_f64 v[16:17], v[171:172], v[179:180]
	v_fma_f64 v[171:172], v[8:9], v[22:23], v[173:174]
	v_fma_f64 v[22:23], v[6:7], v[22:23], -v[24:25]
	ds_load_b128 v[6:9], v1 offset:1184
	s_waitcnt vmcnt(6) lgkmcnt(1)
	v_mul_f64 v[20:21], v[2:3], v[28:29]
	v_mul_f64 v[28:29], v[4:5], v[28:29]
	s_waitcnt vmcnt(5) lgkmcnt(0)
	v_mul_f64 v[173:174], v[6:7], v[32:33]
	v_mul_f64 v[32:33], v[8:9], v[32:33]
	v_add_f64 v[18:19], v[14:15], v[18:19]
	v_add_f64 v[24:25], v[16:17], v[175:176]
	scratch_load_b128 v[14:17], off, off offset:416
	v_fma_f64 v[20:21], v[4:5], v[26:27], v[20:21]
	v_fma_f64 v[26:27], v[2:3], v[26:27], -v[28:29]
	ds_load_b128 v[2:5], v1 offset:1200
	s_waitcnt vmcnt(5) lgkmcnt(0)
	v_mul_f64 v[28:29], v[4:5], v[40:41]
	v_add_f64 v[18:19], v[18:19], v[22:23]
	v_add_f64 v[22:23], v[24:25], v[171:172]
	v_mul_f64 v[24:25], v[2:3], v[40:41]
	v_fma_f64 v[40:41], v[8:9], v[30:31], v[173:174]
	v_fma_f64 v[30:31], v[6:7], v[30:31], -v[32:33]
	ds_load_b128 v[6:9], v1 offset:1216
	v_fma_f64 v[28:29], v[2:3], v[38:39], -v[28:29]
	v_add_f64 v[18:19], v[18:19], v[26:27]
	v_add_f64 v[20:21], v[22:23], v[20:21]
	v_fma_f64 v[24:25], v[4:5], v[38:39], v[24:25]
	ds_load_b128 v[2:5], v1 offset:1232
	s_waitcnt vmcnt(4) lgkmcnt(1)
	v_mul_f64 v[22:23], v[6:7], v[169:170]
	v_mul_f64 v[26:27], v[8:9], v[169:170]
	v_add_f64 v[18:19], v[18:19], v[30:31]
	v_add_f64 v[20:21], v[20:21], v[40:41]
	s_delay_alu instid0(VALU_DEP_4) | instskip(NEXT) | instid1(VALU_DEP_4)
	v_fma_f64 v[22:23], v[8:9], v[167:168], v[22:23]
	v_fma_f64 v[26:27], v[6:7], v[167:168], -v[26:27]
	ds_load_b128 v[6:9], v1 offset:1248
	s_waitcnt vmcnt(3) lgkmcnt(1)
	v_mul_f64 v[30:31], v[2:3], v[36:37]
	v_mul_f64 v[32:33], v[4:5], v[36:37]
	v_add_f64 v[18:19], v[18:19], v[28:29]
	v_add_f64 v[20:21], v[20:21], v[24:25]
	s_delay_alu instid0(VALU_DEP_4) | instskip(NEXT) | instid1(VALU_DEP_4)
	v_fma_f64 v[30:31], v[4:5], v[34:35], v[30:31]
	v_fma_f64 v[32:33], v[2:3], v[34:35], -v[32:33]
	ds_load_b128 v[2:5], v1 offset:1264
	s_waitcnt vmcnt(2) lgkmcnt(1)
	v_mul_f64 v[24:25], v[6:7], v[165:166]
	v_mul_f64 v[28:29], v[8:9], v[165:166]
	v_add_f64 v[18:19], v[18:19], v[26:27]
	v_add_f64 v[20:21], v[20:21], v[22:23]
	s_waitcnt vmcnt(1) lgkmcnt(0)
	v_mul_f64 v[22:23], v[2:3], v[12:13]
	v_mul_f64 v[12:13], v[4:5], v[12:13]
	v_fma_f64 v[8:9], v[8:9], v[163:164], v[24:25]
	v_fma_f64 v[6:7], v[6:7], v[163:164], -v[28:29]
	v_add_f64 v[18:19], v[18:19], v[32:33]
	v_add_f64 v[20:21], v[20:21], v[30:31]
	v_fma_f64 v[4:5], v[4:5], v[10:11], v[22:23]
	v_fma_f64 v[2:3], v[2:3], v[10:11], -v[12:13]
	s_delay_alu instid0(VALU_DEP_4) | instskip(NEXT) | instid1(VALU_DEP_4)
	v_add_f64 v[6:7], v[18:19], v[6:7]
	v_add_f64 v[8:9], v[20:21], v[8:9]
	s_delay_alu instid0(VALU_DEP_2) | instskip(NEXT) | instid1(VALU_DEP_2)
	v_add_f64 v[2:3], v[6:7], v[2:3]
	v_add_f64 v[4:5], v[8:9], v[4:5]
	s_waitcnt vmcnt(0)
	s_delay_alu instid0(VALU_DEP_2) | instskip(NEXT) | instid1(VALU_DEP_2)
	v_add_f64 v[2:3], v[14:15], -v[2:3]
	v_add_f64 v[4:5], v[16:17], -v[4:5]
	scratch_store_b128 off, v[2:5], off offset:416
	v_cmpx_lt_u32_e32 25, v122
	s_cbranch_execz .LBB39_203
; %bb.202:
	scratch_load_b128 v[5:8], v137, off
	v_mov_b32_e32 v2, v1
	v_mov_b32_e32 v3, v1
	;; [unrolled: 1-line block ×3, first 2 shown]
	scratch_store_b128 off, v[1:4], off offset:400
	s_waitcnt vmcnt(0)
	ds_store_b128 v162, v[5:8]
.LBB39_203:
	s_or_b32 exec_lo, exec_lo, s2
	s_waitcnt lgkmcnt(0)
	s_waitcnt_vscnt null, 0x0
	s_barrier
	buffer_gl0_inv
	s_clause 0x7
	scratch_load_b128 v[2:5], off, off offset:416
	scratch_load_b128 v[6:9], off, off offset:432
	;; [unrolled: 1-line block ×8, first 2 shown]
	ds_load_b128 v[34:37], v1 offset:1056
	ds_load_b128 v[163:166], v1 offset:1072
	s_clause 0x1
	scratch_load_b128 v[38:41], off, off offset:544
	scratch_load_b128 v[167:170], off, off offset:560
	s_mov_b32 s2, exec_lo
	s_waitcnt vmcnt(9) lgkmcnt(1)
	v_mul_f64 v[171:172], v[36:37], v[4:5]
	v_mul_f64 v[4:5], v[34:35], v[4:5]
	s_waitcnt vmcnt(8) lgkmcnt(0)
	v_mul_f64 v[173:174], v[163:164], v[8:9]
	v_mul_f64 v[8:9], v[165:166], v[8:9]
	s_delay_alu instid0(VALU_DEP_4) | instskip(NEXT) | instid1(VALU_DEP_4)
	v_fma_f64 v[171:172], v[34:35], v[2:3], -v[171:172]
	v_fma_f64 v[175:176], v[36:37], v[2:3], v[4:5]
	scratch_load_b128 v[34:37], off, off offset:576
	ds_load_b128 v[2:5], v1 offset:1088
	v_fma_f64 v[173:174], v[165:166], v[6:7], v[173:174]
	v_fma_f64 v[179:180], v[163:164], v[6:7], -v[8:9]
	ds_load_b128 v[6:9], v1 offset:1104
	scratch_load_b128 v[163:166], off, off offset:592
	s_waitcnt vmcnt(9) lgkmcnt(1)
	v_mul_f64 v[177:178], v[2:3], v[12:13]
	v_mul_f64 v[12:13], v[4:5], v[12:13]
	s_waitcnt vmcnt(8) lgkmcnt(0)
	v_mul_f64 v[181:182], v[6:7], v[16:17]
	v_mul_f64 v[16:17], v[8:9], v[16:17]
	v_add_f64 v[171:172], v[171:172], 0
	v_add_f64 v[175:176], v[175:176], 0
	v_fma_f64 v[177:178], v[4:5], v[10:11], v[177:178]
	v_fma_f64 v[183:184], v[2:3], v[10:11], -v[12:13]
	scratch_load_b128 v[10:13], off, off offset:608
	ds_load_b128 v[2:5], v1 offset:1120
	v_add_f64 v[171:172], v[171:172], v[179:180]
	v_add_f64 v[173:174], v[175:176], v[173:174]
	v_fma_f64 v[179:180], v[8:9], v[14:15], v[181:182]
	v_fma_f64 v[181:182], v[6:7], v[14:15], -v[16:17]
	ds_load_b128 v[6:9], v1 offset:1136
	scratch_load_b128 v[14:17], off, off offset:624
	s_waitcnt vmcnt(9) lgkmcnt(1)
	v_mul_f64 v[175:176], v[2:3], v[20:21]
	v_mul_f64 v[20:21], v[4:5], v[20:21]
	v_add_f64 v[171:172], v[171:172], v[183:184]
	v_add_f64 v[173:174], v[173:174], v[177:178]
	s_waitcnt vmcnt(8) lgkmcnt(0)
	v_mul_f64 v[177:178], v[6:7], v[24:25]
	v_mul_f64 v[24:25], v[8:9], v[24:25]
	v_fma_f64 v[175:176], v[4:5], v[18:19], v[175:176]
	v_fma_f64 v[18:19], v[2:3], v[18:19], -v[20:21]
	ds_load_b128 v[2:5], v1 offset:1152
	v_add_f64 v[20:21], v[171:172], v[181:182]
	v_add_f64 v[171:172], v[173:174], v[179:180]
	v_fma_f64 v[177:178], v[8:9], v[22:23], v[177:178]
	v_fma_f64 v[22:23], v[6:7], v[22:23], -v[24:25]
	ds_load_b128 v[6:9], v1 offset:1168
	s_waitcnt vmcnt(7) lgkmcnt(1)
	v_mul_f64 v[173:174], v[2:3], v[28:29]
	v_mul_f64 v[28:29], v[4:5], v[28:29]
	s_waitcnt vmcnt(6) lgkmcnt(0)
	v_mul_f64 v[24:25], v[6:7], v[32:33]
	v_mul_f64 v[32:33], v[8:9], v[32:33]
	v_add_f64 v[18:19], v[20:21], v[18:19]
	v_add_f64 v[20:21], v[171:172], v[175:176]
	v_fma_f64 v[171:172], v[4:5], v[26:27], v[173:174]
	v_fma_f64 v[26:27], v[2:3], v[26:27], -v[28:29]
	ds_load_b128 v[2:5], v1 offset:1184
	v_fma_f64 v[24:25], v[8:9], v[30:31], v[24:25]
	v_fma_f64 v[30:31], v[6:7], v[30:31], -v[32:33]
	ds_load_b128 v[6:9], v1 offset:1200
	v_add_f64 v[22:23], v[18:19], v[22:23]
	v_add_f64 v[28:29], v[20:21], v[177:178]
	scratch_load_b128 v[18:21], off, off offset:400
	s_waitcnt vmcnt(6) lgkmcnt(1)
	v_mul_f64 v[173:174], v[2:3], v[40:41]
	v_mul_f64 v[40:41], v[4:5], v[40:41]
	s_waitcnt vmcnt(5) lgkmcnt(0)
	v_mul_f64 v[32:33], v[8:9], v[169:170]
	v_add_f64 v[22:23], v[22:23], v[26:27]
	v_add_f64 v[26:27], v[28:29], v[171:172]
	v_mul_f64 v[28:29], v[6:7], v[169:170]
	v_fma_f64 v[169:170], v[4:5], v[38:39], v[173:174]
	v_fma_f64 v[38:39], v[2:3], v[38:39], -v[40:41]
	ds_load_b128 v[2:5], v1 offset:1216
	v_fma_f64 v[32:33], v[6:7], v[167:168], -v[32:33]
	v_add_f64 v[22:23], v[22:23], v[30:31]
	v_add_f64 v[24:25], v[26:27], v[24:25]
	v_fma_f64 v[28:29], v[8:9], v[167:168], v[28:29]
	ds_load_b128 v[6:9], v1 offset:1232
	s_waitcnt vmcnt(4) lgkmcnt(1)
	v_mul_f64 v[26:27], v[2:3], v[36:37]
	v_mul_f64 v[30:31], v[4:5], v[36:37]
	s_waitcnt vmcnt(3) lgkmcnt(0)
	v_mul_f64 v[36:37], v[6:7], v[165:166]
	v_add_f64 v[22:23], v[22:23], v[38:39]
	v_add_f64 v[24:25], v[24:25], v[169:170]
	v_mul_f64 v[38:39], v[8:9], v[165:166]
	v_fma_f64 v[26:27], v[4:5], v[34:35], v[26:27]
	v_fma_f64 v[30:31], v[2:3], v[34:35], -v[30:31]
	ds_load_b128 v[2:5], v1 offset:1248
	v_add_f64 v[22:23], v[22:23], v[32:33]
	v_add_f64 v[24:25], v[24:25], v[28:29]
	v_fma_f64 v[32:33], v[8:9], v[163:164], v[36:37]
	v_fma_f64 v[34:35], v[6:7], v[163:164], -v[38:39]
	ds_load_b128 v[6:9], v1 offset:1264
	s_waitcnt vmcnt(2) lgkmcnt(1)
	v_mul_f64 v[28:29], v[2:3], v[12:13]
	v_mul_f64 v[12:13], v[4:5], v[12:13]
	v_add_f64 v[22:23], v[22:23], v[30:31]
	v_add_f64 v[24:25], v[24:25], v[26:27]
	s_waitcnt vmcnt(1) lgkmcnt(0)
	v_mul_f64 v[26:27], v[6:7], v[16:17]
	v_mul_f64 v[16:17], v[8:9], v[16:17]
	v_fma_f64 v[4:5], v[4:5], v[10:11], v[28:29]
	v_fma_f64 v[1:2], v[2:3], v[10:11], -v[12:13]
	v_add_f64 v[10:11], v[22:23], v[34:35]
	v_add_f64 v[12:13], v[24:25], v[32:33]
	v_fma_f64 v[8:9], v[8:9], v[14:15], v[26:27]
	v_fma_f64 v[6:7], v[6:7], v[14:15], -v[16:17]
	s_delay_alu instid0(VALU_DEP_4) | instskip(NEXT) | instid1(VALU_DEP_4)
	v_add_f64 v[1:2], v[10:11], v[1:2]
	v_add_f64 v[3:4], v[12:13], v[4:5]
	s_delay_alu instid0(VALU_DEP_2) | instskip(NEXT) | instid1(VALU_DEP_2)
	v_add_f64 v[1:2], v[1:2], v[6:7]
	v_add_f64 v[3:4], v[3:4], v[8:9]
	s_waitcnt vmcnt(0)
	s_delay_alu instid0(VALU_DEP_2) | instskip(NEXT) | instid1(VALU_DEP_2)
	v_add_f64 v[1:2], v[18:19], -v[1:2]
	v_add_f64 v[3:4], v[20:21], -v[3:4]
	scratch_store_b128 off, v[1:4], off offset:400
	v_cmpx_lt_u32_e32 24, v122
	s_cbranch_execz .LBB39_205
; %bb.204:
	scratch_load_b128 v[1:4], v138, off
	v_mov_b32_e32 v5, 0
	s_delay_alu instid0(VALU_DEP_1)
	v_mov_b32_e32 v6, v5
	v_mov_b32_e32 v7, v5
	;; [unrolled: 1-line block ×3, first 2 shown]
	scratch_store_b128 off, v[5:8], off offset:384
	s_waitcnt vmcnt(0)
	ds_store_b128 v162, v[1:4]
.LBB39_205:
	s_or_b32 exec_lo, exec_lo, s2
	s_waitcnt lgkmcnt(0)
	s_waitcnt_vscnt null, 0x0
	s_barrier
	buffer_gl0_inv
	s_clause 0x7
	scratch_load_b128 v[2:5], off, off offset:400
	scratch_load_b128 v[6:9], off, off offset:416
	;; [unrolled: 1-line block ×8, first 2 shown]
	v_mov_b32_e32 v1, 0
	s_clause 0x1
	scratch_load_b128 v[38:41], off, off offset:528
	scratch_load_b128 v[167:170], off, off offset:544
	s_mov_b32 s2, exec_lo
	ds_load_b128 v[34:37], v1 offset:1040
	ds_load_b128 v[163:166], v1 offset:1056
	s_waitcnt vmcnt(9) lgkmcnt(1)
	v_mul_f64 v[171:172], v[36:37], v[4:5]
	v_mul_f64 v[4:5], v[34:35], v[4:5]
	s_waitcnt vmcnt(8) lgkmcnt(0)
	v_mul_f64 v[173:174], v[163:164], v[8:9]
	v_mul_f64 v[8:9], v[165:166], v[8:9]
	s_delay_alu instid0(VALU_DEP_4) | instskip(NEXT) | instid1(VALU_DEP_4)
	v_fma_f64 v[171:172], v[34:35], v[2:3], -v[171:172]
	v_fma_f64 v[175:176], v[36:37], v[2:3], v[4:5]
	ds_load_b128 v[2:5], v1 offset:1072
	scratch_load_b128 v[34:37], off, off offset:560
	v_fma_f64 v[173:174], v[165:166], v[6:7], v[173:174]
	v_fma_f64 v[179:180], v[163:164], v[6:7], -v[8:9]
	ds_load_b128 v[6:9], v1 offset:1088
	scratch_load_b128 v[163:166], off, off offset:576
	s_waitcnt vmcnt(9) lgkmcnt(1)
	v_mul_f64 v[177:178], v[2:3], v[12:13]
	v_mul_f64 v[12:13], v[4:5], v[12:13]
	s_waitcnt vmcnt(8) lgkmcnt(0)
	v_mul_f64 v[181:182], v[6:7], v[16:17]
	v_mul_f64 v[16:17], v[8:9], v[16:17]
	v_add_f64 v[171:172], v[171:172], 0
	v_add_f64 v[175:176], v[175:176], 0
	v_fma_f64 v[177:178], v[4:5], v[10:11], v[177:178]
	v_fma_f64 v[183:184], v[2:3], v[10:11], -v[12:13]
	scratch_load_b128 v[10:13], off, off offset:592
	ds_load_b128 v[2:5], v1 offset:1104
	v_add_f64 v[171:172], v[171:172], v[179:180]
	v_add_f64 v[173:174], v[175:176], v[173:174]
	v_fma_f64 v[179:180], v[8:9], v[14:15], v[181:182]
	v_fma_f64 v[181:182], v[6:7], v[14:15], -v[16:17]
	ds_load_b128 v[6:9], v1 offset:1120
	scratch_load_b128 v[14:17], off, off offset:608
	s_waitcnt vmcnt(9) lgkmcnt(1)
	v_mul_f64 v[175:176], v[2:3], v[20:21]
	v_mul_f64 v[20:21], v[4:5], v[20:21]
	v_add_f64 v[171:172], v[171:172], v[183:184]
	v_add_f64 v[173:174], v[173:174], v[177:178]
	s_waitcnt vmcnt(8) lgkmcnt(0)
	v_mul_f64 v[177:178], v[6:7], v[24:25]
	v_mul_f64 v[24:25], v[8:9], v[24:25]
	v_fma_f64 v[175:176], v[4:5], v[18:19], v[175:176]
	v_fma_f64 v[183:184], v[2:3], v[18:19], -v[20:21]
	scratch_load_b128 v[18:21], off, off offset:624
	ds_load_b128 v[2:5], v1 offset:1136
	v_add_f64 v[171:172], v[171:172], v[181:182]
	v_add_f64 v[173:174], v[173:174], v[179:180]
	v_fma_f64 v[177:178], v[8:9], v[22:23], v[177:178]
	v_fma_f64 v[22:23], v[6:7], v[22:23], -v[24:25]
	ds_load_b128 v[6:9], v1 offset:1152
	s_waitcnt vmcnt(8) lgkmcnt(1)
	v_mul_f64 v[179:180], v[2:3], v[28:29]
	v_mul_f64 v[28:29], v[4:5], v[28:29]
	v_add_f64 v[24:25], v[171:172], v[183:184]
	v_add_f64 v[171:172], v[173:174], v[175:176]
	s_waitcnt vmcnt(7) lgkmcnt(0)
	v_mul_f64 v[173:174], v[6:7], v[32:33]
	v_mul_f64 v[32:33], v[8:9], v[32:33]
	v_fma_f64 v[175:176], v[4:5], v[26:27], v[179:180]
	v_fma_f64 v[26:27], v[2:3], v[26:27], -v[28:29]
	ds_load_b128 v[2:5], v1 offset:1168
	v_add_f64 v[22:23], v[24:25], v[22:23]
	v_add_f64 v[24:25], v[171:172], v[177:178]
	v_fma_f64 v[171:172], v[8:9], v[30:31], v[173:174]
	v_fma_f64 v[30:31], v[6:7], v[30:31], -v[32:33]
	ds_load_b128 v[6:9], v1 offset:1184
	s_waitcnt vmcnt(5) lgkmcnt(0)
	v_mul_f64 v[173:174], v[6:7], v[169:170]
	v_mul_f64 v[169:170], v[8:9], v[169:170]
	v_add_f64 v[26:27], v[22:23], v[26:27]
	v_add_f64 v[32:33], v[24:25], v[175:176]
	scratch_load_b128 v[22:25], off, off offset:384
	v_mul_f64 v[28:29], v[2:3], v[40:41]
	v_mul_f64 v[40:41], v[4:5], v[40:41]
	v_add_f64 v[26:27], v[26:27], v[30:31]
	v_add_f64 v[30:31], v[32:33], v[171:172]
	s_delay_alu instid0(VALU_DEP_4) | instskip(NEXT) | instid1(VALU_DEP_4)
	v_fma_f64 v[28:29], v[4:5], v[38:39], v[28:29]
	v_fma_f64 v[38:39], v[2:3], v[38:39], -v[40:41]
	ds_load_b128 v[2:5], v1 offset:1200
	v_fma_f64 v[40:41], v[8:9], v[167:168], v[173:174]
	v_fma_f64 v[167:168], v[6:7], v[167:168], -v[169:170]
	ds_load_b128 v[6:9], v1 offset:1216
	s_waitcnt vmcnt(5) lgkmcnt(1)
	v_mul_f64 v[32:33], v[2:3], v[36:37]
	v_mul_f64 v[36:37], v[4:5], v[36:37]
	v_add_f64 v[28:29], v[30:31], v[28:29]
	v_add_f64 v[26:27], v[26:27], v[38:39]
	s_waitcnt vmcnt(4) lgkmcnt(0)
	v_mul_f64 v[30:31], v[6:7], v[165:166]
	v_mul_f64 v[38:39], v[8:9], v[165:166]
	v_fma_f64 v[32:33], v[4:5], v[34:35], v[32:33]
	v_fma_f64 v[34:35], v[2:3], v[34:35], -v[36:37]
	ds_load_b128 v[2:5], v1 offset:1232
	v_add_f64 v[28:29], v[28:29], v[40:41]
	v_add_f64 v[26:27], v[26:27], v[167:168]
	v_fma_f64 v[30:31], v[8:9], v[163:164], v[30:31]
	v_fma_f64 v[38:39], v[6:7], v[163:164], -v[38:39]
	ds_load_b128 v[6:9], v1 offset:1248
	s_waitcnt vmcnt(3) lgkmcnt(1)
	v_mul_f64 v[36:37], v[2:3], v[12:13]
	v_mul_f64 v[12:13], v[4:5], v[12:13]
	v_add_f64 v[28:29], v[28:29], v[32:33]
	v_add_f64 v[26:27], v[26:27], v[34:35]
	s_waitcnt vmcnt(2) lgkmcnt(0)
	v_mul_f64 v[32:33], v[6:7], v[16:17]
	v_mul_f64 v[16:17], v[8:9], v[16:17]
	v_fma_f64 v[34:35], v[4:5], v[10:11], v[36:37]
	v_fma_f64 v[10:11], v[2:3], v[10:11], -v[12:13]
	ds_load_b128 v[2:5], v1 offset:1264
	v_add_f64 v[12:13], v[26:27], v[38:39]
	v_add_f64 v[26:27], v[28:29], v[30:31]
	s_waitcnt vmcnt(1) lgkmcnt(0)
	v_mul_f64 v[28:29], v[2:3], v[20:21]
	v_mul_f64 v[20:21], v[4:5], v[20:21]
	v_fma_f64 v[8:9], v[8:9], v[14:15], v[32:33]
	v_fma_f64 v[6:7], v[6:7], v[14:15], -v[16:17]
	v_add_f64 v[10:11], v[12:13], v[10:11]
	v_add_f64 v[12:13], v[26:27], v[34:35]
	v_fma_f64 v[4:5], v[4:5], v[18:19], v[28:29]
	v_fma_f64 v[2:3], v[2:3], v[18:19], -v[20:21]
	s_delay_alu instid0(VALU_DEP_4) | instskip(NEXT) | instid1(VALU_DEP_4)
	v_add_f64 v[6:7], v[10:11], v[6:7]
	v_add_f64 v[8:9], v[12:13], v[8:9]
	s_delay_alu instid0(VALU_DEP_2) | instskip(NEXT) | instid1(VALU_DEP_2)
	v_add_f64 v[2:3], v[6:7], v[2:3]
	v_add_f64 v[4:5], v[8:9], v[4:5]
	s_waitcnt vmcnt(0)
	s_delay_alu instid0(VALU_DEP_2) | instskip(NEXT) | instid1(VALU_DEP_2)
	v_add_f64 v[2:3], v[22:23], -v[2:3]
	v_add_f64 v[4:5], v[24:25], -v[4:5]
	scratch_store_b128 off, v[2:5], off offset:384
	v_cmpx_lt_u32_e32 23, v122
	s_cbranch_execz .LBB39_207
; %bb.206:
	scratch_load_b128 v[5:8], v144, off
	v_mov_b32_e32 v2, v1
	v_mov_b32_e32 v3, v1
	;; [unrolled: 1-line block ×3, first 2 shown]
	scratch_store_b128 off, v[1:4], off offset:368
	s_waitcnt vmcnt(0)
	ds_store_b128 v162, v[5:8]
.LBB39_207:
	s_or_b32 exec_lo, exec_lo, s2
	s_waitcnt lgkmcnt(0)
	s_waitcnt_vscnt null, 0x0
	s_barrier
	buffer_gl0_inv
	s_clause 0x7
	scratch_load_b128 v[2:5], off, off offset:384
	scratch_load_b128 v[6:9], off, off offset:400
	;; [unrolled: 1-line block ×8, first 2 shown]
	ds_load_b128 v[34:37], v1 offset:1024
	ds_load_b128 v[163:166], v1 offset:1040
	s_clause 0x1
	scratch_load_b128 v[38:41], off, off offset:512
	scratch_load_b128 v[167:170], off, off offset:528
	s_mov_b32 s2, exec_lo
	s_waitcnt vmcnt(9) lgkmcnt(1)
	v_mul_f64 v[171:172], v[36:37], v[4:5]
	v_mul_f64 v[4:5], v[34:35], v[4:5]
	s_waitcnt vmcnt(8) lgkmcnt(0)
	v_mul_f64 v[173:174], v[163:164], v[8:9]
	v_mul_f64 v[8:9], v[165:166], v[8:9]
	s_delay_alu instid0(VALU_DEP_4) | instskip(NEXT) | instid1(VALU_DEP_4)
	v_fma_f64 v[171:172], v[34:35], v[2:3], -v[171:172]
	v_fma_f64 v[175:176], v[36:37], v[2:3], v[4:5]
	ds_load_b128 v[2:5], v1 offset:1056
	scratch_load_b128 v[34:37], off, off offset:544
	v_fma_f64 v[173:174], v[165:166], v[6:7], v[173:174]
	v_fma_f64 v[179:180], v[163:164], v[6:7], -v[8:9]
	ds_load_b128 v[6:9], v1 offset:1072
	scratch_load_b128 v[163:166], off, off offset:560
	s_waitcnt vmcnt(9) lgkmcnt(1)
	v_mul_f64 v[177:178], v[2:3], v[12:13]
	v_mul_f64 v[12:13], v[4:5], v[12:13]
	s_waitcnt vmcnt(8) lgkmcnt(0)
	v_mul_f64 v[181:182], v[6:7], v[16:17]
	v_mul_f64 v[16:17], v[8:9], v[16:17]
	v_add_f64 v[171:172], v[171:172], 0
	v_add_f64 v[175:176], v[175:176], 0
	v_fma_f64 v[177:178], v[4:5], v[10:11], v[177:178]
	v_fma_f64 v[183:184], v[2:3], v[10:11], -v[12:13]
	scratch_load_b128 v[10:13], off, off offset:576
	ds_load_b128 v[2:5], v1 offset:1088
	v_add_f64 v[171:172], v[171:172], v[179:180]
	v_add_f64 v[173:174], v[175:176], v[173:174]
	v_fma_f64 v[179:180], v[8:9], v[14:15], v[181:182]
	v_fma_f64 v[181:182], v[6:7], v[14:15], -v[16:17]
	ds_load_b128 v[6:9], v1 offset:1104
	scratch_load_b128 v[14:17], off, off offset:592
	s_waitcnt vmcnt(9) lgkmcnt(1)
	v_mul_f64 v[175:176], v[2:3], v[20:21]
	v_mul_f64 v[20:21], v[4:5], v[20:21]
	v_add_f64 v[171:172], v[171:172], v[183:184]
	v_add_f64 v[173:174], v[173:174], v[177:178]
	s_waitcnt vmcnt(8) lgkmcnt(0)
	v_mul_f64 v[177:178], v[6:7], v[24:25]
	v_mul_f64 v[24:25], v[8:9], v[24:25]
	v_fma_f64 v[175:176], v[4:5], v[18:19], v[175:176]
	v_fma_f64 v[183:184], v[2:3], v[18:19], -v[20:21]
	scratch_load_b128 v[18:21], off, off offset:608
	ds_load_b128 v[2:5], v1 offset:1120
	v_add_f64 v[171:172], v[171:172], v[181:182]
	v_add_f64 v[173:174], v[173:174], v[179:180]
	v_fma_f64 v[177:178], v[8:9], v[22:23], v[177:178]
	v_fma_f64 v[181:182], v[6:7], v[22:23], -v[24:25]
	ds_load_b128 v[6:9], v1 offset:1136
	s_waitcnt vmcnt(8) lgkmcnt(1)
	v_mul_f64 v[179:180], v[2:3], v[28:29]
	v_mul_f64 v[28:29], v[4:5], v[28:29]
	scratch_load_b128 v[22:25], off, off offset:624
	v_add_f64 v[171:172], v[171:172], v[183:184]
	v_add_f64 v[173:174], v[173:174], v[175:176]
	s_waitcnt vmcnt(8) lgkmcnt(0)
	v_mul_f64 v[175:176], v[6:7], v[32:33]
	v_mul_f64 v[32:33], v[8:9], v[32:33]
	v_fma_f64 v[179:180], v[4:5], v[26:27], v[179:180]
	v_fma_f64 v[26:27], v[2:3], v[26:27], -v[28:29]
	ds_load_b128 v[2:5], v1 offset:1152
	v_add_f64 v[28:29], v[171:172], v[181:182]
	v_add_f64 v[171:172], v[173:174], v[177:178]
	v_fma_f64 v[175:176], v[8:9], v[30:31], v[175:176]
	v_fma_f64 v[30:31], v[6:7], v[30:31], -v[32:33]
	ds_load_b128 v[6:9], v1 offset:1168
	s_waitcnt vmcnt(7) lgkmcnt(1)
	v_mul_f64 v[173:174], v[2:3], v[40:41]
	v_mul_f64 v[40:41], v[4:5], v[40:41]
	v_add_f64 v[26:27], v[28:29], v[26:27]
	v_add_f64 v[28:29], v[171:172], v[179:180]
	s_delay_alu instid0(VALU_DEP_4) | instskip(NEXT) | instid1(VALU_DEP_4)
	v_fma_f64 v[171:172], v[4:5], v[38:39], v[173:174]
	v_fma_f64 v[38:39], v[2:3], v[38:39], -v[40:41]
	ds_load_b128 v[2:5], v1 offset:1184
	v_add_f64 v[30:31], v[26:27], v[30:31]
	v_add_f64 v[40:41], v[28:29], v[175:176]
	scratch_load_b128 v[26:29], off, off offset:368
	s_waitcnt vmcnt(7) lgkmcnt(1)
	v_mul_f64 v[32:33], v[6:7], v[169:170]
	v_mul_f64 v[169:170], v[8:9], v[169:170]
	v_add_f64 v[30:31], v[30:31], v[38:39]
	v_add_f64 v[38:39], v[40:41], v[171:172]
	s_delay_alu instid0(VALU_DEP_4) | instskip(NEXT) | instid1(VALU_DEP_4)
	v_fma_f64 v[32:33], v[8:9], v[167:168], v[32:33]
	v_fma_f64 v[167:168], v[6:7], v[167:168], -v[169:170]
	ds_load_b128 v[6:9], v1 offset:1200
	s_waitcnt vmcnt(6) lgkmcnt(1)
	v_mul_f64 v[173:174], v[2:3], v[36:37]
	v_mul_f64 v[36:37], v[4:5], v[36:37]
	s_waitcnt vmcnt(5) lgkmcnt(0)
	v_mul_f64 v[40:41], v[6:7], v[165:166]
	v_mul_f64 v[165:166], v[8:9], v[165:166]
	v_add_f64 v[32:33], v[38:39], v[32:33]
	v_add_f64 v[30:31], v[30:31], v[167:168]
	v_fma_f64 v[169:170], v[4:5], v[34:35], v[173:174]
	v_fma_f64 v[34:35], v[2:3], v[34:35], -v[36:37]
	ds_load_b128 v[2:5], v1 offset:1216
	v_fma_f64 v[38:39], v[8:9], v[163:164], v[40:41]
	v_fma_f64 v[40:41], v[6:7], v[163:164], -v[165:166]
	ds_load_b128 v[6:9], v1 offset:1232
	s_waitcnt vmcnt(4) lgkmcnt(1)
	v_mul_f64 v[36:37], v[2:3], v[12:13]
	v_mul_f64 v[12:13], v[4:5], v[12:13]
	v_add_f64 v[32:33], v[32:33], v[169:170]
	v_add_f64 v[30:31], v[30:31], v[34:35]
	s_waitcnt vmcnt(3) lgkmcnt(0)
	v_mul_f64 v[34:35], v[6:7], v[16:17]
	v_mul_f64 v[16:17], v[8:9], v[16:17]
	v_fma_f64 v[36:37], v[4:5], v[10:11], v[36:37]
	v_fma_f64 v[10:11], v[2:3], v[10:11], -v[12:13]
	ds_load_b128 v[2:5], v1 offset:1248
	v_add_f64 v[12:13], v[30:31], v[40:41]
	v_add_f64 v[30:31], v[32:33], v[38:39]
	v_fma_f64 v[34:35], v[8:9], v[14:15], v[34:35]
	v_fma_f64 v[14:15], v[6:7], v[14:15], -v[16:17]
	ds_load_b128 v[6:9], v1 offset:1264
	s_waitcnt vmcnt(2) lgkmcnt(1)
	v_mul_f64 v[32:33], v[2:3], v[20:21]
	v_mul_f64 v[20:21], v[4:5], v[20:21]
	s_waitcnt vmcnt(1) lgkmcnt(0)
	v_mul_f64 v[16:17], v[6:7], v[24:25]
	v_mul_f64 v[24:25], v[8:9], v[24:25]
	v_add_f64 v[10:11], v[12:13], v[10:11]
	v_add_f64 v[12:13], v[30:31], v[36:37]
	v_fma_f64 v[4:5], v[4:5], v[18:19], v[32:33]
	v_fma_f64 v[1:2], v[2:3], v[18:19], -v[20:21]
	v_fma_f64 v[8:9], v[8:9], v[22:23], v[16:17]
	v_fma_f64 v[6:7], v[6:7], v[22:23], -v[24:25]
	v_add_f64 v[10:11], v[10:11], v[14:15]
	v_add_f64 v[12:13], v[12:13], v[34:35]
	s_delay_alu instid0(VALU_DEP_2) | instskip(NEXT) | instid1(VALU_DEP_2)
	v_add_f64 v[1:2], v[10:11], v[1:2]
	v_add_f64 v[3:4], v[12:13], v[4:5]
	s_delay_alu instid0(VALU_DEP_2) | instskip(NEXT) | instid1(VALU_DEP_2)
	v_add_f64 v[1:2], v[1:2], v[6:7]
	v_add_f64 v[3:4], v[3:4], v[8:9]
	s_waitcnt vmcnt(0)
	s_delay_alu instid0(VALU_DEP_2) | instskip(NEXT) | instid1(VALU_DEP_2)
	v_add_f64 v[1:2], v[26:27], -v[1:2]
	v_add_f64 v[3:4], v[28:29], -v[3:4]
	scratch_store_b128 off, v[1:4], off offset:368
	v_cmpx_lt_u32_e32 22, v122
	s_cbranch_execz .LBB39_209
; %bb.208:
	scratch_load_b128 v[1:4], v141, off
	v_mov_b32_e32 v5, 0
	s_delay_alu instid0(VALU_DEP_1)
	v_mov_b32_e32 v6, v5
	v_mov_b32_e32 v7, v5
	v_mov_b32_e32 v8, v5
	scratch_store_b128 off, v[5:8], off offset:352
	s_waitcnt vmcnt(0)
	ds_store_b128 v162, v[1:4]
.LBB39_209:
	s_or_b32 exec_lo, exec_lo, s2
	s_waitcnt lgkmcnt(0)
	s_waitcnt_vscnt null, 0x0
	s_barrier
	buffer_gl0_inv
	s_clause 0x7
	scratch_load_b128 v[2:5], off, off offset:368
	scratch_load_b128 v[6:9], off, off offset:384
	;; [unrolled: 1-line block ×8, first 2 shown]
	v_mov_b32_e32 v1, 0
	s_clause 0x1
	scratch_load_b128 v[38:41], off, off offset:496
	scratch_load_b128 v[167:170], off, off offset:512
	s_mov_b32 s2, exec_lo
	ds_load_b128 v[34:37], v1 offset:1008
	ds_load_b128 v[163:166], v1 offset:1024
	s_waitcnt vmcnt(9) lgkmcnt(1)
	v_mul_f64 v[171:172], v[36:37], v[4:5]
	v_mul_f64 v[4:5], v[34:35], v[4:5]
	s_waitcnt vmcnt(8) lgkmcnt(0)
	v_mul_f64 v[173:174], v[163:164], v[8:9]
	v_mul_f64 v[8:9], v[165:166], v[8:9]
	s_delay_alu instid0(VALU_DEP_4) | instskip(NEXT) | instid1(VALU_DEP_4)
	v_fma_f64 v[171:172], v[34:35], v[2:3], -v[171:172]
	v_fma_f64 v[175:176], v[36:37], v[2:3], v[4:5]
	ds_load_b128 v[2:5], v1 offset:1040
	scratch_load_b128 v[34:37], off, off offset:528
	v_fma_f64 v[173:174], v[165:166], v[6:7], v[173:174]
	v_fma_f64 v[179:180], v[163:164], v[6:7], -v[8:9]
	ds_load_b128 v[6:9], v1 offset:1056
	scratch_load_b128 v[163:166], off, off offset:544
	s_waitcnt vmcnt(9) lgkmcnt(1)
	v_mul_f64 v[177:178], v[2:3], v[12:13]
	v_mul_f64 v[12:13], v[4:5], v[12:13]
	s_waitcnt vmcnt(8) lgkmcnt(0)
	v_mul_f64 v[181:182], v[6:7], v[16:17]
	v_mul_f64 v[16:17], v[8:9], v[16:17]
	v_add_f64 v[171:172], v[171:172], 0
	v_add_f64 v[175:176], v[175:176], 0
	v_fma_f64 v[177:178], v[4:5], v[10:11], v[177:178]
	v_fma_f64 v[183:184], v[2:3], v[10:11], -v[12:13]
	scratch_load_b128 v[10:13], off, off offset:560
	ds_load_b128 v[2:5], v1 offset:1072
	v_add_f64 v[171:172], v[171:172], v[179:180]
	v_add_f64 v[173:174], v[175:176], v[173:174]
	v_fma_f64 v[179:180], v[8:9], v[14:15], v[181:182]
	v_fma_f64 v[181:182], v[6:7], v[14:15], -v[16:17]
	ds_load_b128 v[6:9], v1 offset:1088
	scratch_load_b128 v[14:17], off, off offset:576
	s_waitcnt vmcnt(9) lgkmcnt(1)
	v_mul_f64 v[175:176], v[2:3], v[20:21]
	v_mul_f64 v[20:21], v[4:5], v[20:21]
	v_add_f64 v[171:172], v[171:172], v[183:184]
	v_add_f64 v[173:174], v[173:174], v[177:178]
	s_waitcnt vmcnt(8) lgkmcnt(0)
	v_mul_f64 v[177:178], v[6:7], v[24:25]
	v_mul_f64 v[24:25], v[8:9], v[24:25]
	v_fma_f64 v[175:176], v[4:5], v[18:19], v[175:176]
	v_fma_f64 v[183:184], v[2:3], v[18:19], -v[20:21]
	scratch_load_b128 v[18:21], off, off offset:592
	ds_load_b128 v[2:5], v1 offset:1104
	v_add_f64 v[171:172], v[171:172], v[181:182]
	v_add_f64 v[173:174], v[173:174], v[179:180]
	v_fma_f64 v[177:178], v[8:9], v[22:23], v[177:178]
	v_fma_f64 v[181:182], v[6:7], v[22:23], -v[24:25]
	ds_load_b128 v[6:9], v1 offset:1120
	s_waitcnt vmcnt(8) lgkmcnt(1)
	v_mul_f64 v[179:180], v[2:3], v[28:29]
	v_mul_f64 v[28:29], v[4:5], v[28:29]
	scratch_load_b128 v[22:25], off, off offset:608
	v_add_f64 v[171:172], v[171:172], v[183:184]
	v_add_f64 v[173:174], v[173:174], v[175:176]
	s_waitcnt vmcnt(8) lgkmcnt(0)
	v_mul_f64 v[175:176], v[6:7], v[32:33]
	v_mul_f64 v[32:33], v[8:9], v[32:33]
	v_fma_f64 v[179:180], v[4:5], v[26:27], v[179:180]
	v_fma_f64 v[183:184], v[2:3], v[26:27], -v[28:29]
	scratch_load_b128 v[26:29], off, off offset:624
	ds_load_b128 v[2:5], v1 offset:1136
	v_add_f64 v[171:172], v[171:172], v[181:182]
	v_add_f64 v[173:174], v[173:174], v[177:178]
	v_fma_f64 v[175:176], v[8:9], v[30:31], v[175:176]
	v_fma_f64 v[30:31], v[6:7], v[30:31], -v[32:33]
	ds_load_b128 v[6:9], v1 offset:1152
	s_waitcnt vmcnt(8) lgkmcnt(1)
	v_mul_f64 v[177:178], v[2:3], v[40:41]
	v_mul_f64 v[40:41], v[4:5], v[40:41]
	v_add_f64 v[32:33], v[171:172], v[183:184]
	v_add_f64 v[171:172], v[173:174], v[179:180]
	s_waitcnt vmcnt(7) lgkmcnt(0)
	v_mul_f64 v[173:174], v[6:7], v[169:170]
	v_mul_f64 v[169:170], v[8:9], v[169:170]
	v_fma_f64 v[177:178], v[4:5], v[38:39], v[177:178]
	v_fma_f64 v[38:39], v[2:3], v[38:39], -v[40:41]
	ds_load_b128 v[2:5], v1 offset:1168
	v_add_f64 v[30:31], v[32:33], v[30:31]
	v_add_f64 v[32:33], v[171:172], v[175:176]
	v_fma_f64 v[171:172], v[8:9], v[167:168], v[173:174]
	v_fma_f64 v[167:168], v[6:7], v[167:168], -v[169:170]
	ds_load_b128 v[6:9], v1 offset:1184
	s_waitcnt vmcnt(5) lgkmcnt(0)
	v_mul_f64 v[173:174], v[6:7], v[165:166]
	v_mul_f64 v[165:166], v[8:9], v[165:166]
	v_add_f64 v[38:39], v[30:31], v[38:39]
	v_add_f64 v[169:170], v[32:33], v[177:178]
	scratch_load_b128 v[30:33], off, off offset:352
	v_mul_f64 v[40:41], v[2:3], v[36:37]
	v_mul_f64 v[36:37], v[4:5], v[36:37]
	s_delay_alu instid0(VALU_DEP_2) | instskip(NEXT) | instid1(VALU_DEP_2)
	v_fma_f64 v[40:41], v[4:5], v[34:35], v[40:41]
	v_fma_f64 v[34:35], v[2:3], v[34:35], -v[36:37]
	v_add_f64 v[36:37], v[38:39], v[167:168]
	v_add_f64 v[38:39], v[169:170], v[171:172]
	ds_load_b128 v[2:5], v1 offset:1200
	v_fma_f64 v[169:170], v[8:9], v[163:164], v[173:174]
	v_fma_f64 v[163:164], v[6:7], v[163:164], -v[165:166]
	ds_load_b128 v[6:9], v1 offset:1216
	s_waitcnt vmcnt(5) lgkmcnt(1)
	v_mul_f64 v[167:168], v[2:3], v[12:13]
	v_mul_f64 v[12:13], v[4:5], v[12:13]
	v_add_f64 v[34:35], v[36:37], v[34:35]
	v_add_f64 v[36:37], v[38:39], v[40:41]
	s_waitcnt vmcnt(4) lgkmcnt(0)
	v_mul_f64 v[38:39], v[6:7], v[16:17]
	v_mul_f64 v[16:17], v[8:9], v[16:17]
	v_fma_f64 v[40:41], v[4:5], v[10:11], v[167:168]
	v_fma_f64 v[10:11], v[2:3], v[10:11], -v[12:13]
	ds_load_b128 v[2:5], v1 offset:1232
	v_add_f64 v[12:13], v[34:35], v[163:164]
	v_add_f64 v[34:35], v[36:37], v[169:170]
	v_fma_f64 v[38:39], v[8:9], v[14:15], v[38:39]
	v_fma_f64 v[14:15], v[6:7], v[14:15], -v[16:17]
	ds_load_b128 v[6:9], v1 offset:1248
	s_waitcnt vmcnt(3) lgkmcnt(1)
	v_mul_f64 v[36:37], v[2:3], v[20:21]
	v_mul_f64 v[20:21], v[4:5], v[20:21]
	s_waitcnt vmcnt(2) lgkmcnt(0)
	v_mul_f64 v[16:17], v[6:7], v[24:25]
	v_mul_f64 v[24:25], v[8:9], v[24:25]
	v_add_f64 v[10:11], v[12:13], v[10:11]
	v_add_f64 v[12:13], v[34:35], v[40:41]
	v_fma_f64 v[34:35], v[4:5], v[18:19], v[36:37]
	v_fma_f64 v[18:19], v[2:3], v[18:19], -v[20:21]
	ds_load_b128 v[2:5], v1 offset:1264
	v_fma_f64 v[8:9], v[8:9], v[22:23], v[16:17]
	v_fma_f64 v[6:7], v[6:7], v[22:23], -v[24:25]
	s_waitcnt vmcnt(1) lgkmcnt(0)
	v_mul_f64 v[20:21], v[4:5], v[28:29]
	v_add_f64 v[10:11], v[10:11], v[14:15]
	v_add_f64 v[12:13], v[12:13], v[38:39]
	v_mul_f64 v[14:15], v[2:3], v[28:29]
	s_delay_alu instid0(VALU_DEP_4) | instskip(NEXT) | instid1(VALU_DEP_4)
	v_fma_f64 v[2:3], v[2:3], v[26:27], -v[20:21]
	v_add_f64 v[10:11], v[10:11], v[18:19]
	s_delay_alu instid0(VALU_DEP_4) | instskip(NEXT) | instid1(VALU_DEP_4)
	v_add_f64 v[12:13], v[12:13], v[34:35]
	v_fma_f64 v[4:5], v[4:5], v[26:27], v[14:15]
	s_delay_alu instid0(VALU_DEP_3) | instskip(NEXT) | instid1(VALU_DEP_3)
	v_add_f64 v[6:7], v[10:11], v[6:7]
	v_add_f64 v[8:9], v[12:13], v[8:9]
	s_delay_alu instid0(VALU_DEP_2) | instskip(NEXT) | instid1(VALU_DEP_2)
	v_add_f64 v[2:3], v[6:7], v[2:3]
	v_add_f64 v[4:5], v[8:9], v[4:5]
	s_waitcnt vmcnt(0)
	s_delay_alu instid0(VALU_DEP_2) | instskip(NEXT) | instid1(VALU_DEP_2)
	v_add_f64 v[2:3], v[30:31], -v[2:3]
	v_add_f64 v[4:5], v[32:33], -v[4:5]
	scratch_store_b128 off, v[2:5], off offset:352
	v_cmpx_lt_u32_e32 21, v122
	s_cbranch_execz .LBB39_211
; %bb.210:
	scratch_load_b128 v[5:8], v145, off
	v_mov_b32_e32 v2, v1
	v_mov_b32_e32 v3, v1
	;; [unrolled: 1-line block ×3, first 2 shown]
	scratch_store_b128 off, v[1:4], off offset:336
	s_waitcnt vmcnt(0)
	ds_store_b128 v162, v[5:8]
.LBB39_211:
	s_or_b32 exec_lo, exec_lo, s2
	s_waitcnt lgkmcnt(0)
	s_waitcnt_vscnt null, 0x0
	s_barrier
	buffer_gl0_inv
	s_clause 0x7
	scratch_load_b128 v[2:5], off, off offset:352
	scratch_load_b128 v[6:9], off, off offset:368
	;; [unrolled: 1-line block ×8, first 2 shown]
	ds_load_b128 v[34:37], v1 offset:992
	ds_load_b128 v[163:166], v1 offset:1008
	s_clause 0x1
	scratch_load_b128 v[38:41], off, off offset:480
	scratch_load_b128 v[167:170], off, off offset:496
	s_mov_b32 s2, exec_lo
	s_waitcnt vmcnt(9) lgkmcnt(1)
	v_mul_f64 v[171:172], v[36:37], v[4:5]
	v_mul_f64 v[4:5], v[34:35], v[4:5]
	s_waitcnt vmcnt(8) lgkmcnt(0)
	v_mul_f64 v[173:174], v[163:164], v[8:9]
	v_mul_f64 v[8:9], v[165:166], v[8:9]
	s_delay_alu instid0(VALU_DEP_4) | instskip(NEXT) | instid1(VALU_DEP_4)
	v_fma_f64 v[171:172], v[34:35], v[2:3], -v[171:172]
	v_fma_f64 v[175:176], v[36:37], v[2:3], v[4:5]
	scratch_load_b128 v[34:37], off, off offset:512
	ds_load_b128 v[2:5], v1 offset:1024
	v_fma_f64 v[173:174], v[165:166], v[6:7], v[173:174]
	v_fma_f64 v[179:180], v[163:164], v[6:7], -v[8:9]
	ds_load_b128 v[6:9], v1 offset:1040
	scratch_load_b128 v[163:166], off, off offset:528
	s_waitcnt vmcnt(9) lgkmcnt(1)
	v_mul_f64 v[177:178], v[2:3], v[12:13]
	v_mul_f64 v[12:13], v[4:5], v[12:13]
	s_waitcnt vmcnt(8) lgkmcnt(0)
	v_mul_f64 v[181:182], v[6:7], v[16:17]
	v_mul_f64 v[16:17], v[8:9], v[16:17]
	v_add_f64 v[171:172], v[171:172], 0
	v_add_f64 v[175:176], v[175:176], 0
	v_fma_f64 v[177:178], v[4:5], v[10:11], v[177:178]
	v_fma_f64 v[183:184], v[2:3], v[10:11], -v[12:13]
	scratch_load_b128 v[10:13], off, off offset:544
	ds_load_b128 v[2:5], v1 offset:1056
	v_add_f64 v[171:172], v[171:172], v[179:180]
	v_add_f64 v[173:174], v[175:176], v[173:174]
	v_fma_f64 v[179:180], v[8:9], v[14:15], v[181:182]
	v_fma_f64 v[181:182], v[6:7], v[14:15], -v[16:17]
	ds_load_b128 v[6:9], v1 offset:1072
	scratch_load_b128 v[14:17], off, off offset:560
	s_waitcnt vmcnt(9) lgkmcnt(1)
	v_mul_f64 v[175:176], v[2:3], v[20:21]
	v_mul_f64 v[20:21], v[4:5], v[20:21]
	v_add_f64 v[171:172], v[171:172], v[183:184]
	v_add_f64 v[173:174], v[173:174], v[177:178]
	s_waitcnt vmcnt(8) lgkmcnt(0)
	v_mul_f64 v[177:178], v[6:7], v[24:25]
	v_mul_f64 v[24:25], v[8:9], v[24:25]
	v_fma_f64 v[175:176], v[4:5], v[18:19], v[175:176]
	v_fma_f64 v[183:184], v[2:3], v[18:19], -v[20:21]
	scratch_load_b128 v[18:21], off, off offset:576
	ds_load_b128 v[2:5], v1 offset:1088
	v_add_f64 v[171:172], v[171:172], v[181:182]
	v_add_f64 v[173:174], v[173:174], v[179:180]
	v_fma_f64 v[177:178], v[8:9], v[22:23], v[177:178]
	v_fma_f64 v[181:182], v[6:7], v[22:23], -v[24:25]
	ds_load_b128 v[6:9], v1 offset:1104
	s_waitcnt vmcnt(8) lgkmcnt(1)
	v_mul_f64 v[179:180], v[2:3], v[28:29]
	v_mul_f64 v[28:29], v[4:5], v[28:29]
	scratch_load_b128 v[22:25], off, off offset:592
	v_add_f64 v[171:172], v[171:172], v[183:184]
	v_add_f64 v[173:174], v[173:174], v[175:176]
	s_waitcnt vmcnt(8) lgkmcnt(0)
	v_mul_f64 v[175:176], v[6:7], v[32:33]
	v_mul_f64 v[32:33], v[8:9], v[32:33]
	v_fma_f64 v[179:180], v[4:5], v[26:27], v[179:180]
	v_fma_f64 v[183:184], v[2:3], v[26:27], -v[28:29]
	scratch_load_b128 v[26:29], off, off offset:608
	ds_load_b128 v[2:5], v1 offset:1120
	v_add_f64 v[171:172], v[171:172], v[181:182]
	v_add_f64 v[173:174], v[173:174], v[177:178]
	v_fma_f64 v[175:176], v[8:9], v[30:31], v[175:176]
	v_fma_f64 v[181:182], v[6:7], v[30:31], -v[32:33]
	ds_load_b128 v[6:9], v1 offset:1136
	s_waitcnt vmcnt(8) lgkmcnt(1)
	v_mul_f64 v[177:178], v[2:3], v[40:41]
	v_mul_f64 v[40:41], v[4:5], v[40:41]
	scratch_load_b128 v[30:33], off, off offset:624
	v_add_f64 v[171:172], v[171:172], v[183:184]
	v_add_f64 v[173:174], v[173:174], v[179:180]
	v_fma_f64 v[177:178], v[4:5], v[38:39], v[177:178]
	v_fma_f64 v[38:39], v[2:3], v[38:39], -v[40:41]
	ds_load_b128 v[2:5], v1 offset:1152
	v_add_f64 v[40:41], v[171:172], v[181:182]
	v_add_f64 v[171:172], v[173:174], v[175:176]
	s_waitcnt vmcnt(7) lgkmcnt(0)
	v_mul_f64 v[173:174], v[2:3], v[36:37]
	v_mul_f64 v[36:37], v[4:5], v[36:37]
	s_delay_alu instid0(VALU_DEP_4) | instskip(NEXT) | instid1(VALU_DEP_4)
	v_add_f64 v[38:39], v[40:41], v[38:39]
	v_add_f64 v[40:41], v[171:172], v[177:178]
	s_delay_alu instid0(VALU_DEP_4) | instskip(NEXT) | instid1(VALU_DEP_4)
	v_fma_f64 v[171:172], v[4:5], v[34:35], v[173:174]
	v_fma_f64 v[173:174], v[2:3], v[34:35], -v[36:37]
	scratch_load_b128 v[34:37], off, off offset:336
	v_mul_f64 v[179:180], v[6:7], v[169:170]
	v_mul_f64 v[169:170], v[8:9], v[169:170]
	ds_load_b128 v[2:5], v1 offset:1184
	v_fma_f64 v[175:176], v[8:9], v[167:168], v[179:180]
	v_fma_f64 v[167:168], v[6:7], v[167:168], -v[169:170]
	ds_load_b128 v[6:9], v1 offset:1168
	s_waitcnt vmcnt(7) lgkmcnt(0)
	v_mul_f64 v[169:170], v[6:7], v[165:166]
	v_mul_f64 v[165:166], v[8:9], v[165:166]
	v_add_f64 v[40:41], v[40:41], v[175:176]
	v_add_f64 v[38:39], v[38:39], v[167:168]
	s_waitcnt vmcnt(6)
	v_mul_f64 v[167:168], v[2:3], v[12:13]
	v_mul_f64 v[12:13], v[4:5], v[12:13]
	v_fma_f64 v[169:170], v[8:9], v[163:164], v[169:170]
	v_fma_f64 v[163:164], v[6:7], v[163:164], -v[165:166]
	ds_load_b128 v[6:9], v1 offset:1200
	v_add_f64 v[40:41], v[40:41], v[171:172]
	v_add_f64 v[38:39], v[38:39], v[173:174]
	v_fma_f64 v[167:168], v[4:5], v[10:11], v[167:168]
	v_fma_f64 v[10:11], v[2:3], v[10:11], -v[12:13]
	ds_load_b128 v[2:5], v1 offset:1216
	s_waitcnt vmcnt(5) lgkmcnt(1)
	v_mul_f64 v[165:166], v[6:7], v[16:17]
	v_mul_f64 v[16:17], v[8:9], v[16:17]
	v_add_f64 v[12:13], v[38:39], v[163:164]
	v_add_f64 v[38:39], v[40:41], v[169:170]
	s_waitcnt vmcnt(4) lgkmcnt(0)
	v_mul_f64 v[40:41], v[2:3], v[20:21]
	v_mul_f64 v[20:21], v[4:5], v[20:21]
	v_fma_f64 v[163:164], v[8:9], v[14:15], v[165:166]
	v_fma_f64 v[14:15], v[6:7], v[14:15], -v[16:17]
	ds_load_b128 v[6:9], v1 offset:1232
	v_add_f64 v[10:11], v[12:13], v[10:11]
	v_add_f64 v[12:13], v[38:39], v[167:168]
	v_fma_f64 v[38:39], v[4:5], v[18:19], v[40:41]
	v_fma_f64 v[18:19], v[2:3], v[18:19], -v[20:21]
	ds_load_b128 v[2:5], v1 offset:1248
	s_waitcnt vmcnt(3) lgkmcnt(1)
	v_mul_f64 v[16:17], v[6:7], v[24:25]
	v_mul_f64 v[24:25], v[8:9], v[24:25]
	s_waitcnt vmcnt(2) lgkmcnt(0)
	v_mul_f64 v[20:21], v[4:5], v[28:29]
	v_add_f64 v[10:11], v[10:11], v[14:15]
	v_add_f64 v[12:13], v[12:13], v[163:164]
	v_mul_f64 v[14:15], v[2:3], v[28:29]
	v_fma_f64 v[16:17], v[8:9], v[22:23], v[16:17]
	v_fma_f64 v[22:23], v[6:7], v[22:23], -v[24:25]
	ds_load_b128 v[6:9], v1 offset:1264
	v_fma_f64 v[1:2], v[2:3], v[26:27], -v[20:21]
	s_waitcnt vmcnt(1) lgkmcnt(0)
	v_mul_f64 v[24:25], v[8:9], v[32:33]
	v_add_f64 v[10:11], v[10:11], v[18:19]
	v_add_f64 v[12:13], v[12:13], v[38:39]
	v_mul_f64 v[18:19], v[6:7], v[32:33]
	v_fma_f64 v[4:5], v[4:5], v[26:27], v[14:15]
	v_fma_f64 v[6:7], v[6:7], v[30:31], -v[24:25]
	v_add_f64 v[10:11], v[10:11], v[22:23]
	v_add_f64 v[12:13], v[12:13], v[16:17]
	v_fma_f64 v[8:9], v[8:9], v[30:31], v[18:19]
	s_delay_alu instid0(VALU_DEP_3) | instskip(NEXT) | instid1(VALU_DEP_3)
	v_add_f64 v[1:2], v[10:11], v[1:2]
	v_add_f64 v[3:4], v[12:13], v[4:5]
	s_delay_alu instid0(VALU_DEP_2) | instskip(NEXT) | instid1(VALU_DEP_2)
	v_add_f64 v[1:2], v[1:2], v[6:7]
	v_add_f64 v[3:4], v[3:4], v[8:9]
	s_waitcnt vmcnt(0)
	s_delay_alu instid0(VALU_DEP_2) | instskip(NEXT) | instid1(VALU_DEP_2)
	v_add_f64 v[1:2], v[34:35], -v[1:2]
	v_add_f64 v[3:4], v[36:37], -v[3:4]
	scratch_store_b128 off, v[1:4], off offset:336
	v_cmpx_lt_u32_e32 20, v122
	s_cbranch_execz .LBB39_213
; %bb.212:
	scratch_load_b128 v[1:4], v146, off
	v_mov_b32_e32 v5, 0
	s_delay_alu instid0(VALU_DEP_1)
	v_mov_b32_e32 v6, v5
	v_mov_b32_e32 v7, v5
	;; [unrolled: 1-line block ×3, first 2 shown]
	scratch_store_b128 off, v[5:8], off offset:320
	s_waitcnt vmcnt(0)
	ds_store_b128 v162, v[1:4]
.LBB39_213:
	s_or_b32 exec_lo, exec_lo, s2
	s_waitcnt lgkmcnt(0)
	s_waitcnt_vscnt null, 0x0
	s_barrier
	buffer_gl0_inv
	s_clause 0x7
	scratch_load_b128 v[2:5], off, off offset:336
	scratch_load_b128 v[6:9], off, off offset:352
	;; [unrolled: 1-line block ×8, first 2 shown]
	v_mov_b32_e32 v1, 0
	s_clause 0x1
	scratch_load_b128 v[38:41], off, off offset:464
	scratch_load_b128 v[167:170], off, off offset:480
	s_mov_b32 s2, exec_lo
	ds_load_b128 v[34:37], v1 offset:976
	ds_load_b128 v[163:166], v1 offset:992
	s_waitcnt vmcnt(9) lgkmcnt(1)
	v_mul_f64 v[171:172], v[36:37], v[4:5]
	v_mul_f64 v[4:5], v[34:35], v[4:5]
	s_waitcnt vmcnt(8) lgkmcnt(0)
	v_mul_f64 v[173:174], v[163:164], v[8:9]
	v_mul_f64 v[8:9], v[165:166], v[8:9]
	s_delay_alu instid0(VALU_DEP_4) | instskip(NEXT) | instid1(VALU_DEP_4)
	v_fma_f64 v[171:172], v[34:35], v[2:3], -v[171:172]
	v_fma_f64 v[175:176], v[36:37], v[2:3], v[4:5]
	ds_load_b128 v[2:5], v1 offset:1008
	scratch_load_b128 v[34:37], off, off offset:496
	v_fma_f64 v[173:174], v[165:166], v[6:7], v[173:174]
	v_fma_f64 v[179:180], v[163:164], v[6:7], -v[8:9]
	scratch_load_b128 v[163:166], off, off offset:512
	ds_load_b128 v[6:9], v1 offset:1024
	s_waitcnt vmcnt(9) lgkmcnt(1)
	v_mul_f64 v[177:178], v[2:3], v[12:13]
	v_mul_f64 v[12:13], v[4:5], v[12:13]
	s_waitcnt vmcnt(8) lgkmcnt(0)
	v_mul_f64 v[181:182], v[6:7], v[16:17]
	v_mul_f64 v[16:17], v[8:9], v[16:17]
	v_add_f64 v[171:172], v[171:172], 0
	v_add_f64 v[175:176], v[175:176], 0
	v_fma_f64 v[177:178], v[4:5], v[10:11], v[177:178]
	v_fma_f64 v[183:184], v[2:3], v[10:11], -v[12:13]
	ds_load_b128 v[2:5], v1 offset:1040
	scratch_load_b128 v[10:13], off, off offset:528
	v_add_f64 v[171:172], v[171:172], v[179:180]
	v_add_f64 v[173:174], v[175:176], v[173:174]
	v_fma_f64 v[179:180], v[8:9], v[14:15], v[181:182]
	v_fma_f64 v[181:182], v[6:7], v[14:15], -v[16:17]
	ds_load_b128 v[6:9], v1 offset:1056
	scratch_load_b128 v[14:17], off, off offset:544
	s_waitcnt vmcnt(9) lgkmcnt(1)
	v_mul_f64 v[175:176], v[2:3], v[20:21]
	v_mul_f64 v[20:21], v[4:5], v[20:21]
	v_add_f64 v[171:172], v[171:172], v[183:184]
	v_add_f64 v[173:174], v[173:174], v[177:178]
	s_waitcnt vmcnt(8) lgkmcnt(0)
	v_mul_f64 v[177:178], v[6:7], v[24:25]
	v_mul_f64 v[24:25], v[8:9], v[24:25]
	v_fma_f64 v[175:176], v[4:5], v[18:19], v[175:176]
	v_fma_f64 v[183:184], v[2:3], v[18:19], -v[20:21]
	scratch_load_b128 v[18:21], off, off offset:560
	ds_load_b128 v[2:5], v1 offset:1072
	v_add_f64 v[171:172], v[171:172], v[181:182]
	v_add_f64 v[173:174], v[173:174], v[179:180]
	v_fma_f64 v[177:178], v[8:9], v[22:23], v[177:178]
	v_fma_f64 v[181:182], v[6:7], v[22:23], -v[24:25]
	ds_load_b128 v[6:9], v1 offset:1088
	s_waitcnt vmcnt(8) lgkmcnt(1)
	v_mul_f64 v[179:180], v[2:3], v[28:29]
	v_mul_f64 v[28:29], v[4:5], v[28:29]
	scratch_load_b128 v[22:25], off, off offset:576
	v_add_f64 v[171:172], v[171:172], v[183:184]
	v_add_f64 v[173:174], v[173:174], v[175:176]
	s_waitcnt vmcnt(8) lgkmcnt(0)
	v_mul_f64 v[175:176], v[6:7], v[32:33]
	v_mul_f64 v[32:33], v[8:9], v[32:33]
	v_fma_f64 v[179:180], v[4:5], v[26:27], v[179:180]
	v_fma_f64 v[183:184], v[2:3], v[26:27], -v[28:29]
	scratch_load_b128 v[26:29], off, off offset:592
	ds_load_b128 v[2:5], v1 offset:1104
	v_add_f64 v[171:172], v[171:172], v[181:182]
	v_add_f64 v[173:174], v[173:174], v[177:178]
	v_fma_f64 v[175:176], v[8:9], v[30:31], v[175:176]
	v_fma_f64 v[181:182], v[6:7], v[30:31], -v[32:33]
	ds_load_b128 v[6:9], v1 offset:1120
	s_waitcnt vmcnt(8) lgkmcnt(1)
	v_mul_f64 v[177:178], v[2:3], v[40:41]
	v_mul_f64 v[40:41], v[4:5], v[40:41]
	scratch_load_b128 v[30:33], off, off offset:608
	v_add_f64 v[171:172], v[171:172], v[183:184]
	v_add_f64 v[173:174], v[173:174], v[179:180]
	s_waitcnt vmcnt(8) lgkmcnt(0)
	v_mul_f64 v[179:180], v[6:7], v[169:170]
	v_mul_f64 v[169:170], v[8:9], v[169:170]
	v_fma_f64 v[177:178], v[4:5], v[38:39], v[177:178]
	v_fma_f64 v[183:184], v[2:3], v[38:39], -v[40:41]
	scratch_load_b128 v[38:41], off, off offset:624
	ds_load_b128 v[2:5], v1 offset:1136
	v_add_f64 v[171:172], v[171:172], v[181:182]
	v_add_f64 v[173:174], v[173:174], v[175:176]
	v_fma_f64 v[179:180], v[8:9], v[167:168], v[179:180]
	v_fma_f64 v[167:168], v[6:7], v[167:168], -v[169:170]
	ds_load_b128 v[6:9], v1 offset:1152
	s_waitcnt vmcnt(8) lgkmcnt(1)
	v_mul_f64 v[175:176], v[2:3], v[36:37]
	v_mul_f64 v[36:37], v[4:5], v[36:37]
	v_add_f64 v[169:170], v[171:172], v[183:184]
	v_add_f64 v[171:172], v[173:174], v[177:178]
	s_waitcnt vmcnt(7) lgkmcnt(0)
	v_mul_f64 v[173:174], v[6:7], v[165:166]
	v_mul_f64 v[165:166], v[8:9], v[165:166]
	v_fma_f64 v[175:176], v[4:5], v[34:35], v[175:176]
	v_fma_f64 v[34:35], v[2:3], v[34:35], -v[36:37]
	ds_load_b128 v[2:5], v1 offset:1168
	v_add_f64 v[36:37], v[169:170], v[167:168]
	v_add_f64 v[167:168], v[171:172], v[179:180]
	v_fma_f64 v[171:172], v[8:9], v[163:164], v[173:174]
	v_fma_f64 v[163:164], v[6:7], v[163:164], -v[165:166]
	ds_load_b128 v[6:9], v1 offset:1184
	s_waitcnt vmcnt(5) lgkmcnt(0)
	v_mul_f64 v[173:174], v[6:7], v[16:17]
	v_mul_f64 v[16:17], v[8:9], v[16:17]
	v_add_f64 v[165:166], v[36:37], v[34:35]
	v_add_f64 v[167:168], v[167:168], v[175:176]
	scratch_load_b128 v[34:37], off, off offset:320
	v_mul_f64 v[169:170], v[2:3], v[12:13]
	v_mul_f64 v[12:13], v[4:5], v[12:13]
	s_delay_alu instid0(VALU_DEP_2) | instskip(NEXT) | instid1(VALU_DEP_2)
	v_fma_f64 v[169:170], v[4:5], v[10:11], v[169:170]
	v_fma_f64 v[10:11], v[2:3], v[10:11], -v[12:13]
	v_add_f64 v[12:13], v[165:166], v[163:164]
	v_add_f64 v[163:164], v[167:168], v[171:172]
	ds_load_b128 v[2:5], v1 offset:1200
	v_fma_f64 v[167:168], v[8:9], v[14:15], v[173:174]
	v_fma_f64 v[14:15], v[6:7], v[14:15], -v[16:17]
	ds_load_b128 v[6:9], v1 offset:1216
	s_waitcnt vmcnt(5) lgkmcnt(1)
	v_mul_f64 v[165:166], v[2:3], v[20:21]
	v_mul_f64 v[20:21], v[4:5], v[20:21]
	s_waitcnt vmcnt(4) lgkmcnt(0)
	v_mul_f64 v[16:17], v[6:7], v[24:25]
	v_mul_f64 v[24:25], v[8:9], v[24:25]
	v_add_f64 v[10:11], v[12:13], v[10:11]
	v_add_f64 v[12:13], v[163:164], v[169:170]
	v_fma_f64 v[163:164], v[4:5], v[18:19], v[165:166]
	v_fma_f64 v[18:19], v[2:3], v[18:19], -v[20:21]
	ds_load_b128 v[2:5], v1 offset:1232
	v_fma_f64 v[16:17], v[8:9], v[22:23], v[16:17]
	v_fma_f64 v[22:23], v[6:7], v[22:23], -v[24:25]
	ds_load_b128 v[6:9], v1 offset:1248
	v_add_f64 v[10:11], v[10:11], v[14:15]
	v_add_f64 v[12:13], v[12:13], v[167:168]
	s_waitcnt vmcnt(3) lgkmcnt(1)
	v_mul_f64 v[14:15], v[2:3], v[28:29]
	v_mul_f64 v[20:21], v[4:5], v[28:29]
	s_waitcnt vmcnt(2) lgkmcnt(0)
	v_mul_f64 v[24:25], v[8:9], v[32:33]
	v_add_f64 v[10:11], v[10:11], v[18:19]
	v_add_f64 v[12:13], v[12:13], v[163:164]
	v_mul_f64 v[18:19], v[6:7], v[32:33]
	v_fma_f64 v[14:15], v[4:5], v[26:27], v[14:15]
	v_fma_f64 v[20:21], v[2:3], v[26:27], -v[20:21]
	ds_load_b128 v[2:5], v1 offset:1264
	v_fma_f64 v[6:7], v[6:7], v[30:31], -v[24:25]
	v_add_f64 v[10:11], v[10:11], v[22:23]
	v_add_f64 v[12:13], v[12:13], v[16:17]
	s_waitcnt vmcnt(1) lgkmcnt(0)
	v_mul_f64 v[16:17], v[2:3], v[40:41]
	v_mul_f64 v[22:23], v[4:5], v[40:41]
	v_fma_f64 v[8:9], v[8:9], v[30:31], v[18:19]
	v_add_f64 v[10:11], v[10:11], v[20:21]
	v_add_f64 v[12:13], v[12:13], v[14:15]
	v_fma_f64 v[4:5], v[4:5], v[38:39], v[16:17]
	v_fma_f64 v[2:3], v[2:3], v[38:39], -v[22:23]
	s_delay_alu instid0(VALU_DEP_4) | instskip(NEXT) | instid1(VALU_DEP_4)
	v_add_f64 v[6:7], v[10:11], v[6:7]
	v_add_f64 v[8:9], v[12:13], v[8:9]
	s_delay_alu instid0(VALU_DEP_2) | instskip(NEXT) | instid1(VALU_DEP_2)
	v_add_f64 v[2:3], v[6:7], v[2:3]
	v_add_f64 v[4:5], v[8:9], v[4:5]
	s_waitcnt vmcnt(0)
	s_delay_alu instid0(VALU_DEP_2) | instskip(NEXT) | instid1(VALU_DEP_2)
	v_add_f64 v[2:3], v[34:35], -v[2:3]
	v_add_f64 v[4:5], v[36:37], -v[4:5]
	scratch_store_b128 off, v[2:5], off offset:320
	v_cmpx_lt_u32_e32 19, v122
	s_cbranch_execz .LBB39_215
; %bb.214:
	scratch_load_b128 v[5:8], v147, off
	v_mov_b32_e32 v2, v1
	v_mov_b32_e32 v3, v1
	;; [unrolled: 1-line block ×3, first 2 shown]
	scratch_store_b128 off, v[1:4], off offset:304
	s_waitcnt vmcnt(0)
	ds_store_b128 v162, v[5:8]
.LBB39_215:
	s_or_b32 exec_lo, exec_lo, s2
	s_waitcnt lgkmcnt(0)
	s_waitcnt_vscnt null, 0x0
	s_barrier
	buffer_gl0_inv
	s_clause 0x7
	scratch_load_b128 v[2:5], off, off offset:320
	scratch_load_b128 v[6:9], off, off offset:336
	;; [unrolled: 1-line block ×8, first 2 shown]
	ds_load_b128 v[34:37], v1 offset:960
	ds_load_b128 v[163:166], v1 offset:976
	s_clause 0x1
	scratch_load_b128 v[38:41], off, off offset:448
	scratch_load_b128 v[167:170], off, off offset:464
	s_mov_b32 s2, exec_lo
	s_waitcnt vmcnt(9) lgkmcnt(1)
	v_mul_f64 v[171:172], v[36:37], v[4:5]
	v_mul_f64 v[4:5], v[34:35], v[4:5]
	s_waitcnt vmcnt(8) lgkmcnt(0)
	v_mul_f64 v[173:174], v[163:164], v[8:9]
	v_mul_f64 v[8:9], v[165:166], v[8:9]
	s_delay_alu instid0(VALU_DEP_4) | instskip(NEXT) | instid1(VALU_DEP_4)
	v_fma_f64 v[171:172], v[34:35], v[2:3], -v[171:172]
	v_fma_f64 v[175:176], v[36:37], v[2:3], v[4:5]
	ds_load_b128 v[2:5], v1 offset:992
	scratch_load_b128 v[34:37], off, off offset:480
	v_fma_f64 v[173:174], v[165:166], v[6:7], v[173:174]
	v_fma_f64 v[179:180], v[163:164], v[6:7], -v[8:9]
	ds_load_b128 v[6:9], v1 offset:1008
	scratch_load_b128 v[163:166], off, off offset:496
	s_waitcnt vmcnt(9) lgkmcnt(1)
	v_mul_f64 v[177:178], v[2:3], v[12:13]
	v_mul_f64 v[12:13], v[4:5], v[12:13]
	s_waitcnt vmcnt(8) lgkmcnt(0)
	v_mul_f64 v[181:182], v[6:7], v[16:17]
	v_mul_f64 v[16:17], v[8:9], v[16:17]
	v_add_f64 v[171:172], v[171:172], 0
	v_add_f64 v[175:176], v[175:176], 0
	v_fma_f64 v[177:178], v[4:5], v[10:11], v[177:178]
	v_fma_f64 v[183:184], v[2:3], v[10:11], -v[12:13]
	scratch_load_b128 v[10:13], off, off offset:512
	ds_load_b128 v[2:5], v1 offset:1024
	v_add_f64 v[171:172], v[171:172], v[179:180]
	v_add_f64 v[173:174], v[175:176], v[173:174]
	v_fma_f64 v[179:180], v[8:9], v[14:15], v[181:182]
	v_fma_f64 v[181:182], v[6:7], v[14:15], -v[16:17]
	ds_load_b128 v[6:9], v1 offset:1040
	scratch_load_b128 v[14:17], off, off offset:528
	s_waitcnt vmcnt(9) lgkmcnt(1)
	v_mul_f64 v[175:176], v[2:3], v[20:21]
	v_mul_f64 v[20:21], v[4:5], v[20:21]
	v_add_f64 v[171:172], v[171:172], v[183:184]
	v_add_f64 v[173:174], v[173:174], v[177:178]
	s_waitcnt vmcnt(8) lgkmcnt(0)
	v_mul_f64 v[177:178], v[6:7], v[24:25]
	v_mul_f64 v[24:25], v[8:9], v[24:25]
	v_fma_f64 v[175:176], v[4:5], v[18:19], v[175:176]
	v_fma_f64 v[183:184], v[2:3], v[18:19], -v[20:21]
	scratch_load_b128 v[18:21], off, off offset:544
	ds_load_b128 v[2:5], v1 offset:1056
	v_add_f64 v[171:172], v[171:172], v[181:182]
	v_add_f64 v[173:174], v[173:174], v[179:180]
	v_fma_f64 v[177:178], v[8:9], v[22:23], v[177:178]
	v_fma_f64 v[181:182], v[6:7], v[22:23], -v[24:25]
	ds_load_b128 v[6:9], v1 offset:1072
	s_waitcnt vmcnt(8) lgkmcnt(1)
	v_mul_f64 v[179:180], v[2:3], v[28:29]
	v_mul_f64 v[28:29], v[4:5], v[28:29]
	scratch_load_b128 v[22:25], off, off offset:560
	v_add_f64 v[171:172], v[171:172], v[183:184]
	v_add_f64 v[173:174], v[173:174], v[175:176]
	s_waitcnt vmcnt(8) lgkmcnt(0)
	v_mul_f64 v[175:176], v[6:7], v[32:33]
	v_mul_f64 v[32:33], v[8:9], v[32:33]
	v_fma_f64 v[179:180], v[4:5], v[26:27], v[179:180]
	v_fma_f64 v[183:184], v[2:3], v[26:27], -v[28:29]
	scratch_load_b128 v[26:29], off, off offset:576
	ds_load_b128 v[2:5], v1 offset:1088
	v_add_f64 v[171:172], v[171:172], v[181:182]
	v_add_f64 v[173:174], v[173:174], v[177:178]
	v_fma_f64 v[175:176], v[8:9], v[30:31], v[175:176]
	v_fma_f64 v[181:182], v[6:7], v[30:31], -v[32:33]
	ds_load_b128 v[6:9], v1 offset:1104
	s_waitcnt vmcnt(8) lgkmcnt(1)
	v_mul_f64 v[177:178], v[2:3], v[40:41]
	v_mul_f64 v[40:41], v[4:5], v[40:41]
	scratch_load_b128 v[30:33], off, off offset:592
	v_add_f64 v[171:172], v[171:172], v[183:184]
	v_add_f64 v[173:174], v[173:174], v[179:180]
	s_waitcnt vmcnt(8) lgkmcnt(0)
	v_mul_f64 v[179:180], v[6:7], v[169:170]
	v_mul_f64 v[169:170], v[8:9], v[169:170]
	v_fma_f64 v[177:178], v[4:5], v[38:39], v[177:178]
	v_fma_f64 v[183:184], v[2:3], v[38:39], -v[40:41]
	scratch_load_b128 v[38:41], off, off offset:608
	ds_load_b128 v[2:5], v1 offset:1120
	v_add_f64 v[171:172], v[171:172], v[181:182]
	v_add_f64 v[173:174], v[173:174], v[175:176]
	v_fma_f64 v[179:180], v[8:9], v[167:168], v[179:180]
	v_fma_f64 v[181:182], v[6:7], v[167:168], -v[169:170]
	ds_load_b128 v[6:9], v1 offset:1136
	scratch_load_b128 v[167:170], off, off offset:624
	s_waitcnt vmcnt(9) lgkmcnt(1)
	v_mul_f64 v[175:176], v[2:3], v[36:37]
	v_mul_f64 v[36:37], v[4:5], v[36:37]
	v_add_f64 v[171:172], v[171:172], v[183:184]
	v_add_f64 v[173:174], v[173:174], v[177:178]
	s_delay_alu instid0(VALU_DEP_4) | instskip(NEXT) | instid1(VALU_DEP_4)
	v_fma_f64 v[175:176], v[4:5], v[34:35], v[175:176]
	v_fma_f64 v[34:35], v[2:3], v[34:35], -v[36:37]
	ds_load_b128 v[2:5], v1 offset:1152
	v_add_f64 v[36:37], v[171:172], v[181:182]
	v_add_f64 v[171:172], v[173:174], v[179:180]
	s_waitcnt vmcnt(7) lgkmcnt(0)
	v_mul_f64 v[173:174], v[2:3], v[12:13]
	v_mul_f64 v[12:13], v[4:5], v[12:13]
	s_delay_alu instid0(VALU_DEP_4) | instskip(NEXT) | instid1(VALU_DEP_4)
	v_add_f64 v[34:35], v[36:37], v[34:35]
	v_add_f64 v[36:37], v[171:172], v[175:176]
	s_delay_alu instid0(VALU_DEP_4) | instskip(NEXT) | instid1(VALU_DEP_4)
	v_fma_f64 v[171:172], v[4:5], v[10:11], v[173:174]
	v_fma_f64 v[173:174], v[2:3], v[10:11], -v[12:13]
	scratch_load_b128 v[10:13], off, off offset:304
	v_mul_f64 v[177:178], v[6:7], v[165:166]
	v_mul_f64 v[165:166], v[8:9], v[165:166]
	ds_load_b128 v[2:5], v1 offset:1184
	v_fma_f64 v[177:178], v[8:9], v[163:164], v[177:178]
	v_fma_f64 v[163:164], v[6:7], v[163:164], -v[165:166]
	ds_load_b128 v[6:9], v1 offset:1168
	s_waitcnt vmcnt(7) lgkmcnt(0)
	v_mul_f64 v[165:166], v[6:7], v[16:17]
	v_mul_f64 v[16:17], v[8:9], v[16:17]
	v_add_f64 v[36:37], v[36:37], v[177:178]
	v_add_f64 v[34:35], v[34:35], v[163:164]
	s_waitcnt vmcnt(6)
	v_mul_f64 v[163:164], v[2:3], v[20:21]
	v_mul_f64 v[20:21], v[4:5], v[20:21]
	v_fma_f64 v[165:166], v[8:9], v[14:15], v[165:166]
	v_fma_f64 v[14:15], v[6:7], v[14:15], -v[16:17]
	ds_load_b128 v[6:9], v1 offset:1200
	v_add_f64 v[16:17], v[34:35], v[173:174]
	v_add_f64 v[34:35], v[36:37], v[171:172]
	v_fma_f64 v[163:164], v[4:5], v[18:19], v[163:164]
	v_fma_f64 v[18:19], v[2:3], v[18:19], -v[20:21]
	ds_load_b128 v[2:5], v1 offset:1216
	s_waitcnt vmcnt(5) lgkmcnt(1)
	v_mul_f64 v[36:37], v[6:7], v[24:25]
	v_mul_f64 v[24:25], v[8:9], v[24:25]
	s_waitcnt vmcnt(4) lgkmcnt(0)
	v_mul_f64 v[20:21], v[2:3], v[28:29]
	v_mul_f64 v[28:29], v[4:5], v[28:29]
	v_add_f64 v[14:15], v[16:17], v[14:15]
	v_add_f64 v[16:17], v[34:35], v[165:166]
	v_fma_f64 v[34:35], v[8:9], v[22:23], v[36:37]
	v_fma_f64 v[22:23], v[6:7], v[22:23], -v[24:25]
	ds_load_b128 v[6:9], v1 offset:1232
	v_fma_f64 v[20:21], v[4:5], v[26:27], v[20:21]
	v_fma_f64 v[26:27], v[2:3], v[26:27], -v[28:29]
	ds_load_b128 v[2:5], v1 offset:1248
	s_waitcnt vmcnt(3) lgkmcnt(1)
	v_mul_f64 v[24:25], v[8:9], v[32:33]
	v_add_f64 v[14:15], v[14:15], v[18:19]
	v_add_f64 v[16:17], v[16:17], v[163:164]
	v_mul_f64 v[18:19], v[6:7], v[32:33]
	s_waitcnt vmcnt(2) lgkmcnt(0)
	v_mul_f64 v[28:29], v[4:5], v[40:41]
	v_fma_f64 v[24:25], v[6:7], v[30:31], -v[24:25]
	v_add_f64 v[14:15], v[14:15], v[22:23]
	v_add_f64 v[16:17], v[16:17], v[34:35]
	v_mul_f64 v[22:23], v[2:3], v[40:41]
	v_fma_f64 v[18:19], v[8:9], v[30:31], v[18:19]
	ds_load_b128 v[6:9], v1 offset:1264
	v_fma_f64 v[1:2], v[2:3], v[38:39], -v[28:29]
	v_add_f64 v[14:15], v[14:15], v[26:27]
	v_add_f64 v[16:17], v[16:17], v[20:21]
	s_waitcnt vmcnt(1) lgkmcnt(0)
	v_mul_f64 v[20:21], v[6:7], v[169:170]
	v_mul_f64 v[26:27], v[8:9], v[169:170]
	v_fma_f64 v[4:5], v[4:5], v[38:39], v[22:23]
	v_add_f64 v[14:15], v[14:15], v[24:25]
	v_add_f64 v[16:17], v[16:17], v[18:19]
	v_fma_f64 v[8:9], v[8:9], v[167:168], v[20:21]
	v_fma_f64 v[6:7], v[6:7], v[167:168], -v[26:27]
	s_delay_alu instid0(VALU_DEP_4) | instskip(NEXT) | instid1(VALU_DEP_4)
	v_add_f64 v[1:2], v[14:15], v[1:2]
	v_add_f64 v[3:4], v[16:17], v[4:5]
	s_delay_alu instid0(VALU_DEP_2) | instskip(NEXT) | instid1(VALU_DEP_2)
	v_add_f64 v[1:2], v[1:2], v[6:7]
	v_add_f64 v[3:4], v[3:4], v[8:9]
	s_waitcnt vmcnt(0)
	s_delay_alu instid0(VALU_DEP_2) | instskip(NEXT) | instid1(VALU_DEP_2)
	v_add_f64 v[1:2], v[10:11], -v[1:2]
	v_add_f64 v[3:4], v[12:13], -v[3:4]
	scratch_store_b128 off, v[1:4], off offset:304
	v_cmpx_lt_u32_e32 18, v122
	s_cbranch_execz .LBB39_217
; %bb.216:
	scratch_load_b128 v[1:4], v148, off
	v_mov_b32_e32 v5, 0
	s_delay_alu instid0(VALU_DEP_1)
	v_mov_b32_e32 v6, v5
	v_mov_b32_e32 v7, v5
	;; [unrolled: 1-line block ×3, first 2 shown]
	scratch_store_b128 off, v[5:8], off offset:288
	s_waitcnt vmcnt(0)
	ds_store_b128 v162, v[1:4]
.LBB39_217:
	s_or_b32 exec_lo, exec_lo, s2
	s_waitcnt lgkmcnt(0)
	s_waitcnt_vscnt null, 0x0
	s_barrier
	buffer_gl0_inv
	s_clause 0x7
	scratch_load_b128 v[2:5], off, off offset:304
	scratch_load_b128 v[6:9], off, off offset:320
	;; [unrolled: 1-line block ×8, first 2 shown]
	v_mov_b32_e32 v1, 0
	s_clause 0x1
	scratch_load_b128 v[38:41], off, off offset:432
	scratch_load_b128 v[167:170], off, off offset:448
	s_mov_b32 s2, exec_lo
	ds_load_b128 v[34:37], v1 offset:944
	ds_load_b128 v[163:166], v1 offset:960
	s_waitcnt vmcnt(9) lgkmcnt(1)
	v_mul_f64 v[171:172], v[36:37], v[4:5]
	v_mul_f64 v[4:5], v[34:35], v[4:5]
	s_waitcnt vmcnt(8) lgkmcnt(0)
	v_mul_f64 v[173:174], v[163:164], v[8:9]
	v_mul_f64 v[8:9], v[165:166], v[8:9]
	s_delay_alu instid0(VALU_DEP_4) | instskip(NEXT) | instid1(VALU_DEP_4)
	v_fma_f64 v[171:172], v[34:35], v[2:3], -v[171:172]
	v_fma_f64 v[175:176], v[36:37], v[2:3], v[4:5]
	ds_load_b128 v[2:5], v1 offset:976
	scratch_load_b128 v[34:37], off, off offset:464
	v_fma_f64 v[173:174], v[165:166], v[6:7], v[173:174]
	v_fma_f64 v[179:180], v[163:164], v[6:7], -v[8:9]
	scratch_load_b128 v[163:166], off, off offset:480
	ds_load_b128 v[6:9], v1 offset:992
	s_waitcnt vmcnt(9) lgkmcnt(1)
	v_mul_f64 v[177:178], v[2:3], v[12:13]
	v_mul_f64 v[12:13], v[4:5], v[12:13]
	s_waitcnt vmcnt(8) lgkmcnt(0)
	v_mul_f64 v[181:182], v[6:7], v[16:17]
	v_mul_f64 v[16:17], v[8:9], v[16:17]
	v_add_f64 v[171:172], v[171:172], 0
	v_add_f64 v[175:176], v[175:176], 0
	v_fma_f64 v[177:178], v[4:5], v[10:11], v[177:178]
	v_fma_f64 v[183:184], v[2:3], v[10:11], -v[12:13]
	ds_load_b128 v[2:5], v1 offset:1008
	scratch_load_b128 v[10:13], off, off offset:496
	v_add_f64 v[171:172], v[171:172], v[179:180]
	v_add_f64 v[173:174], v[175:176], v[173:174]
	v_fma_f64 v[179:180], v[8:9], v[14:15], v[181:182]
	v_fma_f64 v[181:182], v[6:7], v[14:15], -v[16:17]
	scratch_load_b128 v[14:17], off, off offset:512
	ds_load_b128 v[6:9], v1 offset:1024
	s_waitcnt vmcnt(9) lgkmcnt(1)
	v_mul_f64 v[175:176], v[2:3], v[20:21]
	v_mul_f64 v[20:21], v[4:5], v[20:21]
	v_add_f64 v[171:172], v[171:172], v[183:184]
	v_add_f64 v[173:174], v[173:174], v[177:178]
	s_waitcnt vmcnt(8) lgkmcnt(0)
	v_mul_f64 v[177:178], v[6:7], v[24:25]
	v_mul_f64 v[24:25], v[8:9], v[24:25]
	v_fma_f64 v[175:176], v[4:5], v[18:19], v[175:176]
	v_fma_f64 v[183:184], v[2:3], v[18:19], -v[20:21]
	ds_load_b128 v[2:5], v1 offset:1040
	scratch_load_b128 v[18:21], off, off offset:528
	v_add_f64 v[171:172], v[171:172], v[181:182]
	v_add_f64 v[173:174], v[173:174], v[179:180]
	v_fma_f64 v[177:178], v[8:9], v[22:23], v[177:178]
	v_fma_f64 v[181:182], v[6:7], v[22:23], -v[24:25]
	ds_load_b128 v[6:9], v1 offset:1056
	s_waitcnt vmcnt(8) lgkmcnt(1)
	v_mul_f64 v[179:180], v[2:3], v[28:29]
	v_mul_f64 v[28:29], v[4:5], v[28:29]
	scratch_load_b128 v[22:25], off, off offset:544
	v_add_f64 v[171:172], v[171:172], v[183:184]
	v_add_f64 v[173:174], v[173:174], v[175:176]
	s_waitcnt vmcnt(8) lgkmcnt(0)
	v_mul_f64 v[175:176], v[6:7], v[32:33]
	v_mul_f64 v[32:33], v[8:9], v[32:33]
	v_fma_f64 v[179:180], v[4:5], v[26:27], v[179:180]
	v_fma_f64 v[183:184], v[2:3], v[26:27], -v[28:29]
	scratch_load_b128 v[26:29], off, off offset:560
	ds_load_b128 v[2:5], v1 offset:1072
	v_add_f64 v[171:172], v[171:172], v[181:182]
	v_add_f64 v[173:174], v[173:174], v[177:178]
	v_fma_f64 v[175:176], v[8:9], v[30:31], v[175:176]
	v_fma_f64 v[181:182], v[6:7], v[30:31], -v[32:33]
	ds_load_b128 v[6:9], v1 offset:1088
	s_waitcnt vmcnt(8) lgkmcnt(1)
	v_mul_f64 v[177:178], v[2:3], v[40:41]
	v_mul_f64 v[40:41], v[4:5], v[40:41]
	scratch_load_b128 v[30:33], off, off offset:576
	v_add_f64 v[171:172], v[171:172], v[183:184]
	v_add_f64 v[173:174], v[173:174], v[179:180]
	s_waitcnt vmcnt(8) lgkmcnt(0)
	v_mul_f64 v[179:180], v[6:7], v[169:170]
	v_mul_f64 v[169:170], v[8:9], v[169:170]
	v_fma_f64 v[177:178], v[4:5], v[38:39], v[177:178]
	v_fma_f64 v[183:184], v[2:3], v[38:39], -v[40:41]
	scratch_load_b128 v[38:41], off, off offset:592
	ds_load_b128 v[2:5], v1 offset:1104
	v_add_f64 v[171:172], v[171:172], v[181:182]
	v_add_f64 v[173:174], v[173:174], v[175:176]
	v_fma_f64 v[179:180], v[8:9], v[167:168], v[179:180]
	v_fma_f64 v[181:182], v[6:7], v[167:168], -v[169:170]
	ds_load_b128 v[6:9], v1 offset:1120
	scratch_load_b128 v[167:170], off, off offset:608
	s_waitcnt vmcnt(9) lgkmcnt(1)
	v_mul_f64 v[175:176], v[2:3], v[36:37]
	v_mul_f64 v[36:37], v[4:5], v[36:37]
	v_add_f64 v[171:172], v[171:172], v[183:184]
	v_add_f64 v[173:174], v[173:174], v[177:178]
	s_waitcnt vmcnt(8) lgkmcnt(0)
	v_mul_f64 v[177:178], v[6:7], v[165:166]
	v_mul_f64 v[165:166], v[8:9], v[165:166]
	v_fma_f64 v[175:176], v[4:5], v[34:35], v[175:176]
	v_fma_f64 v[183:184], v[2:3], v[34:35], -v[36:37]
	scratch_load_b128 v[34:37], off, off offset:624
	ds_load_b128 v[2:5], v1 offset:1136
	v_add_f64 v[171:172], v[171:172], v[181:182]
	v_add_f64 v[173:174], v[173:174], v[179:180]
	v_fma_f64 v[177:178], v[8:9], v[163:164], v[177:178]
	v_fma_f64 v[163:164], v[6:7], v[163:164], -v[165:166]
	ds_load_b128 v[6:9], v1 offset:1152
	s_waitcnt vmcnt(8) lgkmcnt(1)
	v_mul_f64 v[179:180], v[2:3], v[12:13]
	v_mul_f64 v[12:13], v[4:5], v[12:13]
	v_add_f64 v[165:166], v[171:172], v[183:184]
	v_add_f64 v[171:172], v[173:174], v[175:176]
	s_waitcnt vmcnt(7) lgkmcnt(0)
	v_mul_f64 v[173:174], v[6:7], v[16:17]
	v_mul_f64 v[16:17], v[8:9], v[16:17]
	v_fma_f64 v[175:176], v[4:5], v[10:11], v[179:180]
	v_fma_f64 v[10:11], v[2:3], v[10:11], -v[12:13]
	ds_load_b128 v[2:5], v1 offset:1168
	v_add_f64 v[12:13], v[165:166], v[163:164]
	v_add_f64 v[163:164], v[171:172], v[177:178]
	v_fma_f64 v[171:172], v[8:9], v[14:15], v[173:174]
	v_fma_f64 v[14:15], v[6:7], v[14:15], -v[16:17]
	ds_load_b128 v[6:9], v1 offset:1184
	s_waitcnt vmcnt(5) lgkmcnt(0)
	v_mul_f64 v[173:174], v[6:7], v[24:25]
	v_mul_f64 v[24:25], v[8:9], v[24:25]
	v_add_f64 v[16:17], v[12:13], v[10:11]
	v_add_f64 v[163:164], v[163:164], v[175:176]
	scratch_load_b128 v[10:13], off, off offset:288
	v_mul_f64 v[165:166], v[2:3], v[20:21]
	v_mul_f64 v[20:21], v[4:5], v[20:21]
	v_add_f64 v[14:15], v[16:17], v[14:15]
	v_add_f64 v[16:17], v[163:164], v[171:172]
	v_fma_f64 v[163:164], v[8:9], v[22:23], v[173:174]
	v_fma_f64 v[165:166], v[4:5], v[18:19], v[165:166]
	v_fma_f64 v[18:19], v[2:3], v[18:19], -v[20:21]
	ds_load_b128 v[2:5], v1 offset:1200
	v_fma_f64 v[22:23], v[6:7], v[22:23], -v[24:25]
	ds_load_b128 v[6:9], v1 offset:1216
	s_waitcnt vmcnt(5) lgkmcnt(1)
	v_mul_f64 v[20:21], v[2:3], v[28:29]
	v_mul_f64 v[28:29], v[4:5], v[28:29]
	s_waitcnt vmcnt(4) lgkmcnt(0)
	v_mul_f64 v[24:25], v[8:9], v[32:33]
	v_add_f64 v[16:17], v[16:17], v[165:166]
	v_add_f64 v[14:15], v[14:15], v[18:19]
	v_mul_f64 v[18:19], v[6:7], v[32:33]
	v_fma_f64 v[20:21], v[4:5], v[26:27], v[20:21]
	v_fma_f64 v[26:27], v[2:3], v[26:27], -v[28:29]
	ds_load_b128 v[2:5], v1 offset:1232
	v_fma_f64 v[24:25], v[6:7], v[30:31], -v[24:25]
	v_add_f64 v[16:17], v[16:17], v[163:164]
	v_add_f64 v[14:15], v[14:15], v[22:23]
	v_fma_f64 v[18:19], v[8:9], v[30:31], v[18:19]
	ds_load_b128 v[6:9], v1 offset:1248
	s_waitcnt vmcnt(3) lgkmcnt(1)
	v_mul_f64 v[22:23], v[2:3], v[40:41]
	v_mul_f64 v[28:29], v[4:5], v[40:41]
	v_add_f64 v[16:17], v[16:17], v[20:21]
	v_add_f64 v[14:15], v[14:15], v[26:27]
	s_waitcnt vmcnt(2) lgkmcnt(0)
	v_mul_f64 v[20:21], v[6:7], v[169:170]
	v_mul_f64 v[26:27], v[8:9], v[169:170]
	v_fma_f64 v[22:23], v[4:5], v[38:39], v[22:23]
	v_fma_f64 v[28:29], v[2:3], v[38:39], -v[28:29]
	ds_load_b128 v[2:5], v1 offset:1264
	v_add_f64 v[16:17], v[16:17], v[18:19]
	v_add_f64 v[14:15], v[14:15], v[24:25]
	s_waitcnt vmcnt(1) lgkmcnt(0)
	v_mul_f64 v[18:19], v[2:3], v[36:37]
	v_mul_f64 v[24:25], v[4:5], v[36:37]
	v_fma_f64 v[8:9], v[8:9], v[167:168], v[20:21]
	v_fma_f64 v[6:7], v[6:7], v[167:168], -v[26:27]
	v_add_f64 v[16:17], v[16:17], v[22:23]
	v_add_f64 v[14:15], v[14:15], v[28:29]
	v_fma_f64 v[4:5], v[4:5], v[34:35], v[18:19]
	v_fma_f64 v[2:3], v[2:3], v[34:35], -v[24:25]
	s_delay_alu instid0(VALU_DEP_4) | instskip(NEXT) | instid1(VALU_DEP_4)
	v_add_f64 v[8:9], v[16:17], v[8:9]
	v_add_f64 v[6:7], v[14:15], v[6:7]
	s_delay_alu instid0(VALU_DEP_2) | instskip(NEXT) | instid1(VALU_DEP_2)
	v_add_f64 v[4:5], v[8:9], v[4:5]
	v_add_f64 v[2:3], v[6:7], v[2:3]
	s_waitcnt vmcnt(0)
	s_delay_alu instid0(VALU_DEP_2) | instskip(NEXT) | instid1(VALU_DEP_2)
	v_add_f64 v[4:5], v[12:13], -v[4:5]
	v_add_f64 v[2:3], v[10:11], -v[2:3]
	scratch_store_b128 off, v[2:5], off offset:288
	v_cmpx_lt_u32_e32 17, v122
	s_cbranch_execz .LBB39_219
; %bb.218:
	scratch_load_b128 v[5:8], v149, off
	v_mov_b32_e32 v2, v1
	v_mov_b32_e32 v3, v1
	;; [unrolled: 1-line block ×3, first 2 shown]
	scratch_store_b128 off, v[1:4], off offset:272
	s_waitcnt vmcnt(0)
	ds_store_b128 v162, v[5:8]
.LBB39_219:
	s_or_b32 exec_lo, exec_lo, s2
	s_waitcnt lgkmcnt(0)
	s_waitcnt_vscnt null, 0x0
	s_barrier
	buffer_gl0_inv
	s_clause 0x7
	scratch_load_b128 v[2:5], off, off offset:288
	scratch_load_b128 v[6:9], off, off offset:304
	;; [unrolled: 1-line block ×8, first 2 shown]
	ds_load_b128 v[34:37], v1 offset:928
	ds_load_b128 v[163:166], v1 offset:944
	s_clause 0x1
	scratch_load_b128 v[38:41], off, off offset:416
	scratch_load_b128 v[167:170], off, off offset:432
	s_mov_b32 s2, exec_lo
	s_waitcnt vmcnt(9) lgkmcnt(1)
	v_mul_f64 v[171:172], v[36:37], v[4:5]
	v_mul_f64 v[4:5], v[34:35], v[4:5]
	s_waitcnt vmcnt(8) lgkmcnt(0)
	v_mul_f64 v[173:174], v[163:164], v[8:9]
	v_mul_f64 v[8:9], v[165:166], v[8:9]
	s_delay_alu instid0(VALU_DEP_4) | instskip(NEXT) | instid1(VALU_DEP_4)
	v_fma_f64 v[171:172], v[34:35], v[2:3], -v[171:172]
	v_fma_f64 v[175:176], v[36:37], v[2:3], v[4:5]
	ds_load_b128 v[2:5], v1 offset:960
	scratch_load_b128 v[34:37], off, off offset:448
	v_fma_f64 v[173:174], v[165:166], v[6:7], v[173:174]
	v_fma_f64 v[179:180], v[163:164], v[6:7], -v[8:9]
	scratch_load_b128 v[163:166], off, off offset:464
	ds_load_b128 v[6:9], v1 offset:976
	s_waitcnt vmcnt(9) lgkmcnt(1)
	v_mul_f64 v[177:178], v[2:3], v[12:13]
	v_mul_f64 v[12:13], v[4:5], v[12:13]
	s_waitcnt vmcnt(8) lgkmcnt(0)
	v_mul_f64 v[181:182], v[6:7], v[16:17]
	v_mul_f64 v[16:17], v[8:9], v[16:17]
	v_add_f64 v[171:172], v[171:172], 0
	v_add_f64 v[175:176], v[175:176], 0
	v_fma_f64 v[177:178], v[4:5], v[10:11], v[177:178]
	v_fma_f64 v[183:184], v[2:3], v[10:11], -v[12:13]
	ds_load_b128 v[2:5], v1 offset:992
	scratch_load_b128 v[10:13], off, off offset:480
	v_add_f64 v[171:172], v[171:172], v[179:180]
	v_add_f64 v[173:174], v[175:176], v[173:174]
	v_fma_f64 v[179:180], v[8:9], v[14:15], v[181:182]
	v_fma_f64 v[181:182], v[6:7], v[14:15], -v[16:17]
	scratch_load_b128 v[14:17], off, off offset:496
	ds_load_b128 v[6:9], v1 offset:1008
	s_waitcnt vmcnt(9) lgkmcnt(1)
	v_mul_f64 v[175:176], v[2:3], v[20:21]
	v_mul_f64 v[20:21], v[4:5], v[20:21]
	v_add_f64 v[171:172], v[171:172], v[183:184]
	v_add_f64 v[173:174], v[173:174], v[177:178]
	s_waitcnt vmcnt(8) lgkmcnt(0)
	v_mul_f64 v[177:178], v[6:7], v[24:25]
	v_mul_f64 v[24:25], v[8:9], v[24:25]
	v_fma_f64 v[175:176], v[4:5], v[18:19], v[175:176]
	v_fma_f64 v[183:184], v[2:3], v[18:19], -v[20:21]
	ds_load_b128 v[2:5], v1 offset:1024
	scratch_load_b128 v[18:21], off, off offset:512
	v_add_f64 v[171:172], v[171:172], v[181:182]
	v_add_f64 v[173:174], v[173:174], v[179:180]
	v_fma_f64 v[177:178], v[8:9], v[22:23], v[177:178]
	v_fma_f64 v[181:182], v[6:7], v[22:23], -v[24:25]
	ds_load_b128 v[6:9], v1 offset:1040
	s_waitcnt vmcnt(8) lgkmcnt(1)
	v_mul_f64 v[179:180], v[2:3], v[28:29]
	v_mul_f64 v[28:29], v[4:5], v[28:29]
	scratch_load_b128 v[22:25], off, off offset:528
	v_add_f64 v[171:172], v[171:172], v[183:184]
	v_add_f64 v[173:174], v[173:174], v[175:176]
	s_waitcnt vmcnt(8) lgkmcnt(0)
	v_mul_f64 v[175:176], v[6:7], v[32:33]
	v_mul_f64 v[32:33], v[8:9], v[32:33]
	v_fma_f64 v[179:180], v[4:5], v[26:27], v[179:180]
	v_fma_f64 v[183:184], v[2:3], v[26:27], -v[28:29]
	ds_load_b128 v[2:5], v1 offset:1056
	scratch_load_b128 v[26:29], off, off offset:544
	v_add_f64 v[171:172], v[171:172], v[181:182]
	v_add_f64 v[173:174], v[173:174], v[177:178]
	v_fma_f64 v[175:176], v[8:9], v[30:31], v[175:176]
	v_fma_f64 v[181:182], v[6:7], v[30:31], -v[32:33]
	ds_load_b128 v[6:9], v1 offset:1072
	s_waitcnt vmcnt(8) lgkmcnt(1)
	v_mul_f64 v[177:178], v[2:3], v[40:41]
	v_mul_f64 v[40:41], v[4:5], v[40:41]
	scratch_load_b128 v[30:33], off, off offset:560
	v_add_f64 v[171:172], v[171:172], v[183:184]
	v_add_f64 v[173:174], v[173:174], v[179:180]
	s_waitcnt vmcnt(8) lgkmcnt(0)
	v_mul_f64 v[179:180], v[6:7], v[169:170]
	v_mul_f64 v[169:170], v[8:9], v[169:170]
	v_fma_f64 v[177:178], v[4:5], v[38:39], v[177:178]
	v_fma_f64 v[183:184], v[2:3], v[38:39], -v[40:41]
	scratch_load_b128 v[38:41], off, off offset:576
	ds_load_b128 v[2:5], v1 offset:1088
	v_add_f64 v[171:172], v[171:172], v[181:182]
	v_add_f64 v[173:174], v[173:174], v[175:176]
	v_fma_f64 v[179:180], v[8:9], v[167:168], v[179:180]
	v_fma_f64 v[181:182], v[6:7], v[167:168], -v[169:170]
	ds_load_b128 v[6:9], v1 offset:1104
	scratch_load_b128 v[167:170], off, off offset:592
	s_waitcnt vmcnt(9) lgkmcnt(1)
	v_mul_f64 v[175:176], v[2:3], v[36:37]
	v_mul_f64 v[36:37], v[4:5], v[36:37]
	v_add_f64 v[171:172], v[171:172], v[183:184]
	v_add_f64 v[173:174], v[173:174], v[177:178]
	s_waitcnt vmcnt(8) lgkmcnt(0)
	v_mul_f64 v[177:178], v[6:7], v[165:166]
	v_mul_f64 v[165:166], v[8:9], v[165:166]
	v_fma_f64 v[175:176], v[4:5], v[34:35], v[175:176]
	v_fma_f64 v[183:184], v[2:3], v[34:35], -v[36:37]
	scratch_load_b128 v[34:37], off, off offset:608
	ds_load_b128 v[2:5], v1 offset:1120
	v_add_f64 v[171:172], v[171:172], v[181:182]
	v_add_f64 v[173:174], v[173:174], v[179:180]
	v_fma_f64 v[177:178], v[8:9], v[163:164], v[177:178]
	v_fma_f64 v[181:182], v[6:7], v[163:164], -v[165:166]
	ds_load_b128 v[6:9], v1 offset:1136
	s_waitcnt vmcnt(8) lgkmcnt(1)
	v_mul_f64 v[179:180], v[2:3], v[12:13]
	v_mul_f64 v[12:13], v[4:5], v[12:13]
	scratch_load_b128 v[163:166], off, off offset:624
	v_add_f64 v[171:172], v[171:172], v[183:184]
	v_add_f64 v[173:174], v[173:174], v[175:176]
	s_waitcnt vmcnt(8) lgkmcnt(0)
	v_mul_f64 v[175:176], v[6:7], v[16:17]
	v_mul_f64 v[16:17], v[8:9], v[16:17]
	v_fma_f64 v[179:180], v[4:5], v[10:11], v[179:180]
	v_fma_f64 v[10:11], v[2:3], v[10:11], -v[12:13]
	ds_load_b128 v[2:5], v1 offset:1152
	v_add_f64 v[12:13], v[171:172], v[181:182]
	v_add_f64 v[171:172], v[173:174], v[177:178]
	v_fma_f64 v[175:176], v[8:9], v[14:15], v[175:176]
	v_fma_f64 v[14:15], v[6:7], v[14:15], -v[16:17]
	ds_load_b128 v[6:9], v1 offset:1168
	s_waitcnt vmcnt(7) lgkmcnt(1)
	v_mul_f64 v[173:174], v[2:3], v[20:21]
	v_mul_f64 v[20:21], v[4:5], v[20:21]
	v_add_f64 v[10:11], v[12:13], v[10:11]
	v_add_f64 v[12:13], v[171:172], v[179:180]
	s_delay_alu instid0(VALU_DEP_4) | instskip(NEXT) | instid1(VALU_DEP_4)
	v_fma_f64 v[171:172], v[4:5], v[18:19], v[173:174]
	v_fma_f64 v[18:19], v[2:3], v[18:19], -v[20:21]
	ds_load_b128 v[2:5], v1 offset:1184
	v_add_f64 v[14:15], v[10:11], v[14:15]
	v_add_f64 v[20:21], v[12:13], v[175:176]
	scratch_load_b128 v[10:13], off, off offset:272
	s_waitcnt vmcnt(7) lgkmcnt(1)
	v_mul_f64 v[16:17], v[6:7], v[24:25]
	v_mul_f64 v[24:25], v[8:9], v[24:25]
	v_add_f64 v[14:15], v[14:15], v[18:19]
	v_add_f64 v[18:19], v[20:21], v[171:172]
	s_delay_alu instid0(VALU_DEP_4) | instskip(NEXT) | instid1(VALU_DEP_4)
	v_fma_f64 v[16:17], v[8:9], v[22:23], v[16:17]
	v_fma_f64 v[22:23], v[6:7], v[22:23], -v[24:25]
	ds_load_b128 v[6:9], v1 offset:1200
	s_waitcnt vmcnt(6) lgkmcnt(1)
	v_mul_f64 v[173:174], v[2:3], v[28:29]
	v_mul_f64 v[28:29], v[4:5], v[28:29]
	s_waitcnt vmcnt(5) lgkmcnt(0)
	v_mul_f64 v[20:21], v[6:7], v[32:33]
	v_mul_f64 v[24:25], v[8:9], v[32:33]
	v_add_f64 v[16:17], v[18:19], v[16:17]
	v_add_f64 v[14:15], v[14:15], v[22:23]
	v_fma_f64 v[32:33], v[4:5], v[26:27], v[173:174]
	v_fma_f64 v[26:27], v[2:3], v[26:27], -v[28:29]
	ds_load_b128 v[2:5], v1 offset:1216
	v_fma_f64 v[20:21], v[8:9], v[30:31], v[20:21]
	v_fma_f64 v[24:25], v[6:7], v[30:31], -v[24:25]
	ds_load_b128 v[6:9], v1 offset:1232
	s_waitcnt vmcnt(4) lgkmcnt(1)
	v_mul_f64 v[18:19], v[2:3], v[40:41]
	v_mul_f64 v[22:23], v[4:5], v[40:41]
	v_add_f64 v[16:17], v[16:17], v[32:33]
	v_add_f64 v[14:15], v[14:15], v[26:27]
	s_waitcnt vmcnt(3) lgkmcnt(0)
	v_mul_f64 v[26:27], v[6:7], v[169:170]
	v_mul_f64 v[28:29], v[8:9], v[169:170]
	v_fma_f64 v[18:19], v[4:5], v[38:39], v[18:19]
	v_fma_f64 v[22:23], v[2:3], v[38:39], -v[22:23]
	ds_load_b128 v[2:5], v1 offset:1248
	v_add_f64 v[16:17], v[16:17], v[20:21]
	v_add_f64 v[14:15], v[14:15], v[24:25]
	v_fma_f64 v[26:27], v[8:9], v[167:168], v[26:27]
	v_fma_f64 v[28:29], v[6:7], v[167:168], -v[28:29]
	ds_load_b128 v[6:9], v1 offset:1264
	s_waitcnt vmcnt(2) lgkmcnt(1)
	v_mul_f64 v[20:21], v[2:3], v[36:37]
	v_mul_f64 v[24:25], v[4:5], v[36:37]
	v_add_f64 v[16:17], v[16:17], v[18:19]
	v_add_f64 v[14:15], v[14:15], v[22:23]
	s_waitcnt vmcnt(1) lgkmcnt(0)
	v_mul_f64 v[18:19], v[6:7], v[165:166]
	v_mul_f64 v[22:23], v[8:9], v[165:166]
	v_fma_f64 v[4:5], v[4:5], v[34:35], v[20:21]
	v_fma_f64 v[1:2], v[2:3], v[34:35], -v[24:25]
	v_add_f64 v[16:17], v[16:17], v[26:27]
	v_add_f64 v[14:15], v[14:15], v[28:29]
	v_fma_f64 v[8:9], v[8:9], v[163:164], v[18:19]
	v_fma_f64 v[6:7], v[6:7], v[163:164], -v[22:23]
	s_delay_alu instid0(VALU_DEP_4) | instskip(NEXT) | instid1(VALU_DEP_4)
	v_add_f64 v[3:4], v[16:17], v[4:5]
	v_add_f64 v[1:2], v[14:15], v[1:2]
	s_delay_alu instid0(VALU_DEP_2) | instskip(NEXT) | instid1(VALU_DEP_2)
	v_add_f64 v[3:4], v[3:4], v[8:9]
	v_add_f64 v[1:2], v[1:2], v[6:7]
	s_waitcnt vmcnt(0)
	s_delay_alu instid0(VALU_DEP_2) | instskip(NEXT) | instid1(VALU_DEP_2)
	v_add_f64 v[3:4], v[12:13], -v[3:4]
	v_add_f64 v[1:2], v[10:11], -v[1:2]
	scratch_store_b128 off, v[1:4], off offset:272
	v_cmpx_lt_u32_e32 16, v122
	s_cbranch_execz .LBB39_221
; %bb.220:
	scratch_load_b128 v[1:4], v150, off
	v_mov_b32_e32 v5, 0
	s_delay_alu instid0(VALU_DEP_1)
	v_mov_b32_e32 v6, v5
	v_mov_b32_e32 v7, v5
	;; [unrolled: 1-line block ×3, first 2 shown]
	scratch_store_b128 off, v[5:8], off offset:256
	s_waitcnt vmcnt(0)
	ds_store_b128 v162, v[1:4]
.LBB39_221:
	s_or_b32 exec_lo, exec_lo, s2
	s_waitcnt lgkmcnt(0)
	s_waitcnt_vscnt null, 0x0
	s_barrier
	buffer_gl0_inv
	s_clause 0x7
	scratch_load_b128 v[2:5], off, off offset:272
	scratch_load_b128 v[6:9], off, off offset:288
	scratch_load_b128 v[10:13], off, off offset:304
	scratch_load_b128 v[14:17], off, off offset:320
	scratch_load_b128 v[18:21], off, off offset:336
	scratch_load_b128 v[22:25], off, off offset:352
	scratch_load_b128 v[26:29], off, off offset:368
	scratch_load_b128 v[30:33], off, off offset:384
	v_mov_b32_e32 v1, 0
	s_clause 0x1
	scratch_load_b128 v[38:41], off, off offset:400
	scratch_load_b128 v[167:170], off, off offset:416
	s_mov_b32 s2, exec_lo
	ds_load_b128 v[34:37], v1 offset:912
	ds_load_b128 v[163:166], v1 offset:928
	s_waitcnt vmcnt(9) lgkmcnt(1)
	v_mul_f64 v[171:172], v[36:37], v[4:5]
	v_mul_f64 v[4:5], v[34:35], v[4:5]
	s_waitcnt vmcnt(8) lgkmcnt(0)
	v_mul_f64 v[173:174], v[163:164], v[8:9]
	v_mul_f64 v[8:9], v[165:166], v[8:9]
	s_delay_alu instid0(VALU_DEP_4) | instskip(NEXT) | instid1(VALU_DEP_4)
	v_fma_f64 v[171:172], v[34:35], v[2:3], -v[171:172]
	v_fma_f64 v[175:176], v[36:37], v[2:3], v[4:5]
	ds_load_b128 v[2:5], v1 offset:944
	scratch_load_b128 v[34:37], off, off offset:432
	v_fma_f64 v[173:174], v[165:166], v[6:7], v[173:174]
	v_fma_f64 v[179:180], v[163:164], v[6:7], -v[8:9]
	scratch_load_b128 v[163:166], off, off offset:448
	ds_load_b128 v[6:9], v1 offset:960
	s_waitcnt vmcnt(9) lgkmcnt(1)
	v_mul_f64 v[177:178], v[2:3], v[12:13]
	v_mul_f64 v[12:13], v[4:5], v[12:13]
	s_waitcnt vmcnt(8) lgkmcnt(0)
	v_mul_f64 v[181:182], v[6:7], v[16:17]
	v_mul_f64 v[16:17], v[8:9], v[16:17]
	v_add_f64 v[171:172], v[171:172], 0
	v_add_f64 v[175:176], v[175:176], 0
	v_fma_f64 v[177:178], v[4:5], v[10:11], v[177:178]
	v_fma_f64 v[183:184], v[2:3], v[10:11], -v[12:13]
	ds_load_b128 v[2:5], v1 offset:976
	scratch_load_b128 v[10:13], off, off offset:464
	v_add_f64 v[171:172], v[171:172], v[179:180]
	v_add_f64 v[173:174], v[175:176], v[173:174]
	v_fma_f64 v[179:180], v[8:9], v[14:15], v[181:182]
	v_fma_f64 v[181:182], v[6:7], v[14:15], -v[16:17]
	scratch_load_b128 v[14:17], off, off offset:480
	ds_load_b128 v[6:9], v1 offset:992
	s_waitcnt vmcnt(9) lgkmcnt(1)
	v_mul_f64 v[175:176], v[2:3], v[20:21]
	v_mul_f64 v[20:21], v[4:5], v[20:21]
	v_add_f64 v[171:172], v[171:172], v[183:184]
	v_add_f64 v[173:174], v[173:174], v[177:178]
	s_waitcnt vmcnt(8) lgkmcnt(0)
	v_mul_f64 v[177:178], v[6:7], v[24:25]
	v_mul_f64 v[24:25], v[8:9], v[24:25]
	v_fma_f64 v[175:176], v[4:5], v[18:19], v[175:176]
	v_fma_f64 v[183:184], v[2:3], v[18:19], -v[20:21]
	ds_load_b128 v[2:5], v1 offset:1008
	scratch_load_b128 v[18:21], off, off offset:496
	v_add_f64 v[171:172], v[171:172], v[181:182]
	v_add_f64 v[173:174], v[173:174], v[179:180]
	v_fma_f64 v[177:178], v[8:9], v[22:23], v[177:178]
	v_fma_f64 v[181:182], v[6:7], v[22:23], -v[24:25]
	scratch_load_b128 v[22:25], off, off offset:512
	ds_load_b128 v[6:9], v1 offset:1024
	s_waitcnt vmcnt(9) lgkmcnt(1)
	v_mul_f64 v[179:180], v[2:3], v[28:29]
	v_mul_f64 v[28:29], v[4:5], v[28:29]
	v_add_f64 v[171:172], v[171:172], v[183:184]
	v_add_f64 v[173:174], v[173:174], v[175:176]
	s_waitcnt vmcnt(8) lgkmcnt(0)
	v_mul_f64 v[175:176], v[6:7], v[32:33]
	v_mul_f64 v[32:33], v[8:9], v[32:33]
	v_fma_f64 v[179:180], v[4:5], v[26:27], v[179:180]
	v_fma_f64 v[183:184], v[2:3], v[26:27], -v[28:29]
	ds_load_b128 v[2:5], v1 offset:1040
	scratch_load_b128 v[26:29], off, off offset:528
	v_add_f64 v[171:172], v[171:172], v[181:182]
	v_add_f64 v[173:174], v[173:174], v[177:178]
	v_fma_f64 v[175:176], v[8:9], v[30:31], v[175:176]
	v_fma_f64 v[181:182], v[6:7], v[30:31], -v[32:33]
	ds_load_b128 v[6:9], v1 offset:1056
	s_waitcnt vmcnt(8) lgkmcnt(1)
	v_mul_f64 v[177:178], v[2:3], v[40:41]
	v_mul_f64 v[40:41], v[4:5], v[40:41]
	scratch_load_b128 v[30:33], off, off offset:544
	v_add_f64 v[171:172], v[171:172], v[183:184]
	v_add_f64 v[173:174], v[173:174], v[179:180]
	s_waitcnt vmcnt(8) lgkmcnt(0)
	v_mul_f64 v[179:180], v[6:7], v[169:170]
	v_mul_f64 v[169:170], v[8:9], v[169:170]
	v_fma_f64 v[177:178], v[4:5], v[38:39], v[177:178]
	v_fma_f64 v[183:184], v[2:3], v[38:39], -v[40:41]
	scratch_load_b128 v[38:41], off, off offset:560
	ds_load_b128 v[2:5], v1 offset:1072
	v_add_f64 v[171:172], v[171:172], v[181:182]
	v_add_f64 v[173:174], v[173:174], v[175:176]
	v_fma_f64 v[179:180], v[8:9], v[167:168], v[179:180]
	v_fma_f64 v[181:182], v[6:7], v[167:168], -v[169:170]
	ds_load_b128 v[6:9], v1 offset:1088
	scratch_load_b128 v[167:170], off, off offset:576
	s_waitcnt vmcnt(9) lgkmcnt(1)
	v_mul_f64 v[175:176], v[2:3], v[36:37]
	v_mul_f64 v[36:37], v[4:5], v[36:37]
	v_add_f64 v[171:172], v[171:172], v[183:184]
	v_add_f64 v[173:174], v[173:174], v[177:178]
	s_waitcnt vmcnt(8) lgkmcnt(0)
	v_mul_f64 v[177:178], v[6:7], v[165:166]
	v_mul_f64 v[165:166], v[8:9], v[165:166]
	v_fma_f64 v[175:176], v[4:5], v[34:35], v[175:176]
	v_fma_f64 v[183:184], v[2:3], v[34:35], -v[36:37]
	scratch_load_b128 v[34:37], off, off offset:592
	ds_load_b128 v[2:5], v1 offset:1104
	v_add_f64 v[171:172], v[171:172], v[181:182]
	v_add_f64 v[173:174], v[173:174], v[179:180]
	v_fma_f64 v[177:178], v[8:9], v[163:164], v[177:178]
	v_fma_f64 v[181:182], v[6:7], v[163:164], -v[165:166]
	ds_load_b128 v[6:9], v1 offset:1120
	s_waitcnt vmcnt(8) lgkmcnt(1)
	v_mul_f64 v[179:180], v[2:3], v[12:13]
	v_mul_f64 v[12:13], v[4:5], v[12:13]
	scratch_load_b128 v[163:166], off, off offset:608
	v_add_f64 v[171:172], v[171:172], v[183:184]
	v_add_f64 v[173:174], v[173:174], v[175:176]
	s_waitcnt vmcnt(8) lgkmcnt(0)
	v_mul_f64 v[175:176], v[6:7], v[16:17]
	v_mul_f64 v[16:17], v[8:9], v[16:17]
	v_fma_f64 v[179:180], v[4:5], v[10:11], v[179:180]
	v_fma_f64 v[183:184], v[2:3], v[10:11], -v[12:13]
	scratch_load_b128 v[10:13], off, off offset:624
	ds_load_b128 v[2:5], v1 offset:1136
	v_add_f64 v[171:172], v[171:172], v[181:182]
	v_add_f64 v[173:174], v[173:174], v[177:178]
	v_fma_f64 v[175:176], v[8:9], v[14:15], v[175:176]
	v_fma_f64 v[14:15], v[6:7], v[14:15], -v[16:17]
	ds_load_b128 v[6:9], v1 offset:1152
	s_waitcnt vmcnt(8) lgkmcnt(1)
	v_mul_f64 v[177:178], v[2:3], v[20:21]
	v_mul_f64 v[20:21], v[4:5], v[20:21]
	v_add_f64 v[16:17], v[171:172], v[183:184]
	v_add_f64 v[171:172], v[173:174], v[179:180]
	s_waitcnt vmcnt(7) lgkmcnt(0)
	v_mul_f64 v[173:174], v[6:7], v[24:25]
	v_mul_f64 v[24:25], v[8:9], v[24:25]
	v_fma_f64 v[177:178], v[4:5], v[18:19], v[177:178]
	v_fma_f64 v[18:19], v[2:3], v[18:19], -v[20:21]
	ds_load_b128 v[2:5], v1 offset:1168
	v_add_f64 v[14:15], v[16:17], v[14:15]
	v_add_f64 v[16:17], v[171:172], v[175:176]
	v_fma_f64 v[171:172], v[8:9], v[22:23], v[173:174]
	v_fma_f64 v[22:23], v[6:7], v[22:23], -v[24:25]
	ds_load_b128 v[6:9], v1 offset:1184
	s_waitcnt vmcnt(5) lgkmcnt(0)
	v_mul_f64 v[173:174], v[6:7], v[32:33]
	v_mul_f64 v[32:33], v[8:9], v[32:33]
	v_add_f64 v[18:19], v[14:15], v[18:19]
	v_add_f64 v[24:25], v[16:17], v[177:178]
	scratch_load_b128 v[14:17], off, off offset:256
	v_mul_f64 v[20:21], v[2:3], v[28:29]
	v_mul_f64 v[28:29], v[4:5], v[28:29]
	v_add_f64 v[18:19], v[18:19], v[22:23]
	v_add_f64 v[22:23], v[24:25], v[171:172]
	s_delay_alu instid0(VALU_DEP_4) | instskip(NEXT) | instid1(VALU_DEP_4)
	v_fma_f64 v[20:21], v[4:5], v[26:27], v[20:21]
	v_fma_f64 v[26:27], v[2:3], v[26:27], -v[28:29]
	ds_load_b128 v[2:5], v1 offset:1200
	s_waitcnt vmcnt(5) lgkmcnt(0)
	v_mul_f64 v[24:25], v[2:3], v[40:41]
	v_mul_f64 v[28:29], v[4:5], v[40:41]
	v_fma_f64 v[40:41], v[8:9], v[30:31], v[173:174]
	v_fma_f64 v[30:31], v[6:7], v[30:31], -v[32:33]
	ds_load_b128 v[6:9], v1 offset:1216
	v_add_f64 v[20:21], v[22:23], v[20:21]
	v_add_f64 v[18:19], v[18:19], v[26:27]
	v_fma_f64 v[24:25], v[4:5], v[38:39], v[24:25]
	v_fma_f64 v[28:29], v[2:3], v[38:39], -v[28:29]
	ds_load_b128 v[2:5], v1 offset:1232
	s_waitcnt vmcnt(4) lgkmcnt(1)
	v_mul_f64 v[22:23], v[6:7], v[169:170]
	v_mul_f64 v[26:27], v[8:9], v[169:170]
	v_add_f64 v[20:21], v[20:21], v[40:41]
	v_add_f64 v[18:19], v[18:19], v[30:31]
	s_waitcnt vmcnt(3) lgkmcnt(0)
	v_mul_f64 v[30:31], v[2:3], v[36:37]
	v_mul_f64 v[32:33], v[4:5], v[36:37]
	v_fma_f64 v[22:23], v[8:9], v[167:168], v[22:23]
	v_fma_f64 v[26:27], v[6:7], v[167:168], -v[26:27]
	ds_load_b128 v[6:9], v1 offset:1248
	v_add_f64 v[20:21], v[20:21], v[24:25]
	v_add_f64 v[18:19], v[18:19], v[28:29]
	v_fma_f64 v[30:31], v[4:5], v[34:35], v[30:31]
	v_fma_f64 v[32:33], v[2:3], v[34:35], -v[32:33]
	ds_load_b128 v[2:5], v1 offset:1264
	s_waitcnt vmcnt(2) lgkmcnt(1)
	v_mul_f64 v[24:25], v[6:7], v[165:166]
	v_mul_f64 v[28:29], v[8:9], v[165:166]
	v_add_f64 v[20:21], v[20:21], v[22:23]
	v_add_f64 v[18:19], v[18:19], v[26:27]
	s_waitcnt vmcnt(1) lgkmcnt(0)
	v_mul_f64 v[22:23], v[2:3], v[12:13]
	v_mul_f64 v[12:13], v[4:5], v[12:13]
	v_fma_f64 v[8:9], v[8:9], v[163:164], v[24:25]
	v_fma_f64 v[6:7], v[6:7], v[163:164], -v[28:29]
	v_add_f64 v[20:21], v[20:21], v[30:31]
	v_add_f64 v[18:19], v[18:19], v[32:33]
	v_fma_f64 v[4:5], v[4:5], v[10:11], v[22:23]
	v_fma_f64 v[2:3], v[2:3], v[10:11], -v[12:13]
	s_delay_alu instid0(VALU_DEP_4) | instskip(NEXT) | instid1(VALU_DEP_4)
	v_add_f64 v[8:9], v[20:21], v[8:9]
	v_add_f64 v[6:7], v[18:19], v[6:7]
	s_delay_alu instid0(VALU_DEP_2) | instskip(NEXT) | instid1(VALU_DEP_2)
	v_add_f64 v[4:5], v[8:9], v[4:5]
	v_add_f64 v[2:3], v[6:7], v[2:3]
	s_waitcnt vmcnt(0)
	s_delay_alu instid0(VALU_DEP_2) | instskip(NEXT) | instid1(VALU_DEP_2)
	v_add_f64 v[4:5], v[16:17], -v[4:5]
	v_add_f64 v[2:3], v[14:15], -v[2:3]
	scratch_store_b128 off, v[2:5], off offset:256
	v_cmpx_lt_u32_e32 15, v122
	s_cbranch_execz .LBB39_223
; %bb.222:
	scratch_load_b128 v[5:8], v151, off
	v_mov_b32_e32 v2, v1
	v_mov_b32_e32 v3, v1
	;; [unrolled: 1-line block ×3, first 2 shown]
	scratch_store_b128 off, v[1:4], off offset:240
	s_waitcnt vmcnt(0)
	ds_store_b128 v162, v[5:8]
.LBB39_223:
	s_or_b32 exec_lo, exec_lo, s2
	s_waitcnt lgkmcnt(0)
	s_waitcnt_vscnt null, 0x0
	s_barrier
	buffer_gl0_inv
	s_clause 0x7
	scratch_load_b128 v[2:5], off, off offset:256
	scratch_load_b128 v[6:9], off, off offset:272
	;; [unrolled: 1-line block ×8, first 2 shown]
	ds_load_b128 v[34:37], v1 offset:896
	ds_load_b128 v[163:166], v1 offset:912
	s_clause 0x1
	scratch_load_b128 v[38:41], off, off offset:384
	scratch_load_b128 v[167:170], off, off offset:400
	s_mov_b32 s2, exec_lo
	s_waitcnt vmcnt(9) lgkmcnt(1)
	v_mul_f64 v[171:172], v[36:37], v[4:5]
	v_mul_f64 v[4:5], v[34:35], v[4:5]
	s_waitcnt vmcnt(8) lgkmcnt(0)
	v_mul_f64 v[173:174], v[163:164], v[8:9]
	v_mul_f64 v[8:9], v[165:166], v[8:9]
	s_delay_alu instid0(VALU_DEP_4) | instskip(NEXT) | instid1(VALU_DEP_4)
	v_fma_f64 v[171:172], v[34:35], v[2:3], -v[171:172]
	v_fma_f64 v[175:176], v[36:37], v[2:3], v[4:5]
	ds_load_b128 v[2:5], v1 offset:928
	scratch_load_b128 v[34:37], off, off offset:416
	v_fma_f64 v[173:174], v[165:166], v[6:7], v[173:174]
	v_fma_f64 v[179:180], v[163:164], v[6:7], -v[8:9]
	scratch_load_b128 v[163:166], off, off offset:432
	ds_load_b128 v[6:9], v1 offset:944
	s_waitcnt vmcnt(9) lgkmcnt(1)
	v_mul_f64 v[177:178], v[2:3], v[12:13]
	v_mul_f64 v[12:13], v[4:5], v[12:13]
	s_waitcnt vmcnt(8) lgkmcnt(0)
	v_mul_f64 v[181:182], v[6:7], v[16:17]
	v_mul_f64 v[16:17], v[8:9], v[16:17]
	v_add_f64 v[171:172], v[171:172], 0
	v_add_f64 v[175:176], v[175:176], 0
	v_fma_f64 v[177:178], v[4:5], v[10:11], v[177:178]
	v_fma_f64 v[183:184], v[2:3], v[10:11], -v[12:13]
	ds_load_b128 v[2:5], v1 offset:960
	scratch_load_b128 v[10:13], off, off offset:448
	v_add_f64 v[171:172], v[171:172], v[179:180]
	v_add_f64 v[173:174], v[175:176], v[173:174]
	v_fma_f64 v[179:180], v[8:9], v[14:15], v[181:182]
	v_fma_f64 v[181:182], v[6:7], v[14:15], -v[16:17]
	scratch_load_b128 v[14:17], off, off offset:464
	ds_load_b128 v[6:9], v1 offset:976
	s_waitcnt vmcnt(9) lgkmcnt(1)
	v_mul_f64 v[175:176], v[2:3], v[20:21]
	v_mul_f64 v[20:21], v[4:5], v[20:21]
	v_add_f64 v[171:172], v[171:172], v[183:184]
	v_add_f64 v[173:174], v[173:174], v[177:178]
	s_waitcnt vmcnt(8) lgkmcnt(0)
	v_mul_f64 v[177:178], v[6:7], v[24:25]
	v_mul_f64 v[24:25], v[8:9], v[24:25]
	v_fma_f64 v[175:176], v[4:5], v[18:19], v[175:176]
	v_fma_f64 v[183:184], v[2:3], v[18:19], -v[20:21]
	ds_load_b128 v[2:5], v1 offset:992
	scratch_load_b128 v[18:21], off, off offset:480
	v_add_f64 v[171:172], v[171:172], v[181:182]
	v_add_f64 v[173:174], v[173:174], v[179:180]
	v_fma_f64 v[177:178], v[8:9], v[22:23], v[177:178]
	v_fma_f64 v[181:182], v[6:7], v[22:23], -v[24:25]
	scratch_load_b128 v[22:25], off, off offset:496
	ds_load_b128 v[6:9], v1 offset:1008
	s_waitcnt vmcnt(9) lgkmcnt(1)
	v_mul_f64 v[179:180], v[2:3], v[28:29]
	v_mul_f64 v[28:29], v[4:5], v[28:29]
	v_add_f64 v[171:172], v[171:172], v[183:184]
	v_add_f64 v[173:174], v[173:174], v[175:176]
	s_waitcnt vmcnt(8) lgkmcnt(0)
	v_mul_f64 v[175:176], v[6:7], v[32:33]
	v_mul_f64 v[32:33], v[8:9], v[32:33]
	v_fma_f64 v[179:180], v[4:5], v[26:27], v[179:180]
	v_fma_f64 v[183:184], v[2:3], v[26:27], -v[28:29]
	ds_load_b128 v[2:5], v1 offset:1024
	scratch_load_b128 v[26:29], off, off offset:512
	v_add_f64 v[171:172], v[171:172], v[181:182]
	v_add_f64 v[173:174], v[173:174], v[177:178]
	v_fma_f64 v[175:176], v[8:9], v[30:31], v[175:176]
	v_fma_f64 v[181:182], v[6:7], v[30:31], -v[32:33]
	ds_load_b128 v[6:9], v1 offset:1040
	s_waitcnt vmcnt(8) lgkmcnt(1)
	v_mul_f64 v[177:178], v[2:3], v[40:41]
	v_mul_f64 v[40:41], v[4:5], v[40:41]
	scratch_load_b128 v[30:33], off, off offset:528
	v_add_f64 v[171:172], v[171:172], v[183:184]
	v_add_f64 v[173:174], v[173:174], v[179:180]
	s_waitcnt vmcnt(8) lgkmcnt(0)
	v_mul_f64 v[179:180], v[6:7], v[169:170]
	v_mul_f64 v[169:170], v[8:9], v[169:170]
	v_fma_f64 v[177:178], v[4:5], v[38:39], v[177:178]
	v_fma_f64 v[183:184], v[2:3], v[38:39], -v[40:41]
	ds_load_b128 v[2:5], v1 offset:1056
	scratch_load_b128 v[38:41], off, off offset:544
	v_add_f64 v[171:172], v[171:172], v[181:182]
	v_add_f64 v[173:174], v[173:174], v[175:176]
	v_fma_f64 v[179:180], v[8:9], v[167:168], v[179:180]
	v_fma_f64 v[181:182], v[6:7], v[167:168], -v[169:170]
	ds_load_b128 v[6:9], v1 offset:1072
	scratch_load_b128 v[167:170], off, off offset:560
	s_waitcnt vmcnt(9) lgkmcnt(1)
	v_mul_f64 v[175:176], v[2:3], v[36:37]
	v_mul_f64 v[36:37], v[4:5], v[36:37]
	v_add_f64 v[171:172], v[171:172], v[183:184]
	v_add_f64 v[173:174], v[173:174], v[177:178]
	s_waitcnt vmcnt(8) lgkmcnt(0)
	v_mul_f64 v[177:178], v[6:7], v[165:166]
	v_mul_f64 v[165:166], v[8:9], v[165:166]
	v_fma_f64 v[175:176], v[4:5], v[34:35], v[175:176]
	v_fma_f64 v[183:184], v[2:3], v[34:35], -v[36:37]
	scratch_load_b128 v[34:37], off, off offset:576
	ds_load_b128 v[2:5], v1 offset:1088
	v_add_f64 v[171:172], v[171:172], v[181:182]
	v_add_f64 v[173:174], v[173:174], v[179:180]
	v_fma_f64 v[177:178], v[8:9], v[163:164], v[177:178]
	v_fma_f64 v[181:182], v[6:7], v[163:164], -v[165:166]
	ds_load_b128 v[6:9], v1 offset:1104
	s_waitcnt vmcnt(8) lgkmcnt(1)
	v_mul_f64 v[179:180], v[2:3], v[12:13]
	v_mul_f64 v[12:13], v[4:5], v[12:13]
	scratch_load_b128 v[163:166], off, off offset:592
	v_add_f64 v[171:172], v[171:172], v[183:184]
	v_add_f64 v[173:174], v[173:174], v[175:176]
	s_waitcnt vmcnt(8) lgkmcnt(0)
	v_mul_f64 v[175:176], v[6:7], v[16:17]
	v_mul_f64 v[16:17], v[8:9], v[16:17]
	v_fma_f64 v[179:180], v[4:5], v[10:11], v[179:180]
	v_fma_f64 v[183:184], v[2:3], v[10:11], -v[12:13]
	scratch_load_b128 v[10:13], off, off offset:608
	ds_load_b128 v[2:5], v1 offset:1120
	v_add_f64 v[171:172], v[171:172], v[181:182]
	v_add_f64 v[173:174], v[173:174], v[177:178]
	v_fma_f64 v[175:176], v[8:9], v[14:15], v[175:176]
	v_fma_f64 v[181:182], v[6:7], v[14:15], -v[16:17]
	ds_load_b128 v[6:9], v1 offset:1136
	s_waitcnt vmcnt(8) lgkmcnt(1)
	v_mul_f64 v[177:178], v[2:3], v[20:21]
	v_mul_f64 v[20:21], v[4:5], v[20:21]
	scratch_load_b128 v[14:17], off, off offset:624
	v_add_f64 v[171:172], v[171:172], v[183:184]
	v_add_f64 v[173:174], v[173:174], v[179:180]
	s_waitcnt vmcnt(8) lgkmcnt(0)
	v_mul_f64 v[179:180], v[6:7], v[24:25]
	v_mul_f64 v[24:25], v[8:9], v[24:25]
	v_fma_f64 v[177:178], v[4:5], v[18:19], v[177:178]
	v_fma_f64 v[18:19], v[2:3], v[18:19], -v[20:21]
	ds_load_b128 v[2:5], v1 offset:1152
	v_add_f64 v[20:21], v[171:172], v[181:182]
	v_add_f64 v[171:172], v[173:174], v[175:176]
	v_fma_f64 v[175:176], v[8:9], v[22:23], v[179:180]
	v_fma_f64 v[22:23], v[6:7], v[22:23], -v[24:25]
	ds_load_b128 v[6:9], v1 offset:1168
	s_waitcnt vmcnt(7) lgkmcnt(1)
	v_mul_f64 v[173:174], v[2:3], v[28:29]
	v_mul_f64 v[28:29], v[4:5], v[28:29]
	v_add_f64 v[18:19], v[20:21], v[18:19]
	v_add_f64 v[20:21], v[171:172], v[177:178]
	s_delay_alu instid0(VALU_DEP_4) | instskip(NEXT) | instid1(VALU_DEP_4)
	v_fma_f64 v[171:172], v[4:5], v[26:27], v[173:174]
	v_fma_f64 v[26:27], v[2:3], v[26:27], -v[28:29]
	ds_load_b128 v[2:5], v1 offset:1184
	v_add_f64 v[22:23], v[18:19], v[22:23]
	v_add_f64 v[28:29], v[20:21], v[175:176]
	scratch_load_b128 v[18:21], off, off offset:240
	s_waitcnt vmcnt(7) lgkmcnt(1)
	v_mul_f64 v[24:25], v[6:7], v[32:33]
	v_mul_f64 v[32:33], v[8:9], v[32:33]
	v_add_f64 v[22:23], v[22:23], v[26:27]
	v_add_f64 v[26:27], v[28:29], v[171:172]
	s_delay_alu instid0(VALU_DEP_4) | instskip(NEXT) | instid1(VALU_DEP_4)
	v_fma_f64 v[24:25], v[8:9], v[30:31], v[24:25]
	v_fma_f64 v[30:31], v[6:7], v[30:31], -v[32:33]
	ds_load_b128 v[6:9], v1 offset:1200
	s_waitcnt vmcnt(6) lgkmcnt(1)
	v_mul_f64 v[173:174], v[2:3], v[40:41]
	v_mul_f64 v[40:41], v[4:5], v[40:41]
	s_waitcnt vmcnt(5) lgkmcnt(0)
	v_mul_f64 v[28:29], v[6:7], v[169:170]
	v_mul_f64 v[32:33], v[8:9], v[169:170]
	v_add_f64 v[24:25], v[26:27], v[24:25]
	v_add_f64 v[22:23], v[22:23], v[30:31]
	v_fma_f64 v[169:170], v[4:5], v[38:39], v[173:174]
	v_fma_f64 v[38:39], v[2:3], v[38:39], -v[40:41]
	ds_load_b128 v[2:5], v1 offset:1216
	v_fma_f64 v[28:29], v[8:9], v[167:168], v[28:29]
	v_fma_f64 v[32:33], v[6:7], v[167:168], -v[32:33]
	ds_load_b128 v[6:9], v1 offset:1232
	s_waitcnt vmcnt(4) lgkmcnt(1)
	v_mul_f64 v[26:27], v[2:3], v[36:37]
	v_mul_f64 v[30:31], v[4:5], v[36:37]
	v_add_f64 v[24:25], v[24:25], v[169:170]
	v_add_f64 v[22:23], v[22:23], v[38:39]
	s_waitcnt vmcnt(3) lgkmcnt(0)
	v_mul_f64 v[36:37], v[6:7], v[165:166]
	v_mul_f64 v[38:39], v[8:9], v[165:166]
	v_fma_f64 v[26:27], v[4:5], v[34:35], v[26:27]
	v_fma_f64 v[30:31], v[2:3], v[34:35], -v[30:31]
	ds_load_b128 v[2:5], v1 offset:1248
	v_add_f64 v[24:25], v[24:25], v[28:29]
	v_add_f64 v[22:23], v[22:23], v[32:33]
	v_fma_f64 v[32:33], v[8:9], v[163:164], v[36:37]
	v_fma_f64 v[34:35], v[6:7], v[163:164], -v[38:39]
	ds_load_b128 v[6:9], v1 offset:1264
	s_waitcnt vmcnt(2) lgkmcnt(1)
	v_mul_f64 v[28:29], v[2:3], v[12:13]
	v_mul_f64 v[12:13], v[4:5], v[12:13]
	v_add_f64 v[24:25], v[24:25], v[26:27]
	v_add_f64 v[22:23], v[22:23], v[30:31]
	s_waitcnt vmcnt(1) lgkmcnt(0)
	v_mul_f64 v[26:27], v[6:7], v[16:17]
	v_mul_f64 v[16:17], v[8:9], v[16:17]
	v_fma_f64 v[4:5], v[4:5], v[10:11], v[28:29]
	v_fma_f64 v[1:2], v[2:3], v[10:11], -v[12:13]
	v_add_f64 v[12:13], v[24:25], v[32:33]
	v_add_f64 v[10:11], v[22:23], v[34:35]
	v_fma_f64 v[8:9], v[8:9], v[14:15], v[26:27]
	v_fma_f64 v[6:7], v[6:7], v[14:15], -v[16:17]
	s_delay_alu instid0(VALU_DEP_4) | instskip(NEXT) | instid1(VALU_DEP_4)
	v_add_f64 v[3:4], v[12:13], v[4:5]
	v_add_f64 v[1:2], v[10:11], v[1:2]
	s_delay_alu instid0(VALU_DEP_2) | instskip(NEXT) | instid1(VALU_DEP_2)
	v_add_f64 v[3:4], v[3:4], v[8:9]
	v_add_f64 v[1:2], v[1:2], v[6:7]
	s_waitcnt vmcnt(0)
	s_delay_alu instid0(VALU_DEP_2) | instskip(NEXT) | instid1(VALU_DEP_2)
	v_add_f64 v[3:4], v[20:21], -v[3:4]
	v_add_f64 v[1:2], v[18:19], -v[1:2]
	scratch_store_b128 off, v[1:4], off offset:240
	v_cmpx_lt_u32_e32 14, v122
	s_cbranch_execz .LBB39_225
; %bb.224:
	scratch_load_b128 v[1:4], v152, off
	v_mov_b32_e32 v5, 0
	s_delay_alu instid0(VALU_DEP_1)
	v_mov_b32_e32 v6, v5
	v_mov_b32_e32 v7, v5
	;; [unrolled: 1-line block ×3, first 2 shown]
	scratch_store_b128 off, v[5:8], off offset:224
	s_waitcnt vmcnt(0)
	ds_store_b128 v162, v[1:4]
.LBB39_225:
	s_or_b32 exec_lo, exec_lo, s2
	s_waitcnt lgkmcnt(0)
	s_waitcnt_vscnt null, 0x0
	s_barrier
	buffer_gl0_inv
	s_clause 0x7
	scratch_load_b128 v[2:5], off, off offset:240
	scratch_load_b128 v[6:9], off, off offset:256
	;; [unrolled: 1-line block ×8, first 2 shown]
	v_mov_b32_e32 v1, 0
	s_clause 0x1
	scratch_load_b128 v[38:41], off, off offset:368
	scratch_load_b128 v[167:170], off, off offset:384
	s_mov_b32 s2, exec_lo
	ds_load_b128 v[34:37], v1 offset:880
	ds_load_b128 v[163:166], v1 offset:896
	s_waitcnt vmcnt(9) lgkmcnt(1)
	v_mul_f64 v[171:172], v[36:37], v[4:5]
	v_mul_f64 v[4:5], v[34:35], v[4:5]
	s_waitcnt vmcnt(8) lgkmcnt(0)
	v_mul_f64 v[173:174], v[163:164], v[8:9]
	v_mul_f64 v[8:9], v[165:166], v[8:9]
	s_delay_alu instid0(VALU_DEP_4) | instskip(NEXT) | instid1(VALU_DEP_4)
	v_fma_f64 v[171:172], v[34:35], v[2:3], -v[171:172]
	v_fma_f64 v[175:176], v[36:37], v[2:3], v[4:5]
	ds_load_b128 v[2:5], v1 offset:912
	scratch_load_b128 v[34:37], off, off offset:400
	v_fma_f64 v[173:174], v[165:166], v[6:7], v[173:174]
	v_fma_f64 v[179:180], v[163:164], v[6:7], -v[8:9]
	scratch_load_b128 v[163:166], off, off offset:416
	ds_load_b128 v[6:9], v1 offset:928
	s_waitcnt vmcnt(9) lgkmcnt(1)
	v_mul_f64 v[177:178], v[2:3], v[12:13]
	v_mul_f64 v[12:13], v[4:5], v[12:13]
	s_waitcnt vmcnt(8) lgkmcnt(0)
	v_mul_f64 v[181:182], v[6:7], v[16:17]
	v_mul_f64 v[16:17], v[8:9], v[16:17]
	v_add_f64 v[171:172], v[171:172], 0
	v_add_f64 v[175:176], v[175:176], 0
	v_fma_f64 v[177:178], v[4:5], v[10:11], v[177:178]
	v_fma_f64 v[183:184], v[2:3], v[10:11], -v[12:13]
	ds_load_b128 v[2:5], v1 offset:944
	scratch_load_b128 v[10:13], off, off offset:432
	v_add_f64 v[171:172], v[171:172], v[179:180]
	v_add_f64 v[173:174], v[175:176], v[173:174]
	v_fma_f64 v[179:180], v[8:9], v[14:15], v[181:182]
	v_fma_f64 v[181:182], v[6:7], v[14:15], -v[16:17]
	scratch_load_b128 v[14:17], off, off offset:448
	ds_load_b128 v[6:9], v1 offset:960
	s_waitcnt vmcnt(9) lgkmcnt(1)
	v_mul_f64 v[175:176], v[2:3], v[20:21]
	v_mul_f64 v[20:21], v[4:5], v[20:21]
	v_add_f64 v[171:172], v[171:172], v[183:184]
	v_add_f64 v[173:174], v[173:174], v[177:178]
	s_waitcnt vmcnt(8) lgkmcnt(0)
	v_mul_f64 v[177:178], v[6:7], v[24:25]
	v_mul_f64 v[24:25], v[8:9], v[24:25]
	v_fma_f64 v[175:176], v[4:5], v[18:19], v[175:176]
	v_fma_f64 v[183:184], v[2:3], v[18:19], -v[20:21]
	ds_load_b128 v[2:5], v1 offset:976
	scratch_load_b128 v[18:21], off, off offset:464
	v_add_f64 v[171:172], v[171:172], v[181:182]
	v_add_f64 v[173:174], v[173:174], v[179:180]
	v_fma_f64 v[177:178], v[8:9], v[22:23], v[177:178]
	v_fma_f64 v[181:182], v[6:7], v[22:23], -v[24:25]
	scratch_load_b128 v[22:25], off, off offset:480
	ds_load_b128 v[6:9], v1 offset:992
	s_waitcnt vmcnt(9) lgkmcnt(1)
	v_mul_f64 v[179:180], v[2:3], v[28:29]
	v_mul_f64 v[28:29], v[4:5], v[28:29]
	v_add_f64 v[171:172], v[171:172], v[183:184]
	v_add_f64 v[173:174], v[173:174], v[175:176]
	s_waitcnt vmcnt(8) lgkmcnt(0)
	v_mul_f64 v[175:176], v[6:7], v[32:33]
	v_mul_f64 v[32:33], v[8:9], v[32:33]
	;; [unrolled: 18-line block ×3, first 2 shown]
	v_fma_f64 v[177:178], v[4:5], v[38:39], v[177:178]
	v_fma_f64 v[183:184], v[2:3], v[38:39], -v[40:41]
	ds_load_b128 v[2:5], v1 offset:1040
	scratch_load_b128 v[38:41], off, off offset:528
	v_add_f64 v[171:172], v[171:172], v[181:182]
	v_add_f64 v[173:174], v[173:174], v[175:176]
	v_fma_f64 v[179:180], v[8:9], v[167:168], v[179:180]
	v_fma_f64 v[181:182], v[6:7], v[167:168], -v[169:170]
	ds_load_b128 v[6:9], v1 offset:1056
	scratch_load_b128 v[167:170], off, off offset:544
	s_waitcnt vmcnt(9) lgkmcnt(1)
	v_mul_f64 v[175:176], v[2:3], v[36:37]
	v_mul_f64 v[36:37], v[4:5], v[36:37]
	v_add_f64 v[171:172], v[171:172], v[183:184]
	v_add_f64 v[173:174], v[173:174], v[177:178]
	s_waitcnt vmcnt(8) lgkmcnt(0)
	v_mul_f64 v[177:178], v[6:7], v[165:166]
	v_mul_f64 v[165:166], v[8:9], v[165:166]
	v_fma_f64 v[175:176], v[4:5], v[34:35], v[175:176]
	v_fma_f64 v[183:184], v[2:3], v[34:35], -v[36:37]
	scratch_load_b128 v[34:37], off, off offset:560
	ds_load_b128 v[2:5], v1 offset:1072
	v_add_f64 v[171:172], v[171:172], v[181:182]
	v_add_f64 v[173:174], v[173:174], v[179:180]
	v_fma_f64 v[177:178], v[8:9], v[163:164], v[177:178]
	v_fma_f64 v[181:182], v[6:7], v[163:164], -v[165:166]
	ds_load_b128 v[6:9], v1 offset:1088
	s_waitcnt vmcnt(8) lgkmcnt(1)
	v_mul_f64 v[179:180], v[2:3], v[12:13]
	v_mul_f64 v[12:13], v[4:5], v[12:13]
	scratch_load_b128 v[163:166], off, off offset:576
	v_add_f64 v[171:172], v[171:172], v[183:184]
	v_add_f64 v[173:174], v[173:174], v[175:176]
	s_waitcnt vmcnt(8) lgkmcnt(0)
	v_mul_f64 v[175:176], v[6:7], v[16:17]
	v_mul_f64 v[16:17], v[8:9], v[16:17]
	v_fma_f64 v[179:180], v[4:5], v[10:11], v[179:180]
	v_fma_f64 v[183:184], v[2:3], v[10:11], -v[12:13]
	scratch_load_b128 v[10:13], off, off offset:592
	ds_load_b128 v[2:5], v1 offset:1104
	v_add_f64 v[171:172], v[171:172], v[181:182]
	v_add_f64 v[173:174], v[173:174], v[177:178]
	v_fma_f64 v[175:176], v[8:9], v[14:15], v[175:176]
	v_fma_f64 v[181:182], v[6:7], v[14:15], -v[16:17]
	ds_load_b128 v[6:9], v1 offset:1120
	s_waitcnt vmcnt(8) lgkmcnt(1)
	v_mul_f64 v[177:178], v[2:3], v[20:21]
	v_mul_f64 v[20:21], v[4:5], v[20:21]
	scratch_load_b128 v[14:17], off, off offset:608
	v_add_f64 v[171:172], v[171:172], v[183:184]
	v_add_f64 v[173:174], v[173:174], v[179:180]
	s_waitcnt vmcnt(8) lgkmcnt(0)
	v_mul_f64 v[179:180], v[6:7], v[24:25]
	v_mul_f64 v[24:25], v[8:9], v[24:25]
	v_fma_f64 v[177:178], v[4:5], v[18:19], v[177:178]
	v_fma_f64 v[183:184], v[2:3], v[18:19], -v[20:21]
	scratch_load_b128 v[18:21], off, off offset:624
	ds_load_b128 v[2:5], v1 offset:1136
	v_add_f64 v[171:172], v[171:172], v[181:182]
	v_add_f64 v[173:174], v[173:174], v[175:176]
	v_fma_f64 v[179:180], v[8:9], v[22:23], v[179:180]
	v_fma_f64 v[22:23], v[6:7], v[22:23], -v[24:25]
	ds_load_b128 v[6:9], v1 offset:1152
	s_waitcnt vmcnt(8) lgkmcnt(1)
	v_mul_f64 v[175:176], v[2:3], v[28:29]
	v_mul_f64 v[28:29], v[4:5], v[28:29]
	v_add_f64 v[24:25], v[171:172], v[183:184]
	v_add_f64 v[171:172], v[173:174], v[177:178]
	s_waitcnt vmcnt(7) lgkmcnt(0)
	v_mul_f64 v[173:174], v[6:7], v[32:33]
	v_mul_f64 v[32:33], v[8:9], v[32:33]
	v_fma_f64 v[175:176], v[4:5], v[26:27], v[175:176]
	v_fma_f64 v[26:27], v[2:3], v[26:27], -v[28:29]
	ds_load_b128 v[2:5], v1 offset:1168
	v_add_f64 v[22:23], v[24:25], v[22:23]
	v_add_f64 v[24:25], v[171:172], v[179:180]
	v_fma_f64 v[171:172], v[8:9], v[30:31], v[173:174]
	v_fma_f64 v[30:31], v[6:7], v[30:31], -v[32:33]
	ds_load_b128 v[6:9], v1 offset:1184
	s_waitcnt vmcnt(5) lgkmcnt(0)
	v_mul_f64 v[173:174], v[6:7], v[169:170]
	v_mul_f64 v[169:170], v[8:9], v[169:170]
	v_add_f64 v[26:27], v[22:23], v[26:27]
	v_add_f64 v[32:33], v[24:25], v[175:176]
	scratch_load_b128 v[22:25], off, off offset:224
	v_mul_f64 v[28:29], v[2:3], v[40:41]
	v_mul_f64 v[40:41], v[4:5], v[40:41]
	v_add_f64 v[26:27], v[26:27], v[30:31]
	v_add_f64 v[30:31], v[32:33], v[171:172]
	s_delay_alu instid0(VALU_DEP_4) | instskip(NEXT) | instid1(VALU_DEP_4)
	v_fma_f64 v[28:29], v[4:5], v[38:39], v[28:29]
	v_fma_f64 v[38:39], v[2:3], v[38:39], -v[40:41]
	ds_load_b128 v[2:5], v1 offset:1200
	v_fma_f64 v[40:41], v[8:9], v[167:168], v[173:174]
	v_fma_f64 v[167:168], v[6:7], v[167:168], -v[169:170]
	ds_load_b128 v[6:9], v1 offset:1216
	s_waitcnt vmcnt(5) lgkmcnt(1)
	v_mul_f64 v[32:33], v[2:3], v[36:37]
	v_mul_f64 v[36:37], v[4:5], v[36:37]
	v_add_f64 v[28:29], v[30:31], v[28:29]
	v_add_f64 v[26:27], v[26:27], v[38:39]
	s_waitcnt vmcnt(4) lgkmcnt(0)
	v_mul_f64 v[30:31], v[6:7], v[165:166]
	v_mul_f64 v[38:39], v[8:9], v[165:166]
	v_fma_f64 v[32:33], v[4:5], v[34:35], v[32:33]
	v_fma_f64 v[34:35], v[2:3], v[34:35], -v[36:37]
	ds_load_b128 v[2:5], v1 offset:1232
	v_add_f64 v[28:29], v[28:29], v[40:41]
	v_add_f64 v[26:27], v[26:27], v[167:168]
	v_fma_f64 v[30:31], v[8:9], v[163:164], v[30:31]
	v_fma_f64 v[38:39], v[6:7], v[163:164], -v[38:39]
	ds_load_b128 v[6:9], v1 offset:1248
	s_waitcnt vmcnt(3) lgkmcnt(1)
	v_mul_f64 v[36:37], v[2:3], v[12:13]
	v_mul_f64 v[12:13], v[4:5], v[12:13]
	v_add_f64 v[28:29], v[28:29], v[32:33]
	v_add_f64 v[26:27], v[26:27], v[34:35]
	s_waitcnt vmcnt(2) lgkmcnt(0)
	v_mul_f64 v[32:33], v[6:7], v[16:17]
	v_mul_f64 v[16:17], v[8:9], v[16:17]
	v_fma_f64 v[34:35], v[4:5], v[10:11], v[36:37]
	v_fma_f64 v[10:11], v[2:3], v[10:11], -v[12:13]
	ds_load_b128 v[2:5], v1 offset:1264
	v_add_f64 v[12:13], v[26:27], v[38:39]
	v_add_f64 v[26:27], v[28:29], v[30:31]
	s_waitcnt vmcnt(1) lgkmcnt(0)
	v_mul_f64 v[28:29], v[2:3], v[20:21]
	v_mul_f64 v[20:21], v[4:5], v[20:21]
	v_fma_f64 v[8:9], v[8:9], v[14:15], v[32:33]
	v_fma_f64 v[6:7], v[6:7], v[14:15], -v[16:17]
	v_add_f64 v[10:11], v[12:13], v[10:11]
	v_add_f64 v[12:13], v[26:27], v[34:35]
	v_fma_f64 v[4:5], v[4:5], v[18:19], v[28:29]
	v_fma_f64 v[2:3], v[2:3], v[18:19], -v[20:21]
	s_delay_alu instid0(VALU_DEP_4) | instskip(NEXT) | instid1(VALU_DEP_4)
	v_add_f64 v[6:7], v[10:11], v[6:7]
	v_add_f64 v[8:9], v[12:13], v[8:9]
	s_delay_alu instid0(VALU_DEP_2) | instskip(NEXT) | instid1(VALU_DEP_2)
	v_add_f64 v[2:3], v[6:7], v[2:3]
	v_add_f64 v[4:5], v[8:9], v[4:5]
	s_waitcnt vmcnt(0)
	s_delay_alu instid0(VALU_DEP_2) | instskip(NEXT) | instid1(VALU_DEP_2)
	v_add_f64 v[2:3], v[22:23], -v[2:3]
	v_add_f64 v[4:5], v[24:25], -v[4:5]
	scratch_store_b128 off, v[2:5], off offset:224
	v_cmpx_lt_u32_e32 13, v122
	s_cbranch_execz .LBB39_227
; %bb.226:
	scratch_load_b128 v[5:8], v153, off
	v_mov_b32_e32 v2, v1
	v_mov_b32_e32 v3, v1
	;; [unrolled: 1-line block ×3, first 2 shown]
	scratch_store_b128 off, v[1:4], off offset:208
	s_waitcnt vmcnt(0)
	ds_store_b128 v162, v[5:8]
.LBB39_227:
	s_or_b32 exec_lo, exec_lo, s2
	s_waitcnt lgkmcnt(0)
	s_waitcnt_vscnt null, 0x0
	s_barrier
	buffer_gl0_inv
	s_clause 0x7
	scratch_load_b128 v[2:5], off, off offset:224
	scratch_load_b128 v[6:9], off, off offset:240
	;; [unrolled: 1-line block ×8, first 2 shown]
	ds_load_b128 v[38:41], v1 offset:864
	ds_load_b128 v[163:166], v1 offset:880
	s_clause 0x1
	scratch_load_b128 v[34:37], off, off offset:352
	scratch_load_b128 v[167:170], off, off offset:368
	s_mov_b32 s2, exec_lo
	s_waitcnt vmcnt(9) lgkmcnt(1)
	v_mul_f64 v[171:172], v[40:41], v[4:5]
	v_mul_f64 v[4:5], v[38:39], v[4:5]
	s_waitcnt vmcnt(8) lgkmcnt(0)
	v_mul_f64 v[173:174], v[163:164], v[8:9]
	v_mul_f64 v[8:9], v[165:166], v[8:9]
	s_delay_alu instid0(VALU_DEP_4) | instskip(NEXT) | instid1(VALU_DEP_4)
	v_fma_f64 v[171:172], v[38:39], v[2:3], -v[171:172]
	v_fma_f64 v[175:176], v[40:41], v[2:3], v[4:5]
	ds_load_b128 v[2:5], v1 offset:896
	scratch_load_b128 v[38:41], off, off offset:384
	v_fma_f64 v[173:174], v[165:166], v[6:7], v[173:174]
	v_fma_f64 v[179:180], v[163:164], v[6:7], -v[8:9]
	scratch_load_b128 v[163:166], off, off offset:400
	ds_load_b128 v[6:9], v1 offset:912
	s_waitcnt vmcnt(9) lgkmcnt(1)
	v_mul_f64 v[177:178], v[2:3], v[12:13]
	v_mul_f64 v[12:13], v[4:5], v[12:13]
	s_waitcnt vmcnt(8) lgkmcnt(0)
	v_mul_f64 v[181:182], v[6:7], v[16:17]
	v_mul_f64 v[16:17], v[8:9], v[16:17]
	v_add_f64 v[171:172], v[171:172], 0
	v_add_f64 v[175:176], v[175:176], 0
	v_fma_f64 v[177:178], v[4:5], v[10:11], v[177:178]
	v_fma_f64 v[183:184], v[2:3], v[10:11], -v[12:13]
	ds_load_b128 v[2:5], v1 offset:928
	scratch_load_b128 v[10:13], off, off offset:416
	v_add_f64 v[171:172], v[171:172], v[179:180]
	v_add_f64 v[173:174], v[175:176], v[173:174]
	v_fma_f64 v[179:180], v[8:9], v[14:15], v[181:182]
	v_fma_f64 v[181:182], v[6:7], v[14:15], -v[16:17]
	scratch_load_b128 v[14:17], off, off offset:432
	ds_load_b128 v[6:9], v1 offset:944
	s_waitcnt vmcnt(9) lgkmcnt(1)
	v_mul_f64 v[175:176], v[2:3], v[20:21]
	v_mul_f64 v[20:21], v[4:5], v[20:21]
	v_add_f64 v[171:172], v[171:172], v[183:184]
	v_add_f64 v[173:174], v[173:174], v[177:178]
	s_waitcnt vmcnt(8) lgkmcnt(0)
	v_mul_f64 v[177:178], v[6:7], v[24:25]
	v_mul_f64 v[24:25], v[8:9], v[24:25]
	v_fma_f64 v[175:176], v[4:5], v[18:19], v[175:176]
	v_fma_f64 v[183:184], v[2:3], v[18:19], -v[20:21]
	ds_load_b128 v[2:5], v1 offset:960
	scratch_load_b128 v[18:21], off, off offset:448
	v_add_f64 v[171:172], v[171:172], v[181:182]
	v_add_f64 v[173:174], v[173:174], v[179:180]
	v_fma_f64 v[177:178], v[8:9], v[22:23], v[177:178]
	v_fma_f64 v[181:182], v[6:7], v[22:23], -v[24:25]
	scratch_load_b128 v[22:25], off, off offset:464
	ds_load_b128 v[6:9], v1 offset:976
	s_waitcnt vmcnt(9) lgkmcnt(1)
	v_mul_f64 v[179:180], v[2:3], v[28:29]
	v_mul_f64 v[28:29], v[4:5], v[28:29]
	v_add_f64 v[171:172], v[171:172], v[183:184]
	v_add_f64 v[173:174], v[173:174], v[175:176]
	s_waitcnt vmcnt(8) lgkmcnt(0)
	v_mul_f64 v[175:176], v[6:7], v[32:33]
	v_mul_f64 v[32:33], v[8:9], v[32:33]
	;; [unrolled: 18-line block ×3, first 2 shown]
	v_fma_f64 v[177:178], v[4:5], v[34:35], v[177:178]
	v_fma_f64 v[183:184], v[2:3], v[34:35], -v[36:37]
	ds_load_b128 v[2:5], v1 offset:1024
	scratch_load_b128 v[34:37], off, off offset:512
	v_add_f64 v[171:172], v[171:172], v[181:182]
	v_add_f64 v[173:174], v[173:174], v[175:176]
	v_fma_f64 v[179:180], v[8:9], v[167:168], v[179:180]
	v_fma_f64 v[181:182], v[6:7], v[167:168], -v[169:170]
	ds_load_b128 v[6:9], v1 offset:1040
	scratch_load_b128 v[167:170], off, off offset:528
	s_waitcnt vmcnt(9) lgkmcnt(1)
	v_mul_f64 v[175:176], v[2:3], v[40:41]
	v_mul_f64 v[40:41], v[4:5], v[40:41]
	v_add_f64 v[171:172], v[171:172], v[183:184]
	v_add_f64 v[173:174], v[173:174], v[177:178]
	s_waitcnt vmcnt(8) lgkmcnt(0)
	v_mul_f64 v[177:178], v[6:7], v[165:166]
	v_mul_f64 v[165:166], v[8:9], v[165:166]
	v_fma_f64 v[175:176], v[4:5], v[38:39], v[175:176]
	v_fma_f64 v[183:184], v[2:3], v[38:39], -v[40:41]
	ds_load_b128 v[2:5], v1 offset:1056
	scratch_load_b128 v[38:41], off, off offset:544
	v_add_f64 v[171:172], v[171:172], v[181:182]
	v_add_f64 v[173:174], v[173:174], v[179:180]
	v_fma_f64 v[177:178], v[8:9], v[163:164], v[177:178]
	v_fma_f64 v[181:182], v[6:7], v[163:164], -v[165:166]
	ds_load_b128 v[6:9], v1 offset:1072
	s_waitcnt vmcnt(8) lgkmcnt(1)
	v_mul_f64 v[179:180], v[2:3], v[12:13]
	v_mul_f64 v[12:13], v[4:5], v[12:13]
	scratch_load_b128 v[163:166], off, off offset:560
	v_add_f64 v[171:172], v[171:172], v[183:184]
	v_add_f64 v[173:174], v[173:174], v[175:176]
	s_waitcnt vmcnt(8) lgkmcnt(0)
	v_mul_f64 v[175:176], v[6:7], v[16:17]
	v_mul_f64 v[16:17], v[8:9], v[16:17]
	v_fma_f64 v[179:180], v[4:5], v[10:11], v[179:180]
	v_fma_f64 v[183:184], v[2:3], v[10:11], -v[12:13]
	scratch_load_b128 v[10:13], off, off offset:576
	ds_load_b128 v[2:5], v1 offset:1088
	v_add_f64 v[171:172], v[171:172], v[181:182]
	v_add_f64 v[173:174], v[173:174], v[177:178]
	v_fma_f64 v[175:176], v[8:9], v[14:15], v[175:176]
	v_fma_f64 v[181:182], v[6:7], v[14:15], -v[16:17]
	ds_load_b128 v[6:9], v1 offset:1104
	s_waitcnt vmcnt(8) lgkmcnt(1)
	v_mul_f64 v[177:178], v[2:3], v[20:21]
	v_mul_f64 v[20:21], v[4:5], v[20:21]
	scratch_load_b128 v[14:17], off, off offset:592
	v_add_f64 v[171:172], v[171:172], v[183:184]
	v_add_f64 v[173:174], v[173:174], v[179:180]
	s_waitcnt vmcnt(8) lgkmcnt(0)
	v_mul_f64 v[179:180], v[6:7], v[24:25]
	v_mul_f64 v[24:25], v[8:9], v[24:25]
	v_fma_f64 v[177:178], v[4:5], v[18:19], v[177:178]
	v_fma_f64 v[183:184], v[2:3], v[18:19], -v[20:21]
	scratch_load_b128 v[18:21], off, off offset:608
	ds_load_b128 v[2:5], v1 offset:1120
	v_add_f64 v[171:172], v[171:172], v[181:182]
	v_add_f64 v[173:174], v[173:174], v[175:176]
	v_fma_f64 v[179:180], v[8:9], v[22:23], v[179:180]
	v_fma_f64 v[181:182], v[6:7], v[22:23], -v[24:25]
	ds_load_b128 v[6:9], v1 offset:1136
	s_waitcnt vmcnt(8) lgkmcnt(1)
	v_mul_f64 v[175:176], v[2:3], v[28:29]
	v_mul_f64 v[28:29], v[4:5], v[28:29]
	scratch_load_b128 v[22:25], off, off offset:624
	v_add_f64 v[171:172], v[171:172], v[183:184]
	v_add_f64 v[173:174], v[173:174], v[177:178]
	s_waitcnt vmcnt(8) lgkmcnt(0)
	v_mul_f64 v[177:178], v[6:7], v[32:33]
	v_mul_f64 v[32:33], v[8:9], v[32:33]
	v_fma_f64 v[175:176], v[4:5], v[26:27], v[175:176]
	v_fma_f64 v[26:27], v[2:3], v[26:27], -v[28:29]
	ds_load_b128 v[2:5], v1 offset:1152
	v_add_f64 v[28:29], v[171:172], v[181:182]
	v_add_f64 v[171:172], v[173:174], v[179:180]
	v_fma_f64 v[177:178], v[8:9], v[30:31], v[177:178]
	v_fma_f64 v[30:31], v[6:7], v[30:31], -v[32:33]
	ds_load_b128 v[6:9], v1 offset:1168
	s_waitcnt vmcnt(7) lgkmcnt(1)
	v_mul_f64 v[173:174], v[2:3], v[36:37]
	v_mul_f64 v[36:37], v[4:5], v[36:37]
	v_add_f64 v[26:27], v[28:29], v[26:27]
	v_add_f64 v[28:29], v[171:172], v[175:176]
	s_delay_alu instid0(VALU_DEP_4) | instskip(NEXT) | instid1(VALU_DEP_4)
	v_fma_f64 v[171:172], v[4:5], v[34:35], v[173:174]
	v_fma_f64 v[34:35], v[2:3], v[34:35], -v[36:37]
	ds_load_b128 v[2:5], v1 offset:1184
	v_add_f64 v[30:31], v[26:27], v[30:31]
	v_add_f64 v[36:37], v[28:29], v[177:178]
	scratch_load_b128 v[26:29], off, off offset:208
	s_waitcnt vmcnt(7) lgkmcnt(1)
	v_mul_f64 v[32:33], v[6:7], v[169:170]
	v_mul_f64 v[169:170], v[8:9], v[169:170]
	v_add_f64 v[30:31], v[30:31], v[34:35]
	v_add_f64 v[34:35], v[36:37], v[171:172]
	s_delay_alu instid0(VALU_DEP_4) | instskip(NEXT) | instid1(VALU_DEP_4)
	v_fma_f64 v[32:33], v[8:9], v[167:168], v[32:33]
	v_fma_f64 v[167:168], v[6:7], v[167:168], -v[169:170]
	ds_load_b128 v[6:9], v1 offset:1200
	s_waitcnt vmcnt(6) lgkmcnt(1)
	v_mul_f64 v[173:174], v[2:3], v[40:41]
	v_mul_f64 v[40:41], v[4:5], v[40:41]
	s_waitcnt vmcnt(5) lgkmcnt(0)
	v_mul_f64 v[36:37], v[6:7], v[165:166]
	v_mul_f64 v[165:166], v[8:9], v[165:166]
	v_add_f64 v[32:33], v[34:35], v[32:33]
	v_add_f64 v[30:31], v[30:31], v[167:168]
	v_fma_f64 v[169:170], v[4:5], v[38:39], v[173:174]
	v_fma_f64 v[38:39], v[2:3], v[38:39], -v[40:41]
	ds_load_b128 v[2:5], v1 offset:1216
	v_fma_f64 v[36:37], v[8:9], v[163:164], v[36:37]
	v_fma_f64 v[40:41], v[6:7], v[163:164], -v[165:166]
	ds_load_b128 v[6:9], v1 offset:1232
	s_waitcnt vmcnt(4) lgkmcnt(1)
	v_mul_f64 v[34:35], v[2:3], v[12:13]
	v_mul_f64 v[12:13], v[4:5], v[12:13]
	v_add_f64 v[32:33], v[32:33], v[169:170]
	v_add_f64 v[30:31], v[30:31], v[38:39]
	s_waitcnt vmcnt(3) lgkmcnt(0)
	v_mul_f64 v[38:39], v[6:7], v[16:17]
	v_mul_f64 v[16:17], v[8:9], v[16:17]
	v_fma_f64 v[34:35], v[4:5], v[10:11], v[34:35]
	v_fma_f64 v[10:11], v[2:3], v[10:11], -v[12:13]
	ds_load_b128 v[2:5], v1 offset:1248
	v_add_f64 v[12:13], v[30:31], v[40:41]
	v_add_f64 v[30:31], v[32:33], v[36:37]
	v_fma_f64 v[36:37], v[8:9], v[14:15], v[38:39]
	v_fma_f64 v[14:15], v[6:7], v[14:15], -v[16:17]
	ds_load_b128 v[6:9], v1 offset:1264
	s_waitcnt vmcnt(2) lgkmcnt(1)
	v_mul_f64 v[32:33], v[2:3], v[20:21]
	v_mul_f64 v[20:21], v[4:5], v[20:21]
	s_waitcnt vmcnt(1) lgkmcnt(0)
	v_mul_f64 v[16:17], v[6:7], v[24:25]
	v_mul_f64 v[24:25], v[8:9], v[24:25]
	v_add_f64 v[10:11], v[12:13], v[10:11]
	v_add_f64 v[12:13], v[30:31], v[34:35]
	v_fma_f64 v[4:5], v[4:5], v[18:19], v[32:33]
	v_fma_f64 v[1:2], v[2:3], v[18:19], -v[20:21]
	v_fma_f64 v[8:9], v[8:9], v[22:23], v[16:17]
	v_fma_f64 v[6:7], v[6:7], v[22:23], -v[24:25]
	v_add_f64 v[10:11], v[10:11], v[14:15]
	v_add_f64 v[12:13], v[12:13], v[36:37]
	s_delay_alu instid0(VALU_DEP_2) | instskip(NEXT) | instid1(VALU_DEP_2)
	v_add_f64 v[1:2], v[10:11], v[1:2]
	v_add_f64 v[3:4], v[12:13], v[4:5]
	s_delay_alu instid0(VALU_DEP_2) | instskip(NEXT) | instid1(VALU_DEP_2)
	v_add_f64 v[1:2], v[1:2], v[6:7]
	v_add_f64 v[3:4], v[3:4], v[8:9]
	s_waitcnt vmcnt(0)
	s_delay_alu instid0(VALU_DEP_2) | instskip(NEXT) | instid1(VALU_DEP_2)
	v_add_f64 v[1:2], v[26:27], -v[1:2]
	v_add_f64 v[3:4], v[28:29], -v[3:4]
	scratch_store_b128 off, v[1:4], off offset:208
	v_cmpx_lt_u32_e32 12, v122
	s_cbranch_execz .LBB39_229
; %bb.228:
	scratch_load_b128 v[1:4], v154, off
	v_mov_b32_e32 v5, 0
	s_delay_alu instid0(VALU_DEP_1)
	v_mov_b32_e32 v6, v5
	v_mov_b32_e32 v7, v5
	;; [unrolled: 1-line block ×3, first 2 shown]
	scratch_store_b128 off, v[5:8], off offset:192
	s_waitcnt vmcnt(0)
	ds_store_b128 v162, v[1:4]
.LBB39_229:
	s_or_b32 exec_lo, exec_lo, s2
	s_waitcnt lgkmcnt(0)
	s_waitcnt_vscnt null, 0x0
	s_barrier
	buffer_gl0_inv
	s_clause 0x7
	scratch_load_b128 v[2:5], off, off offset:208
	scratch_load_b128 v[6:9], off, off offset:224
	;; [unrolled: 1-line block ×8, first 2 shown]
	v_mov_b32_e32 v1, 0
	s_clause 0x1
	scratch_load_b128 v[34:37], off, off offset:336
	scratch_load_b128 v[167:170], off, off offset:352
	s_mov_b32 s2, exec_lo
	ds_load_b128 v[38:41], v1 offset:848
	ds_load_b128 v[163:166], v1 offset:864
	s_waitcnt vmcnt(9) lgkmcnt(1)
	v_mul_f64 v[171:172], v[40:41], v[4:5]
	v_mul_f64 v[4:5], v[38:39], v[4:5]
	s_waitcnt vmcnt(8) lgkmcnt(0)
	v_mul_f64 v[173:174], v[163:164], v[8:9]
	v_mul_f64 v[8:9], v[165:166], v[8:9]
	s_delay_alu instid0(VALU_DEP_4) | instskip(NEXT) | instid1(VALU_DEP_4)
	v_fma_f64 v[171:172], v[38:39], v[2:3], -v[171:172]
	v_fma_f64 v[175:176], v[40:41], v[2:3], v[4:5]
	ds_load_b128 v[2:5], v1 offset:880
	scratch_load_b128 v[38:41], off, off offset:368
	v_fma_f64 v[173:174], v[165:166], v[6:7], v[173:174]
	v_fma_f64 v[179:180], v[163:164], v[6:7], -v[8:9]
	scratch_load_b128 v[163:166], off, off offset:384
	ds_load_b128 v[6:9], v1 offset:896
	s_waitcnt vmcnt(9) lgkmcnt(1)
	v_mul_f64 v[177:178], v[2:3], v[12:13]
	v_mul_f64 v[12:13], v[4:5], v[12:13]
	s_waitcnt vmcnt(8) lgkmcnt(0)
	v_mul_f64 v[181:182], v[6:7], v[16:17]
	v_mul_f64 v[16:17], v[8:9], v[16:17]
	v_add_f64 v[171:172], v[171:172], 0
	v_add_f64 v[175:176], v[175:176], 0
	v_fma_f64 v[177:178], v[4:5], v[10:11], v[177:178]
	v_fma_f64 v[183:184], v[2:3], v[10:11], -v[12:13]
	ds_load_b128 v[2:5], v1 offset:912
	scratch_load_b128 v[10:13], off, off offset:400
	v_add_f64 v[171:172], v[171:172], v[179:180]
	v_add_f64 v[173:174], v[175:176], v[173:174]
	v_fma_f64 v[179:180], v[8:9], v[14:15], v[181:182]
	v_fma_f64 v[181:182], v[6:7], v[14:15], -v[16:17]
	scratch_load_b128 v[14:17], off, off offset:416
	ds_load_b128 v[6:9], v1 offset:928
	s_waitcnt vmcnt(9) lgkmcnt(1)
	v_mul_f64 v[175:176], v[2:3], v[20:21]
	v_mul_f64 v[20:21], v[4:5], v[20:21]
	v_add_f64 v[171:172], v[171:172], v[183:184]
	v_add_f64 v[173:174], v[173:174], v[177:178]
	s_waitcnt vmcnt(8) lgkmcnt(0)
	v_mul_f64 v[177:178], v[6:7], v[24:25]
	v_mul_f64 v[24:25], v[8:9], v[24:25]
	v_fma_f64 v[175:176], v[4:5], v[18:19], v[175:176]
	v_fma_f64 v[183:184], v[2:3], v[18:19], -v[20:21]
	ds_load_b128 v[2:5], v1 offset:944
	scratch_load_b128 v[18:21], off, off offset:432
	v_add_f64 v[171:172], v[171:172], v[181:182]
	v_add_f64 v[173:174], v[173:174], v[179:180]
	v_fma_f64 v[177:178], v[8:9], v[22:23], v[177:178]
	v_fma_f64 v[181:182], v[6:7], v[22:23], -v[24:25]
	scratch_load_b128 v[22:25], off, off offset:448
	ds_load_b128 v[6:9], v1 offset:960
	s_waitcnt vmcnt(9) lgkmcnt(1)
	v_mul_f64 v[179:180], v[2:3], v[28:29]
	v_mul_f64 v[28:29], v[4:5], v[28:29]
	v_add_f64 v[171:172], v[171:172], v[183:184]
	v_add_f64 v[173:174], v[173:174], v[175:176]
	s_waitcnt vmcnt(8) lgkmcnt(0)
	v_mul_f64 v[175:176], v[6:7], v[32:33]
	v_mul_f64 v[32:33], v[8:9], v[32:33]
	;; [unrolled: 18-line block ×4, first 2 shown]
	v_fma_f64 v[175:176], v[4:5], v[38:39], v[175:176]
	v_fma_f64 v[183:184], v[2:3], v[38:39], -v[40:41]
	ds_load_b128 v[2:5], v1 offset:1040
	scratch_load_b128 v[38:41], off, off offset:528
	v_add_f64 v[171:172], v[171:172], v[181:182]
	v_add_f64 v[173:174], v[173:174], v[179:180]
	v_fma_f64 v[177:178], v[8:9], v[163:164], v[177:178]
	v_fma_f64 v[181:182], v[6:7], v[163:164], -v[165:166]
	ds_load_b128 v[6:9], v1 offset:1056
	s_waitcnt vmcnt(8) lgkmcnt(1)
	v_mul_f64 v[179:180], v[2:3], v[12:13]
	v_mul_f64 v[12:13], v[4:5], v[12:13]
	scratch_load_b128 v[163:166], off, off offset:544
	v_add_f64 v[171:172], v[171:172], v[183:184]
	v_add_f64 v[173:174], v[173:174], v[175:176]
	s_waitcnt vmcnt(8) lgkmcnt(0)
	v_mul_f64 v[175:176], v[6:7], v[16:17]
	v_mul_f64 v[16:17], v[8:9], v[16:17]
	v_fma_f64 v[179:180], v[4:5], v[10:11], v[179:180]
	v_fma_f64 v[183:184], v[2:3], v[10:11], -v[12:13]
	scratch_load_b128 v[10:13], off, off offset:560
	ds_load_b128 v[2:5], v1 offset:1072
	v_add_f64 v[171:172], v[171:172], v[181:182]
	v_add_f64 v[173:174], v[173:174], v[177:178]
	v_fma_f64 v[175:176], v[8:9], v[14:15], v[175:176]
	v_fma_f64 v[181:182], v[6:7], v[14:15], -v[16:17]
	ds_load_b128 v[6:9], v1 offset:1088
	s_waitcnt vmcnt(8) lgkmcnt(1)
	v_mul_f64 v[177:178], v[2:3], v[20:21]
	v_mul_f64 v[20:21], v[4:5], v[20:21]
	scratch_load_b128 v[14:17], off, off offset:576
	v_add_f64 v[171:172], v[171:172], v[183:184]
	v_add_f64 v[173:174], v[173:174], v[179:180]
	s_waitcnt vmcnt(8) lgkmcnt(0)
	v_mul_f64 v[179:180], v[6:7], v[24:25]
	v_mul_f64 v[24:25], v[8:9], v[24:25]
	v_fma_f64 v[177:178], v[4:5], v[18:19], v[177:178]
	v_fma_f64 v[183:184], v[2:3], v[18:19], -v[20:21]
	scratch_load_b128 v[18:21], off, off offset:592
	ds_load_b128 v[2:5], v1 offset:1104
	;; [unrolled: 18-line block ×3, first 2 shown]
	v_add_f64 v[171:172], v[171:172], v[181:182]
	v_add_f64 v[173:174], v[173:174], v[179:180]
	v_fma_f64 v[177:178], v[8:9], v[30:31], v[177:178]
	v_fma_f64 v[30:31], v[6:7], v[30:31], -v[32:33]
	ds_load_b128 v[6:9], v1 offset:1152
	s_waitcnt vmcnt(8) lgkmcnt(1)
	v_mul_f64 v[179:180], v[2:3], v[36:37]
	v_mul_f64 v[36:37], v[4:5], v[36:37]
	v_add_f64 v[32:33], v[171:172], v[183:184]
	v_add_f64 v[171:172], v[173:174], v[175:176]
	s_waitcnt vmcnt(7) lgkmcnt(0)
	v_mul_f64 v[173:174], v[6:7], v[169:170]
	v_mul_f64 v[169:170], v[8:9], v[169:170]
	v_fma_f64 v[175:176], v[4:5], v[34:35], v[179:180]
	v_fma_f64 v[34:35], v[2:3], v[34:35], -v[36:37]
	ds_load_b128 v[2:5], v1 offset:1168
	v_add_f64 v[30:31], v[32:33], v[30:31]
	v_add_f64 v[32:33], v[171:172], v[177:178]
	v_fma_f64 v[171:172], v[8:9], v[167:168], v[173:174]
	v_fma_f64 v[167:168], v[6:7], v[167:168], -v[169:170]
	ds_load_b128 v[6:9], v1 offset:1184
	s_waitcnt vmcnt(5) lgkmcnt(0)
	v_mul_f64 v[173:174], v[6:7], v[165:166]
	v_mul_f64 v[165:166], v[8:9], v[165:166]
	v_add_f64 v[34:35], v[30:31], v[34:35]
	v_add_f64 v[169:170], v[32:33], v[175:176]
	scratch_load_b128 v[30:33], off, off offset:192
	v_mul_f64 v[36:37], v[2:3], v[40:41]
	v_mul_f64 v[40:41], v[4:5], v[40:41]
	v_add_f64 v[34:35], v[34:35], v[167:168]
	s_delay_alu instid0(VALU_DEP_3) | instskip(NEXT) | instid1(VALU_DEP_3)
	v_fma_f64 v[36:37], v[4:5], v[38:39], v[36:37]
	v_fma_f64 v[38:39], v[2:3], v[38:39], -v[40:41]
	v_add_f64 v[40:41], v[169:170], v[171:172]
	ds_load_b128 v[2:5], v1 offset:1200
	v_fma_f64 v[169:170], v[8:9], v[163:164], v[173:174]
	v_fma_f64 v[163:164], v[6:7], v[163:164], -v[165:166]
	ds_load_b128 v[6:9], v1 offset:1216
	s_waitcnt vmcnt(5) lgkmcnt(1)
	v_mul_f64 v[167:168], v[2:3], v[12:13]
	v_mul_f64 v[12:13], v[4:5], v[12:13]
	v_add_f64 v[34:35], v[34:35], v[38:39]
	v_add_f64 v[36:37], v[40:41], v[36:37]
	s_waitcnt vmcnt(4) lgkmcnt(0)
	v_mul_f64 v[38:39], v[6:7], v[16:17]
	v_mul_f64 v[16:17], v[8:9], v[16:17]
	v_fma_f64 v[40:41], v[4:5], v[10:11], v[167:168]
	v_fma_f64 v[10:11], v[2:3], v[10:11], -v[12:13]
	ds_load_b128 v[2:5], v1 offset:1232
	v_add_f64 v[12:13], v[34:35], v[163:164]
	v_add_f64 v[34:35], v[36:37], v[169:170]
	v_fma_f64 v[38:39], v[8:9], v[14:15], v[38:39]
	v_fma_f64 v[14:15], v[6:7], v[14:15], -v[16:17]
	ds_load_b128 v[6:9], v1 offset:1248
	s_waitcnt vmcnt(3) lgkmcnt(1)
	v_mul_f64 v[36:37], v[2:3], v[20:21]
	v_mul_f64 v[20:21], v[4:5], v[20:21]
	s_waitcnt vmcnt(2) lgkmcnt(0)
	v_mul_f64 v[16:17], v[6:7], v[24:25]
	v_mul_f64 v[24:25], v[8:9], v[24:25]
	v_add_f64 v[10:11], v[12:13], v[10:11]
	v_add_f64 v[12:13], v[34:35], v[40:41]
	v_fma_f64 v[34:35], v[4:5], v[18:19], v[36:37]
	v_fma_f64 v[18:19], v[2:3], v[18:19], -v[20:21]
	ds_load_b128 v[2:5], v1 offset:1264
	v_fma_f64 v[8:9], v[8:9], v[22:23], v[16:17]
	v_fma_f64 v[6:7], v[6:7], v[22:23], -v[24:25]
	s_waitcnt vmcnt(1) lgkmcnt(0)
	v_mul_f64 v[20:21], v[4:5], v[28:29]
	v_add_f64 v[10:11], v[10:11], v[14:15]
	v_add_f64 v[12:13], v[12:13], v[38:39]
	v_mul_f64 v[14:15], v[2:3], v[28:29]
	s_delay_alu instid0(VALU_DEP_4) | instskip(NEXT) | instid1(VALU_DEP_4)
	v_fma_f64 v[2:3], v[2:3], v[26:27], -v[20:21]
	v_add_f64 v[10:11], v[10:11], v[18:19]
	s_delay_alu instid0(VALU_DEP_4) | instskip(NEXT) | instid1(VALU_DEP_4)
	v_add_f64 v[12:13], v[12:13], v[34:35]
	v_fma_f64 v[4:5], v[4:5], v[26:27], v[14:15]
	s_delay_alu instid0(VALU_DEP_3) | instskip(NEXT) | instid1(VALU_DEP_3)
	v_add_f64 v[6:7], v[10:11], v[6:7]
	v_add_f64 v[8:9], v[12:13], v[8:9]
	s_delay_alu instid0(VALU_DEP_2) | instskip(NEXT) | instid1(VALU_DEP_2)
	v_add_f64 v[2:3], v[6:7], v[2:3]
	v_add_f64 v[4:5], v[8:9], v[4:5]
	s_waitcnt vmcnt(0)
	s_delay_alu instid0(VALU_DEP_2) | instskip(NEXT) | instid1(VALU_DEP_2)
	v_add_f64 v[2:3], v[30:31], -v[2:3]
	v_add_f64 v[4:5], v[32:33], -v[4:5]
	scratch_store_b128 off, v[2:5], off offset:192
	v_cmpx_lt_u32_e32 11, v122
	s_cbranch_execz .LBB39_231
; %bb.230:
	scratch_load_b128 v[5:8], v156, off
	v_mov_b32_e32 v2, v1
	v_mov_b32_e32 v3, v1
	v_mov_b32_e32 v4, v1
	scratch_store_b128 off, v[1:4], off offset:176
	s_waitcnt vmcnt(0)
	ds_store_b128 v162, v[5:8]
.LBB39_231:
	s_or_b32 exec_lo, exec_lo, s2
	s_waitcnt lgkmcnt(0)
	s_waitcnt_vscnt null, 0x0
	s_barrier
	buffer_gl0_inv
	s_clause 0x7
	scratch_load_b128 v[2:5], off, off offset:192
	scratch_load_b128 v[6:9], off, off offset:208
	;; [unrolled: 1-line block ×8, first 2 shown]
	ds_load_b128 v[38:41], v1 offset:832
	ds_load_b128 v[163:166], v1 offset:848
	s_clause 0x1
	scratch_load_b128 v[34:37], off, off offset:320
	scratch_load_b128 v[167:170], off, off offset:336
	s_mov_b32 s2, exec_lo
	s_waitcnt vmcnt(9) lgkmcnt(1)
	v_mul_f64 v[171:172], v[40:41], v[4:5]
	v_mul_f64 v[4:5], v[38:39], v[4:5]
	s_waitcnt vmcnt(8) lgkmcnt(0)
	v_mul_f64 v[173:174], v[163:164], v[8:9]
	v_mul_f64 v[8:9], v[165:166], v[8:9]
	s_delay_alu instid0(VALU_DEP_4) | instskip(NEXT) | instid1(VALU_DEP_4)
	v_fma_f64 v[171:172], v[38:39], v[2:3], -v[171:172]
	v_fma_f64 v[175:176], v[40:41], v[2:3], v[4:5]
	ds_load_b128 v[2:5], v1 offset:864
	scratch_load_b128 v[38:41], off, off offset:352
	v_fma_f64 v[173:174], v[165:166], v[6:7], v[173:174]
	v_fma_f64 v[179:180], v[163:164], v[6:7], -v[8:9]
	scratch_load_b128 v[163:166], off, off offset:368
	ds_load_b128 v[6:9], v1 offset:880
	s_waitcnt vmcnt(9) lgkmcnt(1)
	v_mul_f64 v[177:178], v[2:3], v[12:13]
	v_mul_f64 v[12:13], v[4:5], v[12:13]
	s_waitcnt vmcnt(8) lgkmcnt(0)
	v_mul_f64 v[181:182], v[6:7], v[16:17]
	v_mul_f64 v[16:17], v[8:9], v[16:17]
	v_add_f64 v[171:172], v[171:172], 0
	v_add_f64 v[175:176], v[175:176], 0
	v_fma_f64 v[177:178], v[4:5], v[10:11], v[177:178]
	v_fma_f64 v[183:184], v[2:3], v[10:11], -v[12:13]
	ds_load_b128 v[2:5], v1 offset:896
	scratch_load_b128 v[10:13], off, off offset:384
	v_add_f64 v[171:172], v[171:172], v[179:180]
	v_add_f64 v[173:174], v[175:176], v[173:174]
	v_fma_f64 v[179:180], v[8:9], v[14:15], v[181:182]
	v_fma_f64 v[181:182], v[6:7], v[14:15], -v[16:17]
	scratch_load_b128 v[14:17], off, off offset:400
	ds_load_b128 v[6:9], v1 offset:912
	s_waitcnt vmcnt(9) lgkmcnt(1)
	v_mul_f64 v[175:176], v[2:3], v[20:21]
	v_mul_f64 v[20:21], v[4:5], v[20:21]
	v_add_f64 v[171:172], v[171:172], v[183:184]
	v_add_f64 v[173:174], v[173:174], v[177:178]
	s_waitcnt vmcnt(8) lgkmcnt(0)
	v_mul_f64 v[177:178], v[6:7], v[24:25]
	v_mul_f64 v[24:25], v[8:9], v[24:25]
	v_fma_f64 v[175:176], v[4:5], v[18:19], v[175:176]
	v_fma_f64 v[183:184], v[2:3], v[18:19], -v[20:21]
	ds_load_b128 v[2:5], v1 offset:928
	scratch_load_b128 v[18:21], off, off offset:416
	v_add_f64 v[171:172], v[171:172], v[181:182]
	v_add_f64 v[173:174], v[173:174], v[179:180]
	v_fma_f64 v[177:178], v[8:9], v[22:23], v[177:178]
	v_fma_f64 v[181:182], v[6:7], v[22:23], -v[24:25]
	scratch_load_b128 v[22:25], off, off offset:432
	ds_load_b128 v[6:9], v1 offset:944
	s_waitcnt vmcnt(9) lgkmcnt(1)
	v_mul_f64 v[179:180], v[2:3], v[28:29]
	v_mul_f64 v[28:29], v[4:5], v[28:29]
	v_add_f64 v[171:172], v[171:172], v[183:184]
	v_add_f64 v[173:174], v[173:174], v[175:176]
	s_waitcnt vmcnt(8) lgkmcnt(0)
	v_mul_f64 v[175:176], v[6:7], v[32:33]
	v_mul_f64 v[32:33], v[8:9], v[32:33]
	;; [unrolled: 18-line block ×4, first 2 shown]
	v_fma_f64 v[175:176], v[4:5], v[38:39], v[175:176]
	v_fma_f64 v[183:184], v[2:3], v[38:39], -v[40:41]
	ds_load_b128 v[2:5], v1 offset:1024
	scratch_load_b128 v[38:41], off, off offset:512
	v_add_f64 v[171:172], v[171:172], v[181:182]
	v_add_f64 v[173:174], v[173:174], v[179:180]
	v_fma_f64 v[177:178], v[8:9], v[163:164], v[177:178]
	v_fma_f64 v[181:182], v[6:7], v[163:164], -v[165:166]
	ds_load_b128 v[6:9], v1 offset:1040
	s_waitcnt vmcnt(8) lgkmcnt(1)
	v_mul_f64 v[179:180], v[2:3], v[12:13]
	v_mul_f64 v[12:13], v[4:5], v[12:13]
	scratch_load_b128 v[163:166], off, off offset:528
	v_add_f64 v[171:172], v[171:172], v[183:184]
	v_add_f64 v[173:174], v[173:174], v[175:176]
	s_waitcnt vmcnt(8) lgkmcnt(0)
	v_mul_f64 v[175:176], v[6:7], v[16:17]
	v_mul_f64 v[16:17], v[8:9], v[16:17]
	v_fma_f64 v[179:180], v[4:5], v[10:11], v[179:180]
	v_fma_f64 v[183:184], v[2:3], v[10:11], -v[12:13]
	ds_load_b128 v[2:5], v1 offset:1056
	scratch_load_b128 v[10:13], off, off offset:544
	v_add_f64 v[171:172], v[171:172], v[181:182]
	v_add_f64 v[173:174], v[173:174], v[177:178]
	v_fma_f64 v[175:176], v[8:9], v[14:15], v[175:176]
	v_fma_f64 v[181:182], v[6:7], v[14:15], -v[16:17]
	ds_load_b128 v[6:9], v1 offset:1072
	s_waitcnt vmcnt(8) lgkmcnt(1)
	v_mul_f64 v[177:178], v[2:3], v[20:21]
	v_mul_f64 v[20:21], v[4:5], v[20:21]
	scratch_load_b128 v[14:17], off, off offset:560
	v_add_f64 v[171:172], v[171:172], v[183:184]
	v_add_f64 v[173:174], v[173:174], v[179:180]
	s_waitcnt vmcnt(8) lgkmcnt(0)
	v_mul_f64 v[179:180], v[6:7], v[24:25]
	v_mul_f64 v[24:25], v[8:9], v[24:25]
	v_fma_f64 v[177:178], v[4:5], v[18:19], v[177:178]
	v_fma_f64 v[183:184], v[2:3], v[18:19], -v[20:21]
	scratch_load_b128 v[18:21], off, off offset:576
	ds_load_b128 v[2:5], v1 offset:1088
	v_add_f64 v[171:172], v[171:172], v[181:182]
	v_add_f64 v[173:174], v[173:174], v[175:176]
	v_fma_f64 v[179:180], v[8:9], v[22:23], v[179:180]
	v_fma_f64 v[181:182], v[6:7], v[22:23], -v[24:25]
	ds_load_b128 v[6:9], v1 offset:1104
	s_waitcnt vmcnt(8) lgkmcnt(1)
	v_mul_f64 v[175:176], v[2:3], v[28:29]
	v_mul_f64 v[28:29], v[4:5], v[28:29]
	scratch_load_b128 v[22:25], off, off offset:592
	v_add_f64 v[171:172], v[171:172], v[183:184]
	v_add_f64 v[173:174], v[173:174], v[177:178]
	s_waitcnt vmcnt(8) lgkmcnt(0)
	v_mul_f64 v[177:178], v[6:7], v[32:33]
	v_mul_f64 v[32:33], v[8:9], v[32:33]
	v_fma_f64 v[175:176], v[4:5], v[26:27], v[175:176]
	v_fma_f64 v[183:184], v[2:3], v[26:27], -v[28:29]
	scratch_load_b128 v[26:29], off, off offset:608
	ds_load_b128 v[2:5], v1 offset:1120
	v_add_f64 v[171:172], v[171:172], v[181:182]
	v_add_f64 v[173:174], v[173:174], v[179:180]
	v_fma_f64 v[177:178], v[8:9], v[30:31], v[177:178]
	v_fma_f64 v[181:182], v[6:7], v[30:31], -v[32:33]
	ds_load_b128 v[6:9], v1 offset:1136
	s_waitcnt vmcnt(8) lgkmcnt(1)
	v_mul_f64 v[179:180], v[2:3], v[36:37]
	v_mul_f64 v[36:37], v[4:5], v[36:37]
	scratch_load_b128 v[30:33], off, off offset:624
	v_add_f64 v[171:172], v[171:172], v[183:184]
	v_add_f64 v[173:174], v[173:174], v[175:176]
	s_waitcnt vmcnt(8) lgkmcnt(0)
	v_mul_f64 v[175:176], v[6:7], v[169:170]
	v_mul_f64 v[169:170], v[8:9], v[169:170]
	v_fma_f64 v[179:180], v[4:5], v[34:35], v[179:180]
	v_fma_f64 v[34:35], v[2:3], v[34:35], -v[36:37]
	ds_load_b128 v[2:5], v1 offset:1152
	v_add_f64 v[36:37], v[171:172], v[181:182]
	v_add_f64 v[171:172], v[173:174], v[177:178]
	v_fma_f64 v[175:176], v[8:9], v[167:168], v[175:176]
	v_fma_f64 v[167:168], v[6:7], v[167:168], -v[169:170]
	ds_load_b128 v[6:9], v1 offset:1168
	s_waitcnt vmcnt(7) lgkmcnt(1)
	v_mul_f64 v[173:174], v[2:3], v[40:41]
	v_mul_f64 v[40:41], v[4:5], v[40:41]
	v_add_f64 v[34:35], v[36:37], v[34:35]
	v_add_f64 v[36:37], v[171:172], v[179:180]
	s_delay_alu instid0(VALU_DEP_4) | instskip(NEXT) | instid1(VALU_DEP_4)
	v_fma_f64 v[171:172], v[4:5], v[38:39], v[173:174]
	v_fma_f64 v[38:39], v[2:3], v[38:39], -v[40:41]
	ds_load_b128 v[2:5], v1 offset:1184
	v_add_f64 v[40:41], v[34:35], v[167:168]
	v_add_f64 v[167:168], v[36:37], v[175:176]
	scratch_load_b128 v[34:37], off, off offset:176
	s_waitcnt vmcnt(7) lgkmcnt(1)
	v_mul_f64 v[169:170], v[6:7], v[165:166]
	v_mul_f64 v[165:166], v[8:9], v[165:166]
	v_add_f64 v[38:39], v[40:41], v[38:39]
	v_add_f64 v[40:41], v[167:168], v[171:172]
	s_delay_alu instid0(VALU_DEP_4) | instskip(NEXT) | instid1(VALU_DEP_4)
	v_fma_f64 v[169:170], v[8:9], v[163:164], v[169:170]
	v_fma_f64 v[163:164], v[6:7], v[163:164], -v[165:166]
	ds_load_b128 v[6:9], v1 offset:1200
	s_waitcnt vmcnt(6) lgkmcnt(1)
	v_mul_f64 v[173:174], v[2:3], v[12:13]
	v_mul_f64 v[12:13], v[4:5], v[12:13]
	s_waitcnt vmcnt(5) lgkmcnt(0)
	v_mul_f64 v[165:166], v[6:7], v[16:17]
	v_mul_f64 v[16:17], v[8:9], v[16:17]
	s_delay_alu instid0(VALU_DEP_4) | instskip(NEXT) | instid1(VALU_DEP_4)
	v_fma_f64 v[167:168], v[4:5], v[10:11], v[173:174]
	v_fma_f64 v[10:11], v[2:3], v[10:11], -v[12:13]
	v_add_f64 v[12:13], v[38:39], v[163:164]
	v_add_f64 v[38:39], v[40:41], v[169:170]
	ds_load_b128 v[2:5], v1 offset:1216
	v_fma_f64 v[163:164], v[8:9], v[14:15], v[165:166]
	v_fma_f64 v[14:15], v[6:7], v[14:15], -v[16:17]
	ds_load_b128 v[6:9], v1 offset:1232
	s_waitcnt vmcnt(4) lgkmcnt(1)
	v_mul_f64 v[40:41], v[2:3], v[20:21]
	v_mul_f64 v[20:21], v[4:5], v[20:21]
	v_add_f64 v[10:11], v[12:13], v[10:11]
	v_add_f64 v[12:13], v[38:39], v[167:168]
	s_waitcnt vmcnt(3) lgkmcnt(0)
	v_mul_f64 v[16:17], v[6:7], v[24:25]
	v_mul_f64 v[24:25], v[8:9], v[24:25]
	v_fma_f64 v[38:39], v[4:5], v[18:19], v[40:41]
	v_fma_f64 v[18:19], v[2:3], v[18:19], -v[20:21]
	ds_load_b128 v[2:5], v1 offset:1248
	v_add_f64 v[10:11], v[10:11], v[14:15]
	v_add_f64 v[12:13], v[12:13], v[163:164]
	v_fma_f64 v[16:17], v[8:9], v[22:23], v[16:17]
	v_fma_f64 v[22:23], v[6:7], v[22:23], -v[24:25]
	ds_load_b128 v[6:9], v1 offset:1264
	s_waitcnt vmcnt(2) lgkmcnt(1)
	v_mul_f64 v[14:15], v[2:3], v[28:29]
	v_mul_f64 v[20:21], v[4:5], v[28:29]
	s_waitcnt vmcnt(1) lgkmcnt(0)
	v_mul_f64 v[24:25], v[8:9], v[32:33]
	v_add_f64 v[10:11], v[10:11], v[18:19]
	v_add_f64 v[12:13], v[12:13], v[38:39]
	v_mul_f64 v[18:19], v[6:7], v[32:33]
	v_fma_f64 v[4:5], v[4:5], v[26:27], v[14:15]
	v_fma_f64 v[1:2], v[2:3], v[26:27], -v[20:21]
	v_fma_f64 v[6:7], v[6:7], v[30:31], -v[24:25]
	v_add_f64 v[10:11], v[10:11], v[22:23]
	v_add_f64 v[12:13], v[12:13], v[16:17]
	v_fma_f64 v[8:9], v[8:9], v[30:31], v[18:19]
	s_delay_alu instid0(VALU_DEP_3) | instskip(NEXT) | instid1(VALU_DEP_3)
	v_add_f64 v[1:2], v[10:11], v[1:2]
	v_add_f64 v[3:4], v[12:13], v[4:5]
	s_delay_alu instid0(VALU_DEP_2) | instskip(NEXT) | instid1(VALU_DEP_2)
	v_add_f64 v[1:2], v[1:2], v[6:7]
	v_add_f64 v[3:4], v[3:4], v[8:9]
	s_waitcnt vmcnt(0)
	s_delay_alu instid0(VALU_DEP_2) | instskip(NEXT) | instid1(VALU_DEP_2)
	v_add_f64 v[1:2], v[34:35], -v[1:2]
	v_add_f64 v[3:4], v[36:37], -v[3:4]
	scratch_store_b128 off, v[1:4], off offset:176
	v_cmpx_lt_u32_e32 10, v122
	s_cbranch_execz .LBB39_233
; %bb.232:
	scratch_load_b128 v[1:4], v155, off
	v_mov_b32_e32 v5, 0
	s_delay_alu instid0(VALU_DEP_1)
	v_mov_b32_e32 v6, v5
	v_mov_b32_e32 v7, v5
	;; [unrolled: 1-line block ×3, first 2 shown]
	scratch_store_b128 off, v[5:8], off offset:160
	s_waitcnt vmcnt(0)
	ds_store_b128 v162, v[1:4]
.LBB39_233:
	s_or_b32 exec_lo, exec_lo, s2
	s_waitcnt lgkmcnt(0)
	s_waitcnt_vscnt null, 0x0
	s_barrier
	buffer_gl0_inv
	s_clause 0x7
	scratch_load_b128 v[2:5], off, off offset:176
	scratch_load_b128 v[6:9], off, off offset:192
	;; [unrolled: 1-line block ×8, first 2 shown]
	v_mov_b32_e32 v1, 0
	s_clause 0x1
	scratch_load_b128 v[34:37], off, off offset:304
	scratch_load_b128 v[167:170], off, off offset:320
	s_mov_b32 s2, exec_lo
	ds_load_b128 v[38:41], v1 offset:816
	ds_load_b128 v[163:166], v1 offset:832
	s_waitcnt vmcnt(9) lgkmcnt(1)
	v_mul_f64 v[171:172], v[40:41], v[4:5]
	v_mul_f64 v[4:5], v[38:39], v[4:5]
	s_waitcnt vmcnt(8) lgkmcnt(0)
	v_mul_f64 v[173:174], v[163:164], v[8:9]
	v_mul_f64 v[8:9], v[165:166], v[8:9]
	s_delay_alu instid0(VALU_DEP_4) | instskip(NEXT) | instid1(VALU_DEP_4)
	v_fma_f64 v[171:172], v[38:39], v[2:3], -v[171:172]
	v_fma_f64 v[175:176], v[40:41], v[2:3], v[4:5]
	ds_load_b128 v[2:5], v1 offset:848
	scratch_load_b128 v[38:41], off, off offset:336
	v_fma_f64 v[173:174], v[165:166], v[6:7], v[173:174]
	v_fma_f64 v[179:180], v[163:164], v[6:7], -v[8:9]
	scratch_load_b128 v[163:166], off, off offset:352
	ds_load_b128 v[6:9], v1 offset:864
	s_waitcnt vmcnt(9) lgkmcnt(1)
	v_mul_f64 v[177:178], v[2:3], v[12:13]
	v_mul_f64 v[12:13], v[4:5], v[12:13]
	s_waitcnt vmcnt(8) lgkmcnt(0)
	v_mul_f64 v[181:182], v[6:7], v[16:17]
	v_mul_f64 v[16:17], v[8:9], v[16:17]
	v_add_f64 v[171:172], v[171:172], 0
	v_add_f64 v[175:176], v[175:176], 0
	v_fma_f64 v[177:178], v[4:5], v[10:11], v[177:178]
	v_fma_f64 v[183:184], v[2:3], v[10:11], -v[12:13]
	ds_load_b128 v[2:5], v1 offset:880
	scratch_load_b128 v[10:13], off, off offset:368
	v_add_f64 v[171:172], v[171:172], v[179:180]
	v_add_f64 v[173:174], v[175:176], v[173:174]
	v_fma_f64 v[179:180], v[8:9], v[14:15], v[181:182]
	v_fma_f64 v[181:182], v[6:7], v[14:15], -v[16:17]
	scratch_load_b128 v[14:17], off, off offset:384
	ds_load_b128 v[6:9], v1 offset:896
	s_waitcnt vmcnt(9) lgkmcnt(1)
	v_mul_f64 v[175:176], v[2:3], v[20:21]
	v_mul_f64 v[20:21], v[4:5], v[20:21]
	v_add_f64 v[171:172], v[171:172], v[183:184]
	v_add_f64 v[173:174], v[173:174], v[177:178]
	s_waitcnt vmcnt(8) lgkmcnt(0)
	v_mul_f64 v[177:178], v[6:7], v[24:25]
	v_mul_f64 v[24:25], v[8:9], v[24:25]
	v_fma_f64 v[175:176], v[4:5], v[18:19], v[175:176]
	v_fma_f64 v[183:184], v[2:3], v[18:19], -v[20:21]
	ds_load_b128 v[2:5], v1 offset:912
	scratch_load_b128 v[18:21], off, off offset:400
	v_add_f64 v[171:172], v[171:172], v[181:182]
	v_add_f64 v[173:174], v[173:174], v[179:180]
	v_fma_f64 v[177:178], v[8:9], v[22:23], v[177:178]
	v_fma_f64 v[181:182], v[6:7], v[22:23], -v[24:25]
	scratch_load_b128 v[22:25], off, off offset:416
	ds_load_b128 v[6:9], v1 offset:928
	s_waitcnt vmcnt(9) lgkmcnt(1)
	v_mul_f64 v[179:180], v[2:3], v[28:29]
	v_mul_f64 v[28:29], v[4:5], v[28:29]
	v_add_f64 v[171:172], v[171:172], v[183:184]
	v_add_f64 v[173:174], v[173:174], v[175:176]
	s_waitcnt vmcnt(8) lgkmcnt(0)
	v_mul_f64 v[175:176], v[6:7], v[32:33]
	v_mul_f64 v[32:33], v[8:9], v[32:33]
	;; [unrolled: 18-line block ×5, first 2 shown]
	v_fma_f64 v[179:180], v[4:5], v[10:11], v[179:180]
	v_fma_f64 v[183:184], v[2:3], v[10:11], -v[12:13]
	ds_load_b128 v[2:5], v1 offset:1040
	scratch_load_b128 v[10:13], off, off offset:528
	v_add_f64 v[171:172], v[171:172], v[181:182]
	v_add_f64 v[173:174], v[173:174], v[177:178]
	v_fma_f64 v[175:176], v[8:9], v[14:15], v[175:176]
	v_fma_f64 v[181:182], v[6:7], v[14:15], -v[16:17]
	ds_load_b128 v[6:9], v1 offset:1056
	s_waitcnt vmcnt(8) lgkmcnt(1)
	v_mul_f64 v[177:178], v[2:3], v[20:21]
	v_mul_f64 v[20:21], v[4:5], v[20:21]
	scratch_load_b128 v[14:17], off, off offset:544
	v_add_f64 v[171:172], v[171:172], v[183:184]
	v_add_f64 v[173:174], v[173:174], v[179:180]
	s_waitcnt vmcnt(8) lgkmcnt(0)
	v_mul_f64 v[179:180], v[6:7], v[24:25]
	v_mul_f64 v[24:25], v[8:9], v[24:25]
	v_fma_f64 v[177:178], v[4:5], v[18:19], v[177:178]
	v_fma_f64 v[183:184], v[2:3], v[18:19], -v[20:21]
	scratch_load_b128 v[18:21], off, off offset:560
	ds_load_b128 v[2:5], v1 offset:1072
	v_add_f64 v[171:172], v[171:172], v[181:182]
	v_add_f64 v[173:174], v[173:174], v[175:176]
	v_fma_f64 v[179:180], v[8:9], v[22:23], v[179:180]
	v_fma_f64 v[181:182], v[6:7], v[22:23], -v[24:25]
	ds_load_b128 v[6:9], v1 offset:1088
	s_waitcnt vmcnt(8) lgkmcnt(1)
	v_mul_f64 v[175:176], v[2:3], v[28:29]
	v_mul_f64 v[28:29], v[4:5], v[28:29]
	scratch_load_b128 v[22:25], off, off offset:576
	v_add_f64 v[171:172], v[171:172], v[183:184]
	v_add_f64 v[173:174], v[173:174], v[177:178]
	s_waitcnt vmcnt(8) lgkmcnt(0)
	v_mul_f64 v[177:178], v[6:7], v[32:33]
	v_mul_f64 v[32:33], v[8:9], v[32:33]
	v_fma_f64 v[175:176], v[4:5], v[26:27], v[175:176]
	v_fma_f64 v[183:184], v[2:3], v[26:27], -v[28:29]
	scratch_load_b128 v[26:29], off, off offset:592
	ds_load_b128 v[2:5], v1 offset:1104
	v_add_f64 v[171:172], v[171:172], v[181:182]
	v_add_f64 v[173:174], v[173:174], v[179:180]
	v_fma_f64 v[177:178], v[8:9], v[30:31], v[177:178]
	v_fma_f64 v[181:182], v[6:7], v[30:31], -v[32:33]
	ds_load_b128 v[6:9], v1 offset:1120
	s_waitcnt vmcnt(8) lgkmcnt(1)
	v_mul_f64 v[179:180], v[2:3], v[36:37]
	v_mul_f64 v[36:37], v[4:5], v[36:37]
	scratch_load_b128 v[30:33], off, off offset:608
	v_add_f64 v[171:172], v[171:172], v[183:184]
	v_add_f64 v[173:174], v[173:174], v[175:176]
	s_waitcnt vmcnt(8) lgkmcnt(0)
	v_mul_f64 v[175:176], v[6:7], v[169:170]
	v_mul_f64 v[169:170], v[8:9], v[169:170]
	v_fma_f64 v[179:180], v[4:5], v[34:35], v[179:180]
	v_fma_f64 v[183:184], v[2:3], v[34:35], -v[36:37]
	scratch_load_b128 v[34:37], off, off offset:624
	ds_load_b128 v[2:5], v1 offset:1136
	v_add_f64 v[171:172], v[171:172], v[181:182]
	v_add_f64 v[173:174], v[173:174], v[177:178]
	v_fma_f64 v[175:176], v[8:9], v[167:168], v[175:176]
	v_fma_f64 v[167:168], v[6:7], v[167:168], -v[169:170]
	ds_load_b128 v[6:9], v1 offset:1152
	s_waitcnt vmcnt(8) lgkmcnt(1)
	v_mul_f64 v[177:178], v[2:3], v[40:41]
	v_mul_f64 v[40:41], v[4:5], v[40:41]
	v_add_f64 v[169:170], v[171:172], v[183:184]
	v_add_f64 v[171:172], v[173:174], v[179:180]
	s_waitcnt vmcnt(7) lgkmcnt(0)
	v_mul_f64 v[173:174], v[6:7], v[165:166]
	v_mul_f64 v[165:166], v[8:9], v[165:166]
	v_fma_f64 v[177:178], v[4:5], v[38:39], v[177:178]
	v_fma_f64 v[38:39], v[2:3], v[38:39], -v[40:41]
	ds_load_b128 v[2:5], v1 offset:1168
	v_add_f64 v[40:41], v[169:170], v[167:168]
	v_add_f64 v[167:168], v[171:172], v[175:176]
	v_fma_f64 v[171:172], v[8:9], v[163:164], v[173:174]
	v_fma_f64 v[163:164], v[6:7], v[163:164], -v[165:166]
	ds_load_b128 v[6:9], v1 offset:1184
	s_waitcnt vmcnt(5) lgkmcnt(0)
	v_mul_f64 v[173:174], v[6:7], v[16:17]
	v_mul_f64 v[16:17], v[8:9], v[16:17]
	v_add_f64 v[165:166], v[40:41], v[38:39]
	v_add_f64 v[167:168], v[167:168], v[177:178]
	scratch_load_b128 v[38:41], off, off offset:160
	v_mul_f64 v[169:170], v[2:3], v[12:13]
	v_mul_f64 v[12:13], v[4:5], v[12:13]
	s_delay_alu instid0(VALU_DEP_2) | instskip(NEXT) | instid1(VALU_DEP_2)
	v_fma_f64 v[169:170], v[4:5], v[10:11], v[169:170]
	v_fma_f64 v[10:11], v[2:3], v[10:11], -v[12:13]
	v_add_f64 v[12:13], v[165:166], v[163:164]
	v_add_f64 v[163:164], v[167:168], v[171:172]
	ds_load_b128 v[2:5], v1 offset:1200
	v_fma_f64 v[167:168], v[8:9], v[14:15], v[173:174]
	v_fma_f64 v[14:15], v[6:7], v[14:15], -v[16:17]
	ds_load_b128 v[6:9], v1 offset:1216
	s_waitcnt vmcnt(5) lgkmcnt(1)
	v_mul_f64 v[165:166], v[2:3], v[20:21]
	v_mul_f64 v[20:21], v[4:5], v[20:21]
	s_waitcnt vmcnt(4) lgkmcnt(0)
	v_mul_f64 v[16:17], v[6:7], v[24:25]
	v_mul_f64 v[24:25], v[8:9], v[24:25]
	v_add_f64 v[10:11], v[12:13], v[10:11]
	v_add_f64 v[12:13], v[163:164], v[169:170]
	v_fma_f64 v[163:164], v[4:5], v[18:19], v[165:166]
	v_fma_f64 v[18:19], v[2:3], v[18:19], -v[20:21]
	ds_load_b128 v[2:5], v1 offset:1232
	v_fma_f64 v[16:17], v[8:9], v[22:23], v[16:17]
	v_fma_f64 v[22:23], v[6:7], v[22:23], -v[24:25]
	ds_load_b128 v[6:9], v1 offset:1248
	v_add_f64 v[10:11], v[10:11], v[14:15]
	v_add_f64 v[12:13], v[12:13], v[167:168]
	s_waitcnt vmcnt(3) lgkmcnt(1)
	v_mul_f64 v[14:15], v[2:3], v[28:29]
	v_mul_f64 v[20:21], v[4:5], v[28:29]
	s_waitcnt vmcnt(2) lgkmcnt(0)
	v_mul_f64 v[24:25], v[8:9], v[32:33]
	v_add_f64 v[10:11], v[10:11], v[18:19]
	v_add_f64 v[12:13], v[12:13], v[163:164]
	v_mul_f64 v[18:19], v[6:7], v[32:33]
	v_fma_f64 v[14:15], v[4:5], v[26:27], v[14:15]
	v_fma_f64 v[20:21], v[2:3], v[26:27], -v[20:21]
	ds_load_b128 v[2:5], v1 offset:1264
	v_fma_f64 v[6:7], v[6:7], v[30:31], -v[24:25]
	v_add_f64 v[10:11], v[10:11], v[22:23]
	v_add_f64 v[12:13], v[12:13], v[16:17]
	s_waitcnt vmcnt(1) lgkmcnt(0)
	v_mul_f64 v[16:17], v[2:3], v[36:37]
	v_mul_f64 v[22:23], v[4:5], v[36:37]
	v_fma_f64 v[8:9], v[8:9], v[30:31], v[18:19]
	v_add_f64 v[10:11], v[10:11], v[20:21]
	v_add_f64 v[12:13], v[12:13], v[14:15]
	v_fma_f64 v[4:5], v[4:5], v[34:35], v[16:17]
	v_fma_f64 v[2:3], v[2:3], v[34:35], -v[22:23]
	s_delay_alu instid0(VALU_DEP_4) | instskip(NEXT) | instid1(VALU_DEP_4)
	v_add_f64 v[6:7], v[10:11], v[6:7]
	v_add_f64 v[8:9], v[12:13], v[8:9]
	s_delay_alu instid0(VALU_DEP_2) | instskip(NEXT) | instid1(VALU_DEP_2)
	v_add_f64 v[2:3], v[6:7], v[2:3]
	v_add_f64 v[4:5], v[8:9], v[4:5]
	s_waitcnt vmcnt(0)
	s_delay_alu instid0(VALU_DEP_2) | instskip(NEXT) | instid1(VALU_DEP_2)
	v_add_f64 v[2:3], v[38:39], -v[2:3]
	v_add_f64 v[4:5], v[40:41], -v[4:5]
	scratch_store_b128 off, v[2:5], off offset:160
	v_cmpx_lt_u32_e32 9, v122
	s_cbranch_execz .LBB39_235
; %bb.234:
	scratch_load_b128 v[5:8], v157, off
	v_mov_b32_e32 v2, v1
	v_mov_b32_e32 v3, v1
	;; [unrolled: 1-line block ×3, first 2 shown]
	scratch_store_b128 off, v[1:4], off offset:144
	s_waitcnt vmcnt(0)
	ds_store_b128 v162, v[5:8]
.LBB39_235:
	s_or_b32 exec_lo, exec_lo, s2
	s_waitcnt lgkmcnt(0)
	s_waitcnt_vscnt null, 0x0
	s_barrier
	buffer_gl0_inv
	s_clause 0x7
	scratch_load_b128 v[2:5], off, off offset:160
	scratch_load_b128 v[6:9], off, off offset:176
	;; [unrolled: 1-line block ×8, first 2 shown]
	ds_load_b128 v[38:41], v1 offset:800
	ds_load_b128 v[163:166], v1 offset:816
	s_clause 0x1
	scratch_load_b128 v[34:37], off, off offset:288
	scratch_load_b128 v[167:170], off, off offset:304
	s_mov_b32 s2, exec_lo
	s_waitcnt vmcnt(9) lgkmcnt(1)
	v_mul_f64 v[171:172], v[40:41], v[4:5]
	v_mul_f64 v[4:5], v[38:39], v[4:5]
	s_waitcnt vmcnt(8) lgkmcnt(0)
	v_mul_f64 v[173:174], v[163:164], v[8:9]
	v_mul_f64 v[8:9], v[165:166], v[8:9]
	s_delay_alu instid0(VALU_DEP_4) | instskip(NEXT) | instid1(VALU_DEP_4)
	v_fma_f64 v[171:172], v[38:39], v[2:3], -v[171:172]
	v_fma_f64 v[175:176], v[40:41], v[2:3], v[4:5]
	ds_load_b128 v[2:5], v1 offset:832
	scratch_load_b128 v[38:41], off, off offset:320
	v_fma_f64 v[173:174], v[165:166], v[6:7], v[173:174]
	v_fma_f64 v[179:180], v[163:164], v[6:7], -v[8:9]
	scratch_load_b128 v[163:166], off, off offset:336
	ds_load_b128 v[6:9], v1 offset:848
	s_waitcnt vmcnt(9) lgkmcnt(1)
	v_mul_f64 v[177:178], v[2:3], v[12:13]
	v_mul_f64 v[12:13], v[4:5], v[12:13]
	s_waitcnt vmcnt(8) lgkmcnt(0)
	v_mul_f64 v[181:182], v[6:7], v[16:17]
	v_mul_f64 v[16:17], v[8:9], v[16:17]
	v_add_f64 v[171:172], v[171:172], 0
	v_add_f64 v[175:176], v[175:176], 0
	v_fma_f64 v[177:178], v[4:5], v[10:11], v[177:178]
	v_fma_f64 v[183:184], v[2:3], v[10:11], -v[12:13]
	scratch_load_b128 v[10:13], off, off offset:352
	ds_load_b128 v[2:5], v1 offset:864
	v_add_f64 v[171:172], v[171:172], v[179:180]
	v_add_f64 v[173:174], v[175:176], v[173:174]
	v_fma_f64 v[179:180], v[8:9], v[14:15], v[181:182]
	v_fma_f64 v[181:182], v[6:7], v[14:15], -v[16:17]
	ds_load_b128 v[6:9], v1 offset:880
	scratch_load_b128 v[14:17], off, off offset:368
	s_waitcnt vmcnt(9) lgkmcnt(1)
	v_mul_f64 v[175:176], v[2:3], v[20:21]
	v_mul_f64 v[20:21], v[4:5], v[20:21]
	v_add_f64 v[171:172], v[171:172], v[183:184]
	v_add_f64 v[173:174], v[173:174], v[177:178]
	s_waitcnt vmcnt(8) lgkmcnt(0)
	v_mul_f64 v[177:178], v[6:7], v[24:25]
	v_mul_f64 v[24:25], v[8:9], v[24:25]
	v_fma_f64 v[175:176], v[4:5], v[18:19], v[175:176]
	v_fma_f64 v[183:184], v[2:3], v[18:19], -v[20:21]
	ds_load_b128 v[2:5], v1 offset:896
	scratch_load_b128 v[18:21], off, off offset:384
	v_add_f64 v[171:172], v[171:172], v[181:182]
	v_add_f64 v[173:174], v[173:174], v[179:180]
	v_fma_f64 v[177:178], v[8:9], v[22:23], v[177:178]
	v_fma_f64 v[181:182], v[6:7], v[22:23], -v[24:25]
	scratch_load_b128 v[22:25], off, off offset:400
	ds_load_b128 v[6:9], v1 offset:912
	s_waitcnt vmcnt(9) lgkmcnt(1)
	v_mul_f64 v[179:180], v[2:3], v[28:29]
	v_mul_f64 v[28:29], v[4:5], v[28:29]
	v_add_f64 v[171:172], v[171:172], v[183:184]
	v_add_f64 v[173:174], v[173:174], v[175:176]
	s_waitcnt vmcnt(8) lgkmcnt(0)
	v_mul_f64 v[175:176], v[6:7], v[32:33]
	v_mul_f64 v[32:33], v[8:9], v[32:33]
	v_fma_f64 v[179:180], v[4:5], v[26:27], v[179:180]
	v_fma_f64 v[183:184], v[2:3], v[26:27], -v[28:29]
	ds_load_b128 v[2:5], v1 offset:928
	scratch_load_b128 v[26:29], off, off offset:416
	v_add_f64 v[171:172], v[171:172], v[181:182]
	v_add_f64 v[173:174], v[173:174], v[177:178]
	v_fma_f64 v[175:176], v[8:9], v[30:31], v[175:176]
	v_fma_f64 v[181:182], v[6:7], v[30:31], -v[32:33]
	scratch_load_b128 v[30:33], off, off offset:432
	ds_load_b128 v[6:9], v1 offset:944
	;; [unrolled: 18-line block ×3, first 2 shown]
	s_waitcnt vmcnt(9) lgkmcnt(1)
	v_mul_f64 v[175:176], v[2:3], v[40:41]
	v_mul_f64 v[40:41], v[4:5], v[40:41]
	v_add_f64 v[171:172], v[171:172], v[183:184]
	v_add_f64 v[173:174], v[173:174], v[177:178]
	s_waitcnt vmcnt(8) lgkmcnt(0)
	v_mul_f64 v[177:178], v[6:7], v[165:166]
	v_mul_f64 v[165:166], v[8:9], v[165:166]
	v_fma_f64 v[175:176], v[4:5], v[38:39], v[175:176]
	v_fma_f64 v[183:184], v[2:3], v[38:39], -v[40:41]
	ds_load_b128 v[2:5], v1 offset:992
	scratch_load_b128 v[38:41], off, off offset:480
	v_add_f64 v[171:172], v[171:172], v[181:182]
	v_add_f64 v[173:174], v[173:174], v[179:180]
	v_fma_f64 v[177:178], v[8:9], v[163:164], v[177:178]
	v_fma_f64 v[181:182], v[6:7], v[163:164], -v[165:166]
	ds_load_b128 v[6:9], v1 offset:1008
	s_waitcnt vmcnt(8) lgkmcnt(1)
	v_mul_f64 v[179:180], v[2:3], v[12:13]
	v_mul_f64 v[12:13], v[4:5], v[12:13]
	scratch_load_b128 v[163:166], off, off offset:496
	v_add_f64 v[171:172], v[171:172], v[183:184]
	v_add_f64 v[173:174], v[173:174], v[175:176]
	s_waitcnt vmcnt(8) lgkmcnt(0)
	v_mul_f64 v[175:176], v[6:7], v[16:17]
	v_mul_f64 v[16:17], v[8:9], v[16:17]
	v_fma_f64 v[179:180], v[4:5], v[10:11], v[179:180]
	v_fma_f64 v[183:184], v[2:3], v[10:11], -v[12:13]
	scratch_load_b128 v[10:13], off, off offset:512
	ds_load_b128 v[2:5], v1 offset:1024
	v_add_f64 v[171:172], v[171:172], v[181:182]
	v_add_f64 v[173:174], v[173:174], v[177:178]
	v_fma_f64 v[175:176], v[8:9], v[14:15], v[175:176]
	v_fma_f64 v[181:182], v[6:7], v[14:15], -v[16:17]
	ds_load_b128 v[6:9], v1 offset:1040
	s_waitcnt vmcnt(8) lgkmcnt(1)
	v_mul_f64 v[177:178], v[2:3], v[20:21]
	v_mul_f64 v[20:21], v[4:5], v[20:21]
	scratch_load_b128 v[14:17], off, off offset:528
	v_add_f64 v[171:172], v[171:172], v[183:184]
	v_add_f64 v[173:174], v[173:174], v[179:180]
	s_waitcnt vmcnt(8) lgkmcnt(0)
	v_mul_f64 v[179:180], v[6:7], v[24:25]
	v_mul_f64 v[24:25], v[8:9], v[24:25]
	v_fma_f64 v[177:178], v[4:5], v[18:19], v[177:178]
	v_fma_f64 v[183:184], v[2:3], v[18:19], -v[20:21]
	scratch_load_b128 v[18:21], off, off offset:544
	ds_load_b128 v[2:5], v1 offset:1056
	;; [unrolled: 18-line block ×4, first 2 shown]
	v_add_f64 v[171:172], v[171:172], v[181:182]
	v_add_f64 v[173:174], v[173:174], v[177:178]
	v_fma_f64 v[175:176], v[8:9], v[167:168], v[175:176]
	v_fma_f64 v[181:182], v[6:7], v[167:168], -v[169:170]
	ds_load_b128 v[6:9], v1 offset:1136
	s_waitcnt vmcnt(8) lgkmcnt(1)
	v_mul_f64 v[177:178], v[2:3], v[40:41]
	v_mul_f64 v[40:41], v[4:5], v[40:41]
	scratch_load_b128 v[167:170], off, off offset:624
	v_add_f64 v[171:172], v[171:172], v[183:184]
	v_add_f64 v[173:174], v[173:174], v[179:180]
	v_fma_f64 v[177:178], v[4:5], v[38:39], v[177:178]
	v_fma_f64 v[38:39], v[2:3], v[38:39], -v[40:41]
	ds_load_b128 v[2:5], v1 offset:1152
	v_add_f64 v[40:41], v[171:172], v[181:182]
	v_add_f64 v[171:172], v[173:174], v[175:176]
	s_waitcnt vmcnt(7) lgkmcnt(0)
	v_mul_f64 v[173:174], v[2:3], v[12:13]
	v_mul_f64 v[12:13], v[4:5], v[12:13]
	s_delay_alu instid0(VALU_DEP_4) | instskip(NEXT) | instid1(VALU_DEP_4)
	v_add_f64 v[38:39], v[40:41], v[38:39]
	v_add_f64 v[40:41], v[171:172], v[177:178]
	s_delay_alu instid0(VALU_DEP_4) | instskip(NEXT) | instid1(VALU_DEP_4)
	v_fma_f64 v[171:172], v[4:5], v[10:11], v[173:174]
	v_fma_f64 v[173:174], v[2:3], v[10:11], -v[12:13]
	scratch_load_b128 v[10:13], off, off offset:144
	v_mul_f64 v[179:180], v[6:7], v[165:166]
	v_mul_f64 v[165:166], v[8:9], v[165:166]
	ds_load_b128 v[2:5], v1 offset:1184
	v_fma_f64 v[175:176], v[8:9], v[163:164], v[179:180]
	v_fma_f64 v[163:164], v[6:7], v[163:164], -v[165:166]
	ds_load_b128 v[6:9], v1 offset:1168
	s_waitcnt vmcnt(7) lgkmcnt(0)
	v_mul_f64 v[165:166], v[6:7], v[16:17]
	v_mul_f64 v[16:17], v[8:9], v[16:17]
	v_add_f64 v[40:41], v[40:41], v[175:176]
	v_add_f64 v[38:39], v[38:39], v[163:164]
	s_waitcnt vmcnt(6)
	v_mul_f64 v[163:164], v[2:3], v[20:21]
	v_mul_f64 v[20:21], v[4:5], v[20:21]
	v_fma_f64 v[165:166], v[8:9], v[14:15], v[165:166]
	v_fma_f64 v[14:15], v[6:7], v[14:15], -v[16:17]
	ds_load_b128 v[6:9], v1 offset:1200
	v_add_f64 v[16:17], v[38:39], v[173:174]
	v_add_f64 v[38:39], v[40:41], v[171:172]
	v_fma_f64 v[163:164], v[4:5], v[18:19], v[163:164]
	v_fma_f64 v[18:19], v[2:3], v[18:19], -v[20:21]
	ds_load_b128 v[2:5], v1 offset:1216
	s_waitcnt vmcnt(5) lgkmcnt(1)
	v_mul_f64 v[40:41], v[6:7], v[24:25]
	v_mul_f64 v[24:25], v[8:9], v[24:25]
	s_waitcnt vmcnt(4) lgkmcnt(0)
	v_mul_f64 v[20:21], v[2:3], v[28:29]
	v_mul_f64 v[28:29], v[4:5], v[28:29]
	v_add_f64 v[14:15], v[16:17], v[14:15]
	v_add_f64 v[16:17], v[38:39], v[165:166]
	v_fma_f64 v[38:39], v[8:9], v[22:23], v[40:41]
	v_fma_f64 v[22:23], v[6:7], v[22:23], -v[24:25]
	ds_load_b128 v[6:9], v1 offset:1232
	v_fma_f64 v[20:21], v[4:5], v[26:27], v[20:21]
	v_fma_f64 v[26:27], v[2:3], v[26:27], -v[28:29]
	ds_load_b128 v[2:5], v1 offset:1248
	s_waitcnt vmcnt(3) lgkmcnt(1)
	v_mul_f64 v[24:25], v[8:9], v[32:33]
	v_add_f64 v[14:15], v[14:15], v[18:19]
	v_add_f64 v[16:17], v[16:17], v[163:164]
	v_mul_f64 v[18:19], v[6:7], v[32:33]
	s_waitcnt vmcnt(2) lgkmcnt(0)
	v_mul_f64 v[28:29], v[4:5], v[36:37]
	v_fma_f64 v[24:25], v[6:7], v[30:31], -v[24:25]
	v_add_f64 v[14:15], v[14:15], v[22:23]
	v_add_f64 v[16:17], v[16:17], v[38:39]
	v_mul_f64 v[22:23], v[2:3], v[36:37]
	v_fma_f64 v[18:19], v[8:9], v[30:31], v[18:19]
	ds_load_b128 v[6:9], v1 offset:1264
	v_fma_f64 v[1:2], v[2:3], v[34:35], -v[28:29]
	v_add_f64 v[14:15], v[14:15], v[26:27]
	v_add_f64 v[16:17], v[16:17], v[20:21]
	s_waitcnt vmcnt(1) lgkmcnt(0)
	v_mul_f64 v[20:21], v[6:7], v[169:170]
	v_mul_f64 v[26:27], v[8:9], v[169:170]
	v_fma_f64 v[4:5], v[4:5], v[34:35], v[22:23]
	v_add_f64 v[14:15], v[14:15], v[24:25]
	v_add_f64 v[16:17], v[16:17], v[18:19]
	v_fma_f64 v[8:9], v[8:9], v[167:168], v[20:21]
	v_fma_f64 v[6:7], v[6:7], v[167:168], -v[26:27]
	s_delay_alu instid0(VALU_DEP_4) | instskip(NEXT) | instid1(VALU_DEP_4)
	v_add_f64 v[1:2], v[14:15], v[1:2]
	v_add_f64 v[3:4], v[16:17], v[4:5]
	s_delay_alu instid0(VALU_DEP_2) | instskip(NEXT) | instid1(VALU_DEP_2)
	v_add_f64 v[1:2], v[1:2], v[6:7]
	v_add_f64 v[3:4], v[3:4], v[8:9]
	s_waitcnt vmcnt(0)
	s_delay_alu instid0(VALU_DEP_2) | instskip(NEXT) | instid1(VALU_DEP_2)
	v_add_f64 v[1:2], v[10:11], -v[1:2]
	v_add_f64 v[3:4], v[12:13], -v[3:4]
	scratch_store_b128 off, v[1:4], off offset:144
	v_cmpx_lt_u32_e32 8, v122
	s_cbranch_execz .LBB39_237
; %bb.236:
	scratch_load_b128 v[1:4], v158, off
	v_mov_b32_e32 v5, 0
	s_delay_alu instid0(VALU_DEP_1)
	v_mov_b32_e32 v6, v5
	v_mov_b32_e32 v7, v5
	v_mov_b32_e32 v8, v5
	scratch_store_b128 off, v[5:8], off offset:128
	s_waitcnt vmcnt(0)
	ds_store_b128 v162, v[1:4]
.LBB39_237:
	s_or_b32 exec_lo, exec_lo, s2
	s_waitcnt lgkmcnt(0)
	s_waitcnt_vscnt null, 0x0
	s_barrier
	buffer_gl0_inv
	s_clause 0x7
	scratch_load_b128 v[2:5], off, off offset:144
	scratch_load_b128 v[6:9], off, off offset:160
	;; [unrolled: 1-line block ×8, first 2 shown]
	v_mov_b32_e32 v1, 0
	s_clause 0x1
	scratch_load_b128 v[34:37], off, off offset:272
	scratch_load_b128 v[167:170], off, off offset:288
	s_mov_b32 s2, exec_lo
	ds_load_b128 v[38:41], v1 offset:784
	ds_load_b128 v[163:166], v1 offset:800
	s_waitcnt vmcnt(9) lgkmcnt(1)
	v_mul_f64 v[171:172], v[40:41], v[4:5]
	v_mul_f64 v[4:5], v[38:39], v[4:5]
	s_waitcnt vmcnt(8) lgkmcnt(0)
	v_mul_f64 v[173:174], v[163:164], v[8:9]
	v_mul_f64 v[8:9], v[165:166], v[8:9]
	s_delay_alu instid0(VALU_DEP_4) | instskip(NEXT) | instid1(VALU_DEP_4)
	v_fma_f64 v[171:172], v[38:39], v[2:3], -v[171:172]
	v_fma_f64 v[175:176], v[40:41], v[2:3], v[4:5]
	ds_load_b128 v[2:5], v1 offset:816
	scratch_load_b128 v[38:41], off, off offset:304
	v_fma_f64 v[173:174], v[165:166], v[6:7], v[173:174]
	v_fma_f64 v[179:180], v[163:164], v[6:7], -v[8:9]
	scratch_load_b128 v[163:166], off, off offset:320
	ds_load_b128 v[6:9], v1 offset:832
	s_waitcnt vmcnt(9) lgkmcnt(1)
	v_mul_f64 v[177:178], v[2:3], v[12:13]
	v_mul_f64 v[12:13], v[4:5], v[12:13]
	s_waitcnt vmcnt(8) lgkmcnt(0)
	v_mul_f64 v[181:182], v[6:7], v[16:17]
	v_mul_f64 v[16:17], v[8:9], v[16:17]
	v_add_f64 v[171:172], v[171:172], 0
	v_add_f64 v[175:176], v[175:176], 0
	v_fma_f64 v[177:178], v[4:5], v[10:11], v[177:178]
	v_fma_f64 v[183:184], v[2:3], v[10:11], -v[12:13]
	ds_load_b128 v[2:5], v1 offset:848
	scratch_load_b128 v[10:13], off, off offset:336
	v_add_f64 v[171:172], v[171:172], v[179:180]
	v_add_f64 v[173:174], v[175:176], v[173:174]
	v_fma_f64 v[179:180], v[8:9], v[14:15], v[181:182]
	v_fma_f64 v[181:182], v[6:7], v[14:15], -v[16:17]
	scratch_load_b128 v[14:17], off, off offset:352
	ds_load_b128 v[6:9], v1 offset:864
	s_waitcnt vmcnt(9) lgkmcnt(1)
	v_mul_f64 v[175:176], v[2:3], v[20:21]
	v_mul_f64 v[20:21], v[4:5], v[20:21]
	v_add_f64 v[171:172], v[171:172], v[183:184]
	v_add_f64 v[173:174], v[173:174], v[177:178]
	s_waitcnt vmcnt(8) lgkmcnt(0)
	v_mul_f64 v[177:178], v[6:7], v[24:25]
	v_mul_f64 v[24:25], v[8:9], v[24:25]
	v_fma_f64 v[175:176], v[4:5], v[18:19], v[175:176]
	v_fma_f64 v[183:184], v[2:3], v[18:19], -v[20:21]
	ds_load_b128 v[2:5], v1 offset:880
	scratch_load_b128 v[18:21], off, off offset:368
	v_add_f64 v[171:172], v[171:172], v[181:182]
	v_add_f64 v[173:174], v[173:174], v[179:180]
	v_fma_f64 v[177:178], v[8:9], v[22:23], v[177:178]
	v_fma_f64 v[181:182], v[6:7], v[22:23], -v[24:25]
	scratch_load_b128 v[22:25], off, off offset:384
	ds_load_b128 v[6:9], v1 offset:896
	s_waitcnt vmcnt(9) lgkmcnt(1)
	v_mul_f64 v[179:180], v[2:3], v[28:29]
	v_mul_f64 v[28:29], v[4:5], v[28:29]
	v_add_f64 v[171:172], v[171:172], v[183:184]
	v_add_f64 v[173:174], v[173:174], v[175:176]
	s_waitcnt vmcnt(8) lgkmcnt(0)
	v_mul_f64 v[175:176], v[6:7], v[32:33]
	v_mul_f64 v[32:33], v[8:9], v[32:33]
	;; [unrolled: 18-line block ×6, first 2 shown]
	v_fma_f64 v[177:178], v[4:5], v[18:19], v[177:178]
	v_fma_f64 v[183:184], v[2:3], v[18:19], -v[20:21]
	ds_load_b128 v[2:5], v1 offset:1040
	scratch_load_b128 v[18:21], off, off offset:528
	v_add_f64 v[171:172], v[171:172], v[181:182]
	v_add_f64 v[173:174], v[173:174], v[175:176]
	v_fma_f64 v[179:180], v[8:9], v[22:23], v[179:180]
	v_fma_f64 v[181:182], v[6:7], v[22:23], -v[24:25]
	ds_load_b128 v[6:9], v1 offset:1056
	s_waitcnt vmcnt(8) lgkmcnt(1)
	v_mul_f64 v[175:176], v[2:3], v[28:29]
	v_mul_f64 v[28:29], v[4:5], v[28:29]
	scratch_load_b128 v[22:25], off, off offset:544
	v_add_f64 v[171:172], v[171:172], v[183:184]
	v_add_f64 v[173:174], v[173:174], v[177:178]
	s_waitcnt vmcnt(8) lgkmcnt(0)
	v_mul_f64 v[177:178], v[6:7], v[32:33]
	v_mul_f64 v[32:33], v[8:9], v[32:33]
	v_fma_f64 v[175:176], v[4:5], v[26:27], v[175:176]
	v_fma_f64 v[183:184], v[2:3], v[26:27], -v[28:29]
	scratch_load_b128 v[26:29], off, off offset:560
	ds_load_b128 v[2:5], v1 offset:1072
	v_add_f64 v[171:172], v[171:172], v[181:182]
	v_add_f64 v[173:174], v[173:174], v[179:180]
	v_fma_f64 v[177:178], v[8:9], v[30:31], v[177:178]
	v_fma_f64 v[181:182], v[6:7], v[30:31], -v[32:33]
	ds_load_b128 v[6:9], v1 offset:1088
	s_waitcnt vmcnt(8) lgkmcnt(1)
	v_mul_f64 v[179:180], v[2:3], v[36:37]
	v_mul_f64 v[36:37], v[4:5], v[36:37]
	scratch_load_b128 v[30:33], off, off offset:576
	v_add_f64 v[171:172], v[171:172], v[183:184]
	v_add_f64 v[173:174], v[173:174], v[175:176]
	s_waitcnt vmcnt(8) lgkmcnt(0)
	v_mul_f64 v[175:176], v[6:7], v[169:170]
	v_mul_f64 v[169:170], v[8:9], v[169:170]
	v_fma_f64 v[179:180], v[4:5], v[34:35], v[179:180]
	v_fma_f64 v[183:184], v[2:3], v[34:35], -v[36:37]
	scratch_load_b128 v[34:37], off, off offset:592
	ds_load_b128 v[2:5], v1 offset:1104
	;; [unrolled: 18-line block ×3, first 2 shown]
	v_add_f64 v[171:172], v[171:172], v[181:182]
	v_add_f64 v[173:174], v[173:174], v[175:176]
	v_fma_f64 v[179:180], v[8:9], v[163:164], v[179:180]
	v_fma_f64 v[163:164], v[6:7], v[163:164], -v[165:166]
	ds_load_b128 v[6:9], v1 offset:1152
	s_waitcnt vmcnt(8) lgkmcnt(1)
	v_mul_f64 v[175:176], v[2:3], v[12:13]
	v_mul_f64 v[12:13], v[4:5], v[12:13]
	v_add_f64 v[165:166], v[171:172], v[183:184]
	v_add_f64 v[171:172], v[173:174], v[177:178]
	s_waitcnt vmcnt(7) lgkmcnt(0)
	v_mul_f64 v[173:174], v[6:7], v[16:17]
	v_mul_f64 v[16:17], v[8:9], v[16:17]
	v_fma_f64 v[175:176], v[4:5], v[10:11], v[175:176]
	v_fma_f64 v[10:11], v[2:3], v[10:11], -v[12:13]
	ds_load_b128 v[2:5], v1 offset:1168
	v_add_f64 v[12:13], v[165:166], v[163:164]
	v_add_f64 v[163:164], v[171:172], v[179:180]
	v_fma_f64 v[171:172], v[8:9], v[14:15], v[173:174]
	v_fma_f64 v[14:15], v[6:7], v[14:15], -v[16:17]
	ds_load_b128 v[6:9], v1 offset:1184
	s_waitcnt vmcnt(5) lgkmcnt(0)
	v_mul_f64 v[173:174], v[6:7], v[24:25]
	v_mul_f64 v[24:25], v[8:9], v[24:25]
	v_add_f64 v[16:17], v[12:13], v[10:11]
	v_add_f64 v[163:164], v[163:164], v[175:176]
	scratch_load_b128 v[10:13], off, off offset:128
	v_mul_f64 v[165:166], v[2:3], v[20:21]
	v_mul_f64 v[20:21], v[4:5], v[20:21]
	v_add_f64 v[14:15], v[16:17], v[14:15]
	v_add_f64 v[16:17], v[163:164], v[171:172]
	v_fma_f64 v[163:164], v[8:9], v[22:23], v[173:174]
	v_fma_f64 v[165:166], v[4:5], v[18:19], v[165:166]
	v_fma_f64 v[18:19], v[2:3], v[18:19], -v[20:21]
	ds_load_b128 v[2:5], v1 offset:1200
	v_fma_f64 v[22:23], v[6:7], v[22:23], -v[24:25]
	ds_load_b128 v[6:9], v1 offset:1216
	s_waitcnt vmcnt(5) lgkmcnt(1)
	v_mul_f64 v[20:21], v[2:3], v[28:29]
	v_mul_f64 v[28:29], v[4:5], v[28:29]
	s_waitcnt vmcnt(4) lgkmcnt(0)
	v_mul_f64 v[24:25], v[8:9], v[32:33]
	v_add_f64 v[16:17], v[16:17], v[165:166]
	v_add_f64 v[14:15], v[14:15], v[18:19]
	v_mul_f64 v[18:19], v[6:7], v[32:33]
	v_fma_f64 v[20:21], v[4:5], v[26:27], v[20:21]
	v_fma_f64 v[26:27], v[2:3], v[26:27], -v[28:29]
	ds_load_b128 v[2:5], v1 offset:1232
	v_fma_f64 v[24:25], v[6:7], v[30:31], -v[24:25]
	v_add_f64 v[16:17], v[16:17], v[163:164]
	v_add_f64 v[14:15], v[14:15], v[22:23]
	v_fma_f64 v[18:19], v[8:9], v[30:31], v[18:19]
	ds_load_b128 v[6:9], v1 offset:1248
	s_waitcnt vmcnt(3) lgkmcnt(1)
	v_mul_f64 v[22:23], v[2:3], v[36:37]
	v_mul_f64 v[28:29], v[4:5], v[36:37]
	v_add_f64 v[16:17], v[16:17], v[20:21]
	v_add_f64 v[14:15], v[14:15], v[26:27]
	s_waitcnt vmcnt(2) lgkmcnt(0)
	v_mul_f64 v[20:21], v[6:7], v[169:170]
	v_mul_f64 v[26:27], v[8:9], v[169:170]
	v_fma_f64 v[22:23], v[4:5], v[34:35], v[22:23]
	v_fma_f64 v[28:29], v[2:3], v[34:35], -v[28:29]
	ds_load_b128 v[2:5], v1 offset:1264
	v_add_f64 v[16:17], v[16:17], v[18:19]
	v_add_f64 v[14:15], v[14:15], v[24:25]
	s_waitcnt vmcnt(1) lgkmcnt(0)
	v_mul_f64 v[18:19], v[2:3], v[40:41]
	v_mul_f64 v[24:25], v[4:5], v[40:41]
	v_fma_f64 v[8:9], v[8:9], v[167:168], v[20:21]
	v_fma_f64 v[6:7], v[6:7], v[167:168], -v[26:27]
	v_add_f64 v[16:17], v[16:17], v[22:23]
	v_add_f64 v[14:15], v[14:15], v[28:29]
	v_fma_f64 v[4:5], v[4:5], v[38:39], v[18:19]
	v_fma_f64 v[2:3], v[2:3], v[38:39], -v[24:25]
	s_delay_alu instid0(VALU_DEP_4) | instskip(NEXT) | instid1(VALU_DEP_4)
	v_add_f64 v[8:9], v[16:17], v[8:9]
	v_add_f64 v[6:7], v[14:15], v[6:7]
	s_delay_alu instid0(VALU_DEP_2) | instskip(NEXT) | instid1(VALU_DEP_2)
	v_add_f64 v[4:5], v[8:9], v[4:5]
	v_add_f64 v[2:3], v[6:7], v[2:3]
	s_waitcnt vmcnt(0)
	s_delay_alu instid0(VALU_DEP_2) | instskip(NEXT) | instid1(VALU_DEP_2)
	v_add_f64 v[4:5], v[12:13], -v[4:5]
	v_add_f64 v[2:3], v[10:11], -v[2:3]
	scratch_store_b128 off, v[2:5], off offset:128
	v_cmpx_lt_u32_e32 7, v122
	s_cbranch_execz .LBB39_239
; %bb.238:
	scratch_load_b128 v[5:8], v160, off
	v_mov_b32_e32 v2, v1
	v_mov_b32_e32 v3, v1
	;; [unrolled: 1-line block ×3, first 2 shown]
	scratch_store_b128 off, v[1:4], off offset:112
	s_waitcnt vmcnt(0)
	ds_store_b128 v162, v[5:8]
.LBB39_239:
	s_or_b32 exec_lo, exec_lo, s2
	s_waitcnt lgkmcnt(0)
	s_waitcnt_vscnt null, 0x0
	s_barrier
	buffer_gl0_inv
	s_clause 0x7
	scratch_load_b128 v[2:5], off, off offset:128
	scratch_load_b128 v[6:9], off, off offset:144
	;; [unrolled: 1-line block ×8, first 2 shown]
	ds_load_b128 v[38:41], v1 offset:768
	ds_load_b128 v[163:166], v1 offset:784
	s_clause 0x1
	scratch_load_b128 v[34:37], off, off offset:256
	scratch_load_b128 v[167:170], off, off offset:272
	s_mov_b32 s2, exec_lo
	s_waitcnt vmcnt(9) lgkmcnt(1)
	v_mul_f64 v[171:172], v[40:41], v[4:5]
	v_mul_f64 v[4:5], v[38:39], v[4:5]
	s_waitcnt vmcnt(8) lgkmcnt(0)
	v_mul_f64 v[173:174], v[163:164], v[8:9]
	v_mul_f64 v[8:9], v[165:166], v[8:9]
	s_delay_alu instid0(VALU_DEP_4) | instskip(NEXT) | instid1(VALU_DEP_4)
	v_fma_f64 v[171:172], v[38:39], v[2:3], -v[171:172]
	v_fma_f64 v[175:176], v[40:41], v[2:3], v[4:5]
	ds_load_b128 v[2:5], v1 offset:800
	scratch_load_b128 v[38:41], off, off offset:288
	v_fma_f64 v[173:174], v[165:166], v[6:7], v[173:174]
	v_fma_f64 v[179:180], v[163:164], v[6:7], -v[8:9]
	scratch_load_b128 v[163:166], off, off offset:304
	ds_load_b128 v[6:9], v1 offset:816
	s_waitcnt vmcnt(9) lgkmcnt(1)
	v_mul_f64 v[177:178], v[2:3], v[12:13]
	v_mul_f64 v[12:13], v[4:5], v[12:13]
	s_waitcnt vmcnt(8) lgkmcnt(0)
	v_mul_f64 v[181:182], v[6:7], v[16:17]
	v_mul_f64 v[16:17], v[8:9], v[16:17]
	v_add_f64 v[171:172], v[171:172], 0
	v_add_f64 v[175:176], v[175:176], 0
	v_fma_f64 v[177:178], v[4:5], v[10:11], v[177:178]
	v_fma_f64 v[183:184], v[2:3], v[10:11], -v[12:13]
	ds_load_b128 v[2:5], v1 offset:832
	scratch_load_b128 v[10:13], off, off offset:320
	v_add_f64 v[171:172], v[171:172], v[179:180]
	v_add_f64 v[173:174], v[175:176], v[173:174]
	v_fma_f64 v[179:180], v[8:9], v[14:15], v[181:182]
	v_fma_f64 v[181:182], v[6:7], v[14:15], -v[16:17]
	scratch_load_b128 v[14:17], off, off offset:336
	ds_load_b128 v[6:9], v1 offset:848
	s_waitcnt vmcnt(9) lgkmcnt(1)
	v_mul_f64 v[175:176], v[2:3], v[20:21]
	v_mul_f64 v[20:21], v[4:5], v[20:21]
	v_add_f64 v[171:172], v[171:172], v[183:184]
	v_add_f64 v[173:174], v[173:174], v[177:178]
	s_waitcnt vmcnt(8) lgkmcnt(0)
	v_mul_f64 v[177:178], v[6:7], v[24:25]
	v_mul_f64 v[24:25], v[8:9], v[24:25]
	v_fma_f64 v[175:176], v[4:5], v[18:19], v[175:176]
	v_fma_f64 v[183:184], v[2:3], v[18:19], -v[20:21]
	ds_load_b128 v[2:5], v1 offset:864
	scratch_load_b128 v[18:21], off, off offset:352
	v_add_f64 v[171:172], v[171:172], v[181:182]
	v_add_f64 v[173:174], v[173:174], v[179:180]
	v_fma_f64 v[177:178], v[8:9], v[22:23], v[177:178]
	v_fma_f64 v[181:182], v[6:7], v[22:23], -v[24:25]
	scratch_load_b128 v[22:25], off, off offset:368
	ds_load_b128 v[6:9], v1 offset:880
	s_waitcnt vmcnt(9) lgkmcnt(1)
	v_mul_f64 v[179:180], v[2:3], v[28:29]
	v_mul_f64 v[28:29], v[4:5], v[28:29]
	v_add_f64 v[171:172], v[171:172], v[183:184]
	v_add_f64 v[173:174], v[173:174], v[175:176]
	s_waitcnt vmcnt(8) lgkmcnt(0)
	v_mul_f64 v[175:176], v[6:7], v[32:33]
	v_mul_f64 v[32:33], v[8:9], v[32:33]
	;; [unrolled: 18-line block ×6, first 2 shown]
	v_fma_f64 v[177:178], v[4:5], v[18:19], v[177:178]
	v_fma_f64 v[183:184], v[2:3], v[18:19], -v[20:21]
	ds_load_b128 v[2:5], v1 offset:1024
	scratch_load_b128 v[18:21], off, off offset:512
	v_add_f64 v[171:172], v[171:172], v[181:182]
	v_add_f64 v[173:174], v[173:174], v[175:176]
	v_fma_f64 v[179:180], v[8:9], v[22:23], v[179:180]
	v_fma_f64 v[181:182], v[6:7], v[22:23], -v[24:25]
	ds_load_b128 v[6:9], v1 offset:1040
	s_waitcnt vmcnt(8) lgkmcnt(1)
	v_mul_f64 v[175:176], v[2:3], v[28:29]
	v_mul_f64 v[28:29], v[4:5], v[28:29]
	scratch_load_b128 v[22:25], off, off offset:528
	v_add_f64 v[171:172], v[171:172], v[183:184]
	v_add_f64 v[173:174], v[173:174], v[177:178]
	s_waitcnt vmcnt(8) lgkmcnt(0)
	v_mul_f64 v[177:178], v[6:7], v[32:33]
	v_mul_f64 v[32:33], v[8:9], v[32:33]
	v_fma_f64 v[175:176], v[4:5], v[26:27], v[175:176]
	v_fma_f64 v[183:184], v[2:3], v[26:27], -v[28:29]
	ds_load_b128 v[2:5], v1 offset:1056
	scratch_load_b128 v[26:29], off, off offset:544
	v_add_f64 v[171:172], v[171:172], v[181:182]
	v_add_f64 v[173:174], v[173:174], v[179:180]
	v_fma_f64 v[177:178], v[8:9], v[30:31], v[177:178]
	v_fma_f64 v[181:182], v[6:7], v[30:31], -v[32:33]
	ds_load_b128 v[6:9], v1 offset:1072
	s_waitcnt vmcnt(8) lgkmcnt(1)
	v_mul_f64 v[179:180], v[2:3], v[36:37]
	v_mul_f64 v[36:37], v[4:5], v[36:37]
	scratch_load_b128 v[30:33], off, off offset:560
	v_add_f64 v[171:172], v[171:172], v[183:184]
	v_add_f64 v[173:174], v[173:174], v[175:176]
	s_waitcnt vmcnt(8) lgkmcnt(0)
	v_mul_f64 v[175:176], v[6:7], v[169:170]
	v_mul_f64 v[169:170], v[8:9], v[169:170]
	v_fma_f64 v[179:180], v[4:5], v[34:35], v[179:180]
	v_fma_f64 v[183:184], v[2:3], v[34:35], -v[36:37]
	scratch_load_b128 v[34:37], off, off offset:576
	ds_load_b128 v[2:5], v1 offset:1088
	v_add_f64 v[171:172], v[171:172], v[181:182]
	v_add_f64 v[173:174], v[173:174], v[177:178]
	v_fma_f64 v[175:176], v[8:9], v[167:168], v[175:176]
	v_fma_f64 v[181:182], v[6:7], v[167:168], -v[169:170]
	ds_load_b128 v[6:9], v1 offset:1104
	s_waitcnt vmcnt(8) lgkmcnt(1)
	v_mul_f64 v[177:178], v[2:3], v[40:41]
	v_mul_f64 v[40:41], v[4:5], v[40:41]
	scratch_load_b128 v[167:170], off, off offset:592
	v_add_f64 v[171:172], v[171:172], v[183:184]
	v_add_f64 v[173:174], v[173:174], v[179:180]
	s_waitcnt vmcnt(8) lgkmcnt(0)
	v_mul_f64 v[179:180], v[6:7], v[165:166]
	v_mul_f64 v[165:166], v[8:9], v[165:166]
	v_fma_f64 v[177:178], v[4:5], v[38:39], v[177:178]
	v_fma_f64 v[183:184], v[2:3], v[38:39], -v[40:41]
	scratch_load_b128 v[38:41], off, off offset:608
	ds_load_b128 v[2:5], v1 offset:1120
	v_add_f64 v[171:172], v[171:172], v[181:182]
	v_add_f64 v[173:174], v[173:174], v[175:176]
	v_fma_f64 v[179:180], v[8:9], v[163:164], v[179:180]
	v_fma_f64 v[181:182], v[6:7], v[163:164], -v[165:166]
	ds_load_b128 v[6:9], v1 offset:1136
	s_waitcnt vmcnt(8) lgkmcnt(1)
	v_mul_f64 v[175:176], v[2:3], v[12:13]
	v_mul_f64 v[12:13], v[4:5], v[12:13]
	scratch_load_b128 v[163:166], off, off offset:624
	v_add_f64 v[171:172], v[171:172], v[183:184]
	v_add_f64 v[173:174], v[173:174], v[177:178]
	s_waitcnt vmcnt(8) lgkmcnt(0)
	v_mul_f64 v[177:178], v[6:7], v[16:17]
	v_mul_f64 v[16:17], v[8:9], v[16:17]
	v_fma_f64 v[175:176], v[4:5], v[10:11], v[175:176]
	v_fma_f64 v[10:11], v[2:3], v[10:11], -v[12:13]
	ds_load_b128 v[2:5], v1 offset:1152
	v_add_f64 v[12:13], v[171:172], v[181:182]
	v_add_f64 v[171:172], v[173:174], v[179:180]
	v_fma_f64 v[177:178], v[8:9], v[14:15], v[177:178]
	v_fma_f64 v[14:15], v[6:7], v[14:15], -v[16:17]
	ds_load_b128 v[6:9], v1 offset:1168
	s_waitcnt vmcnt(7) lgkmcnt(1)
	v_mul_f64 v[173:174], v[2:3], v[20:21]
	v_mul_f64 v[20:21], v[4:5], v[20:21]
	v_add_f64 v[10:11], v[12:13], v[10:11]
	v_add_f64 v[12:13], v[171:172], v[175:176]
	s_delay_alu instid0(VALU_DEP_4) | instskip(NEXT) | instid1(VALU_DEP_4)
	v_fma_f64 v[171:172], v[4:5], v[18:19], v[173:174]
	v_fma_f64 v[18:19], v[2:3], v[18:19], -v[20:21]
	ds_load_b128 v[2:5], v1 offset:1184
	v_add_f64 v[14:15], v[10:11], v[14:15]
	v_add_f64 v[20:21], v[12:13], v[177:178]
	scratch_load_b128 v[10:13], off, off offset:112
	s_waitcnt vmcnt(7) lgkmcnt(1)
	v_mul_f64 v[16:17], v[6:7], v[24:25]
	v_mul_f64 v[24:25], v[8:9], v[24:25]
	v_add_f64 v[14:15], v[14:15], v[18:19]
	v_add_f64 v[18:19], v[20:21], v[171:172]
	s_delay_alu instid0(VALU_DEP_4) | instskip(NEXT) | instid1(VALU_DEP_4)
	v_fma_f64 v[16:17], v[8:9], v[22:23], v[16:17]
	v_fma_f64 v[22:23], v[6:7], v[22:23], -v[24:25]
	ds_load_b128 v[6:9], v1 offset:1200
	s_waitcnt vmcnt(6) lgkmcnt(1)
	v_mul_f64 v[173:174], v[2:3], v[28:29]
	v_mul_f64 v[28:29], v[4:5], v[28:29]
	s_waitcnt vmcnt(5) lgkmcnt(0)
	v_mul_f64 v[20:21], v[6:7], v[32:33]
	v_mul_f64 v[24:25], v[8:9], v[32:33]
	v_add_f64 v[16:17], v[18:19], v[16:17]
	v_add_f64 v[14:15], v[14:15], v[22:23]
	v_fma_f64 v[32:33], v[4:5], v[26:27], v[173:174]
	v_fma_f64 v[26:27], v[2:3], v[26:27], -v[28:29]
	ds_load_b128 v[2:5], v1 offset:1216
	v_fma_f64 v[20:21], v[8:9], v[30:31], v[20:21]
	v_fma_f64 v[24:25], v[6:7], v[30:31], -v[24:25]
	ds_load_b128 v[6:9], v1 offset:1232
	s_waitcnt vmcnt(4) lgkmcnt(1)
	v_mul_f64 v[18:19], v[2:3], v[36:37]
	v_mul_f64 v[22:23], v[4:5], v[36:37]
	v_add_f64 v[16:17], v[16:17], v[32:33]
	v_add_f64 v[14:15], v[14:15], v[26:27]
	s_waitcnt vmcnt(3) lgkmcnt(0)
	v_mul_f64 v[26:27], v[6:7], v[169:170]
	v_mul_f64 v[28:29], v[8:9], v[169:170]
	v_fma_f64 v[18:19], v[4:5], v[34:35], v[18:19]
	v_fma_f64 v[22:23], v[2:3], v[34:35], -v[22:23]
	ds_load_b128 v[2:5], v1 offset:1248
	v_add_f64 v[16:17], v[16:17], v[20:21]
	v_add_f64 v[14:15], v[14:15], v[24:25]
	v_fma_f64 v[26:27], v[8:9], v[167:168], v[26:27]
	v_fma_f64 v[28:29], v[6:7], v[167:168], -v[28:29]
	ds_load_b128 v[6:9], v1 offset:1264
	s_waitcnt vmcnt(2) lgkmcnt(1)
	v_mul_f64 v[20:21], v[2:3], v[40:41]
	v_mul_f64 v[24:25], v[4:5], v[40:41]
	v_add_f64 v[16:17], v[16:17], v[18:19]
	v_add_f64 v[14:15], v[14:15], v[22:23]
	s_waitcnt vmcnt(1) lgkmcnt(0)
	v_mul_f64 v[18:19], v[6:7], v[165:166]
	v_mul_f64 v[22:23], v[8:9], v[165:166]
	v_fma_f64 v[4:5], v[4:5], v[38:39], v[20:21]
	v_fma_f64 v[1:2], v[2:3], v[38:39], -v[24:25]
	v_add_f64 v[16:17], v[16:17], v[26:27]
	v_add_f64 v[14:15], v[14:15], v[28:29]
	v_fma_f64 v[8:9], v[8:9], v[163:164], v[18:19]
	v_fma_f64 v[6:7], v[6:7], v[163:164], -v[22:23]
	s_delay_alu instid0(VALU_DEP_4) | instskip(NEXT) | instid1(VALU_DEP_4)
	v_add_f64 v[3:4], v[16:17], v[4:5]
	v_add_f64 v[1:2], v[14:15], v[1:2]
	s_delay_alu instid0(VALU_DEP_2) | instskip(NEXT) | instid1(VALU_DEP_2)
	v_add_f64 v[3:4], v[3:4], v[8:9]
	v_add_f64 v[1:2], v[1:2], v[6:7]
	s_waitcnt vmcnt(0)
	s_delay_alu instid0(VALU_DEP_2) | instskip(NEXT) | instid1(VALU_DEP_2)
	v_add_f64 v[3:4], v[12:13], -v[3:4]
	v_add_f64 v[1:2], v[10:11], -v[1:2]
	scratch_store_b128 off, v[1:4], off offset:112
	v_cmpx_lt_u32_e32 6, v122
	s_cbranch_execz .LBB39_241
; %bb.240:
	scratch_load_b128 v[1:4], v159, off
	v_mov_b32_e32 v5, 0
	s_delay_alu instid0(VALU_DEP_1)
	v_mov_b32_e32 v6, v5
	v_mov_b32_e32 v7, v5
	;; [unrolled: 1-line block ×3, first 2 shown]
	scratch_store_b128 off, v[5:8], off offset:96
	s_waitcnt vmcnt(0)
	ds_store_b128 v162, v[1:4]
.LBB39_241:
	s_or_b32 exec_lo, exec_lo, s2
	s_waitcnt lgkmcnt(0)
	s_waitcnt_vscnt null, 0x0
	s_barrier
	buffer_gl0_inv
	s_clause 0x7
	scratch_load_b128 v[2:5], off, off offset:112
	scratch_load_b128 v[6:9], off, off offset:128
	;; [unrolled: 1-line block ×8, first 2 shown]
	v_mov_b32_e32 v1, 0
	s_clause 0x1
	scratch_load_b128 v[34:37], off, off offset:240
	scratch_load_b128 v[167:170], off, off offset:256
	s_mov_b32 s2, exec_lo
	ds_load_b128 v[38:41], v1 offset:752
	ds_load_b128 v[163:166], v1 offset:768
	s_waitcnt vmcnt(9) lgkmcnt(1)
	v_mul_f64 v[171:172], v[40:41], v[4:5]
	v_mul_f64 v[4:5], v[38:39], v[4:5]
	s_waitcnt vmcnt(8) lgkmcnt(0)
	v_mul_f64 v[173:174], v[163:164], v[8:9]
	v_mul_f64 v[8:9], v[165:166], v[8:9]
	s_delay_alu instid0(VALU_DEP_4) | instskip(NEXT) | instid1(VALU_DEP_4)
	v_fma_f64 v[171:172], v[38:39], v[2:3], -v[171:172]
	v_fma_f64 v[175:176], v[40:41], v[2:3], v[4:5]
	ds_load_b128 v[2:5], v1 offset:784
	scratch_load_b128 v[38:41], off, off offset:272
	v_fma_f64 v[173:174], v[165:166], v[6:7], v[173:174]
	v_fma_f64 v[179:180], v[163:164], v[6:7], -v[8:9]
	scratch_load_b128 v[163:166], off, off offset:288
	ds_load_b128 v[6:9], v1 offset:800
	s_waitcnt vmcnt(9) lgkmcnt(1)
	v_mul_f64 v[177:178], v[2:3], v[12:13]
	v_mul_f64 v[12:13], v[4:5], v[12:13]
	s_waitcnt vmcnt(8) lgkmcnt(0)
	v_mul_f64 v[181:182], v[6:7], v[16:17]
	v_mul_f64 v[16:17], v[8:9], v[16:17]
	v_add_f64 v[171:172], v[171:172], 0
	v_add_f64 v[175:176], v[175:176], 0
	v_fma_f64 v[177:178], v[4:5], v[10:11], v[177:178]
	v_fma_f64 v[183:184], v[2:3], v[10:11], -v[12:13]
	ds_load_b128 v[2:5], v1 offset:816
	scratch_load_b128 v[10:13], off, off offset:304
	v_add_f64 v[171:172], v[171:172], v[179:180]
	v_add_f64 v[173:174], v[175:176], v[173:174]
	v_fma_f64 v[179:180], v[8:9], v[14:15], v[181:182]
	v_fma_f64 v[181:182], v[6:7], v[14:15], -v[16:17]
	scratch_load_b128 v[14:17], off, off offset:320
	ds_load_b128 v[6:9], v1 offset:832
	s_waitcnt vmcnt(9) lgkmcnt(1)
	v_mul_f64 v[175:176], v[2:3], v[20:21]
	v_mul_f64 v[20:21], v[4:5], v[20:21]
	v_add_f64 v[171:172], v[171:172], v[183:184]
	v_add_f64 v[173:174], v[173:174], v[177:178]
	s_waitcnt vmcnt(8) lgkmcnt(0)
	v_mul_f64 v[177:178], v[6:7], v[24:25]
	v_mul_f64 v[24:25], v[8:9], v[24:25]
	v_fma_f64 v[175:176], v[4:5], v[18:19], v[175:176]
	v_fma_f64 v[183:184], v[2:3], v[18:19], -v[20:21]
	ds_load_b128 v[2:5], v1 offset:848
	scratch_load_b128 v[18:21], off, off offset:336
	v_add_f64 v[171:172], v[171:172], v[181:182]
	v_add_f64 v[173:174], v[173:174], v[179:180]
	v_fma_f64 v[177:178], v[8:9], v[22:23], v[177:178]
	v_fma_f64 v[181:182], v[6:7], v[22:23], -v[24:25]
	scratch_load_b128 v[22:25], off, off offset:352
	ds_load_b128 v[6:9], v1 offset:864
	s_waitcnt vmcnt(9) lgkmcnt(1)
	v_mul_f64 v[179:180], v[2:3], v[28:29]
	v_mul_f64 v[28:29], v[4:5], v[28:29]
	v_add_f64 v[171:172], v[171:172], v[183:184]
	v_add_f64 v[173:174], v[173:174], v[175:176]
	s_waitcnt vmcnt(8) lgkmcnt(0)
	v_mul_f64 v[175:176], v[6:7], v[32:33]
	v_mul_f64 v[32:33], v[8:9], v[32:33]
	;; [unrolled: 18-line block ×7, first 2 shown]
	v_fma_f64 v[175:176], v[4:5], v[26:27], v[175:176]
	v_fma_f64 v[183:184], v[2:3], v[26:27], -v[28:29]
	ds_load_b128 v[2:5], v1 offset:1040
	scratch_load_b128 v[26:29], off, off offset:528
	v_add_f64 v[171:172], v[171:172], v[181:182]
	v_add_f64 v[173:174], v[173:174], v[179:180]
	v_fma_f64 v[177:178], v[8:9], v[30:31], v[177:178]
	v_fma_f64 v[181:182], v[6:7], v[30:31], -v[32:33]
	ds_load_b128 v[6:9], v1 offset:1056
	s_waitcnt vmcnt(8) lgkmcnt(1)
	v_mul_f64 v[179:180], v[2:3], v[36:37]
	v_mul_f64 v[36:37], v[4:5], v[36:37]
	scratch_load_b128 v[30:33], off, off offset:544
	v_add_f64 v[171:172], v[171:172], v[183:184]
	v_add_f64 v[173:174], v[173:174], v[175:176]
	s_waitcnt vmcnt(8) lgkmcnt(0)
	v_mul_f64 v[175:176], v[6:7], v[169:170]
	v_mul_f64 v[169:170], v[8:9], v[169:170]
	v_fma_f64 v[179:180], v[4:5], v[34:35], v[179:180]
	v_fma_f64 v[183:184], v[2:3], v[34:35], -v[36:37]
	scratch_load_b128 v[34:37], off, off offset:560
	ds_load_b128 v[2:5], v1 offset:1072
	v_add_f64 v[171:172], v[171:172], v[181:182]
	v_add_f64 v[173:174], v[173:174], v[177:178]
	v_fma_f64 v[175:176], v[8:9], v[167:168], v[175:176]
	v_fma_f64 v[181:182], v[6:7], v[167:168], -v[169:170]
	ds_load_b128 v[6:9], v1 offset:1088
	s_waitcnt vmcnt(8) lgkmcnt(1)
	v_mul_f64 v[177:178], v[2:3], v[40:41]
	v_mul_f64 v[40:41], v[4:5], v[40:41]
	scratch_load_b128 v[167:170], off, off offset:576
	v_add_f64 v[171:172], v[171:172], v[183:184]
	v_add_f64 v[173:174], v[173:174], v[179:180]
	s_waitcnt vmcnt(8) lgkmcnt(0)
	v_mul_f64 v[179:180], v[6:7], v[165:166]
	v_mul_f64 v[165:166], v[8:9], v[165:166]
	v_fma_f64 v[177:178], v[4:5], v[38:39], v[177:178]
	v_fma_f64 v[183:184], v[2:3], v[38:39], -v[40:41]
	scratch_load_b128 v[38:41], off, off offset:592
	ds_load_b128 v[2:5], v1 offset:1104
	;; [unrolled: 18-line block ×3, first 2 shown]
	v_add_f64 v[171:172], v[171:172], v[181:182]
	v_add_f64 v[173:174], v[173:174], v[179:180]
	v_fma_f64 v[177:178], v[8:9], v[14:15], v[177:178]
	v_fma_f64 v[14:15], v[6:7], v[14:15], -v[16:17]
	ds_load_b128 v[6:9], v1 offset:1152
	s_waitcnt vmcnt(8) lgkmcnt(1)
	v_mul_f64 v[179:180], v[2:3], v[20:21]
	v_mul_f64 v[20:21], v[4:5], v[20:21]
	v_add_f64 v[16:17], v[171:172], v[183:184]
	v_add_f64 v[171:172], v[173:174], v[175:176]
	s_waitcnt vmcnt(7) lgkmcnt(0)
	v_mul_f64 v[173:174], v[6:7], v[24:25]
	v_mul_f64 v[24:25], v[8:9], v[24:25]
	v_fma_f64 v[175:176], v[4:5], v[18:19], v[179:180]
	v_fma_f64 v[18:19], v[2:3], v[18:19], -v[20:21]
	ds_load_b128 v[2:5], v1 offset:1168
	v_add_f64 v[14:15], v[16:17], v[14:15]
	v_add_f64 v[16:17], v[171:172], v[177:178]
	v_fma_f64 v[171:172], v[8:9], v[22:23], v[173:174]
	v_fma_f64 v[22:23], v[6:7], v[22:23], -v[24:25]
	ds_load_b128 v[6:9], v1 offset:1184
	s_waitcnt vmcnt(5) lgkmcnt(0)
	v_mul_f64 v[173:174], v[6:7], v[32:33]
	v_mul_f64 v[32:33], v[8:9], v[32:33]
	v_add_f64 v[18:19], v[14:15], v[18:19]
	v_add_f64 v[24:25], v[16:17], v[175:176]
	scratch_load_b128 v[14:17], off, off offset:96
	v_mul_f64 v[20:21], v[2:3], v[28:29]
	v_mul_f64 v[28:29], v[4:5], v[28:29]
	v_add_f64 v[18:19], v[18:19], v[22:23]
	v_add_f64 v[22:23], v[24:25], v[171:172]
	s_delay_alu instid0(VALU_DEP_4) | instskip(NEXT) | instid1(VALU_DEP_4)
	v_fma_f64 v[20:21], v[4:5], v[26:27], v[20:21]
	v_fma_f64 v[26:27], v[2:3], v[26:27], -v[28:29]
	ds_load_b128 v[2:5], v1 offset:1200
	s_waitcnt vmcnt(5) lgkmcnt(0)
	v_mul_f64 v[24:25], v[2:3], v[36:37]
	v_mul_f64 v[28:29], v[4:5], v[36:37]
	v_fma_f64 v[36:37], v[8:9], v[30:31], v[173:174]
	v_fma_f64 v[30:31], v[6:7], v[30:31], -v[32:33]
	ds_load_b128 v[6:9], v1 offset:1216
	v_add_f64 v[20:21], v[22:23], v[20:21]
	v_add_f64 v[18:19], v[18:19], v[26:27]
	v_fma_f64 v[24:25], v[4:5], v[34:35], v[24:25]
	v_fma_f64 v[28:29], v[2:3], v[34:35], -v[28:29]
	ds_load_b128 v[2:5], v1 offset:1232
	s_waitcnt vmcnt(4) lgkmcnt(1)
	v_mul_f64 v[22:23], v[6:7], v[169:170]
	v_mul_f64 v[26:27], v[8:9], v[169:170]
	v_add_f64 v[20:21], v[20:21], v[36:37]
	v_add_f64 v[18:19], v[18:19], v[30:31]
	s_waitcnt vmcnt(3) lgkmcnt(0)
	v_mul_f64 v[30:31], v[2:3], v[40:41]
	v_mul_f64 v[32:33], v[4:5], v[40:41]
	v_fma_f64 v[22:23], v[8:9], v[167:168], v[22:23]
	v_fma_f64 v[26:27], v[6:7], v[167:168], -v[26:27]
	ds_load_b128 v[6:9], v1 offset:1248
	v_add_f64 v[20:21], v[20:21], v[24:25]
	v_add_f64 v[18:19], v[18:19], v[28:29]
	v_fma_f64 v[30:31], v[4:5], v[38:39], v[30:31]
	v_fma_f64 v[32:33], v[2:3], v[38:39], -v[32:33]
	ds_load_b128 v[2:5], v1 offset:1264
	s_waitcnt vmcnt(2) lgkmcnt(1)
	v_mul_f64 v[24:25], v[6:7], v[165:166]
	v_mul_f64 v[28:29], v[8:9], v[165:166]
	v_add_f64 v[20:21], v[20:21], v[22:23]
	v_add_f64 v[18:19], v[18:19], v[26:27]
	s_waitcnt vmcnt(1) lgkmcnt(0)
	v_mul_f64 v[22:23], v[2:3], v[12:13]
	v_mul_f64 v[12:13], v[4:5], v[12:13]
	v_fma_f64 v[8:9], v[8:9], v[163:164], v[24:25]
	v_fma_f64 v[6:7], v[6:7], v[163:164], -v[28:29]
	v_add_f64 v[20:21], v[20:21], v[30:31]
	v_add_f64 v[18:19], v[18:19], v[32:33]
	v_fma_f64 v[4:5], v[4:5], v[10:11], v[22:23]
	v_fma_f64 v[2:3], v[2:3], v[10:11], -v[12:13]
	s_delay_alu instid0(VALU_DEP_4) | instskip(NEXT) | instid1(VALU_DEP_4)
	v_add_f64 v[8:9], v[20:21], v[8:9]
	v_add_f64 v[6:7], v[18:19], v[6:7]
	s_delay_alu instid0(VALU_DEP_2) | instskip(NEXT) | instid1(VALU_DEP_2)
	v_add_f64 v[4:5], v[8:9], v[4:5]
	v_add_f64 v[2:3], v[6:7], v[2:3]
	s_waitcnt vmcnt(0)
	s_delay_alu instid0(VALU_DEP_2) | instskip(NEXT) | instid1(VALU_DEP_2)
	v_add_f64 v[4:5], v[16:17], -v[4:5]
	v_add_f64 v[2:3], v[14:15], -v[2:3]
	scratch_store_b128 off, v[2:5], off offset:96
	v_cmpx_lt_u32_e32 5, v122
	s_cbranch_execz .LBB39_243
; %bb.242:
	scratch_load_b128 v[5:8], v161, off
	v_mov_b32_e32 v2, v1
	v_mov_b32_e32 v3, v1
	;; [unrolled: 1-line block ×3, first 2 shown]
	scratch_store_b128 off, v[1:4], off offset:80
	s_waitcnt vmcnt(0)
	ds_store_b128 v162, v[5:8]
.LBB39_243:
	s_or_b32 exec_lo, exec_lo, s2
	s_waitcnt lgkmcnt(0)
	s_waitcnt_vscnt null, 0x0
	s_barrier
	buffer_gl0_inv
	s_clause 0x7
	scratch_load_b128 v[2:5], off, off offset:96
	scratch_load_b128 v[6:9], off, off offset:112
	;; [unrolled: 1-line block ×8, first 2 shown]
	ds_load_b128 v[38:41], v1 offset:736
	ds_load_b128 v[163:166], v1 offset:752
	s_clause 0x1
	scratch_load_b128 v[34:37], off, off offset:224
	scratch_load_b128 v[167:170], off, off offset:240
	s_mov_b32 s2, exec_lo
	s_waitcnt vmcnt(9) lgkmcnt(1)
	v_mul_f64 v[171:172], v[40:41], v[4:5]
	v_mul_f64 v[4:5], v[38:39], v[4:5]
	s_waitcnt vmcnt(8) lgkmcnt(0)
	v_mul_f64 v[173:174], v[163:164], v[8:9]
	v_mul_f64 v[8:9], v[165:166], v[8:9]
	s_delay_alu instid0(VALU_DEP_4) | instskip(NEXT) | instid1(VALU_DEP_4)
	v_fma_f64 v[171:172], v[38:39], v[2:3], -v[171:172]
	v_fma_f64 v[175:176], v[40:41], v[2:3], v[4:5]
	ds_load_b128 v[2:5], v1 offset:768
	scratch_load_b128 v[38:41], off, off offset:256
	v_fma_f64 v[173:174], v[165:166], v[6:7], v[173:174]
	v_fma_f64 v[179:180], v[163:164], v[6:7], -v[8:9]
	scratch_load_b128 v[163:166], off, off offset:272
	ds_load_b128 v[6:9], v1 offset:784
	s_waitcnt vmcnt(9) lgkmcnt(1)
	v_mul_f64 v[177:178], v[2:3], v[12:13]
	v_mul_f64 v[12:13], v[4:5], v[12:13]
	s_waitcnt vmcnt(8) lgkmcnt(0)
	v_mul_f64 v[181:182], v[6:7], v[16:17]
	v_mul_f64 v[16:17], v[8:9], v[16:17]
	v_add_f64 v[171:172], v[171:172], 0
	v_add_f64 v[175:176], v[175:176], 0
	v_fma_f64 v[177:178], v[4:5], v[10:11], v[177:178]
	v_fma_f64 v[183:184], v[2:3], v[10:11], -v[12:13]
	ds_load_b128 v[2:5], v1 offset:800
	scratch_load_b128 v[10:13], off, off offset:288
	v_add_f64 v[171:172], v[171:172], v[179:180]
	v_add_f64 v[173:174], v[175:176], v[173:174]
	v_fma_f64 v[179:180], v[8:9], v[14:15], v[181:182]
	v_fma_f64 v[181:182], v[6:7], v[14:15], -v[16:17]
	scratch_load_b128 v[14:17], off, off offset:304
	ds_load_b128 v[6:9], v1 offset:816
	s_waitcnt vmcnt(9) lgkmcnt(1)
	v_mul_f64 v[175:176], v[2:3], v[20:21]
	v_mul_f64 v[20:21], v[4:5], v[20:21]
	v_add_f64 v[171:172], v[171:172], v[183:184]
	v_add_f64 v[173:174], v[173:174], v[177:178]
	s_waitcnt vmcnt(8) lgkmcnt(0)
	v_mul_f64 v[177:178], v[6:7], v[24:25]
	v_mul_f64 v[24:25], v[8:9], v[24:25]
	v_fma_f64 v[175:176], v[4:5], v[18:19], v[175:176]
	v_fma_f64 v[183:184], v[2:3], v[18:19], -v[20:21]
	ds_load_b128 v[2:5], v1 offset:832
	scratch_load_b128 v[18:21], off, off offset:320
	v_add_f64 v[171:172], v[171:172], v[181:182]
	v_add_f64 v[173:174], v[173:174], v[179:180]
	v_fma_f64 v[177:178], v[8:9], v[22:23], v[177:178]
	v_fma_f64 v[181:182], v[6:7], v[22:23], -v[24:25]
	scratch_load_b128 v[22:25], off, off offset:336
	ds_load_b128 v[6:9], v1 offset:848
	s_waitcnt vmcnt(9) lgkmcnt(1)
	v_mul_f64 v[179:180], v[2:3], v[28:29]
	v_mul_f64 v[28:29], v[4:5], v[28:29]
	v_add_f64 v[171:172], v[171:172], v[183:184]
	v_add_f64 v[173:174], v[173:174], v[175:176]
	s_waitcnt vmcnt(8) lgkmcnt(0)
	v_mul_f64 v[175:176], v[6:7], v[32:33]
	v_mul_f64 v[32:33], v[8:9], v[32:33]
	;; [unrolled: 18-line block ×7, first 2 shown]
	v_fma_f64 v[175:176], v[4:5], v[26:27], v[175:176]
	v_fma_f64 v[183:184], v[2:3], v[26:27], -v[28:29]
	ds_load_b128 v[2:5], v1 offset:1024
	scratch_load_b128 v[26:29], off, off offset:512
	v_add_f64 v[171:172], v[171:172], v[181:182]
	v_add_f64 v[173:174], v[173:174], v[179:180]
	v_fma_f64 v[177:178], v[8:9], v[30:31], v[177:178]
	v_fma_f64 v[181:182], v[6:7], v[30:31], -v[32:33]
	ds_load_b128 v[6:9], v1 offset:1040
	s_waitcnt vmcnt(8) lgkmcnt(1)
	v_mul_f64 v[179:180], v[2:3], v[36:37]
	v_mul_f64 v[36:37], v[4:5], v[36:37]
	scratch_load_b128 v[30:33], off, off offset:528
	v_add_f64 v[171:172], v[171:172], v[183:184]
	v_add_f64 v[173:174], v[173:174], v[175:176]
	s_waitcnt vmcnt(8) lgkmcnt(0)
	v_mul_f64 v[175:176], v[6:7], v[169:170]
	v_mul_f64 v[169:170], v[8:9], v[169:170]
	v_fma_f64 v[179:180], v[4:5], v[34:35], v[179:180]
	v_fma_f64 v[183:184], v[2:3], v[34:35], -v[36:37]
	ds_load_b128 v[2:5], v1 offset:1056
	scratch_load_b128 v[34:37], off, off offset:544
	v_add_f64 v[171:172], v[171:172], v[181:182]
	v_add_f64 v[173:174], v[173:174], v[177:178]
	v_fma_f64 v[175:176], v[8:9], v[167:168], v[175:176]
	v_fma_f64 v[181:182], v[6:7], v[167:168], -v[169:170]
	ds_load_b128 v[6:9], v1 offset:1072
	s_waitcnt vmcnt(8) lgkmcnt(1)
	v_mul_f64 v[177:178], v[2:3], v[40:41]
	v_mul_f64 v[40:41], v[4:5], v[40:41]
	scratch_load_b128 v[167:170], off, off offset:560
	v_add_f64 v[171:172], v[171:172], v[183:184]
	v_add_f64 v[173:174], v[173:174], v[179:180]
	s_waitcnt vmcnt(8) lgkmcnt(0)
	v_mul_f64 v[179:180], v[6:7], v[165:166]
	v_mul_f64 v[165:166], v[8:9], v[165:166]
	v_fma_f64 v[177:178], v[4:5], v[38:39], v[177:178]
	v_fma_f64 v[183:184], v[2:3], v[38:39], -v[40:41]
	scratch_load_b128 v[38:41], off, off offset:576
	ds_load_b128 v[2:5], v1 offset:1088
	v_add_f64 v[171:172], v[171:172], v[181:182]
	v_add_f64 v[173:174], v[173:174], v[175:176]
	v_fma_f64 v[179:180], v[8:9], v[163:164], v[179:180]
	v_fma_f64 v[181:182], v[6:7], v[163:164], -v[165:166]
	ds_load_b128 v[6:9], v1 offset:1104
	s_waitcnt vmcnt(8) lgkmcnt(1)
	v_mul_f64 v[175:176], v[2:3], v[12:13]
	v_mul_f64 v[12:13], v[4:5], v[12:13]
	scratch_load_b128 v[163:166], off, off offset:592
	v_add_f64 v[171:172], v[171:172], v[183:184]
	v_add_f64 v[173:174], v[173:174], v[177:178]
	s_waitcnt vmcnt(8) lgkmcnt(0)
	v_mul_f64 v[177:178], v[6:7], v[16:17]
	v_mul_f64 v[16:17], v[8:9], v[16:17]
	v_fma_f64 v[175:176], v[4:5], v[10:11], v[175:176]
	v_fma_f64 v[183:184], v[2:3], v[10:11], -v[12:13]
	scratch_load_b128 v[10:13], off, off offset:608
	ds_load_b128 v[2:5], v1 offset:1120
	v_add_f64 v[171:172], v[171:172], v[181:182]
	v_add_f64 v[173:174], v[173:174], v[179:180]
	v_fma_f64 v[177:178], v[8:9], v[14:15], v[177:178]
	v_fma_f64 v[181:182], v[6:7], v[14:15], -v[16:17]
	ds_load_b128 v[6:9], v1 offset:1136
	s_waitcnt vmcnt(8) lgkmcnt(1)
	v_mul_f64 v[179:180], v[2:3], v[20:21]
	v_mul_f64 v[20:21], v[4:5], v[20:21]
	scratch_load_b128 v[14:17], off, off offset:624
	v_add_f64 v[171:172], v[171:172], v[183:184]
	v_add_f64 v[173:174], v[173:174], v[175:176]
	s_waitcnt vmcnt(8) lgkmcnt(0)
	v_mul_f64 v[175:176], v[6:7], v[24:25]
	v_mul_f64 v[24:25], v[8:9], v[24:25]
	v_fma_f64 v[179:180], v[4:5], v[18:19], v[179:180]
	v_fma_f64 v[18:19], v[2:3], v[18:19], -v[20:21]
	ds_load_b128 v[2:5], v1 offset:1152
	v_add_f64 v[20:21], v[171:172], v[181:182]
	v_add_f64 v[171:172], v[173:174], v[177:178]
	v_fma_f64 v[175:176], v[8:9], v[22:23], v[175:176]
	v_fma_f64 v[22:23], v[6:7], v[22:23], -v[24:25]
	ds_load_b128 v[6:9], v1 offset:1168
	s_waitcnt vmcnt(7) lgkmcnt(1)
	v_mul_f64 v[173:174], v[2:3], v[28:29]
	v_mul_f64 v[28:29], v[4:5], v[28:29]
	v_add_f64 v[18:19], v[20:21], v[18:19]
	v_add_f64 v[20:21], v[171:172], v[179:180]
	s_delay_alu instid0(VALU_DEP_4) | instskip(NEXT) | instid1(VALU_DEP_4)
	v_fma_f64 v[171:172], v[4:5], v[26:27], v[173:174]
	v_fma_f64 v[26:27], v[2:3], v[26:27], -v[28:29]
	ds_load_b128 v[2:5], v1 offset:1184
	v_add_f64 v[22:23], v[18:19], v[22:23]
	v_add_f64 v[28:29], v[20:21], v[175:176]
	scratch_load_b128 v[18:21], off, off offset:80
	s_waitcnt vmcnt(7) lgkmcnt(1)
	v_mul_f64 v[24:25], v[6:7], v[32:33]
	v_mul_f64 v[32:33], v[8:9], v[32:33]
	v_add_f64 v[22:23], v[22:23], v[26:27]
	v_add_f64 v[26:27], v[28:29], v[171:172]
	s_delay_alu instid0(VALU_DEP_4) | instskip(NEXT) | instid1(VALU_DEP_4)
	v_fma_f64 v[24:25], v[8:9], v[30:31], v[24:25]
	v_fma_f64 v[30:31], v[6:7], v[30:31], -v[32:33]
	ds_load_b128 v[6:9], v1 offset:1200
	s_waitcnt vmcnt(6) lgkmcnt(1)
	v_mul_f64 v[173:174], v[2:3], v[36:37]
	v_mul_f64 v[36:37], v[4:5], v[36:37]
	s_waitcnt vmcnt(5) lgkmcnt(0)
	v_mul_f64 v[28:29], v[6:7], v[169:170]
	v_mul_f64 v[32:33], v[8:9], v[169:170]
	v_add_f64 v[24:25], v[26:27], v[24:25]
	v_add_f64 v[22:23], v[22:23], v[30:31]
	v_fma_f64 v[169:170], v[4:5], v[34:35], v[173:174]
	v_fma_f64 v[34:35], v[2:3], v[34:35], -v[36:37]
	ds_load_b128 v[2:5], v1 offset:1216
	v_fma_f64 v[28:29], v[8:9], v[167:168], v[28:29]
	v_fma_f64 v[32:33], v[6:7], v[167:168], -v[32:33]
	ds_load_b128 v[6:9], v1 offset:1232
	s_waitcnt vmcnt(4) lgkmcnt(1)
	v_mul_f64 v[26:27], v[2:3], v[40:41]
	v_mul_f64 v[30:31], v[4:5], v[40:41]
	v_add_f64 v[24:25], v[24:25], v[169:170]
	v_add_f64 v[22:23], v[22:23], v[34:35]
	s_waitcnt vmcnt(3) lgkmcnt(0)
	v_mul_f64 v[34:35], v[6:7], v[165:166]
	v_mul_f64 v[36:37], v[8:9], v[165:166]
	v_fma_f64 v[26:27], v[4:5], v[38:39], v[26:27]
	v_fma_f64 v[30:31], v[2:3], v[38:39], -v[30:31]
	ds_load_b128 v[2:5], v1 offset:1248
	v_add_f64 v[24:25], v[24:25], v[28:29]
	v_add_f64 v[22:23], v[22:23], v[32:33]
	v_fma_f64 v[32:33], v[8:9], v[163:164], v[34:35]
	v_fma_f64 v[34:35], v[6:7], v[163:164], -v[36:37]
	ds_load_b128 v[6:9], v1 offset:1264
	s_waitcnt vmcnt(2) lgkmcnt(1)
	v_mul_f64 v[28:29], v[2:3], v[12:13]
	v_mul_f64 v[12:13], v[4:5], v[12:13]
	v_add_f64 v[24:25], v[24:25], v[26:27]
	v_add_f64 v[22:23], v[22:23], v[30:31]
	s_waitcnt vmcnt(1) lgkmcnt(0)
	v_mul_f64 v[26:27], v[6:7], v[16:17]
	v_mul_f64 v[16:17], v[8:9], v[16:17]
	v_fma_f64 v[4:5], v[4:5], v[10:11], v[28:29]
	v_fma_f64 v[1:2], v[2:3], v[10:11], -v[12:13]
	v_add_f64 v[12:13], v[24:25], v[32:33]
	v_add_f64 v[10:11], v[22:23], v[34:35]
	v_fma_f64 v[8:9], v[8:9], v[14:15], v[26:27]
	v_fma_f64 v[6:7], v[6:7], v[14:15], -v[16:17]
	s_delay_alu instid0(VALU_DEP_4) | instskip(NEXT) | instid1(VALU_DEP_4)
	v_add_f64 v[3:4], v[12:13], v[4:5]
	v_add_f64 v[1:2], v[10:11], v[1:2]
	s_delay_alu instid0(VALU_DEP_2) | instskip(NEXT) | instid1(VALU_DEP_2)
	v_add_f64 v[3:4], v[3:4], v[8:9]
	v_add_f64 v[1:2], v[1:2], v[6:7]
	s_waitcnt vmcnt(0)
	s_delay_alu instid0(VALU_DEP_2) | instskip(NEXT) | instid1(VALU_DEP_2)
	v_add_f64 v[3:4], v[20:21], -v[3:4]
	v_add_f64 v[1:2], v[18:19], -v[1:2]
	scratch_store_b128 off, v[1:4], off offset:80
	v_cmpx_lt_u32_e32 4, v122
	s_cbranch_execz .LBB39_245
; %bb.244:
	scratch_load_b128 v[1:4], v139, off
	v_mov_b32_e32 v5, 0
	s_delay_alu instid0(VALU_DEP_1)
	v_mov_b32_e32 v6, v5
	v_mov_b32_e32 v7, v5
	;; [unrolled: 1-line block ×3, first 2 shown]
	scratch_store_b128 off, v[5:8], off offset:64
	s_waitcnt vmcnt(0)
	ds_store_b128 v162, v[1:4]
.LBB39_245:
	s_or_b32 exec_lo, exec_lo, s2
	s_waitcnt lgkmcnt(0)
	s_waitcnt_vscnt null, 0x0
	s_barrier
	buffer_gl0_inv
	s_clause 0x7
	scratch_load_b128 v[2:5], off, off offset:80
	scratch_load_b128 v[6:9], off, off offset:96
	;; [unrolled: 1-line block ×8, first 2 shown]
	v_mov_b32_e32 v1, 0
	s_clause 0x1
	scratch_load_b128 v[34:37], off, off offset:208
	scratch_load_b128 v[167:170], off, off offset:224
	s_mov_b32 s2, exec_lo
	ds_load_b128 v[38:41], v1 offset:720
	ds_load_b128 v[163:166], v1 offset:736
	s_waitcnt vmcnt(9) lgkmcnt(1)
	v_mul_f64 v[171:172], v[40:41], v[4:5]
	v_mul_f64 v[4:5], v[38:39], v[4:5]
	s_waitcnt vmcnt(8) lgkmcnt(0)
	v_mul_f64 v[173:174], v[163:164], v[8:9]
	v_mul_f64 v[8:9], v[165:166], v[8:9]
	s_delay_alu instid0(VALU_DEP_4) | instskip(NEXT) | instid1(VALU_DEP_4)
	v_fma_f64 v[171:172], v[38:39], v[2:3], -v[171:172]
	v_fma_f64 v[175:176], v[40:41], v[2:3], v[4:5]
	ds_load_b128 v[2:5], v1 offset:752
	scratch_load_b128 v[38:41], off, off offset:240
	v_fma_f64 v[173:174], v[165:166], v[6:7], v[173:174]
	v_fma_f64 v[179:180], v[163:164], v[6:7], -v[8:9]
	scratch_load_b128 v[163:166], off, off offset:256
	ds_load_b128 v[6:9], v1 offset:768
	s_waitcnt vmcnt(9) lgkmcnt(1)
	v_mul_f64 v[177:178], v[2:3], v[12:13]
	v_mul_f64 v[12:13], v[4:5], v[12:13]
	s_waitcnt vmcnt(8) lgkmcnt(0)
	v_mul_f64 v[181:182], v[6:7], v[16:17]
	v_mul_f64 v[16:17], v[8:9], v[16:17]
	v_add_f64 v[171:172], v[171:172], 0
	v_add_f64 v[175:176], v[175:176], 0
	v_fma_f64 v[177:178], v[4:5], v[10:11], v[177:178]
	v_fma_f64 v[183:184], v[2:3], v[10:11], -v[12:13]
	ds_load_b128 v[2:5], v1 offset:784
	scratch_load_b128 v[10:13], off, off offset:272
	v_add_f64 v[171:172], v[171:172], v[179:180]
	v_add_f64 v[173:174], v[175:176], v[173:174]
	v_fma_f64 v[179:180], v[8:9], v[14:15], v[181:182]
	v_fma_f64 v[181:182], v[6:7], v[14:15], -v[16:17]
	scratch_load_b128 v[14:17], off, off offset:288
	ds_load_b128 v[6:9], v1 offset:800
	s_waitcnt vmcnt(9) lgkmcnt(1)
	v_mul_f64 v[175:176], v[2:3], v[20:21]
	v_mul_f64 v[20:21], v[4:5], v[20:21]
	v_add_f64 v[171:172], v[171:172], v[183:184]
	v_add_f64 v[173:174], v[173:174], v[177:178]
	s_waitcnt vmcnt(8) lgkmcnt(0)
	v_mul_f64 v[177:178], v[6:7], v[24:25]
	v_mul_f64 v[24:25], v[8:9], v[24:25]
	v_fma_f64 v[175:176], v[4:5], v[18:19], v[175:176]
	v_fma_f64 v[183:184], v[2:3], v[18:19], -v[20:21]
	ds_load_b128 v[2:5], v1 offset:816
	scratch_load_b128 v[18:21], off, off offset:304
	v_add_f64 v[171:172], v[171:172], v[181:182]
	v_add_f64 v[173:174], v[173:174], v[179:180]
	v_fma_f64 v[177:178], v[8:9], v[22:23], v[177:178]
	v_fma_f64 v[181:182], v[6:7], v[22:23], -v[24:25]
	scratch_load_b128 v[22:25], off, off offset:320
	ds_load_b128 v[6:9], v1 offset:832
	s_waitcnt vmcnt(9) lgkmcnt(1)
	v_mul_f64 v[179:180], v[2:3], v[28:29]
	v_mul_f64 v[28:29], v[4:5], v[28:29]
	v_add_f64 v[171:172], v[171:172], v[183:184]
	v_add_f64 v[173:174], v[173:174], v[175:176]
	s_waitcnt vmcnt(8) lgkmcnt(0)
	v_mul_f64 v[175:176], v[6:7], v[32:33]
	v_mul_f64 v[32:33], v[8:9], v[32:33]
	;; [unrolled: 18-line block ×8, first 2 shown]
	v_fma_f64 v[179:180], v[4:5], v[34:35], v[179:180]
	v_fma_f64 v[183:184], v[2:3], v[34:35], -v[36:37]
	ds_load_b128 v[2:5], v1 offset:1040
	scratch_load_b128 v[34:37], off, off offset:528
	v_add_f64 v[171:172], v[171:172], v[181:182]
	v_add_f64 v[173:174], v[173:174], v[177:178]
	v_fma_f64 v[175:176], v[8:9], v[167:168], v[175:176]
	v_fma_f64 v[181:182], v[6:7], v[167:168], -v[169:170]
	ds_load_b128 v[6:9], v1 offset:1056
	s_waitcnt vmcnt(8) lgkmcnt(1)
	v_mul_f64 v[177:178], v[2:3], v[40:41]
	v_mul_f64 v[40:41], v[4:5], v[40:41]
	scratch_load_b128 v[167:170], off, off offset:544
	v_add_f64 v[171:172], v[171:172], v[183:184]
	v_add_f64 v[173:174], v[173:174], v[179:180]
	s_waitcnt vmcnt(8) lgkmcnt(0)
	v_mul_f64 v[179:180], v[6:7], v[165:166]
	v_mul_f64 v[165:166], v[8:9], v[165:166]
	v_fma_f64 v[177:178], v[4:5], v[38:39], v[177:178]
	v_fma_f64 v[183:184], v[2:3], v[38:39], -v[40:41]
	scratch_load_b128 v[38:41], off, off offset:560
	ds_load_b128 v[2:5], v1 offset:1072
	v_add_f64 v[171:172], v[171:172], v[181:182]
	v_add_f64 v[173:174], v[173:174], v[175:176]
	v_fma_f64 v[179:180], v[8:9], v[163:164], v[179:180]
	v_fma_f64 v[181:182], v[6:7], v[163:164], -v[165:166]
	ds_load_b128 v[6:9], v1 offset:1088
	s_waitcnt vmcnt(8) lgkmcnt(1)
	v_mul_f64 v[175:176], v[2:3], v[12:13]
	v_mul_f64 v[12:13], v[4:5], v[12:13]
	scratch_load_b128 v[163:166], off, off offset:576
	v_add_f64 v[171:172], v[171:172], v[183:184]
	v_add_f64 v[173:174], v[173:174], v[177:178]
	s_waitcnt vmcnt(8) lgkmcnt(0)
	v_mul_f64 v[177:178], v[6:7], v[16:17]
	v_mul_f64 v[16:17], v[8:9], v[16:17]
	v_fma_f64 v[175:176], v[4:5], v[10:11], v[175:176]
	v_fma_f64 v[183:184], v[2:3], v[10:11], -v[12:13]
	scratch_load_b128 v[10:13], off, off offset:592
	ds_load_b128 v[2:5], v1 offset:1104
	;; [unrolled: 18-line block ×3, first 2 shown]
	v_add_f64 v[171:172], v[171:172], v[181:182]
	v_add_f64 v[173:174], v[173:174], v[177:178]
	v_fma_f64 v[175:176], v[8:9], v[22:23], v[175:176]
	v_fma_f64 v[22:23], v[6:7], v[22:23], -v[24:25]
	ds_load_b128 v[6:9], v1 offset:1152
	s_waitcnt vmcnt(8) lgkmcnt(1)
	v_mul_f64 v[177:178], v[2:3], v[28:29]
	v_mul_f64 v[28:29], v[4:5], v[28:29]
	v_add_f64 v[24:25], v[171:172], v[183:184]
	v_add_f64 v[171:172], v[173:174], v[179:180]
	s_waitcnt vmcnt(7) lgkmcnt(0)
	v_mul_f64 v[173:174], v[6:7], v[32:33]
	v_mul_f64 v[32:33], v[8:9], v[32:33]
	v_fma_f64 v[177:178], v[4:5], v[26:27], v[177:178]
	v_fma_f64 v[26:27], v[2:3], v[26:27], -v[28:29]
	ds_load_b128 v[2:5], v1 offset:1168
	v_add_f64 v[22:23], v[24:25], v[22:23]
	v_add_f64 v[24:25], v[171:172], v[175:176]
	v_fma_f64 v[171:172], v[8:9], v[30:31], v[173:174]
	v_fma_f64 v[30:31], v[6:7], v[30:31], -v[32:33]
	ds_load_b128 v[6:9], v1 offset:1184
	s_waitcnt vmcnt(5) lgkmcnt(0)
	v_mul_f64 v[173:174], v[6:7], v[169:170]
	v_mul_f64 v[169:170], v[8:9], v[169:170]
	v_add_f64 v[26:27], v[22:23], v[26:27]
	v_add_f64 v[32:33], v[24:25], v[177:178]
	scratch_load_b128 v[22:25], off, off offset:64
	v_mul_f64 v[28:29], v[2:3], v[36:37]
	v_mul_f64 v[36:37], v[4:5], v[36:37]
	v_add_f64 v[26:27], v[26:27], v[30:31]
	v_add_f64 v[30:31], v[32:33], v[171:172]
	s_delay_alu instid0(VALU_DEP_4) | instskip(NEXT) | instid1(VALU_DEP_4)
	v_fma_f64 v[28:29], v[4:5], v[34:35], v[28:29]
	v_fma_f64 v[34:35], v[2:3], v[34:35], -v[36:37]
	ds_load_b128 v[2:5], v1 offset:1200
	s_waitcnt vmcnt(5) lgkmcnt(0)
	v_mul_f64 v[32:33], v[2:3], v[40:41]
	v_mul_f64 v[36:37], v[4:5], v[40:41]
	v_fma_f64 v[40:41], v[8:9], v[167:168], v[173:174]
	v_fma_f64 v[167:168], v[6:7], v[167:168], -v[169:170]
	ds_load_b128 v[6:9], v1 offset:1216
	v_add_f64 v[28:29], v[30:31], v[28:29]
	v_add_f64 v[26:27], v[26:27], v[34:35]
	v_fma_f64 v[32:33], v[4:5], v[38:39], v[32:33]
	v_fma_f64 v[36:37], v[2:3], v[38:39], -v[36:37]
	ds_load_b128 v[2:5], v1 offset:1232
	s_waitcnt vmcnt(4) lgkmcnt(1)
	v_mul_f64 v[30:31], v[6:7], v[165:166]
	v_mul_f64 v[34:35], v[8:9], v[165:166]
	v_add_f64 v[28:29], v[28:29], v[40:41]
	v_add_f64 v[26:27], v[26:27], v[167:168]
	s_waitcnt vmcnt(3) lgkmcnt(0)
	v_mul_f64 v[38:39], v[2:3], v[12:13]
	v_mul_f64 v[12:13], v[4:5], v[12:13]
	v_fma_f64 v[30:31], v[8:9], v[163:164], v[30:31]
	v_fma_f64 v[34:35], v[6:7], v[163:164], -v[34:35]
	ds_load_b128 v[6:9], v1 offset:1248
	v_add_f64 v[28:29], v[28:29], v[32:33]
	v_add_f64 v[26:27], v[26:27], v[36:37]
	v_fma_f64 v[36:37], v[4:5], v[10:11], v[38:39]
	v_fma_f64 v[10:11], v[2:3], v[10:11], -v[12:13]
	ds_load_b128 v[2:5], v1 offset:1264
	s_waitcnt vmcnt(2) lgkmcnt(1)
	v_mul_f64 v[32:33], v[6:7], v[16:17]
	v_mul_f64 v[16:17], v[8:9], v[16:17]
	v_add_f64 v[12:13], v[26:27], v[34:35]
	v_add_f64 v[26:27], v[28:29], v[30:31]
	s_waitcnt vmcnt(1) lgkmcnt(0)
	v_mul_f64 v[28:29], v[2:3], v[20:21]
	v_mul_f64 v[20:21], v[4:5], v[20:21]
	v_fma_f64 v[8:9], v[8:9], v[14:15], v[32:33]
	v_fma_f64 v[6:7], v[6:7], v[14:15], -v[16:17]
	v_add_f64 v[10:11], v[12:13], v[10:11]
	v_add_f64 v[12:13], v[26:27], v[36:37]
	v_fma_f64 v[4:5], v[4:5], v[18:19], v[28:29]
	v_fma_f64 v[2:3], v[2:3], v[18:19], -v[20:21]
	s_delay_alu instid0(VALU_DEP_4) | instskip(NEXT) | instid1(VALU_DEP_4)
	v_add_f64 v[6:7], v[10:11], v[6:7]
	v_add_f64 v[8:9], v[12:13], v[8:9]
	s_delay_alu instid0(VALU_DEP_2) | instskip(NEXT) | instid1(VALU_DEP_2)
	v_add_f64 v[2:3], v[6:7], v[2:3]
	v_add_f64 v[4:5], v[8:9], v[4:5]
	s_waitcnt vmcnt(0)
	s_delay_alu instid0(VALU_DEP_2) | instskip(NEXT) | instid1(VALU_DEP_2)
	v_add_f64 v[2:3], v[22:23], -v[2:3]
	v_add_f64 v[4:5], v[24:25], -v[4:5]
	scratch_store_b128 off, v[2:5], off offset:64
	v_cmpx_lt_u32_e32 3, v122
	s_cbranch_execz .LBB39_247
; %bb.246:
	scratch_load_b128 v[5:8], v142, off
	v_mov_b32_e32 v2, v1
	v_mov_b32_e32 v3, v1
	;; [unrolled: 1-line block ×3, first 2 shown]
	scratch_store_b128 off, v[1:4], off offset:48
	s_waitcnt vmcnt(0)
	ds_store_b128 v162, v[5:8]
.LBB39_247:
	s_or_b32 exec_lo, exec_lo, s2
	s_waitcnt lgkmcnt(0)
	s_waitcnt_vscnt null, 0x0
	s_barrier
	buffer_gl0_inv
	s_clause 0x7
	scratch_load_b128 v[2:5], off, off offset:64
	scratch_load_b128 v[6:9], off, off offset:80
	;; [unrolled: 1-line block ×8, first 2 shown]
	ds_load_b128 v[38:41], v1 offset:704
	ds_load_b128 v[163:166], v1 offset:720
	s_clause 0x1
	scratch_load_b128 v[34:37], off, off offset:192
	scratch_load_b128 v[167:170], off, off offset:208
	s_mov_b32 s2, exec_lo
	s_waitcnt vmcnt(9) lgkmcnt(1)
	v_mul_f64 v[171:172], v[40:41], v[4:5]
	v_mul_f64 v[4:5], v[38:39], v[4:5]
	s_waitcnt vmcnt(8) lgkmcnt(0)
	v_mul_f64 v[173:174], v[163:164], v[8:9]
	v_mul_f64 v[8:9], v[165:166], v[8:9]
	s_delay_alu instid0(VALU_DEP_4) | instskip(NEXT) | instid1(VALU_DEP_4)
	v_fma_f64 v[171:172], v[38:39], v[2:3], -v[171:172]
	v_fma_f64 v[175:176], v[40:41], v[2:3], v[4:5]
	ds_load_b128 v[2:5], v1 offset:736
	scratch_load_b128 v[38:41], off, off offset:224
	v_fma_f64 v[173:174], v[165:166], v[6:7], v[173:174]
	v_fma_f64 v[179:180], v[163:164], v[6:7], -v[8:9]
	scratch_load_b128 v[163:166], off, off offset:240
	ds_load_b128 v[6:9], v1 offset:752
	s_waitcnt vmcnt(9) lgkmcnt(1)
	v_mul_f64 v[177:178], v[2:3], v[12:13]
	v_mul_f64 v[12:13], v[4:5], v[12:13]
	s_waitcnt vmcnt(8) lgkmcnt(0)
	v_mul_f64 v[181:182], v[6:7], v[16:17]
	v_mul_f64 v[16:17], v[8:9], v[16:17]
	v_add_f64 v[171:172], v[171:172], 0
	v_add_f64 v[175:176], v[175:176], 0
	v_fma_f64 v[177:178], v[4:5], v[10:11], v[177:178]
	v_fma_f64 v[183:184], v[2:3], v[10:11], -v[12:13]
	ds_load_b128 v[2:5], v1 offset:768
	scratch_load_b128 v[10:13], off, off offset:256
	v_add_f64 v[171:172], v[171:172], v[179:180]
	v_add_f64 v[173:174], v[175:176], v[173:174]
	v_fma_f64 v[179:180], v[8:9], v[14:15], v[181:182]
	v_fma_f64 v[181:182], v[6:7], v[14:15], -v[16:17]
	scratch_load_b128 v[14:17], off, off offset:272
	ds_load_b128 v[6:9], v1 offset:784
	s_waitcnt vmcnt(9) lgkmcnt(1)
	v_mul_f64 v[175:176], v[2:3], v[20:21]
	v_mul_f64 v[20:21], v[4:5], v[20:21]
	v_add_f64 v[171:172], v[171:172], v[183:184]
	v_add_f64 v[173:174], v[173:174], v[177:178]
	s_waitcnt vmcnt(8) lgkmcnt(0)
	v_mul_f64 v[177:178], v[6:7], v[24:25]
	v_mul_f64 v[24:25], v[8:9], v[24:25]
	v_fma_f64 v[175:176], v[4:5], v[18:19], v[175:176]
	v_fma_f64 v[183:184], v[2:3], v[18:19], -v[20:21]
	ds_load_b128 v[2:5], v1 offset:800
	scratch_load_b128 v[18:21], off, off offset:288
	v_add_f64 v[171:172], v[171:172], v[181:182]
	v_add_f64 v[173:174], v[173:174], v[179:180]
	v_fma_f64 v[177:178], v[8:9], v[22:23], v[177:178]
	v_fma_f64 v[181:182], v[6:7], v[22:23], -v[24:25]
	scratch_load_b128 v[22:25], off, off offset:304
	ds_load_b128 v[6:9], v1 offset:816
	s_waitcnt vmcnt(9) lgkmcnt(1)
	v_mul_f64 v[179:180], v[2:3], v[28:29]
	v_mul_f64 v[28:29], v[4:5], v[28:29]
	v_add_f64 v[171:172], v[171:172], v[183:184]
	v_add_f64 v[173:174], v[173:174], v[175:176]
	s_waitcnt vmcnt(8) lgkmcnt(0)
	v_mul_f64 v[175:176], v[6:7], v[32:33]
	v_mul_f64 v[32:33], v[8:9], v[32:33]
	v_fma_f64 v[179:180], v[4:5], v[26:27], v[179:180]
	v_fma_f64 v[183:184], v[2:3], v[26:27], -v[28:29]
	ds_load_b128 v[2:5], v1 offset:832
	scratch_load_b128 v[26:29], off, off offset:320
	v_add_f64 v[171:172], v[171:172], v[181:182]
	v_add_f64 v[173:174], v[173:174], v[177:178]
	v_fma_f64 v[175:176], v[8:9], v[30:31], v[175:176]
	v_fma_f64 v[181:182], v[6:7], v[30:31], -v[32:33]
	scratch_load_b128 v[30:33], off, off offset:336
	ds_load_b128 v[6:9], v1 offset:848
	s_waitcnt vmcnt(9) lgkmcnt(1)
	v_mul_f64 v[177:178], v[2:3], v[36:37]
	v_mul_f64 v[36:37], v[4:5], v[36:37]
	v_add_f64 v[171:172], v[171:172], v[183:184]
	v_add_f64 v[173:174], v[173:174], v[179:180]
	s_waitcnt vmcnt(8) lgkmcnt(0)
	v_mul_f64 v[179:180], v[6:7], v[169:170]
	v_mul_f64 v[169:170], v[8:9], v[169:170]
	v_fma_f64 v[177:178], v[4:5], v[34:35], v[177:178]
	v_fma_f64 v[183:184], v[2:3], v[34:35], -v[36:37]
	ds_load_b128 v[2:5], v1 offset:864
	scratch_load_b128 v[34:37], off, off offset:352
	v_add_f64 v[171:172], v[171:172], v[181:182]
	v_add_f64 v[173:174], v[173:174], v[175:176]
	v_fma_f64 v[179:180], v[8:9], v[167:168], v[179:180]
	v_fma_f64 v[181:182], v[6:7], v[167:168], -v[169:170]
	scratch_load_b128 v[167:170], off, off offset:368
	ds_load_b128 v[6:9], v1 offset:880
	s_waitcnt vmcnt(9) lgkmcnt(1)
	v_mul_f64 v[175:176], v[2:3], v[40:41]
	v_mul_f64 v[40:41], v[4:5], v[40:41]
	v_add_f64 v[171:172], v[171:172], v[183:184]
	v_add_f64 v[173:174], v[173:174], v[177:178]
	s_waitcnt vmcnt(8) lgkmcnt(0)
	v_mul_f64 v[177:178], v[6:7], v[165:166]
	v_mul_f64 v[165:166], v[8:9], v[165:166]
	v_fma_f64 v[175:176], v[4:5], v[38:39], v[175:176]
	v_fma_f64 v[183:184], v[2:3], v[38:39], -v[40:41]
	ds_load_b128 v[2:5], v1 offset:896
	scratch_load_b128 v[38:41], off, off offset:384
	v_add_f64 v[171:172], v[171:172], v[181:182]
	v_add_f64 v[173:174], v[173:174], v[179:180]
	v_fma_f64 v[177:178], v[8:9], v[163:164], v[177:178]
	v_fma_f64 v[181:182], v[6:7], v[163:164], -v[165:166]
	scratch_load_b128 v[163:166], off, off offset:400
	ds_load_b128 v[6:9], v1 offset:912
	s_waitcnt vmcnt(9) lgkmcnt(1)
	v_mul_f64 v[179:180], v[2:3], v[12:13]
	v_mul_f64 v[12:13], v[4:5], v[12:13]
	v_add_f64 v[171:172], v[171:172], v[183:184]
	v_add_f64 v[173:174], v[173:174], v[175:176]
	s_waitcnt vmcnt(8) lgkmcnt(0)
	v_mul_f64 v[175:176], v[6:7], v[16:17]
	v_mul_f64 v[16:17], v[8:9], v[16:17]
	v_fma_f64 v[179:180], v[4:5], v[10:11], v[179:180]
	v_fma_f64 v[183:184], v[2:3], v[10:11], -v[12:13]
	ds_load_b128 v[2:5], v1 offset:928
	scratch_load_b128 v[10:13], off, off offset:416
	v_add_f64 v[171:172], v[171:172], v[181:182]
	v_add_f64 v[173:174], v[173:174], v[177:178]
	v_fma_f64 v[175:176], v[8:9], v[14:15], v[175:176]
	v_fma_f64 v[181:182], v[6:7], v[14:15], -v[16:17]
	scratch_load_b128 v[14:17], off, off offset:432
	ds_load_b128 v[6:9], v1 offset:944
	s_waitcnt vmcnt(9) lgkmcnt(1)
	v_mul_f64 v[177:178], v[2:3], v[20:21]
	v_mul_f64 v[20:21], v[4:5], v[20:21]
	v_add_f64 v[171:172], v[171:172], v[183:184]
	v_add_f64 v[173:174], v[173:174], v[179:180]
	s_waitcnt vmcnt(8) lgkmcnt(0)
	v_mul_f64 v[179:180], v[6:7], v[24:25]
	v_mul_f64 v[24:25], v[8:9], v[24:25]
	v_fma_f64 v[177:178], v[4:5], v[18:19], v[177:178]
	v_fma_f64 v[183:184], v[2:3], v[18:19], -v[20:21]
	ds_load_b128 v[2:5], v1 offset:960
	scratch_load_b128 v[18:21], off, off offset:448
	v_add_f64 v[171:172], v[171:172], v[181:182]
	v_add_f64 v[173:174], v[173:174], v[175:176]
	v_fma_f64 v[179:180], v[8:9], v[22:23], v[179:180]
	v_fma_f64 v[181:182], v[6:7], v[22:23], -v[24:25]
	scratch_load_b128 v[22:25], off, off offset:464
	ds_load_b128 v[6:9], v1 offset:976
	s_waitcnt vmcnt(9) lgkmcnt(1)
	v_mul_f64 v[175:176], v[2:3], v[28:29]
	v_mul_f64 v[28:29], v[4:5], v[28:29]
	v_add_f64 v[171:172], v[171:172], v[183:184]
	v_add_f64 v[173:174], v[173:174], v[177:178]
	s_waitcnt vmcnt(8) lgkmcnt(0)
	v_mul_f64 v[177:178], v[6:7], v[32:33]
	v_mul_f64 v[32:33], v[8:9], v[32:33]
	v_fma_f64 v[175:176], v[4:5], v[26:27], v[175:176]
	v_fma_f64 v[183:184], v[2:3], v[26:27], -v[28:29]
	ds_load_b128 v[2:5], v1 offset:992
	scratch_load_b128 v[26:29], off, off offset:480
	v_add_f64 v[171:172], v[171:172], v[181:182]
	v_add_f64 v[173:174], v[173:174], v[179:180]
	v_fma_f64 v[177:178], v[8:9], v[30:31], v[177:178]
	v_fma_f64 v[181:182], v[6:7], v[30:31], -v[32:33]
	scratch_load_b128 v[30:33], off, off offset:496
	ds_load_b128 v[6:9], v1 offset:1008
	s_waitcnt vmcnt(9) lgkmcnt(1)
	v_mul_f64 v[179:180], v[2:3], v[36:37]
	v_mul_f64 v[36:37], v[4:5], v[36:37]
	v_add_f64 v[171:172], v[171:172], v[183:184]
	v_add_f64 v[173:174], v[173:174], v[175:176]
	s_waitcnt vmcnt(8) lgkmcnt(0)
	v_mul_f64 v[175:176], v[6:7], v[169:170]
	v_mul_f64 v[169:170], v[8:9], v[169:170]
	v_fma_f64 v[179:180], v[4:5], v[34:35], v[179:180]
	v_fma_f64 v[183:184], v[2:3], v[34:35], -v[36:37]
	ds_load_b128 v[2:5], v1 offset:1024
	scratch_load_b128 v[34:37], off, off offset:512
	v_add_f64 v[171:172], v[171:172], v[181:182]
	v_add_f64 v[173:174], v[173:174], v[177:178]
	v_fma_f64 v[175:176], v[8:9], v[167:168], v[175:176]
	v_fma_f64 v[181:182], v[6:7], v[167:168], -v[169:170]
	ds_load_b128 v[6:9], v1 offset:1040
	s_waitcnt vmcnt(8) lgkmcnt(1)
	v_mul_f64 v[177:178], v[2:3], v[40:41]
	v_mul_f64 v[40:41], v[4:5], v[40:41]
	scratch_load_b128 v[167:170], off, off offset:528
	v_add_f64 v[171:172], v[171:172], v[183:184]
	v_add_f64 v[173:174], v[173:174], v[179:180]
	s_waitcnt vmcnt(8) lgkmcnt(0)
	v_mul_f64 v[179:180], v[6:7], v[165:166]
	v_mul_f64 v[165:166], v[8:9], v[165:166]
	v_fma_f64 v[177:178], v[4:5], v[38:39], v[177:178]
	v_fma_f64 v[183:184], v[2:3], v[38:39], -v[40:41]
	ds_load_b128 v[2:5], v1 offset:1056
	scratch_load_b128 v[38:41], off, off offset:544
	v_add_f64 v[171:172], v[171:172], v[181:182]
	v_add_f64 v[173:174], v[173:174], v[175:176]
	v_fma_f64 v[179:180], v[8:9], v[163:164], v[179:180]
	v_fma_f64 v[181:182], v[6:7], v[163:164], -v[165:166]
	ds_load_b128 v[6:9], v1 offset:1072
	s_waitcnt vmcnt(8) lgkmcnt(1)
	v_mul_f64 v[175:176], v[2:3], v[12:13]
	v_mul_f64 v[12:13], v[4:5], v[12:13]
	scratch_load_b128 v[163:166], off, off offset:560
	v_add_f64 v[171:172], v[171:172], v[183:184]
	v_add_f64 v[173:174], v[173:174], v[177:178]
	s_waitcnt vmcnt(8) lgkmcnt(0)
	v_mul_f64 v[177:178], v[6:7], v[16:17]
	v_mul_f64 v[16:17], v[8:9], v[16:17]
	v_fma_f64 v[175:176], v[4:5], v[10:11], v[175:176]
	v_fma_f64 v[183:184], v[2:3], v[10:11], -v[12:13]
	scratch_load_b128 v[10:13], off, off offset:576
	ds_load_b128 v[2:5], v1 offset:1088
	v_add_f64 v[171:172], v[171:172], v[181:182]
	v_add_f64 v[173:174], v[173:174], v[179:180]
	v_fma_f64 v[177:178], v[8:9], v[14:15], v[177:178]
	v_fma_f64 v[181:182], v[6:7], v[14:15], -v[16:17]
	ds_load_b128 v[6:9], v1 offset:1104
	s_waitcnt vmcnt(8) lgkmcnt(1)
	v_mul_f64 v[179:180], v[2:3], v[20:21]
	v_mul_f64 v[20:21], v[4:5], v[20:21]
	scratch_load_b128 v[14:17], off, off offset:592
	v_add_f64 v[171:172], v[171:172], v[183:184]
	v_add_f64 v[173:174], v[173:174], v[175:176]
	s_waitcnt vmcnt(8) lgkmcnt(0)
	v_mul_f64 v[175:176], v[6:7], v[24:25]
	v_mul_f64 v[24:25], v[8:9], v[24:25]
	v_fma_f64 v[179:180], v[4:5], v[18:19], v[179:180]
	v_fma_f64 v[183:184], v[2:3], v[18:19], -v[20:21]
	scratch_load_b128 v[18:21], off, off offset:608
	ds_load_b128 v[2:5], v1 offset:1120
	v_add_f64 v[171:172], v[171:172], v[181:182]
	v_add_f64 v[173:174], v[173:174], v[177:178]
	v_fma_f64 v[175:176], v[8:9], v[22:23], v[175:176]
	v_fma_f64 v[181:182], v[6:7], v[22:23], -v[24:25]
	ds_load_b128 v[6:9], v1 offset:1136
	s_waitcnt vmcnt(8) lgkmcnt(1)
	v_mul_f64 v[177:178], v[2:3], v[28:29]
	v_mul_f64 v[28:29], v[4:5], v[28:29]
	scratch_load_b128 v[22:25], off, off offset:624
	v_add_f64 v[171:172], v[171:172], v[183:184]
	v_add_f64 v[173:174], v[173:174], v[179:180]
	s_waitcnt vmcnt(8) lgkmcnt(0)
	v_mul_f64 v[179:180], v[6:7], v[32:33]
	v_mul_f64 v[32:33], v[8:9], v[32:33]
	v_fma_f64 v[177:178], v[4:5], v[26:27], v[177:178]
	v_fma_f64 v[26:27], v[2:3], v[26:27], -v[28:29]
	ds_load_b128 v[2:5], v1 offset:1152
	v_add_f64 v[28:29], v[171:172], v[181:182]
	v_add_f64 v[171:172], v[173:174], v[175:176]
	v_fma_f64 v[175:176], v[8:9], v[30:31], v[179:180]
	v_fma_f64 v[30:31], v[6:7], v[30:31], -v[32:33]
	ds_load_b128 v[6:9], v1 offset:1168
	s_waitcnt vmcnt(7) lgkmcnt(1)
	v_mul_f64 v[173:174], v[2:3], v[36:37]
	v_mul_f64 v[36:37], v[4:5], v[36:37]
	v_add_f64 v[26:27], v[28:29], v[26:27]
	v_add_f64 v[28:29], v[171:172], v[177:178]
	s_delay_alu instid0(VALU_DEP_4) | instskip(NEXT) | instid1(VALU_DEP_4)
	v_fma_f64 v[171:172], v[4:5], v[34:35], v[173:174]
	v_fma_f64 v[34:35], v[2:3], v[34:35], -v[36:37]
	ds_load_b128 v[2:5], v1 offset:1184
	v_add_f64 v[30:31], v[26:27], v[30:31]
	v_add_f64 v[36:37], v[28:29], v[175:176]
	scratch_load_b128 v[26:29], off, off offset:48
	s_waitcnt vmcnt(7) lgkmcnt(1)
	v_mul_f64 v[32:33], v[6:7], v[169:170]
	v_mul_f64 v[169:170], v[8:9], v[169:170]
	v_add_f64 v[30:31], v[30:31], v[34:35]
	v_add_f64 v[34:35], v[36:37], v[171:172]
	s_delay_alu instid0(VALU_DEP_4) | instskip(NEXT) | instid1(VALU_DEP_4)
	v_fma_f64 v[32:33], v[8:9], v[167:168], v[32:33]
	v_fma_f64 v[167:168], v[6:7], v[167:168], -v[169:170]
	ds_load_b128 v[6:9], v1 offset:1200
	s_waitcnt vmcnt(6) lgkmcnt(1)
	v_mul_f64 v[173:174], v[2:3], v[40:41]
	v_mul_f64 v[40:41], v[4:5], v[40:41]
	s_waitcnt vmcnt(5) lgkmcnt(0)
	v_mul_f64 v[36:37], v[6:7], v[165:166]
	v_mul_f64 v[165:166], v[8:9], v[165:166]
	v_add_f64 v[32:33], v[34:35], v[32:33]
	v_add_f64 v[30:31], v[30:31], v[167:168]
	v_fma_f64 v[169:170], v[4:5], v[38:39], v[173:174]
	v_fma_f64 v[38:39], v[2:3], v[38:39], -v[40:41]
	ds_load_b128 v[2:5], v1 offset:1216
	v_fma_f64 v[36:37], v[8:9], v[163:164], v[36:37]
	v_fma_f64 v[40:41], v[6:7], v[163:164], -v[165:166]
	ds_load_b128 v[6:9], v1 offset:1232
	s_waitcnt vmcnt(4) lgkmcnt(1)
	v_mul_f64 v[34:35], v[2:3], v[12:13]
	v_mul_f64 v[12:13], v[4:5], v[12:13]
	v_add_f64 v[32:33], v[32:33], v[169:170]
	v_add_f64 v[30:31], v[30:31], v[38:39]
	s_waitcnt vmcnt(3) lgkmcnt(0)
	v_mul_f64 v[38:39], v[6:7], v[16:17]
	v_mul_f64 v[16:17], v[8:9], v[16:17]
	v_fma_f64 v[34:35], v[4:5], v[10:11], v[34:35]
	v_fma_f64 v[10:11], v[2:3], v[10:11], -v[12:13]
	ds_load_b128 v[2:5], v1 offset:1248
	v_add_f64 v[12:13], v[30:31], v[40:41]
	v_add_f64 v[30:31], v[32:33], v[36:37]
	v_fma_f64 v[36:37], v[8:9], v[14:15], v[38:39]
	v_fma_f64 v[14:15], v[6:7], v[14:15], -v[16:17]
	ds_load_b128 v[6:9], v1 offset:1264
	s_waitcnt vmcnt(2) lgkmcnt(1)
	v_mul_f64 v[32:33], v[2:3], v[20:21]
	v_mul_f64 v[20:21], v[4:5], v[20:21]
	s_waitcnt vmcnt(1) lgkmcnt(0)
	v_mul_f64 v[16:17], v[6:7], v[24:25]
	v_mul_f64 v[24:25], v[8:9], v[24:25]
	v_add_f64 v[10:11], v[12:13], v[10:11]
	v_add_f64 v[12:13], v[30:31], v[34:35]
	v_fma_f64 v[4:5], v[4:5], v[18:19], v[32:33]
	v_fma_f64 v[1:2], v[2:3], v[18:19], -v[20:21]
	v_fma_f64 v[8:9], v[8:9], v[22:23], v[16:17]
	v_fma_f64 v[6:7], v[6:7], v[22:23], -v[24:25]
	v_add_f64 v[10:11], v[10:11], v[14:15]
	v_add_f64 v[12:13], v[12:13], v[36:37]
	s_delay_alu instid0(VALU_DEP_2) | instskip(NEXT) | instid1(VALU_DEP_2)
	v_add_f64 v[1:2], v[10:11], v[1:2]
	v_add_f64 v[3:4], v[12:13], v[4:5]
	s_delay_alu instid0(VALU_DEP_2) | instskip(NEXT) | instid1(VALU_DEP_2)
	v_add_f64 v[1:2], v[1:2], v[6:7]
	v_add_f64 v[3:4], v[3:4], v[8:9]
	s_waitcnt vmcnt(0)
	s_delay_alu instid0(VALU_DEP_2) | instskip(NEXT) | instid1(VALU_DEP_2)
	v_add_f64 v[1:2], v[26:27], -v[1:2]
	v_add_f64 v[3:4], v[28:29], -v[3:4]
	scratch_store_b128 off, v[1:4], off offset:48
	v_cmpx_lt_u32_e32 2, v122
	s_cbranch_execz .LBB39_249
; %bb.248:
	scratch_load_b128 v[1:4], v140, off
	v_mov_b32_e32 v5, 0
	s_delay_alu instid0(VALU_DEP_1)
	v_mov_b32_e32 v6, v5
	v_mov_b32_e32 v7, v5
	;; [unrolled: 1-line block ×3, first 2 shown]
	scratch_store_b128 off, v[5:8], off offset:32
	s_waitcnt vmcnt(0)
	ds_store_b128 v162, v[1:4]
.LBB39_249:
	s_or_b32 exec_lo, exec_lo, s2
	s_waitcnt lgkmcnt(0)
	s_waitcnt_vscnt null, 0x0
	s_barrier
	buffer_gl0_inv
	s_clause 0x7
	scratch_load_b128 v[2:5], off, off offset:48
	scratch_load_b128 v[6:9], off, off offset:64
	;; [unrolled: 1-line block ×8, first 2 shown]
	v_mov_b32_e32 v1, 0
	s_clause 0x1
	scratch_load_b128 v[34:37], off, off offset:176
	scratch_load_b128 v[167:170], off, off offset:192
	s_mov_b32 s2, exec_lo
	ds_load_b128 v[38:41], v1 offset:688
	ds_load_b128 v[163:166], v1 offset:704
	s_waitcnt vmcnt(9) lgkmcnt(1)
	v_mul_f64 v[171:172], v[40:41], v[4:5]
	v_mul_f64 v[4:5], v[38:39], v[4:5]
	s_waitcnt vmcnt(8) lgkmcnt(0)
	v_mul_f64 v[173:174], v[163:164], v[8:9]
	v_mul_f64 v[8:9], v[165:166], v[8:9]
	s_delay_alu instid0(VALU_DEP_4) | instskip(NEXT) | instid1(VALU_DEP_4)
	v_fma_f64 v[171:172], v[38:39], v[2:3], -v[171:172]
	v_fma_f64 v[175:176], v[40:41], v[2:3], v[4:5]
	ds_load_b128 v[2:5], v1 offset:720
	scratch_load_b128 v[38:41], off, off offset:208
	v_fma_f64 v[173:174], v[165:166], v[6:7], v[173:174]
	v_fma_f64 v[179:180], v[163:164], v[6:7], -v[8:9]
	scratch_load_b128 v[163:166], off, off offset:224
	ds_load_b128 v[6:9], v1 offset:736
	s_waitcnt vmcnt(9) lgkmcnt(1)
	v_mul_f64 v[177:178], v[2:3], v[12:13]
	v_mul_f64 v[12:13], v[4:5], v[12:13]
	s_waitcnt vmcnt(8) lgkmcnt(0)
	v_mul_f64 v[181:182], v[6:7], v[16:17]
	v_mul_f64 v[16:17], v[8:9], v[16:17]
	v_add_f64 v[171:172], v[171:172], 0
	v_add_f64 v[175:176], v[175:176], 0
	v_fma_f64 v[177:178], v[4:5], v[10:11], v[177:178]
	v_fma_f64 v[183:184], v[2:3], v[10:11], -v[12:13]
	ds_load_b128 v[2:5], v1 offset:752
	scratch_load_b128 v[10:13], off, off offset:240
	v_add_f64 v[171:172], v[171:172], v[179:180]
	v_add_f64 v[173:174], v[175:176], v[173:174]
	v_fma_f64 v[179:180], v[8:9], v[14:15], v[181:182]
	v_fma_f64 v[181:182], v[6:7], v[14:15], -v[16:17]
	scratch_load_b128 v[14:17], off, off offset:256
	ds_load_b128 v[6:9], v1 offset:768
	s_waitcnt vmcnt(9) lgkmcnt(1)
	v_mul_f64 v[175:176], v[2:3], v[20:21]
	v_mul_f64 v[20:21], v[4:5], v[20:21]
	v_add_f64 v[171:172], v[171:172], v[183:184]
	v_add_f64 v[173:174], v[173:174], v[177:178]
	s_waitcnt vmcnt(8) lgkmcnt(0)
	v_mul_f64 v[177:178], v[6:7], v[24:25]
	v_mul_f64 v[24:25], v[8:9], v[24:25]
	v_fma_f64 v[175:176], v[4:5], v[18:19], v[175:176]
	v_fma_f64 v[183:184], v[2:3], v[18:19], -v[20:21]
	ds_load_b128 v[2:5], v1 offset:784
	scratch_load_b128 v[18:21], off, off offset:272
	v_add_f64 v[171:172], v[171:172], v[181:182]
	v_add_f64 v[173:174], v[173:174], v[179:180]
	v_fma_f64 v[177:178], v[8:9], v[22:23], v[177:178]
	v_fma_f64 v[181:182], v[6:7], v[22:23], -v[24:25]
	scratch_load_b128 v[22:25], off, off offset:288
	ds_load_b128 v[6:9], v1 offset:800
	s_waitcnt vmcnt(9) lgkmcnt(1)
	v_mul_f64 v[179:180], v[2:3], v[28:29]
	v_mul_f64 v[28:29], v[4:5], v[28:29]
	v_add_f64 v[171:172], v[171:172], v[183:184]
	v_add_f64 v[173:174], v[173:174], v[175:176]
	s_waitcnt vmcnt(8) lgkmcnt(0)
	v_mul_f64 v[175:176], v[6:7], v[32:33]
	v_mul_f64 v[32:33], v[8:9], v[32:33]
	;; [unrolled: 18-line block ×9, first 2 shown]
	v_fma_f64 v[177:178], v[4:5], v[38:39], v[177:178]
	v_fma_f64 v[183:184], v[2:3], v[38:39], -v[40:41]
	ds_load_b128 v[2:5], v1 offset:1040
	scratch_load_b128 v[38:41], off, off offset:528
	v_add_f64 v[171:172], v[171:172], v[181:182]
	v_add_f64 v[173:174], v[173:174], v[175:176]
	v_fma_f64 v[179:180], v[8:9], v[163:164], v[179:180]
	v_fma_f64 v[181:182], v[6:7], v[163:164], -v[165:166]
	ds_load_b128 v[6:9], v1 offset:1056
	s_waitcnt vmcnt(8) lgkmcnt(1)
	v_mul_f64 v[175:176], v[2:3], v[12:13]
	v_mul_f64 v[12:13], v[4:5], v[12:13]
	scratch_load_b128 v[163:166], off, off offset:544
	v_add_f64 v[171:172], v[171:172], v[183:184]
	v_add_f64 v[173:174], v[173:174], v[177:178]
	s_waitcnt vmcnt(8) lgkmcnt(0)
	v_mul_f64 v[177:178], v[6:7], v[16:17]
	v_mul_f64 v[16:17], v[8:9], v[16:17]
	v_fma_f64 v[175:176], v[4:5], v[10:11], v[175:176]
	v_fma_f64 v[183:184], v[2:3], v[10:11], -v[12:13]
	scratch_load_b128 v[10:13], off, off offset:560
	ds_load_b128 v[2:5], v1 offset:1072
	v_add_f64 v[171:172], v[171:172], v[181:182]
	v_add_f64 v[173:174], v[173:174], v[179:180]
	v_fma_f64 v[177:178], v[8:9], v[14:15], v[177:178]
	v_fma_f64 v[181:182], v[6:7], v[14:15], -v[16:17]
	ds_load_b128 v[6:9], v1 offset:1088
	s_waitcnt vmcnt(8) lgkmcnt(1)
	v_mul_f64 v[179:180], v[2:3], v[20:21]
	v_mul_f64 v[20:21], v[4:5], v[20:21]
	scratch_load_b128 v[14:17], off, off offset:576
	v_add_f64 v[171:172], v[171:172], v[183:184]
	v_add_f64 v[173:174], v[173:174], v[175:176]
	s_waitcnt vmcnt(8) lgkmcnt(0)
	v_mul_f64 v[175:176], v[6:7], v[24:25]
	v_mul_f64 v[24:25], v[8:9], v[24:25]
	v_fma_f64 v[179:180], v[4:5], v[18:19], v[179:180]
	v_fma_f64 v[183:184], v[2:3], v[18:19], -v[20:21]
	scratch_load_b128 v[18:21], off, off offset:592
	ds_load_b128 v[2:5], v1 offset:1104
	;; [unrolled: 18-line block ×3, first 2 shown]
	v_add_f64 v[171:172], v[171:172], v[181:182]
	v_add_f64 v[173:174], v[173:174], v[175:176]
	v_fma_f64 v[179:180], v[8:9], v[30:31], v[179:180]
	v_fma_f64 v[30:31], v[6:7], v[30:31], -v[32:33]
	ds_load_b128 v[6:9], v1 offset:1152
	s_waitcnt vmcnt(8) lgkmcnt(1)
	v_mul_f64 v[175:176], v[2:3], v[36:37]
	v_mul_f64 v[36:37], v[4:5], v[36:37]
	v_add_f64 v[32:33], v[171:172], v[183:184]
	v_add_f64 v[171:172], v[173:174], v[177:178]
	s_waitcnt vmcnt(7) lgkmcnt(0)
	v_mul_f64 v[173:174], v[6:7], v[169:170]
	v_mul_f64 v[169:170], v[8:9], v[169:170]
	v_fma_f64 v[175:176], v[4:5], v[34:35], v[175:176]
	v_fma_f64 v[34:35], v[2:3], v[34:35], -v[36:37]
	ds_load_b128 v[2:5], v1 offset:1168
	v_add_f64 v[30:31], v[32:33], v[30:31]
	v_add_f64 v[32:33], v[171:172], v[179:180]
	v_fma_f64 v[171:172], v[8:9], v[167:168], v[173:174]
	v_fma_f64 v[167:168], v[6:7], v[167:168], -v[169:170]
	ds_load_b128 v[6:9], v1 offset:1184
	s_waitcnt vmcnt(5) lgkmcnt(0)
	v_mul_f64 v[173:174], v[6:7], v[165:166]
	v_mul_f64 v[165:166], v[8:9], v[165:166]
	v_add_f64 v[34:35], v[30:31], v[34:35]
	v_add_f64 v[169:170], v[32:33], v[175:176]
	scratch_load_b128 v[30:33], off, off offset:32
	v_mul_f64 v[36:37], v[2:3], v[40:41]
	v_mul_f64 v[40:41], v[4:5], v[40:41]
	v_add_f64 v[34:35], v[34:35], v[167:168]
	s_delay_alu instid0(VALU_DEP_3) | instskip(NEXT) | instid1(VALU_DEP_3)
	v_fma_f64 v[36:37], v[4:5], v[38:39], v[36:37]
	v_fma_f64 v[38:39], v[2:3], v[38:39], -v[40:41]
	v_add_f64 v[40:41], v[169:170], v[171:172]
	ds_load_b128 v[2:5], v1 offset:1200
	v_fma_f64 v[169:170], v[8:9], v[163:164], v[173:174]
	v_fma_f64 v[163:164], v[6:7], v[163:164], -v[165:166]
	ds_load_b128 v[6:9], v1 offset:1216
	s_waitcnt vmcnt(5) lgkmcnt(1)
	v_mul_f64 v[167:168], v[2:3], v[12:13]
	v_mul_f64 v[12:13], v[4:5], v[12:13]
	v_add_f64 v[34:35], v[34:35], v[38:39]
	v_add_f64 v[36:37], v[40:41], v[36:37]
	s_waitcnt vmcnt(4) lgkmcnt(0)
	v_mul_f64 v[38:39], v[6:7], v[16:17]
	v_mul_f64 v[16:17], v[8:9], v[16:17]
	v_fma_f64 v[40:41], v[4:5], v[10:11], v[167:168]
	v_fma_f64 v[10:11], v[2:3], v[10:11], -v[12:13]
	ds_load_b128 v[2:5], v1 offset:1232
	v_add_f64 v[12:13], v[34:35], v[163:164]
	v_add_f64 v[34:35], v[36:37], v[169:170]
	v_fma_f64 v[38:39], v[8:9], v[14:15], v[38:39]
	v_fma_f64 v[14:15], v[6:7], v[14:15], -v[16:17]
	ds_load_b128 v[6:9], v1 offset:1248
	s_waitcnt vmcnt(3) lgkmcnt(1)
	v_mul_f64 v[36:37], v[2:3], v[20:21]
	v_mul_f64 v[20:21], v[4:5], v[20:21]
	s_waitcnt vmcnt(2) lgkmcnt(0)
	v_mul_f64 v[16:17], v[6:7], v[24:25]
	v_mul_f64 v[24:25], v[8:9], v[24:25]
	v_add_f64 v[10:11], v[12:13], v[10:11]
	v_add_f64 v[12:13], v[34:35], v[40:41]
	v_fma_f64 v[34:35], v[4:5], v[18:19], v[36:37]
	v_fma_f64 v[18:19], v[2:3], v[18:19], -v[20:21]
	ds_load_b128 v[2:5], v1 offset:1264
	v_fma_f64 v[8:9], v[8:9], v[22:23], v[16:17]
	v_fma_f64 v[6:7], v[6:7], v[22:23], -v[24:25]
	s_waitcnt vmcnt(1) lgkmcnt(0)
	v_mul_f64 v[20:21], v[4:5], v[28:29]
	v_add_f64 v[10:11], v[10:11], v[14:15]
	v_add_f64 v[12:13], v[12:13], v[38:39]
	v_mul_f64 v[14:15], v[2:3], v[28:29]
	s_delay_alu instid0(VALU_DEP_4) | instskip(NEXT) | instid1(VALU_DEP_4)
	v_fma_f64 v[2:3], v[2:3], v[26:27], -v[20:21]
	v_add_f64 v[10:11], v[10:11], v[18:19]
	s_delay_alu instid0(VALU_DEP_4) | instskip(NEXT) | instid1(VALU_DEP_4)
	v_add_f64 v[12:13], v[12:13], v[34:35]
	v_fma_f64 v[4:5], v[4:5], v[26:27], v[14:15]
	s_delay_alu instid0(VALU_DEP_3) | instskip(NEXT) | instid1(VALU_DEP_3)
	v_add_f64 v[6:7], v[10:11], v[6:7]
	v_add_f64 v[8:9], v[12:13], v[8:9]
	s_delay_alu instid0(VALU_DEP_2) | instskip(NEXT) | instid1(VALU_DEP_2)
	v_add_f64 v[2:3], v[6:7], v[2:3]
	v_add_f64 v[4:5], v[8:9], v[4:5]
	s_waitcnt vmcnt(0)
	s_delay_alu instid0(VALU_DEP_2) | instskip(NEXT) | instid1(VALU_DEP_2)
	v_add_f64 v[2:3], v[30:31], -v[2:3]
	v_add_f64 v[4:5], v[32:33], -v[4:5]
	scratch_store_b128 off, v[2:5], off offset:32
	v_cmpx_lt_u32_e32 1, v122
	s_cbranch_execz .LBB39_251
; %bb.250:
	scratch_load_b128 v[5:8], v143, off
	v_mov_b32_e32 v2, v1
	v_mov_b32_e32 v3, v1
	;; [unrolled: 1-line block ×3, first 2 shown]
	scratch_store_b128 off, v[1:4], off offset:16
	s_waitcnt vmcnt(0)
	ds_store_b128 v162, v[5:8]
.LBB39_251:
	s_or_b32 exec_lo, exec_lo, s2
	s_waitcnt lgkmcnt(0)
	s_waitcnt_vscnt null, 0x0
	s_barrier
	buffer_gl0_inv
	s_clause 0x7
	scratch_load_b128 v[2:5], off, off offset:32
	scratch_load_b128 v[6:9], off, off offset:48
	;; [unrolled: 1-line block ×8, first 2 shown]
	ds_load_b128 v[38:41], v1 offset:672
	ds_load_b128 v[163:166], v1 offset:688
	s_clause 0x1
	scratch_load_b128 v[34:37], off, off offset:160
	scratch_load_b128 v[167:170], off, off offset:176
	s_mov_b32 s2, exec_lo
	s_waitcnt vmcnt(9) lgkmcnt(1)
	v_mul_f64 v[171:172], v[40:41], v[4:5]
	v_mul_f64 v[4:5], v[38:39], v[4:5]
	s_waitcnt vmcnt(8) lgkmcnt(0)
	v_mul_f64 v[173:174], v[163:164], v[8:9]
	v_mul_f64 v[8:9], v[165:166], v[8:9]
	s_delay_alu instid0(VALU_DEP_4) | instskip(NEXT) | instid1(VALU_DEP_4)
	v_fma_f64 v[171:172], v[38:39], v[2:3], -v[171:172]
	v_fma_f64 v[175:176], v[40:41], v[2:3], v[4:5]
	ds_load_b128 v[2:5], v1 offset:704
	scratch_load_b128 v[38:41], off, off offset:192
	v_fma_f64 v[173:174], v[165:166], v[6:7], v[173:174]
	v_fma_f64 v[179:180], v[163:164], v[6:7], -v[8:9]
	scratch_load_b128 v[163:166], off, off offset:208
	ds_load_b128 v[6:9], v1 offset:720
	s_waitcnt vmcnt(9) lgkmcnt(1)
	v_mul_f64 v[177:178], v[2:3], v[12:13]
	v_mul_f64 v[12:13], v[4:5], v[12:13]
	s_waitcnt vmcnt(8) lgkmcnt(0)
	v_mul_f64 v[181:182], v[6:7], v[16:17]
	v_mul_f64 v[16:17], v[8:9], v[16:17]
	v_add_f64 v[171:172], v[171:172], 0
	v_add_f64 v[175:176], v[175:176], 0
	v_fma_f64 v[177:178], v[4:5], v[10:11], v[177:178]
	v_fma_f64 v[183:184], v[2:3], v[10:11], -v[12:13]
	ds_load_b128 v[2:5], v1 offset:736
	scratch_load_b128 v[10:13], off, off offset:224
	v_add_f64 v[171:172], v[171:172], v[179:180]
	v_add_f64 v[173:174], v[175:176], v[173:174]
	v_fma_f64 v[179:180], v[8:9], v[14:15], v[181:182]
	v_fma_f64 v[181:182], v[6:7], v[14:15], -v[16:17]
	scratch_load_b128 v[14:17], off, off offset:240
	ds_load_b128 v[6:9], v1 offset:752
	s_waitcnt vmcnt(9) lgkmcnt(1)
	v_mul_f64 v[175:176], v[2:3], v[20:21]
	v_mul_f64 v[20:21], v[4:5], v[20:21]
	v_add_f64 v[171:172], v[171:172], v[183:184]
	v_add_f64 v[173:174], v[173:174], v[177:178]
	s_waitcnt vmcnt(8) lgkmcnt(0)
	v_mul_f64 v[177:178], v[6:7], v[24:25]
	v_mul_f64 v[24:25], v[8:9], v[24:25]
	v_fma_f64 v[175:176], v[4:5], v[18:19], v[175:176]
	v_fma_f64 v[183:184], v[2:3], v[18:19], -v[20:21]
	ds_load_b128 v[2:5], v1 offset:768
	scratch_load_b128 v[18:21], off, off offset:256
	v_add_f64 v[171:172], v[171:172], v[181:182]
	v_add_f64 v[173:174], v[173:174], v[179:180]
	v_fma_f64 v[177:178], v[8:9], v[22:23], v[177:178]
	v_fma_f64 v[181:182], v[6:7], v[22:23], -v[24:25]
	scratch_load_b128 v[22:25], off, off offset:272
	ds_load_b128 v[6:9], v1 offset:784
	s_waitcnt vmcnt(9) lgkmcnt(1)
	v_mul_f64 v[179:180], v[2:3], v[28:29]
	v_mul_f64 v[28:29], v[4:5], v[28:29]
	v_add_f64 v[171:172], v[171:172], v[183:184]
	v_add_f64 v[173:174], v[173:174], v[175:176]
	s_waitcnt vmcnt(8) lgkmcnt(0)
	v_mul_f64 v[175:176], v[6:7], v[32:33]
	v_mul_f64 v[32:33], v[8:9], v[32:33]
	;; [unrolled: 18-line block ×9, first 2 shown]
	v_fma_f64 v[177:178], v[4:5], v[38:39], v[177:178]
	v_fma_f64 v[183:184], v[2:3], v[38:39], -v[40:41]
	ds_load_b128 v[2:5], v1 offset:1024
	scratch_load_b128 v[38:41], off, off offset:512
	v_add_f64 v[171:172], v[171:172], v[181:182]
	v_add_f64 v[173:174], v[173:174], v[175:176]
	v_fma_f64 v[179:180], v[8:9], v[163:164], v[179:180]
	v_fma_f64 v[181:182], v[6:7], v[163:164], -v[165:166]
	ds_load_b128 v[6:9], v1 offset:1040
	s_waitcnt vmcnt(8) lgkmcnt(1)
	v_mul_f64 v[175:176], v[2:3], v[12:13]
	v_mul_f64 v[12:13], v[4:5], v[12:13]
	scratch_load_b128 v[163:166], off, off offset:528
	v_add_f64 v[171:172], v[171:172], v[183:184]
	v_add_f64 v[173:174], v[173:174], v[177:178]
	s_waitcnt vmcnt(8) lgkmcnt(0)
	v_mul_f64 v[177:178], v[6:7], v[16:17]
	v_mul_f64 v[16:17], v[8:9], v[16:17]
	v_fma_f64 v[175:176], v[4:5], v[10:11], v[175:176]
	v_fma_f64 v[183:184], v[2:3], v[10:11], -v[12:13]
	ds_load_b128 v[2:5], v1 offset:1056
	scratch_load_b128 v[10:13], off, off offset:544
	v_add_f64 v[171:172], v[171:172], v[181:182]
	v_add_f64 v[173:174], v[173:174], v[179:180]
	v_fma_f64 v[177:178], v[8:9], v[14:15], v[177:178]
	v_fma_f64 v[181:182], v[6:7], v[14:15], -v[16:17]
	ds_load_b128 v[6:9], v1 offset:1072
	s_waitcnt vmcnt(8) lgkmcnt(1)
	v_mul_f64 v[179:180], v[2:3], v[20:21]
	v_mul_f64 v[20:21], v[4:5], v[20:21]
	scratch_load_b128 v[14:17], off, off offset:560
	v_add_f64 v[171:172], v[171:172], v[183:184]
	v_add_f64 v[173:174], v[173:174], v[175:176]
	s_waitcnt vmcnt(8) lgkmcnt(0)
	v_mul_f64 v[175:176], v[6:7], v[24:25]
	v_mul_f64 v[24:25], v[8:9], v[24:25]
	v_fma_f64 v[179:180], v[4:5], v[18:19], v[179:180]
	v_fma_f64 v[183:184], v[2:3], v[18:19], -v[20:21]
	scratch_load_b128 v[18:21], off, off offset:576
	ds_load_b128 v[2:5], v1 offset:1088
	v_add_f64 v[171:172], v[171:172], v[181:182]
	v_add_f64 v[173:174], v[173:174], v[177:178]
	v_fma_f64 v[175:176], v[8:9], v[22:23], v[175:176]
	v_fma_f64 v[181:182], v[6:7], v[22:23], -v[24:25]
	ds_load_b128 v[6:9], v1 offset:1104
	s_waitcnt vmcnt(8) lgkmcnt(1)
	v_mul_f64 v[177:178], v[2:3], v[28:29]
	v_mul_f64 v[28:29], v[4:5], v[28:29]
	scratch_load_b128 v[22:25], off, off offset:592
	v_add_f64 v[171:172], v[171:172], v[183:184]
	v_add_f64 v[173:174], v[173:174], v[179:180]
	s_waitcnt vmcnt(8) lgkmcnt(0)
	v_mul_f64 v[179:180], v[6:7], v[32:33]
	v_mul_f64 v[32:33], v[8:9], v[32:33]
	v_fma_f64 v[177:178], v[4:5], v[26:27], v[177:178]
	v_fma_f64 v[183:184], v[2:3], v[26:27], -v[28:29]
	scratch_load_b128 v[26:29], off, off offset:608
	ds_load_b128 v[2:5], v1 offset:1120
	v_add_f64 v[171:172], v[171:172], v[181:182]
	v_add_f64 v[173:174], v[173:174], v[175:176]
	v_fma_f64 v[179:180], v[8:9], v[30:31], v[179:180]
	v_fma_f64 v[181:182], v[6:7], v[30:31], -v[32:33]
	ds_load_b128 v[6:9], v1 offset:1136
	s_waitcnt vmcnt(8) lgkmcnt(1)
	v_mul_f64 v[175:176], v[2:3], v[36:37]
	v_mul_f64 v[36:37], v[4:5], v[36:37]
	scratch_load_b128 v[30:33], off, off offset:624
	v_add_f64 v[171:172], v[171:172], v[183:184]
	v_add_f64 v[173:174], v[173:174], v[177:178]
	s_waitcnt vmcnt(8) lgkmcnt(0)
	v_mul_f64 v[177:178], v[6:7], v[169:170]
	v_mul_f64 v[169:170], v[8:9], v[169:170]
	v_fma_f64 v[175:176], v[4:5], v[34:35], v[175:176]
	v_fma_f64 v[34:35], v[2:3], v[34:35], -v[36:37]
	ds_load_b128 v[2:5], v1 offset:1152
	v_add_f64 v[36:37], v[171:172], v[181:182]
	v_add_f64 v[171:172], v[173:174], v[179:180]
	v_fma_f64 v[177:178], v[8:9], v[167:168], v[177:178]
	v_fma_f64 v[167:168], v[6:7], v[167:168], -v[169:170]
	ds_load_b128 v[6:9], v1 offset:1168
	s_waitcnt vmcnt(7) lgkmcnt(1)
	v_mul_f64 v[173:174], v[2:3], v[40:41]
	v_mul_f64 v[40:41], v[4:5], v[40:41]
	v_add_f64 v[34:35], v[36:37], v[34:35]
	v_add_f64 v[36:37], v[171:172], v[175:176]
	s_delay_alu instid0(VALU_DEP_4) | instskip(NEXT) | instid1(VALU_DEP_4)
	v_fma_f64 v[171:172], v[4:5], v[38:39], v[173:174]
	v_fma_f64 v[38:39], v[2:3], v[38:39], -v[40:41]
	ds_load_b128 v[2:5], v1 offset:1184
	v_add_f64 v[40:41], v[34:35], v[167:168]
	v_add_f64 v[167:168], v[36:37], v[177:178]
	scratch_load_b128 v[34:37], off, off offset:16
	s_waitcnt vmcnt(7) lgkmcnt(1)
	v_mul_f64 v[169:170], v[6:7], v[165:166]
	v_mul_f64 v[165:166], v[8:9], v[165:166]
	v_add_f64 v[38:39], v[40:41], v[38:39]
	v_add_f64 v[40:41], v[167:168], v[171:172]
	s_delay_alu instid0(VALU_DEP_4) | instskip(NEXT) | instid1(VALU_DEP_4)
	v_fma_f64 v[169:170], v[8:9], v[163:164], v[169:170]
	v_fma_f64 v[163:164], v[6:7], v[163:164], -v[165:166]
	ds_load_b128 v[6:9], v1 offset:1200
	s_waitcnt vmcnt(6) lgkmcnt(1)
	v_mul_f64 v[173:174], v[2:3], v[12:13]
	v_mul_f64 v[12:13], v[4:5], v[12:13]
	s_waitcnt vmcnt(5) lgkmcnt(0)
	v_mul_f64 v[165:166], v[6:7], v[16:17]
	v_mul_f64 v[16:17], v[8:9], v[16:17]
	s_delay_alu instid0(VALU_DEP_4) | instskip(NEXT) | instid1(VALU_DEP_4)
	v_fma_f64 v[167:168], v[4:5], v[10:11], v[173:174]
	v_fma_f64 v[10:11], v[2:3], v[10:11], -v[12:13]
	v_add_f64 v[12:13], v[38:39], v[163:164]
	v_add_f64 v[38:39], v[40:41], v[169:170]
	ds_load_b128 v[2:5], v1 offset:1216
	v_fma_f64 v[163:164], v[8:9], v[14:15], v[165:166]
	v_fma_f64 v[14:15], v[6:7], v[14:15], -v[16:17]
	ds_load_b128 v[6:9], v1 offset:1232
	s_waitcnt vmcnt(4) lgkmcnt(1)
	v_mul_f64 v[40:41], v[2:3], v[20:21]
	v_mul_f64 v[20:21], v[4:5], v[20:21]
	v_add_f64 v[10:11], v[12:13], v[10:11]
	v_add_f64 v[12:13], v[38:39], v[167:168]
	s_waitcnt vmcnt(3) lgkmcnt(0)
	v_mul_f64 v[16:17], v[6:7], v[24:25]
	v_mul_f64 v[24:25], v[8:9], v[24:25]
	v_fma_f64 v[38:39], v[4:5], v[18:19], v[40:41]
	v_fma_f64 v[18:19], v[2:3], v[18:19], -v[20:21]
	ds_load_b128 v[2:5], v1 offset:1248
	v_add_f64 v[10:11], v[10:11], v[14:15]
	v_add_f64 v[12:13], v[12:13], v[163:164]
	v_fma_f64 v[16:17], v[8:9], v[22:23], v[16:17]
	v_fma_f64 v[22:23], v[6:7], v[22:23], -v[24:25]
	ds_load_b128 v[6:9], v1 offset:1264
	s_waitcnt vmcnt(2) lgkmcnt(1)
	v_mul_f64 v[14:15], v[2:3], v[28:29]
	v_mul_f64 v[20:21], v[4:5], v[28:29]
	s_waitcnt vmcnt(1) lgkmcnt(0)
	v_mul_f64 v[24:25], v[8:9], v[32:33]
	v_add_f64 v[10:11], v[10:11], v[18:19]
	v_add_f64 v[12:13], v[12:13], v[38:39]
	v_mul_f64 v[18:19], v[6:7], v[32:33]
	v_fma_f64 v[4:5], v[4:5], v[26:27], v[14:15]
	v_fma_f64 v[1:2], v[2:3], v[26:27], -v[20:21]
	v_fma_f64 v[6:7], v[6:7], v[30:31], -v[24:25]
	v_add_f64 v[10:11], v[10:11], v[22:23]
	v_add_f64 v[12:13], v[12:13], v[16:17]
	v_fma_f64 v[8:9], v[8:9], v[30:31], v[18:19]
	s_delay_alu instid0(VALU_DEP_3) | instskip(NEXT) | instid1(VALU_DEP_3)
	v_add_f64 v[1:2], v[10:11], v[1:2]
	v_add_f64 v[3:4], v[12:13], v[4:5]
	s_delay_alu instid0(VALU_DEP_2) | instskip(NEXT) | instid1(VALU_DEP_2)
	v_add_f64 v[1:2], v[1:2], v[6:7]
	v_add_f64 v[3:4], v[3:4], v[8:9]
	s_waitcnt vmcnt(0)
	s_delay_alu instid0(VALU_DEP_2) | instskip(NEXT) | instid1(VALU_DEP_2)
	v_add_f64 v[1:2], v[34:35], -v[1:2]
	v_add_f64 v[3:4], v[36:37], -v[3:4]
	scratch_store_b128 off, v[1:4], off offset:16
	v_cmpx_ne_u32_e32 0, v122
	s_cbranch_execz .LBB39_253
; %bb.252:
	scratch_load_b128 v[1:4], off, off
	v_mov_b32_e32 v5, 0
	s_delay_alu instid0(VALU_DEP_1)
	v_mov_b32_e32 v6, v5
	v_mov_b32_e32 v7, v5
	;; [unrolled: 1-line block ×3, first 2 shown]
	scratch_store_b128 off, v[5:8], off
	s_waitcnt vmcnt(0)
	ds_store_b128 v162, v[1:4]
.LBB39_253:
	s_or_b32 exec_lo, exec_lo, s2
	s_waitcnt lgkmcnt(0)
	s_waitcnt_vscnt null, 0x0
	s_barrier
	buffer_gl0_inv
	s_clause 0x7
	scratch_load_b128 v[1:4], off, off offset:16
	scratch_load_b128 v[5:8], off, off offset:32
	scratch_load_b128 v[9:12], off, off offset:48
	scratch_load_b128 v[13:16], off, off offset:64
	scratch_load_b128 v[17:20], off, off offset:80
	scratch_load_b128 v[21:24], off, off offset:96
	scratch_load_b128 v[25:28], off, off offset:112
	scratch_load_b128 v[29:32], off, off offset:128
	v_mov_b32_e32 v41, 0
	s_and_b32 vcc_lo, exec_lo, s20
	ds_load_b128 v[37:40], v41 offset:656
	s_clause 0x1
	scratch_load_b128 v[33:36], off, off offset:144
	scratch_load_b128 v[162:165], off, off
	ds_load_b128 v[166:169], v41 offset:672
	scratch_load_b128 v[170:173], off, off offset:160
	s_waitcnt vmcnt(10) lgkmcnt(1)
	v_mul_f64 v[174:175], v[39:40], v[3:4]
	v_mul_f64 v[3:4], v[37:38], v[3:4]
	s_delay_alu instid0(VALU_DEP_2) | instskip(NEXT) | instid1(VALU_DEP_2)
	v_fma_f64 v[180:181], v[37:38], v[1:2], -v[174:175]
	v_fma_f64 v[182:183], v[39:40], v[1:2], v[3:4]
	scratch_load_b128 v[37:40], off, off offset:176
	ds_load_b128 v[1:4], v41 offset:688
	s_waitcnt vmcnt(10) lgkmcnt(1)
	v_mul_f64 v[178:179], v[166:167], v[7:8]
	v_mul_f64 v[7:8], v[168:169], v[7:8]
	ds_load_b128 v[174:177], v41 offset:704
	s_waitcnt vmcnt(9) lgkmcnt(1)
	v_mul_f64 v[184:185], v[1:2], v[11:12]
	v_mul_f64 v[11:12], v[3:4], v[11:12]
	v_fma_f64 v[168:169], v[168:169], v[5:6], v[178:179]
	v_fma_f64 v[166:167], v[166:167], v[5:6], -v[7:8]
	v_add_f64 v[178:179], v[180:181], 0
	v_add_f64 v[180:181], v[182:183], 0
	scratch_load_b128 v[5:8], off, off offset:192
	v_fma_f64 v[184:185], v[3:4], v[9:10], v[184:185]
	v_fma_f64 v[186:187], v[1:2], v[9:10], -v[11:12]
	scratch_load_b128 v[9:12], off, off offset:208
	ds_load_b128 v[1:4], v41 offset:720
	s_waitcnt vmcnt(10) lgkmcnt(1)
	v_mul_f64 v[182:183], v[174:175], v[15:16]
	v_mul_f64 v[15:16], v[176:177], v[15:16]
	v_add_f64 v[178:179], v[178:179], v[166:167]
	v_add_f64 v[180:181], v[180:181], v[168:169]
	s_waitcnt vmcnt(9) lgkmcnt(0)
	v_mul_f64 v[188:189], v[1:2], v[19:20]
	v_mul_f64 v[19:20], v[3:4], v[19:20]
	ds_load_b128 v[166:169], v41 offset:736
	v_fma_f64 v[176:177], v[176:177], v[13:14], v[182:183]
	v_fma_f64 v[174:175], v[174:175], v[13:14], -v[15:16]
	scratch_load_b128 v[13:16], off, off offset:224
	v_add_f64 v[178:179], v[178:179], v[186:187]
	v_add_f64 v[180:181], v[180:181], v[184:185]
	v_fma_f64 v[184:185], v[3:4], v[17:18], v[188:189]
	v_fma_f64 v[186:187], v[1:2], v[17:18], -v[19:20]
	scratch_load_b128 v[17:20], off, off offset:240
	ds_load_b128 v[1:4], v41 offset:752
	s_waitcnt vmcnt(10) lgkmcnt(1)
	v_mul_f64 v[182:183], v[166:167], v[23:24]
	v_mul_f64 v[23:24], v[168:169], v[23:24]
	s_waitcnt vmcnt(9) lgkmcnt(0)
	v_mul_f64 v[188:189], v[1:2], v[27:28]
	v_mul_f64 v[27:28], v[3:4], v[27:28]
	v_add_f64 v[178:179], v[178:179], v[174:175]
	v_add_f64 v[180:181], v[180:181], v[176:177]
	ds_load_b128 v[174:177], v41 offset:768
	v_fma_f64 v[168:169], v[168:169], v[21:22], v[182:183]
	v_fma_f64 v[166:167], v[166:167], v[21:22], -v[23:24]
	scratch_load_b128 v[21:24], off, off offset:256
	v_add_f64 v[178:179], v[178:179], v[186:187]
	v_add_f64 v[180:181], v[180:181], v[184:185]
	v_fma_f64 v[184:185], v[3:4], v[25:26], v[188:189]
	v_fma_f64 v[186:187], v[1:2], v[25:26], -v[27:28]
	scratch_load_b128 v[25:28], off, off offset:272
	ds_load_b128 v[1:4], v41 offset:784
	s_waitcnt vmcnt(10) lgkmcnt(1)
	v_mul_f64 v[182:183], v[174:175], v[31:32]
	v_mul_f64 v[31:32], v[176:177], v[31:32]
	s_waitcnt vmcnt(9) lgkmcnt(0)
	v_mul_f64 v[188:189], v[1:2], v[35:36]
	v_mul_f64 v[35:36], v[3:4], v[35:36]
	v_add_f64 v[178:179], v[178:179], v[166:167]
	v_add_f64 v[180:181], v[180:181], v[168:169]
	ds_load_b128 v[166:169], v41 offset:800
	v_fma_f64 v[176:177], v[176:177], v[29:30], v[182:183]
	v_fma_f64 v[174:175], v[174:175], v[29:30], -v[31:32]
	scratch_load_b128 v[29:32], off, off offset:288
	v_add_f64 v[178:179], v[178:179], v[186:187]
	v_add_f64 v[180:181], v[180:181], v[184:185]
	v_fma_f64 v[186:187], v[3:4], v[33:34], v[188:189]
	v_fma_f64 v[188:189], v[1:2], v[33:34], -v[35:36]
	scratch_load_b128 v[33:36], off, off offset:304
	ds_load_b128 v[1:4], v41 offset:816
	s_waitcnt vmcnt(9) lgkmcnt(1)
	v_mul_f64 v[182:183], v[166:167], v[172:173]
	v_mul_f64 v[184:185], v[168:169], v[172:173]
	v_add_f64 v[178:179], v[178:179], v[174:175]
	v_add_f64 v[176:177], v[180:181], v[176:177]
	ds_load_b128 v[172:175], v41 offset:832
	v_fma_f64 v[182:183], v[168:169], v[170:171], v[182:183]
	v_fma_f64 v[170:171], v[166:167], v[170:171], -v[184:185]
	scratch_load_b128 v[166:169], off, off offset:320
	s_waitcnt vmcnt(9) lgkmcnt(1)
	v_mul_f64 v[180:181], v[1:2], v[39:40]
	v_mul_f64 v[39:40], v[3:4], v[39:40]
	v_add_f64 v[178:179], v[178:179], v[188:189]
	v_add_f64 v[176:177], v[176:177], v[186:187]
	s_delay_alu instid0(VALU_DEP_4) | instskip(NEXT) | instid1(VALU_DEP_4)
	v_fma_f64 v[180:181], v[3:4], v[37:38], v[180:181]
	v_fma_f64 v[186:187], v[1:2], v[37:38], -v[39:40]
	scratch_load_b128 v[37:40], off, off offset:336
	ds_load_b128 v[1:4], v41 offset:848
	s_waitcnt vmcnt(9) lgkmcnt(1)
	v_mul_f64 v[184:185], v[172:173], v[7:8]
	v_mul_f64 v[7:8], v[174:175], v[7:8]
	s_waitcnt vmcnt(8) lgkmcnt(0)
	v_mul_f64 v[188:189], v[1:2], v[11:12]
	v_mul_f64 v[11:12], v[3:4], v[11:12]
	v_add_f64 v[170:171], v[178:179], v[170:171]
	v_add_f64 v[182:183], v[176:177], v[182:183]
	ds_load_b128 v[176:179], v41 offset:864
	v_fma_f64 v[174:175], v[174:175], v[5:6], v[184:185]
	v_fma_f64 v[172:173], v[172:173], v[5:6], -v[7:8]
	scratch_load_b128 v[5:8], off, off offset:352
	v_fma_f64 v[184:185], v[3:4], v[9:10], v[188:189]
	v_add_f64 v[170:171], v[170:171], v[186:187]
	v_add_f64 v[180:181], v[182:183], v[180:181]
	v_fma_f64 v[186:187], v[1:2], v[9:10], -v[11:12]
	scratch_load_b128 v[9:12], off, off offset:368
	ds_load_b128 v[1:4], v41 offset:880
	s_waitcnt vmcnt(9) lgkmcnt(1)
	v_mul_f64 v[182:183], v[176:177], v[15:16]
	v_mul_f64 v[15:16], v[178:179], v[15:16]
	v_add_f64 v[188:189], v[170:171], v[172:173]
	v_add_f64 v[174:175], v[180:181], v[174:175]
	s_waitcnt vmcnt(8) lgkmcnt(0)
	v_mul_f64 v[180:181], v[1:2], v[19:20]
	v_mul_f64 v[19:20], v[3:4], v[19:20]
	ds_load_b128 v[170:173], v41 offset:896
	v_fma_f64 v[178:179], v[178:179], v[13:14], v[182:183]
	v_fma_f64 v[176:177], v[176:177], v[13:14], -v[15:16]
	scratch_load_b128 v[13:16], off, off offset:384
	v_add_f64 v[182:183], v[188:189], v[186:187]
	v_add_f64 v[174:175], v[174:175], v[184:185]
	v_fma_f64 v[180:181], v[3:4], v[17:18], v[180:181]
	v_fma_f64 v[186:187], v[1:2], v[17:18], -v[19:20]
	scratch_load_b128 v[17:20], off, off offset:400
	ds_load_b128 v[1:4], v41 offset:912
	s_waitcnt vmcnt(9) lgkmcnt(1)
	v_mul_f64 v[184:185], v[170:171], v[23:24]
	v_mul_f64 v[23:24], v[172:173], v[23:24]
	s_waitcnt vmcnt(8) lgkmcnt(0)
	v_mul_f64 v[188:189], v[1:2], v[27:28]
	v_mul_f64 v[27:28], v[3:4], v[27:28]
	v_add_f64 v[182:183], v[182:183], v[176:177]
	v_add_f64 v[178:179], v[174:175], v[178:179]
	ds_load_b128 v[174:177], v41 offset:928
	v_fma_f64 v[172:173], v[172:173], v[21:22], v[184:185]
	v_fma_f64 v[170:171], v[170:171], v[21:22], -v[23:24]
	scratch_load_b128 v[21:24], off, off offset:416
	v_fma_f64 v[184:185], v[3:4], v[25:26], v[188:189]
	v_add_f64 v[182:183], v[182:183], v[186:187]
	v_add_f64 v[178:179], v[178:179], v[180:181]
	v_fma_f64 v[186:187], v[1:2], v[25:26], -v[27:28]
	scratch_load_b128 v[25:28], off, off offset:432
	ds_load_b128 v[1:4], v41 offset:944
	s_waitcnt vmcnt(9) lgkmcnt(1)
	v_mul_f64 v[180:181], v[174:175], v[31:32]
	v_mul_f64 v[31:32], v[176:177], v[31:32]
	s_waitcnt vmcnt(8) lgkmcnt(0)
	v_mul_f64 v[188:189], v[1:2], v[35:36]
	v_mul_f64 v[35:36], v[3:4], v[35:36]
	v_add_f64 v[182:183], v[182:183], v[170:171]
	v_add_f64 v[178:179], v[178:179], v[172:173]
	ds_load_b128 v[170:173], v41 offset:960
	v_fma_f64 v[176:177], v[176:177], v[29:30], v[180:181]
	v_fma_f64 v[174:175], v[174:175], v[29:30], -v[31:32]
	scratch_load_b128 v[29:32], off, off offset:448
	v_add_f64 v[180:181], v[182:183], v[186:187]
	v_add_f64 v[178:179], v[178:179], v[184:185]
	v_fma_f64 v[184:185], v[3:4], v[33:34], v[188:189]
	v_fma_f64 v[186:187], v[1:2], v[33:34], -v[35:36]
	scratch_load_b128 v[33:36], off, off offset:464
	ds_load_b128 v[1:4], v41 offset:976
	s_waitcnt vmcnt(9) lgkmcnt(1)
	v_mul_f64 v[182:183], v[170:171], v[168:169]
	v_mul_f64 v[168:169], v[172:173], v[168:169]
	s_waitcnt vmcnt(8) lgkmcnt(0)
	v_mul_f64 v[188:189], v[1:2], v[39:40]
	v_mul_f64 v[39:40], v[3:4], v[39:40]
	v_add_f64 v[180:181], v[180:181], v[174:175]
	v_add_f64 v[178:179], v[178:179], v[176:177]
	ds_load_b128 v[174:177], v41 offset:992
	v_fma_f64 v[172:173], v[172:173], v[166:167], v[182:183]
	v_fma_f64 v[170:171], v[170:171], v[166:167], -v[168:169]
	scratch_load_b128 v[166:169], off, off offset:480
	v_add_f64 v[180:181], v[180:181], v[186:187]
	v_add_f64 v[178:179], v[178:179], v[184:185]
	v_fma_f64 v[184:185], v[3:4], v[37:38], v[188:189]
	v_fma_f64 v[186:187], v[1:2], v[37:38], -v[39:40]
	scratch_load_b128 v[37:40], off, off offset:496
	ds_load_b128 v[1:4], v41 offset:1008
	s_waitcnt vmcnt(9) lgkmcnt(1)
	v_mul_f64 v[182:183], v[174:175], v[7:8]
	v_mul_f64 v[7:8], v[176:177], v[7:8]
	s_waitcnt vmcnt(8) lgkmcnt(0)
	v_mul_f64 v[188:189], v[1:2], v[11:12]
	v_mul_f64 v[11:12], v[3:4], v[11:12]
	v_add_f64 v[180:181], v[180:181], v[170:171]
	v_add_f64 v[178:179], v[178:179], v[172:173]
	ds_load_b128 v[170:173], v41 offset:1024
	v_fma_f64 v[176:177], v[176:177], v[5:6], v[182:183]
	v_fma_f64 v[174:175], v[174:175], v[5:6], -v[7:8]
	scratch_load_b128 v[5:8], off, off offset:512
	v_add_f64 v[180:181], v[180:181], v[186:187]
	v_add_f64 v[178:179], v[178:179], v[184:185]
	v_fma_f64 v[184:185], v[3:4], v[9:10], v[188:189]
	v_fma_f64 v[186:187], v[1:2], v[9:10], -v[11:12]
	scratch_load_b128 v[9:12], off, off offset:528
	ds_load_b128 v[1:4], v41 offset:1040
	s_waitcnt vmcnt(9) lgkmcnt(1)
	v_mul_f64 v[182:183], v[170:171], v[15:16]
	v_mul_f64 v[15:16], v[172:173], v[15:16]
	s_waitcnt vmcnt(8) lgkmcnt(0)
	v_mul_f64 v[188:189], v[1:2], v[19:20]
	v_mul_f64 v[19:20], v[3:4], v[19:20]
	v_add_f64 v[180:181], v[180:181], v[174:175]
	v_add_f64 v[178:179], v[178:179], v[176:177]
	ds_load_b128 v[174:177], v41 offset:1056
	v_fma_f64 v[172:173], v[172:173], v[13:14], v[182:183]
	v_fma_f64 v[170:171], v[170:171], v[13:14], -v[15:16]
	scratch_load_b128 v[13:16], off, off offset:544
	v_add_f64 v[180:181], v[180:181], v[186:187]
	v_add_f64 v[178:179], v[178:179], v[184:185]
	v_fma_f64 v[184:185], v[3:4], v[17:18], v[188:189]
	v_fma_f64 v[186:187], v[1:2], v[17:18], -v[19:20]
	scratch_load_b128 v[17:20], off, off offset:560
	ds_load_b128 v[1:4], v41 offset:1072
	s_waitcnt vmcnt(9) lgkmcnt(1)
	v_mul_f64 v[182:183], v[174:175], v[23:24]
	v_mul_f64 v[23:24], v[176:177], v[23:24]
	s_waitcnt vmcnt(8) lgkmcnt(0)
	v_mul_f64 v[188:189], v[1:2], v[27:28]
	v_mul_f64 v[27:28], v[3:4], v[27:28]
	v_add_f64 v[180:181], v[180:181], v[170:171]
	v_add_f64 v[178:179], v[178:179], v[172:173]
	ds_load_b128 v[170:173], v41 offset:1088
	v_fma_f64 v[176:177], v[176:177], v[21:22], v[182:183]
	v_fma_f64 v[174:175], v[174:175], v[21:22], -v[23:24]
	scratch_load_b128 v[21:24], off, off offset:576
	v_add_f64 v[180:181], v[180:181], v[186:187]
	v_add_f64 v[178:179], v[178:179], v[184:185]
	v_fma_f64 v[184:185], v[3:4], v[25:26], v[188:189]
	v_fma_f64 v[186:187], v[1:2], v[25:26], -v[27:28]
	scratch_load_b128 v[25:28], off, off offset:592
	ds_load_b128 v[1:4], v41 offset:1104
	s_waitcnt vmcnt(9) lgkmcnt(1)
	v_mul_f64 v[182:183], v[170:171], v[31:32]
	v_mul_f64 v[31:32], v[172:173], v[31:32]
	s_waitcnt vmcnt(8) lgkmcnt(0)
	v_mul_f64 v[188:189], v[1:2], v[35:36]
	v_mul_f64 v[35:36], v[3:4], v[35:36]
	v_add_f64 v[180:181], v[180:181], v[174:175]
	v_add_f64 v[178:179], v[178:179], v[176:177]
	ds_load_b128 v[174:177], v41 offset:1120
	v_fma_f64 v[172:173], v[172:173], v[29:30], v[182:183]
	v_fma_f64 v[170:171], v[170:171], v[29:30], -v[31:32]
	scratch_load_b128 v[29:32], off, off offset:608
	v_add_f64 v[180:181], v[180:181], v[186:187]
	v_add_f64 v[178:179], v[178:179], v[184:185]
	v_fma_f64 v[186:187], v[3:4], v[33:34], v[188:189]
	v_fma_f64 v[188:189], v[1:2], v[33:34], -v[35:36]
	scratch_load_b128 v[33:36], off, off offset:624
	ds_load_b128 v[1:4], v41 offset:1136
	s_waitcnt vmcnt(9) lgkmcnt(1)
	v_mul_f64 v[182:183], v[174:175], v[168:169]
	v_mul_f64 v[184:185], v[176:177], v[168:169]
	v_add_f64 v[180:181], v[180:181], v[170:171]
	v_add_f64 v[172:173], v[178:179], v[172:173]
	s_waitcnt vmcnt(8) lgkmcnt(0)
	v_mul_f64 v[178:179], v[1:2], v[39:40]
	v_mul_f64 v[39:40], v[3:4], v[39:40]
	ds_load_b128 v[168:171], v41 offset:1152
	v_fma_f64 v[176:177], v[176:177], v[166:167], v[182:183]
	v_fma_f64 v[166:167], v[174:175], v[166:167], -v[184:185]
	v_add_f64 v[174:175], v[180:181], v[188:189]
	v_add_f64 v[172:173], v[172:173], v[186:187]
	s_waitcnt vmcnt(7) lgkmcnt(0)
	v_mul_f64 v[180:181], v[168:169], v[7:8]
	v_mul_f64 v[7:8], v[170:171], v[7:8]
	v_fma_f64 v[178:179], v[3:4], v[37:38], v[178:179]
	v_fma_f64 v[182:183], v[1:2], v[37:38], -v[39:40]
	ds_load_b128 v[1:4], v41 offset:1168
	ds_load_b128 v[37:40], v41 offset:1184
	v_add_f64 v[166:167], v[174:175], v[166:167]
	v_add_f64 v[172:173], v[172:173], v[176:177]
	s_waitcnt vmcnt(6) lgkmcnt(1)
	v_mul_f64 v[174:175], v[1:2], v[11:12]
	v_mul_f64 v[11:12], v[3:4], v[11:12]
	v_fma_f64 v[170:171], v[170:171], v[5:6], v[180:181]
	v_fma_f64 v[5:6], v[168:169], v[5:6], -v[7:8]
	s_waitcnt vmcnt(5) lgkmcnt(0)
	v_mul_f64 v[168:169], v[37:38], v[15:16]
	v_mul_f64 v[15:16], v[39:40], v[15:16]
	v_add_f64 v[7:8], v[166:167], v[182:183]
	v_add_f64 v[166:167], v[172:173], v[178:179]
	v_fma_f64 v[172:173], v[3:4], v[9:10], v[174:175]
	v_fma_f64 v[9:10], v[1:2], v[9:10], -v[11:12]
	v_fma_f64 v[39:40], v[39:40], v[13:14], v[168:169]
	v_fma_f64 v[13:14], v[37:38], v[13:14], -v[15:16]
	v_add_f64 v[11:12], v[7:8], v[5:6]
	v_add_f64 v[166:167], v[166:167], v[170:171]
	ds_load_b128 v[1:4], v41 offset:1200
	ds_load_b128 v[5:8], v41 offset:1216
	s_waitcnt vmcnt(4) lgkmcnt(1)
	v_mul_f64 v[170:171], v[1:2], v[19:20]
	v_mul_f64 v[19:20], v[3:4], v[19:20]
	s_waitcnt vmcnt(3) lgkmcnt(0)
	v_mul_f64 v[15:16], v[5:6], v[23:24]
	v_mul_f64 v[23:24], v[7:8], v[23:24]
	v_add_f64 v[9:10], v[11:12], v[9:10]
	v_add_f64 v[11:12], v[166:167], v[172:173]
	v_fma_f64 v[37:38], v[3:4], v[17:18], v[170:171]
	v_fma_f64 v[17:18], v[1:2], v[17:18], -v[19:20]
	v_fma_f64 v[7:8], v[7:8], v[21:22], v[15:16]
	v_fma_f64 v[5:6], v[5:6], v[21:22], -v[23:24]
	v_add_f64 v[13:14], v[9:10], v[13:14]
	v_add_f64 v[19:20], v[11:12], v[39:40]
	ds_load_b128 v[1:4], v41 offset:1232
	ds_load_b128 v[9:12], v41 offset:1248
	s_waitcnt vmcnt(2) lgkmcnt(1)
	v_mul_f64 v[39:40], v[1:2], v[27:28]
	v_mul_f64 v[27:28], v[3:4], v[27:28]
	v_add_f64 v[13:14], v[13:14], v[17:18]
	v_add_f64 v[15:16], v[19:20], v[37:38]
	s_waitcnt vmcnt(1) lgkmcnt(0)
	v_mul_f64 v[17:18], v[9:10], v[31:32]
	v_mul_f64 v[19:20], v[11:12], v[31:32]
	v_fma_f64 v[21:22], v[3:4], v[25:26], v[39:40]
	v_fma_f64 v[23:24], v[1:2], v[25:26], -v[27:28]
	ds_load_b128 v[1:4], v41 offset:1264
	v_add_f64 v[5:6], v[13:14], v[5:6]
	v_add_f64 v[7:8], v[15:16], v[7:8]
	v_fma_f64 v[11:12], v[11:12], v[29:30], v[17:18]
	v_fma_f64 v[9:10], v[9:10], v[29:30], -v[19:20]
	s_waitcnt vmcnt(0) lgkmcnt(0)
	v_mul_f64 v[13:14], v[1:2], v[35:36]
	v_mul_f64 v[15:16], v[3:4], v[35:36]
	v_add_f64 v[5:6], v[5:6], v[23:24]
	v_add_f64 v[7:8], v[7:8], v[21:22]
	s_delay_alu instid0(VALU_DEP_4) | instskip(NEXT) | instid1(VALU_DEP_4)
	v_fma_f64 v[3:4], v[3:4], v[33:34], v[13:14]
	v_fma_f64 v[1:2], v[1:2], v[33:34], -v[15:16]
	s_delay_alu instid0(VALU_DEP_4) | instskip(NEXT) | instid1(VALU_DEP_4)
	v_add_f64 v[5:6], v[5:6], v[9:10]
	v_add_f64 v[7:8], v[7:8], v[11:12]
	s_delay_alu instid0(VALU_DEP_2) | instskip(NEXT) | instid1(VALU_DEP_2)
	v_add_f64 v[1:2], v[5:6], v[1:2]
	v_add_f64 v[3:4], v[7:8], v[3:4]
	s_delay_alu instid0(VALU_DEP_2) | instskip(NEXT) | instid1(VALU_DEP_2)
	v_add_f64 v[1:2], v[162:163], -v[1:2]
	v_add_f64 v[3:4], v[164:165], -v[3:4]
	scratch_store_b128 off, v[1:4], off
	s_cbranch_vccz .LBB39_333
; %bb.254:
	v_dual_mov_b32 v1, s16 :: v_dual_mov_b32 v2, s17
	s_load_b64 s[0:1], s[0:1], 0x4
	flat_load_b32 v1, v[1:2] offset:152
	v_bfe_u32 v2, v0, 10, 10
	v_bfe_u32 v0, v0, 20, 10
	s_waitcnt lgkmcnt(0)
	s_lshr_b32 s0, s0, 16
	s_delay_alu instid0(VALU_DEP_2) | instskip(SKIP_1) | instid1(SALU_CYCLE_1)
	v_mul_u32_u24_e32 v2, s1, v2
	s_mul_i32 s0, s0, s1
	v_mul_u32_u24_e32 v3, s0, v122
	s_mov_b32 s0, exec_lo
	s_delay_alu instid0(VALU_DEP_1) | instskip(NEXT) | instid1(VALU_DEP_1)
	v_add3_u32 v0, v3, v2, v0
	v_lshl_add_u32 v0, v0, 4, 0x508
	s_waitcnt vmcnt(0)
	v_cmpx_ne_u32_e32 39, v1
	s_cbranch_execz .LBB39_256
; %bb.255:
	v_lshl_add_u32 v9, v1, 4, 0
	s_clause 0x1
	scratch_load_b128 v[1:4], v129, off
	scratch_load_b128 v[5:8], v9, off offset:-16
	s_waitcnt vmcnt(1)
	ds_store_2addr_b64 v0, v[1:2], v[3:4] offset1:1
	s_waitcnt vmcnt(0)
	s_clause 0x1
	scratch_store_b128 v129, v[5:8], off
	scratch_store_b128 v9, v[1:4], off offset:-16
.LBB39_256:
	s_or_b32 exec_lo, exec_lo, s0
	v_dual_mov_b32 v1, s16 :: v_dual_mov_b32 v2, s17
	s_mov_b32 s0, exec_lo
	flat_load_b32 v1, v[1:2] offset:148
	s_waitcnt vmcnt(0) lgkmcnt(0)
	v_cmpx_ne_u32_e32 38, v1
	s_cbranch_execz .LBB39_258
; %bb.257:
	v_lshl_add_u32 v9, v1, 4, 0
	s_clause 0x1
	scratch_load_b128 v[1:4], v130, off
	scratch_load_b128 v[5:8], v9, off offset:-16
	s_waitcnt vmcnt(1)
	ds_store_2addr_b64 v0, v[1:2], v[3:4] offset1:1
	s_waitcnt vmcnt(0)
	s_clause 0x1
	scratch_store_b128 v130, v[5:8], off
	scratch_store_b128 v9, v[1:4], off offset:-16
.LBB39_258:
	s_or_b32 exec_lo, exec_lo, s0
	v_dual_mov_b32 v1, s16 :: v_dual_mov_b32 v2, s17
	s_mov_b32 s0, exec_lo
	flat_load_b32 v1, v[1:2] offset:144
	s_waitcnt vmcnt(0) lgkmcnt(0)
	;; [unrolled: 19-line block ×37, first 2 shown]
	v_cmpx_ne_u32_e32 2, v1
	s_cbranch_execz .LBB39_330
; %bb.329:
	v_lshl_add_u32 v9, v1, 4, 0
	s_clause 0x1
	scratch_load_b128 v[1:4], v143, off
	scratch_load_b128 v[5:8], v9, off offset:-16
	s_waitcnt vmcnt(1)
	ds_store_2addr_b64 v0, v[1:2], v[3:4] offset1:1
	s_waitcnt vmcnt(0)
	s_clause 0x1
	scratch_store_b128 v143, v[5:8], off
	scratch_store_b128 v9, v[1:4], off offset:-16
.LBB39_330:
	s_or_b32 exec_lo, exec_lo, s0
	v_dual_mov_b32 v1, s16 :: v_dual_mov_b32 v2, s17
	s_mov_b32 s0, exec_lo
	flat_load_b32 v1, v[1:2]
	s_waitcnt vmcnt(0) lgkmcnt(0)
	v_cmpx_ne_u32_e32 1, v1
	s_cbranch_execz .LBB39_332
; %bb.331:
	v_lshl_add_u32 v9, v1, 4, 0
	scratch_load_b128 v[1:4], off, off
	scratch_load_b128 v[5:8], v9, off offset:-16
	s_waitcnt vmcnt(1)
	ds_store_2addr_b64 v0, v[1:2], v[3:4] offset1:1
	s_waitcnt vmcnt(0)
	scratch_store_b128 off, v[5:8], off
	scratch_store_b128 v9, v[1:4], off offset:-16
.LBB39_332:
	s_or_b32 exec_lo, exec_lo, s0
.LBB39_333:
	scratch_load_b128 v[0:3], off, off
	s_clause 0x14
	scratch_load_b128 v[4:7], v143, off
	scratch_load_b128 v[8:11], v140, off
	;; [unrolled: 1-line block ×21, first 2 shown]
	s_waitcnt vmcnt(21)
	global_store_b128 v[44:45], v[0:3], off
	s_clause 0x1
	scratch_load_b128 v[0:3], v141, off
	scratch_load_b128 v[139:142], v144, off
	s_waitcnt vmcnt(22)
	global_store_b128 v[42:43], v[4:7], off
	s_clause 0x1
	scratch_load_b128 v[4:7], v138, off
	scratch_load_b128 v[40:43], v137, off
	s_waitcnt vmcnt(23)
	global_store_b128 v[50:51], v[8:11], off
	s_clause 0x1
	scratch_load_b128 v[8:11], v132, off
	scratch_load_b128 v[193:196], v133, off
	s_waitcnt vmcnt(24)
	global_store_b128 v[46:47], v[12:15], off
	s_clause 0x1
	scratch_load_b128 v[12:15], v127, off
	scratch_load_b128 v[44:47], v126, off
	s_waitcnt vmcnt(25)
	global_store_b128 v[52:53], v[16:19], off
	s_clause 0x1
	scratch_load_b128 v[16:19], v124, off
	scratch_load_b128 v[50:53], v125, off
	s_waitcnt vmcnt(26)
	global_store_b128 v[48:49], v[20:23], off
	s_clause 0x1
	scratch_load_b128 v[20:23], v123, off
	scratch_load_b128 v[122:125], v136, off
	s_waitcnt vmcnt(27)
	global_store_b128 v[54:55], v[24:27], off
	s_clause 0x1
	scratch_load_b128 v[24:27], v135, off
	scratch_load_b128 v[132:135], v134, off
	s_waitcnt vmcnt(28)
	global_store_b128 v[56:57], v[28:31], off
	s_clause 0x1
	scratch_load_b128 v[28:31], v131, off
	scratch_load_b128 v[54:57], v130, off
	s_waitcnt vmcnt(29)
	global_store_b128 v[58:59], v[32:35], off
	s_clause 0x1
	scratch_load_b128 v[32:35], v129, off
	scratch_load_b128 v[126:129], v128, off
	s_waitcnt vmcnt(30)
	global_store_b128 v[60:61], v[36:39], off
	s_waitcnt vmcnt(29)
	global_store_b128 v[62:63], v[157:160], off
	;; [unrolled: 2-line block ×31, first 2 shown]
	s_endpgm
	.section	.rodata,"a",@progbits
	.p2align	6, 0x0
	.amdhsa_kernel _ZN9rocsolver6v33100L18getri_kernel_smallILi40E19rocblas_complex_numIdEPS3_EEvT1_iilPiilS6_bb
		.amdhsa_group_segment_fixed_size 2312
		.amdhsa_private_segment_fixed_size 656
		.amdhsa_kernarg_size 60
		.amdhsa_user_sgpr_count 15
		.amdhsa_user_sgpr_dispatch_ptr 1
		.amdhsa_user_sgpr_queue_ptr 0
		.amdhsa_user_sgpr_kernarg_segment_ptr 1
		.amdhsa_user_sgpr_dispatch_id 0
		.amdhsa_user_sgpr_private_segment_size 0
		.amdhsa_wavefront_size32 1
		.amdhsa_uses_dynamic_stack 0
		.amdhsa_enable_private_segment 1
		.amdhsa_system_sgpr_workgroup_id_x 1
		.amdhsa_system_sgpr_workgroup_id_y 0
		.amdhsa_system_sgpr_workgroup_id_z 0
		.amdhsa_system_sgpr_workgroup_info 0
		.amdhsa_system_vgpr_workitem_id 2
		.amdhsa_next_free_vgpr 214
		.amdhsa_next_free_sgpr 46
		.amdhsa_reserve_vcc 1
		.amdhsa_float_round_mode_32 0
		.amdhsa_float_round_mode_16_64 0
		.amdhsa_float_denorm_mode_32 3
		.amdhsa_float_denorm_mode_16_64 3
		.amdhsa_dx10_clamp 1
		.amdhsa_ieee_mode 1
		.amdhsa_fp16_overflow 0
		.amdhsa_workgroup_processor_mode 1
		.amdhsa_memory_ordered 1
		.amdhsa_forward_progress 0
		.amdhsa_shared_vgpr_count 0
		.amdhsa_exception_fp_ieee_invalid_op 0
		.amdhsa_exception_fp_denorm_src 0
		.amdhsa_exception_fp_ieee_div_zero 0
		.amdhsa_exception_fp_ieee_overflow 0
		.amdhsa_exception_fp_ieee_underflow 0
		.amdhsa_exception_fp_ieee_inexact 0
		.amdhsa_exception_int_div_zero 0
	.end_amdhsa_kernel
	.section	.text._ZN9rocsolver6v33100L18getri_kernel_smallILi40E19rocblas_complex_numIdEPS3_EEvT1_iilPiilS6_bb,"axG",@progbits,_ZN9rocsolver6v33100L18getri_kernel_smallILi40E19rocblas_complex_numIdEPS3_EEvT1_iilPiilS6_bb,comdat
.Lfunc_end39:
	.size	_ZN9rocsolver6v33100L18getri_kernel_smallILi40E19rocblas_complex_numIdEPS3_EEvT1_iilPiilS6_bb, .Lfunc_end39-_ZN9rocsolver6v33100L18getri_kernel_smallILi40E19rocblas_complex_numIdEPS3_EEvT1_iilPiilS6_bb
                                        ; -- End function
	.section	.AMDGPU.csdata,"",@progbits
; Kernel info:
; codeLenInByte = 78072
; NumSgprs: 48
; NumVgprs: 214
; ScratchSize: 656
; MemoryBound: 0
; FloatMode: 240
; IeeeMode: 1
; LDSByteSize: 2312 bytes/workgroup (compile time only)
; SGPRBlocks: 5
; VGPRBlocks: 26
; NumSGPRsForWavesPerEU: 48
; NumVGPRsForWavesPerEU: 214
; Occupancy: 7
; WaveLimiterHint : 1
; COMPUTE_PGM_RSRC2:SCRATCH_EN: 1
; COMPUTE_PGM_RSRC2:USER_SGPR: 15
; COMPUTE_PGM_RSRC2:TRAP_HANDLER: 0
; COMPUTE_PGM_RSRC2:TGID_X_EN: 1
; COMPUTE_PGM_RSRC2:TGID_Y_EN: 0
; COMPUTE_PGM_RSRC2:TGID_Z_EN: 0
; COMPUTE_PGM_RSRC2:TIDIG_COMP_CNT: 2
	.section	.text._ZN9rocsolver6v33100L18getri_kernel_smallILi41E19rocblas_complex_numIdEPS3_EEvT1_iilPiilS6_bb,"axG",@progbits,_ZN9rocsolver6v33100L18getri_kernel_smallILi41E19rocblas_complex_numIdEPS3_EEvT1_iilPiilS6_bb,comdat
	.globl	_ZN9rocsolver6v33100L18getri_kernel_smallILi41E19rocblas_complex_numIdEPS3_EEvT1_iilPiilS6_bb ; -- Begin function _ZN9rocsolver6v33100L18getri_kernel_smallILi41E19rocblas_complex_numIdEPS3_EEvT1_iilPiilS6_bb
	.p2align	8
	.type	_ZN9rocsolver6v33100L18getri_kernel_smallILi41E19rocblas_complex_numIdEPS3_EEvT1_iilPiilS6_bb,@function
_ZN9rocsolver6v33100L18getri_kernel_smallILi41E19rocblas_complex_numIdEPS3_EEvT1_iilPiilS6_bb: ; @_ZN9rocsolver6v33100L18getri_kernel_smallILi41E19rocblas_complex_numIdEPS3_EEvT1_iilPiilS6_bb
; %bb.0:
	v_and_b32_e32 v124, 0x3ff, v0
	s_mov_b32 s4, exec_lo
	s_delay_alu instid0(VALU_DEP_1)
	v_cmpx_gt_u32_e32 41, v124
	s_cbranch_execz .LBB40_178
; %bb.1:
	s_mov_b32 s18, s15
	s_clause 0x2
	s_load_b32 s21, s[2:3], 0x38
	s_load_b128 s[12:15], s[2:3], 0x10
	s_load_b128 s[4:7], s[2:3], 0x28
                                        ; implicit-def: $sgpr16_sgpr17
	s_waitcnt lgkmcnt(0)
	s_bitcmp1_b32 s21, 8
	s_cselect_b32 s20, -1, 0
	s_bfe_u32 s8, s21, 0x10008
	s_ashr_i32 s19, s18, 31
	s_cmp_eq_u32 s8, 0
	s_cbranch_scc1 .LBB40_3
; %bb.2:
	s_load_b32 s8, s[2:3], 0x20
	s_mul_i32 s5, s18, s5
	s_mul_hi_u32 s9, s18, s4
	s_mul_i32 s10, s19, s4
	s_add_i32 s5, s9, s5
	s_mul_i32 s4, s18, s4
	s_add_i32 s5, s5, s10
	s_delay_alu instid0(SALU_CYCLE_1)
	s_lshl_b64 s[4:5], s[4:5], 2
	s_waitcnt lgkmcnt(0)
	s_ashr_i32 s9, s8, 31
	s_add_u32 s10, s14, s4
	s_addc_u32 s11, s15, s5
	s_lshl_b64 s[4:5], s[8:9], 2
	s_delay_alu instid0(SALU_CYCLE_1)
	s_add_u32 s16, s10, s4
	s_addc_u32 s17, s11, s5
.LBB40_3:
	s_load_b128 s[8:11], s[2:3], 0x0
	s_mul_i32 s2, s18, s13
	s_mul_hi_u32 s3, s18, s12
	s_mul_i32 s4, s19, s12
	s_add_i32 s3, s3, s2
	s_mul_i32 s2, s18, s12
	s_add_i32 s3, s3, s4
	v_lshlrev_b32_e32 v13, 4, v124
	s_lshl_b64 s[2:3], s[2:3], 4
	s_movk_i32 s12, 0xd0
	s_movk_i32 s13, 0xe0
	;; [unrolled: 1-line block ×11, first 2 shown]
	s_waitcnt lgkmcnt(0)
	v_add3_u32 v5, s11, s11, v124
	s_ashr_i32 s5, s10, 31
	s_mov_b32 s4, s10
	s_add_u32 s8, s8, s2
	s_addc_u32 s9, s9, s3
	v_add_nc_u32_e32 v7, s11, v5
	s_lshl_b64 s[2:3], s[4:5], 4
	v_ashrrev_i32_e32 v6, 31, v5
	s_add_u32 s2, s8, s2
	s_addc_u32 s3, s9, s3
	v_add_co_u32 v42, s8, s2, v13
	v_add_nc_u32_e32 v9, s11, v7
	s_mov_b32 s4, s11
	s_ashr_i32 s5, s11, 31
	v_add_co_ci_u32_e64 v43, null, s3, 0, s8
	v_ashrrev_i32_e32 v8, 31, v7
	v_lshlrev_b64 v[5:6], 4, v[5:6]
	s_lshl_b64 s[4:5], s[4:5], 4
	v_ashrrev_i32_e32 v10, 31, v9
	v_add_co_u32 v44, vcc_lo, v42, s4
	v_add_nc_u32_e32 v11, s11, v9
	v_add_co_ci_u32_e32 v45, vcc_lo, s5, v43, vcc_lo
	v_lshlrev_b64 v[7:8], 4, v[7:8]
	v_add_co_u32 v46, vcc_lo, s2, v5
	v_add_co_ci_u32_e32 v47, vcc_lo, s3, v6, vcc_lo
	v_lshlrev_b64 v[5:6], 4, v[9:10]
	v_ashrrev_i32_e32 v12, 31, v11
	v_add_nc_u32_e32 v9, s11, v11
	v_add_co_u32 v48, vcc_lo, s2, v7
	v_add_co_ci_u32_e32 v49, vcc_lo, s3, v8, vcc_lo
	s_delay_alu instid0(VALU_DEP_4) | instskip(NEXT) | instid1(VALU_DEP_4)
	v_lshlrev_b64 v[7:8], 4, v[11:12]
	v_ashrrev_i32_e32 v10, 31, v9
	v_add_nc_u32_e32 v11, s11, v9
	v_add_co_u32 v50, vcc_lo, s2, v5
	v_add_co_ci_u32_e32 v51, vcc_lo, s3, v6, vcc_lo
	s_delay_alu instid0(VALU_DEP_4) | instskip(NEXT) | instid1(VALU_DEP_4)
	;; [unrolled: 6-line block ×6, first 2 shown]
	v_lshlrev_b64 v[5:6], 4, v[9:10]
	v_add_nc_u32_e32 v9, s11, v11
	v_ashrrev_i32_e32 v12, 31, v11
	v_add_co_u32 v60, vcc_lo, s2, v7
	v_add_co_ci_u32_e32 v61, vcc_lo, s3, v8, vcc_lo
	s_delay_alu instid0(VALU_DEP_4) | instskip(NEXT) | instid1(VALU_DEP_4)
	v_add_nc_u32_e32 v32, s11, v9
	v_lshlrev_b64 v[30:31], 4, v[11:12]
	v_ashrrev_i32_e32 v10, 31, v9
	v_add_co_u32 v62, vcc_lo, s2, v5
	s_delay_alu instid0(VALU_DEP_4)
	v_ashrrev_i32_e32 v33, 31, v32
	global_load_b128 v[1:4], v13, s[2:3]
	v_add_co_ci_u32_e32 v63, vcc_lo, s3, v6, vcc_lo
	v_lshlrev_b64 v[66:67], 4, v[9:10]
	s_clause 0x1
	global_load_b128 v[5:8], v[44:45], off
	global_load_b128 v[9:12], v[46:47], off
	v_add_co_u32 v64, vcc_lo, s2, v30
	s_clause 0x3
	global_load_b128 v[14:17], v[48:49], off
	global_load_b128 v[18:21], v[50:51], off
	;; [unrolled: 1-line block ×4, first 2 shown]
	v_add_co_ci_u32_e32 v65, vcc_lo, s3, v31, vcc_lo
	v_add_nc_u32_e32 v72, s11, v32
	v_lshlrev_b64 v[68:69], 4, v[32:33]
	s_clause 0x4
	global_load_b128 v[30:33], v[56:57], off
	global_load_b128 v[34:37], v[58:59], off
	;; [unrolled: 1-line block ×5, first 2 shown]
	v_add_co_u32 v66, vcc_lo, s2, v66
	v_ashrrev_i32_e32 v73, 31, v72
	v_add_co_ci_u32_e32 v67, vcc_lo, s3, v67, vcc_lo
	v_add_co_u32 v68, vcc_lo, s2, v68
	s_delay_alu instid0(VALU_DEP_3) | instskip(SKIP_4) | instid1(VALU_DEP_2)
	v_lshlrev_b64 v[70:71], 4, v[72:73]
	v_add_nc_u32_e32 v72, s11, v72
	v_add_co_ci_u32_e32 v69, vcc_lo, s3, v69, vcc_lo
	s_movk_i32 s4, 0x70
	s_movk_i32 s5, 0x80
	v_add_nc_u32_e32 v74, s11, v72
	v_ashrrev_i32_e32 v73, 31, v72
	v_add_co_u32 v70, vcc_lo, s2, v70
	v_add_co_ci_u32_e32 v71, vcc_lo, s3, v71, vcc_lo
	s_delay_alu instid0(VALU_DEP_4)
	v_add_nc_u32_e32 v76, s11, v74
	v_ashrrev_i32_e32 v75, 31, v74
	v_lshlrev_b64 v[72:73], 4, v[72:73]
	s_clause 0x2
	global_load_b128 v[133:136], v[66:67], off
	global_load_b128 v[137:140], v[68:69], off
	;; [unrolled: 1-line block ×3, first 2 shown]
	s_movk_i32 s8, 0x90
	v_add_nc_u32_e32 v78, s11, v76
	v_ashrrev_i32_e32 v77, 31, v76
	v_lshlrev_b64 v[74:75], 4, v[74:75]
	v_add_co_u32 v72, vcc_lo, s2, v72
	s_delay_alu instid0(VALU_DEP_4) | instskip(SKIP_3) | instid1(VALU_DEP_4)
	v_add_nc_u32_e32 v80, s11, v78
	v_ashrrev_i32_e32 v79, 31, v78
	v_lshlrev_b64 v[76:77], 4, v[76:77]
	v_add_co_ci_u32_e32 v73, vcc_lo, s3, v73, vcc_lo
	v_add_nc_u32_e32 v82, s11, v80
	v_ashrrev_i32_e32 v81, 31, v80
	v_add_co_u32 v74, vcc_lo, s2, v74
	v_lshlrev_b64 v[78:79], 4, v[78:79]
	s_delay_alu instid0(VALU_DEP_4) | instskip(SKIP_3) | instid1(VALU_DEP_4)
	v_add_nc_u32_e32 v84, s11, v82
	v_ashrrev_i32_e32 v83, 31, v82
	v_add_co_ci_u32_e32 v75, vcc_lo, s3, v75, vcc_lo
	v_add_co_u32 v76, vcc_lo, s2, v76
	v_add_nc_u32_e32 v86, s11, v84
	v_lshlrev_b64 v[80:81], 4, v[80:81]
	v_ashrrev_i32_e32 v85, 31, v84
	v_add_co_ci_u32_e32 v77, vcc_lo, s3, v77, vcc_lo
	s_delay_alu instid0(VALU_DEP_4) | instskip(SKIP_3) | instid1(VALU_DEP_4)
	v_add_nc_u32_e32 v88, s11, v86
	v_add_co_u32 v78, vcc_lo, s2, v78
	v_lshlrev_b64 v[82:83], 4, v[82:83]
	v_ashrrev_i32_e32 v87, 31, v86
	v_add_nc_u32_e32 v90, s11, v88
	v_add_co_ci_u32_e32 v79, vcc_lo, s3, v79, vcc_lo
	v_add_co_u32 v80, vcc_lo, s2, v80
	s_delay_alu instid0(VALU_DEP_3) | instskip(SKIP_3) | instid1(VALU_DEP_4)
	v_add_nc_u32_e32 v92, s11, v90
	v_lshlrev_b64 v[84:85], 4, v[84:85]
	v_ashrrev_i32_e32 v89, 31, v88
	v_add_co_ci_u32_e32 v81, vcc_lo, s3, v81, vcc_lo
	v_add_nc_u32_e32 v94, s11, v92
	v_add_co_u32 v82, vcc_lo, s2, v82
	v_lshlrev_b64 v[86:87], 4, v[86:87]
	v_ashrrev_i32_e32 v91, 31, v90
	s_delay_alu instid0(VALU_DEP_4) | instskip(SKIP_2) | instid1(VALU_DEP_3)
	v_add_nc_u32_e32 v96, s11, v94
	v_add_co_ci_u32_e32 v83, vcc_lo, s3, v83, vcc_lo
	v_add_co_u32 v84, vcc_lo, s2, v84
	v_add_nc_u32_e32 v98, s11, v96
	v_lshlrev_b64 v[88:89], 4, v[88:89]
	v_ashrrev_i32_e32 v93, 31, v92
	v_add_co_ci_u32_e32 v85, vcc_lo, s3, v85, vcc_lo
	s_delay_alu instid0(VALU_DEP_4) | instskip(SKIP_3) | instid1(VALU_DEP_4)
	v_add_nc_u32_e32 v100, s11, v98
	v_add_co_u32 v86, vcc_lo, s2, v86
	v_lshlrev_b64 v[90:91], 4, v[90:91]
	v_ashrrev_i32_e32 v95, 31, v94
	v_add_nc_u32_e32 v102, s11, v100
	v_add_co_ci_u32_e32 v87, vcc_lo, s3, v87, vcc_lo
	v_add_co_u32 v88, vcc_lo, s2, v88
	s_delay_alu instid0(VALU_DEP_3) | instskip(SKIP_3) | instid1(VALU_DEP_4)
	v_add_nc_u32_e32 v104, s11, v102
	v_lshlrev_b64 v[92:93], 4, v[92:93]
	v_ashrrev_i32_e32 v97, 31, v96
	v_add_co_ci_u32_e32 v89, vcc_lo, s3, v89, vcc_lo
	v_add_nc_u32_e32 v106, s11, v104
	v_add_co_u32 v90, vcc_lo, s2, v90
	v_lshlrev_b64 v[94:95], 4, v[94:95]
	v_ashrrev_i32_e32 v99, 31, v98
	s_delay_alu instid0(VALU_DEP_4) | instskip(SKIP_2) | instid1(VALU_DEP_3)
	v_add_nc_u32_e32 v108, s11, v106
	v_add_co_ci_u32_e32 v91, vcc_lo, s3, v91, vcc_lo
	v_add_co_u32 v92, vcc_lo, s2, v92
	v_add_nc_u32_e32 v110, s11, v108
	v_lshlrev_b64 v[96:97], 4, v[96:97]
	v_ashrrev_i32_e32 v101, 31, v100
	v_add_co_ci_u32_e32 v93, vcc_lo, s3, v93, vcc_lo
	v_add_co_u32 v94, vcc_lo, s2, v94
	v_lshlrev_b64 v[98:99], 4, v[98:99]
	v_ashrrev_i32_e32 v103, 31, v102
	v_add_nc_u32_e32 v112, s11, v110
	v_add_co_ci_u32_e32 v95, vcc_lo, s3, v95, vcc_lo
	v_add_co_u32 v96, vcc_lo, s2, v96
	v_lshlrev_b64 v[100:101], 4, v[100:101]
	v_ashrrev_i32_e32 v105, 31, v104
	v_add_co_ci_u32_e32 v97, vcc_lo, s3, v97, vcc_lo
	v_add_co_u32 v98, vcc_lo, s2, v98
	v_lshlrev_b64 v[102:103], 4, v[102:103]
	v_add_nc_u32_e32 v114, s11, v112
	v_ashrrev_i32_e32 v107, 31, v106
	v_add_co_ci_u32_e32 v99, vcc_lo, s3, v99, vcc_lo
	v_add_co_u32 v100, vcc_lo, s2, v100
	v_lshlrev_b64 v[104:105], 4, v[104:105]
	v_ashrrev_i32_e32 v109, 31, v108
	v_add_co_ci_u32_e32 v101, vcc_lo, s3, v101, vcc_lo
	v_add_nc_u32_e32 v116, s11, v114
	v_add_co_u32 v102, vcc_lo, s2, v102
	v_lshlrev_b64 v[106:107], 4, v[106:107]
	v_ashrrev_i32_e32 v111, 31, v110
	v_add_co_ci_u32_e32 v103, vcc_lo, s3, v103, vcc_lo
	v_add_co_u32 v104, vcc_lo, s2, v104
	v_lshlrev_b64 v[108:109], 4, v[108:109]
	v_ashrrev_i32_e32 v113, 31, v112
	v_add_nc_u32_e32 v118, s11, v116
	v_add_co_ci_u32_e32 v105, vcc_lo, s3, v105, vcc_lo
	v_add_co_u32 v106, vcc_lo, s2, v106
	v_lshlrev_b64 v[110:111], 4, v[110:111]
	v_ashrrev_i32_e32 v115, 31, v114
	v_add_co_ci_u32_e32 v107, vcc_lo, s3, v107, vcc_lo
	v_add_co_u32 v108, vcc_lo, s2, v108
	v_lshlrev_b64 v[112:113], 4, v[112:113]
	v_add_nc_u32_e32 v120, s11, v118
	v_ashrrev_i32_e32 v117, 31, v116
	v_add_co_ci_u32_e32 v109, vcc_lo, s3, v109, vcc_lo
	v_add_co_u32 v110, vcc_lo, s2, v110
	v_lshlrev_b64 v[114:115], 4, v[114:115]
	v_ashrrev_i32_e32 v119, 31, v118
	v_add_co_ci_u32_e32 v111, vcc_lo, s3, v111, vcc_lo
	v_add_nc_u32_e32 v122, s11, v120
	v_add_co_u32 v112, vcc_lo, s2, v112
	v_lshlrev_b64 v[116:117], 4, v[116:117]
	v_ashrrev_i32_e32 v121, 31, v120
	v_add_co_ci_u32_e32 v113, vcc_lo, s3, v113, vcc_lo
	v_add_co_u32 v114, vcc_lo, s2, v114
	v_lshlrev_b64 v[118:119], 4, v[118:119]
	v_ashrrev_i32_e32 v123, 31, v122
	v_add_co_ci_u32_e32 v115, vcc_lo, s3, v115, vcc_lo
	v_add_co_u32 v116, vcc_lo, s2, v116
	v_lshlrev_b64 v[120:121], 4, v[120:121]
	v_add_co_ci_u32_e32 v117, vcc_lo, s3, v117, vcc_lo
	v_add_co_u32 v118, vcc_lo, s2, v118
	v_lshlrev_b64 v[122:123], 4, v[122:123]
	s_clause 0x9
	global_load_b128 v[145:148], v[72:73], off
	global_load_b128 v[149:152], v[74:75], off
	;; [unrolled: 1-line block ×10, first 2 shown]
	v_add_co_ci_u32_e32 v119, vcc_lo, s3, v119, vcc_lo
	v_add_co_u32 v120, vcc_lo, s2, v120
	v_add_co_ci_u32_e32 v121, vcc_lo, s3, v121, vcc_lo
	v_add_co_u32 v122, vcc_lo, s2, v122
	v_add_co_ci_u32_e32 v123, vcc_lo, s3, v123, vcc_lo
	s_movk_i32 s2, 0x50
	s_movk_i32 s3, 0x60
	;; [unrolled: 1-line block ×22, first 2 shown]
	v_add_nc_u32_e64 v164, s2, 0
	v_add_nc_u32_e64 v163, s3, 0
	;; [unrolled: 1-line block ×8, first 2 shown]
	s_bitcmp0_b32 s21, 0
	s_mov_b32 s3, -1
	s_waitcnt vmcnt(24)
	scratch_store_b128 off, v[1:4], off
	s_clause 0x1
	global_load_b128 v[1:4], v[92:93], off
	global_load_b128 v[193:196], v[94:95], off
	s_waitcnt vmcnt(25)
	scratch_store_b128 off, v[5:8], off offset:16
	s_waitcnt vmcnt(24)
	scratch_store_b128 off, v[9:12], off offset:32
	s_clause 0x1
	global_load_b128 v[5:8], v[96:97], off
	global_load_b128 v[9:12], v[98:99], off
	s_waitcnt vmcnt(25)
	scratch_store_b128 off, v[14:17], off offset:48
	s_waitcnt vmcnt(24)
	scratch_store_b128 off, v[18:21], off offset:64
	;; [unrolled: 7-line block ×5, first 2 shown]
	s_clause 0x1
	global_load_b128 v[38:41], v[112:113], off
	global_load_b128 v[197:200], v[114:115], off
	s_waitcnt vmcnt(25)
	scratch_store_b128 off, v[129:132], off offset:176
	s_clause 0x3
	global_load_b128 v[126:129], v[116:117], off
	global_load_b128 v[201:204], v[118:119], off
	;; [unrolled: 1-line block ×4, first 2 shown]
	v_add_nc_u32_e64 v132, s34, 0
	v_add_nc_u32_e64 v125, s35, 0
	;; [unrolled: 1-line block ×4, first 2 shown]
	s_waitcnt vmcnt(28)
	scratch_store_b128 off, v[133:136], off offset:192
	s_waitcnt vmcnt(27)
	scratch_store_b128 off, v[137:140], off offset:208
	;; [unrolled: 2-line block ×3, first 2 shown]
	v_add_nc_u32_e64 v144, 0, 48
	v_add_nc_u32_e64 v143, 0, 64
	;; [unrolled: 1-line block ×12, first 2 shown]
	s_waitcnt vmcnt(25)
	scratch_store_b128 off, v[145:148], off offset:240
	s_waitcnt vmcnt(24)
	scratch_store_b128 off, v[149:152], off offset:256
	v_add_nc_u32_e64 v146, 0, 16
	v_add_nc_u32_e64 v145, 0, 32
	s_waitcnt vmcnt(23)
	scratch_store_b128 off, v[153:156], off offset:272
	s_waitcnt vmcnt(22)
	scratch_store_b128 off, v[165:168], off offset:288
	v_add_nc_u32_e64 v156, s12, 0
	v_add_nc_u32_e64 v155, s13, 0
	;; [unrolled: 1-line block ×4, first 2 shown]
	s_waitcnt vmcnt(21)
	scratch_store_b128 off, v[169:172], off offset:304
	s_waitcnt vmcnt(20)
	scratch_store_b128 off, v[173:176], off offset:320
	v_add_nc_u32_e64 v152, s22, 0
	v_add_nc_u32_e64 v151, s23, 0
	;; [unrolled: 1-line block ×6, first 2 shown]
	s_waitcnt vmcnt(19)
	scratch_store_b128 off, v[177:180], off offset:336
	s_waitcnt vmcnt(18)
	scratch_store_b128 off, v[181:184], off offset:352
	;; [unrolled: 2-line block ×17, first 2 shown]
	v_add_nc_u32_e64 v129, s43, 0
	v_add_nc_u32_e64 v128, s44, 0
	;; [unrolled: 1-line block ×4, first 2 shown]
	s_waitcnt vmcnt(2)
	scratch_store_b128 off, v[201:204], off offset:608
	s_waitcnt vmcnt(1)
	scratch_store_b128 off, v[205:208], off offset:624
	;; [unrolled: 2-line block ×3, first 2 shown]
	s_cbranch_scc1 .LBB40_176
; %bb.4:
	v_cmp_eq_u32_e64 s2, 0, v124
	s_delay_alu instid0(VALU_DEP_1)
	s_and_saveexec_b32 s3, s2
	s_cbranch_execz .LBB40_6
; %bb.5:
	v_mov_b32_e32 v1, 0
	ds_store_b32 v1, v1 offset:1312
.LBB40_6:
	s_or_b32 exec_lo, exec_lo, s3
	s_waitcnt lgkmcnt(0)
	s_waitcnt_vscnt null, 0x0
	s_barrier
	buffer_gl0_inv
	scratch_load_b128 v[1:4], v13, off
	s_waitcnt vmcnt(0)
	v_cmp_eq_f64_e32 vcc_lo, 0, v[1:2]
	v_cmp_eq_f64_e64 s3, 0, v[3:4]
	s_delay_alu instid0(VALU_DEP_1) | instskip(NEXT) | instid1(SALU_CYCLE_1)
	s_and_b32 s3, vcc_lo, s3
	s_and_saveexec_b32 s4, s3
	s_cbranch_execz .LBB40_10
; %bb.7:
	v_mov_b32_e32 v1, 0
	s_mov_b32 s5, 0
	ds_load_b32 v2, v1 offset:1312
	s_waitcnt lgkmcnt(0)
	v_readfirstlane_b32 s3, v2
	v_add_nc_u32_e32 v2, 1, v124
	s_delay_alu instid0(VALU_DEP_2) | instskip(NEXT) | instid1(VALU_DEP_1)
	s_cmp_eq_u32 s3, 0
	v_cmp_gt_i32_e32 vcc_lo, s3, v2
	s_cselect_b32 s8, -1, 0
	s_delay_alu instid0(SALU_CYCLE_1) | instskip(NEXT) | instid1(SALU_CYCLE_1)
	s_or_b32 s8, s8, vcc_lo
	s_and_b32 exec_lo, exec_lo, s8
	s_cbranch_execz .LBB40_10
; %bb.8:
	v_mov_b32_e32 v3, s3
.LBB40_9:                               ; =>This Inner Loop Header: Depth=1
	ds_cmpstore_rtn_b32 v3, v1, v2, v3 offset:1312
	s_waitcnt lgkmcnt(0)
	v_cmp_ne_u32_e32 vcc_lo, 0, v3
	v_cmp_le_i32_e64 s3, v3, v2
	s_delay_alu instid0(VALU_DEP_1) | instskip(NEXT) | instid1(SALU_CYCLE_1)
	s_and_b32 s3, vcc_lo, s3
	s_and_b32 s3, exec_lo, s3
	s_delay_alu instid0(SALU_CYCLE_1) | instskip(NEXT) | instid1(SALU_CYCLE_1)
	s_or_b32 s5, s3, s5
	s_and_not1_b32 exec_lo, exec_lo, s5
	s_cbranch_execnz .LBB40_9
.LBB40_10:
	s_or_b32 exec_lo, exec_lo, s4
	v_mov_b32_e32 v1, 0
	s_barrier
	buffer_gl0_inv
	ds_load_b32 v2, v1 offset:1312
	s_and_saveexec_b32 s3, s2
	s_cbranch_execz .LBB40_12
; %bb.11:
	s_lshl_b64 s[4:5], s[18:19], 2
	s_delay_alu instid0(SALU_CYCLE_1)
	s_add_u32 s4, s6, s4
	s_addc_u32 s5, s7, s5
	s_waitcnt lgkmcnt(0)
	global_store_b32 v1, v2, s[4:5]
.LBB40_12:
	s_or_b32 exec_lo, exec_lo, s3
	s_waitcnt lgkmcnt(0)
	v_cmp_ne_u32_e32 vcc_lo, 0, v2
	s_mov_b32 s3, 0
	s_cbranch_vccnz .LBB40_176
; %bb.13:
	v_add_nc_u32_e32 v14, 0, v13
                                        ; implicit-def: $vgpr9_vgpr10
	scratch_load_b128 v[1:4], v14, off
	s_waitcnt vmcnt(0)
	v_mov_b32_e32 v5, v1
	v_cmp_gt_f64_e32 vcc_lo, 0, v[1:2]
	v_xor_b32_e32 v6, 0x80000000, v2
	v_xor_b32_e32 v7, 0x80000000, v4
	s_delay_alu instid0(VALU_DEP_2) | instskip(SKIP_1) | instid1(VALU_DEP_3)
	v_cndmask_b32_e32 v6, v2, v6, vcc_lo
	v_cmp_gt_f64_e32 vcc_lo, 0, v[3:4]
	v_dual_cndmask_b32 v8, v4, v7 :: v_dual_mov_b32 v7, v3
	s_delay_alu instid0(VALU_DEP_1) | instskip(SKIP_1) | instid1(SALU_CYCLE_1)
	v_cmp_ngt_f64_e32 vcc_lo, v[5:6], v[7:8]
                                        ; implicit-def: $vgpr5_vgpr6
	s_and_saveexec_b32 s3, vcc_lo
	s_xor_b32 s3, exec_lo, s3
	s_cbranch_execz .LBB40_15
; %bb.14:
	v_div_scale_f64 v[5:6], null, v[3:4], v[3:4], v[1:2]
	v_div_scale_f64 v[11:12], vcc_lo, v[1:2], v[3:4], v[1:2]
	s_delay_alu instid0(VALU_DEP_2) | instskip(SKIP_2) | instid1(VALU_DEP_1)
	v_rcp_f64_e32 v[7:8], v[5:6]
	s_waitcnt_depctr 0xfff
	v_fma_f64 v[9:10], -v[5:6], v[7:8], 1.0
	v_fma_f64 v[7:8], v[7:8], v[9:10], v[7:8]
	s_delay_alu instid0(VALU_DEP_1) | instskip(NEXT) | instid1(VALU_DEP_1)
	v_fma_f64 v[9:10], -v[5:6], v[7:8], 1.0
	v_fma_f64 v[7:8], v[7:8], v[9:10], v[7:8]
	s_delay_alu instid0(VALU_DEP_1) | instskip(NEXT) | instid1(VALU_DEP_1)
	v_mul_f64 v[9:10], v[11:12], v[7:8]
	v_fma_f64 v[5:6], -v[5:6], v[9:10], v[11:12]
	s_delay_alu instid0(VALU_DEP_1) | instskip(NEXT) | instid1(VALU_DEP_1)
	v_div_fmas_f64 v[5:6], v[5:6], v[7:8], v[9:10]
	v_div_fixup_f64 v[5:6], v[5:6], v[3:4], v[1:2]
	s_delay_alu instid0(VALU_DEP_1) | instskip(NEXT) | instid1(VALU_DEP_1)
	v_fma_f64 v[1:2], v[1:2], v[5:6], v[3:4]
	v_div_scale_f64 v[3:4], null, v[1:2], v[1:2], 1.0
	v_div_scale_f64 v[11:12], vcc_lo, 1.0, v[1:2], 1.0
	s_delay_alu instid0(VALU_DEP_2) | instskip(SKIP_2) | instid1(VALU_DEP_1)
	v_rcp_f64_e32 v[7:8], v[3:4]
	s_waitcnt_depctr 0xfff
	v_fma_f64 v[9:10], -v[3:4], v[7:8], 1.0
	v_fma_f64 v[7:8], v[7:8], v[9:10], v[7:8]
	s_delay_alu instid0(VALU_DEP_1) | instskip(NEXT) | instid1(VALU_DEP_1)
	v_fma_f64 v[9:10], -v[3:4], v[7:8], 1.0
	v_fma_f64 v[7:8], v[7:8], v[9:10], v[7:8]
	s_delay_alu instid0(VALU_DEP_1) | instskip(NEXT) | instid1(VALU_DEP_1)
	v_mul_f64 v[9:10], v[11:12], v[7:8]
	v_fma_f64 v[3:4], -v[3:4], v[9:10], v[11:12]
	s_delay_alu instid0(VALU_DEP_1) | instskip(NEXT) | instid1(VALU_DEP_1)
	v_div_fmas_f64 v[3:4], v[3:4], v[7:8], v[9:10]
	v_div_fixup_f64 v[7:8], v[3:4], v[1:2], 1.0
                                        ; implicit-def: $vgpr1_vgpr2
	s_delay_alu instid0(VALU_DEP_1) | instskip(SKIP_1) | instid1(VALU_DEP_2)
	v_mul_f64 v[5:6], v[5:6], v[7:8]
	v_xor_b32_e32 v8, 0x80000000, v8
	v_xor_b32_e32 v10, 0x80000000, v6
	s_delay_alu instid0(VALU_DEP_3)
	v_mov_b32_e32 v9, v5
.LBB40_15:
	s_and_not1_saveexec_b32 s3, s3
	s_cbranch_execz .LBB40_17
; %bb.16:
	v_div_scale_f64 v[5:6], null, v[1:2], v[1:2], v[3:4]
	v_div_scale_f64 v[11:12], vcc_lo, v[3:4], v[1:2], v[3:4]
	s_delay_alu instid0(VALU_DEP_2) | instskip(SKIP_2) | instid1(VALU_DEP_1)
	v_rcp_f64_e32 v[7:8], v[5:6]
	s_waitcnt_depctr 0xfff
	v_fma_f64 v[9:10], -v[5:6], v[7:8], 1.0
	v_fma_f64 v[7:8], v[7:8], v[9:10], v[7:8]
	s_delay_alu instid0(VALU_DEP_1) | instskip(NEXT) | instid1(VALU_DEP_1)
	v_fma_f64 v[9:10], -v[5:6], v[7:8], 1.0
	v_fma_f64 v[7:8], v[7:8], v[9:10], v[7:8]
	s_delay_alu instid0(VALU_DEP_1) | instskip(NEXT) | instid1(VALU_DEP_1)
	v_mul_f64 v[9:10], v[11:12], v[7:8]
	v_fma_f64 v[5:6], -v[5:6], v[9:10], v[11:12]
	s_delay_alu instid0(VALU_DEP_1) | instskip(NEXT) | instid1(VALU_DEP_1)
	v_div_fmas_f64 v[5:6], v[5:6], v[7:8], v[9:10]
	v_div_fixup_f64 v[7:8], v[5:6], v[1:2], v[3:4]
	s_delay_alu instid0(VALU_DEP_1) | instskip(NEXT) | instid1(VALU_DEP_1)
	v_fma_f64 v[1:2], v[3:4], v[7:8], v[1:2]
	v_div_scale_f64 v[3:4], null, v[1:2], v[1:2], 1.0
	s_delay_alu instid0(VALU_DEP_1) | instskip(SKIP_2) | instid1(VALU_DEP_1)
	v_rcp_f64_e32 v[5:6], v[3:4]
	s_waitcnt_depctr 0xfff
	v_fma_f64 v[9:10], -v[3:4], v[5:6], 1.0
	v_fma_f64 v[5:6], v[5:6], v[9:10], v[5:6]
	s_delay_alu instid0(VALU_DEP_1) | instskip(NEXT) | instid1(VALU_DEP_1)
	v_fma_f64 v[9:10], -v[3:4], v[5:6], 1.0
	v_fma_f64 v[5:6], v[5:6], v[9:10], v[5:6]
	v_div_scale_f64 v[9:10], vcc_lo, 1.0, v[1:2], 1.0
	s_delay_alu instid0(VALU_DEP_1) | instskip(NEXT) | instid1(VALU_DEP_1)
	v_mul_f64 v[11:12], v[9:10], v[5:6]
	v_fma_f64 v[3:4], -v[3:4], v[11:12], v[9:10]
	s_delay_alu instid0(VALU_DEP_1) | instskip(NEXT) | instid1(VALU_DEP_1)
	v_div_fmas_f64 v[3:4], v[3:4], v[5:6], v[11:12]
	v_div_fixup_f64 v[5:6], v[3:4], v[1:2], 1.0
	s_delay_alu instid0(VALU_DEP_1)
	v_mul_f64 v[7:8], v[7:8], -v[5:6]
	v_xor_b32_e32 v10, 0x80000000, v6
	v_mov_b32_e32 v9, v5
.LBB40_17:
	s_or_b32 exec_lo, exec_lo, s3
	scratch_store_b128 v14, v[5:8], off
	scratch_load_b128 v[1:4], v146, off
	v_xor_b32_e32 v12, 0x80000000, v8
	v_mov_b32_e32 v11, v7
	v_add_nc_u32_e32 v5, 0x290, v13
	ds_store_b128 v13, v[9:12]
	s_waitcnt vmcnt(0)
	ds_store_b128 v13, v[1:4] offset:656
	s_waitcnt lgkmcnt(0)
	s_waitcnt_vscnt null, 0x0
	s_barrier
	buffer_gl0_inv
	s_and_saveexec_b32 s3, s2
	s_cbranch_execz .LBB40_19
; %bb.18:
	scratch_load_b128 v[1:4], v14, off
	ds_load_b128 v[6:9], v5
	v_mov_b32_e32 v10, 0
	ds_load_b128 v[15:18], v10 offset:16
	s_waitcnt vmcnt(0) lgkmcnt(1)
	v_mul_f64 v[10:11], v[6:7], v[3:4]
	v_mul_f64 v[3:4], v[8:9], v[3:4]
	s_delay_alu instid0(VALU_DEP_2) | instskip(NEXT) | instid1(VALU_DEP_2)
	v_fma_f64 v[8:9], v[8:9], v[1:2], v[10:11]
	v_fma_f64 v[1:2], v[6:7], v[1:2], -v[3:4]
	s_delay_alu instid0(VALU_DEP_2) | instskip(NEXT) | instid1(VALU_DEP_2)
	v_add_f64 v[3:4], v[8:9], 0
	v_add_f64 v[1:2], v[1:2], 0
	s_waitcnt lgkmcnt(0)
	s_delay_alu instid0(VALU_DEP_2) | instskip(NEXT) | instid1(VALU_DEP_2)
	v_mul_f64 v[6:7], v[3:4], v[17:18]
	v_mul_f64 v[8:9], v[1:2], v[17:18]
	s_delay_alu instid0(VALU_DEP_2) | instskip(NEXT) | instid1(VALU_DEP_2)
	v_fma_f64 v[1:2], v[1:2], v[15:16], -v[6:7]
	v_fma_f64 v[3:4], v[3:4], v[15:16], v[8:9]
	scratch_store_b128 off, v[1:4], off offset:16
.LBB40_19:
	s_or_b32 exec_lo, exec_lo, s3
	s_waitcnt_vscnt null, 0x0
	s_barrier
	buffer_gl0_inv
	scratch_load_b128 v[1:4], v145, off
	s_mov_b32 s3, exec_lo
	s_waitcnt vmcnt(0)
	ds_store_b128 v5, v[1:4]
	s_waitcnt lgkmcnt(0)
	s_barrier
	buffer_gl0_inv
	v_cmpx_gt_u32_e32 2, v124
	s_cbranch_execz .LBB40_23
; %bb.20:
	scratch_load_b128 v[1:4], v14, off
	ds_load_b128 v[6:9], v5
	s_waitcnt vmcnt(0) lgkmcnt(0)
	v_mul_f64 v[10:11], v[8:9], v[3:4]
	v_mul_f64 v[3:4], v[6:7], v[3:4]
	s_delay_alu instid0(VALU_DEP_2) | instskip(NEXT) | instid1(VALU_DEP_2)
	v_fma_f64 v[6:7], v[6:7], v[1:2], -v[10:11]
	v_fma_f64 v[3:4], v[8:9], v[1:2], v[3:4]
	s_delay_alu instid0(VALU_DEP_2) | instskip(NEXT) | instid1(VALU_DEP_2)
	v_add_f64 v[1:2], v[6:7], 0
	v_add_f64 v[3:4], v[3:4], 0
	s_and_saveexec_b32 s4, s2
	s_cbranch_execz .LBB40_22
; %bb.21:
	scratch_load_b128 v[6:9], off, off offset:16
	v_mov_b32_e32 v10, 0
	ds_load_b128 v[15:18], v10 offset:672
	s_waitcnt vmcnt(0) lgkmcnt(0)
	v_mul_f64 v[10:11], v[15:16], v[8:9]
	v_mul_f64 v[8:9], v[17:18], v[8:9]
	s_delay_alu instid0(VALU_DEP_2) | instskip(NEXT) | instid1(VALU_DEP_2)
	v_fma_f64 v[10:11], v[17:18], v[6:7], v[10:11]
	v_fma_f64 v[6:7], v[15:16], v[6:7], -v[8:9]
	s_delay_alu instid0(VALU_DEP_2) | instskip(NEXT) | instid1(VALU_DEP_2)
	v_add_f64 v[3:4], v[3:4], v[10:11]
	v_add_f64 v[1:2], v[1:2], v[6:7]
.LBB40_22:
	s_or_b32 exec_lo, exec_lo, s4
	v_mov_b32_e32 v6, 0
	ds_load_b128 v[6:9], v6 offset:32
	s_waitcnt lgkmcnt(0)
	v_mul_f64 v[10:11], v[3:4], v[8:9]
	v_mul_f64 v[8:9], v[1:2], v[8:9]
	s_delay_alu instid0(VALU_DEP_2) | instskip(NEXT) | instid1(VALU_DEP_2)
	v_fma_f64 v[1:2], v[1:2], v[6:7], -v[10:11]
	v_fma_f64 v[3:4], v[3:4], v[6:7], v[8:9]
	scratch_store_b128 off, v[1:4], off offset:32
.LBB40_23:
	s_or_b32 exec_lo, exec_lo, s3
	s_waitcnt_vscnt null, 0x0
	s_barrier
	buffer_gl0_inv
	scratch_load_b128 v[1:4], v144, off
	v_add_nc_u32_e32 v6, -1, v124
	s_mov_b32 s2, exec_lo
	s_waitcnt vmcnt(0)
	ds_store_b128 v5, v[1:4]
	s_waitcnt lgkmcnt(0)
	s_barrier
	buffer_gl0_inv
	v_cmpx_gt_u32_e32 3, v124
	s_cbranch_execz .LBB40_27
; %bb.24:
	v_dual_mov_b32 v1, 0 :: v_dual_add_nc_u32 v8, 0x290, v13
	v_dual_mov_b32 v2, 0 :: v_dual_add_nc_u32 v7, -1, v124
	v_or_b32_e32 v9, 8, v14
	s_mov_b32 s3, 0
	s_delay_alu instid0(VALU_DEP_2)
	v_dual_mov_b32 v4, v2 :: v_dual_mov_b32 v3, v1
	.p2align	6
.LBB40_25:                              ; =>This Inner Loop Header: Depth=1
	scratch_load_b128 v[15:18], v9, off offset:-8
	ds_load_b128 v[19:22], v8
	v_add_nc_u32_e32 v7, 1, v7
	v_add_nc_u32_e32 v8, 16, v8
	;; [unrolled: 1-line block ×3, first 2 shown]
	s_delay_alu instid0(VALU_DEP_3) | instskip(SKIP_4) | instid1(VALU_DEP_2)
	v_cmp_lt_u32_e32 vcc_lo, 1, v7
	s_or_b32 s3, vcc_lo, s3
	s_waitcnt vmcnt(0) lgkmcnt(0)
	v_mul_f64 v[10:11], v[21:22], v[17:18]
	v_mul_f64 v[17:18], v[19:20], v[17:18]
	v_fma_f64 v[10:11], v[19:20], v[15:16], -v[10:11]
	s_delay_alu instid0(VALU_DEP_2) | instskip(NEXT) | instid1(VALU_DEP_2)
	v_fma_f64 v[15:16], v[21:22], v[15:16], v[17:18]
	v_add_f64 v[3:4], v[3:4], v[10:11]
	s_delay_alu instid0(VALU_DEP_2)
	v_add_f64 v[1:2], v[1:2], v[15:16]
	s_and_not1_b32 exec_lo, exec_lo, s3
	s_cbranch_execnz .LBB40_25
; %bb.26:
	s_or_b32 exec_lo, exec_lo, s3
	v_mov_b32_e32 v7, 0
	ds_load_b128 v[7:10], v7 offset:48
	s_waitcnt lgkmcnt(0)
	v_mul_f64 v[11:12], v[1:2], v[9:10]
	v_mul_f64 v[15:16], v[3:4], v[9:10]
	s_delay_alu instid0(VALU_DEP_2) | instskip(NEXT) | instid1(VALU_DEP_2)
	v_fma_f64 v[9:10], v[3:4], v[7:8], -v[11:12]
	v_fma_f64 v[11:12], v[1:2], v[7:8], v[15:16]
	scratch_store_b128 off, v[9:12], off offset:48
.LBB40_27:
	s_or_b32 exec_lo, exec_lo, s2
	s_waitcnt_vscnt null, 0x0
	s_barrier
	buffer_gl0_inv
	scratch_load_b128 v[1:4], v143, off
	s_mov_b32 s2, exec_lo
	s_waitcnt vmcnt(0)
	ds_store_b128 v5, v[1:4]
	s_waitcnt lgkmcnt(0)
	s_barrier
	buffer_gl0_inv
	v_cmpx_gt_u32_e32 4, v124
	s_cbranch_execz .LBB40_31
; %bb.28:
	v_dual_mov_b32 v1, 0 :: v_dual_add_nc_u32 v8, 0x290, v13
	v_dual_mov_b32 v2, 0 :: v_dual_add_nc_u32 v7, -1, v124
	v_or_b32_e32 v9, 8, v14
	s_mov_b32 s3, 0
	s_delay_alu instid0(VALU_DEP_2)
	v_dual_mov_b32 v4, v2 :: v_dual_mov_b32 v3, v1
	.p2align	6
.LBB40_29:                              ; =>This Inner Loop Header: Depth=1
	scratch_load_b128 v[15:18], v9, off offset:-8
	ds_load_b128 v[19:22], v8
	v_add_nc_u32_e32 v7, 1, v7
	v_add_nc_u32_e32 v8, 16, v8
	;; [unrolled: 1-line block ×3, first 2 shown]
	s_delay_alu instid0(VALU_DEP_3) | instskip(SKIP_4) | instid1(VALU_DEP_2)
	v_cmp_lt_u32_e32 vcc_lo, 2, v7
	s_or_b32 s3, vcc_lo, s3
	s_waitcnt vmcnt(0) lgkmcnt(0)
	v_mul_f64 v[10:11], v[21:22], v[17:18]
	v_mul_f64 v[17:18], v[19:20], v[17:18]
	v_fma_f64 v[10:11], v[19:20], v[15:16], -v[10:11]
	s_delay_alu instid0(VALU_DEP_2) | instskip(NEXT) | instid1(VALU_DEP_2)
	v_fma_f64 v[15:16], v[21:22], v[15:16], v[17:18]
	v_add_f64 v[3:4], v[3:4], v[10:11]
	s_delay_alu instid0(VALU_DEP_2)
	v_add_f64 v[1:2], v[1:2], v[15:16]
	s_and_not1_b32 exec_lo, exec_lo, s3
	s_cbranch_execnz .LBB40_29
; %bb.30:
	s_or_b32 exec_lo, exec_lo, s3
	v_mov_b32_e32 v7, 0
	ds_load_b128 v[7:10], v7 offset:64
	s_waitcnt lgkmcnt(0)
	v_mul_f64 v[11:12], v[1:2], v[9:10]
	v_mul_f64 v[15:16], v[3:4], v[9:10]
	s_delay_alu instid0(VALU_DEP_2) | instskip(NEXT) | instid1(VALU_DEP_2)
	v_fma_f64 v[9:10], v[3:4], v[7:8], -v[11:12]
	v_fma_f64 v[11:12], v[1:2], v[7:8], v[15:16]
	scratch_store_b128 off, v[9:12], off offset:64
.LBB40_31:
	s_or_b32 exec_lo, exec_lo, s2
	s_waitcnt_vscnt null, 0x0
	s_barrier
	buffer_gl0_inv
	scratch_load_b128 v[1:4], v164, off
	s_mov_b32 s2, exec_lo
	s_waitcnt vmcnt(0)
	ds_store_b128 v5, v[1:4]
	s_waitcnt lgkmcnt(0)
	s_barrier
	buffer_gl0_inv
	v_cmpx_gt_u32_e32 5, v124
	s_cbranch_execz .LBB40_35
; %bb.32:
	v_dual_mov_b32 v1, 0 :: v_dual_add_nc_u32 v8, 0x290, v13
	v_dual_mov_b32 v2, 0 :: v_dual_add_nc_u32 v7, -1, v124
	v_or_b32_e32 v9, 8, v14
	s_mov_b32 s3, 0
	s_delay_alu instid0(VALU_DEP_2)
	v_dual_mov_b32 v4, v2 :: v_dual_mov_b32 v3, v1
	.p2align	6
.LBB40_33:                              ; =>This Inner Loop Header: Depth=1
	scratch_load_b128 v[15:18], v9, off offset:-8
	ds_load_b128 v[19:22], v8
	v_add_nc_u32_e32 v7, 1, v7
	v_add_nc_u32_e32 v8, 16, v8
	;; [unrolled: 1-line block ×3, first 2 shown]
	s_delay_alu instid0(VALU_DEP_3) | instskip(SKIP_4) | instid1(VALU_DEP_2)
	v_cmp_lt_u32_e32 vcc_lo, 3, v7
	s_or_b32 s3, vcc_lo, s3
	s_waitcnt vmcnt(0) lgkmcnt(0)
	v_mul_f64 v[10:11], v[21:22], v[17:18]
	v_mul_f64 v[17:18], v[19:20], v[17:18]
	v_fma_f64 v[10:11], v[19:20], v[15:16], -v[10:11]
	s_delay_alu instid0(VALU_DEP_2) | instskip(NEXT) | instid1(VALU_DEP_2)
	v_fma_f64 v[15:16], v[21:22], v[15:16], v[17:18]
	v_add_f64 v[3:4], v[3:4], v[10:11]
	s_delay_alu instid0(VALU_DEP_2)
	v_add_f64 v[1:2], v[1:2], v[15:16]
	s_and_not1_b32 exec_lo, exec_lo, s3
	s_cbranch_execnz .LBB40_33
; %bb.34:
	s_or_b32 exec_lo, exec_lo, s3
	v_mov_b32_e32 v7, 0
	ds_load_b128 v[7:10], v7 offset:80
	s_waitcnt lgkmcnt(0)
	v_mul_f64 v[11:12], v[1:2], v[9:10]
	v_mul_f64 v[15:16], v[3:4], v[9:10]
	s_delay_alu instid0(VALU_DEP_2) | instskip(NEXT) | instid1(VALU_DEP_2)
	v_fma_f64 v[9:10], v[3:4], v[7:8], -v[11:12]
	v_fma_f64 v[11:12], v[1:2], v[7:8], v[15:16]
	scratch_store_b128 off, v[9:12], off offset:80
.LBB40_35:
	s_or_b32 exec_lo, exec_lo, s2
	s_waitcnt_vscnt null, 0x0
	s_barrier
	buffer_gl0_inv
	scratch_load_b128 v[1:4], v163, off
	s_mov_b32 s2, exec_lo
	s_waitcnt vmcnt(0)
	ds_store_b128 v5, v[1:4]
	s_waitcnt lgkmcnt(0)
	s_barrier
	buffer_gl0_inv
	v_cmpx_gt_u32_e32 6, v124
	s_cbranch_execz .LBB40_39
; %bb.36:
	v_dual_mov_b32 v1, 0 :: v_dual_add_nc_u32 v8, 0x290, v13
	v_dual_mov_b32 v2, 0 :: v_dual_add_nc_u32 v7, -1, v124
	v_or_b32_e32 v9, 8, v14
	s_mov_b32 s3, 0
	s_delay_alu instid0(VALU_DEP_2)
	v_dual_mov_b32 v4, v2 :: v_dual_mov_b32 v3, v1
	.p2align	6
.LBB40_37:                              ; =>This Inner Loop Header: Depth=1
	scratch_load_b128 v[15:18], v9, off offset:-8
	ds_load_b128 v[19:22], v8
	v_add_nc_u32_e32 v7, 1, v7
	v_add_nc_u32_e32 v8, 16, v8
	;; [unrolled: 1-line block ×3, first 2 shown]
	s_delay_alu instid0(VALU_DEP_3) | instskip(SKIP_4) | instid1(VALU_DEP_2)
	v_cmp_lt_u32_e32 vcc_lo, 4, v7
	s_or_b32 s3, vcc_lo, s3
	s_waitcnt vmcnt(0) lgkmcnt(0)
	v_mul_f64 v[10:11], v[21:22], v[17:18]
	v_mul_f64 v[17:18], v[19:20], v[17:18]
	v_fma_f64 v[10:11], v[19:20], v[15:16], -v[10:11]
	s_delay_alu instid0(VALU_DEP_2) | instskip(NEXT) | instid1(VALU_DEP_2)
	v_fma_f64 v[15:16], v[21:22], v[15:16], v[17:18]
	v_add_f64 v[3:4], v[3:4], v[10:11]
	s_delay_alu instid0(VALU_DEP_2)
	v_add_f64 v[1:2], v[1:2], v[15:16]
	s_and_not1_b32 exec_lo, exec_lo, s3
	s_cbranch_execnz .LBB40_37
; %bb.38:
	s_or_b32 exec_lo, exec_lo, s3
	v_mov_b32_e32 v7, 0
	ds_load_b128 v[7:10], v7 offset:96
	s_waitcnt lgkmcnt(0)
	v_mul_f64 v[11:12], v[1:2], v[9:10]
	v_mul_f64 v[15:16], v[3:4], v[9:10]
	s_delay_alu instid0(VALU_DEP_2) | instskip(NEXT) | instid1(VALU_DEP_2)
	v_fma_f64 v[9:10], v[3:4], v[7:8], -v[11:12]
	v_fma_f64 v[11:12], v[1:2], v[7:8], v[15:16]
	scratch_store_b128 off, v[9:12], off offset:96
.LBB40_39:
	s_or_b32 exec_lo, exec_lo, s2
	s_waitcnt_vscnt null, 0x0
	s_barrier
	buffer_gl0_inv
	scratch_load_b128 v[1:4], v162, off
	s_mov_b32 s2, exec_lo
	s_waitcnt vmcnt(0)
	ds_store_b128 v5, v[1:4]
	s_waitcnt lgkmcnt(0)
	s_barrier
	buffer_gl0_inv
	v_cmpx_gt_u32_e32 7, v124
	s_cbranch_execz .LBB40_43
; %bb.40:
	v_dual_mov_b32 v1, 0 :: v_dual_add_nc_u32 v8, 0x290, v13
	v_dual_mov_b32 v2, 0 :: v_dual_add_nc_u32 v7, -1, v124
	v_or_b32_e32 v9, 8, v14
	s_mov_b32 s3, 0
	s_delay_alu instid0(VALU_DEP_2)
	v_dual_mov_b32 v4, v2 :: v_dual_mov_b32 v3, v1
	.p2align	6
.LBB40_41:                              ; =>This Inner Loop Header: Depth=1
	scratch_load_b128 v[15:18], v9, off offset:-8
	ds_load_b128 v[19:22], v8
	v_add_nc_u32_e32 v7, 1, v7
	v_add_nc_u32_e32 v8, 16, v8
	;; [unrolled: 1-line block ×3, first 2 shown]
	s_delay_alu instid0(VALU_DEP_3) | instskip(SKIP_4) | instid1(VALU_DEP_2)
	v_cmp_lt_u32_e32 vcc_lo, 5, v7
	s_or_b32 s3, vcc_lo, s3
	s_waitcnt vmcnt(0) lgkmcnt(0)
	v_mul_f64 v[10:11], v[21:22], v[17:18]
	v_mul_f64 v[17:18], v[19:20], v[17:18]
	v_fma_f64 v[10:11], v[19:20], v[15:16], -v[10:11]
	s_delay_alu instid0(VALU_DEP_2) | instskip(NEXT) | instid1(VALU_DEP_2)
	v_fma_f64 v[15:16], v[21:22], v[15:16], v[17:18]
	v_add_f64 v[3:4], v[3:4], v[10:11]
	s_delay_alu instid0(VALU_DEP_2)
	v_add_f64 v[1:2], v[1:2], v[15:16]
	s_and_not1_b32 exec_lo, exec_lo, s3
	s_cbranch_execnz .LBB40_41
; %bb.42:
	s_or_b32 exec_lo, exec_lo, s3
	v_mov_b32_e32 v7, 0
	ds_load_b128 v[7:10], v7 offset:112
	s_waitcnt lgkmcnt(0)
	v_mul_f64 v[11:12], v[1:2], v[9:10]
	v_mul_f64 v[15:16], v[3:4], v[9:10]
	s_delay_alu instid0(VALU_DEP_2) | instskip(NEXT) | instid1(VALU_DEP_2)
	v_fma_f64 v[9:10], v[3:4], v[7:8], -v[11:12]
	v_fma_f64 v[11:12], v[1:2], v[7:8], v[15:16]
	scratch_store_b128 off, v[9:12], off offset:112
.LBB40_43:
	s_or_b32 exec_lo, exec_lo, s2
	s_waitcnt_vscnt null, 0x0
	s_barrier
	buffer_gl0_inv
	scratch_load_b128 v[1:4], v160, off
	s_mov_b32 s2, exec_lo
	s_waitcnt vmcnt(0)
	ds_store_b128 v5, v[1:4]
	s_waitcnt lgkmcnt(0)
	s_barrier
	buffer_gl0_inv
	v_cmpx_gt_u32_e32 8, v124
	s_cbranch_execz .LBB40_47
; %bb.44:
	v_dual_mov_b32 v1, 0 :: v_dual_add_nc_u32 v8, 0x290, v13
	v_dual_mov_b32 v2, 0 :: v_dual_add_nc_u32 v7, -1, v124
	v_or_b32_e32 v9, 8, v14
	s_mov_b32 s3, 0
	s_delay_alu instid0(VALU_DEP_2)
	v_dual_mov_b32 v4, v2 :: v_dual_mov_b32 v3, v1
	.p2align	6
.LBB40_45:                              ; =>This Inner Loop Header: Depth=1
	scratch_load_b128 v[15:18], v9, off offset:-8
	ds_load_b128 v[19:22], v8
	v_add_nc_u32_e32 v7, 1, v7
	v_add_nc_u32_e32 v8, 16, v8
	;; [unrolled: 1-line block ×3, first 2 shown]
	s_delay_alu instid0(VALU_DEP_3) | instskip(SKIP_4) | instid1(VALU_DEP_2)
	v_cmp_lt_u32_e32 vcc_lo, 6, v7
	s_or_b32 s3, vcc_lo, s3
	s_waitcnt vmcnt(0) lgkmcnt(0)
	v_mul_f64 v[10:11], v[21:22], v[17:18]
	v_mul_f64 v[17:18], v[19:20], v[17:18]
	v_fma_f64 v[10:11], v[19:20], v[15:16], -v[10:11]
	s_delay_alu instid0(VALU_DEP_2) | instskip(NEXT) | instid1(VALU_DEP_2)
	v_fma_f64 v[15:16], v[21:22], v[15:16], v[17:18]
	v_add_f64 v[3:4], v[3:4], v[10:11]
	s_delay_alu instid0(VALU_DEP_2)
	v_add_f64 v[1:2], v[1:2], v[15:16]
	s_and_not1_b32 exec_lo, exec_lo, s3
	s_cbranch_execnz .LBB40_45
; %bb.46:
	s_or_b32 exec_lo, exec_lo, s3
	v_mov_b32_e32 v7, 0
	ds_load_b128 v[7:10], v7 offset:128
	s_waitcnt lgkmcnt(0)
	v_mul_f64 v[11:12], v[1:2], v[9:10]
	v_mul_f64 v[15:16], v[3:4], v[9:10]
	s_delay_alu instid0(VALU_DEP_2) | instskip(NEXT) | instid1(VALU_DEP_2)
	v_fma_f64 v[9:10], v[3:4], v[7:8], -v[11:12]
	v_fma_f64 v[11:12], v[1:2], v[7:8], v[15:16]
	scratch_store_b128 off, v[9:12], off offset:128
.LBB40_47:
	s_or_b32 exec_lo, exec_lo, s2
	s_waitcnt_vscnt null, 0x0
	s_barrier
	buffer_gl0_inv
	scratch_load_b128 v[1:4], v161, off
	s_mov_b32 s2, exec_lo
	s_waitcnt vmcnt(0)
	ds_store_b128 v5, v[1:4]
	s_waitcnt lgkmcnt(0)
	s_barrier
	buffer_gl0_inv
	v_cmpx_gt_u32_e32 9, v124
	s_cbranch_execz .LBB40_51
; %bb.48:
	v_dual_mov_b32 v1, 0 :: v_dual_add_nc_u32 v8, 0x290, v13
	v_dual_mov_b32 v2, 0 :: v_dual_add_nc_u32 v7, -1, v124
	v_or_b32_e32 v9, 8, v14
	s_mov_b32 s3, 0
	s_delay_alu instid0(VALU_DEP_2)
	v_dual_mov_b32 v4, v2 :: v_dual_mov_b32 v3, v1
	.p2align	6
.LBB40_49:                              ; =>This Inner Loop Header: Depth=1
	scratch_load_b128 v[15:18], v9, off offset:-8
	ds_load_b128 v[19:22], v8
	v_add_nc_u32_e32 v7, 1, v7
	v_add_nc_u32_e32 v8, 16, v8
	;; [unrolled: 1-line block ×3, first 2 shown]
	s_delay_alu instid0(VALU_DEP_3) | instskip(SKIP_4) | instid1(VALU_DEP_2)
	v_cmp_lt_u32_e32 vcc_lo, 7, v7
	s_or_b32 s3, vcc_lo, s3
	s_waitcnt vmcnt(0) lgkmcnt(0)
	v_mul_f64 v[10:11], v[21:22], v[17:18]
	v_mul_f64 v[17:18], v[19:20], v[17:18]
	v_fma_f64 v[10:11], v[19:20], v[15:16], -v[10:11]
	s_delay_alu instid0(VALU_DEP_2) | instskip(NEXT) | instid1(VALU_DEP_2)
	v_fma_f64 v[15:16], v[21:22], v[15:16], v[17:18]
	v_add_f64 v[3:4], v[3:4], v[10:11]
	s_delay_alu instid0(VALU_DEP_2)
	v_add_f64 v[1:2], v[1:2], v[15:16]
	s_and_not1_b32 exec_lo, exec_lo, s3
	s_cbranch_execnz .LBB40_49
; %bb.50:
	s_or_b32 exec_lo, exec_lo, s3
	v_mov_b32_e32 v7, 0
	ds_load_b128 v[7:10], v7 offset:144
	s_waitcnt lgkmcnt(0)
	v_mul_f64 v[11:12], v[1:2], v[9:10]
	v_mul_f64 v[15:16], v[3:4], v[9:10]
	s_delay_alu instid0(VALU_DEP_2) | instskip(NEXT) | instid1(VALU_DEP_2)
	v_fma_f64 v[9:10], v[3:4], v[7:8], -v[11:12]
	v_fma_f64 v[11:12], v[1:2], v[7:8], v[15:16]
	scratch_store_b128 off, v[9:12], off offset:144
.LBB40_51:
	s_or_b32 exec_lo, exec_lo, s2
	s_waitcnt_vscnt null, 0x0
	s_barrier
	buffer_gl0_inv
	scratch_load_b128 v[1:4], v159, off
	s_mov_b32 s2, exec_lo
	s_waitcnt vmcnt(0)
	ds_store_b128 v5, v[1:4]
	s_waitcnt lgkmcnt(0)
	s_barrier
	buffer_gl0_inv
	v_cmpx_gt_u32_e32 10, v124
	s_cbranch_execz .LBB40_55
; %bb.52:
	v_dual_mov_b32 v1, 0 :: v_dual_add_nc_u32 v8, 0x290, v13
	v_dual_mov_b32 v2, 0 :: v_dual_add_nc_u32 v7, -1, v124
	v_or_b32_e32 v9, 8, v14
	s_mov_b32 s3, 0
	s_delay_alu instid0(VALU_DEP_2)
	v_dual_mov_b32 v4, v2 :: v_dual_mov_b32 v3, v1
	.p2align	6
.LBB40_53:                              ; =>This Inner Loop Header: Depth=1
	scratch_load_b128 v[15:18], v9, off offset:-8
	ds_load_b128 v[19:22], v8
	v_add_nc_u32_e32 v7, 1, v7
	v_add_nc_u32_e32 v8, 16, v8
	;; [unrolled: 1-line block ×3, first 2 shown]
	s_delay_alu instid0(VALU_DEP_3) | instskip(SKIP_4) | instid1(VALU_DEP_2)
	v_cmp_lt_u32_e32 vcc_lo, 8, v7
	s_or_b32 s3, vcc_lo, s3
	s_waitcnt vmcnt(0) lgkmcnt(0)
	v_mul_f64 v[10:11], v[21:22], v[17:18]
	v_mul_f64 v[17:18], v[19:20], v[17:18]
	v_fma_f64 v[10:11], v[19:20], v[15:16], -v[10:11]
	s_delay_alu instid0(VALU_DEP_2) | instskip(NEXT) | instid1(VALU_DEP_2)
	v_fma_f64 v[15:16], v[21:22], v[15:16], v[17:18]
	v_add_f64 v[3:4], v[3:4], v[10:11]
	s_delay_alu instid0(VALU_DEP_2)
	v_add_f64 v[1:2], v[1:2], v[15:16]
	s_and_not1_b32 exec_lo, exec_lo, s3
	s_cbranch_execnz .LBB40_53
; %bb.54:
	s_or_b32 exec_lo, exec_lo, s3
	v_mov_b32_e32 v7, 0
	ds_load_b128 v[7:10], v7 offset:160
	s_waitcnt lgkmcnt(0)
	v_mul_f64 v[11:12], v[1:2], v[9:10]
	v_mul_f64 v[15:16], v[3:4], v[9:10]
	s_delay_alu instid0(VALU_DEP_2) | instskip(NEXT) | instid1(VALU_DEP_2)
	v_fma_f64 v[9:10], v[3:4], v[7:8], -v[11:12]
	v_fma_f64 v[11:12], v[1:2], v[7:8], v[15:16]
	scratch_store_b128 off, v[9:12], off offset:160
.LBB40_55:
	s_or_b32 exec_lo, exec_lo, s2
	s_waitcnt_vscnt null, 0x0
	s_barrier
	buffer_gl0_inv
	scratch_load_b128 v[1:4], v158, off
	s_mov_b32 s2, exec_lo
	s_waitcnt vmcnt(0)
	ds_store_b128 v5, v[1:4]
	s_waitcnt lgkmcnt(0)
	s_barrier
	buffer_gl0_inv
	v_cmpx_gt_u32_e32 11, v124
	s_cbranch_execz .LBB40_59
; %bb.56:
	v_dual_mov_b32 v1, 0 :: v_dual_add_nc_u32 v8, 0x290, v13
	v_dual_mov_b32 v2, 0 :: v_dual_add_nc_u32 v7, -1, v124
	v_or_b32_e32 v9, 8, v14
	s_mov_b32 s3, 0
	s_delay_alu instid0(VALU_DEP_2)
	v_dual_mov_b32 v4, v2 :: v_dual_mov_b32 v3, v1
	.p2align	6
.LBB40_57:                              ; =>This Inner Loop Header: Depth=1
	scratch_load_b128 v[15:18], v9, off offset:-8
	ds_load_b128 v[19:22], v8
	v_add_nc_u32_e32 v7, 1, v7
	v_add_nc_u32_e32 v8, 16, v8
	;; [unrolled: 1-line block ×3, first 2 shown]
	s_delay_alu instid0(VALU_DEP_3) | instskip(SKIP_4) | instid1(VALU_DEP_2)
	v_cmp_lt_u32_e32 vcc_lo, 9, v7
	s_or_b32 s3, vcc_lo, s3
	s_waitcnt vmcnt(0) lgkmcnt(0)
	v_mul_f64 v[10:11], v[21:22], v[17:18]
	v_mul_f64 v[17:18], v[19:20], v[17:18]
	v_fma_f64 v[10:11], v[19:20], v[15:16], -v[10:11]
	s_delay_alu instid0(VALU_DEP_2) | instskip(NEXT) | instid1(VALU_DEP_2)
	v_fma_f64 v[15:16], v[21:22], v[15:16], v[17:18]
	v_add_f64 v[3:4], v[3:4], v[10:11]
	s_delay_alu instid0(VALU_DEP_2)
	v_add_f64 v[1:2], v[1:2], v[15:16]
	s_and_not1_b32 exec_lo, exec_lo, s3
	s_cbranch_execnz .LBB40_57
; %bb.58:
	s_or_b32 exec_lo, exec_lo, s3
	v_mov_b32_e32 v7, 0
	ds_load_b128 v[7:10], v7 offset:176
	s_waitcnt lgkmcnt(0)
	v_mul_f64 v[11:12], v[1:2], v[9:10]
	v_mul_f64 v[15:16], v[3:4], v[9:10]
	s_delay_alu instid0(VALU_DEP_2) | instskip(NEXT) | instid1(VALU_DEP_2)
	v_fma_f64 v[9:10], v[3:4], v[7:8], -v[11:12]
	v_fma_f64 v[11:12], v[1:2], v[7:8], v[15:16]
	scratch_store_b128 off, v[9:12], off offset:176
.LBB40_59:
	s_or_b32 exec_lo, exec_lo, s2
	s_waitcnt_vscnt null, 0x0
	s_barrier
	buffer_gl0_inv
	scratch_load_b128 v[1:4], v157, off
	s_mov_b32 s2, exec_lo
	s_waitcnt vmcnt(0)
	ds_store_b128 v5, v[1:4]
	s_waitcnt lgkmcnt(0)
	s_barrier
	buffer_gl0_inv
	v_cmpx_gt_u32_e32 12, v124
	s_cbranch_execz .LBB40_63
; %bb.60:
	v_dual_mov_b32 v1, 0 :: v_dual_add_nc_u32 v8, 0x290, v13
	v_dual_mov_b32 v2, 0 :: v_dual_add_nc_u32 v7, -1, v124
	v_or_b32_e32 v9, 8, v14
	s_mov_b32 s3, 0
	s_delay_alu instid0(VALU_DEP_2)
	v_dual_mov_b32 v4, v2 :: v_dual_mov_b32 v3, v1
	.p2align	6
.LBB40_61:                              ; =>This Inner Loop Header: Depth=1
	scratch_load_b128 v[15:18], v9, off offset:-8
	ds_load_b128 v[19:22], v8
	v_add_nc_u32_e32 v7, 1, v7
	v_add_nc_u32_e32 v8, 16, v8
	;; [unrolled: 1-line block ×3, first 2 shown]
	s_delay_alu instid0(VALU_DEP_3) | instskip(SKIP_4) | instid1(VALU_DEP_2)
	v_cmp_lt_u32_e32 vcc_lo, 10, v7
	s_or_b32 s3, vcc_lo, s3
	s_waitcnt vmcnt(0) lgkmcnt(0)
	v_mul_f64 v[10:11], v[21:22], v[17:18]
	v_mul_f64 v[17:18], v[19:20], v[17:18]
	v_fma_f64 v[10:11], v[19:20], v[15:16], -v[10:11]
	s_delay_alu instid0(VALU_DEP_2) | instskip(NEXT) | instid1(VALU_DEP_2)
	v_fma_f64 v[15:16], v[21:22], v[15:16], v[17:18]
	v_add_f64 v[3:4], v[3:4], v[10:11]
	s_delay_alu instid0(VALU_DEP_2)
	v_add_f64 v[1:2], v[1:2], v[15:16]
	s_and_not1_b32 exec_lo, exec_lo, s3
	s_cbranch_execnz .LBB40_61
; %bb.62:
	s_or_b32 exec_lo, exec_lo, s3
	v_mov_b32_e32 v7, 0
	ds_load_b128 v[7:10], v7 offset:192
	s_waitcnt lgkmcnt(0)
	v_mul_f64 v[11:12], v[1:2], v[9:10]
	v_mul_f64 v[15:16], v[3:4], v[9:10]
	s_delay_alu instid0(VALU_DEP_2) | instskip(NEXT) | instid1(VALU_DEP_2)
	v_fma_f64 v[9:10], v[3:4], v[7:8], -v[11:12]
	v_fma_f64 v[11:12], v[1:2], v[7:8], v[15:16]
	scratch_store_b128 off, v[9:12], off offset:192
.LBB40_63:
	s_or_b32 exec_lo, exec_lo, s2
	s_waitcnt_vscnt null, 0x0
	s_barrier
	buffer_gl0_inv
	scratch_load_b128 v[1:4], v156, off
	s_mov_b32 s2, exec_lo
	s_waitcnt vmcnt(0)
	ds_store_b128 v5, v[1:4]
	s_waitcnt lgkmcnt(0)
	s_barrier
	buffer_gl0_inv
	v_cmpx_gt_u32_e32 13, v124
	s_cbranch_execz .LBB40_67
; %bb.64:
	v_dual_mov_b32 v1, 0 :: v_dual_add_nc_u32 v8, 0x290, v13
	v_dual_mov_b32 v2, 0 :: v_dual_add_nc_u32 v7, -1, v124
	v_or_b32_e32 v9, 8, v14
	s_mov_b32 s3, 0
	s_delay_alu instid0(VALU_DEP_2)
	v_dual_mov_b32 v4, v2 :: v_dual_mov_b32 v3, v1
	.p2align	6
.LBB40_65:                              ; =>This Inner Loop Header: Depth=1
	scratch_load_b128 v[15:18], v9, off offset:-8
	ds_load_b128 v[19:22], v8
	v_add_nc_u32_e32 v7, 1, v7
	v_add_nc_u32_e32 v8, 16, v8
	;; [unrolled: 1-line block ×3, first 2 shown]
	s_delay_alu instid0(VALU_DEP_3) | instskip(SKIP_4) | instid1(VALU_DEP_2)
	v_cmp_lt_u32_e32 vcc_lo, 11, v7
	s_or_b32 s3, vcc_lo, s3
	s_waitcnt vmcnt(0) lgkmcnt(0)
	v_mul_f64 v[10:11], v[21:22], v[17:18]
	v_mul_f64 v[17:18], v[19:20], v[17:18]
	v_fma_f64 v[10:11], v[19:20], v[15:16], -v[10:11]
	s_delay_alu instid0(VALU_DEP_2) | instskip(NEXT) | instid1(VALU_DEP_2)
	v_fma_f64 v[15:16], v[21:22], v[15:16], v[17:18]
	v_add_f64 v[3:4], v[3:4], v[10:11]
	s_delay_alu instid0(VALU_DEP_2)
	v_add_f64 v[1:2], v[1:2], v[15:16]
	s_and_not1_b32 exec_lo, exec_lo, s3
	s_cbranch_execnz .LBB40_65
; %bb.66:
	s_or_b32 exec_lo, exec_lo, s3
	v_mov_b32_e32 v7, 0
	ds_load_b128 v[7:10], v7 offset:208
	s_waitcnt lgkmcnt(0)
	v_mul_f64 v[11:12], v[1:2], v[9:10]
	v_mul_f64 v[15:16], v[3:4], v[9:10]
	s_delay_alu instid0(VALU_DEP_2) | instskip(NEXT) | instid1(VALU_DEP_2)
	v_fma_f64 v[9:10], v[3:4], v[7:8], -v[11:12]
	v_fma_f64 v[11:12], v[1:2], v[7:8], v[15:16]
	scratch_store_b128 off, v[9:12], off offset:208
.LBB40_67:
	s_or_b32 exec_lo, exec_lo, s2
	s_waitcnt_vscnt null, 0x0
	s_barrier
	buffer_gl0_inv
	scratch_load_b128 v[1:4], v155, off
	s_mov_b32 s2, exec_lo
	s_waitcnt vmcnt(0)
	ds_store_b128 v5, v[1:4]
	s_waitcnt lgkmcnt(0)
	s_barrier
	buffer_gl0_inv
	v_cmpx_gt_u32_e32 14, v124
	s_cbranch_execz .LBB40_71
; %bb.68:
	v_dual_mov_b32 v1, 0 :: v_dual_add_nc_u32 v8, 0x290, v13
	v_dual_mov_b32 v2, 0 :: v_dual_add_nc_u32 v7, -1, v124
	v_or_b32_e32 v9, 8, v14
	s_mov_b32 s3, 0
	s_delay_alu instid0(VALU_DEP_2)
	v_dual_mov_b32 v4, v2 :: v_dual_mov_b32 v3, v1
	.p2align	6
.LBB40_69:                              ; =>This Inner Loop Header: Depth=1
	scratch_load_b128 v[15:18], v9, off offset:-8
	ds_load_b128 v[19:22], v8
	v_add_nc_u32_e32 v7, 1, v7
	v_add_nc_u32_e32 v8, 16, v8
	;; [unrolled: 1-line block ×3, first 2 shown]
	s_delay_alu instid0(VALU_DEP_3) | instskip(SKIP_4) | instid1(VALU_DEP_2)
	v_cmp_lt_u32_e32 vcc_lo, 12, v7
	s_or_b32 s3, vcc_lo, s3
	s_waitcnt vmcnt(0) lgkmcnt(0)
	v_mul_f64 v[10:11], v[21:22], v[17:18]
	v_mul_f64 v[17:18], v[19:20], v[17:18]
	v_fma_f64 v[10:11], v[19:20], v[15:16], -v[10:11]
	s_delay_alu instid0(VALU_DEP_2) | instskip(NEXT) | instid1(VALU_DEP_2)
	v_fma_f64 v[15:16], v[21:22], v[15:16], v[17:18]
	v_add_f64 v[3:4], v[3:4], v[10:11]
	s_delay_alu instid0(VALU_DEP_2)
	v_add_f64 v[1:2], v[1:2], v[15:16]
	s_and_not1_b32 exec_lo, exec_lo, s3
	s_cbranch_execnz .LBB40_69
; %bb.70:
	s_or_b32 exec_lo, exec_lo, s3
	v_mov_b32_e32 v7, 0
	ds_load_b128 v[7:10], v7 offset:224
	s_waitcnt lgkmcnt(0)
	v_mul_f64 v[11:12], v[1:2], v[9:10]
	v_mul_f64 v[15:16], v[3:4], v[9:10]
	s_delay_alu instid0(VALU_DEP_2) | instskip(NEXT) | instid1(VALU_DEP_2)
	v_fma_f64 v[9:10], v[3:4], v[7:8], -v[11:12]
	v_fma_f64 v[11:12], v[1:2], v[7:8], v[15:16]
	scratch_store_b128 off, v[9:12], off offset:224
.LBB40_71:
	s_or_b32 exec_lo, exec_lo, s2
	s_waitcnt_vscnt null, 0x0
	s_barrier
	buffer_gl0_inv
	scratch_load_b128 v[1:4], v154, off
	s_mov_b32 s2, exec_lo
	s_waitcnt vmcnt(0)
	ds_store_b128 v5, v[1:4]
	s_waitcnt lgkmcnt(0)
	s_barrier
	buffer_gl0_inv
	v_cmpx_gt_u32_e32 15, v124
	s_cbranch_execz .LBB40_75
; %bb.72:
	v_dual_mov_b32 v1, 0 :: v_dual_add_nc_u32 v8, 0x290, v13
	v_dual_mov_b32 v2, 0 :: v_dual_add_nc_u32 v7, -1, v124
	v_or_b32_e32 v9, 8, v14
	s_mov_b32 s3, 0
	s_delay_alu instid0(VALU_DEP_2)
	v_dual_mov_b32 v4, v2 :: v_dual_mov_b32 v3, v1
	.p2align	6
.LBB40_73:                              ; =>This Inner Loop Header: Depth=1
	scratch_load_b128 v[15:18], v9, off offset:-8
	ds_load_b128 v[19:22], v8
	v_add_nc_u32_e32 v7, 1, v7
	v_add_nc_u32_e32 v8, 16, v8
	;; [unrolled: 1-line block ×3, first 2 shown]
	s_delay_alu instid0(VALU_DEP_3) | instskip(SKIP_4) | instid1(VALU_DEP_2)
	v_cmp_lt_u32_e32 vcc_lo, 13, v7
	s_or_b32 s3, vcc_lo, s3
	s_waitcnt vmcnt(0) lgkmcnt(0)
	v_mul_f64 v[10:11], v[21:22], v[17:18]
	v_mul_f64 v[17:18], v[19:20], v[17:18]
	v_fma_f64 v[10:11], v[19:20], v[15:16], -v[10:11]
	s_delay_alu instid0(VALU_DEP_2) | instskip(NEXT) | instid1(VALU_DEP_2)
	v_fma_f64 v[15:16], v[21:22], v[15:16], v[17:18]
	v_add_f64 v[3:4], v[3:4], v[10:11]
	s_delay_alu instid0(VALU_DEP_2)
	v_add_f64 v[1:2], v[1:2], v[15:16]
	s_and_not1_b32 exec_lo, exec_lo, s3
	s_cbranch_execnz .LBB40_73
; %bb.74:
	s_or_b32 exec_lo, exec_lo, s3
	v_mov_b32_e32 v7, 0
	ds_load_b128 v[7:10], v7 offset:240
	s_waitcnt lgkmcnt(0)
	v_mul_f64 v[11:12], v[1:2], v[9:10]
	v_mul_f64 v[15:16], v[3:4], v[9:10]
	s_delay_alu instid0(VALU_DEP_2) | instskip(NEXT) | instid1(VALU_DEP_2)
	v_fma_f64 v[9:10], v[3:4], v[7:8], -v[11:12]
	v_fma_f64 v[11:12], v[1:2], v[7:8], v[15:16]
	scratch_store_b128 off, v[9:12], off offset:240
.LBB40_75:
	s_or_b32 exec_lo, exec_lo, s2
	s_waitcnt_vscnt null, 0x0
	s_barrier
	buffer_gl0_inv
	scratch_load_b128 v[1:4], v153, off
	s_mov_b32 s2, exec_lo
	s_waitcnt vmcnt(0)
	ds_store_b128 v5, v[1:4]
	s_waitcnt lgkmcnt(0)
	s_barrier
	buffer_gl0_inv
	v_cmpx_gt_u32_e32 16, v124
	s_cbranch_execz .LBB40_79
; %bb.76:
	v_dual_mov_b32 v1, 0 :: v_dual_add_nc_u32 v8, 0x290, v13
	v_dual_mov_b32 v2, 0 :: v_dual_add_nc_u32 v7, -1, v124
	v_or_b32_e32 v9, 8, v14
	s_mov_b32 s3, 0
	s_delay_alu instid0(VALU_DEP_2)
	v_dual_mov_b32 v4, v2 :: v_dual_mov_b32 v3, v1
	.p2align	6
.LBB40_77:                              ; =>This Inner Loop Header: Depth=1
	scratch_load_b128 v[15:18], v9, off offset:-8
	ds_load_b128 v[19:22], v8
	v_add_nc_u32_e32 v7, 1, v7
	v_add_nc_u32_e32 v8, 16, v8
	;; [unrolled: 1-line block ×3, first 2 shown]
	s_delay_alu instid0(VALU_DEP_3) | instskip(SKIP_4) | instid1(VALU_DEP_2)
	v_cmp_lt_u32_e32 vcc_lo, 14, v7
	s_or_b32 s3, vcc_lo, s3
	s_waitcnt vmcnt(0) lgkmcnt(0)
	v_mul_f64 v[10:11], v[21:22], v[17:18]
	v_mul_f64 v[17:18], v[19:20], v[17:18]
	v_fma_f64 v[10:11], v[19:20], v[15:16], -v[10:11]
	s_delay_alu instid0(VALU_DEP_2) | instskip(NEXT) | instid1(VALU_DEP_2)
	v_fma_f64 v[15:16], v[21:22], v[15:16], v[17:18]
	v_add_f64 v[3:4], v[3:4], v[10:11]
	s_delay_alu instid0(VALU_DEP_2)
	v_add_f64 v[1:2], v[1:2], v[15:16]
	s_and_not1_b32 exec_lo, exec_lo, s3
	s_cbranch_execnz .LBB40_77
; %bb.78:
	s_or_b32 exec_lo, exec_lo, s3
	v_mov_b32_e32 v7, 0
	ds_load_b128 v[7:10], v7 offset:256
	s_waitcnt lgkmcnt(0)
	v_mul_f64 v[11:12], v[1:2], v[9:10]
	v_mul_f64 v[15:16], v[3:4], v[9:10]
	s_delay_alu instid0(VALU_DEP_2) | instskip(NEXT) | instid1(VALU_DEP_2)
	v_fma_f64 v[9:10], v[3:4], v[7:8], -v[11:12]
	v_fma_f64 v[11:12], v[1:2], v[7:8], v[15:16]
	scratch_store_b128 off, v[9:12], off offset:256
.LBB40_79:
	s_or_b32 exec_lo, exec_lo, s2
	s_waitcnt_vscnt null, 0x0
	s_barrier
	buffer_gl0_inv
	scratch_load_b128 v[1:4], v152, off
	s_mov_b32 s2, exec_lo
	s_waitcnt vmcnt(0)
	ds_store_b128 v5, v[1:4]
	s_waitcnt lgkmcnt(0)
	s_barrier
	buffer_gl0_inv
	v_cmpx_gt_u32_e32 17, v124
	s_cbranch_execz .LBB40_83
; %bb.80:
	v_dual_mov_b32 v1, 0 :: v_dual_add_nc_u32 v8, 0x290, v13
	v_dual_mov_b32 v2, 0 :: v_dual_add_nc_u32 v7, -1, v124
	v_or_b32_e32 v9, 8, v14
	s_mov_b32 s3, 0
	s_delay_alu instid0(VALU_DEP_2)
	v_dual_mov_b32 v4, v2 :: v_dual_mov_b32 v3, v1
	.p2align	6
.LBB40_81:                              ; =>This Inner Loop Header: Depth=1
	scratch_load_b128 v[15:18], v9, off offset:-8
	ds_load_b128 v[19:22], v8
	v_add_nc_u32_e32 v7, 1, v7
	v_add_nc_u32_e32 v8, 16, v8
	;; [unrolled: 1-line block ×3, first 2 shown]
	s_delay_alu instid0(VALU_DEP_3) | instskip(SKIP_4) | instid1(VALU_DEP_2)
	v_cmp_lt_u32_e32 vcc_lo, 15, v7
	s_or_b32 s3, vcc_lo, s3
	s_waitcnt vmcnt(0) lgkmcnt(0)
	v_mul_f64 v[10:11], v[21:22], v[17:18]
	v_mul_f64 v[17:18], v[19:20], v[17:18]
	v_fma_f64 v[10:11], v[19:20], v[15:16], -v[10:11]
	s_delay_alu instid0(VALU_DEP_2) | instskip(NEXT) | instid1(VALU_DEP_2)
	v_fma_f64 v[15:16], v[21:22], v[15:16], v[17:18]
	v_add_f64 v[3:4], v[3:4], v[10:11]
	s_delay_alu instid0(VALU_DEP_2)
	v_add_f64 v[1:2], v[1:2], v[15:16]
	s_and_not1_b32 exec_lo, exec_lo, s3
	s_cbranch_execnz .LBB40_81
; %bb.82:
	s_or_b32 exec_lo, exec_lo, s3
	v_mov_b32_e32 v7, 0
	ds_load_b128 v[7:10], v7 offset:272
	s_waitcnt lgkmcnt(0)
	v_mul_f64 v[11:12], v[1:2], v[9:10]
	v_mul_f64 v[15:16], v[3:4], v[9:10]
	s_delay_alu instid0(VALU_DEP_2) | instskip(NEXT) | instid1(VALU_DEP_2)
	v_fma_f64 v[9:10], v[3:4], v[7:8], -v[11:12]
	v_fma_f64 v[11:12], v[1:2], v[7:8], v[15:16]
	scratch_store_b128 off, v[9:12], off offset:272
.LBB40_83:
	s_or_b32 exec_lo, exec_lo, s2
	s_waitcnt_vscnt null, 0x0
	s_barrier
	buffer_gl0_inv
	scratch_load_b128 v[1:4], v151, off
	s_mov_b32 s2, exec_lo
	s_waitcnt vmcnt(0)
	ds_store_b128 v5, v[1:4]
	s_waitcnt lgkmcnt(0)
	s_barrier
	buffer_gl0_inv
	v_cmpx_gt_u32_e32 18, v124
	s_cbranch_execz .LBB40_87
; %bb.84:
	v_dual_mov_b32 v1, 0 :: v_dual_add_nc_u32 v8, 0x290, v13
	v_dual_mov_b32 v2, 0 :: v_dual_add_nc_u32 v7, -1, v124
	v_or_b32_e32 v9, 8, v14
	s_mov_b32 s3, 0
	s_delay_alu instid0(VALU_DEP_2)
	v_dual_mov_b32 v4, v2 :: v_dual_mov_b32 v3, v1
	.p2align	6
.LBB40_85:                              ; =>This Inner Loop Header: Depth=1
	scratch_load_b128 v[15:18], v9, off offset:-8
	ds_load_b128 v[19:22], v8
	v_add_nc_u32_e32 v7, 1, v7
	v_add_nc_u32_e32 v8, 16, v8
	;; [unrolled: 1-line block ×3, first 2 shown]
	s_delay_alu instid0(VALU_DEP_3) | instskip(SKIP_4) | instid1(VALU_DEP_2)
	v_cmp_lt_u32_e32 vcc_lo, 16, v7
	s_or_b32 s3, vcc_lo, s3
	s_waitcnt vmcnt(0) lgkmcnt(0)
	v_mul_f64 v[10:11], v[21:22], v[17:18]
	v_mul_f64 v[17:18], v[19:20], v[17:18]
	v_fma_f64 v[10:11], v[19:20], v[15:16], -v[10:11]
	s_delay_alu instid0(VALU_DEP_2) | instskip(NEXT) | instid1(VALU_DEP_2)
	v_fma_f64 v[15:16], v[21:22], v[15:16], v[17:18]
	v_add_f64 v[3:4], v[3:4], v[10:11]
	s_delay_alu instid0(VALU_DEP_2)
	v_add_f64 v[1:2], v[1:2], v[15:16]
	s_and_not1_b32 exec_lo, exec_lo, s3
	s_cbranch_execnz .LBB40_85
; %bb.86:
	s_or_b32 exec_lo, exec_lo, s3
	v_mov_b32_e32 v7, 0
	ds_load_b128 v[7:10], v7 offset:288
	s_waitcnt lgkmcnt(0)
	v_mul_f64 v[11:12], v[1:2], v[9:10]
	v_mul_f64 v[15:16], v[3:4], v[9:10]
	s_delay_alu instid0(VALU_DEP_2) | instskip(NEXT) | instid1(VALU_DEP_2)
	v_fma_f64 v[9:10], v[3:4], v[7:8], -v[11:12]
	v_fma_f64 v[11:12], v[1:2], v[7:8], v[15:16]
	scratch_store_b128 off, v[9:12], off offset:288
.LBB40_87:
	s_or_b32 exec_lo, exec_lo, s2
	s_waitcnt_vscnt null, 0x0
	s_barrier
	buffer_gl0_inv
	scratch_load_b128 v[1:4], v150, off
	s_mov_b32 s2, exec_lo
	s_waitcnt vmcnt(0)
	ds_store_b128 v5, v[1:4]
	s_waitcnt lgkmcnt(0)
	s_barrier
	buffer_gl0_inv
	v_cmpx_gt_u32_e32 19, v124
	s_cbranch_execz .LBB40_91
; %bb.88:
	v_dual_mov_b32 v1, 0 :: v_dual_add_nc_u32 v8, 0x290, v13
	v_dual_mov_b32 v2, 0 :: v_dual_add_nc_u32 v7, -1, v124
	v_or_b32_e32 v9, 8, v14
	s_mov_b32 s3, 0
	s_delay_alu instid0(VALU_DEP_2)
	v_dual_mov_b32 v4, v2 :: v_dual_mov_b32 v3, v1
	.p2align	6
.LBB40_89:                              ; =>This Inner Loop Header: Depth=1
	scratch_load_b128 v[15:18], v9, off offset:-8
	ds_load_b128 v[19:22], v8
	v_add_nc_u32_e32 v7, 1, v7
	v_add_nc_u32_e32 v8, 16, v8
	;; [unrolled: 1-line block ×3, first 2 shown]
	s_delay_alu instid0(VALU_DEP_3) | instskip(SKIP_4) | instid1(VALU_DEP_2)
	v_cmp_lt_u32_e32 vcc_lo, 17, v7
	s_or_b32 s3, vcc_lo, s3
	s_waitcnt vmcnt(0) lgkmcnt(0)
	v_mul_f64 v[10:11], v[21:22], v[17:18]
	v_mul_f64 v[17:18], v[19:20], v[17:18]
	v_fma_f64 v[10:11], v[19:20], v[15:16], -v[10:11]
	s_delay_alu instid0(VALU_DEP_2) | instskip(NEXT) | instid1(VALU_DEP_2)
	v_fma_f64 v[15:16], v[21:22], v[15:16], v[17:18]
	v_add_f64 v[3:4], v[3:4], v[10:11]
	s_delay_alu instid0(VALU_DEP_2)
	v_add_f64 v[1:2], v[1:2], v[15:16]
	s_and_not1_b32 exec_lo, exec_lo, s3
	s_cbranch_execnz .LBB40_89
; %bb.90:
	s_or_b32 exec_lo, exec_lo, s3
	v_mov_b32_e32 v7, 0
	ds_load_b128 v[7:10], v7 offset:304
	s_waitcnt lgkmcnt(0)
	v_mul_f64 v[11:12], v[1:2], v[9:10]
	v_mul_f64 v[15:16], v[3:4], v[9:10]
	s_delay_alu instid0(VALU_DEP_2) | instskip(NEXT) | instid1(VALU_DEP_2)
	v_fma_f64 v[9:10], v[3:4], v[7:8], -v[11:12]
	v_fma_f64 v[11:12], v[1:2], v[7:8], v[15:16]
	scratch_store_b128 off, v[9:12], off offset:304
.LBB40_91:
	s_or_b32 exec_lo, exec_lo, s2
	s_waitcnt_vscnt null, 0x0
	s_barrier
	buffer_gl0_inv
	scratch_load_b128 v[1:4], v149, off
	s_mov_b32 s2, exec_lo
	s_waitcnt vmcnt(0)
	ds_store_b128 v5, v[1:4]
	s_waitcnt lgkmcnt(0)
	s_barrier
	buffer_gl0_inv
	v_cmpx_gt_u32_e32 20, v124
	s_cbranch_execz .LBB40_95
; %bb.92:
	v_dual_mov_b32 v1, 0 :: v_dual_add_nc_u32 v8, 0x290, v13
	v_dual_mov_b32 v2, 0 :: v_dual_add_nc_u32 v7, -1, v124
	v_or_b32_e32 v9, 8, v14
	s_mov_b32 s3, 0
	s_delay_alu instid0(VALU_DEP_2)
	v_dual_mov_b32 v4, v2 :: v_dual_mov_b32 v3, v1
	.p2align	6
.LBB40_93:                              ; =>This Inner Loop Header: Depth=1
	scratch_load_b128 v[15:18], v9, off offset:-8
	ds_load_b128 v[19:22], v8
	v_add_nc_u32_e32 v7, 1, v7
	v_add_nc_u32_e32 v8, 16, v8
	;; [unrolled: 1-line block ×3, first 2 shown]
	s_delay_alu instid0(VALU_DEP_3) | instskip(SKIP_4) | instid1(VALU_DEP_2)
	v_cmp_lt_u32_e32 vcc_lo, 18, v7
	s_or_b32 s3, vcc_lo, s3
	s_waitcnt vmcnt(0) lgkmcnt(0)
	v_mul_f64 v[10:11], v[21:22], v[17:18]
	v_mul_f64 v[17:18], v[19:20], v[17:18]
	v_fma_f64 v[10:11], v[19:20], v[15:16], -v[10:11]
	s_delay_alu instid0(VALU_DEP_2) | instskip(NEXT) | instid1(VALU_DEP_2)
	v_fma_f64 v[15:16], v[21:22], v[15:16], v[17:18]
	v_add_f64 v[3:4], v[3:4], v[10:11]
	s_delay_alu instid0(VALU_DEP_2)
	v_add_f64 v[1:2], v[1:2], v[15:16]
	s_and_not1_b32 exec_lo, exec_lo, s3
	s_cbranch_execnz .LBB40_93
; %bb.94:
	s_or_b32 exec_lo, exec_lo, s3
	v_mov_b32_e32 v7, 0
	ds_load_b128 v[7:10], v7 offset:320
	s_waitcnt lgkmcnt(0)
	v_mul_f64 v[11:12], v[1:2], v[9:10]
	v_mul_f64 v[15:16], v[3:4], v[9:10]
	s_delay_alu instid0(VALU_DEP_2) | instskip(NEXT) | instid1(VALU_DEP_2)
	v_fma_f64 v[9:10], v[3:4], v[7:8], -v[11:12]
	v_fma_f64 v[11:12], v[1:2], v[7:8], v[15:16]
	scratch_store_b128 off, v[9:12], off offset:320
.LBB40_95:
	s_or_b32 exec_lo, exec_lo, s2
	s_waitcnt_vscnt null, 0x0
	s_barrier
	buffer_gl0_inv
	scratch_load_b128 v[1:4], v148, off
	s_mov_b32 s2, exec_lo
	s_waitcnt vmcnt(0)
	ds_store_b128 v5, v[1:4]
	s_waitcnt lgkmcnt(0)
	s_barrier
	buffer_gl0_inv
	v_cmpx_gt_u32_e32 21, v124
	s_cbranch_execz .LBB40_99
; %bb.96:
	v_dual_mov_b32 v1, 0 :: v_dual_add_nc_u32 v8, 0x290, v13
	v_dual_mov_b32 v2, 0 :: v_dual_add_nc_u32 v7, -1, v124
	v_or_b32_e32 v9, 8, v14
	s_mov_b32 s3, 0
	s_delay_alu instid0(VALU_DEP_2)
	v_dual_mov_b32 v4, v2 :: v_dual_mov_b32 v3, v1
	.p2align	6
.LBB40_97:                              ; =>This Inner Loop Header: Depth=1
	scratch_load_b128 v[15:18], v9, off offset:-8
	ds_load_b128 v[19:22], v8
	v_add_nc_u32_e32 v7, 1, v7
	v_add_nc_u32_e32 v8, 16, v8
	;; [unrolled: 1-line block ×3, first 2 shown]
	s_delay_alu instid0(VALU_DEP_3) | instskip(SKIP_4) | instid1(VALU_DEP_2)
	v_cmp_lt_u32_e32 vcc_lo, 19, v7
	s_or_b32 s3, vcc_lo, s3
	s_waitcnt vmcnt(0) lgkmcnt(0)
	v_mul_f64 v[10:11], v[21:22], v[17:18]
	v_mul_f64 v[17:18], v[19:20], v[17:18]
	v_fma_f64 v[10:11], v[19:20], v[15:16], -v[10:11]
	s_delay_alu instid0(VALU_DEP_2) | instskip(NEXT) | instid1(VALU_DEP_2)
	v_fma_f64 v[15:16], v[21:22], v[15:16], v[17:18]
	v_add_f64 v[3:4], v[3:4], v[10:11]
	s_delay_alu instid0(VALU_DEP_2)
	v_add_f64 v[1:2], v[1:2], v[15:16]
	s_and_not1_b32 exec_lo, exec_lo, s3
	s_cbranch_execnz .LBB40_97
; %bb.98:
	s_or_b32 exec_lo, exec_lo, s3
	v_mov_b32_e32 v7, 0
	ds_load_b128 v[7:10], v7 offset:336
	s_waitcnt lgkmcnt(0)
	v_mul_f64 v[11:12], v[1:2], v[9:10]
	v_mul_f64 v[15:16], v[3:4], v[9:10]
	s_delay_alu instid0(VALU_DEP_2) | instskip(NEXT) | instid1(VALU_DEP_2)
	v_fma_f64 v[9:10], v[3:4], v[7:8], -v[11:12]
	v_fma_f64 v[11:12], v[1:2], v[7:8], v[15:16]
	scratch_store_b128 off, v[9:12], off offset:336
.LBB40_99:
	s_or_b32 exec_lo, exec_lo, s2
	s_waitcnt_vscnt null, 0x0
	s_barrier
	buffer_gl0_inv
	scratch_load_b128 v[1:4], v147, off
	s_mov_b32 s2, exec_lo
	s_waitcnt vmcnt(0)
	ds_store_b128 v5, v[1:4]
	s_waitcnt lgkmcnt(0)
	s_barrier
	buffer_gl0_inv
	v_cmpx_gt_u32_e32 22, v124
	s_cbranch_execz .LBB40_103
; %bb.100:
	v_dual_mov_b32 v1, 0 :: v_dual_add_nc_u32 v8, 0x290, v13
	v_dual_mov_b32 v2, 0 :: v_dual_add_nc_u32 v7, -1, v124
	v_or_b32_e32 v9, 8, v14
	s_mov_b32 s3, 0
	s_delay_alu instid0(VALU_DEP_2)
	v_dual_mov_b32 v4, v2 :: v_dual_mov_b32 v3, v1
	.p2align	6
.LBB40_101:                             ; =>This Inner Loop Header: Depth=1
	scratch_load_b128 v[15:18], v9, off offset:-8
	ds_load_b128 v[19:22], v8
	v_add_nc_u32_e32 v7, 1, v7
	v_add_nc_u32_e32 v8, 16, v8
	v_add_nc_u32_e32 v9, 16, v9
	s_delay_alu instid0(VALU_DEP_3) | instskip(SKIP_4) | instid1(VALU_DEP_2)
	v_cmp_lt_u32_e32 vcc_lo, 20, v7
	s_or_b32 s3, vcc_lo, s3
	s_waitcnt vmcnt(0) lgkmcnt(0)
	v_mul_f64 v[10:11], v[21:22], v[17:18]
	v_mul_f64 v[17:18], v[19:20], v[17:18]
	v_fma_f64 v[10:11], v[19:20], v[15:16], -v[10:11]
	s_delay_alu instid0(VALU_DEP_2) | instskip(NEXT) | instid1(VALU_DEP_2)
	v_fma_f64 v[15:16], v[21:22], v[15:16], v[17:18]
	v_add_f64 v[3:4], v[3:4], v[10:11]
	s_delay_alu instid0(VALU_DEP_2)
	v_add_f64 v[1:2], v[1:2], v[15:16]
	s_and_not1_b32 exec_lo, exec_lo, s3
	s_cbranch_execnz .LBB40_101
; %bb.102:
	s_or_b32 exec_lo, exec_lo, s3
	v_mov_b32_e32 v7, 0
	ds_load_b128 v[7:10], v7 offset:352
	s_waitcnt lgkmcnt(0)
	v_mul_f64 v[11:12], v[1:2], v[9:10]
	v_mul_f64 v[15:16], v[3:4], v[9:10]
	s_delay_alu instid0(VALU_DEP_2) | instskip(NEXT) | instid1(VALU_DEP_2)
	v_fma_f64 v[9:10], v[3:4], v[7:8], -v[11:12]
	v_fma_f64 v[11:12], v[1:2], v[7:8], v[15:16]
	scratch_store_b128 off, v[9:12], off offset:352
.LBB40_103:
	s_or_b32 exec_lo, exec_lo, s2
	s_waitcnt_vscnt null, 0x0
	s_barrier
	buffer_gl0_inv
	scratch_load_b128 v[1:4], v142, off
	s_mov_b32 s2, exec_lo
	s_waitcnt vmcnt(0)
	ds_store_b128 v5, v[1:4]
	s_waitcnt lgkmcnt(0)
	s_barrier
	buffer_gl0_inv
	v_cmpx_gt_u32_e32 23, v124
	s_cbranch_execz .LBB40_107
; %bb.104:
	v_dual_mov_b32 v1, 0 :: v_dual_add_nc_u32 v8, 0x290, v13
	v_dual_mov_b32 v2, 0 :: v_dual_add_nc_u32 v7, -1, v124
	v_or_b32_e32 v9, 8, v14
	s_mov_b32 s3, 0
	s_delay_alu instid0(VALU_DEP_2)
	v_dual_mov_b32 v4, v2 :: v_dual_mov_b32 v3, v1
	.p2align	6
.LBB40_105:                             ; =>This Inner Loop Header: Depth=1
	scratch_load_b128 v[15:18], v9, off offset:-8
	ds_load_b128 v[19:22], v8
	v_add_nc_u32_e32 v7, 1, v7
	v_add_nc_u32_e32 v8, 16, v8
	;; [unrolled: 1-line block ×3, first 2 shown]
	s_delay_alu instid0(VALU_DEP_3) | instskip(SKIP_4) | instid1(VALU_DEP_2)
	v_cmp_lt_u32_e32 vcc_lo, 21, v7
	s_or_b32 s3, vcc_lo, s3
	s_waitcnt vmcnt(0) lgkmcnt(0)
	v_mul_f64 v[10:11], v[21:22], v[17:18]
	v_mul_f64 v[17:18], v[19:20], v[17:18]
	v_fma_f64 v[10:11], v[19:20], v[15:16], -v[10:11]
	s_delay_alu instid0(VALU_DEP_2) | instskip(NEXT) | instid1(VALU_DEP_2)
	v_fma_f64 v[15:16], v[21:22], v[15:16], v[17:18]
	v_add_f64 v[3:4], v[3:4], v[10:11]
	s_delay_alu instid0(VALU_DEP_2)
	v_add_f64 v[1:2], v[1:2], v[15:16]
	s_and_not1_b32 exec_lo, exec_lo, s3
	s_cbranch_execnz .LBB40_105
; %bb.106:
	s_or_b32 exec_lo, exec_lo, s3
	v_mov_b32_e32 v7, 0
	ds_load_b128 v[7:10], v7 offset:368
	s_waitcnt lgkmcnt(0)
	v_mul_f64 v[11:12], v[1:2], v[9:10]
	v_mul_f64 v[15:16], v[3:4], v[9:10]
	s_delay_alu instid0(VALU_DEP_2) | instskip(NEXT) | instid1(VALU_DEP_2)
	v_fma_f64 v[9:10], v[3:4], v[7:8], -v[11:12]
	v_fma_f64 v[11:12], v[1:2], v[7:8], v[15:16]
	scratch_store_b128 off, v[9:12], off offset:368
.LBB40_107:
	s_or_b32 exec_lo, exec_lo, s2
	s_waitcnt_vscnt null, 0x0
	s_barrier
	buffer_gl0_inv
	scratch_load_b128 v[1:4], v141, off
	s_mov_b32 s2, exec_lo
	s_waitcnt vmcnt(0)
	ds_store_b128 v5, v[1:4]
	s_waitcnt lgkmcnt(0)
	s_barrier
	buffer_gl0_inv
	v_cmpx_gt_u32_e32 24, v124
	s_cbranch_execz .LBB40_111
; %bb.108:
	v_dual_mov_b32 v1, 0 :: v_dual_add_nc_u32 v8, 0x290, v13
	v_dual_mov_b32 v2, 0 :: v_dual_add_nc_u32 v7, -1, v124
	v_or_b32_e32 v9, 8, v14
	s_mov_b32 s3, 0
	s_delay_alu instid0(VALU_DEP_2)
	v_dual_mov_b32 v4, v2 :: v_dual_mov_b32 v3, v1
	.p2align	6
.LBB40_109:                             ; =>This Inner Loop Header: Depth=1
	scratch_load_b128 v[15:18], v9, off offset:-8
	ds_load_b128 v[19:22], v8
	v_add_nc_u32_e32 v7, 1, v7
	v_add_nc_u32_e32 v8, 16, v8
	;; [unrolled: 1-line block ×3, first 2 shown]
	s_delay_alu instid0(VALU_DEP_3) | instskip(SKIP_4) | instid1(VALU_DEP_2)
	v_cmp_lt_u32_e32 vcc_lo, 22, v7
	s_or_b32 s3, vcc_lo, s3
	s_waitcnt vmcnt(0) lgkmcnt(0)
	v_mul_f64 v[10:11], v[21:22], v[17:18]
	v_mul_f64 v[17:18], v[19:20], v[17:18]
	v_fma_f64 v[10:11], v[19:20], v[15:16], -v[10:11]
	s_delay_alu instid0(VALU_DEP_2) | instskip(NEXT) | instid1(VALU_DEP_2)
	v_fma_f64 v[15:16], v[21:22], v[15:16], v[17:18]
	v_add_f64 v[3:4], v[3:4], v[10:11]
	s_delay_alu instid0(VALU_DEP_2)
	v_add_f64 v[1:2], v[1:2], v[15:16]
	s_and_not1_b32 exec_lo, exec_lo, s3
	s_cbranch_execnz .LBB40_109
; %bb.110:
	s_or_b32 exec_lo, exec_lo, s3
	v_mov_b32_e32 v7, 0
	ds_load_b128 v[7:10], v7 offset:384
	s_waitcnt lgkmcnt(0)
	v_mul_f64 v[11:12], v[1:2], v[9:10]
	v_mul_f64 v[15:16], v[3:4], v[9:10]
	s_delay_alu instid0(VALU_DEP_2) | instskip(NEXT) | instid1(VALU_DEP_2)
	v_fma_f64 v[9:10], v[3:4], v[7:8], -v[11:12]
	v_fma_f64 v[11:12], v[1:2], v[7:8], v[15:16]
	scratch_store_b128 off, v[9:12], off offset:384
.LBB40_111:
	s_or_b32 exec_lo, exec_lo, s2
	s_waitcnt_vscnt null, 0x0
	s_barrier
	buffer_gl0_inv
	scratch_load_b128 v[1:4], v139, off
	s_mov_b32 s2, exec_lo
	s_waitcnt vmcnt(0)
	ds_store_b128 v5, v[1:4]
	s_waitcnt lgkmcnt(0)
	s_barrier
	buffer_gl0_inv
	v_cmpx_gt_u32_e32 25, v124
	s_cbranch_execz .LBB40_115
; %bb.112:
	v_dual_mov_b32 v1, 0 :: v_dual_add_nc_u32 v8, 0x290, v13
	v_dual_mov_b32 v2, 0 :: v_dual_add_nc_u32 v7, -1, v124
	v_or_b32_e32 v9, 8, v14
	s_mov_b32 s3, 0
	s_delay_alu instid0(VALU_DEP_2)
	v_dual_mov_b32 v4, v2 :: v_dual_mov_b32 v3, v1
	.p2align	6
.LBB40_113:                             ; =>This Inner Loop Header: Depth=1
	scratch_load_b128 v[15:18], v9, off offset:-8
	ds_load_b128 v[19:22], v8
	v_add_nc_u32_e32 v7, 1, v7
	v_add_nc_u32_e32 v8, 16, v8
	;; [unrolled: 1-line block ×3, first 2 shown]
	s_delay_alu instid0(VALU_DEP_3) | instskip(SKIP_4) | instid1(VALU_DEP_2)
	v_cmp_lt_u32_e32 vcc_lo, 23, v7
	s_or_b32 s3, vcc_lo, s3
	s_waitcnt vmcnt(0) lgkmcnt(0)
	v_mul_f64 v[10:11], v[21:22], v[17:18]
	v_mul_f64 v[17:18], v[19:20], v[17:18]
	v_fma_f64 v[10:11], v[19:20], v[15:16], -v[10:11]
	s_delay_alu instid0(VALU_DEP_2) | instskip(NEXT) | instid1(VALU_DEP_2)
	v_fma_f64 v[15:16], v[21:22], v[15:16], v[17:18]
	v_add_f64 v[3:4], v[3:4], v[10:11]
	s_delay_alu instid0(VALU_DEP_2)
	v_add_f64 v[1:2], v[1:2], v[15:16]
	s_and_not1_b32 exec_lo, exec_lo, s3
	s_cbranch_execnz .LBB40_113
; %bb.114:
	s_or_b32 exec_lo, exec_lo, s3
	v_mov_b32_e32 v7, 0
	ds_load_b128 v[7:10], v7 offset:400
	s_waitcnt lgkmcnt(0)
	v_mul_f64 v[11:12], v[1:2], v[9:10]
	v_mul_f64 v[15:16], v[3:4], v[9:10]
	s_delay_alu instid0(VALU_DEP_2) | instskip(NEXT) | instid1(VALU_DEP_2)
	v_fma_f64 v[9:10], v[3:4], v[7:8], -v[11:12]
	v_fma_f64 v[11:12], v[1:2], v[7:8], v[15:16]
	scratch_store_b128 off, v[9:12], off offset:400
.LBB40_115:
	s_or_b32 exec_lo, exec_lo, s2
	s_waitcnt_vscnt null, 0x0
	s_barrier
	buffer_gl0_inv
	scratch_load_b128 v[1:4], v138, off
	s_mov_b32 s2, exec_lo
	s_waitcnt vmcnt(0)
	ds_store_b128 v5, v[1:4]
	s_waitcnt lgkmcnt(0)
	s_barrier
	buffer_gl0_inv
	v_cmpx_gt_u32_e32 26, v124
	s_cbranch_execz .LBB40_119
; %bb.116:
	v_dual_mov_b32 v1, 0 :: v_dual_add_nc_u32 v8, 0x290, v13
	v_dual_mov_b32 v2, 0 :: v_dual_add_nc_u32 v7, -1, v124
	v_or_b32_e32 v9, 8, v14
	s_mov_b32 s3, 0
	s_delay_alu instid0(VALU_DEP_2)
	v_dual_mov_b32 v4, v2 :: v_dual_mov_b32 v3, v1
	.p2align	6
.LBB40_117:                             ; =>This Inner Loop Header: Depth=1
	scratch_load_b128 v[15:18], v9, off offset:-8
	ds_load_b128 v[19:22], v8
	v_add_nc_u32_e32 v7, 1, v7
	v_add_nc_u32_e32 v8, 16, v8
	;; [unrolled: 1-line block ×3, first 2 shown]
	s_delay_alu instid0(VALU_DEP_3) | instskip(SKIP_4) | instid1(VALU_DEP_2)
	v_cmp_lt_u32_e32 vcc_lo, 24, v7
	s_or_b32 s3, vcc_lo, s3
	s_waitcnt vmcnt(0) lgkmcnt(0)
	v_mul_f64 v[10:11], v[21:22], v[17:18]
	v_mul_f64 v[17:18], v[19:20], v[17:18]
	v_fma_f64 v[10:11], v[19:20], v[15:16], -v[10:11]
	s_delay_alu instid0(VALU_DEP_2) | instskip(NEXT) | instid1(VALU_DEP_2)
	v_fma_f64 v[15:16], v[21:22], v[15:16], v[17:18]
	v_add_f64 v[3:4], v[3:4], v[10:11]
	s_delay_alu instid0(VALU_DEP_2)
	v_add_f64 v[1:2], v[1:2], v[15:16]
	s_and_not1_b32 exec_lo, exec_lo, s3
	s_cbranch_execnz .LBB40_117
; %bb.118:
	s_or_b32 exec_lo, exec_lo, s3
	v_mov_b32_e32 v7, 0
	ds_load_b128 v[7:10], v7 offset:416
	s_waitcnt lgkmcnt(0)
	v_mul_f64 v[11:12], v[1:2], v[9:10]
	v_mul_f64 v[15:16], v[3:4], v[9:10]
	s_delay_alu instid0(VALU_DEP_2) | instskip(NEXT) | instid1(VALU_DEP_2)
	v_fma_f64 v[9:10], v[3:4], v[7:8], -v[11:12]
	v_fma_f64 v[11:12], v[1:2], v[7:8], v[15:16]
	scratch_store_b128 off, v[9:12], off offset:416
.LBB40_119:
	s_or_b32 exec_lo, exec_lo, s2
	s_waitcnt_vscnt null, 0x0
	s_barrier
	buffer_gl0_inv
	scratch_load_b128 v[1:4], v133, off
	s_mov_b32 s2, exec_lo
	s_waitcnt vmcnt(0)
	ds_store_b128 v5, v[1:4]
	s_waitcnt lgkmcnt(0)
	s_barrier
	buffer_gl0_inv
	v_cmpx_gt_u32_e32 27, v124
	s_cbranch_execz .LBB40_123
; %bb.120:
	v_dual_mov_b32 v1, 0 :: v_dual_add_nc_u32 v8, 0x290, v13
	v_dual_mov_b32 v2, 0 :: v_dual_add_nc_u32 v7, -1, v124
	v_or_b32_e32 v9, 8, v14
	s_mov_b32 s3, 0
	s_delay_alu instid0(VALU_DEP_2)
	v_dual_mov_b32 v4, v2 :: v_dual_mov_b32 v3, v1
	.p2align	6
.LBB40_121:                             ; =>This Inner Loop Header: Depth=1
	scratch_load_b128 v[15:18], v9, off offset:-8
	ds_load_b128 v[19:22], v8
	v_add_nc_u32_e32 v7, 1, v7
	v_add_nc_u32_e32 v8, 16, v8
	;; [unrolled: 1-line block ×3, first 2 shown]
	s_delay_alu instid0(VALU_DEP_3) | instskip(SKIP_4) | instid1(VALU_DEP_2)
	v_cmp_lt_u32_e32 vcc_lo, 25, v7
	s_or_b32 s3, vcc_lo, s3
	s_waitcnt vmcnt(0) lgkmcnt(0)
	v_mul_f64 v[10:11], v[21:22], v[17:18]
	v_mul_f64 v[17:18], v[19:20], v[17:18]
	v_fma_f64 v[10:11], v[19:20], v[15:16], -v[10:11]
	s_delay_alu instid0(VALU_DEP_2) | instskip(NEXT) | instid1(VALU_DEP_2)
	v_fma_f64 v[15:16], v[21:22], v[15:16], v[17:18]
	v_add_f64 v[3:4], v[3:4], v[10:11]
	s_delay_alu instid0(VALU_DEP_2)
	v_add_f64 v[1:2], v[1:2], v[15:16]
	s_and_not1_b32 exec_lo, exec_lo, s3
	s_cbranch_execnz .LBB40_121
; %bb.122:
	s_or_b32 exec_lo, exec_lo, s3
	v_mov_b32_e32 v7, 0
	ds_load_b128 v[7:10], v7 offset:432
	s_waitcnt lgkmcnt(0)
	v_mul_f64 v[11:12], v[1:2], v[9:10]
	v_mul_f64 v[15:16], v[3:4], v[9:10]
	s_delay_alu instid0(VALU_DEP_2) | instskip(NEXT) | instid1(VALU_DEP_2)
	v_fma_f64 v[9:10], v[3:4], v[7:8], -v[11:12]
	v_fma_f64 v[11:12], v[1:2], v[7:8], v[15:16]
	scratch_store_b128 off, v[9:12], off offset:432
.LBB40_123:
	s_or_b32 exec_lo, exec_lo, s2
	s_waitcnt_vscnt null, 0x0
	s_barrier
	buffer_gl0_inv
	scratch_load_b128 v[1:4], v132, off
	s_mov_b32 s2, exec_lo
	s_waitcnt vmcnt(0)
	ds_store_b128 v5, v[1:4]
	s_waitcnt lgkmcnt(0)
	s_barrier
	buffer_gl0_inv
	v_cmpx_gt_u32_e32 28, v124
	s_cbranch_execz .LBB40_127
; %bb.124:
	v_dual_mov_b32 v1, 0 :: v_dual_add_nc_u32 v8, 0x290, v13
	v_dual_mov_b32 v2, 0 :: v_dual_add_nc_u32 v7, -1, v124
	v_or_b32_e32 v9, 8, v14
	s_mov_b32 s3, 0
	s_delay_alu instid0(VALU_DEP_2)
	v_dual_mov_b32 v4, v2 :: v_dual_mov_b32 v3, v1
	.p2align	6
.LBB40_125:                             ; =>This Inner Loop Header: Depth=1
	scratch_load_b128 v[15:18], v9, off offset:-8
	ds_load_b128 v[19:22], v8
	v_add_nc_u32_e32 v7, 1, v7
	v_add_nc_u32_e32 v8, 16, v8
	;; [unrolled: 1-line block ×3, first 2 shown]
	s_delay_alu instid0(VALU_DEP_3) | instskip(SKIP_4) | instid1(VALU_DEP_2)
	v_cmp_lt_u32_e32 vcc_lo, 26, v7
	s_or_b32 s3, vcc_lo, s3
	s_waitcnt vmcnt(0) lgkmcnt(0)
	v_mul_f64 v[10:11], v[21:22], v[17:18]
	v_mul_f64 v[17:18], v[19:20], v[17:18]
	v_fma_f64 v[10:11], v[19:20], v[15:16], -v[10:11]
	s_delay_alu instid0(VALU_DEP_2) | instskip(NEXT) | instid1(VALU_DEP_2)
	v_fma_f64 v[15:16], v[21:22], v[15:16], v[17:18]
	v_add_f64 v[3:4], v[3:4], v[10:11]
	s_delay_alu instid0(VALU_DEP_2)
	v_add_f64 v[1:2], v[1:2], v[15:16]
	s_and_not1_b32 exec_lo, exec_lo, s3
	s_cbranch_execnz .LBB40_125
; %bb.126:
	s_or_b32 exec_lo, exec_lo, s3
	v_mov_b32_e32 v7, 0
	ds_load_b128 v[7:10], v7 offset:448
	s_waitcnt lgkmcnt(0)
	v_mul_f64 v[11:12], v[1:2], v[9:10]
	v_mul_f64 v[15:16], v[3:4], v[9:10]
	s_delay_alu instid0(VALU_DEP_2) | instskip(NEXT) | instid1(VALU_DEP_2)
	v_fma_f64 v[9:10], v[3:4], v[7:8], -v[11:12]
	v_fma_f64 v[11:12], v[1:2], v[7:8], v[15:16]
	scratch_store_b128 off, v[9:12], off offset:448
.LBB40_127:
	s_or_b32 exec_lo, exec_lo, s2
	s_waitcnt_vscnt null, 0x0
	s_barrier
	buffer_gl0_inv
	scratch_load_b128 v[1:4], v125, off
	s_mov_b32 s2, exec_lo
	s_waitcnt vmcnt(0)
	ds_store_b128 v5, v[1:4]
	s_waitcnt lgkmcnt(0)
	s_barrier
	buffer_gl0_inv
	v_cmpx_gt_u32_e32 29, v124
	s_cbranch_execz .LBB40_131
; %bb.128:
	v_dual_mov_b32 v1, 0 :: v_dual_add_nc_u32 v8, 0x290, v13
	v_dual_mov_b32 v2, 0 :: v_dual_add_nc_u32 v7, -1, v124
	v_or_b32_e32 v9, 8, v14
	s_mov_b32 s3, 0
	s_delay_alu instid0(VALU_DEP_2)
	v_dual_mov_b32 v4, v2 :: v_dual_mov_b32 v3, v1
	.p2align	6
.LBB40_129:                             ; =>This Inner Loop Header: Depth=1
	scratch_load_b128 v[15:18], v9, off offset:-8
	ds_load_b128 v[19:22], v8
	v_add_nc_u32_e32 v7, 1, v7
	v_add_nc_u32_e32 v8, 16, v8
	;; [unrolled: 1-line block ×3, first 2 shown]
	s_delay_alu instid0(VALU_DEP_3) | instskip(SKIP_4) | instid1(VALU_DEP_2)
	v_cmp_lt_u32_e32 vcc_lo, 27, v7
	s_or_b32 s3, vcc_lo, s3
	s_waitcnt vmcnt(0) lgkmcnt(0)
	v_mul_f64 v[10:11], v[21:22], v[17:18]
	v_mul_f64 v[17:18], v[19:20], v[17:18]
	v_fma_f64 v[10:11], v[19:20], v[15:16], -v[10:11]
	s_delay_alu instid0(VALU_DEP_2) | instskip(NEXT) | instid1(VALU_DEP_2)
	v_fma_f64 v[15:16], v[21:22], v[15:16], v[17:18]
	v_add_f64 v[3:4], v[3:4], v[10:11]
	s_delay_alu instid0(VALU_DEP_2)
	v_add_f64 v[1:2], v[1:2], v[15:16]
	s_and_not1_b32 exec_lo, exec_lo, s3
	s_cbranch_execnz .LBB40_129
; %bb.130:
	s_or_b32 exec_lo, exec_lo, s3
	v_mov_b32_e32 v7, 0
	ds_load_b128 v[7:10], v7 offset:464
	s_waitcnt lgkmcnt(0)
	v_mul_f64 v[11:12], v[1:2], v[9:10]
	v_mul_f64 v[15:16], v[3:4], v[9:10]
	s_delay_alu instid0(VALU_DEP_2) | instskip(NEXT) | instid1(VALU_DEP_2)
	v_fma_f64 v[9:10], v[3:4], v[7:8], -v[11:12]
	v_fma_f64 v[11:12], v[1:2], v[7:8], v[15:16]
	scratch_store_b128 off, v[9:12], off offset:464
.LBB40_131:
	s_or_b32 exec_lo, exec_lo, s2
	s_waitcnt_vscnt null, 0x0
	s_barrier
	buffer_gl0_inv
	scratch_load_b128 v[1:4], v140, off
	s_mov_b32 s2, exec_lo
	s_waitcnt vmcnt(0)
	ds_store_b128 v5, v[1:4]
	s_waitcnt lgkmcnt(0)
	s_barrier
	buffer_gl0_inv
	v_cmpx_gt_u32_e32 30, v124
	s_cbranch_execz .LBB40_135
; %bb.132:
	v_dual_mov_b32 v1, 0 :: v_dual_add_nc_u32 v8, 0x290, v13
	v_dual_mov_b32 v2, 0 :: v_dual_add_nc_u32 v7, -1, v124
	v_or_b32_e32 v9, 8, v14
	s_mov_b32 s3, 0
	s_delay_alu instid0(VALU_DEP_2)
	v_dual_mov_b32 v4, v2 :: v_dual_mov_b32 v3, v1
	.p2align	6
.LBB40_133:                             ; =>This Inner Loop Header: Depth=1
	scratch_load_b128 v[15:18], v9, off offset:-8
	ds_load_b128 v[19:22], v8
	v_add_nc_u32_e32 v7, 1, v7
	v_add_nc_u32_e32 v8, 16, v8
	;; [unrolled: 1-line block ×3, first 2 shown]
	s_delay_alu instid0(VALU_DEP_3) | instskip(SKIP_4) | instid1(VALU_DEP_2)
	v_cmp_lt_u32_e32 vcc_lo, 28, v7
	s_or_b32 s3, vcc_lo, s3
	s_waitcnt vmcnt(0) lgkmcnt(0)
	v_mul_f64 v[10:11], v[21:22], v[17:18]
	v_mul_f64 v[17:18], v[19:20], v[17:18]
	v_fma_f64 v[10:11], v[19:20], v[15:16], -v[10:11]
	s_delay_alu instid0(VALU_DEP_2) | instskip(NEXT) | instid1(VALU_DEP_2)
	v_fma_f64 v[15:16], v[21:22], v[15:16], v[17:18]
	v_add_f64 v[3:4], v[3:4], v[10:11]
	s_delay_alu instid0(VALU_DEP_2)
	v_add_f64 v[1:2], v[1:2], v[15:16]
	s_and_not1_b32 exec_lo, exec_lo, s3
	s_cbranch_execnz .LBB40_133
; %bb.134:
	s_or_b32 exec_lo, exec_lo, s3
	v_mov_b32_e32 v7, 0
	ds_load_b128 v[7:10], v7 offset:480
	s_waitcnt lgkmcnt(0)
	v_mul_f64 v[11:12], v[1:2], v[9:10]
	v_mul_f64 v[15:16], v[3:4], v[9:10]
	s_delay_alu instid0(VALU_DEP_2) | instskip(NEXT) | instid1(VALU_DEP_2)
	v_fma_f64 v[9:10], v[3:4], v[7:8], -v[11:12]
	v_fma_f64 v[11:12], v[1:2], v[7:8], v[15:16]
	scratch_store_b128 off, v[9:12], off offset:480
.LBB40_135:
	s_or_b32 exec_lo, exec_lo, s2
	s_waitcnt_vscnt null, 0x0
	s_barrier
	buffer_gl0_inv
	scratch_load_b128 v[1:4], v137, off
	s_mov_b32 s2, exec_lo
	s_waitcnt vmcnt(0)
	ds_store_b128 v5, v[1:4]
	s_waitcnt lgkmcnt(0)
	s_barrier
	buffer_gl0_inv
	v_cmpx_gt_u32_e32 31, v124
	s_cbranch_execz .LBB40_139
; %bb.136:
	v_dual_mov_b32 v1, 0 :: v_dual_add_nc_u32 v8, 0x290, v13
	v_dual_mov_b32 v2, 0 :: v_dual_add_nc_u32 v7, -1, v124
	v_or_b32_e32 v9, 8, v14
	s_mov_b32 s3, 0
	s_delay_alu instid0(VALU_DEP_2)
	v_dual_mov_b32 v4, v2 :: v_dual_mov_b32 v3, v1
	.p2align	6
.LBB40_137:                             ; =>This Inner Loop Header: Depth=1
	scratch_load_b128 v[15:18], v9, off offset:-8
	ds_load_b128 v[19:22], v8
	v_add_nc_u32_e32 v7, 1, v7
	v_add_nc_u32_e32 v8, 16, v8
	;; [unrolled: 1-line block ×3, first 2 shown]
	s_delay_alu instid0(VALU_DEP_3) | instskip(SKIP_4) | instid1(VALU_DEP_2)
	v_cmp_lt_u32_e32 vcc_lo, 29, v7
	s_or_b32 s3, vcc_lo, s3
	s_waitcnt vmcnt(0) lgkmcnt(0)
	v_mul_f64 v[10:11], v[21:22], v[17:18]
	v_mul_f64 v[17:18], v[19:20], v[17:18]
	v_fma_f64 v[10:11], v[19:20], v[15:16], -v[10:11]
	s_delay_alu instid0(VALU_DEP_2) | instskip(NEXT) | instid1(VALU_DEP_2)
	v_fma_f64 v[15:16], v[21:22], v[15:16], v[17:18]
	v_add_f64 v[3:4], v[3:4], v[10:11]
	s_delay_alu instid0(VALU_DEP_2)
	v_add_f64 v[1:2], v[1:2], v[15:16]
	s_and_not1_b32 exec_lo, exec_lo, s3
	s_cbranch_execnz .LBB40_137
; %bb.138:
	s_or_b32 exec_lo, exec_lo, s3
	v_mov_b32_e32 v7, 0
	ds_load_b128 v[7:10], v7 offset:496
	s_waitcnt lgkmcnt(0)
	v_mul_f64 v[11:12], v[1:2], v[9:10]
	v_mul_f64 v[15:16], v[3:4], v[9:10]
	s_delay_alu instid0(VALU_DEP_2) | instskip(NEXT) | instid1(VALU_DEP_2)
	v_fma_f64 v[9:10], v[3:4], v[7:8], -v[11:12]
	v_fma_f64 v[11:12], v[1:2], v[7:8], v[15:16]
	scratch_store_b128 off, v[9:12], off offset:496
.LBB40_139:
	s_or_b32 exec_lo, exec_lo, s2
	s_waitcnt_vscnt null, 0x0
	s_barrier
	buffer_gl0_inv
	scratch_load_b128 v[1:4], v136, off
	s_mov_b32 s2, exec_lo
	s_waitcnt vmcnt(0)
	ds_store_b128 v5, v[1:4]
	s_waitcnt lgkmcnt(0)
	s_barrier
	buffer_gl0_inv
	v_cmpx_gt_u32_e32 32, v124
	s_cbranch_execz .LBB40_143
; %bb.140:
	v_dual_mov_b32 v1, 0 :: v_dual_add_nc_u32 v8, 0x290, v13
	v_dual_mov_b32 v2, 0 :: v_dual_add_nc_u32 v7, -1, v124
	v_or_b32_e32 v9, 8, v14
	s_mov_b32 s3, 0
	s_delay_alu instid0(VALU_DEP_2)
	v_dual_mov_b32 v4, v2 :: v_dual_mov_b32 v3, v1
	.p2align	6
.LBB40_141:                             ; =>This Inner Loop Header: Depth=1
	scratch_load_b128 v[15:18], v9, off offset:-8
	ds_load_b128 v[19:22], v8
	v_add_nc_u32_e32 v7, 1, v7
	v_add_nc_u32_e32 v8, 16, v8
	;; [unrolled: 1-line block ×3, first 2 shown]
	s_delay_alu instid0(VALU_DEP_3) | instskip(SKIP_4) | instid1(VALU_DEP_2)
	v_cmp_lt_u32_e32 vcc_lo, 30, v7
	s_or_b32 s3, vcc_lo, s3
	s_waitcnt vmcnt(0) lgkmcnt(0)
	v_mul_f64 v[10:11], v[21:22], v[17:18]
	v_mul_f64 v[17:18], v[19:20], v[17:18]
	v_fma_f64 v[10:11], v[19:20], v[15:16], -v[10:11]
	s_delay_alu instid0(VALU_DEP_2) | instskip(NEXT) | instid1(VALU_DEP_2)
	v_fma_f64 v[15:16], v[21:22], v[15:16], v[17:18]
	v_add_f64 v[3:4], v[3:4], v[10:11]
	s_delay_alu instid0(VALU_DEP_2)
	v_add_f64 v[1:2], v[1:2], v[15:16]
	s_and_not1_b32 exec_lo, exec_lo, s3
	s_cbranch_execnz .LBB40_141
; %bb.142:
	s_or_b32 exec_lo, exec_lo, s3
	v_mov_b32_e32 v7, 0
	ds_load_b128 v[7:10], v7 offset:512
	s_waitcnt lgkmcnt(0)
	v_mul_f64 v[11:12], v[1:2], v[9:10]
	v_mul_f64 v[15:16], v[3:4], v[9:10]
	s_delay_alu instid0(VALU_DEP_2) | instskip(NEXT) | instid1(VALU_DEP_2)
	v_fma_f64 v[9:10], v[3:4], v[7:8], -v[11:12]
	v_fma_f64 v[11:12], v[1:2], v[7:8], v[15:16]
	scratch_store_b128 off, v[9:12], off offset:512
.LBB40_143:
	s_or_b32 exec_lo, exec_lo, s2
	s_waitcnt_vscnt null, 0x0
	s_barrier
	buffer_gl0_inv
	scratch_load_b128 v[1:4], v135, off
	s_mov_b32 s2, exec_lo
	s_waitcnt vmcnt(0)
	ds_store_b128 v5, v[1:4]
	s_waitcnt lgkmcnt(0)
	s_barrier
	buffer_gl0_inv
	v_cmpx_gt_u32_e32 33, v124
	s_cbranch_execz .LBB40_147
; %bb.144:
	v_dual_mov_b32 v1, 0 :: v_dual_add_nc_u32 v8, 0x290, v13
	v_dual_mov_b32 v2, 0 :: v_dual_add_nc_u32 v7, -1, v124
	v_or_b32_e32 v9, 8, v14
	s_mov_b32 s3, 0
	s_delay_alu instid0(VALU_DEP_2)
	v_dual_mov_b32 v4, v2 :: v_dual_mov_b32 v3, v1
	.p2align	6
.LBB40_145:                             ; =>This Inner Loop Header: Depth=1
	scratch_load_b128 v[15:18], v9, off offset:-8
	ds_load_b128 v[19:22], v8
	v_add_nc_u32_e32 v7, 1, v7
	v_add_nc_u32_e32 v8, 16, v8
	;; [unrolled: 1-line block ×3, first 2 shown]
	s_delay_alu instid0(VALU_DEP_3) | instskip(SKIP_4) | instid1(VALU_DEP_2)
	v_cmp_lt_u32_e32 vcc_lo, 31, v7
	s_or_b32 s3, vcc_lo, s3
	s_waitcnt vmcnt(0) lgkmcnt(0)
	v_mul_f64 v[10:11], v[21:22], v[17:18]
	v_mul_f64 v[17:18], v[19:20], v[17:18]
	v_fma_f64 v[10:11], v[19:20], v[15:16], -v[10:11]
	s_delay_alu instid0(VALU_DEP_2) | instskip(NEXT) | instid1(VALU_DEP_2)
	v_fma_f64 v[15:16], v[21:22], v[15:16], v[17:18]
	v_add_f64 v[3:4], v[3:4], v[10:11]
	s_delay_alu instid0(VALU_DEP_2)
	v_add_f64 v[1:2], v[1:2], v[15:16]
	s_and_not1_b32 exec_lo, exec_lo, s3
	s_cbranch_execnz .LBB40_145
; %bb.146:
	s_or_b32 exec_lo, exec_lo, s3
	v_mov_b32_e32 v7, 0
	ds_load_b128 v[7:10], v7 offset:528
	s_waitcnt lgkmcnt(0)
	v_mul_f64 v[11:12], v[1:2], v[9:10]
	v_mul_f64 v[15:16], v[3:4], v[9:10]
	s_delay_alu instid0(VALU_DEP_2) | instskip(NEXT) | instid1(VALU_DEP_2)
	v_fma_f64 v[9:10], v[3:4], v[7:8], -v[11:12]
	v_fma_f64 v[11:12], v[1:2], v[7:8], v[15:16]
	scratch_store_b128 off, v[9:12], off offset:528
.LBB40_147:
	s_or_b32 exec_lo, exec_lo, s2
	s_waitcnt_vscnt null, 0x0
	s_barrier
	buffer_gl0_inv
	scratch_load_b128 v[1:4], v134, off
	s_mov_b32 s2, exec_lo
	s_waitcnt vmcnt(0)
	ds_store_b128 v5, v[1:4]
	s_waitcnt lgkmcnt(0)
	s_barrier
	buffer_gl0_inv
	v_cmpx_gt_u32_e32 34, v124
	s_cbranch_execz .LBB40_151
; %bb.148:
	v_dual_mov_b32 v1, 0 :: v_dual_add_nc_u32 v8, 0x290, v13
	v_dual_mov_b32 v2, 0 :: v_dual_add_nc_u32 v7, -1, v124
	v_or_b32_e32 v9, 8, v14
	s_mov_b32 s3, 0
	s_delay_alu instid0(VALU_DEP_2)
	v_dual_mov_b32 v4, v2 :: v_dual_mov_b32 v3, v1
	.p2align	6
.LBB40_149:                             ; =>This Inner Loop Header: Depth=1
	scratch_load_b128 v[15:18], v9, off offset:-8
	ds_load_b128 v[19:22], v8
	v_add_nc_u32_e32 v7, 1, v7
	v_add_nc_u32_e32 v8, 16, v8
	;; [unrolled: 1-line block ×3, first 2 shown]
	s_delay_alu instid0(VALU_DEP_3) | instskip(SKIP_4) | instid1(VALU_DEP_2)
	v_cmp_lt_u32_e32 vcc_lo, 32, v7
	s_or_b32 s3, vcc_lo, s3
	s_waitcnt vmcnt(0) lgkmcnt(0)
	v_mul_f64 v[10:11], v[21:22], v[17:18]
	v_mul_f64 v[17:18], v[19:20], v[17:18]
	v_fma_f64 v[10:11], v[19:20], v[15:16], -v[10:11]
	s_delay_alu instid0(VALU_DEP_2) | instskip(NEXT) | instid1(VALU_DEP_2)
	v_fma_f64 v[15:16], v[21:22], v[15:16], v[17:18]
	v_add_f64 v[3:4], v[3:4], v[10:11]
	s_delay_alu instid0(VALU_DEP_2)
	v_add_f64 v[1:2], v[1:2], v[15:16]
	s_and_not1_b32 exec_lo, exec_lo, s3
	s_cbranch_execnz .LBB40_149
; %bb.150:
	s_or_b32 exec_lo, exec_lo, s3
	v_mov_b32_e32 v7, 0
	ds_load_b128 v[7:10], v7 offset:544
	s_waitcnt lgkmcnt(0)
	v_mul_f64 v[11:12], v[1:2], v[9:10]
	v_mul_f64 v[15:16], v[3:4], v[9:10]
	s_delay_alu instid0(VALU_DEP_2) | instskip(NEXT) | instid1(VALU_DEP_2)
	v_fma_f64 v[9:10], v[3:4], v[7:8], -v[11:12]
	v_fma_f64 v[11:12], v[1:2], v[7:8], v[15:16]
	scratch_store_b128 off, v[9:12], off offset:544
.LBB40_151:
	s_or_b32 exec_lo, exec_lo, s2
	s_waitcnt_vscnt null, 0x0
	s_barrier
	buffer_gl0_inv
	scratch_load_b128 v[1:4], v131, off
	s_mov_b32 s2, exec_lo
	s_waitcnt vmcnt(0)
	ds_store_b128 v5, v[1:4]
	s_waitcnt lgkmcnt(0)
	s_barrier
	buffer_gl0_inv
	v_cmpx_gt_u32_e32 35, v124
	s_cbranch_execz .LBB40_155
; %bb.152:
	v_dual_mov_b32 v1, 0 :: v_dual_add_nc_u32 v8, 0x290, v13
	v_dual_mov_b32 v2, 0 :: v_dual_add_nc_u32 v7, -1, v124
	v_or_b32_e32 v9, 8, v14
	s_mov_b32 s3, 0
	s_delay_alu instid0(VALU_DEP_2)
	v_dual_mov_b32 v4, v2 :: v_dual_mov_b32 v3, v1
	.p2align	6
.LBB40_153:                             ; =>This Inner Loop Header: Depth=1
	scratch_load_b128 v[15:18], v9, off offset:-8
	ds_load_b128 v[19:22], v8
	v_add_nc_u32_e32 v7, 1, v7
	v_add_nc_u32_e32 v8, 16, v8
	;; [unrolled: 1-line block ×3, first 2 shown]
	s_delay_alu instid0(VALU_DEP_3) | instskip(SKIP_4) | instid1(VALU_DEP_2)
	v_cmp_lt_u32_e32 vcc_lo, 33, v7
	s_or_b32 s3, vcc_lo, s3
	s_waitcnt vmcnt(0) lgkmcnt(0)
	v_mul_f64 v[10:11], v[21:22], v[17:18]
	v_mul_f64 v[17:18], v[19:20], v[17:18]
	v_fma_f64 v[10:11], v[19:20], v[15:16], -v[10:11]
	s_delay_alu instid0(VALU_DEP_2) | instskip(NEXT) | instid1(VALU_DEP_2)
	v_fma_f64 v[15:16], v[21:22], v[15:16], v[17:18]
	v_add_f64 v[3:4], v[3:4], v[10:11]
	s_delay_alu instid0(VALU_DEP_2)
	v_add_f64 v[1:2], v[1:2], v[15:16]
	s_and_not1_b32 exec_lo, exec_lo, s3
	s_cbranch_execnz .LBB40_153
; %bb.154:
	s_or_b32 exec_lo, exec_lo, s3
	v_mov_b32_e32 v7, 0
	ds_load_b128 v[7:10], v7 offset:560
	s_waitcnt lgkmcnt(0)
	v_mul_f64 v[11:12], v[1:2], v[9:10]
	v_mul_f64 v[15:16], v[3:4], v[9:10]
	s_delay_alu instid0(VALU_DEP_2) | instskip(NEXT) | instid1(VALU_DEP_2)
	v_fma_f64 v[9:10], v[3:4], v[7:8], -v[11:12]
	v_fma_f64 v[11:12], v[1:2], v[7:8], v[15:16]
	scratch_store_b128 off, v[9:12], off offset:560
.LBB40_155:
	s_or_b32 exec_lo, exec_lo, s2
	s_waitcnt_vscnt null, 0x0
	s_barrier
	buffer_gl0_inv
	scratch_load_b128 v[1:4], v130, off
	s_mov_b32 s2, exec_lo
	s_waitcnt vmcnt(0)
	ds_store_b128 v5, v[1:4]
	s_waitcnt lgkmcnt(0)
	s_barrier
	buffer_gl0_inv
	v_cmpx_gt_u32_e32 36, v124
	s_cbranch_execz .LBB40_159
; %bb.156:
	v_dual_mov_b32 v1, 0 :: v_dual_add_nc_u32 v8, 0x290, v13
	v_dual_mov_b32 v2, 0 :: v_dual_add_nc_u32 v7, -1, v124
	v_or_b32_e32 v9, 8, v14
	s_mov_b32 s3, 0
	s_delay_alu instid0(VALU_DEP_2)
	v_dual_mov_b32 v4, v2 :: v_dual_mov_b32 v3, v1
	.p2align	6
.LBB40_157:                             ; =>This Inner Loop Header: Depth=1
	scratch_load_b128 v[15:18], v9, off offset:-8
	ds_load_b128 v[19:22], v8
	v_add_nc_u32_e32 v7, 1, v7
	v_add_nc_u32_e32 v8, 16, v8
	;; [unrolled: 1-line block ×3, first 2 shown]
	s_delay_alu instid0(VALU_DEP_3) | instskip(SKIP_4) | instid1(VALU_DEP_2)
	v_cmp_lt_u32_e32 vcc_lo, 34, v7
	s_or_b32 s3, vcc_lo, s3
	s_waitcnt vmcnt(0) lgkmcnt(0)
	v_mul_f64 v[10:11], v[21:22], v[17:18]
	v_mul_f64 v[17:18], v[19:20], v[17:18]
	v_fma_f64 v[10:11], v[19:20], v[15:16], -v[10:11]
	s_delay_alu instid0(VALU_DEP_2) | instskip(NEXT) | instid1(VALU_DEP_2)
	v_fma_f64 v[15:16], v[21:22], v[15:16], v[17:18]
	v_add_f64 v[3:4], v[3:4], v[10:11]
	s_delay_alu instid0(VALU_DEP_2)
	v_add_f64 v[1:2], v[1:2], v[15:16]
	s_and_not1_b32 exec_lo, exec_lo, s3
	s_cbranch_execnz .LBB40_157
; %bb.158:
	s_or_b32 exec_lo, exec_lo, s3
	v_mov_b32_e32 v7, 0
	ds_load_b128 v[7:10], v7 offset:576
	s_waitcnt lgkmcnt(0)
	v_mul_f64 v[11:12], v[1:2], v[9:10]
	v_mul_f64 v[15:16], v[3:4], v[9:10]
	s_delay_alu instid0(VALU_DEP_2) | instskip(NEXT) | instid1(VALU_DEP_2)
	v_fma_f64 v[9:10], v[3:4], v[7:8], -v[11:12]
	v_fma_f64 v[11:12], v[1:2], v[7:8], v[15:16]
	scratch_store_b128 off, v[9:12], off offset:576
.LBB40_159:
	s_or_b32 exec_lo, exec_lo, s2
	s_waitcnt_vscnt null, 0x0
	s_barrier
	buffer_gl0_inv
	scratch_load_b128 v[1:4], v129, off
	s_mov_b32 s2, exec_lo
	s_waitcnt vmcnt(0)
	ds_store_b128 v5, v[1:4]
	s_waitcnt lgkmcnt(0)
	s_barrier
	buffer_gl0_inv
	v_cmpx_gt_u32_e32 37, v124
	s_cbranch_execz .LBB40_163
; %bb.160:
	v_dual_mov_b32 v1, 0 :: v_dual_add_nc_u32 v8, 0x290, v13
	v_dual_mov_b32 v2, 0 :: v_dual_add_nc_u32 v7, -1, v124
	v_or_b32_e32 v9, 8, v14
	s_mov_b32 s3, 0
	s_delay_alu instid0(VALU_DEP_2)
	v_dual_mov_b32 v4, v2 :: v_dual_mov_b32 v3, v1
	.p2align	6
.LBB40_161:                             ; =>This Inner Loop Header: Depth=1
	scratch_load_b128 v[15:18], v9, off offset:-8
	ds_load_b128 v[19:22], v8
	v_add_nc_u32_e32 v7, 1, v7
	v_add_nc_u32_e32 v8, 16, v8
	v_add_nc_u32_e32 v9, 16, v9
	s_delay_alu instid0(VALU_DEP_3) | instskip(SKIP_4) | instid1(VALU_DEP_2)
	v_cmp_lt_u32_e32 vcc_lo, 35, v7
	s_or_b32 s3, vcc_lo, s3
	s_waitcnt vmcnt(0) lgkmcnt(0)
	v_mul_f64 v[10:11], v[21:22], v[17:18]
	v_mul_f64 v[17:18], v[19:20], v[17:18]
	v_fma_f64 v[10:11], v[19:20], v[15:16], -v[10:11]
	s_delay_alu instid0(VALU_DEP_2) | instskip(NEXT) | instid1(VALU_DEP_2)
	v_fma_f64 v[15:16], v[21:22], v[15:16], v[17:18]
	v_add_f64 v[3:4], v[3:4], v[10:11]
	s_delay_alu instid0(VALU_DEP_2)
	v_add_f64 v[1:2], v[1:2], v[15:16]
	s_and_not1_b32 exec_lo, exec_lo, s3
	s_cbranch_execnz .LBB40_161
; %bb.162:
	s_or_b32 exec_lo, exec_lo, s3
	v_mov_b32_e32 v7, 0
	ds_load_b128 v[7:10], v7 offset:592
	s_waitcnt lgkmcnt(0)
	v_mul_f64 v[11:12], v[1:2], v[9:10]
	v_mul_f64 v[15:16], v[3:4], v[9:10]
	s_delay_alu instid0(VALU_DEP_2) | instskip(NEXT) | instid1(VALU_DEP_2)
	v_fma_f64 v[9:10], v[3:4], v[7:8], -v[11:12]
	v_fma_f64 v[11:12], v[1:2], v[7:8], v[15:16]
	scratch_store_b128 off, v[9:12], off offset:592
.LBB40_163:
	s_or_b32 exec_lo, exec_lo, s2
	s_waitcnt_vscnt null, 0x0
	s_barrier
	buffer_gl0_inv
	scratch_load_b128 v[1:4], v128, off
	s_mov_b32 s2, exec_lo
	s_waitcnt vmcnt(0)
	ds_store_b128 v5, v[1:4]
	s_waitcnt lgkmcnt(0)
	s_barrier
	buffer_gl0_inv
	v_cmpx_gt_u32_e32 38, v124
	s_cbranch_execz .LBB40_167
; %bb.164:
	v_dual_mov_b32 v1, 0 :: v_dual_add_nc_u32 v8, 0x290, v13
	v_dual_mov_b32 v2, 0 :: v_dual_add_nc_u32 v7, -1, v124
	v_or_b32_e32 v9, 8, v14
	s_mov_b32 s3, 0
	s_delay_alu instid0(VALU_DEP_2)
	v_dual_mov_b32 v4, v2 :: v_dual_mov_b32 v3, v1
	.p2align	6
.LBB40_165:                             ; =>This Inner Loop Header: Depth=1
	scratch_load_b128 v[15:18], v9, off offset:-8
	ds_load_b128 v[19:22], v8
	v_add_nc_u32_e32 v7, 1, v7
	v_add_nc_u32_e32 v8, 16, v8
	;; [unrolled: 1-line block ×3, first 2 shown]
	s_delay_alu instid0(VALU_DEP_3) | instskip(SKIP_4) | instid1(VALU_DEP_2)
	v_cmp_lt_u32_e32 vcc_lo, 36, v7
	s_or_b32 s3, vcc_lo, s3
	s_waitcnt vmcnt(0) lgkmcnt(0)
	v_mul_f64 v[10:11], v[21:22], v[17:18]
	v_mul_f64 v[17:18], v[19:20], v[17:18]
	v_fma_f64 v[10:11], v[19:20], v[15:16], -v[10:11]
	s_delay_alu instid0(VALU_DEP_2) | instskip(NEXT) | instid1(VALU_DEP_2)
	v_fma_f64 v[15:16], v[21:22], v[15:16], v[17:18]
	v_add_f64 v[3:4], v[3:4], v[10:11]
	s_delay_alu instid0(VALU_DEP_2)
	v_add_f64 v[1:2], v[1:2], v[15:16]
	s_and_not1_b32 exec_lo, exec_lo, s3
	s_cbranch_execnz .LBB40_165
; %bb.166:
	s_or_b32 exec_lo, exec_lo, s3
	v_mov_b32_e32 v7, 0
	ds_load_b128 v[7:10], v7 offset:608
	s_waitcnt lgkmcnt(0)
	v_mul_f64 v[11:12], v[1:2], v[9:10]
	v_mul_f64 v[15:16], v[3:4], v[9:10]
	s_delay_alu instid0(VALU_DEP_2) | instskip(NEXT) | instid1(VALU_DEP_2)
	v_fma_f64 v[9:10], v[3:4], v[7:8], -v[11:12]
	v_fma_f64 v[11:12], v[1:2], v[7:8], v[15:16]
	scratch_store_b128 off, v[9:12], off offset:608
.LBB40_167:
	s_or_b32 exec_lo, exec_lo, s2
	s_waitcnt_vscnt null, 0x0
	s_barrier
	buffer_gl0_inv
	scratch_load_b128 v[1:4], v127, off
	s_mov_b32 s2, exec_lo
	s_waitcnt vmcnt(0)
	ds_store_b128 v5, v[1:4]
	s_waitcnt lgkmcnt(0)
	s_barrier
	buffer_gl0_inv
	v_cmpx_gt_u32_e32 39, v124
	s_cbranch_execz .LBB40_171
; %bb.168:
	v_dual_mov_b32 v1, 0 :: v_dual_add_nc_u32 v8, 0x290, v13
	v_dual_mov_b32 v2, 0 :: v_dual_add_nc_u32 v7, -1, v124
	v_or_b32_e32 v9, 8, v14
	s_mov_b32 s3, 0
	s_delay_alu instid0(VALU_DEP_2)
	v_dual_mov_b32 v4, v2 :: v_dual_mov_b32 v3, v1
	.p2align	6
.LBB40_169:                             ; =>This Inner Loop Header: Depth=1
	scratch_load_b128 v[10:13], v9, off offset:-8
	ds_load_b128 v[15:18], v8
	v_add_nc_u32_e32 v7, 1, v7
	v_add_nc_u32_e32 v8, 16, v8
	;; [unrolled: 1-line block ×3, first 2 shown]
	s_delay_alu instid0(VALU_DEP_3) | instskip(SKIP_4) | instid1(VALU_DEP_2)
	v_cmp_lt_u32_e32 vcc_lo, 37, v7
	s_or_b32 s3, vcc_lo, s3
	s_waitcnt vmcnt(0) lgkmcnt(0)
	v_mul_f64 v[19:20], v[17:18], v[12:13]
	v_mul_f64 v[12:13], v[15:16], v[12:13]
	v_fma_f64 v[15:16], v[15:16], v[10:11], -v[19:20]
	s_delay_alu instid0(VALU_DEP_2) | instskip(NEXT) | instid1(VALU_DEP_2)
	v_fma_f64 v[10:11], v[17:18], v[10:11], v[12:13]
	v_add_f64 v[3:4], v[3:4], v[15:16]
	s_delay_alu instid0(VALU_DEP_2)
	v_add_f64 v[1:2], v[1:2], v[10:11]
	s_and_not1_b32 exec_lo, exec_lo, s3
	s_cbranch_execnz .LBB40_169
; %bb.170:
	s_or_b32 exec_lo, exec_lo, s3
	v_mov_b32_e32 v7, 0
	ds_load_b128 v[7:10], v7 offset:624
	s_waitcnt lgkmcnt(0)
	v_mul_f64 v[11:12], v[1:2], v[9:10]
	v_mul_f64 v[15:16], v[3:4], v[9:10]
	s_delay_alu instid0(VALU_DEP_2) | instskip(NEXT) | instid1(VALU_DEP_2)
	v_fma_f64 v[9:10], v[3:4], v[7:8], -v[11:12]
	v_fma_f64 v[11:12], v[1:2], v[7:8], v[15:16]
	scratch_store_b128 off, v[9:12], off offset:624
.LBB40_171:
	s_or_b32 exec_lo, exec_lo, s2
	s_waitcnt_vscnt null, 0x0
	s_barrier
	buffer_gl0_inv
	scratch_load_b128 v[1:4], v126, off
	s_mov_b32 s2, exec_lo
	s_waitcnt vmcnt(0)
	ds_store_b128 v5, v[1:4]
	s_waitcnt lgkmcnt(0)
	s_barrier
	buffer_gl0_inv
	v_cmpx_ne_u32_e32 40, v124
	s_cbranch_execz .LBB40_175
; %bb.172:
	v_mov_b32_e32 v1, 0
	v_mov_b32_e32 v2, 0
	v_or_b32_e32 v7, 8, v14
	s_mov_b32 s3, 0
	s_delay_alu instid0(VALU_DEP_2)
	v_dual_mov_b32 v4, v2 :: v_dual_mov_b32 v3, v1
	.p2align	6
.LBB40_173:                             ; =>This Inner Loop Header: Depth=1
	scratch_load_b128 v[8:11], v7, off offset:-8
	ds_load_b128 v[12:15], v5
	v_add_nc_u32_e32 v6, 1, v6
	v_add_nc_u32_e32 v5, 16, v5
	;; [unrolled: 1-line block ×3, first 2 shown]
	s_delay_alu instid0(VALU_DEP_3) | instskip(SKIP_4) | instid1(VALU_DEP_2)
	v_cmp_lt_u32_e32 vcc_lo, 38, v6
	s_or_b32 s3, vcc_lo, s3
	s_waitcnt vmcnt(0) lgkmcnt(0)
	v_mul_f64 v[16:17], v[14:15], v[10:11]
	v_mul_f64 v[10:11], v[12:13], v[10:11]
	v_fma_f64 v[12:13], v[12:13], v[8:9], -v[16:17]
	s_delay_alu instid0(VALU_DEP_2) | instskip(NEXT) | instid1(VALU_DEP_2)
	v_fma_f64 v[8:9], v[14:15], v[8:9], v[10:11]
	v_add_f64 v[3:4], v[3:4], v[12:13]
	s_delay_alu instid0(VALU_DEP_2)
	v_add_f64 v[1:2], v[1:2], v[8:9]
	s_and_not1_b32 exec_lo, exec_lo, s3
	s_cbranch_execnz .LBB40_173
; %bb.174:
	s_or_b32 exec_lo, exec_lo, s3
	v_mov_b32_e32 v5, 0
	ds_load_b128 v[5:8], v5 offset:640
	s_waitcnt lgkmcnt(0)
	v_mul_f64 v[9:10], v[1:2], v[7:8]
	v_mul_f64 v[7:8], v[3:4], v[7:8]
	s_delay_alu instid0(VALU_DEP_2) | instskip(NEXT) | instid1(VALU_DEP_2)
	v_fma_f64 v[3:4], v[3:4], v[5:6], -v[9:10]
	v_fma_f64 v[5:6], v[1:2], v[5:6], v[7:8]
	scratch_store_b128 off, v[3:6], off offset:640
.LBB40_175:
	s_or_b32 exec_lo, exec_lo, s2
	s_mov_b32 s3, -1
	s_waitcnt_vscnt null, 0x0
	s_barrier
	buffer_gl0_inv
.LBB40_176:
	s_and_b32 vcc_lo, exec_lo, s3
	s_cbranch_vccz .LBB40_178
; %bb.177:
	s_lshl_b64 s[2:3], s[18:19], 2
	v_mov_b32_e32 v1, 0
	s_add_u32 s2, s6, s2
	s_addc_u32 s3, s7, s3
	global_load_b32 v1, v1, s[2:3]
	s_waitcnt vmcnt(0)
	v_cmp_ne_u32_e32 vcc_lo, 0, v1
	s_cbranch_vccz .LBB40_179
.LBB40_178:
	s_endpgm
.LBB40_179:
	v_lshl_add_u32 v165, v124, 4, 0x290
	s_mov_b32 s2, exec_lo
	v_cmpx_eq_u32_e32 40, v124
	s_cbranch_execz .LBB40_181
; %bb.180:
	scratch_load_b128 v[1:4], v127, off
	v_mov_b32_e32 v5, 0
	s_delay_alu instid0(VALU_DEP_1)
	v_mov_b32_e32 v6, v5
	v_mov_b32_e32 v7, v5
	;; [unrolled: 1-line block ×3, first 2 shown]
	scratch_store_b128 off, v[5:8], off offset:624
	s_waitcnt vmcnt(0)
	ds_store_b128 v165, v[1:4]
.LBB40_181:
	s_or_b32 exec_lo, exec_lo, s2
	s_waitcnt lgkmcnt(0)
	s_waitcnt_vscnt null, 0x0
	s_barrier
	buffer_gl0_inv
	s_clause 0x1
	scratch_load_b128 v[2:5], off, off offset:640
	scratch_load_b128 v[6:9], off, off offset:624
	v_mov_b32_e32 v1, 0
	s_mov_b32 s2, exec_lo
	ds_load_b128 v[10:13], v1 offset:1296
	s_waitcnt vmcnt(1) lgkmcnt(0)
	v_mul_f64 v[14:15], v[12:13], v[4:5]
	v_mul_f64 v[4:5], v[10:11], v[4:5]
	s_delay_alu instid0(VALU_DEP_2) | instskip(NEXT) | instid1(VALU_DEP_2)
	v_fma_f64 v[10:11], v[10:11], v[2:3], -v[14:15]
	v_fma_f64 v[2:3], v[12:13], v[2:3], v[4:5]
	s_delay_alu instid0(VALU_DEP_2) | instskip(NEXT) | instid1(VALU_DEP_2)
	v_add_f64 v[4:5], v[10:11], 0
	v_add_f64 v[10:11], v[2:3], 0
	s_waitcnt vmcnt(0)
	s_delay_alu instid0(VALU_DEP_2) | instskip(NEXT) | instid1(VALU_DEP_2)
	v_add_f64 v[2:3], v[6:7], -v[4:5]
	v_add_f64 v[4:5], v[8:9], -v[10:11]
	scratch_store_b128 off, v[2:5], off offset:624
	v_cmpx_lt_u32_e32 38, v124
	s_cbranch_execz .LBB40_183
; %bb.182:
	scratch_load_b128 v[5:8], v128, off
	v_mov_b32_e32 v2, v1
	v_mov_b32_e32 v3, v1
	;; [unrolled: 1-line block ×3, first 2 shown]
	scratch_store_b128 off, v[1:4], off offset:608
	s_waitcnt vmcnt(0)
	ds_store_b128 v165, v[5:8]
.LBB40_183:
	s_or_b32 exec_lo, exec_lo, s2
	s_waitcnt lgkmcnt(0)
	s_waitcnt_vscnt null, 0x0
	s_barrier
	buffer_gl0_inv
	s_clause 0x2
	scratch_load_b128 v[2:5], off, off offset:624
	scratch_load_b128 v[6:9], off, off offset:640
	scratch_load_b128 v[10:13], off, off offset:608
	ds_load_b128 v[14:17], v1 offset:1280
	ds_load_b128 v[18:21], v1 offset:1296
	s_mov_b32 s2, exec_lo
	s_waitcnt vmcnt(2) lgkmcnt(1)
	v_mul_f64 v[22:23], v[16:17], v[4:5]
	v_mul_f64 v[4:5], v[14:15], v[4:5]
	s_waitcnt vmcnt(1) lgkmcnt(0)
	v_mul_f64 v[24:25], v[18:19], v[8:9]
	v_mul_f64 v[8:9], v[20:21], v[8:9]
	s_delay_alu instid0(VALU_DEP_4) | instskip(NEXT) | instid1(VALU_DEP_4)
	v_fma_f64 v[14:15], v[14:15], v[2:3], -v[22:23]
	v_fma_f64 v[1:2], v[16:17], v[2:3], v[4:5]
	s_delay_alu instid0(VALU_DEP_4) | instskip(NEXT) | instid1(VALU_DEP_4)
	v_fma_f64 v[3:4], v[20:21], v[6:7], v[24:25]
	v_fma_f64 v[5:6], v[18:19], v[6:7], -v[8:9]
	s_delay_alu instid0(VALU_DEP_4) | instskip(NEXT) | instid1(VALU_DEP_4)
	v_add_f64 v[7:8], v[14:15], 0
	v_add_f64 v[1:2], v[1:2], 0
	s_delay_alu instid0(VALU_DEP_2) | instskip(NEXT) | instid1(VALU_DEP_2)
	v_add_f64 v[5:6], v[7:8], v[5:6]
	v_add_f64 v[3:4], v[1:2], v[3:4]
	s_waitcnt vmcnt(0)
	s_delay_alu instid0(VALU_DEP_2) | instskip(NEXT) | instid1(VALU_DEP_2)
	v_add_f64 v[1:2], v[10:11], -v[5:6]
	v_add_f64 v[3:4], v[12:13], -v[3:4]
	scratch_store_b128 off, v[1:4], off offset:608
	v_cmpx_lt_u32_e32 37, v124
	s_cbranch_execz .LBB40_185
; %bb.184:
	scratch_load_b128 v[1:4], v129, off
	v_mov_b32_e32 v5, 0
	s_delay_alu instid0(VALU_DEP_1)
	v_mov_b32_e32 v6, v5
	v_mov_b32_e32 v7, v5
	;; [unrolled: 1-line block ×3, first 2 shown]
	scratch_store_b128 off, v[5:8], off offset:592
	s_waitcnt vmcnt(0)
	ds_store_b128 v165, v[1:4]
.LBB40_185:
	s_or_b32 exec_lo, exec_lo, s2
	s_waitcnt lgkmcnt(0)
	s_waitcnt_vscnt null, 0x0
	s_barrier
	buffer_gl0_inv
	s_clause 0x3
	scratch_load_b128 v[2:5], off, off offset:608
	scratch_load_b128 v[6:9], off, off offset:624
	;; [unrolled: 1-line block ×4, first 2 shown]
	v_mov_b32_e32 v1, 0
	ds_load_b128 v[18:21], v1 offset:1264
	ds_load_b128 v[22:25], v1 offset:1280
	s_mov_b32 s2, exec_lo
	s_waitcnt vmcnt(3) lgkmcnt(1)
	v_mul_f64 v[26:27], v[20:21], v[4:5]
	v_mul_f64 v[4:5], v[18:19], v[4:5]
	s_waitcnt vmcnt(2) lgkmcnt(0)
	v_mul_f64 v[28:29], v[22:23], v[8:9]
	v_mul_f64 v[8:9], v[24:25], v[8:9]
	s_delay_alu instid0(VALU_DEP_4) | instskip(NEXT) | instid1(VALU_DEP_4)
	v_fma_f64 v[18:19], v[18:19], v[2:3], -v[26:27]
	v_fma_f64 v[20:21], v[20:21], v[2:3], v[4:5]
	ds_load_b128 v[2:5], v1 offset:1296
	v_fma_f64 v[24:25], v[24:25], v[6:7], v[28:29]
	v_fma_f64 v[6:7], v[22:23], v[6:7], -v[8:9]
	s_waitcnt vmcnt(1) lgkmcnt(0)
	v_mul_f64 v[26:27], v[2:3], v[12:13]
	v_mul_f64 v[12:13], v[4:5], v[12:13]
	v_add_f64 v[8:9], v[18:19], 0
	v_add_f64 v[18:19], v[20:21], 0
	s_delay_alu instid0(VALU_DEP_4) | instskip(NEXT) | instid1(VALU_DEP_4)
	v_fma_f64 v[4:5], v[4:5], v[10:11], v[26:27]
	v_fma_f64 v[2:3], v[2:3], v[10:11], -v[12:13]
	s_delay_alu instid0(VALU_DEP_4) | instskip(NEXT) | instid1(VALU_DEP_4)
	v_add_f64 v[6:7], v[8:9], v[6:7]
	v_add_f64 v[8:9], v[18:19], v[24:25]
	s_delay_alu instid0(VALU_DEP_2) | instskip(NEXT) | instid1(VALU_DEP_2)
	v_add_f64 v[2:3], v[6:7], v[2:3]
	v_add_f64 v[4:5], v[8:9], v[4:5]
	s_waitcnt vmcnt(0)
	s_delay_alu instid0(VALU_DEP_2) | instskip(NEXT) | instid1(VALU_DEP_2)
	v_add_f64 v[2:3], v[14:15], -v[2:3]
	v_add_f64 v[4:5], v[16:17], -v[4:5]
	scratch_store_b128 off, v[2:5], off offset:592
	v_cmpx_lt_u32_e32 36, v124
	s_cbranch_execz .LBB40_187
; %bb.186:
	scratch_load_b128 v[5:8], v130, off
	v_mov_b32_e32 v2, v1
	v_mov_b32_e32 v3, v1
	;; [unrolled: 1-line block ×3, first 2 shown]
	scratch_store_b128 off, v[1:4], off offset:576
	s_waitcnt vmcnt(0)
	ds_store_b128 v165, v[5:8]
.LBB40_187:
	s_or_b32 exec_lo, exec_lo, s2
	s_waitcnt lgkmcnt(0)
	s_waitcnt_vscnt null, 0x0
	s_barrier
	buffer_gl0_inv
	s_clause 0x4
	scratch_load_b128 v[2:5], off, off offset:592
	scratch_load_b128 v[6:9], off, off offset:608
	scratch_load_b128 v[10:13], off, off offset:624
	scratch_load_b128 v[14:17], off, off offset:640
	scratch_load_b128 v[18:21], off, off offset:576
	ds_load_b128 v[22:25], v1 offset:1248
	ds_load_b128 v[26:29], v1 offset:1264
	s_mov_b32 s2, exec_lo
	s_waitcnt vmcnt(4) lgkmcnt(1)
	v_mul_f64 v[30:31], v[24:25], v[4:5]
	v_mul_f64 v[4:5], v[22:23], v[4:5]
	s_waitcnt vmcnt(3) lgkmcnt(0)
	v_mul_f64 v[32:33], v[26:27], v[8:9]
	v_mul_f64 v[8:9], v[28:29], v[8:9]
	s_delay_alu instid0(VALU_DEP_4) | instskip(NEXT) | instid1(VALU_DEP_4)
	v_fma_f64 v[30:31], v[22:23], v[2:3], -v[30:31]
	v_fma_f64 v[34:35], v[24:25], v[2:3], v[4:5]
	ds_load_b128 v[2:5], v1 offset:1280
	ds_load_b128 v[22:25], v1 offset:1296
	v_fma_f64 v[28:29], v[28:29], v[6:7], v[32:33]
	v_fma_f64 v[6:7], v[26:27], v[6:7], -v[8:9]
	s_waitcnt vmcnt(2) lgkmcnt(1)
	v_mul_f64 v[36:37], v[2:3], v[12:13]
	v_mul_f64 v[12:13], v[4:5], v[12:13]
	v_add_f64 v[8:9], v[30:31], 0
	v_add_f64 v[26:27], v[34:35], 0
	s_waitcnt vmcnt(1) lgkmcnt(0)
	v_mul_f64 v[30:31], v[22:23], v[16:17]
	v_mul_f64 v[16:17], v[24:25], v[16:17]
	v_fma_f64 v[4:5], v[4:5], v[10:11], v[36:37]
	v_fma_f64 v[1:2], v[2:3], v[10:11], -v[12:13]
	v_add_f64 v[6:7], v[8:9], v[6:7]
	v_add_f64 v[8:9], v[26:27], v[28:29]
	v_fma_f64 v[10:11], v[24:25], v[14:15], v[30:31]
	v_fma_f64 v[12:13], v[22:23], v[14:15], -v[16:17]
	s_delay_alu instid0(VALU_DEP_4) | instskip(NEXT) | instid1(VALU_DEP_4)
	v_add_f64 v[1:2], v[6:7], v[1:2]
	v_add_f64 v[3:4], v[8:9], v[4:5]
	s_delay_alu instid0(VALU_DEP_2) | instskip(NEXT) | instid1(VALU_DEP_2)
	v_add_f64 v[1:2], v[1:2], v[12:13]
	v_add_f64 v[3:4], v[3:4], v[10:11]
	s_waitcnt vmcnt(0)
	s_delay_alu instid0(VALU_DEP_2) | instskip(NEXT) | instid1(VALU_DEP_2)
	v_add_f64 v[1:2], v[18:19], -v[1:2]
	v_add_f64 v[3:4], v[20:21], -v[3:4]
	scratch_store_b128 off, v[1:4], off offset:576
	v_cmpx_lt_u32_e32 35, v124
	s_cbranch_execz .LBB40_189
; %bb.188:
	scratch_load_b128 v[1:4], v131, off
	v_mov_b32_e32 v5, 0
	s_delay_alu instid0(VALU_DEP_1)
	v_mov_b32_e32 v6, v5
	v_mov_b32_e32 v7, v5
	;; [unrolled: 1-line block ×3, first 2 shown]
	scratch_store_b128 off, v[5:8], off offset:560
	s_waitcnt vmcnt(0)
	ds_store_b128 v165, v[1:4]
.LBB40_189:
	s_or_b32 exec_lo, exec_lo, s2
	s_waitcnt lgkmcnt(0)
	s_waitcnt_vscnt null, 0x0
	s_barrier
	buffer_gl0_inv
	s_clause 0x5
	scratch_load_b128 v[2:5], off, off offset:576
	scratch_load_b128 v[6:9], off, off offset:592
	;; [unrolled: 1-line block ×6, first 2 shown]
	v_mov_b32_e32 v1, 0
	ds_load_b128 v[26:29], v1 offset:1232
	ds_load_b128 v[30:33], v1 offset:1248
	s_mov_b32 s2, exec_lo
	s_waitcnt vmcnt(5) lgkmcnt(1)
	v_mul_f64 v[34:35], v[28:29], v[4:5]
	v_mul_f64 v[4:5], v[26:27], v[4:5]
	s_waitcnt vmcnt(4) lgkmcnt(0)
	v_mul_f64 v[36:37], v[30:31], v[8:9]
	v_mul_f64 v[8:9], v[32:33], v[8:9]
	s_delay_alu instid0(VALU_DEP_4) | instskip(NEXT) | instid1(VALU_DEP_4)
	v_fma_f64 v[34:35], v[26:27], v[2:3], -v[34:35]
	v_fma_f64 v[38:39], v[28:29], v[2:3], v[4:5]
	ds_load_b128 v[2:5], v1 offset:1264
	ds_load_b128 v[26:29], v1 offset:1280
	v_fma_f64 v[32:33], v[32:33], v[6:7], v[36:37]
	v_fma_f64 v[6:7], v[30:31], v[6:7], -v[8:9]
	s_waitcnt vmcnt(3) lgkmcnt(1)
	v_mul_f64 v[40:41], v[2:3], v[12:13]
	v_mul_f64 v[12:13], v[4:5], v[12:13]
	v_add_f64 v[8:9], v[34:35], 0
	v_add_f64 v[30:31], v[38:39], 0
	s_waitcnt vmcnt(2) lgkmcnt(0)
	v_mul_f64 v[34:35], v[26:27], v[16:17]
	v_mul_f64 v[16:17], v[28:29], v[16:17]
	v_fma_f64 v[36:37], v[4:5], v[10:11], v[40:41]
	v_fma_f64 v[10:11], v[2:3], v[10:11], -v[12:13]
	ds_load_b128 v[2:5], v1 offset:1296
	v_add_f64 v[6:7], v[8:9], v[6:7]
	v_add_f64 v[8:9], v[30:31], v[32:33]
	v_fma_f64 v[28:29], v[28:29], v[14:15], v[34:35]
	v_fma_f64 v[14:15], v[26:27], v[14:15], -v[16:17]
	s_waitcnt vmcnt(1) lgkmcnt(0)
	v_mul_f64 v[12:13], v[2:3], v[20:21]
	v_mul_f64 v[20:21], v[4:5], v[20:21]
	v_add_f64 v[6:7], v[6:7], v[10:11]
	v_add_f64 v[8:9], v[8:9], v[36:37]
	s_delay_alu instid0(VALU_DEP_4) | instskip(NEXT) | instid1(VALU_DEP_4)
	v_fma_f64 v[4:5], v[4:5], v[18:19], v[12:13]
	v_fma_f64 v[2:3], v[2:3], v[18:19], -v[20:21]
	s_delay_alu instid0(VALU_DEP_4) | instskip(NEXT) | instid1(VALU_DEP_4)
	v_add_f64 v[6:7], v[6:7], v[14:15]
	v_add_f64 v[8:9], v[8:9], v[28:29]
	s_delay_alu instid0(VALU_DEP_2) | instskip(NEXT) | instid1(VALU_DEP_2)
	v_add_f64 v[2:3], v[6:7], v[2:3]
	v_add_f64 v[4:5], v[8:9], v[4:5]
	s_waitcnt vmcnt(0)
	s_delay_alu instid0(VALU_DEP_2) | instskip(NEXT) | instid1(VALU_DEP_2)
	v_add_f64 v[2:3], v[22:23], -v[2:3]
	v_add_f64 v[4:5], v[24:25], -v[4:5]
	scratch_store_b128 off, v[2:5], off offset:560
	v_cmpx_lt_u32_e32 34, v124
	s_cbranch_execz .LBB40_191
; %bb.190:
	scratch_load_b128 v[5:8], v134, off
	v_mov_b32_e32 v2, v1
	v_mov_b32_e32 v3, v1
	;; [unrolled: 1-line block ×3, first 2 shown]
	scratch_store_b128 off, v[1:4], off offset:544
	s_waitcnt vmcnt(0)
	ds_store_b128 v165, v[5:8]
.LBB40_191:
	s_or_b32 exec_lo, exec_lo, s2
	s_waitcnt lgkmcnt(0)
	s_waitcnt_vscnt null, 0x0
	s_barrier
	buffer_gl0_inv
	s_clause 0x5
	scratch_load_b128 v[2:5], off, off offset:560
	scratch_load_b128 v[6:9], off, off offset:576
	scratch_load_b128 v[10:13], off, off offset:592
	scratch_load_b128 v[14:17], off, off offset:608
	scratch_load_b128 v[18:21], off, off offset:624
	scratch_load_b128 v[22:25], off, off offset:640
	ds_load_b128 v[26:29], v1 offset:1216
	ds_load_b128 v[34:37], v1 offset:1232
	scratch_load_b128 v[30:33], off, off offset:544
	s_mov_b32 s2, exec_lo
	s_waitcnt vmcnt(6) lgkmcnt(1)
	v_mul_f64 v[38:39], v[28:29], v[4:5]
	v_mul_f64 v[4:5], v[26:27], v[4:5]
	s_waitcnt vmcnt(5) lgkmcnt(0)
	v_mul_f64 v[40:41], v[34:35], v[8:9]
	v_mul_f64 v[8:9], v[36:37], v[8:9]
	s_delay_alu instid0(VALU_DEP_4) | instskip(NEXT) | instid1(VALU_DEP_4)
	v_fma_f64 v[38:39], v[26:27], v[2:3], -v[38:39]
	v_fma_f64 v[166:167], v[28:29], v[2:3], v[4:5]
	ds_load_b128 v[2:5], v1 offset:1248
	ds_load_b128 v[26:29], v1 offset:1264
	v_fma_f64 v[36:37], v[36:37], v[6:7], v[40:41]
	v_fma_f64 v[6:7], v[34:35], v[6:7], -v[8:9]
	s_waitcnt vmcnt(4) lgkmcnt(1)
	v_mul_f64 v[168:169], v[2:3], v[12:13]
	v_mul_f64 v[12:13], v[4:5], v[12:13]
	v_add_f64 v[8:9], v[38:39], 0
	v_add_f64 v[34:35], v[166:167], 0
	s_waitcnt vmcnt(3) lgkmcnt(0)
	v_mul_f64 v[38:39], v[26:27], v[16:17]
	v_mul_f64 v[16:17], v[28:29], v[16:17]
	v_fma_f64 v[40:41], v[4:5], v[10:11], v[168:169]
	v_fma_f64 v[10:11], v[2:3], v[10:11], -v[12:13]
	v_add_f64 v[12:13], v[8:9], v[6:7]
	v_add_f64 v[34:35], v[34:35], v[36:37]
	ds_load_b128 v[2:5], v1 offset:1280
	ds_load_b128 v[6:9], v1 offset:1296
	v_fma_f64 v[28:29], v[28:29], v[14:15], v[38:39]
	v_fma_f64 v[14:15], v[26:27], v[14:15], -v[16:17]
	s_waitcnt vmcnt(2) lgkmcnt(1)
	v_mul_f64 v[36:37], v[2:3], v[20:21]
	v_mul_f64 v[20:21], v[4:5], v[20:21]
	s_waitcnt vmcnt(1) lgkmcnt(0)
	v_mul_f64 v[16:17], v[6:7], v[24:25]
	v_mul_f64 v[24:25], v[8:9], v[24:25]
	v_add_f64 v[10:11], v[12:13], v[10:11]
	v_add_f64 v[12:13], v[34:35], v[40:41]
	v_fma_f64 v[4:5], v[4:5], v[18:19], v[36:37]
	v_fma_f64 v[1:2], v[2:3], v[18:19], -v[20:21]
	v_fma_f64 v[8:9], v[8:9], v[22:23], v[16:17]
	v_fma_f64 v[6:7], v[6:7], v[22:23], -v[24:25]
	v_add_f64 v[10:11], v[10:11], v[14:15]
	v_add_f64 v[12:13], v[12:13], v[28:29]
	s_delay_alu instid0(VALU_DEP_2) | instskip(NEXT) | instid1(VALU_DEP_2)
	v_add_f64 v[1:2], v[10:11], v[1:2]
	v_add_f64 v[3:4], v[12:13], v[4:5]
	s_delay_alu instid0(VALU_DEP_2) | instskip(NEXT) | instid1(VALU_DEP_2)
	v_add_f64 v[1:2], v[1:2], v[6:7]
	v_add_f64 v[3:4], v[3:4], v[8:9]
	s_waitcnt vmcnt(0)
	s_delay_alu instid0(VALU_DEP_2) | instskip(NEXT) | instid1(VALU_DEP_2)
	v_add_f64 v[1:2], v[30:31], -v[1:2]
	v_add_f64 v[3:4], v[32:33], -v[3:4]
	scratch_store_b128 off, v[1:4], off offset:544
	v_cmpx_lt_u32_e32 33, v124
	s_cbranch_execz .LBB40_193
; %bb.192:
	scratch_load_b128 v[1:4], v135, off
	v_mov_b32_e32 v5, 0
	s_delay_alu instid0(VALU_DEP_1)
	v_mov_b32_e32 v6, v5
	v_mov_b32_e32 v7, v5
	;; [unrolled: 1-line block ×3, first 2 shown]
	scratch_store_b128 off, v[5:8], off offset:528
	s_waitcnt vmcnt(0)
	ds_store_b128 v165, v[1:4]
.LBB40_193:
	s_or_b32 exec_lo, exec_lo, s2
	s_waitcnt lgkmcnt(0)
	s_waitcnt_vscnt null, 0x0
	s_barrier
	buffer_gl0_inv
	s_clause 0x6
	scratch_load_b128 v[2:5], off, off offset:544
	scratch_load_b128 v[6:9], off, off offset:560
	;; [unrolled: 1-line block ×7, first 2 shown]
	v_mov_b32_e32 v1, 0
	scratch_load_b128 v[34:37], off, off offset:528
	s_mov_b32 s2, exec_lo
	ds_load_b128 v[30:33], v1 offset:1200
	ds_load_b128 v[38:41], v1 offset:1216
	s_waitcnt vmcnt(7) lgkmcnt(1)
	v_mul_f64 v[166:167], v[32:33], v[4:5]
	v_mul_f64 v[4:5], v[30:31], v[4:5]
	s_waitcnt vmcnt(6) lgkmcnt(0)
	v_mul_f64 v[168:169], v[38:39], v[8:9]
	v_mul_f64 v[8:9], v[40:41], v[8:9]
	s_delay_alu instid0(VALU_DEP_4) | instskip(NEXT) | instid1(VALU_DEP_4)
	v_fma_f64 v[166:167], v[30:31], v[2:3], -v[166:167]
	v_fma_f64 v[170:171], v[32:33], v[2:3], v[4:5]
	ds_load_b128 v[2:5], v1 offset:1232
	ds_load_b128 v[30:33], v1 offset:1248
	v_fma_f64 v[40:41], v[40:41], v[6:7], v[168:169]
	v_fma_f64 v[6:7], v[38:39], v[6:7], -v[8:9]
	s_waitcnt vmcnt(5) lgkmcnt(1)
	v_mul_f64 v[172:173], v[2:3], v[12:13]
	v_mul_f64 v[12:13], v[4:5], v[12:13]
	v_add_f64 v[8:9], v[166:167], 0
	v_add_f64 v[38:39], v[170:171], 0
	s_waitcnt vmcnt(4) lgkmcnt(0)
	v_mul_f64 v[166:167], v[30:31], v[16:17]
	v_mul_f64 v[16:17], v[32:33], v[16:17]
	v_fma_f64 v[168:169], v[4:5], v[10:11], v[172:173]
	v_fma_f64 v[10:11], v[2:3], v[10:11], -v[12:13]
	v_add_f64 v[12:13], v[8:9], v[6:7]
	v_add_f64 v[38:39], v[38:39], v[40:41]
	ds_load_b128 v[2:5], v1 offset:1264
	ds_load_b128 v[6:9], v1 offset:1280
	v_fma_f64 v[32:33], v[32:33], v[14:15], v[166:167]
	v_fma_f64 v[14:15], v[30:31], v[14:15], -v[16:17]
	s_waitcnt vmcnt(3) lgkmcnt(1)
	v_mul_f64 v[40:41], v[2:3], v[20:21]
	v_mul_f64 v[20:21], v[4:5], v[20:21]
	s_waitcnt vmcnt(2) lgkmcnt(0)
	v_mul_f64 v[16:17], v[6:7], v[24:25]
	v_mul_f64 v[24:25], v[8:9], v[24:25]
	v_add_f64 v[10:11], v[12:13], v[10:11]
	v_add_f64 v[12:13], v[38:39], v[168:169]
	v_fma_f64 v[30:31], v[4:5], v[18:19], v[40:41]
	v_fma_f64 v[18:19], v[2:3], v[18:19], -v[20:21]
	ds_load_b128 v[2:5], v1 offset:1296
	v_fma_f64 v[8:9], v[8:9], v[22:23], v[16:17]
	v_fma_f64 v[6:7], v[6:7], v[22:23], -v[24:25]
	v_add_f64 v[10:11], v[10:11], v[14:15]
	v_add_f64 v[12:13], v[12:13], v[32:33]
	s_waitcnt vmcnt(1) lgkmcnt(0)
	v_mul_f64 v[14:15], v[2:3], v[28:29]
	v_mul_f64 v[20:21], v[4:5], v[28:29]
	s_delay_alu instid0(VALU_DEP_4) | instskip(NEXT) | instid1(VALU_DEP_4)
	v_add_f64 v[10:11], v[10:11], v[18:19]
	v_add_f64 v[12:13], v[12:13], v[30:31]
	s_delay_alu instid0(VALU_DEP_4) | instskip(NEXT) | instid1(VALU_DEP_4)
	v_fma_f64 v[4:5], v[4:5], v[26:27], v[14:15]
	v_fma_f64 v[2:3], v[2:3], v[26:27], -v[20:21]
	s_delay_alu instid0(VALU_DEP_4) | instskip(NEXT) | instid1(VALU_DEP_4)
	v_add_f64 v[6:7], v[10:11], v[6:7]
	v_add_f64 v[8:9], v[12:13], v[8:9]
	s_delay_alu instid0(VALU_DEP_2) | instskip(NEXT) | instid1(VALU_DEP_2)
	v_add_f64 v[2:3], v[6:7], v[2:3]
	v_add_f64 v[4:5], v[8:9], v[4:5]
	s_waitcnt vmcnt(0)
	s_delay_alu instid0(VALU_DEP_2) | instskip(NEXT) | instid1(VALU_DEP_2)
	v_add_f64 v[2:3], v[34:35], -v[2:3]
	v_add_f64 v[4:5], v[36:37], -v[4:5]
	scratch_store_b128 off, v[2:5], off offset:528
	v_cmpx_lt_u32_e32 32, v124
	s_cbranch_execz .LBB40_195
; %bb.194:
	scratch_load_b128 v[5:8], v136, off
	v_mov_b32_e32 v2, v1
	v_mov_b32_e32 v3, v1
	v_mov_b32_e32 v4, v1
	scratch_store_b128 off, v[1:4], off offset:512
	s_waitcnt vmcnt(0)
	ds_store_b128 v165, v[5:8]
.LBB40_195:
	s_or_b32 exec_lo, exec_lo, s2
	s_waitcnt lgkmcnt(0)
	s_waitcnt_vscnt null, 0x0
	s_barrier
	buffer_gl0_inv
	s_clause 0x7
	scratch_load_b128 v[2:5], off, off offset:528
	scratch_load_b128 v[6:9], off, off offset:544
	;; [unrolled: 1-line block ×8, first 2 shown]
	ds_load_b128 v[34:37], v1 offset:1184
	ds_load_b128 v[38:41], v1 offset:1200
	scratch_load_b128 v[166:169], off, off offset:512
	s_mov_b32 s2, exec_lo
	s_waitcnt vmcnt(8) lgkmcnt(1)
	v_mul_f64 v[170:171], v[36:37], v[4:5]
	v_mul_f64 v[4:5], v[34:35], v[4:5]
	s_waitcnt vmcnt(7) lgkmcnt(0)
	v_mul_f64 v[172:173], v[38:39], v[8:9]
	v_mul_f64 v[8:9], v[40:41], v[8:9]
	s_delay_alu instid0(VALU_DEP_4) | instskip(NEXT) | instid1(VALU_DEP_4)
	v_fma_f64 v[170:171], v[34:35], v[2:3], -v[170:171]
	v_fma_f64 v[174:175], v[36:37], v[2:3], v[4:5]
	ds_load_b128 v[2:5], v1 offset:1216
	ds_load_b128 v[34:37], v1 offset:1232
	v_fma_f64 v[40:41], v[40:41], v[6:7], v[172:173]
	v_fma_f64 v[6:7], v[38:39], v[6:7], -v[8:9]
	s_waitcnt vmcnt(6) lgkmcnt(1)
	v_mul_f64 v[176:177], v[2:3], v[12:13]
	v_mul_f64 v[12:13], v[4:5], v[12:13]
	v_add_f64 v[8:9], v[170:171], 0
	v_add_f64 v[38:39], v[174:175], 0
	s_waitcnt vmcnt(5) lgkmcnt(0)
	v_mul_f64 v[170:171], v[34:35], v[16:17]
	v_mul_f64 v[16:17], v[36:37], v[16:17]
	v_fma_f64 v[172:173], v[4:5], v[10:11], v[176:177]
	v_fma_f64 v[10:11], v[2:3], v[10:11], -v[12:13]
	v_add_f64 v[12:13], v[8:9], v[6:7]
	v_add_f64 v[38:39], v[38:39], v[40:41]
	ds_load_b128 v[2:5], v1 offset:1248
	ds_load_b128 v[6:9], v1 offset:1264
	v_fma_f64 v[36:37], v[36:37], v[14:15], v[170:171]
	v_fma_f64 v[14:15], v[34:35], v[14:15], -v[16:17]
	s_waitcnt vmcnt(4) lgkmcnt(1)
	v_mul_f64 v[40:41], v[2:3], v[20:21]
	v_mul_f64 v[20:21], v[4:5], v[20:21]
	s_waitcnt vmcnt(3) lgkmcnt(0)
	v_mul_f64 v[16:17], v[6:7], v[24:25]
	v_mul_f64 v[24:25], v[8:9], v[24:25]
	v_add_f64 v[10:11], v[12:13], v[10:11]
	v_add_f64 v[12:13], v[38:39], v[172:173]
	v_fma_f64 v[34:35], v[4:5], v[18:19], v[40:41]
	v_fma_f64 v[18:19], v[2:3], v[18:19], -v[20:21]
	v_fma_f64 v[8:9], v[8:9], v[22:23], v[16:17]
	v_fma_f64 v[6:7], v[6:7], v[22:23], -v[24:25]
	v_add_f64 v[14:15], v[10:11], v[14:15]
	v_add_f64 v[20:21], v[12:13], v[36:37]
	ds_load_b128 v[2:5], v1 offset:1280
	ds_load_b128 v[10:13], v1 offset:1296
	s_waitcnt vmcnt(2) lgkmcnt(1)
	v_mul_f64 v[36:37], v[2:3], v[28:29]
	v_mul_f64 v[28:29], v[4:5], v[28:29]
	v_add_f64 v[14:15], v[14:15], v[18:19]
	v_add_f64 v[16:17], v[20:21], v[34:35]
	s_waitcnt vmcnt(1) lgkmcnt(0)
	v_mul_f64 v[18:19], v[10:11], v[32:33]
	v_mul_f64 v[20:21], v[12:13], v[32:33]
	v_fma_f64 v[4:5], v[4:5], v[26:27], v[36:37]
	v_fma_f64 v[1:2], v[2:3], v[26:27], -v[28:29]
	v_add_f64 v[6:7], v[14:15], v[6:7]
	v_add_f64 v[8:9], v[16:17], v[8:9]
	v_fma_f64 v[12:13], v[12:13], v[30:31], v[18:19]
	v_fma_f64 v[10:11], v[10:11], v[30:31], -v[20:21]
	s_delay_alu instid0(VALU_DEP_4) | instskip(NEXT) | instid1(VALU_DEP_4)
	v_add_f64 v[1:2], v[6:7], v[1:2]
	v_add_f64 v[3:4], v[8:9], v[4:5]
	s_delay_alu instid0(VALU_DEP_2) | instskip(NEXT) | instid1(VALU_DEP_2)
	v_add_f64 v[1:2], v[1:2], v[10:11]
	v_add_f64 v[3:4], v[3:4], v[12:13]
	s_waitcnt vmcnt(0)
	s_delay_alu instid0(VALU_DEP_2) | instskip(NEXT) | instid1(VALU_DEP_2)
	v_add_f64 v[1:2], v[166:167], -v[1:2]
	v_add_f64 v[3:4], v[168:169], -v[3:4]
	scratch_store_b128 off, v[1:4], off offset:512
	v_cmpx_lt_u32_e32 31, v124
	s_cbranch_execz .LBB40_197
; %bb.196:
	scratch_load_b128 v[1:4], v137, off
	v_mov_b32_e32 v5, 0
	s_delay_alu instid0(VALU_DEP_1)
	v_mov_b32_e32 v6, v5
	v_mov_b32_e32 v7, v5
	;; [unrolled: 1-line block ×3, first 2 shown]
	scratch_store_b128 off, v[5:8], off offset:496
	s_waitcnt vmcnt(0)
	ds_store_b128 v165, v[1:4]
.LBB40_197:
	s_or_b32 exec_lo, exec_lo, s2
	s_waitcnt lgkmcnt(0)
	s_waitcnt_vscnt null, 0x0
	s_barrier
	buffer_gl0_inv
	s_clause 0x7
	scratch_load_b128 v[2:5], off, off offset:512
	scratch_load_b128 v[6:9], off, off offset:528
	;; [unrolled: 1-line block ×8, first 2 shown]
	v_mov_b32_e32 v1, 0
	s_mov_b32 s2, exec_lo
	ds_load_b128 v[34:37], v1 offset:1168
	s_clause 0x1
	scratch_load_b128 v[38:41], off, off offset:640
	scratch_load_b128 v[166:169], off, off offset:496
	ds_load_b128 v[170:173], v1 offset:1184
	s_waitcnt vmcnt(9) lgkmcnt(1)
	v_mul_f64 v[174:175], v[36:37], v[4:5]
	v_mul_f64 v[4:5], v[34:35], v[4:5]
	s_waitcnt vmcnt(8) lgkmcnt(0)
	v_mul_f64 v[176:177], v[170:171], v[8:9]
	v_mul_f64 v[8:9], v[172:173], v[8:9]
	s_delay_alu instid0(VALU_DEP_4) | instskip(NEXT) | instid1(VALU_DEP_4)
	v_fma_f64 v[174:175], v[34:35], v[2:3], -v[174:175]
	v_fma_f64 v[178:179], v[36:37], v[2:3], v[4:5]
	ds_load_b128 v[2:5], v1 offset:1200
	ds_load_b128 v[34:37], v1 offset:1216
	v_fma_f64 v[172:173], v[172:173], v[6:7], v[176:177]
	v_fma_f64 v[6:7], v[170:171], v[6:7], -v[8:9]
	s_waitcnt vmcnt(7) lgkmcnt(1)
	v_mul_f64 v[180:181], v[2:3], v[12:13]
	v_mul_f64 v[12:13], v[4:5], v[12:13]
	v_add_f64 v[8:9], v[174:175], 0
	v_add_f64 v[170:171], v[178:179], 0
	s_waitcnt vmcnt(6) lgkmcnt(0)
	v_mul_f64 v[174:175], v[34:35], v[16:17]
	v_mul_f64 v[16:17], v[36:37], v[16:17]
	v_fma_f64 v[176:177], v[4:5], v[10:11], v[180:181]
	v_fma_f64 v[10:11], v[2:3], v[10:11], -v[12:13]
	v_add_f64 v[12:13], v[8:9], v[6:7]
	v_add_f64 v[170:171], v[170:171], v[172:173]
	ds_load_b128 v[2:5], v1 offset:1232
	ds_load_b128 v[6:9], v1 offset:1248
	v_fma_f64 v[36:37], v[36:37], v[14:15], v[174:175]
	v_fma_f64 v[14:15], v[34:35], v[14:15], -v[16:17]
	s_waitcnt vmcnt(5) lgkmcnt(1)
	v_mul_f64 v[172:173], v[2:3], v[20:21]
	v_mul_f64 v[20:21], v[4:5], v[20:21]
	s_waitcnt vmcnt(4) lgkmcnt(0)
	v_mul_f64 v[16:17], v[6:7], v[24:25]
	v_mul_f64 v[24:25], v[8:9], v[24:25]
	v_add_f64 v[10:11], v[12:13], v[10:11]
	v_add_f64 v[12:13], v[170:171], v[176:177]
	v_fma_f64 v[34:35], v[4:5], v[18:19], v[172:173]
	v_fma_f64 v[18:19], v[2:3], v[18:19], -v[20:21]
	v_fma_f64 v[8:9], v[8:9], v[22:23], v[16:17]
	v_fma_f64 v[6:7], v[6:7], v[22:23], -v[24:25]
	v_add_f64 v[14:15], v[10:11], v[14:15]
	v_add_f64 v[20:21], v[12:13], v[36:37]
	ds_load_b128 v[2:5], v1 offset:1264
	ds_load_b128 v[10:13], v1 offset:1280
	s_waitcnt vmcnt(3) lgkmcnt(1)
	v_mul_f64 v[36:37], v[2:3], v[28:29]
	v_mul_f64 v[28:29], v[4:5], v[28:29]
	v_add_f64 v[14:15], v[14:15], v[18:19]
	v_add_f64 v[16:17], v[20:21], v[34:35]
	s_waitcnt vmcnt(2) lgkmcnt(0)
	v_mul_f64 v[18:19], v[10:11], v[32:33]
	v_mul_f64 v[20:21], v[12:13], v[32:33]
	v_fma_f64 v[22:23], v[4:5], v[26:27], v[36:37]
	v_fma_f64 v[24:25], v[2:3], v[26:27], -v[28:29]
	ds_load_b128 v[2:5], v1 offset:1296
	v_add_f64 v[6:7], v[14:15], v[6:7]
	v_add_f64 v[8:9], v[16:17], v[8:9]
	v_fma_f64 v[12:13], v[12:13], v[30:31], v[18:19]
	v_fma_f64 v[10:11], v[10:11], v[30:31], -v[20:21]
	s_waitcnt vmcnt(1) lgkmcnt(0)
	v_mul_f64 v[14:15], v[2:3], v[40:41]
	v_mul_f64 v[16:17], v[4:5], v[40:41]
	v_add_f64 v[6:7], v[6:7], v[24:25]
	v_add_f64 v[8:9], v[8:9], v[22:23]
	s_delay_alu instid0(VALU_DEP_4) | instskip(NEXT) | instid1(VALU_DEP_4)
	v_fma_f64 v[4:5], v[4:5], v[38:39], v[14:15]
	v_fma_f64 v[2:3], v[2:3], v[38:39], -v[16:17]
	s_delay_alu instid0(VALU_DEP_4) | instskip(NEXT) | instid1(VALU_DEP_4)
	v_add_f64 v[6:7], v[6:7], v[10:11]
	v_add_f64 v[8:9], v[8:9], v[12:13]
	s_delay_alu instid0(VALU_DEP_2) | instskip(NEXT) | instid1(VALU_DEP_2)
	v_add_f64 v[2:3], v[6:7], v[2:3]
	v_add_f64 v[4:5], v[8:9], v[4:5]
	s_waitcnt vmcnt(0)
	s_delay_alu instid0(VALU_DEP_2) | instskip(NEXT) | instid1(VALU_DEP_2)
	v_add_f64 v[2:3], v[166:167], -v[2:3]
	v_add_f64 v[4:5], v[168:169], -v[4:5]
	scratch_store_b128 off, v[2:5], off offset:496
	v_cmpx_lt_u32_e32 30, v124
	s_cbranch_execz .LBB40_199
; %bb.198:
	scratch_load_b128 v[5:8], v140, off
	v_mov_b32_e32 v2, v1
	v_mov_b32_e32 v3, v1
	;; [unrolled: 1-line block ×3, first 2 shown]
	scratch_store_b128 off, v[1:4], off offset:480
	s_waitcnt vmcnt(0)
	ds_store_b128 v165, v[5:8]
.LBB40_199:
	s_or_b32 exec_lo, exec_lo, s2
	s_waitcnt lgkmcnt(0)
	s_waitcnt_vscnt null, 0x0
	s_barrier
	buffer_gl0_inv
	s_clause 0x8
	scratch_load_b128 v[2:5], off, off offset:496
	scratch_load_b128 v[6:9], off, off offset:512
	;; [unrolled: 1-line block ×9, first 2 shown]
	ds_load_b128 v[38:41], v1 offset:1152
	ds_load_b128 v[166:169], v1 offset:1168
	s_clause 0x1
	scratch_load_b128 v[170:173], off, off offset:480
	scratch_load_b128 v[174:177], off, off offset:640
	s_mov_b32 s2, exec_lo
	s_waitcnt vmcnt(10) lgkmcnt(1)
	v_mul_f64 v[178:179], v[40:41], v[4:5]
	v_mul_f64 v[4:5], v[38:39], v[4:5]
	s_waitcnt vmcnt(9) lgkmcnt(0)
	v_mul_f64 v[180:181], v[166:167], v[8:9]
	v_mul_f64 v[8:9], v[168:169], v[8:9]
	s_delay_alu instid0(VALU_DEP_4) | instskip(NEXT) | instid1(VALU_DEP_4)
	v_fma_f64 v[178:179], v[38:39], v[2:3], -v[178:179]
	v_fma_f64 v[182:183], v[40:41], v[2:3], v[4:5]
	ds_load_b128 v[2:5], v1 offset:1184
	ds_load_b128 v[38:41], v1 offset:1200
	v_fma_f64 v[168:169], v[168:169], v[6:7], v[180:181]
	v_fma_f64 v[6:7], v[166:167], v[6:7], -v[8:9]
	s_waitcnt vmcnt(8) lgkmcnt(1)
	v_mul_f64 v[184:185], v[2:3], v[12:13]
	v_mul_f64 v[12:13], v[4:5], v[12:13]
	v_add_f64 v[8:9], v[178:179], 0
	v_add_f64 v[166:167], v[182:183], 0
	s_waitcnt vmcnt(7) lgkmcnt(0)
	v_mul_f64 v[178:179], v[38:39], v[16:17]
	v_mul_f64 v[16:17], v[40:41], v[16:17]
	v_fma_f64 v[180:181], v[4:5], v[10:11], v[184:185]
	v_fma_f64 v[10:11], v[2:3], v[10:11], -v[12:13]
	v_add_f64 v[12:13], v[8:9], v[6:7]
	v_add_f64 v[166:167], v[166:167], v[168:169]
	ds_load_b128 v[2:5], v1 offset:1216
	ds_load_b128 v[6:9], v1 offset:1232
	v_fma_f64 v[40:41], v[40:41], v[14:15], v[178:179]
	v_fma_f64 v[14:15], v[38:39], v[14:15], -v[16:17]
	s_waitcnt vmcnt(6) lgkmcnt(1)
	v_mul_f64 v[168:169], v[2:3], v[20:21]
	v_mul_f64 v[20:21], v[4:5], v[20:21]
	s_waitcnt vmcnt(5) lgkmcnt(0)
	v_mul_f64 v[16:17], v[6:7], v[24:25]
	v_mul_f64 v[24:25], v[8:9], v[24:25]
	v_add_f64 v[10:11], v[12:13], v[10:11]
	v_add_f64 v[12:13], v[166:167], v[180:181]
	v_fma_f64 v[38:39], v[4:5], v[18:19], v[168:169]
	v_fma_f64 v[18:19], v[2:3], v[18:19], -v[20:21]
	v_fma_f64 v[8:9], v[8:9], v[22:23], v[16:17]
	v_fma_f64 v[6:7], v[6:7], v[22:23], -v[24:25]
	v_add_f64 v[14:15], v[10:11], v[14:15]
	v_add_f64 v[20:21], v[12:13], v[40:41]
	ds_load_b128 v[2:5], v1 offset:1248
	ds_load_b128 v[10:13], v1 offset:1264
	s_waitcnt vmcnt(4) lgkmcnt(1)
	v_mul_f64 v[40:41], v[2:3], v[28:29]
	v_mul_f64 v[28:29], v[4:5], v[28:29]
	v_add_f64 v[14:15], v[14:15], v[18:19]
	v_add_f64 v[16:17], v[20:21], v[38:39]
	s_waitcnt vmcnt(3) lgkmcnt(0)
	v_mul_f64 v[18:19], v[10:11], v[32:33]
	v_mul_f64 v[20:21], v[12:13], v[32:33]
	v_fma_f64 v[22:23], v[4:5], v[26:27], v[40:41]
	v_fma_f64 v[24:25], v[2:3], v[26:27], -v[28:29]
	v_add_f64 v[14:15], v[14:15], v[6:7]
	v_add_f64 v[16:17], v[16:17], v[8:9]
	ds_load_b128 v[2:5], v1 offset:1280
	ds_load_b128 v[6:9], v1 offset:1296
	v_fma_f64 v[12:13], v[12:13], v[30:31], v[18:19]
	v_fma_f64 v[10:11], v[10:11], v[30:31], -v[20:21]
	s_waitcnt vmcnt(2) lgkmcnt(1)
	v_mul_f64 v[26:27], v[2:3], v[36:37]
	v_mul_f64 v[28:29], v[4:5], v[36:37]
	s_waitcnt vmcnt(0) lgkmcnt(0)
	v_mul_f64 v[18:19], v[6:7], v[176:177]
	v_mul_f64 v[20:21], v[8:9], v[176:177]
	v_add_f64 v[14:15], v[14:15], v[24:25]
	v_add_f64 v[16:17], v[16:17], v[22:23]
	v_fma_f64 v[4:5], v[4:5], v[34:35], v[26:27]
	v_fma_f64 v[1:2], v[2:3], v[34:35], -v[28:29]
	v_fma_f64 v[8:9], v[8:9], v[174:175], v[18:19]
	v_fma_f64 v[6:7], v[6:7], v[174:175], -v[20:21]
	v_add_f64 v[10:11], v[14:15], v[10:11]
	v_add_f64 v[12:13], v[16:17], v[12:13]
	s_delay_alu instid0(VALU_DEP_2) | instskip(NEXT) | instid1(VALU_DEP_2)
	v_add_f64 v[1:2], v[10:11], v[1:2]
	v_add_f64 v[3:4], v[12:13], v[4:5]
	s_delay_alu instid0(VALU_DEP_2) | instskip(NEXT) | instid1(VALU_DEP_2)
	;; [unrolled: 3-line block ×3, first 2 shown]
	v_add_f64 v[1:2], v[170:171], -v[1:2]
	v_add_f64 v[3:4], v[172:173], -v[3:4]
	scratch_store_b128 off, v[1:4], off offset:480
	v_cmpx_lt_u32_e32 29, v124
	s_cbranch_execz .LBB40_201
; %bb.200:
	scratch_load_b128 v[1:4], v125, off
	v_mov_b32_e32 v5, 0
	s_delay_alu instid0(VALU_DEP_1)
	v_mov_b32_e32 v6, v5
	v_mov_b32_e32 v7, v5
	;; [unrolled: 1-line block ×3, first 2 shown]
	scratch_store_b128 off, v[5:8], off offset:464
	s_waitcnt vmcnt(0)
	ds_store_b128 v165, v[1:4]
.LBB40_201:
	s_or_b32 exec_lo, exec_lo, s2
	s_waitcnt lgkmcnt(0)
	s_waitcnt_vscnt null, 0x0
	s_barrier
	buffer_gl0_inv
	s_clause 0x7
	scratch_load_b128 v[2:5], off, off offset:480
	scratch_load_b128 v[6:9], off, off offset:496
	;; [unrolled: 1-line block ×8, first 2 shown]
	v_mov_b32_e32 v1, 0
	s_mov_b32 s2, exec_lo
	ds_load_b128 v[34:37], v1 offset:1136
	s_clause 0x1
	scratch_load_b128 v[38:41], off, off offset:608
	scratch_load_b128 v[166:169], off, off offset:464
	ds_load_b128 v[170:173], v1 offset:1152
	scratch_load_b128 v[174:177], off, off offset:624
	s_waitcnt vmcnt(10) lgkmcnt(1)
	v_mul_f64 v[178:179], v[36:37], v[4:5]
	v_mul_f64 v[4:5], v[34:35], v[4:5]
	s_delay_alu instid0(VALU_DEP_2) | instskip(NEXT) | instid1(VALU_DEP_2)
	v_fma_f64 v[184:185], v[34:35], v[2:3], -v[178:179]
	v_fma_f64 v[186:187], v[36:37], v[2:3], v[4:5]
	scratch_load_b128 v[34:37], off, off offset:640
	ds_load_b128 v[2:5], v1 offset:1168
	s_waitcnt vmcnt(10) lgkmcnt(1)
	v_mul_f64 v[182:183], v[170:171], v[8:9]
	v_mul_f64 v[8:9], v[172:173], v[8:9]
	ds_load_b128 v[178:181], v1 offset:1184
	s_waitcnt vmcnt(9) lgkmcnt(1)
	v_mul_f64 v[188:189], v[2:3], v[12:13]
	v_mul_f64 v[12:13], v[4:5], v[12:13]
	v_fma_f64 v[172:173], v[172:173], v[6:7], v[182:183]
	v_fma_f64 v[6:7], v[170:171], v[6:7], -v[8:9]
	v_add_f64 v[8:9], v[184:185], 0
	v_add_f64 v[170:171], v[186:187], 0
	s_waitcnt vmcnt(8) lgkmcnt(0)
	v_mul_f64 v[182:183], v[178:179], v[16:17]
	v_mul_f64 v[16:17], v[180:181], v[16:17]
	v_fma_f64 v[184:185], v[4:5], v[10:11], v[188:189]
	v_fma_f64 v[10:11], v[2:3], v[10:11], -v[12:13]
	v_add_f64 v[12:13], v[8:9], v[6:7]
	v_add_f64 v[170:171], v[170:171], v[172:173]
	ds_load_b128 v[2:5], v1 offset:1200
	ds_load_b128 v[6:9], v1 offset:1216
	v_fma_f64 v[180:181], v[180:181], v[14:15], v[182:183]
	v_fma_f64 v[14:15], v[178:179], v[14:15], -v[16:17]
	s_waitcnt vmcnt(7) lgkmcnt(1)
	v_mul_f64 v[172:173], v[2:3], v[20:21]
	v_mul_f64 v[20:21], v[4:5], v[20:21]
	s_waitcnt vmcnt(6) lgkmcnt(0)
	v_mul_f64 v[16:17], v[6:7], v[24:25]
	v_mul_f64 v[24:25], v[8:9], v[24:25]
	v_add_f64 v[10:11], v[12:13], v[10:11]
	v_add_f64 v[12:13], v[170:171], v[184:185]
	v_fma_f64 v[170:171], v[4:5], v[18:19], v[172:173]
	v_fma_f64 v[18:19], v[2:3], v[18:19], -v[20:21]
	v_fma_f64 v[8:9], v[8:9], v[22:23], v[16:17]
	v_fma_f64 v[6:7], v[6:7], v[22:23], -v[24:25]
	v_add_f64 v[14:15], v[10:11], v[14:15]
	v_add_f64 v[20:21], v[12:13], v[180:181]
	ds_load_b128 v[2:5], v1 offset:1232
	ds_load_b128 v[10:13], v1 offset:1248
	s_waitcnt vmcnt(5) lgkmcnt(1)
	v_mul_f64 v[172:173], v[2:3], v[28:29]
	v_mul_f64 v[28:29], v[4:5], v[28:29]
	v_add_f64 v[14:15], v[14:15], v[18:19]
	v_add_f64 v[16:17], v[20:21], v[170:171]
	s_waitcnt vmcnt(4) lgkmcnt(0)
	v_mul_f64 v[18:19], v[10:11], v[32:33]
	v_mul_f64 v[20:21], v[12:13], v[32:33]
	v_fma_f64 v[22:23], v[4:5], v[26:27], v[172:173]
	v_fma_f64 v[24:25], v[2:3], v[26:27], -v[28:29]
	v_add_f64 v[14:15], v[14:15], v[6:7]
	v_add_f64 v[16:17], v[16:17], v[8:9]
	ds_load_b128 v[2:5], v1 offset:1264
	ds_load_b128 v[6:9], v1 offset:1280
	v_fma_f64 v[12:13], v[12:13], v[30:31], v[18:19]
	v_fma_f64 v[10:11], v[10:11], v[30:31], -v[20:21]
	s_waitcnt vmcnt(3) lgkmcnt(1)
	v_mul_f64 v[26:27], v[2:3], v[40:41]
	v_mul_f64 v[28:29], v[4:5], v[40:41]
	s_waitcnt vmcnt(1) lgkmcnt(0)
	v_mul_f64 v[18:19], v[6:7], v[176:177]
	v_mul_f64 v[20:21], v[8:9], v[176:177]
	v_add_f64 v[14:15], v[14:15], v[24:25]
	v_add_f64 v[16:17], v[16:17], v[22:23]
	v_fma_f64 v[22:23], v[4:5], v[38:39], v[26:27]
	v_fma_f64 v[24:25], v[2:3], v[38:39], -v[28:29]
	ds_load_b128 v[2:5], v1 offset:1296
	v_fma_f64 v[8:9], v[8:9], v[174:175], v[18:19]
	v_fma_f64 v[6:7], v[6:7], v[174:175], -v[20:21]
	v_add_f64 v[10:11], v[14:15], v[10:11]
	v_add_f64 v[12:13], v[16:17], v[12:13]
	s_waitcnt vmcnt(0) lgkmcnt(0)
	v_mul_f64 v[14:15], v[2:3], v[36:37]
	v_mul_f64 v[16:17], v[4:5], v[36:37]
	s_delay_alu instid0(VALU_DEP_4) | instskip(NEXT) | instid1(VALU_DEP_4)
	v_add_f64 v[10:11], v[10:11], v[24:25]
	v_add_f64 v[12:13], v[12:13], v[22:23]
	s_delay_alu instid0(VALU_DEP_4) | instskip(NEXT) | instid1(VALU_DEP_4)
	v_fma_f64 v[4:5], v[4:5], v[34:35], v[14:15]
	v_fma_f64 v[2:3], v[2:3], v[34:35], -v[16:17]
	s_delay_alu instid0(VALU_DEP_4) | instskip(NEXT) | instid1(VALU_DEP_4)
	v_add_f64 v[6:7], v[10:11], v[6:7]
	v_add_f64 v[8:9], v[12:13], v[8:9]
	s_delay_alu instid0(VALU_DEP_2) | instskip(NEXT) | instid1(VALU_DEP_2)
	v_add_f64 v[2:3], v[6:7], v[2:3]
	v_add_f64 v[4:5], v[8:9], v[4:5]
	s_delay_alu instid0(VALU_DEP_2) | instskip(NEXT) | instid1(VALU_DEP_2)
	v_add_f64 v[2:3], v[166:167], -v[2:3]
	v_add_f64 v[4:5], v[168:169], -v[4:5]
	scratch_store_b128 off, v[2:5], off offset:464
	v_cmpx_lt_u32_e32 28, v124
	s_cbranch_execz .LBB40_203
; %bb.202:
	scratch_load_b128 v[5:8], v132, off
	v_mov_b32_e32 v2, v1
	v_mov_b32_e32 v3, v1
	;; [unrolled: 1-line block ×3, first 2 shown]
	scratch_store_b128 off, v[1:4], off offset:448
	s_waitcnt vmcnt(0)
	ds_store_b128 v165, v[5:8]
.LBB40_203:
	s_or_b32 exec_lo, exec_lo, s2
	s_waitcnt lgkmcnt(0)
	s_waitcnt_vscnt null, 0x0
	s_barrier
	buffer_gl0_inv
	s_clause 0x8
	scratch_load_b128 v[2:5], off, off offset:464
	scratch_load_b128 v[6:9], off, off offset:480
	;; [unrolled: 1-line block ×9, first 2 shown]
	ds_load_b128 v[38:41], v1 offset:1120
	ds_load_b128 v[166:169], v1 offset:1136
	s_clause 0x1
	scratch_load_b128 v[170:173], off, off offset:448
	scratch_load_b128 v[174:177], off, off offset:608
	s_mov_b32 s2, exec_lo
	s_waitcnt vmcnt(10) lgkmcnt(1)
	v_mul_f64 v[178:179], v[40:41], v[4:5]
	v_mul_f64 v[4:5], v[38:39], v[4:5]
	s_waitcnt vmcnt(9) lgkmcnt(0)
	v_mul_f64 v[182:183], v[166:167], v[8:9]
	v_mul_f64 v[8:9], v[168:169], v[8:9]
	s_delay_alu instid0(VALU_DEP_4) | instskip(NEXT) | instid1(VALU_DEP_4)
	v_fma_f64 v[184:185], v[38:39], v[2:3], -v[178:179]
	v_fma_f64 v[186:187], v[40:41], v[2:3], v[4:5]
	ds_load_b128 v[2:5], v1 offset:1152
	ds_load_b128 v[178:181], v1 offset:1168
	scratch_load_b128 v[38:41], off, off offset:624
	v_fma_f64 v[168:169], v[168:169], v[6:7], v[182:183]
	v_fma_f64 v[166:167], v[166:167], v[6:7], -v[8:9]
	scratch_load_b128 v[6:9], off, off offset:640
	s_waitcnt vmcnt(10) lgkmcnt(1)
	v_mul_f64 v[188:189], v[2:3], v[12:13]
	v_mul_f64 v[12:13], v[4:5], v[12:13]
	v_add_f64 v[182:183], v[184:185], 0
	v_add_f64 v[184:185], v[186:187], 0
	s_waitcnt vmcnt(9) lgkmcnt(0)
	v_mul_f64 v[186:187], v[178:179], v[16:17]
	v_mul_f64 v[16:17], v[180:181], v[16:17]
	v_fma_f64 v[188:189], v[4:5], v[10:11], v[188:189]
	v_fma_f64 v[190:191], v[2:3], v[10:11], -v[12:13]
	ds_load_b128 v[2:5], v1 offset:1184
	ds_load_b128 v[10:13], v1 offset:1200
	v_add_f64 v[166:167], v[182:183], v[166:167]
	v_add_f64 v[168:169], v[184:185], v[168:169]
	v_fma_f64 v[180:181], v[180:181], v[14:15], v[186:187]
	v_fma_f64 v[14:15], v[178:179], v[14:15], -v[16:17]
	s_waitcnt vmcnt(8) lgkmcnt(1)
	v_mul_f64 v[182:183], v[2:3], v[20:21]
	v_mul_f64 v[20:21], v[4:5], v[20:21]
	v_add_f64 v[16:17], v[166:167], v[190:191]
	v_add_f64 v[166:167], v[168:169], v[188:189]
	s_waitcnt vmcnt(7) lgkmcnt(0)
	v_mul_f64 v[168:169], v[10:11], v[24:25]
	v_mul_f64 v[24:25], v[12:13], v[24:25]
	v_fma_f64 v[178:179], v[4:5], v[18:19], v[182:183]
	v_fma_f64 v[18:19], v[2:3], v[18:19], -v[20:21]
	v_add_f64 v[20:21], v[16:17], v[14:15]
	v_add_f64 v[166:167], v[166:167], v[180:181]
	ds_load_b128 v[2:5], v1 offset:1216
	ds_load_b128 v[14:17], v1 offset:1232
	v_fma_f64 v[12:13], v[12:13], v[22:23], v[168:169]
	v_fma_f64 v[10:11], v[10:11], v[22:23], -v[24:25]
	s_waitcnt vmcnt(6) lgkmcnt(1)
	v_mul_f64 v[180:181], v[2:3], v[28:29]
	v_mul_f64 v[28:29], v[4:5], v[28:29]
	s_waitcnt vmcnt(5) lgkmcnt(0)
	v_mul_f64 v[22:23], v[14:15], v[32:33]
	v_mul_f64 v[24:25], v[16:17], v[32:33]
	v_add_f64 v[18:19], v[20:21], v[18:19]
	v_add_f64 v[20:21], v[166:167], v[178:179]
	v_fma_f64 v[32:33], v[4:5], v[26:27], v[180:181]
	v_fma_f64 v[26:27], v[2:3], v[26:27], -v[28:29]
	v_fma_f64 v[16:17], v[16:17], v[30:31], v[22:23]
	v_fma_f64 v[14:15], v[14:15], v[30:31], -v[24:25]
	v_add_f64 v[18:19], v[18:19], v[10:11]
	v_add_f64 v[20:21], v[20:21], v[12:13]
	ds_load_b128 v[2:5], v1 offset:1248
	ds_load_b128 v[10:13], v1 offset:1264
	s_waitcnt vmcnt(4) lgkmcnt(1)
	v_mul_f64 v[28:29], v[2:3], v[36:37]
	v_mul_f64 v[36:37], v[4:5], v[36:37]
	s_waitcnt vmcnt(2) lgkmcnt(0)
	v_mul_f64 v[22:23], v[10:11], v[176:177]
	v_mul_f64 v[24:25], v[12:13], v[176:177]
	v_add_f64 v[18:19], v[18:19], v[26:27]
	v_add_f64 v[20:21], v[20:21], v[32:33]
	v_fma_f64 v[26:27], v[4:5], v[34:35], v[28:29]
	v_fma_f64 v[28:29], v[2:3], v[34:35], -v[36:37]
	v_fma_f64 v[12:13], v[12:13], v[174:175], v[22:23]
	v_fma_f64 v[10:11], v[10:11], v[174:175], -v[24:25]
	v_add_f64 v[18:19], v[18:19], v[14:15]
	v_add_f64 v[20:21], v[20:21], v[16:17]
	ds_load_b128 v[2:5], v1 offset:1280
	ds_load_b128 v[14:17], v1 offset:1296
	s_waitcnt vmcnt(1) lgkmcnt(1)
	v_mul_f64 v[30:31], v[2:3], v[40:41]
	v_mul_f64 v[32:33], v[4:5], v[40:41]
	s_waitcnt vmcnt(0) lgkmcnt(0)
	v_mul_f64 v[22:23], v[14:15], v[8:9]
	v_mul_f64 v[8:9], v[16:17], v[8:9]
	v_add_f64 v[18:19], v[18:19], v[28:29]
	v_add_f64 v[20:21], v[20:21], v[26:27]
	v_fma_f64 v[4:5], v[4:5], v[38:39], v[30:31]
	v_fma_f64 v[1:2], v[2:3], v[38:39], -v[32:33]
	v_fma_f64 v[16:17], v[16:17], v[6:7], v[22:23]
	v_fma_f64 v[6:7], v[14:15], v[6:7], -v[8:9]
	v_add_f64 v[10:11], v[18:19], v[10:11]
	v_add_f64 v[12:13], v[20:21], v[12:13]
	s_delay_alu instid0(VALU_DEP_2) | instskip(NEXT) | instid1(VALU_DEP_2)
	v_add_f64 v[1:2], v[10:11], v[1:2]
	v_add_f64 v[3:4], v[12:13], v[4:5]
	s_delay_alu instid0(VALU_DEP_2) | instskip(NEXT) | instid1(VALU_DEP_2)
	;; [unrolled: 3-line block ×3, first 2 shown]
	v_add_f64 v[1:2], v[170:171], -v[1:2]
	v_add_f64 v[3:4], v[172:173], -v[3:4]
	scratch_store_b128 off, v[1:4], off offset:448
	v_cmpx_lt_u32_e32 27, v124
	s_cbranch_execz .LBB40_205
; %bb.204:
	scratch_load_b128 v[1:4], v133, off
	v_mov_b32_e32 v5, 0
	s_delay_alu instid0(VALU_DEP_1)
	v_mov_b32_e32 v6, v5
	v_mov_b32_e32 v7, v5
	;; [unrolled: 1-line block ×3, first 2 shown]
	scratch_store_b128 off, v[5:8], off offset:432
	s_waitcnt vmcnt(0)
	ds_store_b128 v165, v[1:4]
.LBB40_205:
	s_or_b32 exec_lo, exec_lo, s2
	s_waitcnt lgkmcnt(0)
	s_waitcnt_vscnt null, 0x0
	s_barrier
	buffer_gl0_inv
	s_clause 0x7
	scratch_load_b128 v[2:5], off, off offset:448
	scratch_load_b128 v[6:9], off, off offset:464
	;; [unrolled: 1-line block ×8, first 2 shown]
	v_mov_b32_e32 v1, 0
	s_clause 0x1
	scratch_load_b128 v[38:41], off, off offset:576
	scratch_load_b128 v[170:173], off, off offset:592
	s_mov_b32 s2, exec_lo
	ds_load_b128 v[34:37], v1 offset:1104
	ds_load_b128 v[166:169], v1 offset:1120
	s_waitcnt vmcnt(9) lgkmcnt(1)
	v_mul_f64 v[174:175], v[36:37], v[4:5]
	v_mul_f64 v[4:5], v[34:35], v[4:5]
	s_waitcnt vmcnt(8) lgkmcnt(0)
	v_mul_f64 v[176:177], v[166:167], v[8:9]
	v_mul_f64 v[8:9], v[168:169], v[8:9]
	s_delay_alu instid0(VALU_DEP_4) | instskip(NEXT) | instid1(VALU_DEP_4)
	v_fma_f64 v[174:175], v[34:35], v[2:3], -v[174:175]
	v_fma_f64 v[178:179], v[36:37], v[2:3], v[4:5]
	ds_load_b128 v[2:5], v1 offset:1136
	scratch_load_b128 v[34:37], off, off offset:608
	v_fma_f64 v[176:177], v[168:169], v[6:7], v[176:177]
	v_fma_f64 v[182:183], v[166:167], v[6:7], -v[8:9]
	ds_load_b128 v[6:9], v1 offset:1152
	scratch_load_b128 v[166:169], off, off offset:624
	s_waitcnt vmcnt(9) lgkmcnt(1)
	v_mul_f64 v[180:181], v[2:3], v[12:13]
	v_mul_f64 v[12:13], v[4:5], v[12:13]
	s_waitcnt vmcnt(8) lgkmcnt(0)
	v_mul_f64 v[184:185], v[6:7], v[16:17]
	v_mul_f64 v[16:17], v[8:9], v[16:17]
	v_add_f64 v[174:175], v[174:175], 0
	v_add_f64 v[178:179], v[178:179], 0
	v_fma_f64 v[180:181], v[4:5], v[10:11], v[180:181]
	v_fma_f64 v[186:187], v[2:3], v[10:11], -v[12:13]
	scratch_load_b128 v[10:13], off, off offset:640
	ds_load_b128 v[2:5], v1 offset:1168
	v_add_f64 v[174:175], v[174:175], v[182:183]
	v_add_f64 v[176:177], v[178:179], v[176:177]
	v_fma_f64 v[182:183], v[8:9], v[14:15], v[184:185]
	v_fma_f64 v[14:15], v[6:7], v[14:15], -v[16:17]
	ds_load_b128 v[6:9], v1 offset:1184
	s_waitcnt vmcnt(8) lgkmcnt(1)
	v_mul_f64 v[178:179], v[2:3], v[20:21]
	v_mul_f64 v[20:21], v[4:5], v[20:21]
	v_add_f64 v[16:17], v[174:175], v[186:187]
	v_add_f64 v[174:175], v[176:177], v[180:181]
	s_waitcnt vmcnt(7) lgkmcnt(0)
	v_mul_f64 v[176:177], v[6:7], v[24:25]
	v_mul_f64 v[24:25], v[8:9], v[24:25]
	v_fma_f64 v[178:179], v[4:5], v[18:19], v[178:179]
	v_fma_f64 v[18:19], v[2:3], v[18:19], -v[20:21]
	ds_load_b128 v[2:5], v1 offset:1200
	v_add_f64 v[14:15], v[16:17], v[14:15]
	v_add_f64 v[16:17], v[174:175], v[182:183]
	v_fma_f64 v[174:175], v[8:9], v[22:23], v[176:177]
	v_fma_f64 v[22:23], v[6:7], v[22:23], -v[24:25]
	ds_load_b128 v[6:9], v1 offset:1216
	s_waitcnt vmcnt(6) lgkmcnt(1)
	v_mul_f64 v[20:21], v[2:3], v[28:29]
	v_mul_f64 v[28:29], v[4:5], v[28:29]
	s_waitcnt vmcnt(5) lgkmcnt(0)
	v_mul_f64 v[176:177], v[6:7], v[32:33]
	v_mul_f64 v[32:33], v[8:9], v[32:33]
	v_add_f64 v[18:19], v[14:15], v[18:19]
	v_add_f64 v[24:25], v[16:17], v[178:179]
	scratch_load_b128 v[14:17], off, off offset:432
	v_fma_f64 v[20:21], v[4:5], v[26:27], v[20:21]
	v_fma_f64 v[26:27], v[2:3], v[26:27], -v[28:29]
	ds_load_b128 v[2:5], v1 offset:1232
	s_waitcnt vmcnt(5) lgkmcnt(0)
	v_mul_f64 v[28:29], v[4:5], v[40:41]
	v_add_f64 v[18:19], v[18:19], v[22:23]
	v_add_f64 v[22:23], v[24:25], v[174:175]
	v_mul_f64 v[24:25], v[2:3], v[40:41]
	v_fma_f64 v[40:41], v[8:9], v[30:31], v[176:177]
	v_fma_f64 v[30:31], v[6:7], v[30:31], -v[32:33]
	ds_load_b128 v[6:9], v1 offset:1248
	v_fma_f64 v[28:29], v[2:3], v[38:39], -v[28:29]
	v_add_f64 v[18:19], v[18:19], v[26:27]
	v_add_f64 v[20:21], v[22:23], v[20:21]
	v_fma_f64 v[24:25], v[4:5], v[38:39], v[24:25]
	ds_load_b128 v[2:5], v1 offset:1264
	s_waitcnt vmcnt(4) lgkmcnt(1)
	v_mul_f64 v[22:23], v[6:7], v[172:173]
	v_mul_f64 v[26:27], v[8:9], v[172:173]
	v_add_f64 v[18:19], v[18:19], v[30:31]
	v_add_f64 v[20:21], v[20:21], v[40:41]
	s_delay_alu instid0(VALU_DEP_4) | instskip(NEXT) | instid1(VALU_DEP_4)
	v_fma_f64 v[22:23], v[8:9], v[170:171], v[22:23]
	v_fma_f64 v[26:27], v[6:7], v[170:171], -v[26:27]
	ds_load_b128 v[6:9], v1 offset:1280
	s_waitcnt vmcnt(3) lgkmcnt(1)
	v_mul_f64 v[30:31], v[2:3], v[36:37]
	v_mul_f64 v[32:33], v[4:5], v[36:37]
	v_add_f64 v[18:19], v[18:19], v[28:29]
	v_add_f64 v[20:21], v[20:21], v[24:25]
	s_delay_alu instid0(VALU_DEP_4) | instskip(NEXT) | instid1(VALU_DEP_4)
	v_fma_f64 v[30:31], v[4:5], v[34:35], v[30:31]
	v_fma_f64 v[32:33], v[2:3], v[34:35], -v[32:33]
	ds_load_b128 v[2:5], v1 offset:1296
	s_waitcnt vmcnt(2) lgkmcnt(1)
	v_mul_f64 v[24:25], v[6:7], v[168:169]
	v_mul_f64 v[28:29], v[8:9], v[168:169]
	v_add_f64 v[18:19], v[18:19], v[26:27]
	v_add_f64 v[20:21], v[20:21], v[22:23]
	s_waitcnt vmcnt(1) lgkmcnt(0)
	v_mul_f64 v[22:23], v[2:3], v[12:13]
	v_mul_f64 v[12:13], v[4:5], v[12:13]
	v_fma_f64 v[8:9], v[8:9], v[166:167], v[24:25]
	v_fma_f64 v[6:7], v[6:7], v[166:167], -v[28:29]
	v_add_f64 v[18:19], v[18:19], v[32:33]
	v_add_f64 v[20:21], v[20:21], v[30:31]
	v_fma_f64 v[4:5], v[4:5], v[10:11], v[22:23]
	v_fma_f64 v[2:3], v[2:3], v[10:11], -v[12:13]
	s_delay_alu instid0(VALU_DEP_4) | instskip(NEXT) | instid1(VALU_DEP_4)
	v_add_f64 v[6:7], v[18:19], v[6:7]
	v_add_f64 v[8:9], v[20:21], v[8:9]
	s_delay_alu instid0(VALU_DEP_2) | instskip(NEXT) | instid1(VALU_DEP_2)
	v_add_f64 v[2:3], v[6:7], v[2:3]
	v_add_f64 v[4:5], v[8:9], v[4:5]
	s_waitcnt vmcnt(0)
	s_delay_alu instid0(VALU_DEP_2) | instskip(NEXT) | instid1(VALU_DEP_2)
	v_add_f64 v[2:3], v[14:15], -v[2:3]
	v_add_f64 v[4:5], v[16:17], -v[4:5]
	scratch_store_b128 off, v[2:5], off offset:432
	v_cmpx_lt_u32_e32 26, v124
	s_cbranch_execz .LBB40_207
; %bb.206:
	scratch_load_b128 v[5:8], v138, off
	v_mov_b32_e32 v2, v1
	v_mov_b32_e32 v3, v1
	;; [unrolled: 1-line block ×3, first 2 shown]
	scratch_store_b128 off, v[1:4], off offset:416
	s_waitcnt vmcnt(0)
	ds_store_b128 v165, v[5:8]
.LBB40_207:
	s_or_b32 exec_lo, exec_lo, s2
	s_waitcnt lgkmcnt(0)
	s_waitcnt_vscnt null, 0x0
	s_barrier
	buffer_gl0_inv
	s_clause 0x7
	scratch_load_b128 v[2:5], off, off offset:432
	scratch_load_b128 v[6:9], off, off offset:448
	;; [unrolled: 1-line block ×8, first 2 shown]
	ds_load_b128 v[34:37], v1 offset:1088
	ds_load_b128 v[166:169], v1 offset:1104
	s_clause 0x1
	scratch_load_b128 v[38:41], off, off offset:560
	scratch_load_b128 v[170:173], off, off offset:576
	s_mov_b32 s2, exec_lo
	s_waitcnt vmcnt(9) lgkmcnt(1)
	v_mul_f64 v[174:175], v[36:37], v[4:5]
	v_mul_f64 v[4:5], v[34:35], v[4:5]
	s_waitcnt vmcnt(8) lgkmcnt(0)
	v_mul_f64 v[176:177], v[166:167], v[8:9]
	v_mul_f64 v[8:9], v[168:169], v[8:9]
	s_delay_alu instid0(VALU_DEP_4) | instskip(NEXT) | instid1(VALU_DEP_4)
	v_fma_f64 v[174:175], v[34:35], v[2:3], -v[174:175]
	v_fma_f64 v[178:179], v[36:37], v[2:3], v[4:5]
	scratch_load_b128 v[34:37], off, off offset:592
	ds_load_b128 v[2:5], v1 offset:1120
	v_fma_f64 v[176:177], v[168:169], v[6:7], v[176:177]
	v_fma_f64 v[182:183], v[166:167], v[6:7], -v[8:9]
	ds_load_b128 v[6:9], v1 offset:1136
	scratch_load_b128 v[166:169], off, off offset:608
	s_waitcnt vmcnt(9) lgkmcnt(1)
	v_mul_f64 v[180:181], v[2:3], v[12:13]
	v_mul_f64 v[12:13], v[4:5], v[12:13]
	s_waitcnt vmcnt(8) lgkmcnt(0)
	v_mul_f64 v[184:185], v[6:7], v[16:17]
	v_mul_f64 v[16:17], v[8:9], v[16:17]
	v_add_f64 v[174:175], v[174:175], 0
	v_add_f64 v[178:179], v[178:179], 0
	v_fma_f64 v[180:181], v[4:5], v[10:11], v[180:181]
	v_fma_f64 v[186:187], v[2:3], v[10:11], -v[12:13]
	scratch_load_b128 v[10:13], off, off offset:624
	ds_load_b128 v[2:5], v1 offset:1152
	v_add_f64 v[174:175], v[174:175], v[182:183]
	v_add_f64 v[176:177], v[178:179], v[176:177]
	v_fma_f64 v[182:183], v[8:9], v[14:15], v[184:185]
	v_fma_f64 v[184:185], v[6:7], v[14:15], -v[16:17]
	ds_load_b128 v[6:9], v1 offset:1168
	scratch_load_b128 v[14:17], off, off offset:640
	s_waitcnt vmcnt(9) lgkmcnt(1)
	v_mul_f64 v[178:179], v[2:3], v[20:21]
	v_mul_f64 v[20:21], v[4:5], v[20:21]
	v_add_f64 v[174:175], v[174:175], v[186:187]
	v_add_f64 v[176:177], v[176:177], v[180:181]
	s_waitcnt vmcnt(8) lgkmcnt(0)
	v_mul_f64 v[180:181], v[6:7], v[24:25]
	v_mul_f64 v[24:25], v[8:9], v[24:25]
	v_fma_f64 v[178:179], v[4:5], v[18:19], v[178:179]
	v_fma_f64 v[18:19], v[2:3], v[18:19], -v[20:21]
	ds_load_b128 v[2:5], v1 offset:1184
	v_add_f64 v[20:21], v[174:175], v[184:185]
	v_add_f64 v[174:175], v[176:177], v[182:183]
	v_fma_f64 v[180:181], v[8:9], v[22:23], v[180:181]
	v_fma_f64 v[22:23], v[6:7], v[22:23], -v[24:25]
	ds_load_b128 v[6:9], v1 offset:1200
	s_waitcnt vmcnt(7) lgkmcnt(1)
	v_mul_f64 v[176:177], v[2:3], v[28:29]
	v_mul_f64 v[28:29], v[4:5], v[28:29]
	s_waitcnt vmcnt(6) lgkmcnt(0)
	v_mul_f64 v[24:25], v[6:7], v[32:33]
	v_mul_f64 v[32:33], v[8:9], v[32:33]
	v_add_f64 v[18:19], v[20:21], v[18:19]
	v_add_f64 v[20:21], v[174:175], v[178:179]
	v_fma_f64 v[174:175], v[4:5], v[26:27], v[176:177]
	v_fma_f64 v[26:27], v[2:3], v[26:27], -v[28:29]
	ds_load_b128 v[2:5], v1 offset:1216
	v_fma_f64 v[24:25], v[8:9], v[30:31], v[24:25]
	v_fma_f64 v[30:31], v[6:7], v[30:31], -v[32:33]
	ds_load_b128 v[6:9], v1 offset:1232
	v_add_f64 v[22:23], v[18:19], v[22:23]
	v_add_f64 v[28:29], v[20:21], v[180:181]
	scratch_load_b128 v[18:21], off, off offset:416
	s_waitcnt vmcnt(6) lgkmcnt(1)
	v_mul_f64 v[176:177], v[2:3], v[40:41]
	v_mul_f64 v[40:41], v[4:5], v[40:41]
	s_waitcnt vmcnt(5) lgkmcnt(0)
	v_mul_f64 v[32:33], v[8:9], v[172:173]
	v_add_f64 v[22:23], v[22:23], v[26:27]
	v_add_f64 v[26:27], v[28:29], v[174:175]
	v_mul_f64 v[28:29], v[6:7], v[172:173]
	v_fma_f64 v[172:173], v[4:5], v[38:39], v[176:177]
	v_fma_f64 v[38:39], v[2:3], v[38:39], -v[40:41]
	ds_load_b128 v[2:5], v1 offset:1248
	v_fma_f64 v[32:33], v[6:7], v[170:171], -v[32:33]
	v_add_f64 v[22:23], v[22:23], v[30:31]
	v_add_f64 v[24:25], v[26:27], v[24:25]
	v_fma_f64 v[28:29], v[8:9], v[170:171], v[28:29]
	ds_load_b128 v[6:9], v1 offset:1264
	s_waitcnt vmcnt(4) lgkmcnt(1)
	v_mul_f64 v[26:27], v[2:3], v[36:37]
	v_mul_f64 v[30:31], v[4:5], v[36:37]
	s_waitcnt vmcnt(3) lgkmcnt(0)
	v_mul_f64 v[36:37], v[6:7], v[168:169]
	v_add_f64 v[22:23], v[22:23], v[38:39]
	v_add_f64 v[24:25], v[24:25], v[172:173]
	v_mul_f64 v[38:39], v[8:9], v[168:169]
	v_fma_f64 v[26:27], v[4:5], v[34:35], v[26:27]
	v_fma_f64 v[30:31], v[2:3], v[34:35], -v[30:31]
	ds_load_b128 v[2:5], v1 offset:1280
	v_add_f64 v[22:23], v[22:23], v[32:33]
	v_add_f64 v[24:25], v[24:25], v[28:29]
	v_fma_f64 v[32:33], v[8:9], v[166:167], v[36:37]
	v_fma_f64 v[34:35], v[6:7], v[166:167], -v[38:39]
	ds_load_b128 v[6:9], v1 offset:1296
	s_waitcnt vmcnt(2) lgkmcnt(1)
	v_mul_f64 v[28:29], v[2:3], v[12:13]
	v_mul_f64 v[12:13], v[4:5], v[12:13]
	v_add_f64 v[22:23], v[22:23], v[30:31]
	v_add_f64 v[24:25], v[24:25], v[26:27]
	s_waitcnt vmcnt(1) lgkmcnt(0)
	v_mul_f64 v[26:27], v[6:7], v[16:17]
	v_mul_f64 v[16:17], v[8:9], v[16:17]
	v_fma_f64 v[4:5], v[4:5], v[10:11], v[28:29]
	v_fma_f64 v[1:2], v[2:3], v[10:11], -v[12:13]
	v_add_f64 v[10:11], v[22:23], v[34:35]
	v_add_f64 v[12:13], v[24:25], v[32:33]
	v_fma_f64 v[8:9], v[8:9], v[14:15], v[26:27]
	v_fma_f64 v[6:7], v[6:7], v[14:15], -v[16:17]
	s_delay_alu instid0(VALU_DEP_4) | instskip(NEXT) | instid1(VALU_DEP_4)
	v_add_f64 v[1:2], v[10:11], v[1:2]
	v_add_f64 v[3:4], v[12:13], v[4:5]
	s_delay_alu instid0(VALU_DEP_2) | instskip(NEXT) | instid1(VALU_DEP_2)
	v_add_f64 v[1:2], v[1:2], v[6:7]
	v_add_f64 v[3:4], v[3:4], v[8:9]
	s_waitcnt vmcnt(0)
	s_delay_alu instid0(VALU_DEP_2) | instskip(NEXT) | instid1(VALU_DEP_2)
	v_add_f64 v[1:2], v[18:19], -v[1:2]
	v_add_f64 v[3:4], v[20:21], -v[3:4]
	scratch_store_b128 off, v[1:4], off offset:416
	v_cmpx_lt_u32_e32 25, v124
	s_cbranch_execz .LBB40_209
; %bb.208:
	scratch_load_b128 v[1:4], v139, off
	v_mov_b32_e32 v5, 0
	s_delay_alu instid0(VALU_DEP_1)
	v_mov_b32_e32 v6, v5
	v_mov_b32_e32 v7, v5
	;; [unrolled: 1-line block ×3, first 2 shown]
	scratch_store_b128 off, v[5:8], off offset:400
	s_waitcnt vmcnt(0)
	ds_store_b128 v165, v[1:4]
.LBB40_209:
	s_or_b32 exec_lo, exec_lo, s2
	s_waitcnt lgkmcnt(0)
	s_waitcnt_vscnt null, 0x0
	s_barrier
	buffer_gl0_inv
	s_clause 0x7
	scratch_load_b128 v[2:5], off, off offset:416
	scratch_load_b128 v[6:9], off, off offset:432
	;; [unrolled: 1-line block ×8, first 2 shown]
	v_mov_b32_e32 v1, 0
	s_clause 0x1
	scratch_load_b128 v[38:41], off, off offset:544
	scratch_load_b128 v[170:173], off, off offset:560
	s_mov_b32 s2, exec_lo
	ds_load_b128 v[34:37], v1 offset:1072
	ds_load_b128 v[166:169], v1 offset:1088
	s_waitcnt vmcnt(9) lgkmcnt(1)
	v_mul_f64 v[174:175], v[36:37], v[4:5]
	v_mul_f64 v[4:5], v[34:35], v[4:5]
	s_waitcnt vmcnt(8) lgkmcnt(0)
	v_mul_f64 v[176:177], v[166:167], v[8:9]
	v_mul_f64 v[8:9], v[168:169], v[8:9]
	s_delay_alu instid0(VALU_DEP_4) | instskip(NEXT) | instid1(VALU_DEP_4)
	v_fma_f64 v[174:175], v[34:35], v[2:3], -v[174:175]
	v_fma_f64 v[178:179], v[36:37], v[2:3], v[4:5]
	ds_load_b128 v[2:5], v1 offset:1104
	scratch_load_b128 v[34:37], off, off offset:576
	v_fma_f64 v[176:177], v[168:169], v[6:7], v[176:177]
	v_fma_f64 v[182:183], v[166:167], v[6:7], -v[8:9]
	ds_load_b128 v[6:9], v1 offset:1120
	scratch_load_b128 v[166:169], off, off offset:592
	s_waitcnt vmcnt(9) lgkmcnt(1)
	v_mul_f64 v[180:181], v[2:3], v[12:13]
	v_mul_f64 v[12:13], v[4:5], v[12:13]
	s_waitcnt vmcnt(8) lgkmcnt(0)
	v_mul_f64 v[184:185], v[6:7], v[16:17]
	v_mul_f64 v[16:17], v[8:9], v[16:17]
	v_add_f64 v[174:175], v[174:175], 0
	v_add_f64 v[178:179], v[178:179], 0
	v_fma_f64 v[180:181], v[4:5], v[10:11], v[180:181]
	v_fma_f64 v[186:187], v[2:3], v[10:11], -v[12:13]
	scratch_load_b128 v[10:13], off, off offset:608
	ds_load_b128 v[2:5], v1 offset:1136
	v_add_f64 v[174:175], v[174:175], v[182:183]
	v_add_f64 v[176:177], v[178:179], v[176:177]
	v_fma_f64 v[182:183], v[8:9], v[14:15], v[184:185]
	v_fma_f64 v[184:185], v[6:7], v[14:15], -v[16:17]
	ds_load_b128 v[6:9], v1 offset:1152
	scratch_load_b128 v[14:17], off, off offset:624
	s_waitcnt vmcnt(9) lgkmcnt(1)
	v_mul_f64 v[178:179], v[2:3], v[20:21]
	v_mul_f64 v[20:21], v[4:5], v[20:21]
	v_add_f64 v[174:175], v[174:175], v[186:187]
	v_add_f64 v[176:177], v[176:177], v[180:181]
	s_waitcnt vmcnt(8) lgkmcnt(0)
	v_mul_f64 v[180:181], v[6:7], v[24:25]
	v_mul_f64 v[24:25], v[8:9], v[24:25]
	v_fma_f64 v[178:179], v[4:5], v[18:19], v[178:179]
	v_fma_f64 v[186:187], v[2:3], v[18:19], -v[20:21]
	scratch_load_b128 v[18:21], off, off offset:640
	ds_load_b128 v[2:5], v1 offset:1168
	v_add_f64 v[174:175], v[174:175], v[184:185]
	v_add_f64 v[176:177], v[176:177], v[182:183]
	v_fma_f64 v[180:181], v[8:9], v[22:23], v[180:181]
	v_fma_f64 v[22:23], v[6:7], v[22:23], -v[24:25]
	ds_load_b128 v[6:9], v1 offset:1184
	s_waitcnt vmcnt(8) lgkmcnt(1)
	v_mul_f64 v[182:183], v[2:3], v[28:29]
	v_mul_f64 v[28:29], v[4:5], v[28:29]
	v_add_f64 v[24:25], v[174:175], v[186:187]
	v_add_f64 v[174:175], v[176:177], v[178:179]
	s_waitcnt vmcnt(7) lgkmcnt(0)
	v_mul_f64 v[176:177], v[6:7], v[32:33]
	v_mul_f64 v[32:33], v[8:9], v[32:33]
	v_fma_f64 v[178:179], v[4:5], v[26:27], v[182:183]
	v_fma_f64 v[26:27], v[2:3], v[26:27], -v[28:29]
	ds_load_b128 v[2:5], v1 offset:1200
	v_add_f64 v[22:23], v[24:25], v[22:23]
	v_add_f64 v[24:25], v[174:175], v[180:181]
	v_fma_f64 v[174:175], v[8:9], v[30:31], v[176:177]
	v_fma_f64 v[30:31], v[6:7], v[30:31], -v[32:33]
	ds_load_b128 v[6:9], v1 offset:1216
	s_waitcnt vmcnt(5) lgkmcnt(0)
	v_mul_f64 v[176:177], v[6:7], v[172:173]
	v_mul_f64 v[172:173], v[8:9], v[172:173]
	v_add_f64 v[26:27], v[22:23], v[26:27]
	v_add_f64 v[32:33], v[24:25], v[178:179]
	scratch_load_b128 v[22:25], off, off offset:400
	v_mul_f64 v[28:29], v[2:3], v[40:41]
	v_mul_f64 v[40:41], v[4:5], v[40:41]
	v_add_f64 v[26:27], v[26:27], v[30:31]
	v_add_f64 v[30:31], v[32:33], v[174:175]
	s_delay_alu instid0(VALU_DEP_4) | instskip(NEXT) | instid1(VALU_DEP_4)
	v_fma_f64 v[28:29], v[4:5], v[38:39], v[28:29]
	v_fma_f64 v[38:39], v[2:3], v[38:39], -v[40:41]
	ds_load_b128 v[2:5], v1 offset:1232
	v_fma_f64 v[40:41], v[8:9], v[170:171], v[176:177]
	v_fma_f64 v[170:171], v[6:7], v[170:171], -v[172:173]
	ds_load_b128 v[6:9], v1 offset:1248
	s_waitcnt vmcnt(5) lgkmcnt(1)
	v_mul_f64 v[32:33], v[2:3], v[36:37]
	v_mul_f64 v[36:37], v[4:5], v[36:37]
	v_add_f64 v[28:29], v[30:31], v[28:29]
	v_add_f64 v[26:27], v[26:27], v[38:39]
	s_waitcnt vmcnt(4) lgkmcnt(0)
	v_mul_f64 v[30:31], v[6:7], v[168:169]
	v_mul_f64 v[38:39], v[8:9], v[168:169]
	v_fma_f64 v[32:33], v[4:5], v[34:35], v[32:33]
	v_fma_f64 v[34:35], v[2:3], v[34:35], -v[36:37]
	ds_load_b128 v[2:5], v1 offset:1264
	v_add_f64 v[28:29], v[28:29], v[40:41]
	v_add_f64 v[26:27], v[26:27], v[170:171]
	v_fma_f64 v[30:31], v[8:9], v[166:167], v[30:31]
	v_fma_f64 v[38:39], v[6:7], v[166:167], -v[38:39]
	ds_load_b128 v[6:9], v1 offset:1280
	s_waitcnt vmcnt(3) lgkmcnt(1)
	v_mul_f64 v[36:37], v[2:3], v[12:13]
	v_mul_f64 v[12:13], v[4:5], v[12:13]
	v_add_f64 v[28:29], v[28:29], v[32:33]
	v_add_f64 v[26:27], v[26:27], v[34:35]
	s_waitcnt vmcnt(2) lgkmcnt(0)
	v_mul_f64 v[32:33], v[6:7], v[16:17]
	v_mul_f64 v[16:17], v[8:9], v[16:17]
	v_fma_f64 v[34:35], v[4:5], v[10:11], v[36:37]
	v_fma_f64 v[10:11], v[2:3], v[10:11], -v[12:13]
	ds_load_b128 v[2:5], v1 offset:1296
	v_add_f64 v[12:13], v[26:27], v[38:39]
	v_add_f64 v[26:27], v[28:29], v[30:31]
	s_waitcnt vmcnt(1) lgkmcnt(0)
	v_mul_f64 v[28:29], v[2:3], v[20:21]
	v_mul_f64 v[20:21], v[4:5], v[20:21]
	v_fma_f64 v[8:9], v[8:9], v[14:15], v[32:33]
	v_fma_f64 v[6:7], v[6:7], v[14:15], -v[16:17]
	v_add_f64 v[10:11], v[12:13], v[10:11]
	v_add_f64 v[12:13], v[26:27], v[34:35]
	v_fma_f64 v[4:5], v[4:5], v[18:19], v[28:29]
	v_fma_f64 v[2:3], v[2:3], v[18:19], -v[20:21]
	s_delay_alu instid0(VALU_DEP_4) | instskip(NEXT) | instid1(VALU_DEP_4)
	v_add_f64 v[6:7], v[10:11], v[6:7]
	v_add_f64 v[8:9], v[12:13], v[8:9]
	s_delay_alu instid0(VALU_DEP_2) | instskip(NEXT) | instid1(VALU_DEP_2)
	v_add_f64 v[2:3], v[6:7], v[2:3]
	v_add_f64 v[4:5], v[8:9], v[4:5]
	s_waitcnt vmcnt(0)
	s_delay_alu instid0(VALU_DEP_2) | instskip(NEXT) | instid1(VALU_DEP_2)
	v_add_f64 v[2:3], v[22:23], -v[2:3]
	v_add_f64 v[4:5], v[24:25], -v[4:5]
	scratch_store_b128 off, v[2:5], off offset:400
	v_cmpx_lt_u32_e32 24, v124
	s_cbranch_execz .LBB40_211
; %bb.210:
	scratch_load_b128 v[5:8], v141, off
	v_mov_b32_e32 v2, v1
	v_mov_b32_e32 v3, v1
	;; [unrolled: 1-line block ×3, first 2 shown]
	scratch_store_b128 off, v[1:4], off offset:384
	s_waitcnt vmcnt(0)
	ds_store_b128 v165, v[5:8]
.LBB40_211:
	s_or_b32 exec_lo, exec_lo, s2
	s_waitcnt lgkmcnt(0)
	s_waitcnt_vscnt null, 0x0
	s_barrier
	buffer_gl0_inv
	s_clause 0x7
	scratch_load_b128 v[2:5], off, off offset:400
	scratch_load_b128 v[6:9], off, off offset:416
	;; [unrolled: 1-line block ×8, first 2 shown]
	ds_load_b128 v[34:37], v1 offset:1056
	ds_load_b128 v[166:169], v1 offset:1072
	s_clause 0x1
	scratch_load_b128 v[38:41], off, off offset:528
	scratch_load_b128 v[170:173], off, off offset:544
	s_mov_b32 s2, exec_lo
	s_waitcnt vmcnt(9) lgkmcnt(1)
	v_mul_f64 v[174:175], v[36:37], v[4:5]
	v_mul_f64 v[4:5], v[34:35], v[4:5]
	s_waitcnt vmcnt(8) lgkmcnt(0)
	v_mul_f64 v[176:177], v[166:167], v[8:9]
	v_mul_f64 v[8:9], v[168:169], v[8:9]
	s_delay_alu instid0(VALU_DEP_4) | instskip(NEXT) | instid1(VALU_DEP_4)
	v_fma_f64 v[174:175], v[34:35], v[2:3], -v[174:175]
	v_fma_f64 v[178:179], v[36:37], v[2:3], v[4:5]
	ds_load_b128 v[2:5], v1 offset:1088
	scratch_load_b128 v[34:37], off, off offset:560
	v_fma_f64 v[176:177], v[168:169], v[6:7], v[176:177]
	v_fma_f64 v[182:183], v[166:167], v[6:7], -v[8:9]
	ds_load_b128 v[6:9], v1 offset:1104
	scratch_load_b128 v[166:169], off, off offset:576
	s_waitcnt vmcnt(9) lgkmcnt(1)
	v_mul_f64 v[180:181], v[2:3], v[12:13]
	v_mul_f64 v[12:13], v[4:5], v[12:13]
	s_waitcnt vmcnt(8) lgkmcnt(0)
	v_mul_f64 v[184:185], v[6:7], v[16:17]
	v_mul_f64 v[16:17], v[8:9], v[16:17]
	v_add_f64 v[174:175], v[174:175], 0
	v_add_f64 v[178:179], v[178:179], 0
	v_fma_f64 v[180:181], v[4:5], v[10:11], v[180:181]
	v_fma_f64 v[186:187], v[2:3], v[10:11], -v[12:13]
	scratch_load_b128 v[10:13], off, off offset:592
	ds_load_b128 v[2:5], v1 offset:1120
	v_add_f64 v[174:175], v[174:175], v[182:183]
	v_add_f64 v[176:177], v[178:179], v[176:177]
	v_fma_f64 v[182:183], v[8:9], v[14:15], v[184:185]
	v_fma_f64 v[184:185], v[6:7], v[14:15], -v[16:17]
	ds_load_b128 v[6:9], v1 offset:1136
	scratch_load_b128 v[14:17], off, off offset:608
	s_waitcnt vmcnt(9) lgkmcnt(1)
	v_mul_f64 v[178:179], v[2:3], v[20:21]
	v_mul_f64 v[20:21], v[4:5], v[20:21]
	v_add_f64 v[174:175], v[174:175], v[186:187]
	v_add_f64 v[176:177], v[176:177], v[180:181]
	s_waitcnt vmcnt(8) lgkmcnt(0)
	v_mul_f64 v[180:181], v[6:7], v[24:25]
	v_mul_f64 v[24:25], v[8:9], v[24:25]
	v_fma_f64 v[178:179], v[4:5], v[18:19], v[178:179]
	v_fma_f64 v[186:187], v[2:3], v[18:19], -v[20:21]
	scratch_load_b128 v[18:21], off, off offset:624
	ds_load_b128 v[2:5], v1 offset:1152
	v_add_f64 v[174:175], v[174:175], v[184:185]
	v_add_f64 v[176:177], v[176:177], v[182:183]
	v_fma_f64 v[180:181], v[8:9], v[22:23], v[180:181]
	v_fma_f64 v[184:185], v[6:7], v[22:23], -v[24:25]
	ds_load_b128 v[6:9], v1 offset:1168
	s_waitcnt vmcnt(8) lgkmcnt(1)
	v_mul_f64 v[182:183], v[2:3], v[28:29]
	v_mul_f64 v[28:29], v[4:5], v[28:29]
	scratch_load_b128 v[22:25], off, off offset:640
	v_add_f64 v[174:175], v[174:175], v[186:187]
	v_add_f64 v[176:177], v[176:177], v[178:179]
	s_waitcnt vmcnt(8) lgkmcnt(0)
	v_mul_f64 v[178:179], v[6:7], v[32:33]
	v_mul_f64 v[32:33], v[8:9], v[32:33]
	v_fma_f64 v[182:183], v[4:5], v[26:27], v[182:183]
	v_fma_f64 v[26:27], v[2:3], v[26:27], -v[28:29]
	ds_load_b128 v[2:5], v1 offset:1184
	v_add_f64 v[28:29], v[174:175], v[184:185]
	v_add_f64 v[174:175], v[176:177], v[180:181]
	v_fma_f64 v[178:179], v[8:9], v[30:31], v[178:179]
	v_fma_f64 v[30:31], v[6:7], v[30:31], -v[32:33]
	ds_load_b128 v[6:9], v1 offset:1200
	s_waitcnt vmcnt(7) lgkmcnt(1)
	v_mul_f64 v[176:177], v[2:3], v[40:41]
	v_mul_f64 v[40:41], v[4:5], v[40:41]
	v_add_f64 v[26:27], v[28:29], v[26:27]
	v_add_f64 v[28:29], v[174:175], v[182:183]
	s_delay_alu instid0(VALU_DEP_4) | instskip(NEXT) | instid1(VALU_DEP_4)
	v_fma_f64 v[174:175], v[4:5], v[38:39], v[176:177]
	v_fma_f64 v[38:39], v[2:3], v[38:39], -v[40:41]
	ds_load_b128 v[2:5], v1 offset:1216
	v_add_f64 v[30:31], v[26:27], v[30:31]
	v_add_f64 v[40:41], v[28:29], v[178:179]
	scratch_load_b128 v[26:29], off, off offset:384
	s_waitcnt vmcnt(7) lgkmcnt(1)
	v_mul_f64 v[32:33], v[6:7], v[172:173]
	v_mul_f64 v[172:173], v[8:9], v[172:173]
	v_add_f64 v[30:31], v[30:31], v[38:39]
	v_add_f64 v[38:39], v[40:41], v[174:175]
	s_delay_alu instid0(VALU_DEP_4) | instskip(NEXT) | instid1(VALU_DEP_4)
	v_fma_f64 v[32:33], v[8:9], v[170:171], v[32:33]
	v_fma_f64 v[170:171], v[6:7], v[170:171], -v[172:173]
	ds_load_b128 v[6:9], v1 offset:1232
	s_waitcnt vmcnt(6) lgkmcnt(1)
	v_mul_f64 v[176:177], v[2:3], v[36:37]
	v_mul_f64 v[36:37], v[4:5], v[36:37]
	s_waitcnt vmcnt(5) lgkmcnt(0)
	v_mul_f64 v[40:41], v[6:7], v[168:169]
	v_mul_f64 v[168:169], v[8:9], v[168:169]
	v_add_f64 v[32:33], v[38:39], v[32:33]
	v_add_f64 v[30:31], v[30:31], v[170:171]
	v_fma_f64 v[172:173], v[4:5], v[34:35], v[176:177]
	v_fma_f64 v[34:35], v[2:3], v[34:35], -v[36:37]
	ds_load_b128 v[2:5], v1 offset:1248
	v_fma_f64 v[38:39], v[8:9], v[166:167], v[40:41]
	v_fma_f64 v[40:41], v[6:7], v[166:167], -v[168:169]
	ds_load_b128 v[6:9], v1 offset:1264
	s_waitcnt vmcnt(4) lgkmcnt(1)
	v_mul_f64 v[36:37], v[2:3], v[12:13]
	v_mul_f64 v[12:13], v[4:5], v[12:13]
	v_add_f64 v[32:33], v[32:33], v[172:173]
	v_add_f64 v[30:31], v[30:31], v[34:35]
	s_waitcnt vmcnt(3) lgkmcnt(0)
	v_mul_f64 v[34:35], v[6:7], v[16:17]
	v_mul_f64 v[16:17], v[8:9], v[16:17]
	v_fma_f64 v[36:37], v[4:5], v[10:11], v[36:37]
	v_fma_f64 v[10:11], v[2:3], v[10:11], -v[12:13]
	ds_load_b128 v[2:5], v1 offset:1280
	v_add_f64 v[12:13], v[30:31], v[40:41]
	v_add_f64 v[30:31], v[32:33], v[38:39]
	v_fma_f64 v[34:35], v[8:9], v[14:15], v[34:35]
	v_fma_f64 v[14:15], v[6:7], v[14:15], -v[16:17]
	ds_load_b128 v[6:9], v1 offset:1296
	s_waitcnt vmcnt(2) lgkmcnt(1)
	v_mul_f64 v[32:33], v[2:3], v[20:21]
	v_mul_f64 v[20:21], v[4:5], v[20:21]
	s_waitcnt vmcnt(1) lgkmcnt(0)
	v_mul_f64 v[16:17], v[6:7], v[24:25]
	v_mul_f64 v[24:25], v[8:9], v[24:25]
	v_add_f64 v[10:11], v[12:13], v[10:11]
	v_add_f64 v[12:13], v[30:31], v[36:37]
	v_fma_f64 v[4:5], v[4:5], v[18:19], v[32:33]
	v_fma_f64 v[1:2], v[2:3], v[18:19], -v[20:21]
	v_fma_f64 v[8:9], v[8:9], v[22:23], v[16:17]
	v_fma_f64 v[6:7], v[6:7], v[22:23], -v[24:25]
	v_add_f64 v[10:11], v[10:11], v[14:15]
	v_add_f64 v[12:13], v[12:13], v[34:35]
	s_delay_alu instid0(VALU_DEP_2) | instskip(NEXT) | instid1(VALU_DEP_2)
	v_add_f64 v[1:2], v[10:11], v[1:2]
	v_add_f64 v[3:4], v[12:13], v[4:5]
	s_delay_alu instid0(VALU_DEP_2) | instskip(NEXT) | instid1(VALU_DEP_2)
	v_add_f64 v[1:2], v[1:2], v[6:7]
	v_add_f64 v[3:4], v[3:4], v[8:9]
	s_waitcnt vmcnt(0)
	s_delay_alu instid0(VALU_DEP_2) | instskip(NEXT) | instid1(VALU_DEP_2)
	v_add_f64 v[1:2], v[26:27], -v[1:2]
	v_add_f64 v[3:4], v[28:29], -v[3:4]
	scratch_store_b128 off, v[1:4], off offset:384
	v_cmpx_lt_u32_e32 23, v124
	s_cbranch_execz .LBB40_213
; %bb.212:
	scratch_load_b128 v[1:4], v142, off
	v_mov_b32_e32 v5, 0
	s_delay_alu instid0(VALU_DEP_1)
	v_mov_b32_e32 v6, v5
	v_mov_b32_e32 v7, v5
	;; [unrolled: 1-line block ×3, first 2 shown]
	scratch_store_b128 off, v[5:8], off offset:368
	s_waitcnt vmcnt(0)
	ds_store_b128 v165, v[1:4]
.LBB40_213:
	s_or_b32 exec_lo, exec_lo, s2
	s_waitcnt lgkmcnt(0)
	s_waitcnt_vscnt null, 0x0
	s_barrier
	buffer_gl0_inv
	s_clause 0x7
	scratch_load_b128 v[2:5], off, off offset:384
	scratch_load_b128 v[6:9], off, off offset:400
	;; [unrolled: 1-line block ×8, first 2 shown]
	v_mov_b32_e32 v1, 0
	s_clause 0x1
	scratch_load_b128 v[38:41], off, off offset:512
	scratch_load_b128 v[170:173], off, off offset:528
	s_mov_b32 s2, exec_lo
	ds_load_b128 v[34:37], v1 offset:1040
	ds_load_b128 v[166:169], v1 offset:1056
	s_waitcnt vmcnt(9) lgkmcnt(1)
	v_mul_f64 v[174:175], v[36:37], v[4:5]
	v_mul_f64 v[4:5], v[34:35], v[4:5]
	s_waitcnt vmcnt(8) lgkmcnt(0)
	v_mul_f64 v[176:177], v[166:167], v[8:9]
	v_mul_f64 v[8:9], v[168:169], v[8:9]
	s_delay_alu instid0(VALU_DEP_4) | instskip(NEXT) | instid1(VALU_DEP_4)
	v_fma_f64 v[174:175], v[34:35], v[2:3], -v[174:175]
	v_fma_f64 v[178:179], v[36:37], v[2:3], v[4:5]
	ds_load_b128 v[2:5], v1 offset:1072
	scratch_load_b128 v[34:37], off, off offset:544
	v_fma_f64 v[176:177], v[168:169], v[6:7], v[176:177]
	v_fma_f64 v[182:183], v[166:167], v[6:7], -v[8:9]
	ds_load_b128 v[6:9], v1 offset:1088
	scratch_load_b128 v[166:169], off, off offset:560
	s_waitcnt vmcnt(9) lgkmcnt(1)
	v_mul_f64 v[180:181], v[2:3], v[12:13]
	v_mul_f64 v[12:13], v[4:5], v[12:13]
	s_waitcnt vmcnt(8) lgkmcnt(0)
	v_mul_f64 v[184:185], v[6:7], v[16:17]
	v_mul_f64 v[16:17], v[8:9], v[16:17]
	v_add_f64 v[174:175], v[174:175], 0
	v_add_f64 v[178:179], v[178:179], 0
	v_fma_f64 v[180:181], v[4:5], v[10:11], v[180:181]
	v_fma_f64 v[186:187], v[2:3], v[10:11], -v[12:13]
	scratch_load_b128 v[10:13], off, off offset:576
	ds_load_b128 v[2:5], v1 offset:1104
	v_add_f64 v[174:175], v[174:175], v[182:183]
	v_add_f64 v[176:177], v[178:179], v[176:177]
	v_fma_f64 v[182:183], v[8:9], v[14:15], v[184:185]
	v_fma_f64 v[184:185], v[6:7], v[14:15], -v[16:17]
	ds_load_b128 v[6:9], v1 offset:1120
	scratch_load_b128 v[14:17], off, off offset:592
	s_waitcnt vmcnt(9) lgkmcnt(1)
	v_mul_f64 v[178:179], v[2:3], v[20:21]
	v_mul_f64 v[20:21], v[4:5], v[20:21]
	v_add_f64 v[174:175], v[174:175], v[186:187]
	v_add_f64 v[176:177], v[176:177], v[180:181]
	s_waitcnt vmcnt(8) lgkmcnt(0)
	v_mul_f64 v[180:181], v[6:7], v[24:25]
	v_mul_f64 v[24:25], v[8:9], v[24:25]
	v_fma_f64 v[178:179], v[4:5], v[18:19], v[178:179]
	v_fma_f64 v[186:187], v[2:3], v[18:19], -v[20:21]
	scratch_load_b128 v[18:21], off, off offset:608
	ds_load_b128 v[2:5], v1 offset:1136
	v_add_f64 v[174:175], v[174:175], v[184:185]
	v_add_f64 v[176:177], v[176:177], v[182:183]
	v_fma_f64 v[180:181], v[8:9], v[22:23], v[180:181]
	v_fma_f64 v[184:185], v[6:7], v[22:23], -v[24:25]
	ds_load_b128 v[6:9], v1 offset:1152
	s_waitcnt vmcnt(8) lgkmcnt(1)
	v_mul_f64 v[182:183], v[2:3], v[28:29]
	v_mul_f64 v[28:29], v[4:5], v[28:29]
	scratch_load_b128 v[22:25], off, off offset:624
	v_add_f64 v[174:175], v[174:175], v[186:187]
	v_add_f64 v[176:177], v[176:177], v[178:179]
	s_waitcnt vmcnt(8) lgkmcnt(0)
	v_mul_f64 v[178:179], v[6:7], v[32:33]
	v_mul_f64 v[32:33], v[8:9], v[32:33]
	v_fma_f64 v[182:183], v[4:5], v[26:27], v[182:183]
	v_fma_f64 v[186:187], v[2:3], v[26:27], -v[28:29]
	scratch_load_b128 v[26:29], off, off offset:640
	ds_load_b128 v[2:5], v1 offset:1168
	v_add_f64 v[174:175], v[174:175], v[184:185]
	v_add_f64 v[176:177], v[176:177], v[180:181]
	v_fma_f64 v[178:179], v[8:9], v[30:31], v[178:179]
	v_fma_f64 v[30:31], v[6:7], v[30:31], -v[32:33]
	ds_load_b128 v[6:9], v1 offset:1184
	s_waitcnt vmcnt(8) lgkmcnt(1)
	v_mul_f64 v[180:181], v[2:3], v[40:41]
	v_mul_f64 v[40:41], v[4:5], v[40:41]
	v_add_f64 v[32:33], v[174:175], v[186:187]
	v_add_f64 v[174:175], v[176:177], v[182:183]
	s_waitcnt vmcnt(7) lgkmcnt(0)
	v_mul_f64 v[176:177], v[6:7], v[172:173]
	v_mul_f64 v[172:173], v[8:9], v[172:173]
	v_fma_f64 v[180:181], v[4:5], v[38:39], v[180:181]
	v_fma_f64 v[38:39], v[2:3], v[38:39], -v[40:41]
	ds_load_b128 v[2:5], v1 offset:1200
	v_add_f64 v[30:31], v[32:33], v[30:31]
	v_add_f64 v[32:33], v[174:175], v[178:179]
	v_fma_f64 v[174:175], v[8:9], v[170:171], v[176:177]
	v_fma_f64 v[170:171], v[6:7], v[170:171], -v[172:173]
	ds_load_b128 v[6:9], v1 offset:1216
	s_waitcnt vmcnt(5) lgkmcnt(0)
	v_mul_f64 v[176:177], v[6:7], v[168:169]
	v_mul_f64 v[168:169], v[8:9], v[168:169]
	v_add_f64 v[38:39], v[30:31], v[38:39]
	v_add_f64 v[172:173], v[32:33], v[180:181]
	scratch_load_b128 v[30:33], off, off offset:368
	v_mul_f64 v[40:41], v[2:3], v[36:37]
	v_mul_f64 v[36:37], v[4:5], v[36:37]
	s_delay_alu instid0(VALU_DEP_2) | instskip(NEXT) | instid1(VALU_DEP_2)
	v_fma_f64 v[40:41], v[4:5], v[34:35], v[40:41]
	v_fma_f64 v[34:35], v[2:3], v[34:35], -v[36:37]
	v_add_f64 v[36:37], v[38:39], v[170:171]
	v_add_f64 v[38:39], v[172:173], v[174:175]
	ds_load_b128 v[2:5], v1 offset:1232
	v_fma_f64 v[172:173], v[8:9], v[166:167], v[176:177]
	v_fma_f64 v[166:167], v[6:7], v[166:167], -v[168:169]
	ds_load_b128 v[6:9], v1 offset:1248
	s_waitcnt vmcnt(5) lgkmcnt(1)
	v_mul_f64 v[170:171], v[2:3], v[12:13]
	v_mul_f64 v[12:13], v[4:5], v[12:13]
	v_add_f64 v[34:35], v[36:37], v[34:35]
	v_add_f64 v[36:37], v[38:39], v[40:41]
	s_waitcnt vmcnt(4) lgkmcnt(0)
	v_mul_f64 v[38:39], v[6:7], v[16:17]
	v_mul_f64 v[16:17], v[8:9], v[16:17]
	v_fma_f64 v[40:41], v[4:5], v[10:11], v[170:171]
	v_fma_f64 v[10:11], v[2:3], v[10:11], -v[12:13]
	ds_load_b128 v[2:5], v1 offset:1264
	v_add_f64 v[12:13], v[34:35], v[166:167]
	v_add_f64 v[34:35], v[36:37], v[172:173]
	v_fma_f64 v[38:39], v[8:9], v[14:15], v[38:39]
	v_fma_f64 v[14:15], v[6:7], v[14:15], -v[16:17]
	ds_load_b128 v[6:9], v1 offset:1280
	s_waitcnt vmcnt(3) lgkmcnt(1)
	v_mul_f64 v[36:37], v[2:3], v[20:21]
	v_mul_f64 v[20:21], v[4:5], v[20:21]
	s_waitcnt vmcnt(2) lgkmcnt(0)
	v_mul_f64 v[16:17], v[6:7], v[24:25]
	v_mul_f64 v[24:25], v[8:9], v[24:25]
	v_add_f64 v[10:11], v[12:13], v[10:11]
	v_add_f64 v[12:13], v[34:35], v[40:41]
	v_fma_f64 v[34:35], v[4:5], v[18:19], v[36:37]
	v_fma_f64 v[18:19], v[2:3], v[18:19], -v[20:21]
	ds_load_b128 v[2:5], v1 offset:1296
	v_fma_f64 v[8:9], v[8:9], v[22:23], v[16:17]
	v_fma_f64 v[6:7], v[6:7], v[22:23], -v[24:25]
	s_waitcnt vmcnt(1) lgkmcnt(0)
	v_mul_f64 v[20:21], v[4:5], v[28:29]
	v_add_f64 v[10:11], v[10:11], v[14:15]
	v_add_f64 v[12:13], v[12:13], v[38:39]
	v_mul_f64 v[14:15], v[2:3], v[28:29]
	s_delay_alu instid0(VALU_DEP_4) | instskip(NEXT) | instid1(VALU_DEP_4)
	v_fma_f64 v[2:3], v[2:3], v[26:27], -v[20:21]
	v_add_f64 v[10:11], v[10:11], v[18:19]
	s_delay_alu instid0(VALU_DEP_4) | instskip(NEXT) | instid1(VALU_DEP_4)
	v_add_f64 v[12:13], v[12:13], v[34:35]
	v_fma_f64 v[4:5], v[4:5], v[26:27], v[14:15]
	s_delay_alu instid0(VALU_DEP_3) | instskip(NEXT) | instid1(VALU_DEP_3)
	v_add_f64 v[6:7], v[10:11], v[6:7]
	v_add_f64 v[8:9], v[12:13], v[8:9]
	s_delay_alu instid0(VALU_DEP_2) | instskip(NEXT) | instid1(VALU_DEP_2)
	v_add_f64 v[2:3], v[6:7], v[2:3]
	v_add_f64 v[4:5], v[8:9], v[4:5]
	s_waitcnt vmcnt(0)
	s_delay_alu instid0(VALU_DEP_2) | instskip(NEXT) | instid1(VALU_DEP_2)
	v_add_f64 v[2:3], v[30:31], -v[2:3]
	v_add_f64 v[4:5], v[32:33], -v[4:5]
	scratch_store_b128 off, v[2:5], off offset:368
	v_cmpx_lt_u32_e32 22, v124
	s_cbranch_execz .LBB40_215
; %bb.214:
	scratch_load_b128 v[5:8], v147, off
	v_mov_b32_e32 v2, v1
	v_mov_b32_e32 v3, v1
	;; [unrolled: 1-line block ×3, first 2 shown]
	scratch_store_b128 off, v[1:4], off offset:352
	s_waitcnt vmcnt(0)
	ds_store_b128 v165, v[5:8]
.LBB40_215:
	s_or_b32 exec_lo, exec_lo, s2
	s_waitcnt lgkmcnt(0)
	s_waitcnt_vscnt null, 0x0
	s_barrier
	buffer_gl0_inv
	s_clause 0x7
	scratch_load_b128 v[2:5], off, off offset:368
	scratch_load_b128 v[6:9], off, off offset:384
	;; [unrolled: 1-line block ×8, first 2 shown]
	ds_load_b128 v[34:37], v1 offset:1024
	ds_load_b128 v[166:169], v1 offset:1040
	s_clause 0x1
	scratch_load_b128 v[38:41], off, off offset:496
	scratch_load_b128 v[170:173], off, off offset:512
	s_mov_b32 s2, exec_lo
	s_waitcnt vmcnt(9) lgkmcnt(1)
	v_mul_f64 v[174:175], v[36:37], v[4:5]
	v_mul_f64 v[4:5], v[34:35], v[4:5]
	s_waitcnt vmcnt(8) lgkmcnt(0)
	v_mul_f64 v[176:177], v[166:167], v[8:9]
	v_mul_f64 v[8:9], v[168:169], v[8:9]
	s_delay_alu instid0(VALU_DEP_4) | instskip(NEXT) | instid1(VALU_DEP_4)
	v_fma_f64 v[174:175], v[34:35], v[2:3], -v[174:175]
	v_fma_f64 v[178:179], v[36:37], v[2:3], v[4:5]
	scratch_load_b128 v[34:37], off, off offset:528
	ds_load_b128 v[2:5], v1 offset:1056
	v_fma_f64 v[176:177], v[168:169], v[6:7], v[176:177]
	v_fma_f64 v[182:183], v[166:167], v[6:7], -v[8:9]
	ds_load_b128 v[6:9], v1 offset:1072
	scratch_load_b128 v[166:169], off, off offset:544
	s_waitcnt vmcnt(9) lgkmcnt(1)
	v_mul_f64 v[180:181], v[2:3], v[12:13]
	v_mul_f64 v[12:13], v[4:5], v[12:13]
	s_waitcnt vmcnt(8) lgkmcnt(0)
	v_mul_f64 v[184:185], v[6:7], v[16:17]
	v_mul_f64 v[16:17], v[8:9], v[16:17]
	v_add_f64 v[174:175], v[174:175], 0
	v_add_f64 v[178:179], v[178:179], 0
	v_fma_f64 v[180:181], v[4:5], v[10:11], v[180:181]
	v_fma_f64 v[186:187], v[2:3], v[10:11], -v[12:13]
	scratch_load_b128 v[10:13], off, off offset:560
	ds_load_b128 v[2:5], v1 offset:1088
	v_add_f64 v[174:175], v[174:175], v[182:183]
	v_add_f64 v[176:177], v[178:179], v[176:177]
	v_fma_f64 v[182:183], v[8:9], v[14:15], v[184:185]
	v_fma_f64 v[184:185], v[6:7], v[14:15], -v[16:17]
	ds_load_b128 v[6:9], v1 offset:1104
	scratch_load_b128 v[14:17], off, off offset:576
	s_waitcnt vmcnt(9) lgkmcnt(1)
	v_mul_f64 v[178:179], v[2:3], v[20:21]
	v_mul_f64 v[20:21], v[4:5], v[20:21]
	v_add_f64 v[174:175], v[174:175], v[186:187]
	v_add_f64 v[176:177], v[176:177], v[180:181]
	s_waitcnt vmcnt(8) lgkmcnt(0)
	v_mul_f64 v[180:181], v[6:7], v[24:25]
	v_mul_f64 v[24:25], v[8:9], v[24:25]
	v_fma_f64 v[178:179], v[4:5], v[18:19], v[178:179]
	v_fma_f64 v[186:187], v[2:3], v[18:19], -v[20:21]
	scratch_load_b128 v[18:21], off, off offset:592
	ds_load_b128 v[2:5], v1 offset:1120
	v_add_f64 v[174:175], v[174:175], v[184:185]
	v_add_f64 v[176:177], v[176:177], v[182:183]
	v_fma_f64 v[180:181], v[8:9], v[22:23], v[180:181]
	v_fma_f64 v[184:185], v[6:7], v[22:23], -v[24:25]
	ds_load_b128 v[6:9], v1 offset:1136
	s_waitcnt vmcnt(8) lgkmcnt(1)
	v_mul_f64 v[182:183], v[2:3], v[28:29]
	v_mul_f64 v[28:29], v[4:5], v[28:29]
	scratch_load_b128 v[22:25], off, off offset:608
	v_add_f64 v[174:175], v[174:175], v[186:187]
	v_add_f64 v[176:177], v[176:177], v[178:179]
	s_waitcnt vmcnt(8) lgkmcnt(0)
	v_mul_f64 v[178:179], v[6:7], v[32:33]
	v_mul_f64 v[32:33], v[8:9], v[32:33]
	v_fma_f64 v[182:183], v[4:5], v[26:27], v[182:183]
	v_fma_f64 v[186:187], v[2:3], v[26:27], -v[28:29]
	scratch_load_b128 v[26:29], off, off offset:624
	ds_load_b128 v[2:5], v1 offset:1152
	v_add_f64 v[174:175], v[174:175], v[184:185]
	v_add_f64 v[176:177], v[176:177], v[180:181]
	v_fma_f64 v[178:179], v[8:9], v[30:31], v[178:179]
	v_fma_f64 v[184:185], v[6:7], v[30:31], -v[32:33]
	ds_load_b128 v[6:9], v1 offset:1168
	s_waitcnt vmcnt(8) lgkmcnt(1)
	v_mul_f64 v[180:181], v[2:3], v[40:41]
	v_mul_f64 v[40:41], v[4:5], v[40:41]
	scratch_load_b128 v[30:33], off, off offset:640
	v_add_f64 v[174:175], v[174:175], v[186:187]
	v_add_f64 v[176:177], v[176:177], v[182:183]
	v_fma_f64 v[180:181], v[4:5], v[38:39], v[180:181]
	v_fma_f64 v[38:39], v[2:3], v[38:39], -v[40:41]
	ds_load_b128 v[2:5], v1 offset:1184
	v_add_f64 v[40:41], v[174:175], v[184:185]
	v_add_f64 v[174:175], v[176:177], v[178:179]
	s_waitcnt vmcnt(7) lgkmcnt(0)
	v_mul_f64 v[176:177], v[2:3], v[36:37]
	v_mul_f64 v[36:37], v[4:5], v[36:37]
	s_delay_alu instid0(VALU_DEP_4) | instskip(NEXT) | instid1(VALU_DEP_4)
	v_add_f64 v[38:39], v[40:41], v[38:39]
	v_add_f64 v[40:41], v[174:175], v[180:181]
	s_delay_alu instid0(VALU_DEP_4) | instskip(NEXT) | instid1(VALU_DEP_4)
	v_fma_f64 v[174:175], v[4:5], v[34:35], v[176:177]
	v_fma_f64 v[176:177], v[2:3], v[34:35], -v[36:37]
	scratch_load_b128 v[34:37], off, off offset:352
	v_mul_f64 v[182:183], v[6:7], v[172:173]
	v_mul_f64 v[172:173], v[8:9], v[172:173]
	ds_load_b128 v[2:5], v1 offset:1216
	v_fma_f64 v[178:179], v[8:9], v[170:171], v[182:183]
	v_fma_f64 v[170:171], v[6:7], v[170:171], -v[172:173]
	ds_load_b128 v[6:9], v1 offset:1200
	s_waitcnt vmcnt(7) lgkmcnt(0)
	v_mul_f64 v[172:173], v[6:7], v[168:169]
	v_mul_f64 v[168:169], v[8:9], v[168:169]
	v_add_f64 v[40:41], v[40:41], v[178:179]
	v_add_f64 v[38:39], v[38:39], v[170:171]
	s_waitcnt vmcnt(6)
	v_mul_f64 v[170:171], v[2:3], v[12:13]
	v_mul_f64 v[12:13], v[4:5], v[12:13]
	v_fma_f64 v[172:173], v[8:9], v[166:167], v[172:173]
	v_fma_f64 v[166:167], v[6:7], v[166:167], -v[168:169]
	ds_load_b128 v[6:9], v1 offset:1232
	v_add_f64 v[40:41], v[40:41], v[174:175]
	v_add_f64 v[38:39], v[38:39], v[176:177]
	v_fma_f64 v[170:171], v[4:5], v[10:11], v[170:171]
	v_fma_f64 v[10:11], v[2:3], v[10:11], -v[12:13]
	ds_load_b128 v[2:5], v1 offset:1248
	s_waitcnt vmcnt(5) lgkmcnt(1)
	v_mul_f64 v[168:169], v[6:7], v[16:17]
	v_mul_f64 v[16:17], v[8:9], v[16:17]
	v_add_f64 v[12:13], v[38:39], v[166:167]
	v_add_f64 v[38:39], v[40:41], v[172:173]
	s_waitcnt vmcnt(4) lgkmcnt(0)
	v_mul_f64 v[40:41], v[2:3], v[20:21]
	v_mul_f64 v[20:21], v[4:5], v[20:21]
	v_fma_f64 v[166:167], v[8:9], v[14:15], v[168:169]
	v_fma_f64 v[14:15], v[6:7], v[14:15], -v[16:17]
	ds_load_b128 v[6:9], v1 offset:1264
	v_add_f64 v[10:11], v[12:13], v[10:11]
	v_add_f64 v[12:13], v[38:39], v[170:171]
	v_fma_f64 v[38:39], v[4:5], v[18:19], v[40:41]
	v_fma_f64 v[18:19], v[2:3], v[18:19], -v[20:21]
	ds_load_b128 v[2:5], v1 offset:1280
	s_waitcnt vmcnt(3) lgkmcnt(1)
	v_mul_f64 v[16:17], v[6:7], v[24:25]
	v_mul_f64 v[24:25], v[8:9], v[24:25]
	s_waitcnt vmcnt(2) lgkmcnt(0)
	v_mul_f64 v[20:21], v[4:5], v[28:29]
	v_add_f64 v[10:11], v[10:11], v[14:15]
	v_add_f64 v[12:13], v[12:13], v[166:167]
	v_mul_f64 v[14:15], v[2:3], v[28:29]
	v_fma_f64 v[16:17], v[8:9], v[22:23], v[16:17]
	v_fma_f64 v[22:23], v[6:7], v[22:23], -v[24:25]
	ds_load_b128 v[6:9], v1 offset:1296
	v_fma_f64 v[1:2], v[2:3], v[26:27], -v[20:21]
	s_waitcnt vmcnt(1) lgkmcnt(0)
	v_mul_f64 v[24:25], v[8:9], v[32:33]
	v_add_f64 v[10:11], v[10:11], v[18:19]
	v_add_f64 v[12:13], v[12:13], v[38:39]
	v_mul_f64 v[18:19], v[6:7], v[32:33]
	v_fma_f64 v[4:5], v[4:5], v[26:27], v[14:15]
	v_fma_f64 v[6:7], v[6:7], v[30:31], -v[24:25]
	v_add_f64 v[10:11], v[10:11], v[22:23]
	v_add_f64 v[12:13], v[12:13], v[16:17]
	v_fma_f64 v[8:9], v[8:9], v[30:31], v[18:19]
	s_delay_alu instid0(VALU_DEP_3) | instskip(NEXT) | instid1(VALU_DEP_3)
	v_add_f64 v[1:2], v[10:11], v[1:2]
	v_add_f64 v[3:4], v[12:13], v[4:5]
	s_delay_alu instid0(VALU_DEP_2) | instskip(NEXT) | instid1(VALU_DEP_2)
	v_add_f64 v[1:2], v[1:2], v[6:7]
	v_add_f64 v[3:4], v[3:4], v[8:9]
	s_waitcnt vmcnt(0)
	s_delay_alu instid0(VALU_DEP_2) | instskip(NEXT) | instid1(VALU_DEP_2)
	v_add_f64 v[1:2], v[34:35], -v[1:2]
	v_add_f64 v[3:4], v[36:37], -v[3:4]
	scratch_store_b128 off, v[1:4], off offset:352
	v_cmpx_lt_u32_e32 21, v124
	s_cbranch_execz .LBB40_217
; %bb.216:
	scratch_load_b128 v[1:4], v148, off
	v_mov_b32_e32 v5, 0
	s_delay_alu instid0(VALU_DEP_1)
	v_mov_b32_e32 v6, v5
	v_mov_b32_e32 v7, v5
	;; [unrolled: 1-line block ×3, first 2 shown]
	scratch_store_b128 off, v[5:8], off offset:336
	s_waitcnt vmcnt(0)
	ds_store_b128 v165, v[1:4]
.LBB40_217:
	s_or_b32 exec_lo, exec_lo, s2
	s_waitcnt lgkmcnt(0)
	s_waitcnt_vscnt null, 0x0
	s_barrier
	buffer_gl0_inv
	s_clause 0x7
	scratch_load_b128 v[2:5], off, off offset:352
	scratch_load_b128 v[6:9], off, off offset:368
	;; [unrolled: 1-line block ×8, first 2 shown]
	v_mov_b32_e32 v1, 0
	s_clause 0x1
	scratch_load_b128 v[38:41], off, off offset:480
	scratch_load_b128 v[170:173], off, off offset:496
	s_mov_b32 s2, exec_lo
	ds_load_b128 v[34:37], v1 offset:1008
	ds_load_b128 v[166:169], v1 offset:1024
	s_waitcnt vmcnt(9) lgkmcnt(1)
	v_mul_f64 v[174:175], v[36:37], v[4:5]
	v_mul_f64 v[4:5], v[34:35], v[4:5]
	s_waitcnt vmcnt(8) lgkmcnt(0)
	v_mul_f64 v[176:177], v[166:167], v[8:9]
	v_mul_f64 v[8:9], v[168:169], v[8:9]
	s_delay_alu instid0(VALU_DEP_4) | instskip(NEXT) | instid1(VALU_DEP_4)
	v_fma_f64 v[174:175], v[34:35], v[2:3], -v[174:175]
	v_fma_f64 v[178:179], v[36:37], v[2:3], v[4:5]
	ds_load_b128 v[2:5], v1 offset:1040
	scratch_load_b128 v[34:37], off, off offset:512
	v_fma_f64 v[176:177], v[168:169], v[6:7], v[176:177]
	v_fma_f64 v[182:183], v[166:167], v[6:7], -v[8:9]
	scratch_load_b128 v[166:169], off, off offset:528
	ds_load_b128 v[6:9], v1 offset:1056
	s_waitcnt vmcnt(9) lgkmcnt(1)
	v_mul_f64 v[180:181], v[2:3], v[12:13]
	v_mul_f64 v[12:13], v[4:5], v[12:13]
	s_waitcnt vmcnt(8) lgkmcnt(0)
	v_mul_f64 v[184:185], v[6:7], v[16:17]
	v_mul_f64 v[16:17], v[8:9], v[16:17]
	v_add_f64 v[174:175], v[174:175], 0
	v_add_f64 v[178:179], v[178:179], 0
	v_fma_f64 v[180:181], v[4:5], v[10:11], v[180:181]
	v_fma_f64 v[186:187], v[2:3], v[10:11], -v[12:13]
	ds_load_b128 v[2:5], v1 offset:1072
	scratch_load_b128 v[10:13], off, off offset:544
	v_add_f64 v[174:175], v[174:175], v[182:183]
	v_add_f64 v[176:177], v[178:179], v[176:177]
	v_fma_f64 v[182:183], v[8:9], v[14:15], v[184:185]
	v_fma_f64 v[184:185], v[6:7], v[14:15], -v[16:17]
	ds_load_b128 v[6:9], v1 offset:1088
	scratch_load_b128 v[14:17], off, off offset:560
	s_waitcnt vmcnt(9) lgkmcnt(1)
	v_mul_f64 v[178:179], v[2:3], v[20:21]
	v_mul_f64 v[20:21], v[4:5], v[20:21]
	v_add_f64 v[174:175], v[174:175], v[186:187]
	v_add_f64 v[176:177], v[176:177], v[180:181]
	s_waitcnt vmcnt(8) lgkmcnt(0)
	v_mul_f64 v[180:181], v[6:7], v[24:25]
	v_mul_f64 v[24:25], v[8:9], v[24:25]
	v_fma_f64 v[178:179], v[4:5], v[18:19], v[178:179]
	v_fma_f64 v[186:187], v[2:3], v[18:19], -v[20:21]
	scratch_load_b128 v[18:21], off, off offset:576
	ds_load_b128 v[2:5], v1 offset:1104
	v_add_f64 v[174:175], v[174:175], v[184:185]
	v_add_f64 v[176:177], v[176:177], v[182:183]
	v_fma_f64 v[180:181], v[8:9], v[22:23], v[180:181]
	v_fma_f64 v[184:185], v[6:7], v[22:23], -v[24:25]
	ds_load_b128 v[6:9], v1 offset:1120
	s_waitcnt vmcnt(8) lgkmcnt(1)
	v_mul_f64 v[182:183], v[2:3], v[28:29]
	v_mul_f64 v[28:29], v[4:5], v[28:29]
	scratch_load_b128 v[22:25], off, off offset:592
	v_add_f64 v[174:175], v[174:175], v[186:187]
	v_add_f64 v[176:177], v[176:177], v[178:179]
	s_waitcnt vmcnt(8) lgkmcnt(0)
	v_mul_f64 v[178:179], v[6:7], v[32:33]
	v_mul_f64 v[32:33], v[8:9], v[32:33]
	v_fma_f64 v[182:183], v[4:5], v[26:27], v[182:183]
	v_fma_f64 v[186:187], v[2:3], v[26:27], -v[28:29]
	scratch_load_b128 v[26:29], off, off offset:608
	ds_load_b128 v[2:5], v1 offset:1136
	v_add_f64 v[174:175], v[174:175], v[184:185]
	v_add_f64 v[176:177], v[176:177], v[180:181]
	v_fma_f64 v[178:179], v[8:9], v[30:31], v[178:179]
	v_fma_f64 v[184:185], v[6:7], v[30:31], -v[32:33]
	ds_load_b128 v[6:9], v1 offset:1152
	s_waitcnt vmcnt(8) lgkmcnt(1)
	v_mul_f64 v[180:181], v[2:3], v[40:41]
	v_mul_f64 v[40:41], v[4:5], v[40:41]
	scratch_load_b128 v[30:33], off, off offset:624
	v_add_f64 v[174:175], v[174:175], v[186:187]
	v_add_f64 v[176:177], v[176:177], v[182:183]
	s_waitcnt vmcnt(8) lgkmcnt(0)
	v_mul_f64 v[182:183], v[6:7], v[172:173]
	v_mul_f64 v[172:173], v[8:9], v[172:173]
	v_fma_f64 v[180:181], v[4:5], v[38:39], v[180:181]
	v_fma_f64 v[186:187], v[2:3], v[38:39], -v[40:41]
	scratch_load_b128 v[38:41], off, off offset:640
	ds_load_b128 v[2:5], v1 offset:1168
	v_add_f64 v[174:175], v[174:175], v[184:185]
	v_add_f64 v[176:177], v[176:177], v[178:179]
	v_fma_f64 v[182:183], v[8:9], v[170:171], v[182:183]
	v_fma_f64 v[170:171], v[6:7], v[170:171], -v[172:173]
	ds_load_b128 v[6:9], v1 offset:1184
	s_waitcnt vmcnt(8) lgkmcnt(1)
	v_mul_f64 v[178:179], v[2:3], v[36:37]
	v_mul_f64 v[36:37], v[4:5], v[36:37]
	v_add_f64 v[172:173], v[174:175], v[186:187]
	v_add_f64 v[174:175], v[176:177], v[180:181]
	s_waitcnt vmcnt(7) lgkmcnt(0)
	v_mul_f64 v[176:177], v[6:7], v[168:169]
	v_mul_f64 v[168:169], v[8:9], v[168:169]
	v_fma_f64 v[178:179], v[4:5], v[34:35], v[178:179]
	v_fma_f64 v[34:35], v[2:3], v[34:35], -v[36:37]
	ds_load_b128 v[2:5], v1 offset:1200
	v_add_f64 v[36:37], v[172:173], v[170:171]
	v_add_f64 v[170:171], v[174:175], v[182:183]
	v_fma_f64 v[174:175], v[8:9], v[166:167], v[176:177]
	v_fma_f64 v[166:167], v[6:7], v[166:167], -v[168:169]
	ds_load_b128 v[6:9], v1 offset:1216
	s_waitcnt vmcnt(5) lgkmcnt(0)
	v_mul_f64 v[176:177], v[6:7], v[16:17]
	v_mul_f64 v[16:17], v[8:9], v[16:17]
	v_add_f64 v[168:169], v[36:37], v[34:35]
	v_add_f64 v[170:171], v[170:171], v[178:179]
	scratch_load_b128 v[34:37], off, off offset:336
	v_mul_f64 v[172:173], v[2:3], v[12:13]
	v_mul_f64 v[12:13], v[4:5], v[12:13]
	s_delay_alu instid0(VALU_DEP_2) | instskip(NEXT) | instid1(VALU_DEP_2)
	v_fma_f64 v[172:173], v[4:5], v[10:11], v[172:173]
	v_fma_f64 v[10:11], v[2:3], v[10:11], -v[12:13]
	v_add_f64 v[12:13], v[168:169], v[166:167]
	v_add_f64 v[166:167], v[170:171], v[174:175]
	ds_load_b128 v[2:5], v1 offset:1232
	v_fma_f64 v[170:171], v[8:9], v[14:15], v[176:177]
	v_fma_f64 v[14:15], v[6:7], v[14:15], -v[16:17]
	ds_load_b128 v[6:9], v1 offset:1248
	s_waitcnt vmcnt(5) lgkmcnt(1)
	v_mul_f64 v[168:169], v[2:3], v[20:21]
	v_mul_f64 v[20:21], v[4:5], v[20:21]
	s_waitcnt vmcnt(4) lgkmcnt(0)
	v_mul_f64 v[16:17], v[6:7], v[24:25]
	v_mul_f64 v[24:25], v[8:9], v[24:25]
	v_add_f64 v[10:11], v[12:13], v[10:11]
	v_add_f64 v[12:13], v[166:167], v[172:173]
	v_fma_f64 v[166:167], v[4:5], v[18:19], v[168:169]
	v_fma_f64 v[18:19], v[2:3], v[18:19], -v[20:21]
	ds_load_b128 v[2:5], v1 offset:1264
	v_fma_f64 v[16:17], v[8:9], v[22:23], v[16:17]
	v_fma_f64 v[22:23], v[6:7], v[22:23], -v[24:25]
	ds_load_b128 v[6:9], v1 offset:1280
	v_add_f64 v[10:11], v[10:11], v[14:15]
	v_add_f64 v[12:13], v[12:13], v[170:171]
	s_waitcnt vmcnt(3) lgkmcnt(1)
	v_mul_f64 v[14:15], v[2:3], v[28:29]
	v_mul_f64 v[20:21], v[4:5], v[28:29]
	s_waitcnt vmcnt(2) lgkmcnt(0)
	v_mul_f64 v[24:25], v[8:9], v[32:33]
	v_add_f64 v[10:11], v[10:11], v[18:19]
	v_add_f64 v[12:13], v[12:13], v[166:167]
	v_mul_f64 v[18:19], v[6:7], v[32:33]
	v_fma_f64 v[14:15], v[4:5], v[26:27], v[14:15]
	v_fma_f64 v[20:21], v[2:3], v[26:27], -v[20:21]
	ds_load_b128 v[2:5], v1 offset:1296
	v_fma_f64 v[6:7], v[6:7], v[30:31], -v[24:25]
	v_add_f64 v[10:11], v[10:11], v[22:23]
	v_add_f64 v[12:13], v[12:13], v[16:17]
	s_waitcnt vmcnt(1) lgkmcnt(0)
	v_mul_f64 v[16:17], v[2:3], v[40:41]
	v_mul_f64 v[22:23], v[4:5], v[40:41]
	v_fma_f64 v[8:9], v[8:9], v[30:31], v[18:19]
	v_add_f64 v[10:11], v[10:11], v[20:21]
	v_add_f64 v[12:13], v[12:13], v[14:15]
	v_fma_f64 v[4:5], v[4:5], v[38:39], v[16:17]
	v_fma_f64 v[2:3], v[2:3], v[38:39], -v[22:23]
	s_delay_alu instid0(VALU_DEP_4) | instskip(NEXT) | instid1(VALU_DEP_4)
	v_add_f64 v[6:7], v[10:11], v[6:7]
	v_add_f64 v[8:9], v[12:13], v[8:9]
	s_delay_alu instid0(VALU_DEP_2) | instskip(NEXT) | instid1(VALU_DEP_2)
	v_add_f64 v[2:3], v[6:7], v[2:3]
	v_add_f64 v[4:5], v[8:9], v[4:5]
	s_waitcnt vmcnt(0)
	s_delay_alu instid0(VALU_DEP_2) | instskip(NEXT) | instid1(VALU_DEP_2)
	v_add_f64 v[2:3], v[34:35], -v[2:3]
	v_add_f64 v[4:5], v[36:37], -v[4:5]
	scratch_store_b128 off, v[2:5], off offset:336
	v_cmpx_lt_u32_e32 20, v124
	s_cbranch_execz .LBB40_219
; %bb.218:
	scratch_load_b128 v[5:8], v149, off
	v_mov_b32_e32 v2, v1
	v_mov_b32_e32 v3, v1
	;; [unrolled: 1-line block ×3, first 2 shown]
	scratch_store_b128 off, v[1:4], off offset:320
	s_waitcnt vmcnt(0)
	ds_store_b128 v165, v[5:8]
.LBB40_219:
	s_or_b32 exec_lo, exec_lo, s2
	s_waitcnt lgkmcnt(0)
	s_waitcnt_vscnt null, 0x0
	s_barrier
	buffer_gl0_inv
	s_clause 0x7
	scratch_load_b128 v[2:5], off, off offset:336
	scratch_load_b128 v[6:9], off, off offset:352
	scratch_load_b128 v[10:13], off, off offset:368
	scratch_load_b128 v[14:17], off, off offset:384
	scratch_load_b128 v[18:21], off, off offset:400
	scratch_load_b128 v[22:25], off, off offset:416
	scratch_load_b128 v[26:29], off, off offset:432
	scratch_load_b128 v[30:33], off, off offset:448
	ds_load_b128 v[34:37], v1 offset:992
	ds_load_b128 v[166:169], v1 offset:1008
	s_clause 0x1
	scratch_load_b128 v[38:41], off, off offset:464
	scratch_load_b128 v[170:173], off, off offset:480
	s_mov_b32 s2, exec_lo
	s_waitcnt vmcnt(9) lgkmcnt(1)
	v_mul_f64 v[174:175], v[36:37], v[4:5]
	v_mul_f64 v[4:5], v[34:35], v[4:5]
	s_waitcnt vmcnt(8) lgkmcnt(0)
	v_mul_f64 v[176:177], v[166:167], v[8:9]
	v_mul_f64 v[8:9], v[168:169], v[8:9]
	s_delay_alu instid0(VALU_DEP_4) | instskip(NEXT) | instid1(VALU_DEP_4)
	v_fma_f64 v[174:175], v[34:35], v[2:3], -v[174:175]
	v_fma_f64 v[178:179], v[36:37], v[2:3], v[4:5]
	ds_load_b128 v[2:5], v1 offset:1024
	scratch_load_b128 v[34:37], off, off offset:496
	v_fma_f64 v[176:177], v[168:169], v[6:7], v[176:177]
	v_fma_f64 v[182:183], v[166:167], v[6:7], -v[8:9]
	ds_load_b128 v[6:9], v1 offset:1040
	scratch_load_b128 v[166:169], off, off offset:512
	s_waitcnt vmcnt(9) lgkmcnt(1)
	v_mul_f64 v[180:181], v[2:3], v[12:13]
	v_mul_f64 v[12:13], v[4:5], v[12:13]
	s_waitcnt vmcnt(8) lgkmcnt(0)
	v_mul_f64 v[184:185], v[6:7], v[16:17]
	v_mul_f64 v[16:17], v[8:9], v[16:17]
	v_add_f64 v[174:175], v[174:175], 0
	v_add_f64 v[178:179], v[178:179], 0
	v_fma_f64 v[180:181], v[4:5], v[10:11], v[180:181]
	v_fma_f64 v[186:187], v[2:3], v[10:11], -v[12:13]
	scratch_load_b128 v[10:13], off, off offset:528
	ds_load_b128 v[2:5], v1 offset:1056
	v_add_f64 v[174:175], v[174:175], v[182:183]
	v_add_f64 v[176:177], v[178:179], v[176:177]
	v_fma_f64 v[182:183], v[8:9], v[14:15], v[184:185]
	v_fma_f64 v[184:185], v[6:7], v[14:15], -v[16:17]
	ds_load_b128 v[6:9], v1 offset:1072
	scratch_load_b128 v[14:17], off, off offset:544
	s_waitcnt vmcnt(9) lgkmcnt(1)
	v_mul_f64 v[178:179], v[2:3], v[20:21]
	v_mul_f64 v[20:21], v[4:5], v[20:21]
	v_add_f64 v[174:175], v[174:175], v[186:187]
	v_add_f64 v[176:177], v[176:177], v[180:181]
	s_waitcnt vmcnt(8) lgkmcnt(0)
	v_mul_f64 v[180:181], v[6:7], v[24:25]
	v_mul_f64 v[24:25], v[8:9], v[24:25]
	v_fma_f64 v[178:179], v[4:5], v[18:19], v[178:179]
	v_fma_f64 v[186:187], v[2:3], v[18:19], -v[20:21]
	scratch_load_b128 v[18:21], off, off offset:560
	ds_load_b128 v[2:5], v1 offset:1088
	v_add_f64 v[174:175], v[174:175], v[184:185]
	v_add_f64 v[176:177], v[176:177], v[182:183]
	v_fma_f64 v[180:181], v[8:9], v[22:23], v[180:181]
	v_fma_f64 v[184:185], v[6:7], v[22:23], -v[24:25]
	ds_load_b128 v[6:9], v1 offset:1104
	s_waitcnt vmcnt(8) lgkmcnt(1)
	v_mul_f64 v[182:183], v[2:3], v[28:29]
	v_mul_f64 v[28:29], v[4:5], v[28:29]
	scratch_load_b128 v[22:25], off, off offset:576
	v_add_f64 v[174:175], v[174:175], v[186:187]
	v_add_f64 v[176:177], v[176:177], v[178:179]
	s_waitcnt vmcnt(8) lgkmcnt(0)
	v_mul_f64 v[178:179], v[6:7], v[32:33]
	v_mul_f64 v[32:33], v[8:9], v[32:33]
	v_fma_f64 v[182:183], v[4:5], v[26:27], v[182:183]
	v_fma_f64 v[186:187], v[2:3], v[26:27], -v[28:29]
	scratch_load_b128 v[26:29], off, off offset:592
	ds_load_b128 v[2:5], v1 offset:1120
	v_add_f64 v[174:175], v[174:175], v[184:185]
	v_add_f64 v[176:177], v[176:177], v[180:181]
	v_fma_f64 v[178:179], v[8:9], v[30:31], v[178:179]
	v_fma_f64 v[184:185], v[6:7], v[30:31], -v[32:33]
	ds_load_b128 v[6:9], v1 offset:1136
	s_waitcnt vmcnt(8) lgkmcnt(1)
	v_mul_f64 v[180:181], v[2:3], v[40:41]
	v_mul_f64 v[40:41], v[4:5], v[40:41]
	scratch_load_b128 v[30:33], off, off offset:608
	v_add_f64 v[174:175], v[174:175], v[186:187]
	v_add_f64 v[176:177], v[176:177], v[182:183]
	s_waitcnt vmcnt(8) lgkmcnt(0)
	v_mul_f64 v[182:183], v[6:7], v[172:173]
	v_mul_f64 v[172:173], v[8:9], v[172:173]
	v_fma_f64 v[180:181], v[4:5], v[38:39], v[180:181]
	v_fma_f64 v[186:187], v[2:3], v[38:39], -v[40:41]
	scratch_load_b128 v[38:41], off, off offset:624
	ds_load_b128 v[2:5], v1 offset:1152
	v_add_f64 v[174:175], v[174:175], v[184:185]
	v_add_f64 v[176:177], v[176:177], v[178:179]
	v_fma_f64 v[182:183], v[8:9], v[170:171], v[182:183]
	v_fma_f64 v[184:185], v[6:7], v[170:171], -v[172:173]
	ds_load_b128 v[6:9], v1 offset:1168
	scratch_load_b128 v[170:173], off, off offset:640
	s_waitcnt vmcnt(9) lgkmcnt(1)
	v_mul_f64 v[178:179], v[2:3], v[36:37]
	v_mul_f64 v[36:37], v[4:5], v[36:37]
	v_add_f64 v[174:175], v[174:175], v[186:187]
	v_add_f64 v[176:177], v[176:177], v[180:181]
	s_delay_alu instid0(VALU_DEP_4) | instskip(NEXT) | instid1(VALU_DEP_4)
	v_fma_f64 v[178:179], v[4:5], v[34:35], v[178:179]
	v_fma_f64 v[34:35], v[2:3], v[34:35], -v[36:37]
	ds_load_b128 v[2:5], v1 offset:1184
	v_add_f64 v[36:37], v[174:175], v[184:185]
	v_add_f64 v[174:175], v[176:177], v[182:183]
	s_waitcnt vmcnt(7) lgkmcnt(0)
	v_mul_f64 v[176:177], v[2:3], v[12:13]
	v_mul_f64 v[12:13], v[4:5], v[12:13]
	s_delay_alu instid0(VALU_DEP_4) | instskip(NEXT) | instid1(VALU_DEP_4)
	v_add_f64 v[34:35], v[36:37], v[34:35]
	v_add_f64 v[36:37], v[174:175], v[178:179]
	s_delay_alu instid0(VALU_DEP_4) | instskip(NEXT) | instid1(VALU_DEP_4)
	v_fma_f64 v[174:175], v[4:5], v[10:11], v[176:177]
	v_fma_f64 v[176:177], v[2:3], v[10:11], -v[12:13]
	scratch_load_b128 v[10:13], off, off offset:320
	v_mul_f64 v[180:181], v[6:7], v[168:169]
	v_mul_f64 v[168:169], v[8:9], v[168:169]
	ds_load_b128 v[2:5], v1 offset:1216
	v_fma_f64 v[180:181], v[8:9], v[166:167], v[180:181]
	v_fma_f64 v[166:167], v[6:7], v[166:167], -v[168:169]
	ds_load_b128 v[6:9], v1 offset:1200
	s_waitcnt vmcnt(7) lgkmcnt(0)
	v_mul_f64 v[168:169], v[6:7], v[16:17]
	v_mul_f64 v[16:17], v[8:9], v[16:17]
	v_add_f64 v[36:37], v[36:37], v[180:181]
	v_add_f64 v[34:35], v[34:35], v[166:167]
	s_waitcnt vmcnt(6)
	v_mul_f64 v[166:167], v[2:3], v[20:21]
	v_mul_f64 v[20:21], v[4:5], v[20:21]
	v_fma_f64 v[168:169], v[8:9], v[14:15], v[168:169]
	v_fma_f64 v[14:15], v[6:7], v[14:15], -v[16:17]
	ds_load_b128 v[6:9], v1 offset:1232
	v_add_f64 v[16:17], v[34:35], v[176:177]
	v_add_f64 v[34:35], v[36:37], v[174:175]
	v_fma_f64 v[166:167], v[4:5], v[18:19], v[166:167]
	v_fma_f64 v[18:19], v[2:3], v[18:19], -v[20:21]
	ds_load_b128 v[2:5], v1 offset:1248
	s_waitcnt vmcnt(5) lgkmcnt(1)
	v_mul_f64 v[36:37], v[6:7], v[24:25]
	v_mul_f64 v[24:25], v[8:9], v[24:25]
	s_waitcnt vmcnt(4) lgkmcnt(0)
	v_mul_f64 v[20:21], v[2:3], v[28:29]
	v_mul_f64 v[28:29], v[4:5], v[28:29]
	v_add_f64 v[14:15], v[16:17], v[14:15]
	v_add_f64 v[16:17], v[34:35], v[168:169]
	v_fma_f64 v[34:35], v[8:9], v[22:23], v[36:37]
	v_fma_f64 v[22:23], v[6:7], v[22:23], -v[24:25]
	ds_load_b128 v[6:9], v1 offset:1264
	v_fma_f64 v[20:21], v[4:5], v[26:27], v[20:21]
	v_fma_f64 v[26:27], v[2:3], v[26:27], -v[28:29]
	ds_load_b128 v[2:5], v1 offset:1280
	s_waitcnt vmcnt(3) lgkmcnt(1)
	v_mul_f64 v[24:25], v[8:9], v[32:33]
	v_add_f64 v[14:15], v[14:15], v[18:19]
	v_add_f64 v[16:17], v[16:17], v[166:167]
	v_mul_f64 v[18:19], v[6:7], v[32:33]
	s_waitcnt vmcnt(2) lgkmcnt(0)
	v_mul_f64 v[28:29], v[4:5], v[40:41]
	v_fma_f64 v[24:25], v[6:7], v[30:31], -v[24:25]
	v_add_f64 v[14:15], v[14:15], v[22:23]
	v_add_f64 v[16:17], v[16:17], v[34:35]
	v_mul_f64 v[22:23], v[2:3], v[40:41]
	v_fma_f64 v[18:19], v[8:9], v[30:31], v[18:19]
	ds_load_b128 v[6:9], v1 offset:1296
	v_fma_f64 v[1:2], v[2:3], v[38:39], -v[28:29]
	v_add_f64 v[14:15], v[14:15], v[26:27]
	v_add_f64 v[16:17], v[16:17], v[20:21]
	s_waitcnt vmcnt(1) lgkmcnt(0)
	v_mul_f64 v[20:21], v[6:7], v[172:173]
	v_mul_f64 v[26:27], v[8:9], v[172:173]
	v_fma_f64 v[4:5], v[4:5], v[38:39], v[22:23]
	v_add_f64 v[14:15], v[14:15], v[24:25]
	v_add_f64 v[16:17], v[16:17], v[18:19]
	v_fma_f64 v[8:9], v[8:9], v[170:171], v[20:21]
	v_fma_f64 v[6:7], v[6:7], v[170:171], -v[26:27]
	s_delay_alu instid0(VALU_DEP_4) | instskip(NEXT) | instid1(VALU_DEP_4)
	v_add_f64 v[1:2], v[14:15], v[1:2]
	v_add_f64 v[3:4], v[16:17], v[4:5]
	s_delay_alu instid0(VALU_DEP_2) | instskip(NEXT) | instid1(VALU_DEP_2)
	v_add_f64 v[1:2], v[1:2], v[6:7]
	v_add_f64 v[3:4], v[3:4], v[8:9]
	s_waitcnt vmcnt(0)
	s_delay_alu instid0(VALU_DEP_2) | instskip(NEXT) | instid1(VALU_DEP_2)
	v_add_f64 v[1:2], v[10:11], -v[1:2]
	v_add_f64 v[3:4], v[12:13], -v[3:4]
	scratch_store_b128 off, v[1:4], off offset:320
	v_cmpx_lt_u32_e32 19, v124
	s_cbranch_execz .LBB40_221
; %bb.220:
	scratch_load_b128 v[1:4], v150, off
	v_mov_b32_e32 v5, 0
	s_delay_alu instid0(VALU_DEP_1)
	v_mov_b32_e32 v6, v5
	v_mov_b32_e32 v7, v5
	;; [unrolled: 1-line block ×3, first 2 shown]
	scratch_store_b128 off, v[5:8], off offset:304
	s_waitcnt vmcnt(0)
	ds_store_b128 v165, v[1:4]
.LBB40_221:
	s_or_b32 exec_lo, exec_lo, s2
	s_waitcnt lgkmcnt(0)
	s_waitcnt_vscnt null, 0x0
	s_barrier
	buffer_gl0_inv
	s_clause 0x7
	scratch_load_b128 v[2:5], off, off offset:320
	scratch_load_b128 v[6:9], off, off offset:336
	;; [unrolled: 1-line block ×8, first 2 shown]
	v_mov_b32_e32 v1, 0
	s_clause 0x1
	scratch_load_b128 v[38:41], off, off offset:448
	scratch_load_b128 v[170:173], off, off offset:464
	s_mov_b32 s2, exec_lo
	ds_load_b128 v[34:37], v1 offset:976
	ds_load_b128 v[166:169], v1 offset:992
	s_waitcnt vmcnt(9) lgkmcnt(1)
	v_mul_f64 v[174:175], v[36:37], v[4:5]
	v_mul_f64 v[4:5], v[34:35], v[4:5]
	s_waitcnt vmcnt(8) lgkmcnt(0)
	v_mul_f64 v[176:177], v[166:167], v[8:9]
	v_mul_f64 v[8:9], v[168:169], v[8:9]
	s_delay_alu instid0(VALU_DEP_4) | instskip(NEXT) | instid1(VALU_DEP_4)
	v_fma_f64 v[174:175], v[34:35], v[2:3], -v[174:175]
	v_fma_f64 v[178:179], v[36:37], v[2:3], v[4:5]
	ds_load_b128 v[2:5], v1 offset:1008
	scratch_load_b128 v[34:37], off, off offset:480
	v_fma_f64 v[176:177], v[168:169], v[6:7], v[176:177]
	v_fma_f64 v[182:183], v[166:167], v[6:7], -v[8:9]
	scratch_load_b128 v[166:169], off, off offset:496
	ds_load_b128 v[6:9], v1 offset:1024
	s_waitcnt vmcnt(9) lgkmcnt(1)
	v_mul_f64 v[180:181], v[2:3], v[12:13]
	v_mul_f64 v[12:13], v[4:5], v[12:13]
	s_waitcnt vmcnt(8) lgkmcnt(0)
	v_mul_f64 v[184:185], v[6:7], v[16:17]
	v_mul_f64 v[16:17], v[8:9], v[16:17]
	v_add_f64 v[174:175], v[174:175], 0
	v_add_f64 v[178:179], v[178:179], 0
	v_fma_f64 v[180:181], v[4:5], v[10:11], v[180:181]
	v_fma_f64 v[186:187], v[2:3], v[10:11], -v[12:13]
	ds_load_b128 v[2:5], v1 offset:1040
	scratch_load_b128 v[10:13], off, off offset:512
	v_add_f64 v[174:175], v[174:175], v[182:183]
	v_add_f64 v[176:177], v[178:179], v[176:177]
	v_fma_f64 v[182:183], v[8:9], v[14:15], v[184:185]
	v_fma_f64 v[184:185], v[6:7], v[14:15], -v[16:17]
	scratch_load_b128 v[14:17], off, off offset:528
	ds_load_b128 v[6:9], v1 offset:1056
	s_waitcnt vmcnt(9) lgkmcnt(1)
	v_mul_f64 v[178:179], v[2:3], v[20:21]
	v_mul_f64 v[20:21], v[4:5], v[20:21]
	v_add_f64 v[174:175], v[174:175], v[186:187]
	v_add_f64 v[176:177], v[176:177], v[180:181]
	s_waitcnt vmcnt(8) lgkmcnt(0)
	v_mul_f64 v[180:181], v[6:7], v[24:25]
	v_mul_f64 v[24:25], v[8:9], v[24:25]
	v_fma_f64 v[178:179], v[4:5], v[18:19], v[178:179]
	v_fma_f64 v[186:187], v[2:3], v[18:19], -v[20:21]
	ds_load_b128 v[2:5], v1 offset:1072
	scratch_load_b128 v[18:21], off, off offset:544
	v_add_f64 v[174:175], v[174:175], v[184:185]
	v_add_f64 v[176:177], v[176:177], v[182:183]
	v_fma_f64 v[180:181], v[8:9], v[22:23], v[180:181]
	v_fma_f64 v[184:185], v[6:7], v[22:23], -v[24:25]
	ds_load_b128 v[6:9], v1 offset:1088
	s_waitcnt vmcnt(8) lgkmcnt(1)
	v_mul_f64 v[182:183], v[2:3], v[28:29]
	v_mul_f64 v[28:29], v[4:5], v[28:29]
	scratch_load_b128 v[22:25], off, off offset:560
	v_add_f64 v[174:175], v[174:175], v[186:187]
	v_add_f64 v[176:177], v[176:177], v[178:179]
	s_waitcnt vmcnt(8) lgkmcnt(0)
	v_mul_f64 v[178:179], v[6:7], v[32:33]
	v_mul_f64 v[32:33], v[8:9], v[32:33]
	v_fma_f64 v[182:183], v[4:5], v[26:27], v[182:183]
	v_fma_f64 v[186:187], v[2:3], v[26:27], -v[28:29]
	scratch_load_b128 v[26:29], off, off offset:576
	ds_load_b128 v[2:5], v1 offset:1104
	v_add_f64 v[174:175], v[174:175], v[184:185]
	v_add_f64 v[176:177], v[176:177], v[180:181]
	v_fma_f64 v[178:179], v[8:9], v[30:31], v[178:179]
	v_fma_f64 v[184:185], v[6:7], v[30:31], -v[32:33]
	ds_load_b128 v[6:9], v1 offset:1120
	s_waitcnt vmcnt(8) lgkmcnt(1)
	v_mul_f64 v[180:181], v[2:3], v[40:41]
	v_mul_f64 v[40:41], v[4:5], v[40:41]
	scratch_load_b128 v[30:33], off, off offset:592
	v_add_f64 v[174:175], v[174:175], v[186:187]
	v_add_f64 v[176:177], v[176:177], v[182:183]
	s_waitcnt vmcnt(8) lgkmcnt(0)
	v_mul_f64 v[182:183], v[6:7], v[172:173]
	v_mul_f64 v[172:173], v[8:9], v[172:173]
	v_fma_f64 v[180:181], v[4:5], v[38:39], v[180:181]
	v_fma_f64 v[186:187], v[2:3], v[38:39], -v[40:41]
	scratch_load_b128 v[38:41], off, off offset:608
	ds_load_b128 v[2:5], v1 offset:1136
	v_add_f64 v[174:175], v[174:175], v[184:185]
	v_add_f64 v[176:177], v[176:177], v[178:179]
	v_fma_f64 v[182:183], v[8:9], v[170:171], v[182:183]
	v_fma_f64 v[184:185], v[6:7], v[170:171], -v[172:173]
	ds_load_b128 v[6:9], v1 offset:1152
	scratch_load_b128 v[170:173], off, off offset:624
	s_waitcnt vmcnt(9) lgkmcnt(1)
	v_mul_f64 v[178:179], v[2:3], v[36:37]
	v_mul_f64 v[36:37], v[4:5], v[36:37]
	v_add_f64 v[174:175], v[174:175], v[186:187]
	v_add_f64 v[176:177], v[176:177], v[180:181]
	s_waitcnt vmcnt(8) lgkmcnt(0)
	v_mul_f64 v[180:181], v[6:7], v[168:169]
	v_mul_f64 v[168:169], v[8:9], v[168:169]
	v_fma_f64 v[178:179], v[4:5], v[34:35], v[178:179]
	v_fma_f64 v[186:187], v[2:3], v[34:35], -v[36:37]
	scratch_load_b128 v[34:37], off, off offset:640
	ds_load_b128 v[2:5], v1 offset:1168
	v_add_f64 v[174:175], v[174:175], v[184:185]
	v_add_f64 v[176:177], v[176:177], v[182:183]
	v_fma_f64 v[180:181], v[8:9], v[166:167], v[180:181]
	v_fma_f64 v[166:167], v[6:7], v[166:167], -v[168:169]
	ds_load_b128 v[6:9], v1 offset:1184
	s_waitcnt vmcnt(8) lgkmcnt(1)
	v_mul_f64 v[182:183], v[2:3], v[12:13]
	v_mul_f64 v[12:13], v[4:5], v[12:13]
	v_add_f64 v[168:169], v[174:175], v[186:187]
	v_add_f64 v[174:175], v[176:177], v[178:179]
	s_waitcnt vmcnt(7) lgkmcnt(0)
	v_mul_f64 v[176:177], v[6:7], v[16:17]
	v_mul_f64 v[16:17], v[8:9], v[16:17]
	v_fma_f64 v[178:179], v[4:5], v[10:11], v[182:183]
	v_fma_f64 v[10:11], v[2:3], v[10:11], -v[12:13]
	ds_load_b128 v[2:5], v1 offset:1200
	v_add_f64 v[12:13], v[168:169], v[166:167]
	v_add_f64 v[166:167], v[174:175], v[180:181]
	v_fma_f64 v[174:175], v[8:9], v[14:15], v[176:177]
	v_fma_f64 v[14:15], v[6:7], v[14:15], -v[16:17]
	ds_load_b128 v[6:9], v1 offset:1216
	s_waitcnt vmcnt(5) lgkmcnt(0)
	v_mul_f64 v[176:177], v[6:7], v[24:25]
	v_mul_f64 v[24:25], v[8:9], v[24:25]
	v_add_f64 v[16:17], v[12:13], v[10:11]
	v_add_f64 v[166:167], v[166:167], v[178:179]
	scratch_load_b128 v[10:13], off, off offset:304
	v_mul_f64 v[168:169], v[2:3], v[20:21]
	v_mul_f64 v[20:21], v[4:5], v[20:21]
	v_add_f64 v[14:15], v[16:17], v[14:15]
	v_add_f64 v[16:17], v[166:167], v[174:175]
	v_fma_f64 v[166:167], v[8:9], v[22:23], v[176:177]
	v_fma_f64 v[168:169], v[4:5], v[18:19], v[168:169]
	v_fma_f64 v[18:19], v[2:3], v[18:19], -v[20:21]
	ds_load_b128 v[2:5], v1 offset:1232
	v_fma_f64 v[22:23], v[6:7], v[22:23], -v[24:25]
	ds_load_b128 v[6:9], v1 offset:1248
	s_waitcnt vmcnt(5) lgkmcnt(1)
	v_mul_f64 v[20:21], v[2:3], v[28:29]
	v_mul_f64 v[28:29], v[4:5], v[28:29]
	s_waitcnt vmcnt(4) lgkmcnt(0)
	v_mul_f64 v[24:25], v[8:9], v[32:33]
	v_add_f64 v[16:17], v[16:17], v[168:169]
	v_add_f64 v[14:15], v[14:15], v[18:19]
	v_mul_f64 v[18:19], v[6:7], v[32:33]
	v_fma_f64 v[20:21], v[4:5], v[26:27], v[20:21]
	v_fma_f64 v[26:27], v[2:3], v[26:27], -v[28:29]
	ds_load_b128 v[2:5], v1 offset:1264
	v_fma_f64 v[24:25], v[6:7], v[30:31], -v[24:25]
	v_add_f64 v[16:17], v[16:17], v[166:167]
	v_add_f64 v[14:15], v[14:15], v[22:23]
	v_fma_f64 v[18:19], v[8:9], v[30:31], v[18:19]
	ds_load_b128 v[6:9], v1 offset:1280
	s_waitcnt vmcnt(3) lgkmcnt(1)
	v_mul_f64 v[22:23], v[2:3], v[40:41]
	v_mul_f64 v[28:29], v[4:5], v[40:41]
	v_add_f64 v[16:17], v[16:17], v[20:21]
	v_add_f64 v[14:15], v[14:15], v[26:27]
	s_waitcnt vmcnt(2) lgkmcnt(0)
	v_mul_f64 v[20:21], v[6:7], v[172:173]
	v_mul_f64 v[26:27], v[8:9], v[172:173]
	v_fma_f64 v[22:23], v[4:5], v[38:39], v[22:23]
	v_fma_f64 v[28:29], v[2:3], v[38:39], -v[28:29]
	ds_load_b128 v[2:5], v1 offset:1296
	v_add_f64 v[16:17], v[16:17], v[18:19]
	v_add_f64 v[14:15], v[14:15], v[24:25]
	s_waitcnt vmcnt(1) lgkmcnt(0)
	v_mul_f64 v[18:19], v[2:3], v[36:37]
	v_mul_f64 v[24:25], v[4:5], v[36:37]
	v_fma_f64 v[8:9], v[8:9], v[170:171], v[20:21]
	v_fma_f64 v[6:7], v[6:7], v[170:171], -v[26:27]
	v_add_f64 v[16:17], v[16:17], v[22:23]
	v_add_f64 v[14:15], v[14:15], v[28:29]
	v_fma_f64 v[4:5], v[4:5], v[34:35], v[18:19]
	v_fma_f64 v[2:3], v[2:3], v[34:35], -v[24:25]
	s_delay_alu instid0(VALU_DEP_4) | instskip(NEXT) | instid1(VALU_DEP_4)
	v_add_f64 v[8:9], v[16:17], v[8:9]
	v_add_f64 v[6:7], v[14:15], v[6:7]
	s_delay_alu instid0(VALU_DEP_2) | instskip(NEXT) | instid1(VALU_DEP_2)
	v_add_f64 v[4:5], v[8:9], v[4:5]
	v_add_f64 v[2:3], v[6:7], v[2:3]
	s_waitcnt vmcnt(0)
	s_delay_alu instid0(VALU_DEP_2) | instskip(NEXT) | instid1(VALU_DEP_2)
	v_add_f64 v[4:5], v[12:13], -v[4:5]
	v_add_f64 v[2:3], v[10:11], -v[2:3]
	scratch_store_b128 off, v[2:5], off offset:304
	v_cmpx_lt_u32_e32 18, v124
	s_cbranch_execz .LBB40_223
; %bb.222:
	scratch_load_b128 v[5:8], v151, off
	v_mov_b32_e32 v2, v1
	v_mov_b32_e32 v3, v1
	;; [unrolled: 1-line block ×3, first 2 shown]
	scratch_store_b128 off, v[1:4], off offset:288
	s_waitcnt vmcnt(0)
	ds_store_b128 v165, v[5:8]
.LBB40_223:
	s_or_b32 exec_lo, exec_lo, s2
	s_waitcnt lgkmcnt(0)
	s_waitcnt_vscnt null, 0x0
	s_barrier
	buffer_gl0_inv
	s_clause 0x7
	scratch_load_b128 v[2:5], off, off offset:304
	scratch_load_b128 v[6:9], off, off offset:320
	scratch_load_b128 v[10:13], off, off offset:336
	scratch_load_b128 v[14:17], off, off offset:352
	scratch_load_b128 v[18:21], off, off offset:368
	scratch_load_b128 v[22:25], off, off offset:384
	scratch_load_b128 v[26:29], off, off offset:400
	scratch_load_b128 v[30:33], off, off offset:416
	ds_load_b128 v[34:37], v1 offset:960
	ds_load_b128 v[166:169], v1 offset:976
	s_clause 0x1
	scratch_load_b128 v[38:41], off, off offset:432
	scratch_load_b128 v[170:173], off, off offset:448
	s_mov_b32 s2, exec_lo
	s_waitcnt vmcnt(9) lgkmcnt(1)
	v_mul_f64 v[174:175], v[36:37], v[4:5]
	v_mul_f64 v[4:5], v[34:35], v[4:5]
	s_waitcnt vmcnt(8) lgkmcnt(0)
	v_mul_f64 v[176:177], v[166:167], v[8:9]
	v_mul_f64 v[8:9], v[168:169], v[8:9]
	s_delay_alu instid0(VALU_DEP_4) | instskip(NEXT) | instid1(VALU_DEP_4)
	v_fma_f64 v[174:175], v[34:35], v[2:3], -v[174:175]
	v_fma_f64 v[178:179], v[36:37], v[2:3], v[4:5]
	ds_load_b128 v[2:5], v1 offset:992
	scratch_load_b128 v[34:37], off, off offset:464
	v_fma_f64 v[176:177], v[168:169], v[6:7], v[176:177]
	v_fma_f64 v[182:183], v[166:167], v[6:7], -v[8:9]
	scratch_load_b128 v[166:169], off, off offset:480
	ds_load_b128 v[6:9], v1 offset:1008
	s_waitcnt vmcnt(9) lgkmcnt(1)
	v_mul_f64 v[180:181], v[2:3], v[12:13]
	v_mul_f64 v[12:13], v[4:5], v[12:13]
	s_waitcnt vmcnt(8) lgkmcnt(0)
	v_mul_f64 v[184:185], v[6:7], v[16:17]
	v_mul_f64 v[16:17], v[8:9], v[16:17]
	v_add_f64 v[174:175], v[174:175], 0
	v_add_f64 v[178:179], v[178:179], 0
	v_fma_f64 v[180:181], v[4:5], v[10:11], v[180:181]
	v_fma_f64 v[186:187], v[2:3], v[10:11], -v[12:13]
	ds_load_b128 v[2:5], v1 offset:1024
	scratch_load_b128 v[10:13], off, off offset:496
	v_add_f64 v[174:175], v[174:175], v[182:183]
	v_add_f64 v[176:177], v[178:179], v[176:177]
	v_fma_f64 v[182:183], v[8:9], v[14:15], v[184:185]
	v_fma_f64 v[184:185], v[6:7], v[14:15], -v[16:17]
	scratch_load_b128 v[14:17], off, off offset:512
	ds_load_b128 v[6:9], v1 offset:1040
	s_waitcnt vmcnt(9) lgkmcnt(1)
	v_mul_f64 v[178:179], v[2:3], v[20:21]
	v_mul_f64 v[20:21], v[4:5], v[20:21]
	v_add_f64 v[174:175], v[174:175], v[186:187]
	v_add_f64 v[176:177], v[176:177], v[180:181]
	s_waitcnt vmcnt(8) lgkmcnt(0)
	v_mul_f64 v[180:181], v[6:7], v[24:25]
	v_mul_f64 v[24:25], v[8:9], v[24:25]
	v_fma_f64 v[178:179], v[4:5], v[18:19], v[178:179]
	v_fma_f64 v[186:187], v[2:3], v[18:19], -v[20:21]
	ds_load_b128 v[2:5], v1 offset:1056
	scratch_load_b128 v[18:21], off, off offset:528
	v_add_f64 v[174:175], v[174:175], v[184:185]
	v_add_f64 v[176:177], v[176:177], v[182:183]
	v_fma_f64 v[180:181], v[8:9], v[22:23], v[180:181]
	v_fma_f64 v[184:185], v[6:7], v[22:23], -v[24:25]
	ds_load_b128 v[6:9], v1 offset:1072
	s_waitcnt vmcnt(8) lgkmcnt(1)
	v_mul_f64 v[182:183], v[2:3], v[28:29]
	v_mul_f64 v[28:29], v[4:5], v[28:29]
	scratch_load_b128 v[22:25], off, off offset:544
	v_add_f64 v[174:175], v[174:175], v[186:187]
	v_add_f64 v[176:177], v[176:177], v[178:179]
	s_waitcnt vmcnt(8) lgkmcnt(0)
	v_mul_f64 v[178:179], v[6:7], v[32:33]
	v_mul_f64 v[32:33], v[8:9], v[32:33]
	v_fma_f64 v[182:183], v[4:5], v[26:27], v[182:183]
	v_fma_f64 v[186:187], v[2:3], v[26:27], -v[28:29]
	ds_load_b128 v[2:5], v1 offset:1088
	scratch_load_b128 v[26:29], off, off offset:560
	v_add_f64 v[174:175], v[174:175], v[184:185]
	v_add_f64 v[176:177], v[176:177], v[180:181]
	v_fma_f64 v[178:179], v[8:9], v[30:31], v[178:179]
	v_fma_f64 v[184:185], v[6:7], v[30:31], -v[32:33]
	ds_load_b128 v[6:9], v1 offset:1104
	s_waitcnt vmcnt(8) lgkmcnt(1)
	v_mul_f64 v[180:181], v[2:3], v[40:41]
	v_mul_f64 v[40:41], v[4:5], v[40:41]
	scratch_load_b128 v[30:33], off, off offset:576
	v_add_f64 v[174:175], v[174:175], v[186:187]
	v_add_f64 v[176:177], v[176:177], v[182:183]
	s_waitcnt vmcnt(8) lgkmcnt(0)
	v_mul_f64 v[182:183], v[6:7], v[172:173]
	v_mul_f64 v[172:173], v[8:9], v[172:173]
	v_fma_f64 v[180:181], v[4:5], v[38:39], v[180:181]
	v_fma_f64 v[186:187], v[2:3], v[38:39], -v[40:41]
	scratch_load_b128 v[38:41], off, off offset:592
	ds_load_b128 v[2:5], v1 offset:1120
	v_add_f64 v[174:175], v[174:175], v[184:185]
	v_add_f64 v[176:177], v[176:177], v[178:179]
	v_fma_f64 v[182:183], v[8:9], v[170:171], v[182:183]
	v_fma_f64 v[184:185], v[6:7], v[170:171], -v[172:173]
	ds_load_b128 v[6:9], v1 offset:1136
	scratch_load_b128 v[170:173], off, off offset:608
	s_waitcnt vmcnt(9) lgkmcnt(1)
	v_mul_f64 v[178:179], v[2:3], v[36:37]
	v_mul_f64 v[36:37], v[4:5], v[36:37]
	v_add_f64 v[174:175], v[174:175], v[186:187]
	v_add_f64 v[176:177], v[176:177], v[180:181]
	s_waitcnt vmcnt(8) lgkmcnt(0)
	v_mul_f64 v[180:181], v[6:7], v[168:169]
	v_mul_f64 v[168:169], v[8:9], v[168:169]
	v_fma_f64 v[178:179], v[4:5], v[34:35], v[178:179]
	v_fma_f64 v[186:187], v[2:3], v[34:35], -v[36:37]
	scratch_load_b128 v[34:37], off, off offset:624
	ds_load_b128 v[2:5], v1 offset:1152
	v_add_f64 v[174:175], v[174:175], v[184:185]
	v_add_f64 v[176:177], v[176:177], v[182:183]
	v_fma_f64 v[180:181], v[8:9], v[166:167], v[180:181]
	v_fma_f64 v[184:185], v[6:7], v[166:167], -v[168:169]
	ds_load_b128 v[6:9], v1 offset:1168
	s_waitcnt vmcnt(8) lgkmcnt(1)
	v_mul_f64 v[182:183], v[2:3], v[12:13]
	v_mul_f64 v[12:13], v[4:5], v[12:13]
	scratch_load_b128 v[166:169], off, off offset:640
	v_add_f64 v[174:175], v[174:175], v[186:187]
	v_add_f64 v[176:177], v[176:177], v[178:179]
	s_waitcnt vmcnt(8) lgkmcnt(0)
	v_mul_f64 v[178:179], v[6:7], v[16:17]
	v_mul_f64 v[16:17], v[8:9], v[16:17]
	v_fma_f64 v[182:183], v[4:5], v[10:11], v[182:183]
	v_fma_f64 v[10:11], v[2:3], v[10:11], -v[12:13]
	ds_load_b128 v[2:5], v1 offset:1184
	v_add_f64 v[12:13], v[174:175], v[184:185]
	v_add_f64 v[174:175], v[176:177], v[180:181]
	v_fma_f64 v[178:179], v[8:9], v[14:15], v[178:179]
	v_fma_f64 v[14:15], v[6:7], v[14:15], -v[16:17]
	ds_load_b128 v[6:9], v1 offset:1200
	s_waitcnt vmcnt(7) lgkmcnt(1)
	v_mul_f64 v[176:177], v[2:3], v[20:21]
	v_mul_f64 v[20:21], v[4:5], v[20:21]
	v_add_f64 v[10:11], v[12:13], v[10:11]
	v_add_f64 v[12:13], v[174:175], v[182:183]
	s_delay_alu instid0(VALU_DEP_4) | instskip(NEXT) | instid1(VALU_DEP_4)
	v_fma_f64 v[174:175], v[4:5], v[18:19], v[176:177]
	v_fma_f64 v[18:19], v[2:3], v[18:19], -v[20:21]
	ds_load_b128 v[2:5], v1 offset:1216
	v_add_f64 v[14:15], v[10:11], v[14:15]
	v_add_f64 v[20:21], v[12:13], v[178:179]
	scratch_load_b128 v[10:13], off, off offset:288
	s_waitcnt vmcnt(7) lgkmcnt(1)
	v_mul_f64 v[16:17], v[6:7], v[24:25]
	v_mul_f64 v[24:25], v[8:9], v[24:25]
	v_add_f64 v[14:15], v[14:15], v[18:19]
	v_add_f64 v[18:19], v[20:21], v[174:175]
	s_delay_alu instid0(VALU_DEP_4) | instskip(NEXT) | instid1(VALU_DEP_4)
	v_fma_f64 v[16:17], v[8:9], v[22:23], v[16:17]
	v_fma_f64 v[22:23], v[6:7], v[22:23], -v[24:25]
	ds_load_b128 v[6:9], v1 offset:1232
	s_waitcnt vmcnt(6) lgkmcnt(1)
	v_mul_f64 v[176:177], v[2:3], v[28:29]
	v_mul_f64 v[28:29], v[4:5], v[28:29]
	s_waitcnt vmcnt(5) lgkmcnt(0)
	v_mul_f64 v[20:21], v[6:7], v[32:33]
	v_mul_f64 v[24:25], v[8:9], v[32:33]
	v_add_f64 v[16:17], v[18:19], v[16:17]
	v_add_f64 v[14:15], v[14:15], v[22:23]
	v_fma_f64 v[32:33], v[4:5], v[26:27], v[176:177]
	v_fma_f64 v[26:27], v[2:3], v[26:27], -v[28:29]
	ds_load_b128 v[2:5], v1 offset:1248
	v_fma_f64 v[20:21], v[8:9], v[30:31], v[20:21]
	v_fma_f64 v[24:25], v[6:7], v[30:31], -v[24:25]
	ds_load_b128 v[6:9], v1 offset:1264
	s_waitcnt vmcnt(4) lgkmcnt(1)
	v_mul_f64 v[18:19], v[2:3], v[40:41]
	v_mul_f64 v[22:23], v[4:5], v[40:41]
	v_add_f64 v[16:17], v[16:17], v[32:33]
	v_add_f64 v[14:15], v[14:15], v[26:27]
	s_waitcnt vmcnt(3) lgkmcnt(0)
	v_mul_f64 v[26:27], v[6:7], v[172:173]
	v_mul_f64 v[28:29], v[8:9], v[172:173]
	v_fma_f64 v[18:19], v[4:5], v[38:39], v[18:19]
	v_fma_f64 v[22:23], v[2:3], v[38:39], -v[22:23]
	ds_load_b128 v[2:5], v1 offset:1280
	v_add_f64 v[16:17], v[16:17], v[20:21]
	v_add_f64 v[14:15], v[14:15], v[24:25]
	v_fma_f64 v[26:27], v[8:9], v[170:171], v[26:27]
	v_fma_f64 v[28:29], v[6:7], v[170:171], -v[28:29]
	ds_load_b128 v[6:9], v1 offset:1296
	s_waitcnt vmcnt(2) lgkmcnt(1)
	v_mul_f64 v[20:21], v[2:3], v[36:37]
	v_mul_f64 v[24:25], v[4:5], v[36:37]
	v_add_f64 v[16:17], v[16:17], v[18:19]
	v_add_f64 v[14:15], v[14:15], v[22:23]
	s_waitcnt vmcnt(1) lgkmcnt(0)
	v_mul_f64 v[18:19], v[6:7], v[168:169]
	v_mul_f64 v[22:23], v[8:9], v[168:169]
	v_fma_f64 v[4:5], v[4:5], v[34:35], v[20:21]
	v_fma_f64 v[1:2], v[2:3], v[34:35], -v[24:25]
	v_add_f64 v[16:17], v[16:17], v[26:27]
	v_add_f64 v[14:15], v[14:15], v[28:29]
	v_fma_f64 v[8:9], v[8:9], v[166:167], v[18:19]
	v_fma_f64 v[6:7], v[6:7], v[166:167], -v[22:23]
	s_delay_alu instid0(VALU_DEP_4) | instskip(NEXT) | instid1(VALU_DEP_4)
	v_add_f64 v[3:4], v[16:17], v[4:5]
	v_add_f64 v[1:2], v[14:15], v[1:2]
	s_delay_alu instid0(VALU_DEP_2) | instskip(NEXT) | instid1(VALU_DEP_2)
	v_add_f64 v[3:4], v[3:4], v[8:9]
	v_add_f64 v[1:2], v[1:2], v[6:7]
	s_waitcnt vmcnt(0)
	s_delay_alu instid0(VALU_DEP_2) | instskip(NEXT) | instid1(VALU_DEP_2)
	v_add_f64 v[3:4], v[12:13], -v[3:4]
	v_add_f64 v[1:2], v[10:11], -v[1:2]
	scratch_store_b128 off, v[1:4], off offset:288
	v_cmpx_lt_u32_e32 17, v124
	s_cbranch_execz .LBB40_225
; %bb.224:
	scratch_load_b128 v[1:4], v152, off
	v_mov_b32_e32 v5, 0
	s_delay_alu instid0(VALU_DEP_1)
	v_mov_b32_e32 v6, v5
	v_mov_b32_e32 v7, v5
	;; [unrolled: 1-line block ×3, first 2 shown]
	scratch_store_b128 off, v[5:8], off offset:272
	s_waitcnt vmcnt(0)
	ds_store_b128 v165, v[1:4]
.LBB40_225:
	s_or_b32 exec_lo, exec_lo, s2
	s_waitcnt lgkmcnt(0)
	s_waitcnt_vscnt null, 0x0
	s_barrier
	buffer_gl0_inv
	s_clause 0x7
	scratch_load_b128 v[2:5], off, off offset:288
	scratch_load_b128 v[6:9], off, off offset:304
	scratch_load_b128 v[10:13], off, off offset:320
	scratch_load_b128 v[14:17], off, off offset:336
	scratch_load_b128 v[18:21], off, off offset:352
	scratch_load_b128 v[22:25], off, off offset:368
	scratch_load_b128 v[26:29], off, off offset:384
	scratch_load_b128 v[30:33], off, off offset:400
	v_mov_b32_e32 v1, 0
	s_clause 0x1
	scratch_load_b128 v[38:41], off, off offset:416
	scratch_load_b128 v[170:173], off, off offset:432
	s_mov_b32 s2, exec_lo
	ds_load_b128 v[34:37], v1 offset:944
	ds_load_b128 v[166:169], v1 offset:960
	s_waitcnt vmcnt(9) lgkmcnt(1)
	v_mul_f64 v[174:175], v[36:37], v[4:5]
	v_mul_f64 v[4:5], v[34:35], v[4:5]
	s_waitcnt vmcnt(8) lgkmcnt(0)
	v_mul_f64 v[176:177], v[166:167], v[8:9]
	v_mul_f64 v[8:9], v[168:169], v[8:9]
	s_delay_alu instid0(VALU_DEP_4) | instskip(NEXT) | instid1(VALU_DEP_4)
	v_fma_f64 v[174:175], v[34:35], v[2:3], -v[174:175]
	v_fma_f64 v[178:179], v[36:37], v[2:3], v[4:5]
	ds_load_b128 v[2:5], v1 offset:976
	scratch_load_b128 v[34:37], off, off offset:448
	v_fma_f64 v[176:177], v[168:169], v[6:7], v[176:177]
	v_fma_f64 v[182:183], v[166:167], v[6:7], -v[8:9]
	scratch_load_b128 v[166:169], off, off offset:464
	ds_load_b128 v[6:9], v1 offset:992
	s_waitcnt vmcnt(9) lgkmcnt(1)
	v_mul_f64 v[180:181], v[2:3], v[12:13]
	v_mul_f64 v[12:13], v[4:5], v[12:13]
	s_waitcnt vmcnt(8) lgkmcnt(0)
	v_mul_f64 v[184:185], v[6:7], v[16:17]
	v_mul_f64 v[16:17], v[8:9], v[16:17]
	v_add_f64 v[174:175], v[174:175], 0
	v_add_f64 v[178:179], v[178:179], 0
	v_fma_f64 v[180:181], v[4:5], v[10:11], v[180:181]
	v_fma_f64 v[186:187], v[2:3], v[10:11], -v[12:13]
	ds_load_b128 v[2:5], v1 offset:1008
	scratch_load_b128 v[10:13], off, off offset:480
	v_add_f64 v[174:175], v[174:175], v[182:183]
	v_add_f64 v[176:177], v[178:179], v[176:177]
	v_fma_f64 v[182:183], v[8:9], v[14:15], v[184:185]
	v_fma_f64 v[184:185], v[6:7], v[14:15], -v[16:17]
	scratch_load_b128 v[14:17], off, off offset:496
	ds_load_b128 v[6:9], v1 offset:1024
	s_waitcnt vmcnt(9) lgkmcnt(1)
	v_mul_f64 v[178:179], v[2:3], v[20:21]
	v_mul_f64 v[20:21], v[4:5], v[20:21]
	v_add_f64 v[174:175], v[174:175], v[186:187]
	v_add_f64 v[176:177], v[176:177], v[180:181]
	s_waitcnt vmcnt(8) lgkmcnt(0)
	v_mul_f64 v[180:181], v[6:7], v[24:25]
	v_mul_f64 v[24:25], v[8:9], v[24:25]
	v_fma_f64 v[178:179], v[4:5], v[18:19], v[178:179]
	v_fma_f64 v[186:187], v[2:3], v[18:19], -v[20:21]
	ds_load_b128 v[2:5], v1 offset:1040
	scratch_load_b128 v[18:21], off, off offset:512
	v_add_f64 v[174:175], v[174:175], v[184:185]
	v_add_f64 v[176:177], v[176:177], v[182:183]
	v_fma_f64 v[180:181], v[8:9], v[22:23], v[180:181]
	v_fma_f64 v[184:185], v[6:7], v[22:23], -v[24:25]
	scratch_load_b128 v[22:25], off, off offset:528
	ds_load_b128 v[6:9], v1 offset:1056
	s_waitcnt vmcnt(9) lgkmcnt(1)
	v_mul_f64 v[182:183], v[2:3], v[28:29]
	v_mul_f64 v[28:29], v[4:5], v[28:29]
	v_add_f64 v[174:175], v[174:175], v[186:187]
	v_add_f64 v[176:177], v[176:177], v[178:179]
	s_waitcnt vmcnt(8) lgkmcnt(0)
	v_mul_f64 v[178:179], v[6:7], v[32:33]
	v_mul_f64 v[32:33], v[8:9], v[32:33]
	v_fma_f64 v[182:183], v[4:5], v[26:27], v[182:183]
	v_fma_f64 v[186:187], v[2:3], v[26:27], -v[28:29]
	ds_load_b128 v[2:5], v1 offset:1072
	scratch_load_b128 v[26:29], off, off offset:544
	v_add_f64 v[174:175], v[174:175], v[184:185]
	v_add_f64 v[176:177], v[176:177], v[180:181]
	v_fma_f64 v[178:179], v[8:9], v[30:31], v[178:179]
	v_fma_f64 v[184:185], v[6:7], v[30:31], -v[32:33]
	ds_load_b128 v[6:9], v1 offset:1088
	s_waitcnt vmcnt(8) lgkmcnt(1)
	v_mul_f64 v[180:181], v[2:3], v[40:41]
	v_mul_f64 v[40:41], v[4:5], v[40:41]
	scratch_load_b128 v[30:33], off, off offset:560
	v_add_f64 v[174:175], v[174:175], v[186:187]
	v_add_f64 v[176:177], v[176:177], v[182:183]
	s_waitcnt vmcnt(8) lgkmcnt(0)
	v_mul_f64 v[182:183], v[6:7], v[172:173]
	v_mul_f64 v[172:173], v[8:9], v[172:173]
	v_fma_f64 v[180:181], v[4:5], v[38:39], v[180:181]
	v_fma_f64 v[186:187], v[2:3], v[38:39], -v[40:41]
	scratch_load_b128 v[38:41], off, off offset:576
	ds_load_b128 v[2:5], v1 offset:1104
	v_add_f64 v[174:175], v[174:175], v[184:185]
	v_add_f64 v[176:177], v[176:177], v[178:179]
	v_fma_f64 v[182:183], v[8:9], v[170:171], v[182:183]
	v_fma_f64 v[184:185], v[6:7], v[170:171], -v[172:173]
	ds_load_b128 v[6:9], v1 offset:1120
	scratch_load_b128 v[170:173], off, off offset:592
	s_waitcnt vmcnt(9) lgkmcnt(1)
	v_mul_f64 v[178:179], v[2:3], v[36:37]
	v_mul_f64 v[36:37], v[4:5], v[36:37]
	v_add_f64 v[174:175], v[174:175], v[186:187]
	v_add_f64 v[176:177], v[176:177], v[180:181]
	s_waitcnt vmcnt(8) lgkmcnt(0)
	v_mul_f64 v[180:181], v[6:7], v[168:169]
	v_mul_f64 v[168:169], v[8:9], v[168:169]
	v_fma_f64 v[178:179], v[4:5], v[34:35], v[178:179]
	v_fma_f64 v[186:187], v[2:3], v[34:35], -v[36:37]
	scratch_load_b128 v[34:37], off, off offset:608
	ds_load_b128 v[2:5], v1 offset:1136
	v_add_f64 v[174:175], v[174:175], v[184:185]
	v_add_f64 v[176:177], v[176:177], v[182:183]
	v_fma_f64 v[180:181], v[8:9], v[166:167], v[180:181]
	v_fma_f64 v[184:185], v[6:7], v[166:167], -v[168:169]
	ds_load_b128 v[6:9], v1 offset:1152
	s_waitcnt vmcnt(8) lgkmcnt(1)
	v_mul_f64 v[182:183], v[2:3], v[12:13]
	v_mul_f64 v[12:13], v[4:5], v[12:13]
	scratch_load_b128 v[166:169], off, off offset:624
	v_add_f64 v[174:175], v[174:175], v[186:187]
	v_add_f64 v[176:177], v[176:177], v[178:179]
	s_waitcnt vmcnt(8) lgkmcnt(0)
	v_mul_f64 v[178:179], v[6:7], v[16:17]
	v_mul_f64 v[16:17], v[8:9], v[16:17]
	v_fma_f64 v[182:183], v[4:5], v[10:11], v[182:183]
	v_fma_f64 v[186:187], v[2:3], v[10:11], -v[12:13]
	scratch_load_b128 v[10:13], off, off offset:640
	ds_load_b128 v[2:5], v1 offset:1168
	v_add_f64 v[174:175], v[174:175], v[184:185]
	v_add_f64 v[176:177], v[176:177], v[180:181]
	v_fma_f64 v[178:179], v[8:9], v[14:15], v[178:179]
	v_fma_f64 v[14:15], v[6:7], v[14:15], -v[16:17]
	ds_load_b128 v[6:9], v1 offset:1184
	s_waitcnt vmcnt(8) lgkmcnt(1)
	v_mul_f64 v[180:181], v[2:3], v[20:21]
	v_mul_f64 v[20:21], v[4:5], v[20:21]
	v_add_f64 v[16:17], v[174:175], v[186:187]
	v_add_f64 v[174:175], v[176:177], v[182:183]
	s_waitcnt vmcnt(7) lgkmcnt(0)
	v_mul_f64 v[176:177], v[6:7], v[24:25]
	v_mul_f64 v[24:25], v[8:9], v[24:25]
	v_fma_f64 v[180:181], v[4:5], v[18:19], v[180:181]
	v_fma_f64 v[18:19], v[2:3], v[18:19], -v[20:21]
	ds_load_b128 v[2:5], v1 offset:1200
	v_add_f64 v[14:15], v[16:17], v[14:15]
	v_add_f64 v[16:17], v[174:175], v[178:179]
	v_fma_f64 v[174:175], v[8:9], v[22:23], v[176:177]
	v_fma_f64 v[22:23], v[6:7], v[22:23], -v[24:25]
	ds_load_b128 v[6:9], v1 offset:1216
	s_waitcnt vmcnt(5) lgkmcnt(0)
	v_mul_f64 v[176:177], v[6:7], v[32:33]
	v_mul_f64 v[32:33], v[8:9], v[32:33]
	v_add_f64 v[18:19], v[14:15], v[18:19]
	v_add_f64 v[24:25], v[16:17], v[180:181]
	scratch_load_b128 v[14:17], off, off offset:272
	v_mul_f64 v[20:21], v[2:3], v[28:29]
	v_mul_f64 v[28:29], v[4:5], v[28:29]
	v_add_f64 v[18:19], v[18:19], v[22:23]
	v_add_f64 v[22:23], v[24:25], v[174:175]
	s_delay_alu instid0(VALU_DEP_4) | instskip(NEXT) | instid1(VALU_DEP_4)
	v_fma_f64 v[20:21], v[4:5], v[26:27], v[20:21]
	v_fma_f64 v[26:27], v[2:3], v[26:27], -v[28:29]
	ds_load_b128 v[2:5], v1 offset:1232
	s_waitcnt vmcnt(5) lgkmcnt(0)
	v_mul_f64 v[24:25], v[2:3], v[40:41]
	v_mul_f64 v[28:29], v[4:5], v[40:41]
	v_fma_f64 v[40:41], v[8:9], v[30:31], v[176:177]
	v_fma_f64 v[30:31], v[6:7], v[30:31], -v[32:33]
	ds_load_b128 v[6:9], v1 offset:1248
	v_add_f64 v[20:21], v[22:23], v[20:21]
	v_add_f64 v[18:19], v[18:19], v[26:27]
	v_fma_f64 v[24:25], v[4:5], v[38:39], v[24:25]
	v_fma_f64 v[28:29], v[2:3], v[38:39], -v[28:29]
	ds_load_b128 v[2:5], v1 offset:1264
	s_waitcnt vmcnt(4) lgkmcnt(1)
	v_mul_f64 v[22:23], v[6:7], v[172:173]
	v_mul_f64 v[26:27], v[8:9], v[172:173]
	v_add_f64 v[20:21], v[20:21], v[40:41]
	v_add_f64 v[18:19], v[18:19], v[30:31]
	s_waitcnt vmcnt(3) lgkmcnt(0)
	v_mul_f64 v[30:31], v[2:3], v[36:37]
	v_mul_f64 v[32:33], v[4:5], v[36:37]
	v_fma_f64 v[22:23], v[8:9], v[170:171], v[22:23]
	v_fma_f64 v[26:27], v[6:7], v[170:171], -v[26:27]
	ds_load_b128 v[6:9], v1 offset:1280
	v_add_f64 v[20:21], v[20:21], v[24:25]
	v_add_f64 v[18:19], v[18:19], v[28:29]
	v_fma_f64 v[30:31], v[4:5], v[34:35], v[30:31]
	v_fma_f64 v[32:33], v[2:3], v[34:35], -v[32:33]
	ds_load_b128 v[2:5], v1 offset:1296
	s_waitcnt vmcnt(2) lgkmcnt(1)
	v_mul_f64 v[24:25], v[6:7], v[168:169]
	v_mul_f64 v[28:29], v[8:9], v[168:169]
	v_add_f64 v[20:21], v[20:21], v[22:23]
	v_add_f64 v[18:19], v[18:19], v[26:27]
	s_waitcnt vmcnt(1) lgkmcnt(0)
	v_mul_f64 v[22:23], v[2:3], v[12:13]
	v_mul_f64 v[12:13], v[4:5], v[12:13]
	v_fma_f64 v[8:9], v[8:9], v[166:167], v[24:25]
	v_fma_f64 v[6:7], v[6:7], v[166:167], -v[28:29]
	v_add_f64 v[20:21], v[20:21], v[30:31]
	v_add_f64 v[18:19], v[18:19], v[32:33]
	v_fma_f64 v[4:5], v[4:5], v[10:11], v[22:23]
	v_fma_f64 v[2:3], v[2:3], v[10:11], -v[12:13]
	s_delay_alu instid0(VALU_DEP_4) | instskip(NEXT) | instid1(VALU_DEP_4)
	v_add_f64 v[8:9], v[20:21], v[8:9]
	v_add_f64 v[6:7], v[18:19], v[6:7]
	s_delay_alu instid0(VALU_DEP_2) | instskip(NEXT) | instid1(VALU_DEP_2)
	v_add_f64 v[4:5], v[8:9], v[4:5]
	v_add_f64 v[2:3], v[6:7], v[2:3]
	s_waitcnt vmcnt(0)
	s_delay_alu instid0(VALU_DEP_2) | instskip(NEXT) | instid1(VALU_DEP_2)
	v_add_f64 v[4:5], v[16:17], -v[4:5]
	v_add_f64 v[2:3], v[14:15], -v[2:3]
	scratch_store_b128 off, v[2:5], off offset:272
	v_cmpx_lt_u32_e32 16, v124
	s_cbranch_execz .LBB40_227
; %bb.226:
	scratch_load_b128 v[5:8], v153, off
	v_mov_b32_e32 v2, v1
	v_mov_b32_e32 v3, v1
	;; [unrolled: 1-line block ×3, first 2 shown]
	scratch_store_b128 off, v[1:4], off offset:256
	s_waitcnt vmcnt(0)
	ds_store_b128 v165, v[5:8]
.LBB40_227:
	s_or_b32 exec_lo, exec_lo, s2
	s_waitcnt lgkmcnt(0)
	s_waitcnt_vscnt null, 0x0
	s_barrier
	buffer_gl0_inv
	s_clause 0x7
	scratch_load_b128 v[2:5], off, off offset:272
	scratch_load_b128 v[6:9], off, off offset:288
	;; [unrolled: 1-line block ×8, first 2 shown]
	ds_load_b128 v[34:37], v1 offset:928
	ds_load_b128 v[166:169], v1 offset:944
	s_clause 0x1
	scratch_load_b128 v[38:41], off, off offset:400
	scratch_load_b128 v[170:173], off, off offset:416
	s_mov_b32 s2, exec_lo
	s_waitcnt vmcnt(9) lgkmcnt(1)
	v_mul_f64 v[174:175], v[36:37], v[4:5]
	v_mul_f64 v[4:5], v[34:35], v[4:5]
	s_waitcnt vmcnt(8) lgkmcnt(0)
	v_mul_f64 v[176:177], v[166:167], v[8:9]
	v_mul_f64 v[8:9], v[168:169], v[8:9]
	s_delay_alu instid0(VALU_DEP_4) | instskip(NEXT) | instid1(VALU_DEP_4)
	v_fma_f64 v[174:175], v[34:35], v[2:3], -v[174:175]
	v_fma_f64 v[178:179], v[36:37], v[2:3], v[4:5]
	ds_load_b128 v[2:5], v1 offset:960
	scratch_load_b128 v[34:37], off, off offset:432
	v_fma_f64 v[176:177], v[168:169], v[6:7], v[176:177]
	v_fma_f64 v[182:183], v[166:167], v[6:7], -v[8:9]
	scratch_load_b128 v[166:169], off, off offset:448
	ds_load_b128 v[6:9], v1 offset:976
	s_waitcnt vmcnt(9) lgkmcnt(1)
	v_mul_f64 v[180:181], v[2:3], v[12:13]
	v_mul_f64 v[12:13], v[4:5], v[12:13]
	s_waitcnt vmcnt(8) lgkmcnt(0)
	v_mul_f64 v[184:185], v[6:7], v[16:17]
	v_mul_f64 v[16:17], v[8:9], v[16:17]
	v_add_f64 v[174:175], v[174:175], 0
	v_add_f64 v[178:179], v[178:179], 0
	v_fma_f64 v[180:181], v[4:5], v[10:11], v[180:181]
	v_fma_f64 v[186:187], v[2:3], v[10:11], -v[12:13]
	ds_load_b128 v[2:5], v1 offset:992
	scratch_load_b128 v[10:13], off, off offset:464
	v_add_f64 v[174:175], v[174:175], v[182:183]
	v_add_f64 v[176:177], v[178:179], v[176:177]
	v_fma_f64 v[182:183], v[8:9], v[14:15], v[184:185]
	v_fma_f64 v[184:185], v[6:7], v[14:15], -v[16:17]
	scratch_load_b128 v[14:17], off, off offset:480
	ds_load_b128 v[6:9], v1 offset:1008
	s_waitcnt vmcnt(9) lgkmcnt(1)
	v_mul_f64 v[178:179], v[2:3], v[20:21]
	v_mul_f64 v[20:21], v[4:5], v[20:21]
	v_add_f64 v[174:175], v[174:175], v[186:187]
	v_add_f64 v[176:177], v[176:177], v[180:181]
	s_waitcnt vmcnt(8) lgkmcnt(0)
	v_mul_f64 v[180:181], v[6:7], v[24:25]
	v_mul_f64 v[24:25], v[8:9], v[24:25]
	v_fma_f64 v[178:179], v[4:5], v[18:19], v[178:179]
	v_fma_f64 v[186:187], v[2:3], v[18:19], -v[20:21]
	ds_load_b128 v[2:5], v1 offset:1024
	scratch_load_b128 v[18:21], off, off offset:496
	v_add_f64 v[174:175], v[174:175], v[184:185]
	v_add_f64 v[176:177], v[176:177], v[182:183]
	v_fma_f64 v[180:181], v[8:9], v[22:23], v[180:181]
	v_fma_f64 v[184:185], v[6:7], v[22:23], -v[24:25]
	scratch_load_b128 v[22:25], off, off offset:512
	ds_load_b128 v[6:9], v1 offset:1040
	s_waitcnt vmcnt(9) lgkmcnt(1)
	v_mul_f64 v[182:183], v[2:3], v[28:29]
	v_mul_f64 v[28:29], v[4:5], v[28:29]
	v_add_f64 v[174:175], v[174:175], v[186:187]
	v_add_f64 v[176:177], v[176:177], v[178:179]
	s_waitcnt vmcnt(8) lgkmcnt(0)
	v_mul_f64 v[178:179], v[6:7], v[32:33]
	v_mul_f64 v[32:33], v[8:9], v[32:33]
	v_fma_f64 v[182:183], v[4:5], v[26:27], v[182:183]
	v_fma_f64 v[186:187], v[2:3], v[26:27], -v[28:29]
	ds_load_b128 v[2:5], v1 offset:1056
	scratch_load_b128 v[26:29], off, off offset:528
	v_add_f64 v[174:175], v[174:175], v[184:185]
	v_add_f64 v[176:177], v[176:177], v[180:181]
	v_fma_f64 v[178:179], v[8:9], v[30:31], v[178:179]
	v_fma_f64 v[184:185], v[6:7], v[30:31], -v[32:33]
	ds_load_b128 v[6:9], v1 offset:1072
	s_waitcnt vmcnt(8) lgkmcnt(1)
	v_mul_f64 v[180:181], v[2:3], v[40:41]
	v_mul_f64 v[40:41], v[4:5], v[40:41]
	scratch_load_b128 v[30:33], off, off offset:544
	v_add_f64 v[174:175], v[174:175], v[186:187]
	v_add_f64 v[176:177], v[176:177], v[182:183]
	s_waitcnt vmcnt(8) lgkmcnt(0)
	v_mul_f64 v[182:183], v[6:7], v[172:173]
	v_mul_f64 v[172:173], v[8:9], v[172:173]
	v_fma_f64 v[180:181], v[4:5], v[38:39], v[180:181]
	v_fma_f64 v[186:187], v[2:3], v[38:39], -v[40:41]
	ds_load_b128 v[2:5], v1 offset:1088
	scratch_load_b128 v[38:41], off, off offset:560
	v_add_f64 v[174:175], v[174:175], v[184:185]
	v_add_f64 v[176:177], v[176:177], v[178:179]
	v_fma_f64 v[182:183], v[8:9], v[170:171], v[182:183]
	v_fma_f64 v[184:185], v[6:7], v[170:171], -v[172:173]
	ds_load_b128 v[6:9], v1 offset:1104
	scratch_load_b128 v[170:173], off, off offset:576
	s_waitcnt vmcnt(9) lgkmcnt(1)
	v_mul_f64 v[178:179], v[2:3], v[36:37]
	v_mul_f64 v[36:37], v[4:5], v[36:37]
	v_add_f64 v[174:175], v[174:175], v[186:187]
	v_add_f64 v[176:177], v[176:177], v[180:181]
	s_waitcnt vmcnt(8) lgkmcnt(0)
	v_mul_f64 v[180:181], v[6:7], v[168:169]
	v_mul_f64 v[168:169], v[8:9], v[168:169]
	v_fma_f64 v[178:179], v[4:5], v[34:35], v[178:179]
	v_fma_f64 v[186:187], v[2:3], v[34:35], -v[36:37]
	scratch_load_b128 v[34:37], off, off offset:592
	ds_load_b128 v[2:5], v1 offset:1120
	v_add_f64 v[174:175], v[174:175], v[184:185]
	v_add_f64 v[176:177], v[176:177], v[182:183]
	v_fma_f64 v[180:181], v[8:9], v[166:167], v[180:181]
	v_fma_f64 v[184:185], v[6:7], v[166:167], -v[168:169]
	ds_load_b128 v[6:9], v1 offset:1136
	s_waitcnt vmcnt(8) lgkmcnt(1)
	v_mul_f64 v[182:183], v[2:3], v[12:13]
	v_mul_f64 v[12:13], v[4:5], v[12:13]
	scratch_load_b128 v[166:169], off, off offset:608
	v_add_f64 v[174:175], v[174:175], v[186:187]
	v_add_f64 v[176:177], v[176:177], v[178:179]
	s_waitcnt vmcnt(8) lgkmcnt(0)
	v_mul_f64 v[178:179], v[6:7], v[16:17]
	v_mul_f64 v[16:17], v[8:9], v[16:17]
	v_fma_f64 v[182:183], v[4:5], v[10:11], v[182:183]
	v_fma_f64 v[186:187], v[2:3], v[10:11], -v[12:13]
	scratch_load_b128 v[10:13], off, off offset:624
	ds_load_b128 v[2:5], v1 offset:1152
	v_add_f64 v[174:175], v[174:175], v[184:185]
	v_add_f64 v[176:177], v[176:177], v[180:181]
	v_fma_f64 v[178:179], v[8:9], v[14:15], v[178:179]
	v_fma_f64 v[184:185], v[6:7], v[14:15], -v[16:17]
	ds_load_b128 v[6:9], v1 offset:1168
	s_waitcnt vmcnt(8) lgkmcnt(1)
	v_mul_f64 v[180:181], v[2:3], v[20:21]
	v_mul_f64 v[20:21], v[4:5], v[20:21]
	scratch_load_b128 v[14:17], off, off offset:640
	v_add_f64 v[174:175], v[174:175], v[186:187]
	v_add_f64 v[176:177], v[176:177], v[182:183]
	s_waitcnt vmcnt(8) lgkmcnt(0)
	v_mul_f64 v[182:183], v[6:7], v[24:25]
	v_mul_f64 v[24:25], v[8:9], v[24:25]
	v_fma_f64 v[180:181], v[4:5], v[18:19], v[180:181]
	v_fma_f64 v[18:19], v[2:3], v[18:19], -v[20:21]
	ds_load_b128 v[2:5], v1 offset:1184
	v_add_f64 v[20:21], v[174:175], v[184:185]
	v_add_f64 v[174:175], v[176:177], v[178:179]
	v_fma_f64 v[178:179], v[8:9], v[22:23], v[182:183]
	v_fma_f64 v[22:23], v[6:7], v[22:23], -v[24:25]
	ds_load_b128 v[6:9], v1 offset:1200
	s_waitcnt vmcnt(7) lgkmcnt(1)
	v_mul_f64 v[176:177], v[2:3], v[28:29]
	v_mul_f64 v[28:29], v[4:5], v[28:29]
	v_add_f64 v[18:19], v[20:21], v[18:19]
	v_add_f64 v[20:21], v[174:175], v[180:181]
	s_delay_alu instid0(VALU_DEP_4) | instskip(NEXT) | instid1(VALU_DEP_4)
	v_fma_f64 v[174:175], v[4:5], v[26:27], v[176:177]
	v_fma_f64 v[26:27], v[2:3], v[26:27], -v[28:29]
	ds_load_b128 v[2:5], v1 offset:1216
	v_add_f64 v[22:23], v[18:19], v[22:23]
	v_add_f64 v[28:29], v[20:21], v[178:179]
	scratch_load_b128 v[18:21], off, off offset:256
	s_waitcnt vmcnt(7) lgkmcnt(1)
	v_mul_f64 v[24:25], v[6:7], v[32:33]
	v_mul_f64 v[32:33], v[8:9], v[32:33]
	v_add_f64 v[22:23], v[22:23], v[26:27]
	v_add_f64 v[26:27], v[28:29], v[174:175]
	s_delay_alu instid0(VALU_DEP_4) | instskip(NEXT) | instid1(VALU_DEP_4)
	v_fma_f64 v[24:25], v[8:9], v[30:31], v[24:25]
	v_fma_f64 v[30:31], v[6:7], v[30:31], -v[32:33]
	ds_load_b128 v[6:9], v1 offset:1232
	s_waitcnt vmcnt(6) lgkmcnt(1)
	v_mul_f64 v[176:177], v[2:3], v[40:41]
	v_mul_f64 v[40:41], v[4:5], v[40:41]
	s_waitcnt vmcnt(5) lgkmcnt(0)
	v_mul_f64 v[28:29], v[6:7], v[172:173]
	v_mul_f64 v[32:33], v[8:9], v[172:173]
	v_add_f64 v[24:25], v[26:27], v[24:25]
	v_add_f64 v[22:23], v[22:23], v[30:31]
	v_fma_f64 v[172:173], v[4:5], v[38:39], v[176:177]
	v_fma_f64 v[38:39], v[2:3], v[38:39], -v[40:41]
	ds_load_b128 v[2:5], v1 offset:1248
	v_fma_f64 v[28:29], v[8:9], v[170:171], v[28:29]
	v_fma_f64 v[32:33], v[6:7], v[170:171], -v[32:33]
	ds_load_b128 v[6:9], v1 offset:1264
	s_waitcnt vmcnt(4) lgkmcnt(1)
	v_mul_f64 v[26:27], v[2:3], v[36:37]
	v_mul_f64 v[30:31], v[4:5], v[36:37]
	v_add_f64 v[24:25], v[24:25], v[172:173]
	v_add_f64 v[22:23], v[22:23], v[38:39]
	s_waitcnt vmcnt(3) lgkmcnt(0)
	v_mul_f64 v[36:37], v[6:7], v[168:169]
	v_mul_f64 v[38:39], v[8:9], v[168:169]
	v_fma_f64 v[26:27], v[4:5], v[34:35], v[26:27]
	v_fma_f64 v[30:31], v[2:3], v[34:35], -v[30:31]
	ds_load_b128 v[2:5], v1 offset:1280
	v_add_f64 v[24:25], v[24:25], v[28:29]
	v_add_f64 v[22:23], v[22:23], v[32:33]
	v_fma_f64 v[32:33], v[8:9], v[166:167], v[36:37]
	v_fma_f64 v[34:35], v[6:7], v[166:167], -v[38:39]
	ds_load_b128 v[6:9], v1 offset:1296
	s_waitcnt vmcnt(2) lgkmcnt(1)
	v_mul_f64 v[28:29], v[2:3], v[12:13]
	v_mul_f64 v[12:13], v[4:5], v[12:13]
	v_add_f64 v[24:25], v[24:25], v[26:27]
	v_add_f64 v[22:23], v[22:23], v[30:31]
	s_waitcnt vmcnt(1) lgkmcnt(0)
	v_mul_f64 v[26:27], v[6:7], v[16:17]
	v_mul_f64 v[16:17], v[8:9], v[16:17]
	v_fma_f64 v[4:5], v[4:5], v[10:11], v[28:29]
	v_fma_f64 v[1:2], v[2:3], v[10:11], -v[12:13]
	v_add_f64 v[12:13], v[24:25], v[32:33]
	v_add_f64 v[10:11], v[22:23], v[34:35]
	v_fma_f64 v[8:9], v[8:9], v[14:15], v[26:27]
	v_fma_f64 v[6:7], v[6:7], v[14:15], -v[16:17]
	s_delay_alu instid0(VALU_DEP_4) | instskip(NEXT) | instid1(VALU_DEP_4)
	v_add_f64 v[3:4], v[12:13], v[4:5]
	v_add_f64 v[1:2], v[10:11], v[1:2]
	s_delay_alu instid0(VALU_DEP_2) | instskip(NEXT) | instid1(VALU_DEP_2)
	v_add_f64 v[3:4], v[3:4], v[8:9]
	v_add_f64 v[1:2], v[1:2], v[6:7]
	s_waitcnt vmcnt(0)
	s_delay_alu instid0(VALU_DEP_2) | instskip(NEXT) | instid1(VALU_DEP_2)
	v_add_f64 v[3:4], v[20:21], -v[3:4]
	v_add_f64 v[1:2], v[18:19], -v[1:2]
	scratch_store_b128 off, v[1:4], off offset:256
	v_cmpx_lt_u32_e32 15, v124
	s_cbranch_execz .LBB40_229
; %bb.228:
	scratch_load_b128 v[1:4], v154, off
	v_mov_b32_e32 v5, 0
	s_delay_alu instid0(VALU_DEP_1)
	v_mov_b32_e32 v6, v5
	v_mov_b32_e32 v7, v5
	;; [unrolled: 1-line block ×3, first 2 shown]
	scratch_store_b128 off, v[5:8], off offset:240
	s_waitcnt vmcnt(0)
	ds_store_b128 v165, v[1:4]
.LBB40_229:
	s_or_b32 exec_lo, exec_lo, s2
	s_waitcnt lgkmcnt(0)
	s_waitcnt_vscnt null, 0x0
	s_barrier
	buffer_gl0_inv
	s_clause 0x7
	scratch_load_b128 v[2:5], off, off offset:256
	scratch_load_b128 v[6:9], off, off offset:272
	;; [unrolled: 1-line block ×8, first 2 shown]
	v_mov_b32_e32 v1, 0
	s_clause 0x1
	scratch_load_b128 v[38:41], off, off offset:384
	scratch_load_b128 v[170:173], off, off offset:400
	s_mov_b32 s2, exec_lo
	ds_load_b128 v[34:37], v1 offset:912
	ds_load_b128 v[166:169], v1 offset:928
	s_waitcnt vmcnt(9) lgkmcnt(1)
	v_mul_f64 v[174:175], v[36:37], v[4:5]
	v_mul_f64 v[4:5], v[34:35], v[4:5]
	s_waitcnt vmcnt(8) lgkmcnt(0)
	v_mul_f64 v[176:177], v[166:167], v[8:9]
	v_mul_f64 v[8:9], v[168:169], v[8:9]
	s_delay_alu instid0(VALU_DEP_4) | instskip(NEXT) | instid1(VALU_DEP_4)
	v_fma_f64 v[174:175], v[34:35], v[2:3], -v[174:175]
	v_fma_f64 v[178:179], v[36:37], v[2:3], v[4:5]
	ds_load_b128 v[2:5], v1 offset:944
	scratch_load_b128 v[34:37], off, off offset:416
	v_fma_f64 v[176:177], v[168:169], v[6:7], v[176:177]
	v_fma_f64 v[182:183], v[166:167], v[6:7], -v[8:9]
	scratch_load_b128 v[166:169], off, off offset:432
	ds_load_b128 v[6:9], v1 offset:960
	s_waitcnt vmcnt(9) lgkmcnt(1)
	v_mul_f64 v[180:181], v[2:3], v[12:13]
	v_mul_f64 v[12:13], v[4:5], v[12:13]
	s_waitcnt vmcnt(8) lgkmcnt(0)
	v_mul_f64 v[184:185], v[6:7], v[16:17]
	v_mul_f64 v[16:17], v[8:9], v[16:17]
	v_add_f64 v[174:175], v[174:175], 0
	v_add_f64 v[178:179], v[178:179], 0
	v_fma_f64 v[180:181], v[4:5], v[10:11], v[180:181]
	v_fma_f64 v[186:187], v[2:3], v[10:11], -v[12:13]
	ds_load_b128 v[2:5], v1 offset:976
	scratch_load_b128 v[10:13], off, off offset:448
	v_add_f64 v[174:175], v[174:175], v[182:183]
	v_add_f64 v[176:177], v[178:179], v[176:177]
	v_fma_f64 v[182:183], v[8:9], v[14:15], v[184:185]
	v_fma_f64 v[184:185], v[6:7], v[14:15], -v[16:17]
	scratch_load_b128 v[14:17], off, off offset:464
	ds_load_b128 v[6:9], v1 offset:992
	s_waitcnt vmcnt(9) lgkmcnt(1)
	v_mul_f64 v[178:179], v[2:3], v[20:21]
	v_mul_f64 v[20:21], v[4:5], v[20:21]
	v_add_f64 v[174:175], v[174:175], v[186:187]
	v_add_f64 v[176:177], v[176:177], v[180:181]
	s_waitcnt vmcnt(8) lgkmcnt(0)
	v_mul_f64 v[180:181], v[6:7], v[24:25]
	v_mul_f64 v[24:25], v[8:9], v[24:25]
	v_fma_f64 v[178:179], v[4:5], v[18:19], v[178:179]
	v_fma_f64 v[186:187], v[2:3], v[18:19], -v[20:21]
	ds_load_b128 v[2:5], v1 offset:1008
	scratch_load_b128 v[18:21], off, off offset:480
	v_add_f64 v[174:175], v[174:175], v[184:185]
	v_add_f64 v[176:177], v[176:177], v[182:183]
	v_fma_f64 v[180:181], v[8:9], v[22:23], v[180:181]
	v_fma_f64 v[184:185], v[6:7], v[22:23], -v[24:25]
	scratch_load_b128 v[22:25], off, off offset:496
	ds_load_b128 v[6:9], v1 offset:1024
	s_waitcnt vmcnt(9) lgkmcnt(1)
	v_mul_f64 v[182:183], v[2:3], v[28:29]
	v_mul_f64 v[28:29], v[4:5], v[28:29]
	v_add_f64 v[174:175], v[174:175], v[186:187]
	v_add_f64 v[176:177], v[176:177], v[178:179]
	s_waitcnt vmcnt(8) lgkmcnt(0)
	v_mul_f64 v[178:179], v[6:7], v[32:33]
	v_mul_f64 v[32:33], v[8:9], v[32:33]
	;; [unrolled: 18-line block ×3, first 2 shown]
	v_fma_f64 v[180:181], v[4:5], v[38:39], v[180:181]
	v_fma_f64 v[186:187], v[2:3], v[38:39], -v[40:41]
	ds_load_b128 v[2:5], v1 offset:1072
	scratch_load_b128 v[38:41], off, off offset:544
	v_add_f64 v[174:175], v[174:175], v[184:185]
	v_add_f64 v[176:177], v[176:177], v[178:179]
	v_fma_f64 v[182:183], v[8:9], v[170:171], v[182:183]
	v_fma_f64 v[184:185], v[6:7], v[170:171], -v[172:173]
	ds_load_b128 v[6:9], v1 offset:1088
	scratch_load_b128 v[170:173], off, off offset:560
	s_waitcnt vmcnt(9) lgkmcnt(1)
	v_mul_f64 v[178:179], v[2:3], v[36:37]
	v_mul_f64 v[36:37], v[4:5], v[36:37]
	v_add_f64 v[174:175], v[174:175], v[186:187]
	v_add_f64 v[176:177], v[176:177], v[180:181]
	s_waitcnt vmcnt(8) lgkmcnt(0)
	v_mul_f64 v[180:181], v[6:7], v[168:169]
	v_mul_f64 v[168:169], v[8:9], v[168:169]
	v_fma_f64 v[178:179], v[4:5], v[34:35], v[178:179]
	v_fma_f64 v[186:187], v[2:3], v[34:35], -v[36:37]
	scratch_load_b128 v[34:37], off, off offset:576
	ds_load_b128 v[2:5], v1 offset:1104
	v_add_f64 v[174:175], v[174:175], v[184:185]
	v_add_f64 v[176:177], v[176:177], v[182:183]
	v_fma_f64 v[180:181], v[8:9], v[166:167], v[180:181]
	v_fma_f64 v[184:185], v[6:7], v[166:167], -v[168:169]
	ds_load_b128 v[6:9], v1 offset:1120
	s_waitcnt vmcnt(8) lgkmcnt(1)
	v_mul_f64 v[182:183], v[2:3], v[12:13]
	v_mul_f64 v[12:13], v[4:5], v[12:13]
	scratch_load_b128 v[166:169], off, off offset:592
	v_add_f64 v[174:175], v[174:175], v[186:187]
	v_add_f64 v[176:177], v[176:177], v[178:179]
	s_waitcnt vmcnt(8) lgkmcnt(0)
	v_mul_f64 v[178:179], v[6:7], v[16:17]
	v_mul_f64 v[16:17], v[8:9], v[16:17]
	v_fma_f64 v[182:183], v[4:5], v[10:11], v[182:183]
	v_fma_f64 v[186:187], v[2:3], v[10:11], -v[12:13]
	scratch_load_b128 v[10:13], off, off offset:608
	ds_load_b128 v[2:5], v1 offset:1136
	v_add_f64 v[174:175], v[174:175], v[184:185]
	v_add_f64 v[176:177], v[176:177], v[180:181]
	v_fma_f64 v[178:179], v[8:9], v[14:15], v[178:179]
	v_fma_f64 v[184:185], v[6:7], v[14:15], -v[16:17]
	ds_load_b128 v[6:9], v1 offset:1152
	s_waitcnt vmcnt(8) lgkmcnt(1)
	v_mul_f64 v[180:181], v[2:3], v[20:21]
	v_mul_f64 v[20:21], v[4:5], v[20:21]
	scratch_load_b128 v[14:17], off, off offset:624
	v_add_f64 v[174:175], v[174:175], v[186:187]
	v_add_f64 v[176:177], v[176:177], v[182:183]
	s_waitcnt vmcnt(8) lgkmcnt(0)
	v_mul_f64 v[182:183], v[6:7], v[24:25]
	v_mul_f64 v[24:25], v[8:9], v[24:25]
	v_fma_f64 v[180:181], v[4:5], v[18:19], v[180:181]
	v_fma_f64 v[186:187], v[2:3], v[18:19], -v[20:21]
	scratch_load_b128 v[18:21], off, off offset:640
	ds_load_b128 v[2:5], v1 offset:1168
	v_add_f64 v[174:175], v[174:175], v[184:185]
	v_add_f64 v[176:177], v[176:177], v[178:179]
	v_fma_f64 v[182:183], v[8:9], v[22:23], v[182:183]
	v_fma_f64 v[22:23], v[6:7], v[22:23], -v[24:25]
	ds_load_b128 v[6:9], v1 offset:1184
	s_waitcnt vmcnt(8) lgkmcnt(1)
	v_mul_f64 v[178:179], v[2:3], v[28:29]
	v_mul_f64 v[28:29], v[4:5], v[28:29]
	v_add_f64 v[24:25], v[174:175], v[186:187]
	v_add_f64 v[174:175], v[176:177], v[180:181]
	s_waitcnt vmcnt(7) lgkmcnt(0)
	v_mul_f64 v[176:177], v[6:7], v[32:33]
	v_mul_f64 v[32:33], v[8:9], v[32:33]
	v_fma_f64 v[178:179], v[4:5], v[26:27], v[178:179]
	v_fma_f64 v[26:27], v[2:3], v[26:27], -v[28:29]
	ds_load_b128 v[2:5], v1 offset:1200
	v_add_f64 v[22:23], v[24:25], v[22:23]
	v_add_f64 v[24:25], v[174:175], v[182:183]
	v_fma_f64 v[174:175], v[8:9], v[30:31], v[176:177]
	v_fma_f64 v[30:31], v[6:7], v[30:31], -v[32:33]
	ds_load_b128 v[6:9], v1 offset:1216
	s_waitcnt vmcnt(5) lgkmcnt(0)
	v_mul_f64 v[176:177], v[6:7], v[172:173]
	v_mul_f64 v[172:173], v[8:9], v[172:173]
	v_add_f64 v[26:27], v[22:23], v[26:27]
	v_add_f64 v[32:33], v[24:25], v[178:179]
	scratch_load_b128 v[22:25], off, off offset:240
	v_mul_f64 v[28:29], v[2:3], v[40:41]
	v_mul_f64 v[40:41], v[4:5], v[40:41]
	v_add_f64 v[26:27], v[26:27], v[30:31]
	v_add_f64 v[30:31], v[32:33], v[174:175]
	s_delay_alu instid0(VALU_DEP_4) | instskip(NEXT) | instid1(VALU_DEP_4)
	v_fma_f64 v[28:29], v[4:5], v[38:39], v[28:29]
	v_fma_f64 v[38:39], v[2:3], v[38:39], -v[40:41]
	ds_load_b128 v[2:5], v1 offset:1232
	v_fma_f64 v[40:41], v[8:9], v[170:171], v[176:177]
	v_fma_f64 v[170:171], v[6:7], v[170:171], -v[172:173]
	ds_load_b128 v[6:9], v1 offset:1248
	s_waitcnt vmcnt(5) lgkmcnt(1)
	v_mul_f64 v[32:33], v[2:3], v[36:37]
	v_mul_f64 v[36:37], v[4:5], v[36:37]
	v_add_f64 v[28:29], v[30:31], v[28:29]
	v_add_f64 v[26:27], v[26:27], v[38:39]
	s_waitcnt vmcnt(4) lgkmcnt(0)
	v_mul_f64 v[30:31], v[6:7], v[168:169]
	v_mul_f64 v[38:39], v[8:9], v[168:169]
	v_fma_f64 v[32:33], v[4:5], v[34:35], v[32:33]
	v_fma_f64 v[34:35], v[2:3], v[34:35], -v[36:37]
	ds_load_b128 v[2:5], v1 offset:1264
	v_add_f64 v[28:29], v[28:29], v[40:41]
	v_add_f64 v[26:27], v[26:27], v[170:171]
	v_fma_f64 v[30:31], v[8:9], v[166:167], v[30:31]
	v_fma_f64 v[38:39], v[6:7], v[166:167], -v[38:39]
	ds_load_b128 v[6:9], v1 offset:1280
	s_waitcnt vmcnt(3) lgkmcnt(1)
	v_mul_f64 v[36:37], v[2:3], v[12:13]
	v_mul_f64 v[12:13], v[4:5], v[12:13]
	v_add_f64 v[28:29], v[28:29], v[32:33]
	v_add_f64 v[26:27], v[26:27], v[34:35]
	s_waitcnt vmcnt(2) lgkmcnt(0)
	v_mul_f64 v[32:33], v[6:7], v[16:17]
	v_mul_f64 v[16:17], v[8:9], v[16:17]
	v_fma_f64 v[34:35], v[4:5], v[10:11], v[36:37]
	v_fma_f64 v[10:11], v[2:3], v[10:11], -v[12:13]
	ds_load_b128 v[2:5], v1 offset:1296
	v_add_f64 v[12:13], v[26:27], v[38:39]
	v_add_f64 v[26:27], v[28:29], v[30:31]
	s_waitcnt vmcnt(1) lgkmcnt(0)
	v_mul_f64 v[28:29], v[2:3], v[20:21]
	v_mul_f64 v[20:21], v[4:5], v[20:21]
	v_fma_f64 v[8:9], v[8:9], v[14:15], v[32:33]
	v_fma_f64 v[6:7], v[6:7], v[14:15], -v[16:17]
	v_add_f64 v[10:11], v[12:13], v[10:11]
	v_add_f64 v[12:13], v[26:27], v[34:35]
	v_fma_f64 v[4:5], v[4:5], v[18:19], v[28:29]
	v_fma_f64 v[2:3], v[2:3], v[18:19], -v[20:21]
	s_delay_alu instid0(VALU_DEP_4) | instskip(NEXT) | instid1(VALU_DEP_4)
	v_add_f64 v[6:7], v[10:11], v[6:7]
	v_add_f64 v[8:9], v[12:13], v[8:9]
	s_delay_alu instid0(VALU_DEP_2) | instskip(NEXT) | instid1(VALU_DEP_2)
	v_add_f64 v[2:3], v[6:7], v[2:3]
	v_add_f64 v[4:5], v[8:9], v[4:5]
	s_waitcnt vmcnt(0)
	s_delay_alu instid0(VALU_DEP_2) | instskip(NEXT) | instid1(VALU_DEP_2)
	v_add_f64 v[2:3], v[22:23], -v[2:3]
	v_add_f64 v[4:5], v[24:25], -v[4:5]
	scratch_store_b128 off, v[2:5], off offset:240
	v_cmpx_lt_u32_e32 14, v124
	s_cbranch_execz .LBB40_231
; %bb.230:
	scratch_load_b128 v[5:8], v155, off
	v_mov_b32_e32 v2, v1
	v_mov_b32_e32 v3, v1
	;; [unrolled: 1-line block ×3, first 2 shown]
	scratch_store_b128 off, v[1:4], off offset:224
	s_waitcnt vmcnt(0)
	ds_store_b128 v165, v[5:8]
.LBB40_231:
	s_or_b32 exec_lo, exec_lo, s2
	s_waitcnt lgkmcnt(0)
	s_waitcnt_vscnt null, 0x0
	s_barrier
	buffer_gl0_inv
	s_clause 0x7
	scratch_load_b128 v[2:5], off, off offset:240
	scratch_load_b128 v[6:9], off, off offset:256
	;; [unrolled: 1-line block ×8, first 2 shown]
	ds_load_b128 v[38:41], v1 offset:896
	ds_load_b128 v[166:169], v1 offset:912
	s_clause 0x1
	scratch_load_b128 v[34:37], off, off offset:368
	scratch_load_b128 v[170:173], off, off offset:384
	s_mov_b32 s2, exec_lo
	s_waitcnt vmcnt(9) lgkmcnt(1)
	v_mul_f64 v[174:175], v[40:41], v[4:5]
	v_mul_f64 v[4:5], v[38:39], v[4:5]
	s_waitcnt vmcnt(8) lgkmcnt(0)
	v_mul_f64 v[176:177], v[166:167], v[8:9]
	v_mul_f64 v[8:9], v[168:169], v[8:9]
	s_delay_alu instid0(VALU_DEP_4) | instskip(NEXT) | instid1(VALU_DEP_4)
	v_fma_f64 v[174:175], v[38:39], v[2:3], -v[174:175]
	v_fma_f64 v[178:179], v[40:41], v[2:3], v[4:5]
	ds_load_b128 v[2:5], v1 offset:928
	scratch_load_b128 v[38:41], off, off offset:400
	v_fma_f64 v[176:177], v[168:169], v[6:7], v[176:177]
	v_fma_f64 v[182:183], v[166:167], v[6:7], -v[8:9]
	scratch_load_b128 v[166:169], off, off offset:416
	ds_load_b128 v[6:9], v1 offset:944
	s_waitcnt vmcnt(9) lgkmcnt(1)
	v_mul_f64 v[180:181], v[2:3], v[12:13]
	v_mul_f64 v[12:13], v[4:5], v[12:13]
	s_waitcnt vmcnt(8) lgkmcnt(0)
	v_mul_f64 v[184:185], v[6:7], v[16:17]
	v_mul_f64 v[16:17], v[8:9], v[16:17]
	v_add_f64 v[174:175], v[174:175], 0
	v_add_f64 v[178:179], v[178:179], 0
	v_fma_f64 v[180:181], v[4:5], v[10:11], v[180:181]
	v_fma_f64 v[186:187], v[2:3], v[10:11], -v[12:13]
	ds_load_b128 v[2:5], v1 offset:960
	scratch_load_b128 v[10:13], off, off offset:432
	v_add_f64 v[174:175], v[174:175], v[182:183]
	v_add_f64 v[176:177], v[178:179], v[176:177]
	v_fma_f64 v[182:183], v[8:9], v[14:15], v[184:185]
	v_fma_f64 v[184:185], v[6:7], v[14:15], -v[16:17]
	scratch_load_b128 v[14:17], off, off offset:448
	ds_load_b128 v[6:9], v1 offset:976
	s_waitcnt vmcnt(9) lgkmcnt(1)
	v_mul_f64 v[178:179], v[2:3], v[20:21]
	v_mul_f64 v[20:21], v[4:5], v[20:21]
	v_add_f64 v[174:175], v[174:175], v[186:187]
	v_add_f64 v[176:177], v[176:177], v[180:181]
	s_waitcnt vmcnt(8) lgkmcnt(0)
	v_mul_f64 v[180:181], v[6:7], v[24:25]
	v_mul_f64 v[24:25], v[8:9], v[24:25]
	v_fma_f64 v[178:179], v[4:5], v[18:19], v[178:179]
	v_fma_f64 v[186:187], v[2:3], v[18:19], -v[20:21]
	ds_load_b128 v[2:5], v1 offset:992
	scratch_load_b128 v[18:21], off, off offset:464
	v_add_f64 v[174:175], v[174:175], v[184:185]
	v_add_f64 v[176:177], v[176:177], v[182:183]
	v_fma_f64 v[180:181], v[8:9], v[22:23], v[180:181]
	v_fma_f64 v[184:185], v[6:7], v[22:23], -v[24:25]
	scratch_load_b128 v[22:25], off, off offset:480
	ds_load_b128 v[6:9], v1 offset:1008
	s_waitcnt vmcnt(9) lgkmcnt(1)
	v_mul_f64 v[182:183], v[2:3], v[28:29]
	v_mul_f64 v[28:29], v[4:5], v[28:29]
	v_add_f64 v[174:175], v[174:175], v[186:187]
	v_add_f64 v[176:177], v[176:177], v[178:179]
	s_waitcnt vmcnt(8) lgkmcnt(0)
	v_mul_f64 v[178:179], v[6:7], v[32:33]
	v_mul_f64 v[32:33], v[8:9], v[32:33]
	v_fma_f64 v[182:183], v[4:5], v[26:27], v[182:183]
	v_fma_f64 v[186:187], v[2:3], v[26:27], -v[28:29]
	ds_load_b128 v[2:5], v1 offset:1024
	scratch_load_b128 v[26:29], off, off offset:496
	v_add_f64 v[174:175], v[174:175], v[184:185]
	v_add_f64 v[176:177], v[176:177], v[180:181]
	v_fma_f64 v[178:179], v[8:9], v[30:31], v[178:179]
	v_fma_f64 v[184:185], v[6:7], v[30:31], -v[32:33]
	scratch_load_b128 v[30:33], off, off offset:512
	ds_load_b128 v[6:9], v1 offset:1040
	s_waitcnt vmcnt(9) lgkmcnt(1)
	v_mul_f64 v[180:181], v[2:3], v[36:37]
	v_mul_f64 v[36:37], v[4:5], v[36:37]
	v_add_f64 v[174:175], v[174:175], v[186:187]
	v_add_f64 v[176:177], v[176:177], v[182:183]
	s_waitcnt vmcnt(8) lgkmcnt(0)
	v_mul_f64 v[182:183], v[6:7], v[172:173]
	v_mul_f64 v[172:173], v[8:9], v[172:173]
	v_fma_f64 v[180:181], v[4:5], v[34:35], v[180:181]
	v_fma_f64 v[186:187], v[2:3], v[34:35], -v[36:37]
	ds_load_b128 v[2:5], v1 offset:1056
	scratch_load_b128 v[34:37], off, off offset:528
	v_add_f64 v[174:175], v[174:175], v[184:185]
	v_add_f64 v[176:177], v[176:177], v[178:179]
	v_fma_f64 v[182:183], v[8:9], v[170:171], v[182:183]
	v_fma_f64 v[184:185], v[6:7], v[170:171], -v[172:173]
	ds_load_b128 v[6:9], v1 offset:1072
	scratch_load_b128 v[170:173], off, off offset:544
	s_waitcnt vmcnt(9) lgkmcnt(1)
	v_mul_f64 v[178:179], v[2:3], v[40:41]
	v_mul_f64 v[40:41], v[4:5], v[40:41]
	v_add_f64 v[174:175], v[174:175], v[186:187]
	v_add_f64 v[176:177], v[176:177], v[180:181]
	s_waitcnt vmcnt(8) lgkmcnt(0)
	v_mul_f64 v[180:181], v[6:7], v[168:169]
	v_mul_f64 v[168:169], v[8:9], v[168:169]
	v_fma_f64 v[178:179], v[4:5], v[38:39], v[178:179]
	v_fma_f64 v[186:187], v[2:3], v[38:39], -v[40:41]
	ds_load_b128 v[2:5], v1 offset:1088
	scratch_load_b128 v[38:41], off, off offset:560
	v_add_f64 v[174:175], v[174:175], v[184:185]
	v_add_f64 v[176:177], v[176:177], v[182:183]
	v_fma_f64 v[180:181], v[8:9], v[166:167], v[180:181]
	v_fma_f64 v[184:185], v[6:7], v[166:167], -v[168:169]
	ds_load_b128 v[6:9], v1 offset:1104
	s_waitcnt vmcnt(8) lgkmcnt(1)
	v_mul_f64 v[182:183], v[2:3], v[12:13]
	v_mul_f64 v[12:13], v[4:5], v[12:13]
	scratch_load_b128 v[166:169], off, off offset:576
	v_add_f64 v[174:175], v[174:175], v[186:187]
	v_add_f64 v[176:177], v[176:177], v[178:179]
	s_waitcnt vmcnt(8) lgkmcnt(0)
	v_mul_f64 v[178:179], v[6:7], v[16:17]
	v_mul_f64 v[16:17], v[8:9], v[16:17]
	v_fma_f64 v[182:183], v[4:5], v[10:11], v[182:183]
	v_fma_f64 v[186:187], v[2:3], v[10:11], -v[12:13]
	scratch_load_b128 v[10:13], off, off offset:592
	ds_load_b128 v[2:5], v1 offset:1120
	v_add_f64 v[174:175], v[174:175], v[184:185]
	v_add_f64 v[176:177], v[176:177], v[180:181]
	v_fma_f64 v[178:179], v[8:9], v[14:15], v[178:179]
	v_fma_f64 v[184:185], v[6:7], v[14:15], -v[16:17]
	ds_load_b128 v[6:9], v1 offset:1136
	s_waitcnt vmcnt(8) lgkmcnt(1)
	v_mul_f64 v[180:181], v[2:3], v[20:21]
	v_mul_f64 v[20:21], v[4:5], v[20:21]
	scratch_load_b128 v[14:17], off, off offset:608
	v_add_f64 v[174:175], v[174:175], v[186:187]
	v_add_f64 v[176:177], v[176:177], v[182:183]
	s_waitcnt vmcnt(8) lgkmcnt(0)
	v_mul_f64 v[182:183], v[6:7], v[24:25]
	v_mul_f64 v[24:25], v[8:9], v[24:25]
	v_fma_f64 v[180:181], v[4:5], v[18:19], v[180:181]
	v_fma_f64 v[186:187], v[2:3], v[18:19], -v[20:21]
	scratch_load_b128 v[18:21], off, off offset:624
	ds_load_b128 v[2:5], v1 offset:1152
	v_add_f64 v[174:175], v[174:175], v[184:185]
	v_add_f64 v[176:177], v[176:177], v[178:179]
	v_fma_f64 v[182:183], v[8:9], v[22:23], v[182:183]
	v_fma_f64 v[184:185], v[6:7], v[22:23], -v[24:25]
	ds_load_b128 v[6:9], v1 offset:1168
	s_waitcnt vmcnt(8) lgkmcnt(1)
	v_mul_f64 v[178:179], v[2:3], v[28:29]
	v_mul_f64 v[28:29], v[4:5], v[28:29]
	scratch_load_b128 v[22:25], off, off offset:640
	v_add_f64 v[174:175], v[174:175], v[186:187]
	v_add_f64 v[176:177], v[176:177], v[180:181]
	s_waitcnt vmcnt(8) lgkmcnt(0)
	v_mul_f64 v[180:181], v[6:7], v[32:33]
	v_mul_f64 v[32:33], v[8:9], v[32:33]
	v_fma_f64 v[178:179], v[4:5], v[26:27], v[178:179]
	v_fma_f64 v[26:27], v[2:3], v[26:27], -v[28:29]
	ds_load_b128 v[2:5], v1 offset:1184
	v_add_f64 v[28:29], v[174:175], v[184:185]
	v_add_f64 v[174:175], v[176:177], v[182:183]
	v_fma_f64 v[180:181], v[8:9], v[30:31], v[180:181]
	v_fma_f64 v[30:31], v[6:7], v[30:31], -v[32:33]
	ds_load_b128 v[6:9], v1 offset:1200
	s_waitcnt vmcnt(7) lgkmcnt(1)
	v_mul_f64 v[176:177], v[2:3], v[36:37]
	v_mul_f64 v[36:37], v[4:5], v[36:37]
	v_add_f64 v[26:27], v[28:29], v[26:27]
	v_add_f64 v[28:29], v[174:175], v[178:179]
	s_delay_alu instid0(VALU_DEP_4) | instskip(NEXT) | instid1(VALU_DEP_4)
	v_fma_f64 v[174:175], v[4:5], v[34:35], v[176:177]
	v_fma_f64 v[34:35], v[2:3], v[34:35], -v[36:37]
	ds_load_b128 v[2:5], v1 offset:1216
	v_add_f64 v[30:31], v[26:27], v[30:31]
	v_add_f64 v[36:37], v[28:29], v[180:181]
	scratch_load_b128 v[26:29], off, off offset:224
	s_waitcnt vmcnt(7) lgkmcnt(1)
	v_mul_f64 v[32:33], v[6:7], v[172:173]
	v_mul_f64 v[172:173], v[8:9], v[172:173]
	v_add_f64 v[30:31], v[30:31], v[34:35]
	v_add_f64 v[34:35], v[36:37], v[174:175]
	s_delay_alu instid0(VALU_DEP_4) | instskip(NEXT) | instid1(VALU_DEP_4)
	v_fma_f64 v[32:33], v[8:9], v[170:171], v[32:33]
	v_fma_f64 v[170:171], v[6:7], v[170:171], -v[172:173]
	ds_load_b128 v[6:9], v1 offset:1232
	s_waitcnt vmcnt(6) lgkmcnt(1)
	v_mul_f64 v[176:177], v[2:3], v[40:41]
	v_mul_f64 v[40:41], v[4:5], v[40:41]
	s_waitcnt vmcnt(5) lgkmcnt(0)
	v_mul_f64 v[36:37], v[6:7], v[168:169]
	v_mul_f64 v[168:169], v[8:9], v[168:169]
	v_add_f64 v[32:33], v[34:35], v[32:33]
	v_add_f64 v[30:31], v[30:31], v[170:171]
	v_fma_f64 v[172:173], v[4:5], v[38:39], v[176:177]
	v_fma_f64 v[38:39], v[2:3], v[38:39], -v[40:41]
	ds_load_b128 v[2:5], v1 offset:1248
	v_fma_f64 v[36:37], v[8:9], v[166:167], v[36:37]
	v_fma_f64 v[40:41], v[6:7], v[166:167], -v[168:169]
	ds_load_b128 v[6:9], v1 offset:1264
	s_waitcnt vmcnt(4) lgkmcnt(1)
	v_mul_f64 v[34:35], v[2:3], v[12:13]
	v_mul_f64 v[12:13], v[4:5], v[12:13]
	v_add_f64 v[32:33], v[32:33], v[172:173]
	v_add_f64 v[30:31], v[30:31], v[38:39]
	s_waitcnt vmcnt(3) lgkmcnt(0)
	v_mul_f64 v[38:39], v[6:7], v[16:17]
	v_mul_f64 v[16:17], v[8:9], v[16:17]
	v_fma_f64 v[34:35], v[4:5], v[10:11], v[34:35]
	v_fma_f64 v[10:11], v[2:3], v[10:11], -v[12:13]
	ds_load_b128 v[2:5], v1 offset:1280
	v_add_f64 v[12:13], v[30:31], v[40:41]
	v_add_f64 v[30:31], v[32:33], v[36:37]
	v_fma_f64 v[36:37], v[8:9], v[14:15], v[38:39]
	v_fma_f64 v[14:15], v[6:7], v[14:15], -v[16:17]
	ds_load_b128 v[6:9], v1 offset:1296
	s_waitcnt vmcnt(2) lgkmcnt(1)
	v_mul_f64 v[32:33], v[2:3], v[20:21]
	v_mul_f64 v[20:21], v[4:5], v[20:21]
	s_waitcnt vmcnt(1) lgkmcnt(0)
	v_mul_f64 v[16:17], v[6:7], v[24:25]
	v_mul_f64 v[24:25], v[8:9], v[24:25]
	v_add_f64 v[10:11], v[12:13], v[10:11]
	v_add_f64 v[12:13], v[30:31], v[34:35]
	v_fma_f64 v[4:5], v[4:5], v[18:19], v[32:33]
	v_fma_f64 v[1:2], v[2:3], v[18:19], -v[20:21]
	v_fma_f64 v[8:9], v[8:9], v[22:23], v[16:17]
	v_fma_f64 v[6:7], v[6:7], v[22:23], -v[24:25]
	v_add_f64 v[10:11], v[10:11], v[14:15]
	v_add_f64 v[12:13], v[12:13], v[36:37]
	s_delay_alu instid0(VALU_DEP_2) | instskip(NEXT) | instid1(VALU_DEP_2)
	v_add_f64 v[1:2], v[10:11], v[1:2]
	v_add_f64 v[3:4], v[12:13], v[4:5]
	s_delay_alu instid0(VALU_DEP_2) | instskip(NEXT) | instid1(VALU_DEP_2)
	v_add_f64 v[1:2], v[1:2], v[6:7]
	v_add_f64 v[3:4], v[3:4], v[8:9]
	s_waitcnt vmcnt(0)
	s_delay_alu instid0(VALU_DEP_2) | instskip(NEXT) | instid1(VALU_DEP_2)
	v_add_f64 v[1:2], v[26:27], -v[1:2]
	v_add_f64 v[3:4], v[28:29], -v[3:4]
	scratch_store_b128 off, v[1:4], off offset:224
	v_cmpx_lt_u32_e32 13, v124
	s_cbranch_execz .LBB40_233
; %bb.232:
	scratch_load_b128 v[1:4], v156, off
	v_mov_b32_e32 v5, 0
	s_delay_alu instid0(VALU_DEP_1)
	v_mov_b32_e32 v6, v5
	v_mov_b32_e32 v7, v5
	v_mov_b32_e32 v8, v5
	scratch_store_b128 off, v[5:8], off offset:208
	s_waitcnt vmcnt(0)
	ds_store_b128 v165, v[1:4]
.LBB40_233:
	s_or_b32 exec_lo, exec_lo, s2
	s_waitcnt lgkmcnt(0)
	s_waitcnt_vscnt null, 0x0
	s_barrier
	buffer_gl0_inv
	s_clause 0x7
	scratch_load_b128 v[2:5], off, off offset:224
	scratch_load_b128 v[6:9], off, off offset:240
	;; [unrolled: 1-line block ×8, first 2 shown]
	v_mov_b32_e32 v1, 0
	s_clause 0x1
	scratch_load_b128 v[34:37], off, off offset:352
	scratch_load_b128 v[170:173], off, off offset:368
	s_mov_b32 s2, exec_lo
	ds_load_b128 v[38:41], v1 offset:880
	ds_load_b128 v[166:169], v1 offset:896
	s_waitcnt vmcnt(9) lgkmcnt(1)
	v_mul_f64 v[174:175], v[40:41], v[4:5]
	v_mul_f64 v[4:5], v[38:39], v[4:5]
	s_waitcnt vmcnt(8) lgkmcnt(0)
	v_mul_f64 v[176:177], v[166:167], v[8:9]
	v_mul_f64 v[8:9], v[168:169], v[8:9]
	s_delay_alu instid0(VALU_DEP_4) | instskip(NEXT) | instid1(VALU_DEP_4)
	v_fma_f64 v[174:175], v[38:39], v[2:3], -v[174:175]
	v_fma_f64 v[178:179], v[40:41], v[2:3], v[4:5]
	ds_load_b128 v[2:5], v1 offset:912
	scratch_load_b128 v[38:41], off, off offset:384
	v_fma_f64 v[176:177], v[168:169], v[6:7], v[176:177]
	v_fma_f64 v[182:183], v[166:167], v[6:7], -v[8:9]
	scratch_load_b128 v[166:169], off, off offset:400
	ds_load_b128 v[6:9], v1 offset:928
	s_waitcnt vmcnt(9) lgkmcnt(1)
	v_mul_f64 v[180:181], v[2:3], v[12:13]
	v_mul_f64 v[12:13], v[4:5], v[12:13]
	s_waitcnt vmcnt(8) lgkmcnt(0)
	v_mul_f64 v[184:185], v[6:7], v[16:17]
	v_mul_f64 v[16:17], v[8:9], v[16:17]
	v_add_f64 v[174:175], v[174:175], 0
	v_add_f64 v[178:179], v[178:179], 0
	v_fma_f64 v[180:181], v[4:5], v[10:11], v[180:181]
	v_fma_f64 v[186:187], v[2:3], v[10:11], -v[12:13]
	ds_load_b128 v[2:5], v1 offset:944
	scratch_load_b128 v[10:13], off, off offset:416
	v_add_f64 v[174:175], v[174:175], v[182:183]
	v_add_f64 v[176:177], v[178:179], v[176:177]
	v_fma_f64 v[182:183], v[8:9], v[14:15], v[184:185]
	v_fma_f64 v[184:185], v[6:7], v[14:15], -v[16:17]
	scratch_load_b128 v[14:17], off, off offset:432
	ds_load_b128 v[6:9], v1 offset:960
	s_waitcnt vmcnt(9) lgkmcnt(1)
	v_mul_f64 v[178:179], v[2:3], v[20:21]
	v_mul_f64 v[20:21], v[4:5], v[20:21]
	v_add_f64 v[174:175], v[174:175], v[186:187]
	v_add_f64 v[176:177], v[176:177], v[180:181]
	s_waitcnt vmcnt(8) lgkmcnt(0)
	v_mul_f64 v[180:181], v[6:7], v[24:25]
	v_mul_f64 v[24:25], v[8:9], v[24:25]
	v_fma_f64 v[178:179], v[4:5], v[18:19], v[178:179]
	v_fma_f64 v[186:187], v[2:3], v[18:19], -v[20:21]
	ds_load_b128 v[2:5], v1 offset:976
	scratch_load_b128 v[18:21], off, off offset:448
	v_add_f64 v[174:175], v[174:175], v[184:185]
	v_add_f64 v[176:177], v[176:177], v[182:183]
	v_fma_f64 v[180:181], v[8:9], v[22:23], v[180:181]
	v_fma_f64 v[184:185], v[6:7], v[22:23], -v[24:25]
	scratch_load_b128 v[22:25], off, off offset:464
	ds_load_b128 v[6:9], v1 offset:992
	s_waitcnt vmcnt(9) lgkmcnt(1)
	v_mul_f64 v[182:183], v[2:3], v[28:29]
	v_mul_f64 v[28:29], v[4:5], v[28:29]
	v_add_f64 v[174:175], v[174:175], v[186:187]
	v_add_f64 v[176:177], v[176:177], v[178:179]
	s_waitcnt vmcnt(8) lgkmcnt(0)
	v_mul_f64 v[178:179], v[6:7], v[32:33]
	v_mul_f64 v[32:33], v[8:9], v[32:33]
	;; [unrolled: 18-line block ×4, first 2 shown]
	v_fma_f64 v[178:179], v[4:5], v[38:39], v[178:179]
	v_fma_f64 v[186:187], v[2:3], v[38:39], -v[40:41]
	ds_load_b128 v[2:5], v1 offset:1072
	scratch_load_b128 v[38:41], off, off offset:544
	v_add_f64 v[174:175], v[174:175], v[184:185]
	v_add_f64 v[176:177], v[176:177], v[182:183]
	v_fma_f64 v[180:181], v[8:9], v[166:167], v[180:181]
	v_fma_f64 v[184:185], v[6:7], v[166:167], -v[168:169]
	ds_load_b128 v[6:9], v1 offset:1088
	s_waitcnt vmcnt(8) lgkmcnt(1)
	v_mul_f64 v[182:183], v[2:3], v[12:13]
	v_mul_f64 v[12:13], v[4:5], v[12:13]
	scratch_load_b128 v[166:169], off, off offset:560
	v_add_f64 v[174:175], v[174:175], v[186:187]
	v_add_f64 v[176:177], v[176:177], v[178:179]
	s_waitcnt vmcnt(8) lgkmcnt(0)
	v_mul_f64 v[178:179], v[6:7], v[16:17]
	v_mul_f64 v[16:17], v[8:9], v[16:17]
	v_fma_f64 v[182:183], v[4:5], v[10:11], v[182:183]
	v_fma_f64 v[186:187], v[2:3], v[10:11], -v[12:13]
	scratch_load_b128 v[10:13], off, off offset:576
	ds_load_b128 v[2:5], v1 offset:1104
	v_add_f64 v[174:175], v[174:175], v[184:185]
	v_add_f64 v[176:177], v[176:177], v[180:181]
	v_fma_f64 v[178:179], v[8:9], v[14:15], v[178:179]
	v_fma_f64 v[184:185], v[6:7], v[14:15], -v[16:17]
	ds_load_b128 v[6:9], v1 offset:1120
	s_waitcnt vmcnt(8) lgkmcnt(1)
	v_mul_f64 v[180:181], v[2:3], v[20:21]
	v_mul_f64 v[20:21], v[4:5], v[20:21]
	scratch_load_b128 v[14:17], off, off offset:592
	v_add_f64 v[174:175], v[174:175], v[186:187]
	v_add_f64 v[176:177], v[176:177], v[182:183]
	s_waitcnt vmcnt(8) lgkmcnt(0)
	v_mul_f64 v[182:183], v[6:7], v[24:25]
	v_mul_f64 v[24:25], v[8:9], v[24:25]
	v_fma_f64 v[180:181], v[4:5], v[18:19], v[180:181]
	v_fma_f64 v[186:187], v[2:3], v[18:19], -v[20:21]
	scratch_load_b128 v[18:21], off, off offset:608
	ds_load_b128 v[2:5], v1 offset:1136
	;; [unrolled: 18-line block ×3, first 2 shown]
	v_add_f64 v[174:175], v[174:175], v[184:185]
	v_add_f64 v[176:177], v[176:177], v[182:183]
	v_fma_f64 v[180:181], v[8:9], v[30:31], v[180:181]
	v_fma_f64 v[30:31], v[6:7], v[30:31], -v[32:33]
	ds_load_b128 v[6:9], v1 offset:1184
	s_waitcnt vmcnt(8) lgkmcnt(1)
	v_mul_f64 v[182:183], v[2:3], v[36:37]
	v_mul_f64 v[36:37], v[4:5], v[36:37]
	v_add_f64 v[32:33], v[174:175], v[186:187]
	v_add_f64 v[174:175], v[176:177], v[178:179]
	s_waitcnt vmcnt(7) lgkmcnt(0)
	v_mul_f64 v[176:177], v[6:7], v[172:173]
	v_mul_f64 v[172:173], v[8:9], v[172:173]
	v_fma_f64 v[178:179], v[4:5], v[34:35], v[182:183]
	v_fma_f64 v[34:35], v[2:3], v[34:35], -v[36:37]
	ds_load_b128 v[2:5], v1 offset:1200
	v_add_f64 v[30:31], v[32:33], v[30:31]
	v_add_f64 v[32:33], v[174:175], v[180:181]
	v_fma_f64 v[174:175], v[8:9], v[170:171], v[176:177]
	v_fma_f64 v[170:171], v[6:7], v[170:171], -v[172:173]
	ds_load_b128 v[6:9], v1 offset:1216
	s_waitcnt vmcnt(5) lgkmcnt(0)
	v_mul_f64 v[176:177], v[6:7], v[168:169]
	v_mul_f64 v[168:169], v[8:9], v[168:169]
	v_add_f64 v[34:35], v[30:31], v[34:35]
	v_add_f64 v[172:173], v[32:33], v[178:179]
	scratch_load_b128 v[30:33], off, off offset:208
	v_mul_f64 v[36:37], v[2:3], v[40:41]
	v_mul_f64 v[40:41], v[4:5], v[40:41]
	v_add_f64 v[34:35], v[34:35], v[170:171]
	s_delay_alu instid0(VALU_DEP_3) | instskip(NEXT) | instid1(VALU_DEP_3)
	v_fma_f64 v[36:37], v[4:5], v[38:39], v[36:37]
	v_fma_f64 v[38:39], v[2:3], v[38:39], -v[40:41]
	v_add_f64 v[40:41], v[172:173], v[174:175]
	ds_load_b128 v[2:5], v1 offset:1232
	v_fma_f64 v[172:173], v[8:9], v[166:167], v[176:177]
	v_fma_f64 v[166:167], v[6:7], v[166:167], -v[168:169]
	ds_load_b128 v[6:9], v1 offset:1248
	s_waitcnt vmcnt(5) lgkmcnt(1)
	v_mul_f64 v[170:171], v[2:3], v[12:13]
	v_mul_f64 v[12:13], v[4:5], v[12:13]
	v_add_f64 v[34:35], v[34:35], v[38:39]
	v_add_f64 v[36:37], v[40:41], v[36:37]
	s_waitcnt vmcnt(4) lgkmcnt(0)
	v_mul_f64 v[38:39], v[6:7], v[16:17]
	v_mul_f64 v[16:17], v[8:9], v[16:17]
	v_fma_f64 v[40:41], v[4:5], v[10:11], v[170:171]
	v_fma_f64 v[10:11], v[2:3], v[10:11], -v[12:13]
	ds_load_b128 v[2:5], v1 offset:1264
	v_add_f64 v[12:13], v[34:35], v[166:167]
	v_add_f64 v[34:35], v[36:37], v[172:173]
	v_fma_f64 v[38:39], v[8:9], v[14:15], v[38:39]
	v_fma_f64 v[14:15], v[6:7], v[14:15], -v[16:17]
	ds_load_b128 v[6:9], v1 offset:1280
	s_waitcnt vmcnt(3) lgkmcnt(1)
	v_mul_f64 v[36:37], v[2:3], v[20:21]
	v_mul_f64 v[20:21], v[4:5], v[20:21]
	s_waitcnt vmcnt(2) lgkmcnt(0)
	v_mul_f64 v[16:17], v[6:7], v[24:25]
	v_mul_f64 v[24:25], v[8:9], v[24:25]
	v_add_f64 v[10:11], v[12:13], v[10:11]
	v_add_f64 v[12:13], v[34:35], v[40:41]
	v_fma_f64 v[34:35], v[4:5], v[18:19], v[36:37]
	v_fma_f64 v[18:19], v[2:3], v[18:19], -v[20:21]
	ds_load_b128 v[2:5], v1 offset:1296
	v_fma_f64 v[8:9], v[8:9], v[22:23], v[16:17]
	v_fma_f64 v[6:7], v[6:7], v[22:23], -v[24:25]
	s_waitcnt vmcnt(1) lgkmcnt(0)
	v_mul_f64 v[20:21], v[4:5], v[28:29]
	v_add_f64 v[10:11], v[10:11], v[14:15]
	v_add_f64 v[12:13], v[12:13], v[38:39]
	v_mul_f64 v[14:15], v[2:3], v[28:29]
	s_delay_alu instid0(VALU_DEP_4) | instskip(NEXT) | instid1(VALU_DEP_4)
	v_fma_f64 v[2:3], v[2:3], v[26:27], -v[20:21]
	v_add_f64 v[10:11], v[10:11], v[18:19]
	s_delay_alu instid0(VALU_DEP_4) | instskip(NEXT) | instid1(VALU_DEP_4)
	v_add_f64 v[12:13], v[12:13], v[34:35]
	v_fma_f64 v[4:5], v[4:5], v[26:27], v[14:15]
	s_delay_alu instid0(VALU_DEP_3) | instskip(NEXT) | instid1(VALU_DEP_3)
	v_add_f64 v[6:7], v[10:11], v[6:7]
	v_add_f64 v[8:9], v[12:13], v[8:9]
	s_delay_alu instid0(VALU_DEP_2) | instskip(NEXT) | instid1(VALU_DEP_2)
	v_add_f64 v[2:3], v[6:7], v[2:3]
	v_add_f64 v[4:5], v[8:9], v[4:5]
	s_waitcnt vmcnt(0)
	s_delay_alu instid0(VALU_DEP_2) | instskip(NEXT) | instid1(VALU_DEP_2)
	v_add_f64 v[2:3], v[30:31], -v[2:3]
	v_add_f64 v[4:5], v[32:33], -v[4:5]
	scratch_store_b128 off, v[2:5], off offset:208
	v_cmpx_lt_u32_e32 12, v124
	s_cbranch_execz .LBB40_235
; %bb.234:
	scratch_load_b128 v[5:8], v157, off
	v_mov_b32_e32 v2, v1
	v_mov_b32_e32 v3, v1
	v_mov_b32_e32 v4, v1
	scratch_store_b128 off, v[1:4], off offset:192
	s_waitcnt vmcnt(0)
	ds_store_b128 v165, v[5:8]
.LBB40_235:
	s_or_b32 exec_lo, exec_lo, s2
	s_waitcnt lgkmcnt(0)
	s_waitcnt_vscnt null, 0x0
	s_barrier
	buffer_gl0_inv
	s_clause 0x7
	scratch_load_b128 v[2:5], off, off offset:208
	scratch_load_b128 v[6:9], off, off offset:224
	;; [unrolled: 1-line block ×8, first 2 shown]
	ds_load_b128 v[38:41], v1 offset:864
	ds_load_b128 v[166:169], v1 offset:880
	s_clause 0x1
	scratch_load_b128 v[34:37], off, off offset:336
	scratch_load_b128 v[170:173], off, off offset:352
	s_mov_b32 s2, exec_lo
	s_waitcnt vmcnt(9) lgkmcnt(1)
	v_mul_f64 v[174:175], v[40:41], v[4:5]
	v_mul_f64 v[4:5], v[38:39], v[4:5]
	s_waitcnt vmcnt(8) lgkmcnt(0)
	v_mul_f64 v[176:177], v[166:167], v[8:9]
	v_mul_f64 v[8:9], v[168:169], v[8:9]
	s_delay_alu instid0(VALU_DEP_4) | instskip(NEXT) | instid1(VALU_DEP_4)
	v_fma_f64 v[174:175], v[38:39], v[2:3], -v[174:175]
	v_fma_f64 v[178:179], v[40:41], v[2:3], v[4:5]
	ds_load_b128 v[2:5], v1 offset:896
	scratch_load_b128 v[38:41], off, off offset:368
	v_fma_f64 v[176:177], v[168:169], v[6:7], v[176:177]
	v_fma_f64 v[182:183], v[166:167], v[6:7], -v[8:9]
	scratch_load_b128 v[166:169], off, off offset:384
	ds_load_b128 v[6:9], v1 offset:912
	s_waitcnt vmcnt(9) lgkmcnt(1)
	v_mul_f64 v[180:181], v[2:3], v[12:13]
	v_mul_f64 v[12:13], v[4:5], v[12:13]
	s_waitcnt vmcnt(8) lgkmcnt(0)
	v_mul_f64 v[184:185], v[6:7], v[16:17]
	v_mul_f64 v[16:17], v[8:9], v[16:17]
	v_add_f64 v[174:175], v[174:175], 0
	v_add_f64 v[178:179], v[178:179], 0
	v_fma_f64 v[180:181], v[4:5], v[10:11], v[180:181]
	v_fma_f64 v[186:187], v[2:3], v[10:11], -v[12:13]
	ds_load_b128 v[2:5], v1 offset:928
	scratch_load_b128 v[10:13], off, off offset:400
	v_add_f64 v[174:175], v[174:175], v[182:183]
	v_add_f64 v[176:177], v[178:179], v[176:177]
	v_fma_f64 v[182:183], v[8:9], v[14:15], v[184:185]
	v_fma_f64 v[184:185], v[6:7], v[14:15], -v[16:17]
	scratch_load_b128 v[14:17], off, off offset:416
	ds_load_b128 v[6:9], v1 offset:944
	s_waitcnt vmcnt(9) lgkmcnt(1)
	v_mul_f64 v[178:179], v[2:3], v[20:21]
	v_mul_f64 v[20:21], v[4:5], v[20:21]
	v_add_f64 v[174:175], v[174:175], v[186:187]
	v_add_f64 v[176:177], v[176:177], v[180:181]
	s_waitcnt vmcnt(8) lgkmcnt(0)
	v_mul_f64 v[180:181], v[6:7], v[24:25]
	v_mul_f64 v[24:25], v[8:9], v[24:25]
	v_fma_f64 v[178:179], v[4:5], v[18:19], v[178:179]
	v_fma_f64 v[186:187], v[2:3], v[18:19], -v[20:21]
	ds_load_b128 v[2:5], v1 offset:960
	scratch_load_b128 v[18:21], off, off offset:432
	v_add_f64 v[174:175], v[174:175], v[184:185]
	v_add_f64 v[176:177], v[176:177], v[182:183]
	v_fma_f64 v[180:181], v[8:9], v[22:23], v[180:181]
	v_fma_f64 v[184:185], v[6:7], v[22:23], -v[24:25]
	scratch_load_b128 v[22:25], off, off offset:448
	ds_load_b128 v[6:9], v1 offset:976
	s_waitcnt vmcnt(9) lgkmcnt(1)
	v_mul_f64 v[182:183], v[2:3], v[28:29]
	v_mul_f64 v[28:29], v[4:5], v[28:29]
	v_add_f64 v[174:175], v[174:175], v[186:187]
	v_add_f64 v[176:177], v[176:177], v[178:179]
	s_waitcnt vmcnt(8) lgkmcnt(0)
	v_mul_f64 v[178:179], v[6:7], v[32:33]
	v_mul_f64 v[32:33], v[8:9], v[32:33]
	;; [unrolled: 18-line block ×4, first 2 shown]
	v_fma_f64 v[178:179], v[4:5], v[38:39], v[178:179]
	v_fma_f64 v[186:187], v[2:3], v[38:39], -v[40:41]
	ds_load_b128 v[2:5], v1 offset:1056
	scratch_load_b128 v[38:41], off, off offset:528
	v_add_f64 v[174:175], v[174:175], v[184:185]
	v_add_f64 v[176:177], v[176:177], v[182:183]
	v_fma_f64 v[180:181], v[8:9], v[166:167], v[180:181]
	v_fma_f64 v[184:185], v[6:7], v[166:167], -v[168:169]
	ds_load_b128 v[6:9], v1 offset:1072
	s_waitcnt vmcnt(8) lgkmcnt(1)
	v_mul_f64 v[182:183], v[2:3], v[12:13]
	v_mul_f64 v[12:13], v[4:5], v[12:13]
	scratch_load_b128 v[166:169], off, off offset:544
	v_add_f64 v[174:175], v[174:175], v[186:187]
	v_add_f64 v[176:177], v[176:177], v[178:179]
	s_waitcnt vmcnt(8) lgkmcnt(0)
	v_mul_f64 v[178:179], v[6:7], v[16:17]
	v_mul_f64 v[16:17], v[8:9], v[16:17]
	v_fma_f64 v[182:183], v[4:5], v[10:11], v[182:183]
	v_fma_f64 v[186:187], v[2:3], v[10:11], -v[12:13]
	ds_load_b128 v[2:5], v1 offset:1088
	scratch_load_b128 v[10:13], off, off offset:560
	v_add_f64 v[174:175], v[174:175], v[184:185]
	v_add_f64 v[176:177], v[176:177], v[180:181]
	v_fma_f64 v[178:179], v[8:9], v[14:15], v[178:179]
	v_fma_f64 v[184:185], v[6:7], v[14:15], -v[16:17]
	ds_load_b128 v[6:9], v1 offset:1104
	s_waitcnt vmcnt(8) lgkmcnt(1)
	v_mul_f64 v[180:181], v[2:3], v[20:21]
	v_mul_f64 v[20:21], v[4:5], v[20:21]
	scratch_load_b128 v[14:17], off, off offset:576
	v_add_f64 v[174:175], v[174:175], v[186:187]
	v_add_f64 v[176:177], v[176:177], v[182:183]
	s_waitcnt vmcnt(8) lgkmcnt(0)
	v_mul_f64 v[182:183], v[6:7], v[24:25]
	v_mul_f64 v[24:25], v[8:9], v[24:25]
	v_fma_f64 v[180:181], v[4:5], v[18:19], v[180:181]
	v_fma_f64 v[186:187], v[2:3], v[18:19], -v[20:21]
	scratch_load_b128 v[18:21], off, off offset:592
	ds_load_b128 v[2:5], v1 offset:1120
	v_add_f64 v[174:175], v[174:175], v[184:185]
	v_add_f64 v[176:177], v[176:177], v[178:179]
	v_fma_f64 v[182:183], v[8:9], v[22:23], v[182:183]
	v_fma_f64 v[184:185], v[6:7], v[22:23], -v[24:25]
	ds_load_b128 v[6:9], v1 offset:1136
	s_waitcnt vmcnt(8) lgkmcnt(1)
	v_mul_f64 v[178:179], v[2:3], v[28:29]
	v_mul_f64 v[28:29], v[4:5], v[28:29]
	scratch_load_b128 v[22:25], off, off offset:608
	v_add_f64 v[174:175], v[174:175], v[186:187]
	v_add_f64 v[176:177], v[176:177], v[180:181]
	s_waitcnt vmcnt(8) lgkmcnt(0)
	v_mul_f64 v[180:181], v[6:7], v[32:33]
	v_mul_f64 v[32:33], v[8:9], v[32:33]
	v_fma_f64 v[178:179], v[4:5], v[26:27], v[178:179]
	v_fma_f64 v[186:187], v[2:3], v[26:27], -v[28:29]
	scratch_load_b128 v[26:29], off, off offset:624
	ds_load_b128 v[2:5], v1 offset:1152
	v_add_f64 v[174:175], v[174:175], v[184:185]
	v_add_f64 v[176:177], v[176:177], v[182:183]
	v_fma_f64 v[180:181], v[8:9], v[30:31], v[180:181]
	v_fma_f64 v[184:185], v[6:7], v[30:31], -v[32:33]
	ds_load_b128 v[6:9], v1 offset:1168
	s_waitcnt vmcnt(8) lgkmcnt(1)
	v_mul_f64 v[182:183], v[2:3], v[36:37]
	v_mul_f64 v[36:37], v[4:5], v[36:37]
	scratch_load_b128 v[30:33], off, off offset:640
	v_add_f64 v[174:175], v[174:175], v[186:187]
	v_add_f64 v[176:177], v[176:177], v[178:179]
	s_waitcnt vmcnt(8) lgkmcnt(0)
	v_mul_f64 v[178:179], v[6:7], v[172:173]
	v_mul_f64 v[172:173], v[8:9], v[172:173]
	v_fma_f64 v[182:183], v[4:5], v[34:35], v[182:183]
	v_fma_f64 v[34:35], v[2:3], v[34:35], -v[36:37]
	ds_load_b128 v[2:5], v1 offset:1184
	v_add_f64 v[36:37], v[174:175], v[184:185]
	v_add_f64 v[174:175], v[176:177], v[180:181]
	v_fma_f64 v[178:179], v[8:9], v[170:171], v[178:179]
	v_fma_f64 v[170:171], v[6:7], v[170:171], -v[172:173]
	ds_load_b128 v[6:9], v1 offset:1200
	s_waitcnt vmcnt(7) lgkmcnt(1)
	v_mul_f64 v[176:177], v[2:3], v[40:41]
	v_mul_f64 v[40:41], v[4:5], v[40:41]
	v_add_f64 v[34:35], v[36:37], v[34:35]
	v_add_f64 v[36:37], v[174:175], v[182:183]
	s_delay_alu instid0(VALU_DEP_4) | instskip(NEXT) | instid1(VALU_DEP_4)
	v_fma_f64 v[174:175], v[4:5], v[38:39], v[176:177]
	v_fma_f64 v[38:39], v[2:3], v[38:39], -v[40:41]
	ds_load_b128 v[2:5], v1 offset:1216
	v_add_f64 v[40:41], v[34:35], v[170:171]
	v_add_f64 v[170:171], v[36:37], v[178:179]
	scratch_load_b128 v[34:37], off, off offset:192
	s_waitcnt vmcnt(7) lgkmcnt(1)
	v_mul_f64 v[172:173], v[6:7], v[168:169]
	v_mul_f64 v[168:169], v[8:9], v[168:169]
	v_add_f64 v[38:39], v[40:41], v[38:39]
	v_add_f64 v[40:41], v[170:171], v[174:175]
	s_delay_alu instid0(VALU_DEP_4) | instskip(NEXT) | instid1(VALU_DEP_4)
	v_fma_f64 v[172:173], v[8:9], v[166:167], v[172:173]
	v_fma_f64 v[166:167], v[6:7], v[166:167], -v[168:169]
	ds_load_b128 v[6:9], v1 offset:1232
	s_waitcnt vmcnt(6) lgkmcnt(1)
	v_mul_f64 v[176:177], v[2:3], v[12:13]
	v_mul_f64 v[12:13], v[4:5], v[12:13]
	s_waitcnt vmcnt(5) lgkmcnt(0)
	v_mul_f64 v[168:169], v[6:7], v[16:17]
	v_mul_f64 v[16:17], v[8:9], v[16:17]
	s_delay_alu instid0(VALU_DEP_4) | instskip(NEXT) | instid1(VALU_DEP_4)
	v_fma_f64 v[170:171], v[4:5], v[10:11], v[176:177]
	v_fma_f64 v[10:11], v[2:3], v[10:11], -v[12:13]
	v_add_f64 v[12:13], v[38:39], v[166:167]
	v_add_f64 v[38:39], v[40:41], v[172:173]
	ds_load_b128 v[2:5], v1 offset:1248
	v_fma_f64 v[166:167], v[8:9], v[14:15], v[168:169]
	v_fma_f64 v[14:15], v[6:7], v[14:15], -v[16:17]
	ds_load_b128 v[6:9], v1 offset:1264
	s_waitcnt vmcnt(4) lgkmcnt(1)
	v_mul_f64 v[40:41], v[2:3], v[20:21]
	v_mul_f64 v[20:21], v[4:5], v[20:21]
	v_add_f64 v[10:11], v[12:13], v[10:11]
	v_add_f64 v[12:13], v[38:39], v[170:171]
	s_waitcnt vmcnt(3) lgkmcnt(0)
	v_mul_f64 v[16:17], v[6:7], v[24:25]
	v_mul_f64 v[24:25], v[8:9], v[24:25]
	v_fma_f64 v[38:39], v[4:5], v[18:19], v[40:41]
	v_fma_f64 v[18:19], v[2:3], v[18:19], -v[20:21]
	ds_load_b128 v[2:5], v1 offset:1280
	v_add_f64 v[10:11], v[10:11], v[14:15]
	v_add_f64 v[12:13], v[12:13], v[166:167]
	v_fma_f64 v[16:17], v[8:9], v[22:23], v[16:17]
	v_fma_f64 v[22:23], v[6:7], v[22:23], -v[24:25]
	ds_load_b128 v[6:9], v1 offset:1296
	s_waitcnt vmcnt(2) lgkmcnt(1)
	v_mul_f64 v[14:15], v[2:3], v[28:29]
	v_mul_f64 v[20:21], v[4:5], v[28:29]
	s_waitcnt vmcnt(1) lgkmcnt(0)
	v_mul_f64 v[24:25], v[8:9], v[32:33]
	v_add_f64 v[10:11], v[10:11], v[18:19]
	v_add_f64 v[12:13], v[12:13], v[38:39]
	v_mul_f64 v[18:19], v[6:7], v[32:33]
	v_fma_f64 v[4:5], v[4:5], v[26:27], v[14:15]
	v_fma_f64 v[1:2], v[2:3], v[26:27], -v[20:21]
	v_fma_f64 v[6:7], v[6:7], v[30:31], -v[24:25]
	v_add_f64 v[10:11], v[10:11], v[22:23]
	v_add_f64 v[12:13], v[12:13], v[16:17]
	v_fma_f64 v[8:9], v[8:9], v[30:31], v[18:19]
	s_delay_alu instid0(VALU_DEP_3) | instskip(NEXT) | instid1(VALU_DEP_3)
	v_add_f64 v[1:2], v[10:11], v[1:2]
	v_add_f64 v[3:4], v[12:13], v[4:5]
	s_delay_alu instid0(VALU_DEP_2) | instskip(NEXT) | instid1(VALU_DEP_2)
	v_add_f64 v[1:2], v[1:2], v[6:7]
	v_add_f64 v[3:4], v[3:4], v[8:9]
	s_waitcnt vmcnt(0)
	s_delay_alu instid0(VALU_DEP_2) | instskip(NEXT) | instid1(VALU_DEP_2)
	v_add_f64 v[1:2], v[34:35], -v[1:2]
	v_add_f64 v[3:4], v[36:37], -v[3:4]
	scratch_store_b128 off, v[1:4], off offset:192
	v_cmpx_lt_u32_e32 11, v124
	s_cbranch_execz .LBB40_237
; %bb.236:
	scratch_load_b128 v[1:4], v158, off
	v_mov_b32_e32 v5, 0
	s_delay_alu instid0(VALU_DEP_1)
	v_mov_b32_e32 v6, v5
	v_mov_b32_e32 v7, v5
	;; [unrolled: 1-line block ×3, first 2 shown]
	scratch_store_b128 off, v[5:8], off offset:176
	s_waitcnt vmcnt(0)
	ds_store_b128 v165, v[1:4]
.LBB40_237:
	s_or_b32 exec_lo, exec_lo, s2
	s_waitcnt lgkmcnt(0)
	s_waitcnt_vscnt null, 0x0
	s_barrier
	buffer_gl0_inv
	s_clause 0x7
	scratch_load_b128 v[2:5], off, off offset:192
	scratch_load_b128 v[6:9], off, off offset:208
	;; [unrolled: 1-line block ×8, first 2 shown]
	v_mov_b32_e32 v1, 0
	s_clause 0x1
	scratch_load_b128 v[34:37], off, off offset:320
	scratch_load_b128 v[170:173], off, off offset:336
	s_mov_b32 s2, exec_lo
	ds_load_b128 v[38:41], v1 offset:848
	ds_load_b128 v[166:169], v1 offset:864
	s_waitcnt vmcnt(9) lgkmcnt(1)
	v_mul_f64 v[174:175], v[40:41], v[4:5]
	v_mul_f64 v[4:5], v[38:39], v[4:5]
	s_waitcnt vmcnt(8) lgkmcnt(0)
	v_mul_f64 v[176:177], v[166:167], v[8:9]
	v_mul_f64 v[8:9], v[168:169], v[8:9]
	s_delay_alu instid0(VALU_DEP_4) | instskip(NEXT) | instid1(VALU_DEP_4)
	v_fma_f64 v[174:175], v[38:39], v[2:3], -v[174:175]
	v_fma_f64 v[178:179], v[40:41], v[2:3], v[4:5]
	ds_load_b128 v[2:5], v1 offset:880
	scratch_load_b128 v[38:41], off, off offset:352
	v_fma_f64 v[176:177], v[168:169], v[6:7], v[176:177]
	v_fma_f64 v[182:183], v[166:167], v[6:7], -v[8:9]
	scratch_load_b128 v[166:169], off, off offset:368
	ds_load_b128 v[6:9], v1 offset:896
	s_waitcnt vmcnt(9) lgkmcnt(1)
	v_mul_f64 v[180:181], v[2:3], v[12:13]
	v_mul_f64 v[12:13], v[4:5], v[12:13]
	s_waitcnt vmcnt(8) lgkmcnt(0)
	v_mul_f64 v[184:185], v[6:7], v[16:17]
	v_mul_f64 v[16:17], v[8:9], v[16:17]
	v_add_f64 v[174:175], v[174:175], 0
	v_add_f64 v[178:179], v[178:179], 0
	v_fma_f64 v[180:181], v[4:5], v[10:11], v[180:181]
	v_fma_f64 v[186:187], v[2:3], v[10:11], -v[12:13]
	ds_load_b128 v[2:5], v1 offset:912
	scratch_load_b128 v[10:13], off, off offset:384
	v_add_f64 v[174:175], v[174:175], v[182:183]
	v_add_f64 v[176:177], v[178:179], v[176:177]
	v_fma_f64 v[182:183], v[8:9], v[14:15], v[184:185]
	v_fma_f64 v[184:185], v[6:7], v[14:15], -v[16:17]
	scratch_load_b128 v[14:17], off, off offset:400
	ds_load_b128 v[6:9], v1 offset:928
	s_waitcnt vmcnt(9) lgkmcnt(1)
	v_mul_f64 v[178:179], v[2:3], v[20:21]
	v_mul_f64 v[20:21], v[4:5], v[20:21]
	v_add_f64 v[174:175], v[174:175], v[186:187]
	v_add_f64 v[176:177], v[176:177], v[180:181]
	s_waitcnt vmcnt(8) lgkmcnt(0)
	v_mul_f64 v[180:181], v[6:7], v[24:25]
	v_mul_f64 v[24:25], v[8:9], v[24:25]
	v_fma_f64 v[178:179], v[4:5], v[18:19], v[178:179]
	v_fma_f64 v[186:187], v[2:3], v[18:19], -v[20:21]
	ds_load_b128 v[2:5], v1 offset:944
	scratch_load_b128 v[18:21], off, off offset:416
	v_add_f64 v[174:175], v[174:175], v[184:185]
	v_add_f64 v[176:177], v[176:177], v[182:183]
	v_fma_f64 v[180:181], v[8:9], v[22:23], v[180:181]
	v_fma_f64 v[184:185], v[6:7], v[22:23], -v[24:25]
	scratch_load_b128 v[22:25], off, off offset:432
	ds_load_b128 v[6:9], v1 offset:960
	s_waitcnt vmcnt(9) lgkmcnt(1)
	v_mul_f64 v[182:183], v[2:3], v[28:29]
	v_mul_f64 v[28:29], v[4:5], v[28:29]
	v_add_f64 v[174:175], v[174:175], v[186:187]
	v_add_f64 v[176:177], v[176:177], v[178:179]
	s_waitcnt vmcnt(8) lgkmcnt(0)
	v_mul_f64 v[178:179], v[6:7], v[32:33]
	v_mul_f64 v[32:33], v[8:9], v[32:33]
	;; [unrolled: 18-line block ×5, first 2 shown]
	v_fma_f64 v[182:183], v[4:5], v[10:11], v[182:183]
	v_fma_f64 v[186:187], v[2:3], v[10:11], -v[12:13]
	ds_load_b128 v[2:5], v1 offset:1072
	scratch_load_b128 v[10:13], off, off offset:544
	v_add_f64 v[174:175], v[174:175], v[184:185]
	v_add_f64 v[176:177], v[176:177], v[180:181]
	v_fma_f64 v[178:179], v[8:9], v[14:15], v[178:179]
	v_fma_f64 v[184:185], v[6:7], v[14:15], -v[16:17]
	ds_load_b128 v[6:9], v1 offset:1088
	s_waitcnt vmcnt(8) lgkmcnt(1)
	v_mul_f64 v[180:181], v[2:3], v[20:21]
	v_mul_f64 v[20:21], v[4:5], v[20:21]
	scratch_load_b128 v[14:17], off, off offset:560
	v_add_f64 v[174:175], v[174:175], v[186:187]
	v_add_f64 v[176:177], v[176:177], v[182:183]
	s_waitcnt vmcnt(8) lgkmcnt(0)
	v_mul_f64 v[182:183], v[6:7], v[24:25]
	v_mul_f64 v[24:25], v[8:9], v[24:25]
	v_fma_f64 v[180:181], v[4:5], v[18:19], v[180:181]
	v_fma_f64 v[186:187], v[2:3], v[18:19], -v[20:21]
	scratch_load_b128 v[18:21], off, off offset:576
	ds_load_b128 v[2:5], v1 offset:1104
	v_add_f64 v[174:175], v[174:175], v[184:185]
	v_add_f64 v[176:177], v[176:177], v[178:179]
	v_fma_f64 v[182:183], v[8:9], v[22:23], v[182:183]
	v_fma_f64 v[184:185], v[6:7], v[22:23], -v[24:25]
	ds_load_b128 v[6:9], v1 offset:1120
	s_waitcnt vmcnt(8) lgkmcnt(1)
	v_mul_f64 v[178:179], v[2:3], v[28:29]
	v_mul_f64 v[28:29], v[4:5], v[28:29]
	scratch_load_b128 v[22:25], off, off offset:592
	v_add_f64 v[174:175], v[174:175], v[186:187]
	v_add_f64 v[176:177], v[176:177], v[180:181]
	s_waitcnt vmcnt(8) lgkmcnt(0)
	v_mul_f64 v[180:181], v[6:7], v[32:33]
	v_mul_f64 v[32:33], v[8:9], v[32:33]
	v_fma_f64 v[178:179], v[4:5], v[26:27], v[178:179]
	v_fma_f64 v[186:187], v[2:3], v[26:27], -v[28:29]
	scratch_load_b128 v[26:29], off, off offset:608
	ds_load_b128 v[2:5], v1 offset:1136
	;; [unrolled: 18-line block ×3, first 2 shown]
	v_add_f64 v[174:175], v[174:175], v[184:185]
	v_add_f64 v[176:177], v[176:177], v[180:181]
	v_fma_f64 v[178:179], v[8:9], v[170:171], v[178:179]
	v_fma_f64 v[170:171], v[6:7], v[170:171], -v[172:173]
	ds_load_b128 v[6:9], v1 offset:1184
	s_waitcnt vmcnt(8) lgkmcnt(1)
	v_mul_f64 v[180:181], v[2:3], v[40:41]
	v_mul_f64 v[40:41], v[4:5], v[40:41]
	v_add_f64 v[172:173], v[174:175], v[186:187]
	v_add_f64 v[174:175], v[176:177], v[182:183]
	s_waitcnt vmcnt(7) lgkmcnt(0)
	v_mul_f64 v[176:177], v[6:7], v[168:169]
	v_mul_f64 v[168:169], v[8:9], v[168:169]
	v_fma_f64 v[180:181], v[4:5], v[38:39], v[180:181]
	v_fma_f64 v[38:39], v[2:3], v[38:39], -v[40:41]
	ds_load_b128 v[2:5], v1 offset:1200
	v_add_f64 v[40:41], v[172:173], v[170:171]
	v_add_f64 v[170:171], v[174:175], v[178:179]
	v_fma_f64 v[174:175], v[8:9], v[166:167], v[176:177]
	v_fma_f64 v[166:167], v[6:7], v[166:167], -v[168:169]
	ds_load_b128 v[6:9], v1 offset:1216
	s_waitcnt vmcnt(5) lgkmcnt(0)
	v_mul_f64 v[176:177], v[6:7], v[16:17]
	v_mul_f64 v[16:17], v[8:9], v[16:17]
	v_add_f64 v[168:169], v[40:41], v[38:39]
	v_add_f64 v[170:171], v[170:171], v[180:181]
	scratch_load_b128 v[38:41], off, off offset:176
	v_mul_f64 v[172:173], v[2:3], v[12:13]
	v_mul_f64 v[12:13], v[4:5], v[12:13]
	s_delay_alu instid0(VALU_DEP_2) | instskip(NEXT) | instid1(VALU_DEP_2)
	v_fma_f64 v[172:173], v[4:5], v[10:11], v[172:173]
	v_fma_f64 v[10:11], v[2:3], v[10:11], -v[12:13]
	v_add_f64 v[12:13], v[168:169], v[166:167]
	v_add_f64 v[166:167], v[170:171], v[174:175]
	ds_load_b128 v[2:5], v1 offset:1232
	v_fma_f64 v[170:171], v[8:9], v[14:15], v[176:177]
	v_fma_f64 v[14:15], v[6:7], v[14:15], -v[16:17]
	ds_load_b128 v[6:9], v1 offset:1248
	s_waitcnt vmcnt(5) lgkmcnt(1)
	v_mul_f64 v[168:169], v[2:3], v[20:21]
	v_mul_f64 v[20:21], v[4:5], v[20:21]
	s_waitcnt vmcnt(4) lgkmcnt(0)
	v_mul_f64 v[16:17], v[6:7], v[24:25]
	v_mul_f64 v[24:25], v[8:9], v[24:25]
	v_add_f64 v[10:11], v[12:13], v[10:11]
	v_add_f64 v[12:13], v[166:167], v[172:173]
	v_fma_f64 v[166:167], v[4:5], v[18:19], v[168:169]
	v_fma_f64 v[18:19], v[2:3], v[18:19], -v[20:21]
	ds_load_b128 v[2:5], v1 offset:1264
	v_fma_f64 v[16:17], v[8:9], v[22:23], v[16:17]
	v_fma_f64 v[22:23], v[6:7], v[22:23], -v[24:25]
	ds_load_b128 v[6:9], v1 offset:1280
	v_add_f64 v[10:11], v[10:11], v[14:15]
	v_add_f64 v[12:13], v[12:13], v[170:171]
	s_waitcnt vmcnt(3) lgkmcnt(1)
	v_mul_f64 v[14:15], v[2:3], v[28:29]
	v_mul_f64 v[20:21], v[4:5], v[28:29]
	s_waitcnt vmcnt(2) lgkmcnt(0)
	v_mul_f64 v[24:25], v[8:9], v[32:33]
	v_add_f64 v[10:11], v[10:11], v[18:19]
	v_add_f64 v[12:13], v[12:13], v[166:167]
	v_mul_f64 v[18:19], v[6:7], v[32:33]
	v_fma_f64 v[14:15], v[4:5], v[26:27], v[14:15]
	v_fma_f64 v[20:21], v[2:3], v[26:27], -v[20:21]
	ds_load_b128 v[2:5], v1 offset:1296
	v_fma_f64 v[6:7], v[6:7], v[30:31], -v[24:25]
	v_add_f64 v[10:11], v[10:11], v[22:23]
	v_add_f64 v[12:13], v[12:13], v[16:17]
	s_waitcnt vmcnt(1) lgkmcnt(0)
	v_mul_f64 v[16:17], v[2:3], v[36:37]
	v_mul_f64 v[22:23], v[4:5], v[36:37]
	v_fma_f64 v[8:9], v[8:9], v[30:31], v[18:19]
	v_add_f64 v[10:11], v[10:11], v[20:21]
	v_add_f64 v[12:13], v[12:13], v[14:15]
	v_fma_f64 v[4:5], v[4:5], v[34:35], v[16:17]
	v_fma_f64 v[2:3], v[2:3], v[34:35], -v[22:23]
	s_delay_alu instid0(VALU_DEP_4) | instskip(NEXT) | instid1(VALU_DEP_4)
	v_add_f64 v[6:7], v[10:11], v[6:7]
	v_add_f64 v[8:9], v[12:13], v[8:9]
	s_delay_alu instid0(VALU_DEP_2) | instskip(NEXT) | instid1(VALU_DEP_2)
	v_add_f64 v[2:3], v[6:7], v[2:3]
	v_add_f64 v[4:5], v[8:9], v[4:5]
	s_waitcnt vmcnt(0)
	s_delay_alu instid0(VALU_DEP_2) | instskip(NEXT) | instid1(VALU_DEP_2)
	v_add_f64 v[2:3], v[38:39], -v[2:3]
	v_add_f64 v[4:5], v[40:41], -v[4:5]
	scratch_store_b128 off, v[2:5], off offset:176
	v_cmpx_lt_u32_e32 10, v124
	s_cbranch_execz .LBB40_239
; %bb.238:
	scratch_load_b128 v[5:8], v159, off
	v_mov_b32_e32 v2, v1
	v_mov_b32_e32 v3, v1
	;; [unrolled: 1-line block ×3, first 2 shown]
	scratch_store_b128 off, v[1:4], off offset:160
	s_waitcnt vmcnt(0)
	ds_store_b128 v165, v[5:8]
.LBB40_239:
	s_or_b32 exec_lo, exec_lo, s2
	s_waitcnt lgkmcnt(0)
	s_waitcnt_vscnt null, 0x0
	s_barrier
	buffer_gl0_inv
	s_clause 0x7
	scratch_load_b128 v[2:5], off, off offset:176
	scratch_load_b128 v[6:9], off, off offset:192
	;; [unrolled: 1-line block ×8, first 2 shown]
	ds_load_b128 v[38:41], v1 offset:832
	ds_load_b128 v[166:169], v1 offset:848
	s_clause 0x1
	scratch_load_b128 v[34:37], off, off offset:304
	scratch_load_b128 v[170:173], off, off offset:320
	s_mov_b32 s2, exec_lo
	s_waitcnt vmcnt(9) lgkmcnt(1)
	v_mul_f64 v[174:175], v[40:41], v[4:5]
	v_mul_f64 v[4:5], v[38:39], v[4:5]
	s_waitcnt vmcnt(8) lgkmcnt(0)
	v_mul_f64 v[176:177], v[166:167], v[8:9]
	v_mul_f64 v[8:9], v[168:169], v[8:9]
	s_delay_alu instid0(VALU_DEP_4) | instskip(NEXT) | instid1(VALU_DEP_4)
	v_fma_f64 v[174:175], v[38:39], v[2:3], -v[174:175]
	v_fma_f64 v[178:179], v[40:41], v[2:3], v[4:5]
	ds_load_b128 v[2:5], v1 offset:864
	scratch_load_b128 v[38:41], off, off offset:336
	v_fma_f64 v[176:177], v[168:169], v[6:7], v[176:177]
	v_fma_f64 v[182:183], v[166:167], v[6:7], -v[8:9]
	scratch_load_b128 v[166:169], off, off offset:352
	ds_load_b128 v[6:9], v1 offset:880
	s_waitcnt vmcnt(9) lgkmcnt(1)
	v_mul_f64 v[180:181], v[2:3], v[12:13]
	v_mul_f64 v[12:13], v[4:5], v[12:13]
	s_waitcnt vmcnt(8) lgkmcnt(0)
	v_mul_f64 v[184:185], v[6:7], v[16:17]
	v_mul_f64 v[16:17], v[8:9], v[16:17]
	v_add_f64 v[174:175], v[174:175], 0
	v_add_f64 v[178:179], v[178:179], 0
	v_fma_f64 v[180:181], v[4:5], v[10:11], v[180:181]
	v_fma_f64 v[186:187], v[2:3], v[10:11], -v[12:13]
	scratch_load_b128 v[10:13], off, off offset:368
	ds_load_b128 v[2:5], v1 offset:896
	v_add_f64 v[174:175], v[174:175], v[182:183]
	v_add_f64 v[176:177], v[178:179], v[176:177]
	v_fma_f64 v[182:183], v[8:9], v[14:15], v[184:185]
	v_fma_f64 v[184:185], v[6:7], v[14:15], -v[16:17]
	ds_load_b128 v[6:9], v1 offset:912
	scratch_load_b128 v[14:17], off, off offset:384
	s_waitcnt vmcnt(9) lgkmcnt(1)
	v_mul_f64 v[178:179], v[2:3], v[20:21]
	v_mul_f64 v[20:21], v[4:5], v[20:21]
	v_add_f64 v[174:175], v[174:175], v[186:187]
	v_add_f64 v[176:177], v[176:177], v[180:181]
	s_waitcnt vmcnt(8) lgkmcnt(0)
	v_mul_f64 v[180:181], v[6:7], v[24:25]
	v_mul_f64 v[24:25], v[8:9], v[24:25]
	v_fma_f64 v[178:179], v[4:5], v[18:19], v[178:179]
	v_fma_f64 v[186:187], v[2:3], v[18:19], -v[20:21]
	ds_load_b128 v[2:5], v1 offset:928
	scratch_load_b128 v[18:21], off, off offset:400
	v_add_f64 v[174:175], v[174:175], v[184:185]
	v_add_f64 v[176:177], v[176:177], v[182:183]
	v_fma_f64 v[180:181], v[8:9], v[22:23], v[180:181]
	v_fma_f64 v[184:185], v[6:7], v[22:23], -v[24:25]
	scratch_load_b128 v[22:25], off, off offset:416
	ds_load_b128 v[6:9], v1 offset:944
	s_waitcnt vmcnt(9) lgkmcnt(1)
	v_mul_f64 v[182:183], v[2:3], v[28:29]
	v_mul_f64 v[28:29], v[4:5], v[28:29]
	v_add_f64 v[174:175], v[174:175], v[186:187]
	v_add_f64 v[176:177], v[176:177], v[178:179]
	s_waitcnt vmcnt(8) lgkmcnt(0)
	v_mul_f64 v[178:179], v[6:7], v[32:33]
	v_mul_f64 v[32:33], v[8:9], v[32:33]
	v_fma_f64 v[182:183], v[4:5], v[26:27], v[182:183]
	v_fma_f64 v[186:187], v[2:3], v[26:27], -v[28:29]
	ds_load_b128 v[2:5], v1 offset:960
	scratch_load_b128 v[26:29], off, off offset:432
	v_add_f64 v[174:175], v[174:175], v[184:185]
	v_add_f64 v[176:177], v[176:177], v[180:181]
	v_fma_f64 v[178:179], v[8:9], v[30:31], v[178:179]
	v_fma_f64 v[184:185], v[6:7], v[30:31], -v[32:33]
	scratch_load_b128 v[30:33], off, off offset:448
	ds_load_b128 v[6:9], v1 offset:976
	;; [unrolled: 18-line block ×3, first 2 shown]
	s_waitcnt vmcnt(9) lgkmcnt(1)
	v_mul_f64 v[178:179], v[2:3], v[40:41]
	v_mul_f64 v[40:41], v[4:5], v[40:41]
	v_add_f64 v[174:175], v[174:175], v[186:187]
	v_add_f64 v[176:177], v[176:177], v[180:181]
	s_waitcnt vmcnt(8) lgkmcnt(0)
	v_mul_f64 v[180:181], v[6:7], v[168:169]
	v_mul_f64 v[168:169], v[8:9], v[168:169]
	v_fma_f64 v[178:179], v[4:5], v[38:39], v[178:179]
	v_fma_f64 v[186:187], v[2:3], v[38:39], -v[40:41]
	ds_load_b128 v[2:5], v1 offset:1024
	scratch_load_b128 v[38:41], off, off offset:496
	v_add_f64 v[174:175], v[174:175], v[184:185]
	v_add_f64 v[176:177], v[176:177], v[182:183]
	v_fma_f64 v[180:181], v[8:9], v[166:167], v[180:181]
	v_fma_f64 v[184:185], v[6:7], v[166:167], -v[168:169]
	ds_load_b128 v[6:9], v1 offset:1040
	s_waitcnt vmcnt(8) lgkmcnt(1)
	v_mul_f64 v[182:183], v[2:3], v[12:13]
	v_mul_f64 v[12:13], v[4:5], v[12:13]
	scratch_load_b128 v[166:169], off, off offset:512
	v_add_f64 v[174:175], v[174:175], v[186:187]
	v_add_f64 v[176:177], v[176:177], v[178:179]
	s_waitcnt vmcnt(8) lgkmcnt(0)
	v_mul_f64 v[178:179], v[6:7], v[16:17]
	v_mul_f64 v[16:17], v[8:9], v[16:17]
	v_fma_f64 v[182:183], v[4:5], v[10:11], v[182:183]
	v_fma_f64 v[186:187], v[2:3], v[10:11], -v[12:13]
	scratch_load_b128 v[10:13], off, off offset:528
	ds_load_b128 v[2:5], v1 offset:1056
	v_add_f64 v[174:175], v[174:175], v[184:185]
	v_add_f64 v[176:177], v[176:177], v[180:181]
	v_fma_f64 v[178:179], v[8:9], v[14:15], v[178:179]
	v_fma_f64 v[184:185], v[6:7], v[14:15], -v[16:17]
	ds_load_b128 v[6:9], v1 offset:1072
	s_waitcnt vmcnt(8) lgkmcnt(1)
	v_mul_f64 v[180:181], v[2:3], v[20:21]
	v_mul_f64 v[20:21], v[4:5], v[20:21]
	scratch_load_b128 v[14:17], off, off offset:544
	v_add_f64 v[174:175], v[174:175], v[186:187]
	v_add_f64 v[176:177], v[176:177], v[182:183]
	s_waitcnt vmcnt(8) lgkmcnt(0)
	v_mul_f64 v[182:183], v[6:7], v[24:25]
	v_mul_f64 v[24:25], v[8:9], v[24:25]
	v_fma_f64 v[180:181], v[4:5], v[18:19], v[180:181]
	v_fma_f64 v[186:187], v[2:3], v[18:19], -v[20:21]
	scratch_load_b128 v[18:21], off, off offset:560
	ds_load_b128 v[2:5], v1 offset:1088
	;; [unrolled: 18-line block ×4, first 2 shown]
	v_add_f64 v[174:175], v[174:175], v[184:185]
	v_add_f64 v[176:177], v[176:177], v[180:181]
	v_fma_f64 v[178:179], v[8:9], v[170:171], v[178:179]
	v_fma_f64 v[184:185], v[6:7], v[170:171], -v[172:173]
	ds_load_b128 v[6:9], v1 offset:1168
	s_waitcnt vmcnt(8) lgkmcnt(1)
	v_mul_f64 v[180:181], v[2:3], v[40:41]
	v_mul_f64 v[40:41], v[4:5], v[40:41]
	scratch_load_b128 v[170:173], off, off offset:640
	v_add_f64 v[174:175], v[174:175], v[186:187]
	v_add_f64 v[176:177], v[176:177], v[182:183]
	v_fma_f64 v[180:181], v[4:5], v[38:39], v[180:181]
	v_fma_f64 v[38:39], v[2:3], v[38:39], -v[40:41]
	ds_load_b128 v[2:5], v1 offset:1184
	v_add_f64 v[40:41], v[174:175], v[184:185]
	v_add_f64 v[174:175], v[176:177], v[178:179]
	s_waitcnt vmcnt(7) lgkmcnt(0)
	v_mul_f64 v[176:177], v[2:3], v[12:13]
	v_mul_f64 v[12:13], v[4:5], v[12:13]
	s_delay_alu instid0(VALU_DEP_4) | instskip(NEXT) | instid1(VALU_DEP_4)
	v_add_f64 v[38:39], v[40:41], v[38:39]
	v_add_f64 v[40:41], v[174:175], v[180:181]
	s_delay_alu instid0(VALU_DEP_4) | instskip(NEXT) | instid1(VALU_DEP_4)
	v_fma_f64 v[174:175], v[4:5], v[10:11], v[176:177]
	v_fma_f64 v[176:177], v[2:3], v[10:11], -v[12:13]
	scratch_load_b128 v[10:13], off, off offset:160
	v_mul_f64 v[182:183], v[6:7], v[168:169]
	v_mul_f64 v[168:169], v[8:9], v[168:169]
	ds_load_b128 v[2:5], v1 offset:1216
	v_fma_f64 v[178:179], v[8:9], v[166:167], v[182:183]
	v_fma_f64 v[166:167], v[6:7], v[166:167], -v[168:169]
	ds_load_b128 v[6:9], v1 offset:1200
	s_waitcnt vmcnt(7) lgkmcnt(0)
	v_mul_f64 v[168:169], v[6:7], v[16:17]
	v_mul_f64 v[16:17], v[8:9], v[16:17]
	v_add_f64 v[40:41], v[40:41], v[178:179]
	v_add_f64 v[38:39], v[38:39], v[166:167]
	s_waitcnt vmcnt(6)
	v_mul_f64 v[166:167], v[2:3], v[20:21]
	v_mul_f64 v[20:21], v[4:5], v[20:21]
	v_fma_f64 v[168:169], v[8:9], v[14:15], v[168:169]
	v_fma_f64 v[14:15], v[6:7], v[14:15], -v[16:17]
	ds_load_b128 v[6:9], v1 offset:1232
	v_add_f64 v[16:17], v[38:39], v[176:177]
	v_add_f64 v[38:39], v[40:41], v[174:175]
	v_fma_f64 v[166:167], v[4:5], v[18:19], v[166:167]
	v_fma_f64 v[18:19], v[2:3], v[18:19], -v[20:21]
	ds_load_b128 v[2:5], v1 offset:1248
	s_waitcnt vmcnt(5) lgkmcnt(1)
	v_mul_f64 v[40:41], v[6:7], v[24:25]
	v_mul_f64 v[24:25], v[8:9], v[24:25]
	s_waitcnt vmcnt(4) lgkmcnt(0)
	v_mul_f64 v[20:21], v[2:3], v[28:29]
	v_mul_f64 v[28:29], v[4:5], v[28:29]
	v_add_f64 v[14:15], v[16:17], v[14:15]
	v_add_f64 v[16:17], v[38:39], v[168:169]
	v_fma_f64 v[38:39], v[8:9], v[22:23], v[40:41]
	v_fma_f64 v[22:23], v[6:7], v[22:23], -v[24:25]
	ds_load_b128 v[6:9], v1 offset:1264
	v_fma_f64 v[20:21], v[4:5], v[26:27], v[20:21]
	v_fma_f64 v[26:27], v[2:3], v[26:27], -v[28:29]
	ds_load_b128 v[2:5], v1 offset:1280
	s_waitcnt vmcnt(3) lgkmcnt(1)
	v_mul_f64 v[24:25], v[8:9], v[32:33]
	v_add_f64 v[14:15], v[14:15], v[18:19]
	v_add_f64 v[16:17], v[16:17], v[166:167]
	v_mul_f64 v[18:19], v[6:7], v[32:33]
	s_waitcnt vmcnt(2) lgkmcnt(0)
	v_mul_f64 v[28:29], v[4:5], v[36:37]
	v_fma_f64 v[24:25], v[6:7], v[30:31], -v[24:25]
	v_add_f64 v[14:15], v[14:15], v[22:23]
	v_add_f64 v[16:17], v[16:17], v[38:39]
	v_mul_f64 v[22:23], v[2:3], v[36:37]
	v_fma_f64 v[18:19], v[8:9], v[30:31], v[18:19]
	ds_load_b128 v[6:9], v1 offset:1296
	v_fma_f64 v[1:2], v[2:3], v[34:35], -v[28:29]
	v_add_f64 v[14:15], v[14:15], v[26:27]
	v_add_f64 v[16:17], v[16:17], v[20:21]
	s_waitcnt vmcnt(1) lgkmcnt(0)
	v_mul_f64 v[20:21], v[6:7], v[172:173]
	v_mul_f64 v[26:27], v[8:9], v[172:173]
	v_fma_f64 v[4:5], v[4:5], v[34:35], v[22:23]
	v_add_f64 v[14:15], v[14:15], v[24:25]
	v_add_f64 v[16:17], v[16:17], v[18:19]
	v_fma_f64 v[8:9], v[8:9], v[170:171], v[20:21]
	v_fma_f64 v[6:7], v[6:7], v[170:171], -v[26:27]
	s_delay_alu instid0(VALU_DEP_4) | instskip(NEXT) | instid1(VALU_DEP_4)
	v_add_f64 v[1:2], v[14:15], v[1:2]
	v_add_f64 v[3:4], v[16:17], v[4:5]
	s_delay_alu instid0(VALU_DEP_2) | instskip(NEXT) | instid1(VALU_DEP_2)
	v_add_f64 v[1:2], v[1:2], v[6:7]
	v_add_f64 v[3:4], v[3:4], v[8:9]
	s_waitcnt vmcnt(0)
	s_delay_alu instid0(VALU_DEP_2) | instskip(NEXT) | instid1(VALU_DEP_2)
	v_add_f64 v[1:2], v[10:11], -v[1:2]
	v_add_f64 v[3:4], v[12:13], -v[3:4]
	scratch_store_b128 off, v[1:4], off offset:160
	v_cmpx_lt_u32_e32 9, v124
	s_cbranch_execz .LBB40_241
; %bb.240:
	scratch_load_b128 v[1:4], v161, off
	v_mov_b32_e32 v5, 0
	s_delay_alu instid0(VALU_DEP_1)
	v_mov_b32_e32 v6, v5
	v_mov_b32_e32 v7, v5
	;; [unrolled: 1-line block ×3, first 2 shown]
	scratch_store_b128 off, v[5:8], off offset:144
	s_waitcnt vmcnt(0)
	ds_store_b128 v165, v[1:4]
.LBB40_241:
	s_or_b32 exec_lo, exec_lo, s2
	s_waitcnt lgkmcnt(0)
	s_waitcnt_vscnt null, 0x0
	s_barrier
	buffer_gl0_inv
	s_clause 0x7
	scratch_load_b128 v[2:5], off, off offset:160
	scratch_load_b128 v[6:9], off, off offset:176
	scratch_load_b128 v[10:13], off, off offset:192
	scratch_load_b128 v[14:17], off, off offset:208
	scratch_load_b128 v[18:21], off, off offset:224
	scratch_load_b128 v[22:25], off, off offset:240
	scratch_load_b128 v[26:29], off, off offset:256
	scratch_load_b128 v[30:33], off, off offset:272
	v_mov_b32_e32 v1, 0
	s_clause 0x1
	scratch_load_b128 v[34:37], off, off offset:288
	scratch_load_b128 v[170:173], off, off offset:304
	s_mov_b32 s2, exec_lo
	ds_load_b128 v[38:41], v1 offset:816
	ds_load_b128 v[166:169], v1 offset:832
	s_waitcnt vmcnt(9) lgkmcnt(1)
	v_mul_f64 v[174:175], v[40:41], v[4:5]
	v_mul_f64 v[4:5], v[38:39], v[4:5]
	s_waitcnt vmcnt(8) lgkmcnt(0)
	v_mul_f64 v[176:177], v[166:167], v[8:9]
	v_mul_f64 v[8:9], v[168:169], v[8:9]
	s_delay_alu instid0(VALU_DEP_4) | instskip(NEXT) | instid1(VALU_DEP_4)
	v_fma_f64 v[174:175], v[38:39], v[2:3], -v[174:175]
	v_fma_f64 v[178:179], v[40:41], v[2:3], v[4:5]
	ds_load_b128 v[2:5], v1 offset:848
	scratch_load_b128 v[38:41], off, off offset:320
	v_fma_f64 v[176:177], v[168:169], v[6:7], v[176:177]
	v_fma_f64 v[182:183], v[166:167], v[6:7], -v[8:9]
	scratch_load_b128 v[166:169], off, off offset:336
	ds_load_b128 v[6:9], v1 offset:864
	s_waitcnt vmcnt(9) lgkmcnt(1)
	v_mul_f64 v[180:181], v[2:3], v[12:13]
	v_mul_f64 v[12:13], v[4:5], v[12:13]
	s_waitcnt vmcnt(8) lgkmcnt(0)
	v_mul_f64 v[184:185], v[6:7], v[16:17]
	v_mul_f64 v[16:17], v[8:9], v[16:17]
	v_add_f64 v[174:175], v[174:175], 0
	v_add_f64 v[178:179], v[178:179], 0
	v_fma_f64 v[180:181], v[4:5], v[10:11], v[180:181]
	v_fma_f64 v[186:187], v[2:3], v[10:11], -v[12:13]
	ds_load_b128 v[2:5], v1 offset:880
	scratch_load_b128 v[10:13], off, off offset:352
	v_add_f64 v[174:175], v[174:175], v[182:183]
	v_add_f64 v[176:177], v[178:179], v[176:177]
	v_fma_f64 v[182:183], v[8:9], v[14:15], v[184:185]
	v_fma_f64 v[184:185], v[6:7], v[14:15], -v[16:17]
	scratch_load_b128 v[14:17], off, off offset:368
	ds_load_b128 v[6:9], v1 offset:896
	s_waitcnt vmcnt(9) lgkmcnt(1)
	v_mul_f64 v[178:179], v[2:3], v[20:21]
	v_mul_f64 v[20:21], v[4:5], v[20:21]
	v_add_f64 v[174:175], v[174:175], v[186:187]
	v_add_f64 v[176:177], v[176:177], v[180:181]
	s_waitcnt vmcnt(8) lgkmcnt(0)
	v_mul_f64 v[180:181], v[6:7], v[24:25]
	v_mul_f64 v[24:25], v[8:9], v[24:25]
	v_fma_f64 v[178:179], v[4:5], v[18:19], v[178:179]
	v_fma_f64 v[186:187], v[2:3], v[18:19], -v[20:21]
	ds_load_b128 v[2:5], v1 offset:912
	scratch_load_b128 v[18:21], off, off offset:384
	v_add_f64 v[174:175], v[174:175], v[184:185]
	v_add_f64 v[176:177], v[176:177], v[182:183]
	v_fma_f64 v[180:181], v[8:9], v[22:23], v[180:181]
	v_fma_f64 v[184:185], v[6:7], v[22:23], -v[24:25]
	scratch_load_b128 v[22:25], off, off offset:400
	ds_load_b128 v[6:9], v1 offset:928
	s_waitcnt vmcnt(9) lgkmcnt(1)
	v_mul_f64 v[182:183], v[2:3], v[28:29]
	v_mul_f64 v[28:29], v[4:5], v[28:29]
	v_add_f64 v[174:175], v[174:175], v[186:187]
	v_add_f64 v[176:177], v[176:177], v[178:179]
	s_waitcnt vmcnt(8) lgkmcnt(0)
	v_mul_f64 v[178:179], v[6:7], v[32:33]
	v_mul_f64 v[32:33], v[8:9], v[32:33]
	;; [unrolled: 18-line block ×6, first 2 shown]
	v_fma_f64 v[180:181], v[4:5], v[18:19], v[180:181]
	v_fma_f64 v[186:187], v[2:3], v[18:19], -v[20:21]
	ds_load_b128 v[2:5], v1 offset:1072
	scratch_load_b128 v[18:21], off, off offset:544
	v_add_f64 v[174:175], v[174:175], v[184:185]
	v_add_f64 v[176:177], v[176:177], v[178:179]
	v_fma_f64 v[182:183], v[8:9], v[22:23], v[182:183]
	v_fma_f64 v[184:185], v[6:7], v[22:23], -v[24:25]
	ds_load_b128 v[6:9], v1 offset:1088
	s_waitcnt vmcnt(8) lgkmcnt(1)
	v_mul_f64 v[178:179], v[2:3], v[28:29]
	v_mul_f64 v[28:29], v[4:5], v[28:29]
	scratch_load_b128 v[22:25], off, off offset:560
	v_add_f64 v[174:175], v[174:175], v[186:187]
	v_add_f64 v[176:177], v[176:177], v[180:181]
	s_waitcnt vmcnt(8) lgkmcnt(0)
	v_mul_f64 v[180:181], v[6:7], v[32:33]
	v_mul_f64 v[32:33], v[8:9], v[32:33]
	v_fma_f64 v[178:179], v[4:5], v[26:27], v[178:179]
	v_fma_f64 v[186:187], v[2:3], v[26:27], -v[28:29]
	scratch_load_b128 v[26:29], off, off offset:576
	ds_load_b128 v[2:5], v1 offset:1104
	v_add_f64 v[174:175], v[174:175], v[184:185]
	v_add_f64 v[176:177], v[176:177], v[182:183]
	v_fma_f64 v[180:181], v[8:9], v[30:31], v[180:181]
	v_fma_f64 v[184:185], v[6:7], v[30:31], -v[32:33]
	ds_load_b128 v[6:9], v1 offset:1120
	s_waitcnt vmcnt(8) lgkmcnt(1)
	v_mul_f64 v[182:183], v[2:3], v[36:37]
	v_mul_f64 v[36:37], v[4:5], v[36:37]
	scratch_load_b128 v[30:33], off, off offset:592
	v_add_f64 v[174:175], v[174:175], v[186:187]
	v_add_f64 v[176:177], v[176:177], v[178:179]
	s_waitcnt vmcnt(8) lgkmcnt(0)
	v_mul_f64 v[178:179], v[6:7], v[172:173]
	v_mul_f64 v[172:173], v[8:9], v[172:173]
	v_fma_f64 v[182:183], v[4:5], v[34:35], v[182:183]
	v_fma_f64 v[186:187], v[2:3], v[34:35], -v[36:37]
	scratch_load_b128 v[34:37], off, off offset:608
	ds_load_b128 v[2:5], v1 offset:1136
	;; [unrolled: 18-line block ×3, first 2 shown]
	v_add_f64 v[174:175], v[174:175], v[184:185]
	v_add_f64 v[176:177], v[176:177], v[178:179]
	v_fma_f64 v[182:183], v[8:9], v[166:167], v[182:183]
	v_fma_f64 v[166:167], v[6:7], v[166:167], -v[168:169]
	ds_load_b128 v[6:9], v1 offset:1184
	s_waitcnt vmcnt(8) lgkmcnt(1)
	v_mul_f64 v[178:179], v[2:3], v[12:13]
	v_mul_f64 v[12:13], v[4:5], v[12:13]
	v_add_f64 v[168:169], v[174:175], v[186:187]
	v_add_f64 v[174:175], v[176:177], v[180:181]
	s_waitcnt vmcnt(7) lgkmcnt(0)
	v_mul_f64 v[176:177], v[6:7], v[16:17]
	v_mul_f64 v[16:17], v[8:9], v[16:17]
	v_fma_f64 v[178:179], v[4:5], v[10:11], v[178:179]
	v_fma_f64 v[10:11], v[2:3], v[10:11], -v[12:13]
	ds_load_b128 v[2:5], v1 offset:1200
	v_add_f64 v[12:13], v[168:169], v[166:167]
	v_add_f64 v[166:167], v[174:175], v[182:183]
	v_fma_f64 v[174:175], v[8:9], v[14:15], v[176:177]
	v_fma_f64 v[14:15], v[6:7], v[14:15], -v[16:17]
	ds_load_b128 v[6:9], v1 offset:1216
	s_waitcnt vmcnt(5) lgkmcnt(0)
	v_mul_f64 v[176:177], v[6:7], v[24:25]
	v_mul_f64 v[24:25], v[8:9], v[24:25]
	v_add_f64 v[16:17], v[12:13], v[10:11]
	v_add_f64 v[166:167], v[166:167], v[178:179]
	scratch_load_b128 v[10:13], off, off offset:144
	v_mul_f64 v[168:169], v[2:3], v[20:21]
	v_mul_f64 v[20:21], v[4:5], v[20:21]
	v_add_f64 v[14:15], v[16:17], v[14:15]
	v_add_f64 v[16:17], v[166:167], v[174:175]
	v_fma_f64 v[166:167], v[8:9], v[22:23], v[176:177]
	v_fma_f64 v[168:169], v[4:5], v[18:19], v[168:169]
	v_fma_f64 v[18:19], v[2:3], v[18:19], -v[20:21]
	ds_load_b128 v[2:5], v1 offset:1232
	v_fma_f64 v[22:23], v[6:7], v[22:23], -v[24:25]
	ds_load_b128 v[6:9], v1 offset:1248
	s_waitcnt vmcnt(5) lgkmcnt(1)
	v_mul_f64 v[20:21], v[2:3], v[28:29]
	v_mul_f64 v[28:29], v[4:5], v[28:29]
	s_waitcnt vmcnt(4) lgkmcnt(0)
	v_mul_f64 v[24:25], v[8:9], v[32:33]
	v_add_f64 v[16:17], v[16:17], v[168:169]
	v_add_f64 v[14:15], v[14:15], v[18:19]
	v_mul_f64 v[18:19], v[6:7], v[32:33]
	v_fma_f64 v[20:21], v[4:5], v[26:27], v[20:21]
	v_fma_f64 v[26:27], v[2:3], v[26:27], -v[28:29]
	ds_load_b128 v[2:5], v1 offset:1264
	v_fma_f64 v[24:25], v[6:7], v[30:31], -v[24:25]
	v_add_f64 v[16:17], v[16:17], v[166:167]
	v_add_f64 v[14:15], v[14:15], v[22:23]
	v_fma_f64 v[18:19], v[8:9], v[30:31], v[18:19]
	ds_load_b128 v[6:9], v1 offset:1280
	s_waitcnt vmcnt(3) lgkmcnt(1)
	v_mul_f64 v[22:23], v[2:3], v[36:37]
	v_mul_f64 v[28:29], v[4:5], v[36:37]
	v_add_f64 v[16:17], v[16:17], v[20:21]
	v_add_f64 v[14:15], v[14:15], v[26:27]
	s_waitcnt vmcnt(2) lgkmcnt(0)
	v_mul_f64 v[20:21], v[6:7], v[172:173]
	v_mul_f64 v[26:27], v[8:9], v[172:173]
	v_fma_f64 v[22:23], v[4:5], v[34:35], v[22:23]
	v_fma_f64 v[28:29], v[2:3], v[34:35], -v[28:29]
	ds_load_b128 v[2:5], v1 offset:1296
	v_add_f64 v[16:17], v[16:17], v[18:19]
	v_add_f64 v[14:15], v[14:15], v[24:25]
	s_waitcnt vmcnt(1) lgkmcnt(0)
	v_mul_f64 v[18:19], v[2:3], v[40:41]
	v_mul_f64 v[24:25], v[4:5], v[40:41]
	v_fma_f64 v[8:9], v[8:9], v[170:171], v[20:21]
	v_fma_f64 v[6:7], v[6:7], v[170:171], -v[26:27]
	v_add_f64 v[16:17], v[16:17], v[22:23]
	v_add_f64 v[14:15], v[14:15], v[28:29]
	v_fma_f64 v[4:5], v[4:5], v[38:39], v[18:19]
	v_fma_f64 v[2:3], v[2:3], v[38:39], -v[24:25]
	s_delay_alu instid0(VALU_DEP_4) | instskip(NEXT) | instid1(VALU_DEP_4)
	v_add_f64 v[8:9], v[16:17], v[8:9]
	v_add_f64 v[6:7], v[14:15], v[6:7]
	s_delay_alu instid0(VALU_DEP_2) | instskip(NEXT) | instid1(VALU_DEP_2)
	v_add_f64 v[4:5], v[8:9], v[4:5]
	v_add_f64 v[2:3], v[6:7], v[2:3]
	s_waitcnt vmcnt(0)
	s_delay_alu instid0(VALU_DEP_2) | instskip(NEXT) | instid1(VALU_DEP_2)
	v_add_f64 v[4:5], v[12:13], -v[4:5]
	v_add_f64 v[2:3], v[10:11], -v[2:3]
	scratch_store_b128 off, v[2:5], off offset:144
	v_cmpx_lt_u32_e32 8, v124
	s_cbranch_execz .LBB40_243
; %bb.242:
	scratch_load_b128 v[5:8], v160, off
	v_mov_b32_e32 v2, v1
	v_mov_b32_e32 v3, v1
	v_mov_b32_e32 v4, v1
	scratch_store_b128 off, v[1:4], off offset:128
	s_waitcnt vmcnt(0)
	ds_store_b128 v165, v[5:8]
.LBB40_243:
	s_or_b32 exec_lo, exec_lo, s2
	s_waitcnt lgkmcnt(0)
	s_waitcnt_vscnt null, 0x0
	s_barrier
	buffer_gl0_inv
	s_clause 0x7
	scratch_load_b128 v[2:5], off, off offset:144
	scratch_load_b128 v[6:9], off, off offset:160
	;; [unrolled: 1-line block ×8, first 2 shown]
	ds_load_b128 v[38:41], v1 offset:800
	ds_load_b128 v[166:169], v1 offset:816
	s_clause 0x1
	scratch_load_b128 v[34:37], off, off offset:272
	scratch_load_b128 v[170:173], off, off offset:288
	s_mov_b32 s2, exec_lo
	s_waitcnt vmcnt(9) lgkmcnt(1)
	v_mul_f64 v[174:175], v[40:41], v[4:5]
	v_mul_f64 v[4:5], v[38:39], v[4:5]
	s_waitcnt vmcnt(8) lgkmcnt(0)
	v_mul_f64 v[176:177], v[166:167], v[8:9]
	v_mul_f64 v[8:9], v[168:169], v[8:9]
	s_delay_alu instid0(VALU_DEP_4) | instskip(NEXT) | instid1(VALU_DEP_4)
	v_fma_f64 v[174:175], v[38:39], v[2:3], -v[174:175]
	v_fma_f64 v[178:179], v[40:41], v[2:3], v[4:5]
	ds_load_b128 v[2:5], v1 offset:832
	scratch_load_b128 v[38:41], off, off offset:304
	v_fma_f64 v[176:177], v[168:169], v[6:7], v[176:177]
	v_fma_f64 v[182:183], v[166:167], v[6:7], -v[8:9]
	scratch_load_b128 v[166:169], off, off offset:320
	ds_load_b128 v[6:9], v1 offset:848
	s_waitcnt vmcnt(9) lgkmcnt(1)
	v_mul_f64 v[180:181], v[2:3], v[12:13]
	v_mul_f64 v[12:13], v[4:5], v[12:13]
	s_waitcnt vmcnt(8) lgkmcnt(0)
	v_mul_f64 v[184:185], v[6:7], v[16:17]
	v_mul_f64 v[16:17], v[8:9], v[16:17]
	v_add_f64 v[174:175], v[174:175], 0
	v_add_f64 v[178:179], v[178:179], 0
	v_fma_f64 v[180:181], v[4:5], v[10:11], v[180:181]
	v_fma_f64 v[186:187], v[2:3], v[10:11], -v[12:13]
	ds_load_b128 v[2:5], v1 offset:864
	scratch_load_b128 v[10:13], off, off offset:336
	v_add_f64 v[174:175], v[174:175], v[182:183]
	v_add_f64 v[176:177], v[178:179], v[176:177]
	v_fma_f64 v[182:183], v[8:9], v[14:15], v[184:185]
	v_fma_f64 v[184:185], v[6:7], v[14:15], -v[16:17]
	scratch_load_b128 v[14:17], off, off offset:352
	ds_load_b128 v[6:9], v1 offset:880
	s_waitcnt vmcnt(9) lgkmcnt(1)
	v_mul_f64 v[178:179], v[2:3], v[20:21]
	v_mul_f64 v[20:21], v[4:5], v[20:21]
	v_add_f64 v[174:175], v[174:175], v[186:187]
	v_add_f64 v[176:177], v[176:177], v[180:181]
	s_waitcnt vmcnt(8) lgkmcnt(0)
	v_mul_f64 v[180:181], v[6:7], v[24:25]
	v_mul_f64 v[24:25], v[8:9], v[24:25]
	v_fma_f64 v[178:179], v[4:5], v[18:19], v[178:179]
	v_fma_f64 v[186:187], v[2:3], v[18:19], -v[20:21]
	ds_load_b128 v[2:5], v1 offset:896
	scratch_load_b128 v[18:21], off, off offset:368
	v_add_f64 v[174:175], v[174:175], v[184:185]
	v_add_f64 v[176:177], v[176:177], v[182:183]
	v_fma_f64 v[180:181], v[8:9], v[22:23], v[180:181]
	v_fma_f64 v[184:185], v[6:7], v[22:23], -v[24:25]
	scratch_load_b128 v[22:25], off, off offset:384
	ds_load_b128 v[6:9], v1 offset:912
	s_waitcnt vmcnt(9) lgkmcnt(1)
	v_mul_f64 v[182:183], v[2:3], v[28:29]
	v_mul_f64 v[28:29], v[4:5], v[28:29]
	v_add_f64 v[174:175], v[174:175], v[186:187]
	v_add_f64 v[176:177], v[176:177], v[178:179]
	s_waitcnt vmcnt(8) lgkmcnt(0)
	v_mul_f64 v[178:179], v[6:7], v[32:33]
	v_mul_f64 v[32:33], v[8:9], v[32:33]
	;; [unrolled: 18-line block ×6, first 2 shown]
	v_fma_f64 v[180:181], v[4:5], v[18:19], v[180:181]
	v_fma_f64 v[186:187], v[2:3], v[18:19], -v[20:21]
	ds_load_b128 v[2:5], v1 offset:1056
	scratch_load_b128 v[18:21], off, off offset:528
	v_add_f64 v[174:175], v[174:175], v[184:185]
	v_add_f64 v[176:177], v[176:177], v[178:179]
	v_fma_f64 v[182:183], v[8:9], v[22:23], v[182:183]
	v_fma_f64 v[184:185], v[6:7], v[22:23], -v[24:25]
	ds_load_b128 v[6:9], v1 offset:1072
	s_waitcnt vmcnt(8) lgkmcnt(1)
	v_mul_f64 v[178:179], v[2:3], v[28:29]
	v_mul_f64 v[28:29], v[4:5], v[28:29]
	scratch_load_b128 v[22:25], off, off offset:544
	v_add_f64 v[174:175], v[174:175], v[186:187]
	v_add_f64 v[176:177], v[176:177], v[180:181]
	s_waitcnt vmcnt(8) lgkmcnt(0)
	v_mul_f64 v[180:181], v[6:7], v[32:33]
	v_mul_f64 v[32:33], v[8:9], v[32:33]
	v_fma_f64 v[178:179], v[4:5], v[26:27], v[178:179]
	v_fma_f64 v[186:187], v[2:3], v[26:27], -v[28:29]
	ds_load_b128 v[2:5], v1 offset:1088
	scratch_load_b128 v[26:29], off, off offset:560
	v_add_f64 v[174:175], v[174:175], v[184:185]
	v_add_f64 v[176:177], v[176:177], v[182:183]
	v_fma_f64 v[180:181], v[8:9], v[30:31], v[180:181]
	v_fma_f64 v[184:185], v[6:7], v[30:31], -v[32:33]
	ds_load_b128 v[6:9], v1 offset:1104
	s_waitcnt vmcnt(8) lgkmcnt(1)
	v_mul_f64 v[182:183], v[2:3], v[36:37]
	v_mul_f64 v[36:37], v[4:5], v[36:37]
	scratch_load_b128 v[30:33], off, off offset:576
	v_add_f64 v[174:175], v[174:175], v[186:187]
	v_add_f64 v[176:177], v[176:177], v[178:179]
	s_waitcnt vmcnt(8) lgkmcnt(0)
	v_mul_f64 v[178:179], v[6:7], v[172:173]
	v_mul_f64 v[172:173], v[8:9], v[172:173]
	v_fma_f64 v[182:183], v[4:5], v[34:35], v[182:183]
	v_fma_f64 v[186:187], v[2:3], v[34:35], -v[36:37]
	scratch_load_b128 v[34:37], off, off offset:592
	ds_load_b128 v[2:5], v1 offset:1120
	v_add_f64 v[174:175], v[174:175], v[184:185]
	v_add_f64 v[176:177], v[176:177], v[180:181]
	v_fma_f64 v[178:179], v[8:9], v[170:171], v[178:179]
	v_fma_f64 v[184:185], v[6:7], v[170:171], -v[172:173]
	ds_load_b128 v[6:9], v1 offset:1136
	s_waitcnt vmcnt(8) lgkmcnt(1)
	v_mul_f64 v[180:181], v[2:3], v[40:41]
	v_mul_f64 v[40:41], v[4:5], v[40:41]
	scratch_load_b128 v[170:173], off, off offset:608
	v_add_f64 v[174:175], v[174:175], v[186:187]
	v_add_f64 v[176:177], v[176:177], v[182:183]
	s_waitcnt vmcnt(8) lgkmcnt(0)
	v_mul_f64 v[182:183], v[6:7], v[168:169]
	v_mul_f64 v[168:169], v[8:9], v[168:169]
	v_fma_f64 v[180:181], v[4:5], v[38:39], v[180:181]
	v_fma_f64 v[186:187], v[2:3], v[38:39], -v[40:41]
	scratch_load_b128 v[38:41], off, off offset:624
	ds_load_b128 v[2:5], v1 offset:1152
	v_add_f64 v[174:175], v[174:175], v[184:185]
	v_add_f64 v[176:177], v[176:177], v[178:179]
	v_fma_f64 v[182:183], v[8:9], v[166:167], v[182:183]
	v_fma_f64 v[184:185], v[6:7], v[166:167], -v[168:169]
	ds_load_b128 v[6:9], v1 offset:1168
	s_waitcnt vmcnt(8) lgkmcnt(1)
	v_mul_f64 v[178:179], v[2:3], v[12:13]
	v_mul_f64 v[12:13], v[4:5], v[12:13]
	scratch_load_b128 v[166:169], off, off offset:640
	v_add_f64 v[174:175], v[174:175], v[186:187]
	v_add_f64 v[176:177], v[176:177], v[180:181]
	s_waitcnt vmcnt(8) lgkmcnt(0)
	v_mul_f64 v[180:181], v[6:7], v[16:17]
	v_mul_f64 v[16:17], v[8:9], v[16:17]
	v_fma_f64 v[178:179], v[4:5], v[10:11], v[178:179]
	v_fma_f64 v[10:11], v[2:3], v[10:11], -v[12:13]
	ds_load_b128 v[2:5], v1 offset:1184
	v_add_f64 v[12:13], v[174:175], v[184:185]
	v_add_f64 v[174:175], v[176:177], v[182:183]
	v_fma_f64 v[180:181], v[8:9], v[14:15], v[180:181]
	v_fma_f64 v[14:15], v[6:7], v[14:15], -v[16:17]
	ds_load_b128 v[6:9], v1 offset:1200
	s_waitcnt vmcnt(7) lgkmcnt(1)
	v_mul_f64 v[176:177], v[2:3], v[20:21]
	v_mul_f64 v[20:21], v[4:5], v[20:21]
	v_add_f64 v[10:11], v[12:13], v[10:11]
	v_add_f64 v[12:13], v[174:175], v[178:179]
	s_delay_alu instid0(VALU_DEP_4) | instskip(NEXT) | instid1(VALU_DEP_4)
	v_fma_f64 v[174:175], v[4:5], v[18:19], v[176:177]
	v_fma_f64 v[18:19], v[2:3], v[18:19], -v[20:21]
	ds_load_b128 v[2:5], v1 offset:1216
	v_add_f64 v[14:15], v[10:11], v[14:15]
	v_add_f64 v[20:21], v[12:13], v[180:181]
	scratch_load_b128 v[10:13], off, off offset:128
	s_waitcnt vmcnt(7) lgkmcnt(1)
	v_mul_f64 v[16:17], v[6:7], v[24:25]
	v_mul_f64 v[24:25], v[8:9], v[24:25]
	v_add_f64 v[14:15], v[14:15], v[18:19]
	v_add_f64 v[18:19], v[20:21], v[174:175]
	s_delay_alu instid0(VALU_DEP_4) | instskip(NEXT) | instid1(VALU_DEP_4)
	v_fma_f64 v[16:17], v[8:9], v[22:23], v[16:17]
	v_fma_f64 v[22:23], v[6:7], v[22:23], -v[24:25]
	ds_load_b128 v[6:9], v1 offset:1232
	s_waitcnt vmcnt(6) lgkmcnt(1)
	v_mul_f64 v[176:177], v[2:3], v[28:29]
	v_mul_f64 v[28:29], v[4:5], v[28:29]
	s_waitcnt vmcnt(5) lgkmcnt(0)
	v_mul_f64 v[20:21], v[6:7], v[32:33]
	v_mul_f64 v[24:25], v[8:9], v[32:33]
	v_add_f64 v[16:17], v[18:19], v[16:17]
	v_add_f64 v[14:15], v[14:15], v[22:23]
	v_fma_f64 v[32:33], v[4:5], v[26:27], v[176:177]
	v_fma_f64 v[26:27], v[2:3], v[26:27], -v[28:29]
	ds_load_b128 v[2:5], v1 offset:1248
	v_fma_f64 v[20:21], v[8:9], v[30:31], v[20:21]
	v_fma_f64 v[24:25], v[6:7], v[30:31], -v[24:25]
	ds_load_b128 v[6:9], v1 offset:1264
	s_waitcnt vmcnt(4) lgkmcnt(1)
	v_mul_f64 v[18:19], v[2:3], v[36:37]
	v_mul_f64 v[22:23], v[4:5], v[36:37]
	v_add_f64 v[16:17], v[16:17], v[32:33]
	v_add_f64 v[14:15], v[14:15], v[26:27]
	s_waitcnt vmcnt(3) lgkmcnt(0)
	v_mul_f64 v[26:27], v[6:7], v[172:173]
	v_mul_f64 v[28:29], v[8:9], v[172:173]
	v_fma_f64 v[18:19], v[4:5], v[34:35], v[18:19]
	v_fma_f64 v[22:23], v[2:3], v[34:35], -v[22:23]
	ds_load_b128 v[2:5], v1 offset:1280
	v_add_f64 v[16:17], v[16:17], v[20:21]
	v_add_f64 v[14:15], v[14:15], v[24:25]
	v_fma_f64 v[26:27], v[8:9], v[170:171], v[26:27]
	v_fma_f64 v[28:29], v[6:7], v[170:171], -v[28:29]
	ds_load_b128 v[6:9], v1 offset:1296
	s_waitcnt vmcnt(2) lgkmcnt(1)
	v_mul_f64 v[20:21], v[2:3], v[40:41]
	v_mul_f64 v[24:25], v[4:5], v[40:41]
	v_add_f64 v[16:17], v[16:17], v[18:19]
	v_add_f64 v[14:15], v[14:15], v[22:23]
	s_waitcnt vmcnt(1) lgkmcnt(0)
	v_mul_f64 v[18:19], v[6:7], v[168:169]
	v_mul_f64 v[22:23], v[8:9], v[168:169]
	v_fma_f64 v[4:5], v[4:5], v[38:39], v[20:21]
	v_fma_f64 v[1:2], v[2:3], v[38:39], -v[24:25]
	v_add_f64 v[16:17], v[16:17], v[26:27]
	v_add_f64 v[14:15], v[14:15], v[28:29]
	v_fma_f64 v[8:9], v[8:9], v[166:167], v[18:19]
	v_fma_f64 v[6:7], v[6:7], v[166:167], -v[22:23]
	s_delay_alu instid0(VALU_DEP_4) | instskip(NEXT) | instid1(VALU_DEP_4)
	v_add_f64 v[3:4], v[16:17], v[4:5]
	v_add_f64 v[1:2], v[14:15], v[1:2]
	s_delay_alu instid0(VALU_DEP_2) | instskip(NEXT) | instid1(VALU_DEP_2)
	v_add_f64 v[3:4], v[3:4], v[8:9]
	v_add_f64 v[1:2], v[1:2], v[6:7]
	s_waitcnt vmcnt(0)
	s_delay_alu instid0(VALU_DEP_2) | instskip(NEXT) | instid1(VALU_DEP_2)
	v_add_f64 v[3:4], v[12:13], -v[3:4]
	v_add_f64 v[1:2], v[10:11], -v[1:2]
	scratch_store_b128 off, v[1:4], off offset:128
	v_cmpx_lt_u32_e32 7, v124
	s_cbranch_execz .LBB40_245
; %bb.244:
	scratch_load_b128 v[1:4], v162, off
	v_mov_b32_e32 v5, 0
	s_delay_alu instid0(VALU_DEP_1)
	v_mov_b32_e32 v6, v5
	v_mov_b32_e32 v7, v5
	;; [unrolled: 1-line block ×3, first 2 shown]
	scratch_store_b128 off, v[5:8], off offset:112
	s_waitcnt vmcnt(0)
	ds_store_b128 v165, v[1:4]
.LBB40_245:
	s_or_b32 exec_lo, exec_lo, s2
	s_waitcnt lgkmcnt(0)
	s_waitcnt_vscnt null, 0x0
	s_barrier
	buffer_gl0_inv
	s_clause 0x7
	scratch_load_b128 v[2:5], off, off offset:128
	scratch_load_b128 v[6:9], off, off offset:144
	;; [unrolled: 1-line block ×8, first 2 shown]
	v_mov_b32_e32 v1, 0
	s_clause 0x1
	scratch_load_b128 v[34:37], off, off offset:256
	scratch_load_b128 v[170:173], off, off offset:272
	s_mov_b32 s2, exec_lo
	ds_load_b128 v[38:41], v1 offset:784
	ds_load_b128 v[166:169], v1 offset:800
	s_waitcnt vmcnt(9) lgkmcnt(1)
	v_mul_f64 v[174:175], v[40:41], v[4:5]
	v_mul_f64 v[4:5], v[38:39], v[4:5]
	s_waitcnt vmcnt(8) lgkmcnt(0)
	v_mul_f64 v[176:177], v[166:167], v[8:9]
	v_mul_f64 v[8:9], v[168:169], v[8:9]
	s_delay_alu instid0(VALU_DEP_4) | instskip(NEXT) | instid1(VALU_DEP_4)
	v_fma_f64 v[174:175], v[38:39], v[2:3], -v[174:175]
	v_fma_f64 v[178:179], v[40:41], v[2:3], v[4:5]
	ds_load_b128 v[2:5], v1 offset:816
	scratch_load_b128 v[38:41], off, off offset:288
	v_fma_f64 v[176:177], v[168:169], v[6:7], v[176:177]
	v_fma_f64 v[182:183], v[166:167], v[6:7], -v[8:9]
	scratch_load_b128 v[166:169], off, off offset:304
	ds_load_b128 v[6:9], v1 offset:832
	s_waitcnt vmcnt(9) lgkmcnt(1)
	v_mul_f64 v[180:181], v[2:3], v[12:13]
	v_mul_f64 v[12:13], v[4:5], v[12:13]
	s_waitcnt vmcnt(8) lgkmcnt(0)
	v_mul_f64 v[184:185], v[6:7], v[16:17]
	v_mul_f64 v[16:17], v[8:9], v[16:17]
	v_add_f64 v[174:175], v[174:175], 0
	v_add_f64 v[178:179], v[178:179], 0
	v_fma_f64 v[180:181], v[4:5], v[10:11], v[180:181]
	v_fma_f64 v[186:187], v[2:3], v[10:11], -v[12:13]
	ds_load_b128 v[2:5], v1 offset:848
	scratch_load_b128 v[10:13], off, off offset:320
	v_add_f64 v[174:175], v[174:175], v[182:183]
	v_add_f64 v[176:177], v[178:179], v[176:177]
	v_fma_f64 v[182:183], v[8:9], v[14:15], v[184:185]
	v_fma_f64 v[184:185], v[6:7], v[14:15], -v[16:17]
	scratch_load_b128 v[14:17], off, off offset:336
	ds_load_b128 v[6:9], v1 offset:864
	s_waitcnt vmcnt(9) lgkmcnt(1)
	v_mul_f64 v[178:179], v[2:3], v[20:21]
	v_mul_f64 v[20:21], v[4:5], v[20:21]
	v_add_f64 v[174:175], v[174:175], v[186:187]
	v_add_f64 v[176:177], v[176:177], v[180:181]
	s_waitcnt vmcnt(8) lgkmcnt(0)
	v_mul_f64 v[180:181], v[6:7], v[24:25]
	v_mul_f64 v[24:25], v[8:9], v[24:25]
	v_fma_f64 v[178:179], v[4:5], v[18:19], v[178:179]
	v_fma_f64 v[186:187], v[2:3], v[18:19], -v[20:21]
	ds_load_b128 v[2:5], v1 offset:880
	scratch_load_b128 v[18:21], off, off offset:352
	v_add_f64 v[174:175], v[174:175], v[184:185]
	v_add_f64 v[176:177], v[176:177], v[182:183]
	v_fma_f64 v[180:181], v[8:9], v[22:23], v[180:181]
	v_fma_f64 v[184:185], v[6:7], v[22:23], -v[24:25]
	scratch_load_b128 v[22:25], off, off offset:368
	ds_load_b128 v[6:9], v1 offset:896
	s_waitcnt vmcnt(9) lgkmcnt(1)
	v_mul_f64 v[182:183], v[2:3], v[28:29]
	v_mul_f64 v[28:29], v[4:5], v[28:29]
	v_add_f64 v[174:175], v[174:175], v[186:187]
	v_add_f64 v[176:177], v[176:177], v[178:179]
	s_waitcnt vmcnt(8) lgkmcnt(0)
	v_mul_f64 v[178:179], v[6:7], v[32:33]
	v_mul_f64 v[32:33], v[8:9], v[32:33]
	;; [unrolled: 18-line block ×7, first 2 shown]
	v_fma_f64 v[178:179], v[4:5], v[26:27], v[178:179]
	v_fma_f64 v[186:187], v[2:3], v[26:27], -v[28:29]
	ds_load_b128 v[2:5], v1 offset:1072
	scratch_load_b128 v[26:29], off, off offset:544
	v_add_f64 v[174:175], v[174:175], v[184:185]
	v_add_f64 v[176:177], v[176:177], v[182:183]
	v_fma_f64 v[180:181], v[8:9], v[30:31], v[180:181]
	v_fma_f64 v[184:185], v[6:7], v[30:31], -v[32:33]
	ds_load_b128 v[6:9], v1 offset:1088
	s_waitcnt vmcnt(8) lgkmcnt(1)
	v_mul_f64 v[182:183], v[2:3], v[36:37]
	v_mul_f64 v[36:37], v[4:5], v[36:37]
	scratch_load_b128 v[30:33], off, off offset:560
	v_add_f64 v[174:175], v[174:175], v[186:187]
	v_add_f64 v[176:177], v[176:177], v[178:179]
	s_waitcnt vmcnt(8) lgkmcnt(0)
	v_mul_f64 v[178:179], v[6:7], v[172:173]
	v_mul_f64 v[172:173], v[8:9], v[172:173]
	v_fma_f64 v[182:183], v[4:5], v[34:35], v[182:183]
	v_fma_f64 v[186:187], v[2:3], v[34:35], -v[36:37]
	scratch_load_b128 v[34:37], off, off offset:576
	ds_load_b128 v[2:5], v1 offset:1104
	v_add_f64 v[174:175], v[174:175], v[184:185]
	v_add_f64 v[176:177], v[176:177], v[180:181]
	v_fma_f64 v[178:179], v[8:9], v[170:171], v[178:179]
	v_fma_f64 v[184:185], v[6:7], v[170:171], -v[172:173]
	ds_load_b128 v[6:9], v1 offset:1120
	s_waitcnt vmcnt(8) lgkmcnt(1)
	v_mul_f64 v[180:181], v[2:3], v[40:41]
	v_mul_f64 v[40:41], v[4:5], v[40:41]
	scratch_load_b128 v[170:173], off, off offset:592
	v_add_f64 v[174:175], v[174:175], v[186:187]
	v_add_f64 v[176:177], v[176:177], v[182:183]
	s_waitcnt vmcnt(8) lgkmcnt(0)
	v_mul_f64 v[182:183], v[6:7], v[168:169]
	v_mul_f64 v[168:169], v[8:9], v[168:169]
	v_fma_f64 v[180:181], v[4:5], v[38:39], v[180:181]
	v_fma_f64 v[186:187], v[2:3], v[38:39], -v[40:41]
	scratch_load_b128 v[38:41], off, off offset:608
	ds_load_b128 v[2:5], v1 offset:1136
	;; [unrolled: 18-line block ×3, first 2 shown]
	v_add_f64 v[174:175], v[174:175], v[184:185]
	v_add_f64 v[176:177], v[176:177], v[182:183]
	v_fma_f64 v[180:181], v[8:9], v[14:15], v[180:181]
	v_fma_f64 v[14:15], v[6:7], v[14:15], -v[16:17]
	ds_load_b128 v[6:9], v1 offset:1184
	s_waitcnt vmcnt(8) lgkmcnt(1)
	v_mul_f64 v[182:183], v[2:3], v[20:21]
	v_mul_f64 v[20:21], v[4:5], v[20:21]
	v_add_f64 v[16:17], v[174:175], v[186:187]
	v_add_f64 v[174:175], v[176:177], v[178:179]
	s_waitcnt vmcnt(7) lgkmcnt(0)
	v_mul_f64 v[176:177], v[6:7], v[24:25]
	v_mul_f64 v[24:25], v[8:9], v[24:25]
	v_fma_f64 v[178:179], v[4:5], v[18:19], v[182:183]
	v_fma_f64 v[18:19], v[2:3], v[18:19], -v[20:21]
	ds_load_b128 v[2:5], v1 offset:1200
	v_add_f64 v[14:15], v[16:17], v[14:15]
	v_add_f64 v[16:17], v[174:175], v[180:181]
	v_fma_f64 v[174:175], v[8:9], v[22:23], v[176:177]
	v_fma_f64 v[22:23], v[6:7], v[22:23], -v[24:25]
	ds_load_b128 v[6:9], v1 offset:1216
	s_waitcnt vmcnt(5) lgkmcnt(0)
	v_mul_f64 v[176:177], v[6:7], v[32:33]
	v_mul_f64 v[32:33], v[8:9], v[32:33]
	v_add_f64 v[18:19], v[14:15], v[18:19]
	v_add_f64 v[24:25], v[16:17], v[178:179]
	scratch_load_b128 v[14:17], off, off offset:112
	v_mul_f64 v[20:21], v[2:3], v[28:29]
	v_mul_f64 v[28:29], v[4:5], v[28:29]
	v_add_f64 v[18:19], v[18:19], v[22:23]
	v_add_f64 v[22:23], v[24:25], v[174:175]
	s_delay_alu instid0(VALU_DEP_4) | instskip(NEXT) | instid1(VALU_DEP_4)
	v_fma_f64 v[20:21], v[4:5], v[26:27], v[20:21]
	v_fma_f64 v[26:27], v[2:3], v[26:27], -v[28:29]
	ds_load_b128 v[2:5], v1 offset:1232
	s_waitcnt vmcnt(5) lgkmcnt(0)
	v_mul_f64 v[24:25], v[2:3], v[36:37]
	v_mul_f64 v[28:29], v[4:5], v[36:37]
	v_fma_f64 v[36:37], v[8:9], v[30:31], v[176:177]
	v_fma_f64 v[30:31], v[6:7], v[30:31], -v[32:33]
	ds_load_b128 v[6:9], v1 offset:1248
	v_add_f64 v[20:21], v[22:23], v[20:21]
	v_add_f64 v[18:19], v[18:19], v[26:27]
	v_fma_f64 v[24:25], v[4:5], v[34:35], v[24:25]
	v_fma_f64 v[28:29], v[2:3], v[34:35], -v[28:29]
	ds_load_b128 v[2:5], v1 offset:1264
	s_waitcnt vmcnt(4) lgkmcnt(1)
	v_mul_f64 v[22:23], v[6:7], v[172:173]
	v_mul_f64 v[26:27], v[8:9], v[172:173]
	v_add_f64 v[20:21], v[20:21], v[36:37]
	v_add_f64 v[18:19], v[18:19], v[30:31]
	s_waitcnt vmcnt(3) lgkmcnt(0)
	v_mul_f64 v[30:31], v[2:3], v[40:41]
	v_mul_f64 v[32:33], v[4:5], v[40:41]
	v_fma_f64 v[22:23], v[8:9], v[170:171], v[22:23]
	v_fma_f64 v[26:27], v[6:7], v[170:171], -v[26:27]
	ds_load_b128 v[6:9], v1 offset:1280
	v_add_f64 v[20:21], v[20:21], v[24:25]
	v_add_f64 v[18:19], v[18:19], v[28:29]
	v_fma_f64 v[30:31], v[4:5], v[38:39], v[30:31]
	v_fma_f64 v[32:33], v[2:3], v[38:39], -v[32:33]
	ds_load_b128 v[2:5], v1 offset:1296
	s_waitcnt vmcnt(2) lgkmcnt(1)
	v_mul_f64 v[24:25], v[6:7], v[168:169]
	v_mul_f64 v[28:29], v[8:9], v[168:169]
	v_add_f64 v[20:21], v[20:21], v[22:23]
	v_add_f64 v[18:19], v[18:19], v[26:27]
	s_waitcnt vmcnt(1) lgkmcnt(0)
	v_mul_f64 v[22:23], v[2:3], v[12:13]
	v_mul_f64 v[12:13], v[4:5], v[12:13]
	v_fma_f64 v[8:9], v[8:9], v[166:167], v[24:25]
	v_fma_f64 v[6:7], v[6:7], v[166:167], -v[28:29]
	v_add_f64 v[20:21], v[20:21], v[30:31]
	v_add_f64 v[18:19], v[18:19], v[32:33]
	v_fma_f64 v[4:5], v[4:5], v[10:11], v[22:23]
	v_fma_f64 v[2:3], v[2:3], v[10:11], -v[12:13]
	s_delay_alu instid0(VALU_DEP_4) | instskip(NEXT) | instid1(VALU_DEP_4)
	v_add_f64 v[8:9], v[20:21], v[8:9]
	v_add_f64 v[6:7], v[18:19], v[6:7]
	s_delay_alu instid0(VALU_DEP_2) | instskip(NEXT) | instid1(VALU_DEP_2)
	v_add_f64 v[4:5], v[8:9], v[4:5]
	v_add_f64 v[2:3], v[6:7], v[2:3]
	s_waitcnt vmcnt(0)
	s_delay_alu instid0(VALU_DEP_2) | instskip(NEXT) | instid1(VALU_DEP_2)
	v_add_f64 v[4:5], v[16:17], -v[4:5]
	v_add_f64 v[2:3], v[14:15], -v[2:3]
	scratch_store_b128 off, v[2:5], off offset:112
	v_cmpx_lt_u32_e32 6, v124
	s_cbranch_execz .LBB40_247
; %bb.246:
	scratch_load_b128 v[5:8], v163, off
	v_mov_b32_e32 v2, v1
	v_mov_b32_e32 v3, v1
	v_mov_b32_e32 v4, v1
	scratch_store_b128 off, v[1:4], off offset:96
	s_waitcnt vmcnt(0)
	ds_store_b128 v165, v[5:8]
.LBB40_247:
	s_or_b32 exec_lo, exec_lo, s2
	s_waitcnt lgkmcnt(0)
	s_waitcnt_vscnt null, 0x0
	s_barrier
	buffer_gl0_inv
	s_clause 0x7
	scratch_load_b128 v[2:5], off, off offset:112
	scratch_load_b128 v[6:9], off, off offset:128
	;; [unrolled: 1-line block ×8, first 2 shown]
	ds_load_b128 v[38:41], v1 offset:768
	ds_load_b128 v[166:169], v1 offset:784
	s_clause 0x1
	scratch_load_b128 v[34:37], off, off offset:240
	scratch_load_b128 v[170:173], off, off offset:256
	s_mov_b32 s2, exec_lo
	s_waitcnt vmcnt(9) lgkmcnt(1)
	v_mul_f64 v[174:175], v[40:41], v[4:5]
	v_mul_f64 v[4:5], v[38:39], v[4:5]
	s_waitcnt vmcnt(8) lgkmcnt(0)
	v_mul_f64 v[176:177], v[166:167], v[8:9]
	v_mul_f64 v[8:9], v[168:169], v[8:9]
	s_delay_alu instid0(VALU_DEP_4) | instskip(NEXT) | instid1(VALU_DEP_4)
	v_fma_f64 v[174:175], v[38:39], v[2:3], -v[174:175]
	v_fma_f64 v[178:179], v[40:41], v[2:3], v[4:5]
	ds_load_b128 v[2:5], v1 offset:800
	scratch_load_b128 v[38:41], off, off offset:272
	v_fma_f64 v[176:177], v[168:169], v[6:7], v[176:177]
	v_fma_f64 v[182:183], v[166:167], v[6:7], -v[8:9]
	scratch_load_b128 v[166:169], off, off offset:288
	ds_load_b128 v[6:9], v1 offset:816
	s_waitcnt vmcnt(9) lgkmcnt(1)
	v_mul_f64 v[180:181], v[2:3], v[12:13]
	v_mul_f64 v[12:13], v[4:5], v[12:13]
	s_waitcnt vmcnt(8) lgkmcnt(0)
	v_mul_f64 v[184:185], v[6:7], v[16:17]
	v_mul_f64 v[16:17], v[8:9], v[16:17]
	v_add_f64 v[174:175], v[174:175], 0
	v_add_f64 v[178:179], v[178:179], 0
	v_fma_f64 v[180:181], v[4:5], v[10:11], v[180:181]
	v_fma_f64 v[186:187], v[2:3], v[10:11], -v[12:13]
	ds_load_b128 v[2:5], v1 offset:832
	scratch_load_b128 v[10:13], off, off offset:304
	v_add_f64 v[174:175], v[174:175], v[182:183]
	v_add_f64 v[176:177], v[178:179], v[176:177]
	v_fma_f64 v[182:183], v[8:9], v[14:15], v[184:185]
	v_fma_f64 v[184:185], v[6:7], v[14:15], -v[16:17]
	scratch_load_b128 v[14:17], off, off offset:320
	ds_load_b128 v[6:9], v1 offset:848
	s_waitcnt vmcnt(9) lgkmcnt(1)
	v_mul_f64 v[178:179], v[2:3], v[20:21]
	v_mul_f64 v[20:21], v[4:5], v[20:21]
	v_add_f64 v[174:175], v[174:175], v[186:187]
	v_add_f64 v[176:177], v[176:177], v[180:181]
	s_waitcnt vmcnt(8) lgkmcnt(0)
	v_mul_f64 v[180:181], v[6:7], v[24:25]
	v_mul_f64 v[24:25], v[8:9], v[24:25]
	v_fma_f64 v[178:179], v[4:5], v[18:19], v[178:179]
	v_fma_f64 v[186:187], v[2:3], v[18:19], -v[20:21]
	ds_load_b128 v[2:5], v1 offset:864
	scratch_load_b128 v[18:21], off, off offset:336
	v_add_f64 v[174:175], v[174:175], v[184:185]
	v_add_f64 v[176:177], v[176:177], v[182:183]
	v_fma_f64 v[180:181], v[8:9], v[22:23], v[180:181]
	v_fma_f64 v[184:185], v[6:7], v[22:23], -v[24:25]
	scratch_load_b128 v[22:25], off, off offset:352
	ds_load_b128 v[6:9], v1 offset:880
	s_waitcnt vmcnt(9) lgkmcnt(1)
	v_mul_f64 v[182:183], v[2:3], v[28:29]
	v_mul_f64 v[28:29], v[4:5], v[28:29]
	v_add_f64 v[174:175], v[174:175], v[186:187]
	v_add_f64 v[176:177], v[176:177], v[178:179]
	s_waitcnt vmcnt(8) lgkmcnt(0)
	v_mul_f64 v[178:179], v[6:7], v[32:33]
	v_mul_f64 v[32:33], v[8:9], v[32:33]
	v_fma_f64 v[182:183], v[4:5], v[26:27], v[182:183]
	v_fma_f64 v[186:187], v[2:3], v[26:27], -v[28:29]
	ds_load_b128 v[2:5], v1 offset:896
	scratch_load_b128 v[26:29], off, off offset:368
	v_add_f64 v[174:175], v[174:175], v[184:185]
	v_add_f64 v[176:177], v[176:177], v[180:181]
	v_fma_f64 v[178:179], v[8:9], v[30:31], v[178:179]
	v_fma_f64 v[184:185], v[6:7], v[30:31], -v[32:33]
	scratch_load_b128 v[30:33], off, off offset:384
	ds_load_b128 v[6:9], v1 offset:912
	s_waitcnt vmcnt(9) lgkmcnt(1)
	v_mul_f64 v[180:181], v[2:3], v[36:37]
	v_mul_f64 v[36:37], v[4:5], v[36:37]
	v_add_f64 v[174:175], v[174:175], v[186:187]
	v_add_f64 v[176:177], v[176:177], v[182:183]
	s_waitcnt vmcnt(8) lgkmcnt(0)
	v_mul_f64 v[182:183], v[6:7], v[172:173]
	v_mul_f64 v[172:173], v[8:9], v[172:173]
	v_fma_f64 v[180:181], v[4:5], v[34:35], v[180:181]
	v_fma_f64 v[186:187], v[2:3], v[34:35], -v[36:37]
	ds_load_b128 v[2:5], v1 offset:928
	scratch_load_b128 v[34:37], off, off offset:400
	v_add_f64 v[174:175], v[174:175], v[184:185]
	v_add_f64 v[176:177], v[176:177], v[178:179]
	v_fma_f64 v[182:183], v[8:9], v[170:171], v[182:183]
	v_fma_f64 v[184:185], v[6:7], v[170:171], -v[172:173]
	scratch_load_b128 v[170:173], off, off offset:416
	ds_load_b128 v[6:9], v1 offset:944
	s_waitcnt vmcnt(9) lgkmcnt(1)
	v_mul_f64 v[178:179], v[2:3], v[40:41]
	v_mul_f64 v[40:41], v[4:5], v[40:41]
	v_add_f64 v[174:175], v[174:175], v[186:187]
	v_add_f64 v[176:177], v[176:177], v[180:181]
	s_waitcnt vmcnt(8) lgkmcnt(0)
	v_mul_f64 v[180:181], v[6:7], v[168:169]
	v_mul_f64 v[168:169], v[8:9], v[168:169]
	v_fma_f64 v[178:179], v[4:5], v[38:39], v[178:179]
	v_fma_f64 v[186:187], v[2:3], v[38:39], -v[40:41]
	ds_load_b128 v[2:5], v1 offset:960
	scratch_load_b128 v[38:41], off, off offset:432
	v_add_f64 v[174:175], v[174:175], v[184:185]
	v_add_f64 v[176:177], v[176:177], v[182:183]
	v_fma_f64 v[180:181], v[8:9], v[166:167], v[180:181]
	v_fma_f64 v[184:185], v[6:7], v[166:167], -v[168:169]
	scratch_load_b128 v[166:169], off, off offset:448
	ds_load_b128 v[6:9], v1 offset:976
	s_waitcnt vmcnt(9) lgkmcnt(1)
	v_mul_f64 v[182:183], v[2:3], v[12:13]
	v_mul_f64 v[12:13], v[4:5], v[12:13]
	v_add_f64 v[174:175], v[174:175], v[186:187]
	v_add_f64 v[176:177], v[176:177], v[178:179]
	s_waitcnt vmcnt(8) lgkmcnt(0)
	v_mul_f64 v[178:179], v[6:7], v[16:17]
	v_mul_f64 v[16:17], v[8:9], v[16:17]
	v_fma_f64 v[182:183], v[4:5], v[10:11], v[182:183]
	v_fma_f64 v[186:187], v[2:3], v[10:11], -v[12:13]
	ds_load_b128 v[2:5], v1 offset:992
	scratch_load_b128 v[10:13], off, off offset:464
	v_add_f64 v[174:175], v[174:175], v[184:185]
	v_add_f64 v[176:177], v[176:177], v[180:181]
	v_fma_f64 v[178:179], v[8:9], v[14:15], v[178:179]
	v_fma_f64 v[184:185], v[6:7], v[14:15], -v[16:17]
	scratch_load_b128 v[14:17], off, off offset:480
	ds_load_b128 v[6:9], v1 offset:1008
	s_waitcnt vmcnt(9) lgkmcnt(1)
	v_mul_f64 v[180:181], v[2:3], v[20:21]
	v_mul_f64 v[20:21], v[4:5], v[20:21]
	v_add_f64 v[174:175], v[174:175], v[186:187]
	v_add_f64 v[176:177], v[176:177], v[182:183]
	s_waitcnt vmcnt(8) lgkmcnt(0)
	v_mul_f64 v[182:183], v[6:7], v[24:25]
	v_mul_f64 v[24:25], v[8:9], v[24:25]
	v_fma_f64 v[180:181], v[4:5], v[18:19], v[180:181]
	v_fma_f64 v[186:187], v[2:3], v[18:19], -v[20:21]
	ds_load_b128 v[2:5], v1 offset:1024
	scratch_load_b128 v[18:21], off, off offset:496
	v_add_f64 v[174:175], v[174:175], v[184:185]
	v_add_f64 v[176:177], v[176:177], v[178:179]
	v_fma_f64 v[182:183], v[8:9], v[22:23], v[182:183]
	v_fma_f64 v[184:185], v[6:7], v[22:23], -v[24:25]
	scratch_load_b128 v[22:25], off, off offset:512
	ds_load_b128 v[6:9], v1 offset:1040
	s_waitcnt vmcnt(9) lgkmcnt(1)
	v_mul_f64 v[178:179], v[2:3], v[28:29]
	v_mul_f64 v[28:29], v[4:5], v[28:29]
	v_add_f64 v[174:175], v[174:175], v[186:187]
	v_add_f64 v[176:177], v[176:177], v[180:181]
	s_waitcnt vmcnt(8) lgkmcnt(0)
	v_mul_f64 v[180:181], v[6:7], v[32:33]
	v_mul_f64 v[32:33], v[8:9], v[32:33]
	v_fma_f64 v[178:179], v[4:5], v[26:27], v[178:179]
	v_fma_f64 v[186:187], v[2:3], v[26:27], -v[28:29]
	ds_load_b128 v[2:5], v1 offset:1056
	scratch_load_b128 v[26:29], off, off offset:528
	v_add_f64 v[174:175], v[174:175], v[184:185]
	v_add_f64 v[176:177], v[176:177], v[182:183]
	v_fma_f64 v[180:181], v[8:9], v[30:31], v[180:181]
	v_fma_f64 v[184:185], v[6:7], v[30:31], -v[32:33]
	ds_load_b128 v[6:9], v1 offset:1072
	s_waitcnt vmcnt(8) lgkmcnt(1)
	v_mul_f64 v[182:183], v[2:3], v[36:37]
	v_mul_f64 v[36:37], v[4:5], v[36:37]
	scratch_load_b128 v[30:33], off, off offset:544
	v_add_f64 v[174:175], v[174:175], v[186:187]
	v_add_f64 v[176:177], v[176:177], v[178:179]
	s_waitcnt vmcnt(8) lgkmcnt(0)
	v_mul_f64 v[178:179], v[6:7], v[172:173]
	v_mul_f64 v[172:173], v[8:9], v[172:173]
	v_fma_f64 v[182:183], v[4:5], v[34:35], v[182:183]
	v_fma_f64 v[186:187], v[2:3], v[34:35], -v[36:37]
	ds_load_b128 v[2:5], v1 offset:1088
	scratch_load_b128 v[34:37], off, off offset:560
	v_add_f64 v[174:175], v[174:175], v[184:185]
	v_add_f64 v[176:177], v[176:177], v[180:181]
	v_fma_f64 v[178:179], v[8:9], v[170:171], v[178:179]
	v_fma_f64 v[184:185], v[6:7], v[170:171], -v[172:173]
	ds_load_b128 v[6:9], v1 offset:1104
	s_waitcnt vmcnt(8) lgkmcnt(1)
	v_mul_f64 v[180:181], v[2:3], v[40:41]
	v_mul_f64 v[40:41], v[4:5], v[40:41]
	scratch_load_b128 v[170:173], off, off offset:576
	v_add_f64 v[174:175], v[174:175], v[186:187]
	v_add_f64 v[176:177], v[176:177], v[182:183]
	s_waitcnt vmcnt(8) lgkmcnt(0)
	v_mul_f64 v[182:183], v[6:7], v[168:169]
	v_mul_f64 v[168:169], v[8:9], v[168:169]
	v_fma_f64 v[180:181], v[4:5], v[38:39], v[180:181]
	v_fma_f64 v[186:187], v[2:3], v[38:39], -v[40:41]
	scratch_load_b128 v[38:41], off, off offset:592
	ds_load_b128 v[2:5], v1 offset:1120
	v_add_f64 v[174:175], v[174:175], v[184:185]
	v_add_f64 v[176:177], v[176:177], v[178:179]
	v_fma_f64 v[182:183], v[8:9], v[166:167], v[182:183]
	v_fma_f64 v[184:185], v[6:7], v[166:167], -v[168:169]
	ds_load_b128 v[6:9], v1 offset:1136
	s_waitcnt vmcnt(8) lgkmcnt(1)
	v_mul_f64 v[178:179], v[2:3], v[12:13]
	v_mul_f64 v[12:13], v[4:5], v[12:13]
	scratch_load_b128 v[166:169], off, off offset:608
	v_add_f64 v[174:175], v[174:175], v[186:187]
	v_add_f64 v[176:177], v[176:177], v[180:181]
	s_waitcnt vmcnt(8) lgkmcnt(0)
	v_mul_f64 v[180:181], v[6:7], v[16:17]
	v_mul_f64 v[16:17], v[8:9], v[16:17]
	v_fma_f64 v[178:179], v[4:5], v[10:11], v[178:179]
	v_fma_f64 v[186:187], v[2:3], v[10:11], -v[12:13]
	scratch_load_b128 v[10:13], off, off offset:624
	ds_load_b128 v[2:5], v1 offset:1152
	v_add_f64 v[174:175], v[174:175], v[184:185]
	v_add_f64 v[176:177], v[176:177], v[182:183]
	v_fma_f64 v[180:181], v[8:9], v[14:15], v[180:181]
	v_fma_f64 v[184:185], v[6:7], v[14:15], -v[16:17]
	ds_load_b128 v[6:9], v1 offset:1168
	s_waitcnt vmcnt(8) lgkmcnt(1)
	v_mul_f64 v[182:183], v[2:3], v[20:21]
	v_mul_f64 v[20:21], v[4:5], v[20:21]
	scratch_load_b128 v[14:17], off, off offset:640
	v_add_f64 v[174:175], v[174:175], v[186:187]
	v_add_f64 v[176:177], v[176:177], v[178:179]
	s_waitcnt vmcnt(8) lgkmcnt(0)
	v_mul_f64 v[178:179], v[6:7], v[24:25]
	v_mul_f64 v[24:25], v[8:9], v[24:25]
	v_fma_f64 v[182:183], v[4:5], v[18:19], v[182:183]
	v_fma_f64 v[18:19], v[2:3], v[18:19], -v[20:21]
	ds_load_b128 v[2:5], v1 offset:1184
	v_add_f64 v[20:21], v[174:175], v[184:185]
	v_add_f64 v[174:175], v[176:177], v[180:181]
	v_fma_f64 v[178:179], v[8:9], v[22:23], v[178:179]
	v_fma_f64 v[22:23], v[6:7], v[22:23], -v[24:25]
	ds_load_b128 v[6:9], v1 offset:1200
	s_waitcnt vmcnt(7) lgkmcnt(1)
	v_mul_f64 v[176:177], v[2:3], v[28:29]
	v_mul_f64 v[28:29], v[4:5], v[28:29]
	v_add_f64 v[18:19], v[20:21], v[18:19]
	v_add_f64 v[20:21], v[174:175], v[182:183]
	s_delay_alu instid0(VALU_DEP_4) | instskip(NEXT) | instid1(VALU_DEP_4)
	v_fma_f64 v[174:175], v[4:5], v[26:27], v[176:177]
	v_fma_f64 v[26:27], v[2:3], v[26:27], -v[28:29]
	ds_load_b128 v[2:5], v1 offset:1216
	v_add_f64 v[22:23], v[18:19], v[22:23]
	v_add_f64 v[28:29], v[20:21], v[178:179]
	scratch_load_b128 v[18:21], off, off offset:96
	s_waitcnt vmcnt(7) lgkmcnt(1)
	v_mul_f64 v[24:25], v[6:7], v[32:33]
	v_mul_f64 v[32:33], v[8:9], v[32:33]
	v_add_f64 v[22:23], v[22:23], v[26:27]
	v_add_f64 v[26:27], v[28:29], v[174:175]
	s_delay_alu instid0(VALU_DEP_4) | instskip(NEXT) | instid1(VALU_DEP_4)
	v_fma_f64 v[24:25], v[8:9], v[30:31], v[24:25]
	v_fma_f64 v[30:31], v[6:7], v[30:31], -v[32:33]
	ds_load_b128 v[6:9], v1 offset:1232
	s_waitcnt vmcnt(6) lgkmcnt(1)
	v_mul_f64 v[176:177], v[2:3], v[36:37]
	v_mul_f64 v[36:37], v[4:5], v[36:37]
	s_waitcnt vmcnt(5) lgkmcnt(0)
	v_mul_f64 v[28:29], v[6:7], v[172:173]
	v_mul_f64 v[32:33], v[8:9], v[172:173]
	v_add_f64 v[24:25], v[26:27], v[24:25]
	v_add_f64 v[22:23], v[22:23], v[30:31]
	v_fma_f64 v[172:173], v[4:5], v[34:35], v[176:177]
	v_fma_f64 v[34:35], v[2:3], v[34:35], -v[36:37]
	ds_load_b128 v[2:5], v1 offset:1248
	v_fma_f64 v[28:29], v[8:9], v[170:171], v[28:29]
	v_fma_f64 v[32:33], v[6:7], v[170:171], -v[32:33]
	ds_load_b128 v[6:9], v1 offset:1264
	s_waitcnt vmcnt(4) lgkmcnt(1)
	v_mul_f64 v[26:27], v[2:3], v[40:41]
	v_mul_f64 v[30:31], v[4:5], v[40:41]
	v_add_f64 v[24:25], v[24:25], v[172:173]
	v_add_f64 v[22:23], v[22:23], v[34:35]
	s_waitcnt vmcnt(3) lgkmcnt(0)
	v_mul_f64 v[34:35], v[6:7], v[168:169]
	v_mul_f64 v[36:37], v[8:9], v[168:169]
	v_fma_f64 v[26:27], v[4:5], v[38:39], v[26:27]
	v_fma_f64 v[30:31], v[2:3], v[38:39], -v[30:31]
	ds_load_b128 v[2:5], v1 offset:1280
	v_add_f64 v[24:25], v[24:25], v[28:29]
	v_add_f64 v[22:23], v[22:23], v[32:33]
	v_fma_f64 v[32:33], v[8:9], v[166:167], v[34:35]
	v_fma_f64 v[34:35], v[6:7], v[166:167], -v[36:37]
	ds_load_b128 v[6:9], v1 offset:1296
	s_waitcnt vmcnt(2) lgkmcnt(1)
	v_mul_f64 v[28:29], v[2:3], v[12:13]
	v_mul_f64 v[12:13], v[4:5], v[12:13]
	v_add_f64 v[24:25], v[24:25], v[26:27]
	v_add_f64 v[22:23], v[22:23], v[30:31]
	s_waitcnt vmcnt(1) lgkmcnt(0)
	v_mul_f64 v[26:27], v[6:7], v[16:17]
	v_mul_f64 v[16:17], v[8:9], v[16:17]
	v_fma_f64 v[4:5], v[4:5], v[10:11], v[28:29]
	v_fma_f64 v[1:2], v[2:3], v[10:11], -v[12:13]
	v_add_f64 v[12:13], v[24:25], v[32:33]
	v_add_f64 v[10:11], v[22:23], v[34:35]
	v_fma_f64 v[8:9], v[8:9], v[14:15], v[26:27]
	v_fma_f64 v[6:7], v[6:7], v[14:15], -v[16:17]
	s_delay_alu instid0(VALU_DEP_4) | instskip(NEXT) | instid1(VALU_DEP_4)
	v_add_f64 v[3:4], v[12:13], v[4:5]
	v_add_f64 v[1:2], v[10:11], v[1:2]
	s_delay_alu instid0(VALU_DEP_2) | instskip(NEXT) | instid1(VALU_DEP_2)
	v_add_f64 v[3:4], v[3:4], v[8:9]
	v_add_f64 v[1:2], v[1:2], v[6:7]
	s_waitcnt vmcnt(0)
	s_delay_alu instid0(VALU_DEP_2) | instskip(NEXT) | instid1(VALU_DEP_2)
	v_add_f64 v[3:4], v[20:21], -v[3:4]
	v_add_f64 v[1:2], v[18:19], -v[1:2]
	scratch_store_b128 off, v[1:4], off offset:96
	v_cmpx_lt_u32_e32 5, v124
	s_cbranch_execz .LBB40_249
; %bb.248:
	scratch_load_b128 v[1:4], v164, off
	v_mov_b32_e32 v5, 0
	s_delay_alu instid0(VALU_DEP_1)
	v_mov_b32_e32 v6, v5
	v_mov_b32_e32 v7, v5
	;; [unrolled: 1-line block ×3, first 2 shown]
	scratch_store_b128 off, v[5:8], off offset:80
	s_waitcnt vmcnt(0)
	ds_store_b128 v165, v[1:4]
.LBB40_249:
	s_or_b32 exec_lo, exec_lo, s2
	s_waitcnt lgkmcnt(0)
	s_waitcnt_vscnt null, 0x0
	s_barrier
	buffer_gl0_inv
	s_clause 0x7
	scratch_load_b128 v[2:5], off, off offset:96
	scratch_load_b128 v[6:9], off, off offset:112
	;; [unrolled: 1-line block ×8, first 2 shown]
	v_mov_b32_e32 v1, 0
	s_clause 0x1
	scratch_load_b128 v[34:37], off, off offset:224
	scratch_load_b128 v[170:173], off, off offset:240
	s_mov_b32 s2, exec_lo
	ds_load_b128 v[38:41], v1 offset:752
	ds_load_b128 v[166:169], v1 offset:768
	s_waitcnt vmcnt(9) lgkmcnt(1)
	v_mul_f64 v[174:175], v[40:41], v[4:5]
	v_mul_f64 v[4:5], v[38:39], v[4:5]
	s_waitcnt vmcnt(8) lgkmcnt(0)
	v_mul_f64 v[176:177], v[166:167], v[8:9]
	v_mul_f64 v[8:9], v[168:169], v[8:9]
	s_delay_alu instid0(VALU_DEP_4) | instskip(NEXT) | instid1(VALU_DEP_4)
	v_fma_f64 v[174:175], v[38:39], v[2:3], -v[174:175]
	v_fma_f64 v[178:179], v[40:41], v[2:3], v[4:5]
	ds_load_b128 v[2:5], v1 offset:784
	scratch_load_b128 v[38:41], off, off offset:256
	v_fma_f64 v[176:177], v[168:169], v[6:7], v[176:177]
	v_fma_f64 v[182:183], v[166:167], v[6:7], -v[8:9]
	scratch_load_b128 v[166:169], off, off offset:272
	ds_load_b128 v[6:9], v1 offset:800
	s_waitcnt vmcnt(9) lgkmcnt(1)
	v_mul_f64 v[180:181], v[2:3], v[12:13]
	v_mul_f64 v[12:13], v[4:5], v[12:13]
	s_waitcnt vmcnt(8) lgkmcnt(0)
	v_mul_f64 v[184:185], v[6:7], v[16:17]
	v_mul_f64 v[16:17], v[8:9], v[16:17]
	v_add_f64 v[174:175], v[174:175], 0
	v_add_f64 v[178:179], v[178:179], 0
	v_fma_f64 v[180:181], v[4:5], v[10:11], v[180:181]
	v_fma_f64 v[186:187], v[2:3], v[10:11], -v[12:13]
	ds_load_b128 v[2:5], v1 offset:816
	scratch_load_b128 v[10:13], off, off offset:288
	v_add_f64 v[174:175], v[174:175], v[182:183]
	v_add_f64 v[176:177], v[178:179], v[176:177]
	v_fma_f64 v[182:183], v[8:9], v[14:15], v[184:185]
	v_fma_f64 v[184:185], v[6:7], v[14:15], -v[16:17]
	scratch_load_b128 v[14:17], off, off offset:304
	ds_load_b128 v[6:9], v1 offset:832
	s_waitcnt vmcnt(9) lgkmcnt(1)
	v_mul_f64 v[178:179], v[2:3], v[20:21]
	v_mul_f64 v[20:21], v[4:5], v[20:21]
	v_add_f64 v[174:175], v[174:175], v[186:187]
	v_add_f64 v[176:177], v[176:177], v[180:181]
	s_waitcnt vmcnt(8) lgkmcnt(0)
	v_mul_f64 v[180:181], v[6:7], v[24:25]
	v_mul_f64 v[24:25], v[8:9], v[24:25]
	v_fma_f64 v[178:179], v[4:5], v[18:19], v[178:179]
	v_fma_f64 v[186:187], v[2:3], v[18:19], -v[20:21]
	ds_load_b128 v[2:5], v1 offset:848
	scratch_load_b128 v[18:21], off, off offset:320
	v_add_f64 v[174:175], v[174:175], v[184:185]
	v_add_f64 v[176:177], v[176:177], v[182:183]
	v_fma_f64 v[180:181], v[8:9], v[22:23], v[180:181]
	v_fma_f64 v[184:185], v[6:7], v[22:23], -v[24:25]
	scratch_load_b128 v[22:25], off, off offset:336
	ds_load_b128 v[6:9], v1 offset:864
	s_waitcnt vmcnt(9) lgkmcnt(1)
	v_mul_f64 v[182:183], v[2:3], v[28:29]
	v_mul_f64 v[28:29], v[4:5], v[28:29]
	v_add_f64 v[174:175], v[174:175], v[186:187]
	v_add_f64 v[176:177], v[176:177], v[178:179]
	s_waitcnt vmcnt(8) lgkmcnt(0)
	v_mul_f64 v[178:179], v[6:7], v[32:33]
	v_mul_f64 v[32:33], v[8:9], v[32:33]
	;; [unrolled: 18-line block ×8, first 2 shown]
	v_fma_f64 v[182:183], v[4:5], v[34:35], v[182:183]
	v_fma_f64 v[186:187], v[2:3], v[34:35], -v[36:37]
	ds_load_b128 v[2:5], v1 offset:1072
	scratch_load_b128 v[34:37], off, off offset:544
	v_add_f64 v[174:175], v[174:175], v[184:185]
	v_add_f64 v[176:177], v[176:177], v[180:181]
	v_fma_f64 v[178:179], v[8:9], v[170:171], v[178:179]
	v_fma_f64 v[184:185], v[6:7], v[170:171], -v[172:173]
	ds_load_b128 v[6:9], v1 offset:1088
	s_waitcnt vmcnt(8) lgkmcnt(1)
	v_mul_f64 v[180:181], v[2:3], v[40:41]
	v_mul_f64 v[40:41], v[4:5], v[40:41]
	scratch_load_b128 v[170:173], off, off offset:560
	v_add_f64 v[174:175], v[174:175], v[186:187]
	v_add_f64 v[176:177], v[176:177], v[182:183]
	s_waitcnt vmcnt(8) lgkmcnt(0)
	v_mul_f64 v[182:183], v[6:7], v[168:169]
	v_mul_f64 v[168:169], v[8:9], v[168:169]
	v_fma_f64 v[180:181], v[4:5], v[38:39], v[180:181]
	v_fma_f64 v[186:187], v[2:3], v[38:39], -v[40:41]
	scratch_load_b128 v[38:41], off, off offset:576
	ds_load_b128 v[2:5], v1 offset:1104
	v_add_f64 v[174:175], v[174:175], v[184:185]
	v_add_f64 v[176:177], v[176:177], v[178:179]
	v_fma_f64 v[182:183], v[8:9], v[166:167], v[182:183]
	v_fma_f64 v[184:185], v[6:7], v[166:167], -v[168:169]
	ds_load_b128 v[6:9], v1 offset:1120
	s_waitcnt vmcnt(8) lgkmcnt(1)
	v_mul_f64 v[178:179], v[2:3], v[12:13]
	v_mul_f64 v[12:13], v[4:5], v[12:13]
	scratch_load_b128 v[166:169], off, off offset:592
	v_add_f64 v[174:175], v[174:175], v[186:187]
	v_add_f64 v[176:177], v[176:177], v[180:181]
	s_waitcnt vmcnt(8) lgkmcnt(0)
	v_mul_f64 v[180:181], v[6:7], v[16:17]
	v_mul_f64 v[16:17], v[8:9], v[16:17]
	v_fma_f64 v[178:179], v[4:5], v[10:11], v[178:179]
	v_fma_f64 v[186:187], v[2:3], v[10:11], -v[12:13]
	scratch_load_b128 v[10:13], off, off offset:608
	ds_load_b128 v[2:5], v1 offset:1136
	;; [unrolled: 18-line block ×3, first 2 shown]
	v_add_f64 v[174:175], v[174:175], v[184:185]
	v_add_f64 v[176:177], v[176:177], v[180:181]
	v_fma_f64 v[178:179], v[8:9], v[22:23], v[178:179]
	v_fma_f64 v[22:23], v[6:7], v[22:23], -v[24:25]
	ds_load_b128 v[6:9], v1 offset:1184
	s_waitcnt vmcnt(8) lgkmcnt(1)
	v_mul_f64 v[180:181], v[2:3], v[28:29]
	v_mul_f64 v[28:29], v[4:5], v[28:29]
	v_add_f64 v[24:25], v[174:175], v[186:187]
	v_add_f64 v[174:175], v[176:177], v[182:183]
	s_waitcnt vmcnt(7) lgkmcnt(0)
	v_mul_f64 v[176:177], v[6:7], v[32:33]
	v_mul_f64 v[32:33], v[8:9], v[32:33]
	v_fma_f64 v[180:181], v[4:5], v[26:27], v[180:181]
	v_fma_f64 v[26:27], v[2:3], v[26:27], -v[28:29]
	ds_load_b128 v[2:5], v1 offset:1200
	v_add_f64 v[22:23], v[24:25], v[22:23]
	v_add_f64 v[24:25], v[174:175], v[178:179]
	v_fma_f64 v[174:175], v[8:9], v[30:31], v[176:177]
	v_fma_f64 v[30:31], v[6:7], v[30:31], -v[32:33]
	ds_load_b128 v[6:9], v1 offset:1216
	s_waitcnt vmcnt(5) lgkmcnt(0)
	v_mul_f64 v[176:177], v[6:7], v[172:173]
	v_mul_f64 v[172:173], v[8:9], v[172:173]
	v_add_f64 v[26:27], v[22:23], v[26:27]
	v_add_f64 v[32:33], v[24:25], v[180:181]
	scratch_load_b128 v[22:25], off, off offset:80
	v_mul_f64 v[28:29], v[2:3], v[36:37]
	v_mul_f64 v[36:37], v[4:5], v[36:37]
	v_add_f64 v[26:27], v[26:27], v[30:31]
	v_add_f64 v[30:31], v[32:33], v[174:175]
	s_delay_alu instid0(VALU_DEP_4) | instskip(NEXT) | instid1(VALU_DEP_4)
	v_fma_f64 v[28:29], v[4:5], v[34:35], v[28:29]
	v_fma_f64 v[34:35], v[2:3], v[34:35], -v[36:37]
	ds_load_b128 v[2:5], v1 offset:1232
	s_waitcnt vmcnt(5) lgkmcnt(0)
	v_mul_f64 v[32:33], v[2:3], v[40:41]
	v_mul_f64 v[36:37], v[4:5], v[40:41]
	v_fma_f64 v[40:41], v[8:9], v[170:171], v[176:177]
	v_fma_f64 v[170:171], v[6:7], v[170:171], -v[172:173]
	ds_load_b128 v[6:9], v1 offset:1248
	v_add_f64 v[28:29], v[30:31], v[28:29]
	v_add_f64 v[26:27], v[26:27], v[34:35]
	v_fma_f64 v[32:33], v[4:5], v[38:39], v[32:33]
	v_fma_f64 v[36:37], v[2:3], v[38:39], -v[36:37]
	ds_load_b128 v[2:5], v1 offset:1264
	s_waitcnt vmcnt(4) lgkmcnt(1)
	v_mul_f64 v[30:31], v[6:7], v[168:169]
	v_mul_f64 v[34:35], v[8:9], v[168:169]
	v_add_f64 v[28:29], v[28:29], v[40:41]
	v_add_f64 v[26:27], v[26:27], v[170:171]
	s_waitcnt vmcnt(3) lgkmcnt(0)
	v_mul_f64 v[38:39], v[2:3], v[12:13]
	v_mul_f64 v[12:13], v[4:5], v[12:13]
	v_fma_f64 v[30:31], v[8:9], v[166:167], v[30:31]
	v_fma_f64 v[34:35], v[6:7], v[166:167], -v[34:35]
	ds_load_b128 v[6:9], v1 offset:1280
	v_add_f64 v[28:29], v[28:29], v[32:33]
	v_add_f64 v[26:27], v[26:27], v[36:37]
	v_fma_f64 v[36:37], v[4:5], v[10:11], v[38:39]
	v_fma_f64 v[10:11], v[2:3], v[10:11], -v[12:13]
	ds_load_b128 v[2:5], v1 offset:1296
	s_waitcnt vmcnt(2) lgkmcnt(1)
	v_mul_f64 v[32:33], v[6:7], v[16:17]
	v_mul_f64 v[16:17], v[8:9], v[16:17]
	v_add_f64 v[12:13], v[26:27], v[34:35]
	v_add_f64 v[26:27], v[28:29], v[30:31]
	s_waitcnt vmcnt(1) lgkmcnt(0)
	v_mul_f64 v[28:29], v[2:3], v[20:21]
	v_mul_f64 v[20:21], v[4:5], v[20:21]
	v_fma_f64 v[8:9], v[8:9], v[14:15], v[32:33]
	v_fma_f64 v[6:7], v[6:7], v[14:15], -v[16:17]
	v_add_f64 v[10:11], v[12:13], v[10:11]
	v_add_f64 v[12:13], v[26:27], v[36:37]
	v_fma_f64 v[4:5], v[4:5], v[18:19], v[28:29]
	v_fma_f64 v[2:3], v[2:3], v[18:19], -v[20:21]
	s_delay_alu instid0(VALU_DEP_4) | instskip(NEXT) | instid1(VALU_DEP_4)
	v_add_f64 v[6:7], v[10:11], v[6:7]
	v_add_f64 v[8:9], v[12:13], v[8:9]
	s_delay_alu instid0(VALU_DEP_2) | instskip(NEXT) | instid1(VALU_DEP_2)
	v_add_f64 v[2:3], v[6:7], v[2:3]
	v_add_f64 v[4:5], v[8:9], v[4:5]
	s_waitcnt vmcnt(0)
	s_delay_alu instid0(VALU_DEP_2) | instskip(NEXT) | instid1(VALU_DEP_2)
	v_add_f64 v[2:3], v[22:23], -v[2:3]
	v_add_f64 v[4:5], v[24:25], -v[4:5]
	scratch_store_b128 off, v[2:5], off offset:80
	v_cmpx_lt_u32_e32 4, v124
	s_cbranch_execz .LBB40_251
; %bb.250:
	scratch_load_b128 v[5:8], v143, off
	v_mov_b32_e32 v2, v1
	v_mov_b32_e32 v3, v1
	;; [unrolled: 1-line block ×3, first 2 shown]
	scratch_store_b128 off, v[1:4], off offset:64
	s_waitcnt vmcnt(0)
	ds_store_b128 v165, v[5:8]
.LBB40_251:
	s_or_b32 exec_lo, exec_lo, s2
	s_waitcnt lgkmcnt(0)
	s_waitcnt_vscnt null, 0x0
	s_barrier
	buffer_gl0_inv
	s_clause 0x7
	scratch_load_b128 v[2:5], off, off offset:80
	scratch_load_b128 v[6:9], off, off offset:96
	;; [unrolled: 1-line block ×8, first 2 shown]
	ds_load_b128 v[38:41], v1 offset:736
	ds_load_b128 v[166:169], v1 offset:752
	s_clause 0x1
	scratch_load_b128 v[34:37], off, off offset:208
	scratch_load_b128 v[170:173], off, off offset:224
	s_mov_b32 s2, exec_lo
	s_waitcnt vmcnt(9) lgkmcnt(1)
	v_mul_f64 v[174:175], v[40:41], v[4:5]
	v_mul_f64 v[4:5], v[38:39], v[4:5]
	s_waitcnt vmcnt(8) lgkmcnt(0)
	v_mul_f64 v[176:177], v[166:167], v[8:9]
	v_mul_f64 v[8:9], v[168:169], v[8:9]
	s_delay_alu instid0(VALU_DEP_4) | instskip(NEXT) | instid1(VALU_DEP_4)
	v_fma_f64 v[174:175], v[38:39], v[2:3], -v[174:175]
	v_fma_f64 v[178:179], v[40:41], v[2:3], v[4:5]
	ds_load_b128 v[2:5], v1 offset:768
	scratch_load_b128 v[38:41], off, off offset:240
	v_fma_f64 v[176:177], v[168:169], v[6:7], v[176:177]
	v_fma_f64 v[182:183], v[166:167], v[6:7], -v[8:9]
	scratch_load_b128 v[166:169], off, off offset:256
	ds_load_b128 v[6:9], v1 offset:784
	s_waitcnt vmcnt(9) lgkmcnt(1)
	v_mul_f64 v[180:181], v[2:3], v[12:13]
	v_mul_f64 v[12:13], v[4:5], v[12:13]
	s_waitcnt vmcnt(8) lgkmcnt(0)
	v_mul_f64 v[184:185], v[6:7], v[16:17]
	v_mul_f64 v[16:17], v[8:9], v[16:17]
	v_add_f64 v[174:175], v[174:175], 0
	v_add_f64 v[178:179], v[178:179], 0
	v_fma_f64 v[180:181], v[4:5], v[10:11], v[180:181]
	v_fma_f64 v[186:187], v[2:3], v[10:11], -v[12:13]
	ds_load_b128 v[2:5], v1 offset:800
	scratch_load_b128 v[10:13], off, off offset:272
	v_add_f64 v[174:175], v[174:175], v[182:183]
	v_add_f64 v[176:177], v[178:179], v[176:177]
	v_fma_f64 v[182:183], v[8:9], v[14:15], v[184:185]
	v_fma_f64 v[184:185], v[6:7], v[14:15], -v[16:17]
	scratch_load_b128 v[14:17], off, off offset:288
	ds_load_b128 v[6:9], v1 offset:816
	s_waitcnt vmcnt(9) lgkmcnt(1)
	v_mul_f64 v[178:179], v[2:3], v[20:21]
	v_mul_f64 v[20:21], v[4:5], v[20:21]
	v_add_f64 v[174:175], v[174:175], v[186:187]
	v_add_f64 v[176:177], v[176:177], v[180:181]
	s_waitcnt vmcnt(8) lgkmcnt(0)
	v_mul_f64 v[180:181], v[6:7], v[24:25]
	v_mul_f64 v[24:25], v[8:9], v[24:25]
	v_fma_f64 v[178:179], v[4:5], v[18:19], v[178:179]
	v_fma_f64 v[186:187], v[2:3], v[18:19], -v[20:21]
	ds_load_b128 v[2:5], v1 offset:832
	scratch_load_b128 v[18:21], off, off offset:304
	v_add_f64 v[174:175], v[174:175], v[184:185]
	v_add_f64 v[176:177], v[176:177], v[182:183]
	v_fma_f64 v[180:181], v[8:9], v[22:23], v[180:181]
	v_fma_f64 v[184:185], v[6:7], v[22:23], -v[24:25]
	scratch_load_b128 v[22:25], off, off offset:320
	ds_load_b128 v[6:9], v1 offset:848
	s_waitcnt vmcnt(9) lgkmcnt(1)
	v_mul_f64 v[182:183], v[2:3], v[28:29]
	v_mul_f64 v[28:29], v[4:5], v[28:29]
	v_add_f64 v[174:175], v[174:175], v[186:187]
	v_add_f64 v[176:177], v[176:177], v[178:179]
	s_waitcnt vmcnt(8) lgkmcnt(0)
	v_mul_f64 v[178:179], v[6:7], v[32:33]
	v_mul_f64 v[32:33], v[8:9], v[32:33]
	v_fma_f64 v[182:183], v[4:5], v[26:27], v[182:183]
	v_fma_f64 v[186:187], v[2:3], v[26:27], -v[28:29]
	ds_load_b128 v[2:5], v1 offset:864
	scratch_load_b128 v[26:29], off, off offset:336
	v_add_f64 v[174:175], v[174:175], v[184:185]
	v_add_f64 v[176:177], v[176:177], v[180:181]
	v_fma_f64 v[178:179], v[8:9], v[30:31], v[178:179]
	v_fma_f64 v[184:185], v[6:7], v[30:31], -v[32:33]
	scratch_load_b128 v[30:33], off, off offset:352
	ds_load_b128 v[6:9], v1 offset:880
	s_waitcnt vmcnt(9) lgkmcnt(1)
	v_mul_f64 v[180:181], v[2:3], v[36:37]
	v_mul_f64 v[36:37], v[4:5], v[36:37]
	v_add_f64 v[174:175], v[174:175], v[186:187]
	v_add_f64 v[176:177], v[176:177], v[182:183]
	s_waitcnt vmcnt(8) lgkmcnt(0)
	v_mul_f64 v[182:183], v[6:7], v[172:173]
	v_mul_f64 v[172:173], v[8:9], v[172:173]
	v_fma_f64 v[180:181], v[4:5], v[34:35], v[180:181]
	v_fma_f64 v[186:187], v[2:3], v[34:35], -v[36:37]
	ds_load_b128 v[2:5], v1 offset:896
	scratch_load_b128 v[34:37], off, off offset:368
	v_add_f64 v[174:175], v[174:175], v[184:185]
	v_add_f64 v[176:177], v[176:177], v[178:179]
	v_fma_f64 v[182:183], v[8:9], v[170:171], v[182:183]
	v_fma_f64 v[184:185], v[6:7], v[170:171], -v[172:173]
	scratch_load_b128 v[170:173], off, off offset:384
	ds_load_b128 v[6:9], v1 offset:912
	s_waitcnt vmcnt(9) lgkmcnt(1)
	v_mul_f64 v[178:179], v[2:3], v[40:41]
	v_mul_f64 v[40:41], v[4:5], v[40:41]
	v_add_f64 v[174:175], v[174:175], v[186:187]
	v_add_f64 v[176:177], v[176:177], v[180:181]
	s_waitcnt vmcnt(8) lgkmcnt(0)
	v_mul_f64 v[180:181], v[6:7], v[168:169]
	v_mul_f64 v[168:169], v[8:9], v[168:169]
	v_fma_f64 v[178:179], v[4:5], v[38:39], v[178:179]
	v_fma_f64 v[186:187], v[2:3], v[38:39], -v[40:41]
	ds_load_b128 v[2:5], v1 offset:928
	scratch_load_b128 v[38:41], off, off offset:400
	v_add_f64 v[174:175], v[174:175], v[184:185]
	v_add_f64 v[176:177], v[176:177], v[182:183]
	v_fma_f64 v[180:181], v[8:9], v[166:167], v[180:181]
	v_fma_f64 v[184:185], v[6:7], v[166:167], -v[168:169]
	scratch_load_b128 v[166:169], off, off offset:416
	ds_load_b128 v[6:9], v1 offset:944
	s_waitcnt vmcnt(9) lgkmcnt(1)
	v_mul_f64 v[182:183], v[2:3], v[12:13]
	v_mul_f64 v[12:13], v[4:5], v[12:13]
	v_add_f64 v[174:175], v[174:175], v[186:187]
	v_add_f64 v[176:177], v[176:177], v[178:179]
	s_waitcnt vmcnt(8) lgkmcnt(0)
	v_mul_f64 v[178:179], v[6:7], v[16:17]
	v_mul_f64 v[16:17], v[8:9], v[16:17]
	v_fma_f64 v[182:183], v[4:5], v[10:11], v[182:183]
	v_fma_f64 v[186:187], v[2:3], v[10:11], -v[12:13]
	ds_load_b128 v[2:5], v1 offset:960
	scratch_load_b128 v[10:13], off, off offset:432
	v_add_f64 v[174:175], v[174:175], v[184:185]
	v_add_f64 v[176:177], v[176:177], v[180:181]
	v_fma_f64 v[178:179], v[8:9], v[14:15], v[178:179]
	v_fma_f64 v[184:185], v[6:7], v[14:15], -v[16:17]
	scratch_load_b128 v[14:17], off, off offset:448
	ds_load_b128 v[6:9], v1 offset:976
	s_waitcnt vmcnt(9) lgkmcnt(1)
	v_mul_f64 v[180:181], v[2:3], v[20:21]
	v_mul_f64 v[20:21], v[4:5], v[20:21]
	v_add_f64 v[174:175], v[174:175], v[186:187]
	v_add_f64 v[176:177], v[176:177], v[182:183]
	s_waitcnt vmcnt(8) lgkmcnt(0)
	v_mul_f64 v[182:183], v[6:7], v[24:25]
	v_mul_f64 v[24:25], v[8:9], v[24:25]
	v_fma_f64 v[180:181], v[4:5], v[18:19], v[180:181]
	v_fma_f64 v[186:187], v[2:3], v[18:19], -v[20:21]
	ds_load_b128 v[2:5], v1 offset:992
	scratch_load_b128 v[18:21], off, off offset:464
	v_add_f64 v[174:175], v[174:175], v[184:185]
	v_add_f64 v[176:177], v[176:177], v[178:179]
	v_fma_f64 v[182:183], v[8:9], v[22:23], v[182:183]
	v_fma_f64 v[184:185], v[6:7], v[22:23], -v[24:25]
	scratch_load_b128 v[22:25], off, off offset:480
	ds_load_b128 v[6:9], v1 offset:1008
	s_waitcnt vmcnt(9) lgkmcnt(1)
	v_mul_f64 v[178:179], v[2:3], v[28:29]
	v_mul_f64 v[28:29], v[4:5], v[28:29]
	v_add_f64 v[174:175], v[174:175], v[186:187]
	v_add_f64 v[176:177], v[176:177], v[180:181]
	s_waitcnt vmcnt(8) lgkmcnt(0)
	v_mul_f64 v[180:181], v[6:7], v[32:33]
	v_mul_f64 v[32:33], v[8:9], v[32:33]
	v_fma_f64 v[178:179], v[4:5], v[26:27], v[178:179]
	v_fma_f64 v[186:187], v[2:3], v[26:27], -v[28:29]
	ds_load_b128 v[2:5], v1 offset:1024
	scratch_load_b128 v[26:29], off, off offset:496
	v_add_f64 v[174:175], v[174:175], v[184:185]
	v_add_f64 v[176:177], v[176:177], v[182:183]
	v_fma_f64 v[180:181], v[8:9], v[30:31], v[180:181]
	v_fma_f64 v[184:185], v[6:7], v[30:31], -v[32:33]
	scratch_load_b128 v[30:33], off, off offset:512
	ds_load_b128 v[6:9], v1 offset:1040
	s_waitcnt vmcnt(9) lgkmcnt(1)
	v_mul_f64 v[182:183], v[2:3], v[36:37]
	v_mul_f64 v[36:37], v[4:5], v[36:37]
	v_add_f64 v[174:175], v[174:175], v[186:187]
	v_add_f64 v[176:177], v[176:177], v[178:179]
	s_waitcnt vmcnt(8) lgkmcnt(0)
	v_mul_f64 v[178:179], v[6:7], v[172:173]
	v_mul_f64 v[172:173], v[8:9], v[172:173]
	v_fma_f64 v[182:183], v[4:5], v[34:35], v[182:183]
	v_fma_f64 v[186:187], v[2:3], v[34:35], -v[36:37]
	ds_load_b128 v[2:5], v1 offset:1056
	scratch_load_b128 v[34:37], off, off offset:528
	v_add_f64 v[174:175], v[174:175], v[184:185]
	v_add_f64 v[176:177], v[176:177], v[180:181]
	v_fma_f64 v[178:179], v[8:9], v[170:171], v[178:179]
	v_fma_f64 v[184:185], v[6:7], v[170:171], -v[172:173]
	ds_load_b128 v[6:9], v1 offset:1072
	s_waitcnt vmcnt(8) lgkmcnt(1)
	v_mul_f64 v[180:181], v[2:3], v[40:41]
	v_mul_f64 v[40:41], v[4:5], v[40:41]
	scratch_load_b128 v[170:173], off, off offset:544
	v_add_f64 v[174:175], v[174:175], v[186:187]
	v_add_f64 v[176:177], v[176:177], v[182:183]
	s_waitcnt vmcnt(8) lgkmcnt(0)
	v_mul_f64 v[182:183], v[6:7], v[168:169]
	v_mul_f64 v[168:169], v[8:9], v[168:169]
	v_fma_f64 v[180:181], v[4:5], v[38:39], v[180:181]
	v_fma_f64 v[186:187], v[2:3], v[38:39], -v[40:41]
	ds_load_b128 v[2:5], v1 offset:1088
	scratch_load_b128 v[38:41], off, off offset:560
	v_add_f64 v[174:175], v[174:175], v[184:185]
	v_add_f64 v[176:177], v[176:177], v[178:179]
	v_fma_f64 v[182:183], v[8:9], v[166:167], v[182:183]
	v_fma_f64 v[184:185], v[6:7], v[166:167], -v[168:169]
	ds_load_b128 v[6:9], v1 offset:1104
	s_waitcnt vmcnt(8) lgkmcnt(1)
	v_mul_f64 v[178:179], v[2:3], v[12:13]
	v_mul_f64 v[12:13], v[4:5], v[12:13]
	scratch_load_b128 v[166:169], off, off offset:576
	v_add_f64 v[174:175], v[174:175], v[186:187]
	v_add_f64 v[176:177], v[176:177], v[180:181]
	s_waitcnt vmcnt(8) lgkmcnt(0)
	v_mul_f64 v[180:181], v[6:7], v[16:17]
	v_mul_f64 v[16:17], v[8:9], v[16:17]
	v_fma_f64 v[178:179], v[4:5], v[10:11], v[178:179]
	v_fma_f64 v[186:187], v[2:3], v[10:11], -v[12:13]
	scratch_load_b128 v[10:13], off, off offset:592
	ds_load_b128 v[2:5], v1 offset:1120
	v_add_f64 v[174:175], v[174:175], v[184:185]
	v_add_f64 v[176:177], v[176:177], v[182:183]
	v_fma_f64 v[180:181], v[8:9], v[14:15], v[180:181]
	v_fma_f64 v[184:185], v[6:7], v[14:15], -v[16:17]
	ds_load_b128 v[6:9], v1 offset:1136
	s_waitcnt vmcnt(8) lgkmcnt(1)
	v_mul_f64 v[182:183], v[2:3], v[20:21]
	v_mul_f64 v[20:21], v[4:5], v[20:21]
	scratch_load_b128 v[14:17], off, off offset:608
	v_add_f64 v[174:175], v[174:175], v[186:187]
	v_add_f64 v[176:177], v[176:177], v[178:179]
	s_waitcnt vmcnt(8) lgkmcnt(0)
	v_mul_f64 v[178:179], v[6:7], v[24:25]
	v_mul_f64 v[24:25], v[8:9], v[24:25]
	v_fma_f64 v[182:183], v[4:5], v[18:19], v[182:183]
	v_fma_f64 v[186:187], v[2:3], v[18:19], -v[20:21]
	scratch_load_b128 v[18:21], off, off offset:624
	ds_load_b128 v[2:5], v1 offset:1152
	v_add_f64 v[174:175], v[174:175], v[184:185]
	v_add_f64 v[176:177], v[176:177], v[180:181]
	v_fma_f64 v[178:179], v[8:9], v[22:23], v[178:179]
	v_fma_f64 v[184:185], v[6:7], v[22:23], -v[24:25]
	ds_load_b128 v[6:9], v1 offset:1168
	s_waitcnt vmcnt(8) lgkmcnt(1)
	v_mul_f64 v[180:181], v[2:3], v[28:29]
	v_mul_f64 v[28:29], v[4:5], v[28:29]
	scratch_load_b128 v[22:25], off, off offset:640
	v_add_f64 v[174:175], v[174:175], v[186:187]
	v_add_f64 v[176:177], v[176:177], v[182:183]
	s_waitcnt vmcnt(8) lgkmcnt(0)
	v_mul_f64 v[182:183], v[6:7], v[32:33]
	v_mul_f64 v[32:33], v[8:9], v[32:33]
	v_fma_f64 v[180:181], v[4:5], v[26:27], v[180:181]
	v_fma_f64 v[26:27], v[2:3], v[26:27], -v[28:29]
	ds_load_b128 v[2:5], v1 offset:1184
	v_add_f64 v[28:29], v[174:175], v[184:185]
	v_add_f64 v[174:175], v[176:177], v[178:179]
	v_fma_f64 v[178:179], v[8:9], v[30:31], v[182:183]
	v_fma_f64 v[30:31], v[6:7], v[30:31], -v[32:33]
	ds_load_b128 v[6:9], v1 offset:1200
	s_waitcnt vmcnt(7) lgkmcnt(1)
	v_mul_f64 v[176:177], v[2:3], v[36:37]
	v_mul_f64 v[36:37], v[4:5], v[36:37]
	v_add_f64 v[26:27], v[28:29], v[26:27]
	v_add_f64 v[28:29], v[174:175], v[180:181]
	s_delay_alu instid0(VALU_DEP_4) | instskip(NEXT) | instid1(VALU_DEP_4)
	v_fma_f64 v[174:175], v[4:5], v[34:35], v[176:177]
	v_fma_f64 v[34:35], v[2:3], v[34:35], -v[36:37]
	ds_load_b128 v[2:5], v1 offset:1216
	v_add_f64 v[30:31], v[26:27], v[30:31]
	v_add_f64 v[36:37], v[28:29], v[178:179]
	scratch_load_b128 v[26:29], off, off offset:64
	s_waitcnt vmcnt(7) lgkmcnt(1)
	v_mul_f64 v[32:33], v[6:7], v[172:173]
	v_mul_f64 v[172:173], v[8:9], v[172:173]
	v_add_f64 v[30:31], v[30:31], v[34:35]
	v_add_f64 v[34:35], v[36:37], v[174:175]
	s_delay_alu instid0(VALU_DEP_4) | instskip(NEXT) | instid1(VALU_DEP_4)
	v_fma_f64 v[32:33], v[8:9], v[170:171], v[32:33]
	v_fma_f64 v[170:171], v[6:7], v[170:171], -v[172:173]
	ds_load_b128 v[6:9], v1 offset:1232
	s_waitcnt vmcnt(6) lgkmcnt(1)
	v_mul_f64 v[176:177], v[2:3], v[40:41]
	v_mul_f64 v[40:41], v[4:5], v[40:41]
	s_waitcnt vmcnt(5) lgkmcnt(0)
	v_mul_f64 v[36:37], v[6:7], v[168:169]
	v_mul_f64 v[168:169], v[8:9], v[168:169]
	v_add_f64 v[32:33], v[34:35], v[32:33]
	v_add_f64 v[30:31], v[30:31], v[170:171]
	v_fma_f64 v[172:173], v[4:5], v[38:39], v[176:177]
	v_fma_f64 v[38:39], v[2:3], v[38:39], -v[40:41]
	ds_load_b128 v[2:5], v1 offset:1248
	v_fma_f64 v[36:37], v[8:9], v[166:167], v[36:37]
	v_fma_f64 v[40:41], v[6:7], v[166:167], -v[168:169]
	ds_load_b128 v[6:9], v1 offset:1264
	s_waitcnt vmcnt(4) lgkmcnt(1)
	v_mul_f64 v[34:35], v[2:3], v[12:13]
	v_mul_f64 v[12:13], v[4:5], v[12:13]
	v_add_f64 v[32:33], v[32:33], v[172:173]
	v_add_f64 v[30:31], v[30:31], v[38:39]
	s_waitcnt vmcnt(3) lgkmcnt(0)
	v_mul_f64 v[38:39], v[6:7], v[16:17]
	v_mul_f64 v[16:17], v[8:9], v[16:17]
	v_fma_f64 v[34:35], v[4:5], v[10:11], v[34:35]
	v_fma_f64 v[10:11], v[2:3], v[10:11], -v[12:13]
	ds_load_b128 v[2:5], v1 offset:1280
	v_add_f64 v[12:13], v[30:31], v[40:41]
	v_add_f64 v[30:31], v[32:33], v[36:37]
	v_fma_f64 v[36:37], v[8:9], v[14:15], v[38:39]
	v_fma_f64 v[14:15], v[6:7], v[14:15], -v[16:17]
	ds_load_b128 v[6:9], v1 offset:1296
	s_waitcnt vmcnt(2) lgkmcnt(1)
	v_mul_f64 v[32:33], v[2:3], v[20:21]
	v_mul_f64 v[20:21], v[4:5], v[20:21]
	s_waitcnt vmcnt(1) lgkmcnt(0)
	v_mul_f64 v[16:17], v[6:7], v[24:25]
	v_mul_f64 v[24:25], v[8:9], v[24:25]
	v_add_f64 v[10:11], v[12:13], v[10:11]
	v_add_f64 v[12:13], v[30:31], v[34:35]
	v_fma_f64 v[4:5], v[4:5], v[18:19], v[32:33]
	v_fma_f64 v[1:2], v[2:3], v[18:19], -v[20:21]
	v_fma_f64 v[8:9], v[8:9], v[22:23], v[16:17]
	v_fma_f64 v[6:7], v[6:7], v[22:23], -v[24:25]
	v_add_f64 v[10:11], v[10:11], v[14:15]
	v_add_f64 v[12:13], v[12:13], v[36:37]
	s_delay_alu instid0(VALU_DEP_2) | instskip(NEXT) | instid1(VALU_DEP_2)
	v_add_f64 v[1:2], v[10:11], v[1:2]
	v_add_f64 v[3:4], v[12:13], v[4:5]
	s_delay_alu instid0(VALU_DEP_2) | instskip(NEXT) | instid1(VALU_DEP_2)
	v_add_f64 v[1:2], v[1:2], v[6:7]
	v_add_f64 v[3:4], v[3:4], v[8:9]
	s_waitcnt vmcnt(0)
	s_delay_alu instid0(VALU_DEP_2) | instskip(NEXT) | instid1(VALU_DEP_2)
	v_add_f64 v[1:2], v[26:27], -v[1:2]
	v_add_f64 v[3:4], v[28:29], -v[3:4]
	scratch_store_b128 off, v[1:4], off offset:64
	v_cmpx_lt_u32_e32 3, v124
	s_cbranch_execz .LBB40_253
; %bb.252:
	scratch_load_b128 v[1:4], v144, off
	v_mov_b32_e32 v5, 0
	s_delay_alu instid0(VALU_DEP_1)
	v_mov_b32_e32 v6, v5
	v_mov_b32_e32 v7, v5
	;; [unrolled: 1-line block ×3, first 2 shown]
	scratch_store_b128 off, v[5:8], off offset:48
	s_waitcnt vmcnt(0)
	ds_store_b128 v165, v[1:4]
.LBB40_253:
	s_or_b32 exec_lo, exec_lo, s2
	s_waitcnt lgkmcnt(0)
	s_waitcnt_vscnt null, 0x0
	s_barrier
	buffer_gl0_inv
	s_clause 0x7
	scratch_load_b128 v[2:5], off, off offset:64
	scratch_load_b128 v[6:9], off, off offset:80
	;; [unrolled: 1-line block ×8, first 2 shown]
	v_mov_b32_e32 v1, 0
	s_clause 0x1
	scratch_load_b128 v[34:37], off, off offset:192
	scratch_load_b128 v[170:173], off, off offset:208
	s_mov_b32 s2, exec_lo
	ds_load_b128 v[38:41], v1 offset:720
	ds_load_b128 v[166:169], v1 offset:736
	s_waitcnt vmcnt(9) lgkmcnt(1)
	v_mul_f64 v[174:175], v[40:41], v[4:5]
	v_mul_f64 v[4:5], v[38:39], v[4:5]
	s_waitcnt vmcnt(8) lgkmcnt(0)
	v_mul_f64 v[176:177], v[166:167], v[8:9]
	v_mul_f64 v[8:9], v[168:169], v[8:9]
	s_delay_alu instid0(VALU_DEP_4) | instskip(NEXT) | instid1(VALU_DEP_4)
	v_fma_f64 v[174:175], v[38:39], v[2:3], -v[174:175]
	v_fma_f64 v[178:179], v[40:41], v[2:3], v[4:5]
	ds_load_b128 v[2:5], v1 offset:752
	scratch_load_b128 v[38:41], off, off offset:224
	v_fma_f64 v[176:177], v[168:169], v[6:7], v[176:177]
	v_fma_f64 v[182:183], v[166:167], v[6:7], -v[8:9]
	scratch_load_b128 v[166:169], off, off offset:240
	ds_load_b128 v[6:9], v1 offset:768
	s_waitcnt vmcnt(9) lgkmcnt(1)
	v_mul_f64 v[180:181], v[2:3], v[12:13]
	v_mul_f64 v[12:13], v[4:5], v[12:13]
	s_waitcnt vmcnt(8) lgkmcnt(0)
	v_mul_f64 v[184:185], v[6:7], v[16:17]
	v_mul_f64 v[16:17], v[8:9], v[16:17]
	v_add_f64 v[174:175], v[174:175], 0
	v_add_f64 v[178:179], v[178:179], 0
	v_fma_f64 v[180:181], v[4:5], v[10:11], v[180:181]
	v_fma_f64 v[186:187], v[2:3], v[10:11], -v[12:13]
	ds_load_b128 v[2:5], v1 offset:784
	scratch_load_b128 v[10:13], off, off offset:256
	v_add_f64 v[174:175], v[174:175], v[182:183]
	v_add_f64 v[176:177], v[178:179], v[176:177]
	v_fma_f64 v[182:183], v[8:9], v[14:15], v[184:185]
	v_fma_f64 v[184:185], v[6:7], v[14:15], -v[16:17]
	scratch_load_b128 v[14:17], off, off offset:272
	ds_load_b128 v[6:9], v1 offset:800
	s_waitcnt vmcnt(9) lgkmcnt(1)
	v_mul_f64 v[178:179], v[2:3], v[20:21]
	v_mul_f64 v[20:21], v[4:5], v[20:21]
	v_add_f64 v[174:175], v[174:175], v[186:187]
	v_add_f64 v[176:177], v[176:177], v[180:181]
	s_waitcnt vmcnt(8) lgkmcnt(0)
	v_mul_f64 v[180:181], v[6:7], v[24:25]
	v_mul_f64 v[24:25], v[8:9], v[24:25]
	v_fma_f64 v[178:179], v[4:5], v[18:19], v[178:179]
	v_fma_f64 v[186:187], v[2:3], v[18:19], -v[20:21]
	ds_load_b128 v[2:5], v1 offset:816
	scratch_load_b128 v[18:21], off, off offset:288
	v_add_f64 v[174:175], v[174:175], v[184:185]
	v_add_f64 v[176:177], v[176:177], v[182:183]
	v_fma_f64 v[180:181], v[8:9], v[22:23], v[180:181]
	v_fma_f64 v[184:185], v[6:7], v[22:23], -v[24:25]
	scratch_load_b128 v[22:25], off, off offset:304
	ds_load_b128 v[6:9], v1 offset:832
	s_waitcnt vmcnt(9) lgkmcnt(1)
	v_mul_f64 v[182:183], v[2:3], v[28:29]
	v_mul_f64 v[28:29], v[4:5], v[28:29]
	v_add_f64 v[174:175], v[174:175], v[186:187]
	v_add_f64 v[176:177], v[176:177], v[178:179]
	s_waitcnt vmcnt(8) lgkmcnt(0)
	v_mul_f64 v[178:179], v[6:7], v[32:33]
	v_mul_f64 v[32:33], v[8:9], v[32:33]
	;; [unrolled: 18-line block ×9, first 2 shown]
	v_fma_f64 v[180:181], v[4:5], v[38:39], v[180:181]
	v_fma_f64 v[186:187], v[2:3], v[38:39], -v[40:41]
	ds_load_b128 v[2:5], v1 offset:1072
	scratch_load_b128 v[38:41], off, off offset:544
	v_add_f64 v[174:175], v[174:175], v[184:185]
	v_add_f64 v[176:177], v[176:177], v[178:179]
	v_fma_f64 v[182:183], v[8:9], v[166:167], v[182:183]
	v_fma_f64 v[184:185], v[6:7], v[166:167], -v[168:169]
	ds_load_b128 v[6:9], v1 offset:1088
	s_waitcnt vmcnt(8) lgkmcnt(1)
	v_mul_f64 v[178:179], v[2:3], v[12:13]
	v_mul_f64 v[12:13], v[4:5], v[12:13]
	scratch_load_b128 v[166:169], off, off offset:560
	v_add_f64 v[174:175], v[174:175], v[186:187]
	v_add_f64 v[176:177], v[176:177], v[180:181]
	s_waitcnt vmcnt(8) lgkmcnt(0)
	v_mul_f64 v[180:181], v[6:7], v[16:17]
	v_mul_f64 v[16:17], v[8:9], v[16:17]
	v_fma_f64 v[178:179], v[4:5], v[10:11], v[178:179]
	v_fma_f64 v[186:187], v[2:3], v[10:11], -v[12:13]
	scratch_load_b128 v[10:13], off, off offset:576
	ds_load_b128 v[2:5], v1 offset:1104
	v_add_f64 v[174:175], v[174:175], v[184:185]
	v_add_f64 v[176:177], v[176:177], v[182:183]
	v_fma_f64 v[180:181], v[8:9], v[14:15], v[180:181]
	v_fma_f64 v[184:185], v[6:7], v[14:15], -v[16:17]
	ds_load_b128 v[6:9], v1 offset:1120
	s_waitcnt vmcnt(8) lgkmcnt(1)
	v_mul_f64 v[182:183], v[2:3], v[20:21]
	v_mul_f64 v[20:21], v[4:5], v[20:21]
	scratch_load_b128 v[14:17], off, off offset:592
	v_add_f64 v[174:175], v[174:175], v[186:187]
	v_add_f64 v[176:177], v[176:177], v[178:179]
	s_waitcnt vmcnt(8) lgkmcnt(0)
	v_mul_f64 v[178:179], v[6:7], v[24:25]
	v_mul_f64 v[24:25], v[8:9], v[24:25]
	v_fma_f64 v[182:183], v[4:5], v[18:19], v[182:183]
	v_fma_f64 v[186:187], v[2:3], v[18:19], -v[20:21]
	scratch_load_b128 v[18:21], off, off offset:608
	ds_load_b128 v[2:5], v1 offset:1136
	;; [unrolled: 18-line block ×3, first 2 shown]
	v_add_f64 v[174:175], v[174:175], v[184:185]
	v_add_f64 v[176:177], v[176:177], v[178:179]
	v_fma_f64 v[182:183], v[8:9], v[30:31], v[182:183]
	v_fma_f64 v[30:31], v[6:7], v[30:31], -v[32:33]
	ds_load_b128 v[6:9], v1 offset:1184
	s_waitcnt vmcnt(8) lgkmcnt(1)
	v_mul_f64 v[178:179], v[2:3], v[36:37]
	v_mul_f64 v[36:37], v[4:5], v[36:37]
	v_add_f64 v[32:33], v[174:175], v[186:187]
	v_add_f64 v[174:175], v[176:177], v[180:181]
	s_waitcnt vmcnt(7) lgkmcnt(0)
	v_mul_f64 v[176:177], v[6:7], v[172:173]
	v_mul_f64 v[172:173], v[8:9], v[172:173]
	v_fma_f64 v[178:179], v[4:5], v[34:35], v[178:179]
	v_fma_f64 v[34:35], v[2:3], v[34:35], -v[36:37]
	ds_load_b128 v[2:5], v1 offset:1200
	v_add_f64 v[30:31], v[32:33], v[30:31]
	v_add_f64 v[32:33], v[174:175], v[182:183]
	v_fma_f64 v[174:175], v[8:9], v[170:171], v[176:177]
	v_fma_f64 v[170:171], v[6:7], v[170:171], -v[172:173]
	ds_load_b128 v[6:9], v1 offset:1216
	s_waitcnt vmcnt(5) lgkmcnt(0)
	v_mul_f64 v[176:177], v[6:7], v[168:169]
	v_mul_f64 v[168:169], v[8:9], v[168:169]
	v_add_f64 v[34:35], v[30:31], v[34:35]
	v_add_f64 v[172:173], v[32:33], v[178:179]
	scratch_load_b128 v[30:33], off, off offset:48
	v_mul_f64 v[36:37], v[2:3], v[40:41]
	v_mul_f64 v[40:41], v[4:5], v[40:41]
	v_add_f64 v[34:35], v[34:35], v[170:171]
	s_delay_alu instid0(VALU_DEP_3) | instskip(NEXT) | instid1(VALU_DEP_3)
	v_fma_f64 v[36:37], v[4:5], v[38:39], v[36:37]
	v_fma_f64 v[38:39], v[2:3], v[38:39], -v[40:41]
	v_add_f64 v[40:41], v[172:173], v[174:175]
	ds_load_b128 v[2:5], v1 offset:1232
	v_fma_f64 v[172:173], v[8:9], v[166:167], v[176:177]
	v_fma_f64 v[166:167], v[6:7], v[166:167], -v[168:169]
	ds_load_b128 v[6:9], v1 offset:1248
	s_waitcnt vmcnt(5) lgkmcnt(1)
	v_mul_f64 v[170:171], v[2:3], v[12:13]
	v_mul_f64 v[12:13], v[4:5], v[12:13]
	v_add_f64 v[34:35], v[34:35], v[38:39]
	v_add_f64 v[36:37], v[40:41], v[36:37]
	s_waitcnt vmcnt(4) lgkmcnt(0)
	v_mul_f64 v[38:39], v[6:7], v[16:17]
	v_mul_f64 v[16:17], v[8:9], v[16:17]
	v_fma_f64 v[40:41], v[4:5], v[10:11], v[170:171]
	v_fma_f64 v[10:11], v[2:3], v[10:11], -v[12:13]
	ds_load_b128 v[2:5], v1 offset:1264
	v_add_f64 v[12:13], v[34:35], v[166:167]
	v_add_f64 v[34:35], v[36:37], v[172:173]
	v_fma_f64 v[38:39], v[8:9], v[14:15], v[38:39]
	v_fma_f64 v[14:15], v[6:7], v[14:15], -v[16:17]
	ds_load_b128 v[6:9], v1 offset:1280
	s_waitcnt vmcnt(3) lgkmcnt(1)
	v_mul_f64 v[36:37], v[2:3], v[20:21]
	v_mul_f64 v[20:21], v[4:5], v[20:21]
	s_waitcnt vmcnt(2) lgkmcnt(0)
	v_mul_f64 v[16:17], v[6:7], v[24:25]
	v_mul_f64 v[24:25], v[8:9], v[24:25]
	v_add_f64 v[10:11], v[12:13], v[10:11]
	v_add_f64 v[12:13], v[34:35], v[40:41]
	v_fma_f64 v[34:35], v[4:5], v[18:19], v[36:37]
	v_fma_f64 v[18:19], v[2:3], v[18:19], -v[20:21]
	ds_load_b128 v[2:5], v1 offset:1296
	v_fma_f64 v[8:9], v[8:9], v[22:23], v[16:17]
	v_fma_f64 v[6:7], v[6:7], v[22:23], -v[24:25]
	s_waitcnt vmcnt(1) lgkmcnt(0)
	v_mul_f64 v[20:21], v[4:5], v[28:29]
	v_add_f64 v[10:11], v[10:11], v[14:15]
	v_add_f64 v[12:13], v[12:13], v[38:39]
	v_mul_f64 v[14:15], v[2:3], v[28:29]
	s_delay_alu instid0(VALU_DEP_4) | instskip(NEXT) | instid1(VALU_DEP_4)
	v_fma_f64 v[2:3], v[2:3], v[26:27], -v[20:21]
	v_add_f64 v[10:11], v[10:11], v[18:19]
	s_delay_alu instid0(VALU_DEP_4) | instskip(NEXT) | instid1(VALU_DEP_4)
	v_add_f64 v[12:13], v[12:13], v[34:35]
	v_fma_f64 v[4:5], v[4:5], v[26:27], v[14:15]
	s_delay_alu instid0(VALU_DEP_3) | instskip(NEXT) | instid1(VALU_DEP_3)
	v_add_f64 v[6:7], v[10:11], v[6:7]
	v_add_f64 v[8:9], v[12:13], v[8:9]
	s_delay_alu instid0(VALU_DEP_2) | instskip(NEXT) | instid1(VALU_DEP_2)
	v_add_f64 v[2:3], v[6:7], v[2:3]
	v_add_f64 v[4:5], v[8:9], v[4:5]
	s_waitcnt vmcnt(0)
	s_delay_alu instid0(VALU_DEP_2) | instskip(NEXT) | instid1(VALU_DEP_2)
	v_add_f64 v[2:3], v[30:31], -v[2:3]
	v_add_f64 v[4:5], v[32:33], -v[4:5]
	scratch_store_b128 off, v[2:5], off offset:48
	v_cmpx_lt_u32_e32 2, v124
	s_cbranch_execz .LBB40_255
; %bb.254:
	scratch_load_b128 v[5:8], v145, off
	v_mov_b32_e32 v2, v1
	v_mov_b32_e32 v3, v1
	;; [unrolled: 1-line block ×3, first 2 shown]
	scratch_store_b128 off, v[1:4], off offset:32
	s_waitcnt vmcnt(0)
	ds_store_b128 v165, v[5:8]
.LBB40_255:
	s_or_b32 exec_lo, exec_lo, s2
	s_waitcnt lgkmcnt(0)
	s_waitcnt_vscnt null, 0x0
	s_barrier
	buffer_gl0_inv
	s_clause 0x7
	scratch_load_b128 v[2:5], off, off offset:48
	scratch_load_b128 v[6:9], off, off offset:64
	;; [unrolled: 1-line block ×8, first 2 shown]
	ds_load_b128 v[38:41], v1 offset:704
	ds_load_b128 v[166:169], v1 offset:720
	s_clause 0x1
	scratch_load_b128 v[34:37], off, off offset:176
	scratch_load_b128 v[170:173], off, off offset:192
	s_mov_b32 s2, exec_lo
	s_waitcnt vmcnt(9) lgkmcnt(1)
	v_mul_f64 v[174:175], v[40:41], v[4:5]
	v_mul_f64 v[4:5], v[38:39], v[4:5]
	s_waitcnt vmcnt(8) lgkmcnt(0)
	v_mul_f64 v[176:177], v[166:167], v[8:9]
	v_mul_f64 v[8:9], v[168:169], v[8:9]
	s_delay_alu instid0(VALU_DEP_4) | instskip(NEXT) | instid1(VALU_DEP_4)
	v_fma_f64 v[174:175], v[38:39], v[2:3], -v[174:175]
	v_fma_f64 v[178:179], v[40:41], v[2:3], v[4:5]
	ds_load_b128 v[2:5], v1 offset:736
	scratch_load_b128 v[38:41], off, off offset:208
	v_fma_f64 v[176:177], v[168:169], v[6:7], v[176:177]
	v_fma_f64 v[182:183], v[166:167], v[6:7], -v[8:9]
	scratch_load_b128 v[166:169], off, off offset:224
	ds_load_b128 v[6:9], v1 offset:752
	s_waitcnt vmcnt(9) lgkmcnt(1)
	v_mul_f64 v[180:181], v[2:3], v[12:13]
	v_mul_f64 v[12:13], v[4:5], v[12:13]
	s_waitcnt vmcnt(8) lgkmcnt(0)
	v_mul_f64 v[184:185], v[6:7], v[16:17]
	v_mul_f64 v[16:17], v[8:9], v[16:17]
	v_add_f64 v[174:175], v[174:175], 0
	v_add_f64 v[178:179], v[178:179], 0
	v_fma_f64 v[180:181], v[4:5], v[10:11], v[180:181]
	v_fma_f64 v[186:187], v[2:3], v[10:11], -v[12:13]
	ds_load_b128 v[2:5], v1 offset:768
	scratch_load_b128 v[10:13], off, off offset:240
	v_add_f64 v[174:175], v[174:175], v[182:183]
	v_add_f64 v[176:177], v[178:179], v[176:177]
	v_fma_f64 v[182:183], v[8:9], v[14:15], v[184:185]
	v_fma_f64 v[184:185], v[6:7], v[14:15], -v[16:17]
	scratch_load_b128 v[14:17], off, off offset:256
	ds_load_b128 v[6:9], v1 offset:784
	s_waitcnt vmcnt(9) lgkmcnt(1)
	v_mul_f64 v[178:179], v[2:3], v[20:21]
	v_mul_f64 v[20:21], v[4:5], v[20:21]
	v_add_f64 v[174:175], v[174:175], v[186:187]
	v_add_f64 v[176:177], v[176:177], v[180:181]
	s_waitcnt vmcnt(8) lgkmcnt(0)
	v_mul_f64 v[180:181], v[6:7], v[24:25]
	v_mul_f64 v[24:25], v[8:9], v[24:25]
	v_fma_f64 v[178:179], v[4:5], v[18:19], v[178:179]
	v_fma_f64 v[186:187], v[2:3], v[18:19], -v[20:21]
	ds_load_b128 v[2:5], v1 offset:800
	scratch_load_b128 v[18:21], off, off offset:272
	v_add_f64 v[174:175], v[174:175], v[184:185]
	v_add_f64 v[176:177], v[176:177], v[182:183]
	v_fma_f64 v[180:181], v[8:9], v[22:23], v[180:181]
	v_fma_f64 v[184:185], v[6:7], v[22:23], -v[24:25]
	scratch_load_b128 v[22:25], off, off offset:288
	ds_load_b128 v[6:9], v1 offset:816
	s_waitcnt vmcnt(9) lgkmcnt(1)
	v_mul_f64 v[182:183], v[2:3], v[28:29]
	v_mul_f64 v[28:29], v[4:5], v[28:29]
	v_add_f64 v[174:175], v[174:175], v[186:187]
	v_add_f64 v[176:177], v[176:177], v[178:179]
	s_waitcnt vmcnt(8) lgkmcnt(0)
	v_mul_f64 v[178:179], v[6:7], v[32:33]
	v_mul_f64 v[32:33], v[8:9], v[32:33]
	;; [unrolled: 18-line block ×9, first 2 shown]
	v_fma_f64 v[180:181], v[4:5], v[38:39], v[180:181]
	v_fma_f64 v[186:187], v[2:3], v[38:39], -v[40:41]
	ds_load_b128 v[2:5], v1 offset:1056
	scratch_load_b128 v[38:41], off, off offset:528
	v_add_f64 v[174:175], v[174:175], v[184:185]
	v_add_f64 v[176:177], v[176:177], v[178:179]
	v_fma_f64 v[182:183], v[8:9], v[166:167], v[182:183]
	v_fma_f64 v[184:185], v[6:7], v[166:167], -v[168:169]
	ds_load_b128 v[6:9], v1 offset:1072
	s_waitcnt vmcnt(8) lgkmcnt(1)
	v_mul_f64 v[178:179], v[2:3], v[12:13]
	v_mul_f64 v[12:13], v[4:5], v[12:13]
	scratch_load_b128 v[166:169], off, off offset:544
	v_add_f64 v[174:175], v[174:175], v[186:187]
	v_add_f64 v[176:177], v[176:177], v[180:181]
	s_waitcnt vmcnt(8) lgkmcnt(0)
	v_mul_f64 v[180:181], v[6:7], v[16:17]
	v_mul_f64 v[16:17], v[8:9], v[16:17]
	v_fma_f64 v[178:179], v[4:5], v[10:11], v[178:179]
	v_fma_f64 v[186:187], v[2:3], v[10:11], -v[12:13]
	ds_load_b128 v[2:5], v1 offset:1088
	scratch_load_b128 v[10:13], off, off offset:560
	v_add_f64 v[174:175], v[174:175], v[184:185]
	v_add_f64 v[176:177], v[176:177], v[182:183]
	v_fma_f64 v[180:181], v[8:9], v[14:15], v[180:181]
	v_fma_f64 v[184:185], v[6:7], v[14:15], -v[16:17]
	ds_load_b128 v[6:9], v1 offset:1104
	s_waitcnt vmcnt(8) lgkmcnt(1)
	v_mul_f64 v[182:183], v[2:3], v[20:21]
	v_mul_f64 v[20:21], v[4:5], v[20:21]
	scratch_load_b128 v[14:17], off, off offset:576
	v_add_f64 v[174:175], v[174:175], v[186:187]
	v_add_f64 v[176:177], v[176:177], v[178:179]
	s_waitcnt vmcnt(8) lgkmcnt(0)
	v_mul_f64 v[178:179], v[6:7], v[24:25]
	v_mul_f64 v[24:25], v[8:9], v[24:25]
	v_fma_f64 v[182:183], v[4:5], v[18:19], v[182:183]
	v_fma_f64 v[186:187], v[2:3], v[18:19], -v[20:21]
	scratch_load_b128 v[18:21], off, off offset:592
	ds_load_b128 v[2:5], v1 offset:1120
	v_add_f64 v[174:175], v[174:175], v[184:185]
	v_add_f64 v[176:177], v[176:177], v[180:181]
	v_fma_f64 v[178:179], v[8:9], v[22:23], v[178:179]
	v_fma_f64 v[184:185], v[6:7], v[22:23], -v[24:25]
	ds_load_b128 v[6:9], v1 offset:1136
	s_waitcnt vmcnt(8) lgkmcnt(1)
	v_mul_f64 v[180:181], v[2:3], v[28:29]
	v_mul_f64 v[28:29], v[4:5], v[28:29]
	scratch_load_b128 v[22:25], off, off offset:608
	v_add_f64 v[174:175], v[174:175], v[186:187]
	v_add_f64 v[176:177], v[176:177], v[182:183]
	s_waitcnt vmcnt(8) lgkmcnt(0)
	v_mul_f64 v[182:183], v[6:7], v[32:33]
	v_mul_f64 v[32:33], v[8:9], v[32:33]
	v_fma_f64 v[180:181], v[4:5], v[26:27], v[180:181]
	v_fma_f64 v[186:187], v[2:3], v[26:27], -v[28:29]
	scratch_load_b128 v[26:29], off, off offset:624
	ds_load_b128 v[2:5], v1 offset:1152
	v_add_f64 v[174:175], v[174:175], v[184:185]
	v_add_f64 v[176:177], v[176:177], v[178:179]
	v_fma_f64 v[182:183], v[8:9], v[30:31], v[182:183]
	v_fma_f64 v[184:185], v[6:7], v[30:31], -v[32:33]
	ds_load_b128 v[6:9], v1 offset:1168
	s_waitcnt vmcnt(8) lgkmcnt(1)
	v_mul_f64 v[178:179], v[2:3], v[36:37]
	v_mul_f64 v[36:37], v[4:5], v[36:37]
	scratch_load_b128 v[30:33], off, off offset:640
	v_add_f64 v[174:175], v[174:175], v[186:187]
	v_add_f64 v[176:177], v[176:177], v[180:181]
	s_waitcnt vmcnt(8) lgkmcnt(0)
	v_mul_f64 v[180:181], v[6:7], v[172:173]
	v_mul_f64 v[172:173], v[8:9], v[172:173]
	v_fma_f64 v[178:179], v[4:5], v[34:35], v[178:179]
	v_fma_f64 v[34:35], v[2:3], v[34:35], -v[36:37]
	ds_load_b128 v[2:5], v1 offset:1184
	v_add_f64 v[36:37], v[174:175], v[184:185]
	v_add_f64 v[174:175], v[176:177], v[182:183]
	v_fma_f64 v[180:181], v[8:9], v[170:171], v[180:181]
	v_fma_f64 v[170:171], v[6:7], v[170:171], -v[172:173]
	ds_load_b128 v[6:9], v1 offset:1200
	s_waitcnt vmcnt(7) lgkmcnt(1)
	v_mul_f64 v[176:177], v[2:3], v[40:41]
	v_mul_f64 v[40:41], v[4:5], v[40:41]
	v_add_f64 v[34:35], v[36:37], v[34:35]
	v_add_f64 v[36:37], v[174:175], v[178:179]
	s_delay_alu instid0(VALU_DEP_4) | instskip(NEXT) | instid1(VALU_DEP_4)
	v_fma_f64 v[174:175], v[4:5], v[38:39], v[176:177]
	v_fma_f64 v[38:39], v[2:3], v[38:39], -v[40:41]
	ds_load_b128 v[2:5], v1 offset:1216
	v_add_f64 v[40:41], v[34:35], v[170:171]
	v_add_f64 v[170:171], v[36:37], v[180:181]
	scratch_load_b128 v[34:37], off, off offset:32
	s_waitcnt vmcnt(7) lgkmcnt(1)
	v_mul_f64 v[172:173], v[6:7], v[168:169]
	v_mul_f64 v[168:169], v[8:9], v[168:169]
	v_add_f64 v[38:39], v[40:41], v[38:39]
	v_add_f64 v[40:41], v[170:171], v[174:175]
	s_delay_alu instid0(VALU_DEP_4) | instskip(NEXT) | instid1(VALU_DEP_4)
	v_fma_f64 v[172:173], v[8:9], v[166:167], v[172:173]
	v_fma_f64 v[166:167], v[6:7], v[166:167], -v[168:169]
	ds_load_b128 v[6:9], v1 offset:1232
	s_waitcnt vmcnt(6) lgkmcnt(1)
	v_mul_f64 v[176:177], v[2:3], v[12:13]
	v_mul_f64 v[12:13], v[4:5], v[12:13]
	s_waitcnt vmcnt(5) lgkmcnt(0)
	v_mul_f64 v[168:169], v[6:7], v[16:17]
	v_mul_f64 v[16:17], v[8:9], v[16:17]
	s_delay_alu instid0(VALU_DEP_4) | instskip(NEXT) | instid1(VALU_DEP_4)
	v_fma_f64 v[170:171], v[4:5], v[10:11], v[176:177]
	v_fma_f64 v[10:11], v[2:3], v[10:11], -v[12:13]
	v_add_f64 v[12:13], v[38:39], v[166:167]
	v_add_f64 v[38:39], v[40:41], v[172:173]
	ds_load_b128 v[2:5], v1 offset:1248
	v_fma_f64 v[166:167], v[8:9], v[14:15], v[168:169]
	v_fma_f64 v[14:15], v[6:7], v[14:15], -v[16:17]
	ds_load_b128 v[6:9], v1 offset:1264
	s_waitcnt vmcnt(4) lgkmcnt(1)
	v_mul_f64 v[40:41], v[2:3], v[20:21]
	v_mul_f64 v[20:21], v[4:5], v[20:21]
	v_add_f64 v[10:11], v[12:13], v[10:11]
	v_add_f64 v[12:13], v[38:39], v[170:171]
	s_waitcnt vmcnt(3) lgkmcnt(0)
	v_mul_f64 v[16:17], v[6:7], v[24:25]
	v_mul_f64 v[24:25], v[8:9], v[24:25]
	v_fma_f64 v[38:39], v[4:5], v[18:19], v[40:41]
	v_fma_f64 v[18:19], v[2:3], v[18:19], -v[20:21]
	ds_load_b128 v[2:5], v1 offset:1280
	v_add_f64 v[10:11], v[10:11], v[14:15]
	v_add_f64 v[12:13], v[12:13], v[166:167]
	v_fma_f64 v[16:17], v[8:9], v[22:23], v[16:17]
	v_fma_f64 v[22:23], v[6:7], v[22:23], -v[24:25]
	ds_load_b128 v[6:9], v1 offset:1296
	s_waitcnt vmcnt(2) lgkmcnt(1)
	v_mul_f64 v[14:15], v[2:3], v[28:29]
	v_mul_f64 v[20:21], v[4:5], v[28:29]
	s_waitcnt vmcnt(1) lgkmcnt(0)
	v_mul_f64 v[24:25], v[8:9], v[32:33]
	v_add_f64 v[10:11], v[10:11], v[18:19]
	v_add_f64 v[12:13], v[12:13], v[38:39]
	v_mul_f64 v[18:19], v[6:7], v[32:33]
	v_fma_f64 v[4:5], v[4:5], v[26:27], v[14:15]
	v_fma_f64 v[1:2], v[2:3], v[26:27], -v[20:21]
	v_fma_f64 v[6:7], v[6:7], v[30:31], -v[24:25]
	v_add_f64 v[10:11], v[10:11], v[22:23]
	v_add_f64 v[12:13], v[12:13], v[16:17]
	v_fma_f64 v[8:9], v[8:9], v[30:31], v[18:19]
	s_delay_alu instid0(VALU_DEP_3) | instskip(NEXT) | instid1(VALU_DEP_3)
	v_add_f64 v[1:2], v[10:11], v[1:2]
	v_add_f64 v[3:4], v[12:13], v[4:5]
	s_delay_alu instid0(VALU_DEP_2) | instskip(NEXT) | instid1(VALU_DEP_2)
	v_add_f64 v[1:2], v[1:2], v[6:7]
	v_add_f64 v[3:4], v[3:4], v[8:9]
	s_waitcnt vmcnt(0)
	s_delay_alu instid0(VALU_DEP_2) | instskip(NEXT) | instid1(VALU_DEP_2)
	v_add_f64 v[1:2], v[34:35], -v[1:2]
	v_add_f64 v[3:4], v[36:37], -v[3:4]
	scratch_store_b128 off, v[1:4], off offset:32
	v_cmpx_lt_u32_e32 1, v124
	s_cbranch_execz .LBB40_257
; %bb.256:
	scratch_load_b128 v[1:4], v146, off
	v_mov_b32_e32 v5, 0
	s_delay_alu instid0(VALU_DEP_1)
	v_mov_b32_e32 v6, v5
	v_mov_b32_e32 v7, v5
	;; [unrolled: 1-line block ×3, first 2 shown]
	scratch_store_b128 off, v[5:8], off offset:16
	s_waitcnt vmcnt(0)
	ds_store_b128 v165, v[1:4]
.LBB40_257:
	s_or_b32 exec_lo, exec_lo, s2
	s_waitcnt lgkmcnt(0)
	s_waitcnt_vscnt null, 0x0
	s_barrier
	buffer_gl0_inv
	s_clause 0x7
	scratch_load_b128 v[2:5], off, off offset:32
	scratch_load_b128 v[6:9], off, off offset:48
	;; [unrolled: 1-line block ×8, first 2 shown]
	v_mov_b32_e32 v1, 0
	s_clause 0x1
	scratch_load_b128 v[34:37], off, off offset:160
	scratch_load_b128 v[170:173], off, off offset:176
	s_mov_b32 s2, exec_lo
	ds_load_b128 v[38:41], v1 offset:688
	ds_load_b128 v[166:169], v1 offset:704
	s_waitcnt vmcnt(9) lgkmcnt(1)
	v_mul_f64 v[174:175], v[40:41], v[4:5]
	v_mul_f64 v[4:5], v[38:39], v[4:5]
	s_waitcnt vmcnt(8) lgkmcnt(0)
	v_mul_f64 v[176:177], v[166:167], v[8:9]
	v_mul_f64 v[8:9], v[168:169], v[8:9]
	s_delay_alu instid0(VALU_DEP_4) | instskip(NEXT) | instid1(VALU_DEP_4)
	v_fma_f64 v[174:175], v[38:39], v[2:3], -v[174:175]
	v_fma_f64 v[178:179], v[40:41], v[2:3], v[4:5]
	ds_load_b128 v[2:5], v1 offset:720
	scratch_load_b128 v[38:41], off, off offset:192
	v_fma_f64 v[176:177], v[168:169], v[6:7], v[176:177]
	v_fma_f64 v[182:183], v[166:167], v[6:7], -v[8:9]
	scratch_load_b128 v[166:169], off, off offset:208
	ds_load_b128 v[6:9], v1 offset:736
	s_waitcnt vmcnt(9) lgkmcnt(1)
	v_mul_f64 v[180:181], v[2:3], v[12:13]
	v_mul_f64 v[12:13], v[4:5], v[12:13]
	s_waitcnt vmcnt(8) lgkmcnt(0)
	v_mul_f64 v[184:185], v[6:7], v[16:17]
	v_mul_f64 v[16:17], v[8:9], v[16:17]
	v_add_f64 v[174:175], v[174:175], 0
	v_add_f64 v[178:179], v[178:179], 0
	v_fma_f64 v[180:181], v[4:5], v[10:11], v[180:181]
	v_fma_f64 v[186:187], v[2:3], v[10:11], -v[12:13]
	ds_load_b128 v[2:5], v1 offset:752
	scratch_load_b128 v[10:13], off, off offset:224
	v_add_f64 v[174:175], v[174:175], v[182:183]
	v_add_f64 v[176:177], v[178:179], v[176:177]
	v_fma_f64 v[182:183], v[8:9], v[14:15], v[184:185]
	v_fma_f64 v[184:185], v[6:7], v[14:15], -v[16:17]
	scratch_load_b128 v[14:17], off, off offset:240
	ds_load_b128 v[6:9], v1 offset:768
	s_waitcnt vmcnt(9) lgkmcnt(1)
	v_mul_f64 v[178:179], v[2:3], v[20:21]
	v_mul_f64 v[20:21], v[4:5], v[20:21]
	v_add_f64 v[174:175], v[174:175], v[186:187]
	v_add_f64 v[176:177], v[176:177], v[180:181]
	s_waitcnt vmcnt(8) lgkmcnt(0)
	v_mul_f64 v[180:181], v[6:7], v[24:25]
	v_mul_f64 v[24:25], v[8:9], v[24:25]
	v_fma_f64 v[178:179], v[4:5], v[18:19], v[178:179]
	v_fma_f64 v[186:187], v[2:3], v[18:19], -v[20:21]
	ds_load_b128 v[2:5], v1 offset:784
	scratch_load_b128 v[18:21], off, off offset:256
	v_add_f64 v[174:175], v[174:175], v[184:185]
	v_add_f64 v[176:177], v[176:177], v[182:183]
	v_fma_f64 v[180:181], v[8:9], v[22:23], v[180:181]
	v_fma_f64 v[184:185], v[6:7], v[22:23], -v[24:25]
	scratch_load_b128 v[22:25], off, off offset:272
	ds_load_b128 v[6:9], v1 offset:800
	s_waitcnt vmcnt(9) lgkmcnt(1)
	v_mul_f64 v[182:183], v[2:3], v[28:29]
	v_mul_f64 v[28:29], v[4:5], v[28:29]
	v_add_f64 v[174:175], v[174:175], v[186:187]
	v_add_f64 v[176:177], v[176:177], v[178:179]
	s_waitcnt vmcnt(8) lgkmcnt(0)
	v_mul_f64 v[178:179], v[6:7], v[32:33]
	v_mul_f64 v[32:33], v[8:9], v[32:33]
	;; [unrolled: 18-line block ×10, first 2 shown]
	v_fma_f64 v[178:179], v[4:5], v[10:11], v[178:179]
	v_fma_f64 v[186:187], v[2:3], v[10:11], -v[12:13]
	ds_load_b128 v[2:5], v1 offset:1072
	scratch_load_b128 v[10:13], off, off offset:544
	v_add_f64 v[174:175], v[174:175], v[184:185]
	v_add_f64 v[176:177], v[176:177], v[182:183]
	v_fma_f64 v[180:181], v[8:9], v[14:15], v[180:181]
	v_fma_f64 v[184:185], v[6:7], v[14:15], -v[16:17]
	ds_load_b128 v[6:9], v1 offset:1088
	s_waitcnt vmcnt(8) lgkmcnt(1)
	v_mul_f64 v[182:183], v[2:3], v[20:21]
	v_mul_f64 v[20:21], v[4:5], v[20:21]
	scratch_load_b128 v[14:17], off, off offset:560
	v_add_f64 v[174:175], v[174:175], v[186:187]
	v_add_f64 v[176:177], v[176:177], v[178:179]
	s_waitcnt vmcnt(8) lgkmcnt(0)
	v_mul_f64 v[178:179], v[6:7], v[24:25]
	v_mul_f64 v[24:25], v[8:9], v[24:25]
	v_fma_f64 v[182:183], v[4:5], v[18:19], v[182:183]
	v_fma_f64 v[186:187], v[2:3], v[18:19], -v[20:21]
	scratch_load_b128 v[18:21], off, off offset:576
	ds_load_b128 v[2:5], v1 offset:1104
	v_add_f64 v[174:175], v[174:175], v[184:185]
	v_add_f64 v[176:177], v[176:177], v[180:181]
	v_fma_f64 v[178:179], v[8:9], v[22:23], v[178:179]
	v_fma_f64 v[184:185], v[6:7], v[22:23], -v[24:25]
	ds_load_b128 v[6:9], v1 offset:1120
	s_waitcnt vmcnt(8) lgkmcnt(1)
	v_mul_f64 v[180:181], v[2:3], v[28:29]
	v_mul_f64 v[28:29], v[4:5], v[28:29]
	scratch_load_b128 v[22:25], off, off offset:592
	v_add_f64 v[174:175], v[174:175], v[186:187]
	v_add_f64 v[176:177], v[176:177], v[182:183]
	s_waitcnt vmcnt(8) lgkmcnt(0)
	v_mul_f64 v[182:183], v[6:7], v[32:33]
	v_mul_f64 v[32:33], v[8:9], v[32:33]
	v_fma_f64 v[180:181], v[4:5], v[26:27], v[180:181]
	v_fma_f64 v[186:187], v[2:3], v[26:27], -v[28:29]
	scratch_load_b128 v[26:29], off, off offset:608
	ds_load_b128 v[2:5], v1 offset:1136
	;; [unrolled: 18-line block ×3, first 2 shown]
	v_add_f64 v[174:175], v[174:175], v[184:185]
	v_add_f64 v[176:177], v[176:177], v[182:183]
	v_fma_f64 v[180:181], v[8:9], v[170:171], v[180:181]
	v_fma_f64 v[170:171], v[6:7], v[170:171], -v[172:173]
	ds_load_b128 v[6:9], v1 offset:1184
	s_waitcnt vmcnt(8) lgkmcnt(1)
	v_mul_f64 v[182:183], v[2:3], v[40:41]
	v_mul_f64 v[40:41], v[4:5], v[40:41]
	v_add_f64 v[172:173], v[174:175], v[186:187]
	v_add_f64 v[174:175], v[176:177], v[178:179]
	s_waitcnt vmcnt(7) lgkmcnt(0)
	v_mul_f64 v[176:177], v[6:7], v[168:169]
	v_mul_f64 v[168:169], v[8:9], v[168:169]
	v_fma_f64 v[178:179], v[4:5], v[38:39], v[182:183]
	v_fma_f64 v[38:39], v[2:3], v[38:39], -v[40:41]
	ds_load_b128 v[2:5], v1 offset:1200
	v_add_f64 v[40:41], v[172:173], v[170:171]
	v_add_f64 v[170:171], v[174:175], v[180:181]
	v_fma_f64 v[174:175], v[8:9], v[166:167], v[176:177]
	v_fma_f64 v[166:167], v[6:7], v[166:167], -v[168:169]
	ds_load_b128 v[6:9], v1 offset:1216
	s_waitcnt vmcnt(5) lgkmcnt(0)
	v_mul_f64 v[176:177], v[6:7], v[16:17]
	v_mul_f64 v[16:17], v[8:9], v[16:17]
	v_add_f64 v[168:169], v[40:41], v[38:39]
	v_add_f64 v[170:171], v[170:171], v[178:179]
	scratch_load_b128 v[38:41], off, off offset:16
	v_mul_f64 v[172:173], v[2:3], v[12:13]
	v_mul_f64 v[12:13], v[4:5], v[12:13]
	s_delay_alu instid0(VALU_DEP_2) | instskip(NEXT) | instid1(VALU_DEP_2)
	v_fma_f64 v[172:173], v[4:5], v[10:11], v[172:173]
	v_fma_f64 v[10:11], v[2:3], v[10:11], -v[12:13]
	v_add_f64 v[12:13], v[168:169], v[166:167]
	v_add_f64 v[166:167], v[170:171], v[174:175]
	ds_load_b128 v[2:5], v1 offset:1232
	v_fma_f64 v[170:171], v[8:9], v[14:15], v[176:177]
	v_fma_f64 v[14:15], v[6:7], v[14:15], -v[16:17]
	ds_load_b128 v[6:9], v1 offset:1248
	s_waitcnt vmcnt(5) lgkmcnt(1)
	v_mul_f64 v[168:169], v[2:3], v[20:21]
	v_mul_f64 v[20:21], v[4:5], v[20:21]
	s_waitcnt vmcnt(4) lgkmcnt(0)
	v_mul_f64 v[16:17], v[6:7], v[24:25]
	v_mul_f64 v[24:25], v[8:9], v[24:25]
	v_add_f64 v[10:11], v[12:13], v[10:11]
	v_add_f64 v[12:13], v[166:167], v[172:173]
	v_fma_f64 v[166:167], v[4:5], v[18:19], v[168:169]
	v_fma_f64 v[18:19], v[2:3], v[18:19], -v[20:21]
	ds_load_b128 v[2:5], v1 offset:1264
	v_fma_f64 v[16:17], v[8:9], v[22:23], v[16:17]
	v_fma_f64 v[22:23], v[6:7], v[22:23], -v[24:25]
	ds_load_b128 v[6:9], v1 offset:1280
	v_add_f64 v[10:11], v[10:11], v[14:15]
	v_add_f64 v[12:13], v[12:13], v[170:171]
	s_waitcnt vmcnt(3) lgkmcnt(1)
	v_mul_f64 v[14:15], v[2:3], v[28:29]
	v_mul_f64 v[20:21], v[4:5], v[28:29]
	s_waitcnt vmcnt(2) lgkmcnt(0)
	v_mul_f64 v[24:25], v[8:9], v[32:33]
	v_add_f64 v[10:11], v[10:11], v[18:19]
	v_add_f64 v[12:13], v[12:13], v[166:167]
	v_mul_f64 v[18:19], v[6:7], v[32:33]
	v_fma_f64 v[14:15], v[4:5], v[26:27], v[14:15]
	v_fma_f64 v[20:21], v[2:3], v[26:27], -v[20:21]
	ds_load_b128 v[2:5], v1 offset:1296
	v_fma_f64 v[6:7], v[6:7], v[30:31], -v[24:25]
	v_add_f64 v[10:11], v[10:11], v[22:23]
	v_add_f64 v[12:13], v[12:13], v[16:17]
	s_waitcnt vmcnt(1) lgkmcnt(0)
	v_mul_f64 v[16:17], v[2:3], v[36:37]
	v_mul_f64 v[22:23], v[4:5], v[36:37]
	v_fma_f64 v[8:9], v[8:9], v[30:31], v[18:19]
	v_add_f64 v[10:11], v[10:11], v[20:21]
	v_add_f64 v[12:13], v[12:13], v[14:15]
	v_fma_f64 v[4:5], v[4:5], v[34:35], v[16:17]
	v_fma_f64 v[2:3], v[2:3], v[34:35], -v[22:23]
	s_delay_alu instid0(VALU_DEP_4) | instskip(NEXT) | instid1(VALU_DEP_4)
	v_add_f64 v[6:7], v[10:11], v[6:7]
	v_add_f64 v[8:9], v[12:13], v[8:9]
	s_delay_alu instid0(VALU_DEP_2) | instskip(NEXT) | instid1(VALU_DEP_2)
	v_add_f64 v[2:3], v[6:7], v[2:3]
	v_add_f64 v[4:5], v[8:9], v[4:5]
	s_waitcnt vmcnt(0)
	s_delay_alu instid0(VALU_DEP_2) | instskip(NEXT) | instid1(VALU_DEP_2)
	v_add_f64 v[2:3], v[38:39], -v[2:3]
	v_add_f64 v[4:5], v[40:41], -v[4:5]
	scratch_store_b128 off, v[2:5], off offset:16
	v_cmpx_ne_u32_e32 0, v124
	s_cbranch_execz .LBB40_259
; %bb.258:
	scratch_load_b128 v[5:8], off, off
	v_mov_b32_e32 v2, v1
	v_mov_b32_e32 v3, v1
	;; [unrolled: 1-line block ×3, first 2 shown]
	scratch_store_b128 off, v[1:4], off
	s_waitcnt vmcnt(0)
	ds_store_b128 v165, v[5:8]
.LBB40_259:
	s_or_b32 exec_lo, exec_lo, s2
	s_waitcnt lgkmcnt(0)
	s_waitcnt_vscnt null, 0x0
	s_barrier
	buffer_gl0_inv
	s_clause 0x7
	scratch_load_b128 v[2:5], off, off offset:16
	scratch_load_b128 v[6:9], off, off offset:32
	;; [unrolled: 1-line block ×8, first 2 shown]
	ds_load_b128 v[38:41], v1 offset:672
	ds_load_b128 v[165:168], v1 offset:688
	s_clause 0x1
	scratch_load_b128 v[34:37], off, off offset:144
	scratch_load_b128 v[169:172], off, off offset:160
	s_and_b32 vcc_lo, exec_lo, s20
	s_waitcnt vmcnt(9) lgkmcnt(1)
	v_mul_f64 v[173:174], v[40:41], v[4:5]
	v_mul_f64 v[4:5], v[38:39], v[4:5]
	s_waitcnt vmcnt(8) lgkmcnt(0)
	v_mul_f64 v[175:176], v[165:166], v[8:9]
	v_mul_f64 v[8:9], v[167:168], v[8:9]
	s_delay_alu instid0(VALU_DEP_4) | instskip(NEXT) | instid1(VALU_DEP_4)
	v_fma_f64 v[173:174], v[38:39], v[2:3], -v[173:174]
	v_fma_f64 v[177:178], v[40:41], v[2:3], v[4:5]
	ds_load_b128 v[2:5], v1 offset:704
	scratch_load_b128 v[38:41], off, off offset:176
	v_fma_f64 v[175:176], v[167:168], v[6:7], v[175:176]
	v_fma_f64 v[181:182], v[165:166], v[6:7], -v[8:9]
	scratch_load_b128 v[165:168], off, off offset:192
	ds_load_b128 v[6:9], v1 offset:720
	s_waitcnt vmcnt(9) lgkmcnt(1)
	v_mul_f64 v[179:180], v[2:3], v[12:13]
	v_mul_f64 v[12:13], v[4:5], v[12:13]
	s_waitcnt vmcnt(8) lgkmcnt(0)
	v_mul_f64 v[183:184], v[6:7], v[16:17]
	v_mul_f64 v[16:17], v[8:9], v[16:17]
	v_add_f64 v[173:174], v[173:174], 0
	v_add_f64 v[177:178], v[177:178], 0
	v_fma_f64 v[179:180], v[4:5], v[10:11], v[179:180]
	v_fma_f64 v[185:186], v[2:3], v[10:11], -v[12:13]
	ds_load_b128 v[2:5], v1 offset:736
	scratch_load_b128 v[10:13], off, off offset:208
	v_add_f64 v[173:174], v[173:174], v[181:182]
	v_add_f64 v[175:176], v[177:178], v[175:176]
	v_fma_f64 v[181:182], v[8:9], v[14:15], v[183:184]
	v_fma_f64 v[183:184], v[6:7], v[14:15], -v[16:17]
	scratch_load_b128 v[14:17], off, off offset:224
	ds_load_b128 v[6:9], v1 offset:752
	s_waitcnt vmcnt(9) lgkmcnt(1)
	v_mul_f64 v[177:178], v[2:3], v[20:21]
	v_mul_f64 v[20:21], v[4:5], v[20:21]
	v_add_f64 v[173:174], v[173:174], v[185:186]
	v_add_f64 v[175:176], v[175:176], v[179:180]
	s_waitcnt vmcnt(8) lgkmcnt(0)
	v_mul_f64 v[179:180], v[6:7], v[24:25]
	v_mul_f64 v[24:25], v[8:9], v[24:25]
	v_fma_f64 v[177:178], v[4:5], v[18:19], v[177:178]
	v_fma_f64 v[185:186], v[2:3], v[18:19], -v[20:21]
	ds_load_b128 v[2:5], v1 offset:768
	scratch_load_b128 v[18:21], off, off offset:240
	v_add_f64 v[173:174], v[173:174], v[183:184]
	v_add_f64 v[175:176], v[175:176], v[181:182]
	v_fma_f64 v[179:180], v[8:9], v[22:23], v[179:180]
	v_fma_f64 v[183:184], v[6:7], v[22:23], -v[24:25]
	scratch_load_b128 v[22:25], off, off offset:256
	ds_load_b128 v[6:9], v1 offset:784
	s_waitcnt vmcnt(9) lgkmcnt(1)
	v_mul_f64 v[181:182], v[2:3], v[28:29]
	v_mul_f64 v[28:29], v[4:5], v[28:29]
	v_add_f64 v[173:174], v[173:174], v[185:186]
	v_add_f64 v[175:176], v[175:176], v[177:178]
	s_waitcnt vmcnt(8) lgkmcnt(0)
	v_mul_f64 v[177:178], v[6:7], v[32:33]
	v_mul_f64 v[32:33], v[8:9], v[32:33]
	;; [unrolled: 18-line block ×5, first 2 shown]
	v_fma_f64 v[181:182], v[4:5], v[10:11], v[181:182]
	v_fma_f64 v[185:186], v[2:3], v[10:11], -v[12:13]
	scratch_load_b128 v[10:13], off, off offset:368
	ds_load_b128 v[2:5], v1 offset:896
	v_add_f64 v[173:174], v[173:174], v[183:184]
	v_add_f64 v[175:176], v[175:176], v[179:180]
	v_fma_f64 v[177:178], v[8:9], v[14:15], v[177:178]
	v_fma_f64 v[183:184], v[6:7], v[14:15], -v[16:17]
	ds_load_b128 v[6:9], v1 offset:912
	s_waitcnt vmcnt(8) lgkmcnt(1)
	v_mul_f64 v[179:180], v[2:3], v[20:21]
	v_mul_f64 v[20:21], v[4:5], v[20:21]
	scratch_load_b128 v[14:17], off, off offset:384
	v_add_f64 v[173:174], v[173:174], v[185:186]
	v_add_f64 v[175:176], v[175:176], v[181:182]
	s_waitcnt vmcnt(8) lgkmcnt(0)
	v_mul_f64 v[181:182], v[6:7], v[24:25]
	v_mul_f64 v[24:25], v[8:9], v[24:25]
	v_fma_f64 v[179:180], v[4:5], v[18:19], v[179:180]
	v_fma_f64 v[185:186], v[2:3], v[18:19], -v[20:21]
	ds_load_b128 v[2:5], v1 offset:928
	scratch_load_b128 v[18:21], off, off offset:400
	v_add_f64 v[173:174], v[173:174], v[183:184]
	v_add_f64 v[175:176], v[175:176], v[177:178]
	v_fma_f64 v[181:182], v[8:9], v[22:23], v[181:182]
	v_fma_f64 v[183:184], v[6:7], v[22:23], -v[24:25]
	scratch_load_b128 v[22:25], off, off offset:416
	ds_load_b128 v[6:9], v1 offset:944
	s_waitcnt vmcnt(9) lgkmcnt(1)
	v_mul_f64 v[177:178], v[2:3], v[28:29]
	v_mul_f64 v[28:29], v[4:5], v[28:29]
	v_add_f64 v[173:174], v[173:174], v[185:186]
	v_add_f64 v[175:176], v[175:176], v[179:180]
	s_waitcnt vmcnt(8) lgkmcnt(0)
	v_mul_f64 v[179:180], v[6:7], v[32:33]
	v_mul_f64 v[32:33], v[8:9], v[32:33]
	v_fma_f64 v[177:178], v[4:5], v[26:27], v[177:178]
	v_fma_f64 v[185:186], v[2:3], v[26:27], -v[28:29]
	ds_load_b128 v[2:5], v1 offset:960
	scratch_load_b128 v[26:29], off, off offset:432
	v_add_f64 v[173:174], v[173:174], v[183:184]
	v_add_f64 v[175:176], v[175:176], v[181:182]
	v_fma_f64 v[179:180], v[8:9], v[30:31], v[179:180]
	v_fma_f64 v[183:184], v[6:7], v[30:31], -v[32:33]
	scratch_load_b128 v[30:33], off, off offset:448
	ds_load_b128 v[6:9], v1 offset:976
	s_waitcnt vmcnt(9) lgkmcnt(1)
	v_mul_f64 v[181:182], v[2:3], v[36:37]
	v_mul_f64 v[36:37], v[4:5], v[36:37]
	;; [unrolled: 18-line block ×3, first 2 shown]
	v_add_f64 v[173:174], v[173:174], v[185:186]
	v_add_f64 v[175:176], v[175:176], v[181:182]
	s_waitcnt vmcnt(8) lgkmcnt(0)
	v_mul_f64 v[181:182], v[6:7], v[167:168]
	v_mul_f64 v[167:168], v[8:9], v[167:168]
	v_fma_f64 v[179:180], v[4:5], v[38:39], v[179:180]
	v_fma_f64 v[185:186], v[2:3], v[38:39], -v[40:41]
	ds_load_b128 v[2:5], v1 offset:1024
	scratch_load_b128 v[38:41], off, off offset:496
	v_add_f64 v[173:174], v[173:174], v[183:184]
	v_add_f64 v[175:176], v[175:176], v[177:178]
	v_fma_f64 v[181:182], v[8:9], v[165:166], v[181:182]
	v_fma_f64 v[183:184], v[6:7], v[165:166], -v[167:168]
	ds_load_b128 v[6:9], v1 offset:1040
	s_waitcnt vmcnt(8) lgkmcnt(1)
	v_mul_f64 v[177:178], v[2:3], v[12:13]
	v_mul_f64 v[12:13], v[4:5], v[12:13]
	scratch_load_b128 v[165:168], off, off offset:512
	v_add_f64 v[173:174], v[173:174], v[185:186]
	v_add_f64 v[175:176], v[175:176], v[179:180]
	s_waitcnt vmcnt(8) lgkmcnt(0)
	v_mul_f64 v[179:180], v[6:7], v[16:17]
	v_mul_f64 v[16:17], v[8:9], v[16:17]
	v_fma_f64 v[177:178], v[4:5], v[10:11], v[177:178]
	v_fma_f64 v[185:186], v[2:3], v[10:11], -v[12:13]
	scratch_load_b128 v[10:13], off, off offset:528
	ds_load_b128 v[2:5], v1 offset:1056
	v_add_f64 v[173:174], v[173:174], v[183:184]
	v_add_f64 v[175:176], v[175:176], v[181:182]
	v_fma_f64 v[179:180], v[8:9], v[14:15], v[179:180]
	v_fma_f64 v[183:184], v[6:7], v[14:15], -v[16:17]
	ds_load_b128 v[6:9], v1 offset:1072
	s_waitcnt vmcnt(8) lgkmcnt(1)
	v_mul_f64 v[181:182], v[2:3], v[20:21]
	v_mul_f64 v[20:21], v[4:5], v[20:21]
	scratch_load_b128 v[14:17], off, off offset:544
	v_add_f64 v[173:174], v[173:174], v[185:186]
	v_add_f64 v[175:176], v[175:176], v[177:178]
	s_waitcnt vmcnt(8) lgkmcnt(0)
	v_mul_f64 v[177:178], v[6:7], v[24:25]
	v_mul_f64 v[24:25], v[8:9], v[24:25]
	v_fma_f64 v[181:182], v[4:5], v[18:19], v[181:182]
	v_fma_f64 v[185:186], v[2:3], v[18:19], -v[20:21]
	scratch_load_b128 v[18:21], off, off offset:560
	ds_load_b128 v[2:5], v1 offset:1088
	;; [unrolled: 18-line block ×4, first 2 shown]
	v_add_f64 v[173:174], v[173:174], v[183:184]
	v_add_f64 v[175:176], v[175:176], v[181:182]
	v_fma_f64 v[179:180], v[8:9], v[169:170], v[179:180]
	v_fma_f64 v[183:184], v[6:7], v[169:170], -v[171:172]
	ds_load_b128 v[6:9], v1 offset:1168
	s_waitcnt vmcnt(8) lgkmcnt(1)
	v_mul_f64 v[181:182], v[2:3], v[40:41]
	v_mul_f64 v[40:41], v[4:5], v[40:41]
	scratch_load_b128 v[169:172], off, off offset:640
	v_add_f64 v[173:174], v[173:174], v[185:186]
	v_add_f64 v[175:176], v[175:176], v[177:178]
	v_fma_f64 v[181:182], v[4:5], v[38:39], v[181:182]
	v_fma_f64 v[38:39], v[2:3], v[38:39], -v[40:41]
	ds_load_b128 v[2:5], v1 offset:1184
	v_add_f64 v[40:41], v[173:174], v[183:184]
	v_add_f64 v[173:174], v[175:176], v[179:180]
	s_waitcnt vmcnt(7) lgkmcnt(0)
	v_mul_f64 v[175:176], v[2:3], v[12:13]
	v_mul_f64 v[12:13], v[4:5], v[12:13]
	s_delay_alu instid0(VALU_DEP_4) | instskip(NEXT) | instid1(VALU_DEP_4)
	v_add_f64 v[38:39], v[40:41], v[38:39]
	v_add_f64 v[40:41], v[173:174], v[181:182]
	s_delay_alu instid0(VALU_DEP_4) | instskip(NEXT) | instid1(VALU_DEP_4)
	v_fma_f64 v[173:174], v[4:5], v[10:11], v[175:176]
	v_fma_f64 v[175:176], v[2:3], v[10:11], -v[12:13]
	scratch_load_b128 v[10:13], off, off
	v_mul_f64 v[177:178], v[6:7], v[167:168]
	v_mul_f64 v[167:168], v[8:9], v[167:168]
	ds_load_b128 v[2:5], v1 offset:1216
	v_fma_f64 v[177:178], v[8:9], v[165:166], v[177:178]
	v_fma_f64 v[165:166], v[6:7], v[165:166], -v[167:168]
	ds_load_b128 v[6:9], v1 offset:1200
	s_waitcnt vmcnt(7) lgkmcnt(0)
	v_mul_f64 v[167:168], v[6:7], v[16:17]
	v_mul_f64 v[16:17], v[8:9], v[16:17]
	v_add_f64 v[40:41], v[40:41], v[177:178]
	v_add_f64 v[38:39], v[38:39], v[165:166]
	s_waitcnt vmcnt(6)
	v_mul_f64 v[165:166], v[2:3], v[20:21]
	v_mul_f64 v[20:21], v[4:5], v[20:21]
	v_fma_f64 v[167:168], v[8:9], v[14:15], v[167:168]
	v_fma_f64 v[14:15], v[6:7], v[14:15], -v[16:17]
	ds_load_b128 v[6:9], v1 offset:1232
	v_add_f64 v[16:17], v[38:39], v[175:176]
	v_add_f64 v[38:39], v[40:41], v[173:174]
	v_fma_f64 v[165:166], v[4:5], v[18:19], v[165:166]
	v_fma_f64 v[18:19], v[2:3], v[18:19], -v[20:21]
	ds_load_b128 v[2:5], v1 offset:1248
	s_waitcnt vmcnt(5) lgkmcnt(1)
	v_mul_f64 v[40:41], v[6:7], v[24:25]
	v_mul_f64 v[24:25], v[8:9], v[24:25]
	s_waitcnt vmcnt(4) lgkmcnt(0)
	v_mul_f64 v[20:21], v[2:3], v[28:29]
	v_mul_f64 v[28:29], v[4:5], v[28:29]
	v_add_f64 v[14:15], v[16:17], v[14:15]
	v_add_f64 v[16:17], v[38:39], v[167:168]
	v_fma_f64 v[38:39], v[8:9], v[22:23], v[40:41]
	v_fma_f64 v[22:23], v[6:7], v[22:23], -v[24:25]
	ds_load_b128 v[6:9], v1 offset:1264
	v_fma_f64 v[20:21], v[4:5], v[26:27], v[20:21]
	v_fma_f64 v[26:27], v[2:3], v[26:27], -v[28:29]
	ds_load_b128 v[2:5], v1 offset:1280
	s_waitcnt vmcnt(3) lgkmcnt(1)
	v_mul_f64 v[24:25], v[8:9], v[32:33]
	v_add_f64 v[14:15], v[14:15], v[18:19]
	v_add_f64 v[16:17], v[16:17], v[165:166]
	v_mul_f64 v[18:19], v[6:7], v[32:33]
	s_waitcnt vmcnt(2) lgkmcnt(0)
	v_mul_f64 v[28:29], v[4:5], v[36:37]
	v_fma_f64 v[24:25], v[6:7], v[30:31], -v[24:25]
	v_add_f64 v[14:15], v[14:15], v[22:23]
	v_add_f64 v[16:17], v[16:17], v[38:39]
	v_mul_f64 v[22:23], v[2:3], v[36:37]
	v_fma_f64 v[18:19], v[8:9], v[30:31], v[18:19]
	ds_load_b128 v[6:9], v1 offset:1296
	v_fma_f64 v[1:2], v[2:3], v[34:35], -v[28:29]
	v_add_f64 v[14:15], v[14:15], v[26:27]
	v_add_f64 v[16:17], v[16:17], v[20:21]
	s_waitcnt vmcnt(1) lgkmcnt(0)
	v_mul_f64 v[20:21], v[6:7], v[171:172]
	v_mul_f64 v[26:27], v[8:9], v[171:172]
	v_fma_f64 v[4:5], v[4:5], v[34:35], v[22:23]
	v_add_f64 v[14:15], v[14:15], v[24:25]
	v_add_f64 v[16:17], v[16:17], v[18:19]
	v_fma_f64 v[8:9], v[8:9], v[169:170], v[20:21]
	v_fma_f64 v[6:7], v[6:7], v[169:170], -v[26:27]
	s_delay_alu instid0(VALU_DEP_4) | instskip(NEXT) | instid1(VALU_DEP_4)
	v_add_f64 v[1:2], v[14:15], v[1:2]
	v_add_f64 v[3:4], v[16:17], v[4:5]
	s_delay_alu instid0(VALU_DEP_2) | instskip(NEXT) | instid1(VALU_DEP_2)
	v_add_f64 v[1:2], v[1:2], v[6:7]
	v_add_f64 v[3:4], v[3:4], v[8:9]
	s_waitcnt vmcnt(0)
	s_delay_alu instid0(VALU_DEP_2) | instskip(NEXT) | instid1(VALU_DEP_2)
	v_add_f64 v[1:2], v[10:11], -v[1:2]
	v_add_f64 v[3:4], v[12:13], -v[3:4]
	scratch_store_b128 off, v[1:4], off
	s_cbranch_vccz .LBB40_341
; %bb.260:
	v_dual_mov_b32 v1, s16 :: v_dual_mov_b32 v2, s17
	s_load_b64 s[0:1], s[0:1], 0x4
	flat_load_b32 v1, v[1:2] offset:156
	v_bfe_u32 v2, v0, 10, 10
	v_bfe_u32 v0, v0, 20, 10
	s_waitcnt lgkmcnt(0)
	s_lshr_b32 s0, s0, 16
	s_delay_alu instid0(VALU_DEP_2) | instskip(SKIP_1) | instid1(SALU_CYCLE_1)
	v_mul_u32_u24_e32 v2, s1, v2
	s_mul_i32 s0, s0, s1
	v_mul_u32_u24_e32 v3, s0, v124
	s_mov_b32 s0, exec_lo
	s_delay_alu instid0(VALU_DEP_1) | instskip(NEXT) | instid1(VALU_DEP_1)
	v_add3_u32 v0, v3, v2, v0
	v_lshl_add_u32 v0, v0, 4, 0x528
	s_waitcnt vmcnt(0)
	v_cmpx_ne_u32_e32 40, v1
	s_cbranch_execz .LBB40_262
; %bb.261:
	v_lshl_add_u32 v9, v1, 4, 0
	s_clause 0x1
	scratch_load_b128 v[1:4], v127, off
	scratch_load_b128 v[5:8], v9, off offset:-16
	s_waitcnt vmcnt(1)
	ds_store_2addr_b64 v0, v[1:2], v[3:4] offset1:1
	s_waitcnt vmcnt(0)
	s_clause 0x1
	scratch_store_b128 v127, v[5:8], off
	scratch_store_b128 v9, v[1:4], off offset:-16
.LBB40_262:
	s_or_b32 exec_lo, exec_lo, s0
	v_dual_mov_b32 v1, s16 :: v_dual_mov_b32 v2, s17
	s_mov_b32 s0, exec_lo
	flat_load_b32 v1, v[1:2] offset:152
	s_waitcnt vmcnt(0) lgkmcnt(0)
	v_cmpx_ne_u32_e32 39, v1
	s_cbranch_execz .LBB40_264
; %bb.263:
	v_lshl_add_u32 v9, v1, 4, 0
	s_clause 0x1
	scratch_load_b128 v[1:4], v128, off
	scratch_load_b128 v[5:8], v9, off offset:-16
	s_waitcnt vmcnt(1)
	ds_store_2addr_b64 v0, v[1:2], v[3:4] offset1:1
	s_waitcnt vmcnt(0)
	s_clause 0x1
	scratch_store_b128 v128, v[5:8], off
	scratch_store_b128 v9, v[1:4], off offset:-16
.LBB40_264:
	s_or_b32 exec_lo, exec_lo, s0
	v_dual_mov_b32 v1, s16 :: v_dual_mov_b32 v2, s17
	s_mov_b32 s0, exec_lo
	flat_load_b32 v1, v[1:2] offset:148
	s_waitcnt vmcnt(0) lgkmcnt(0)
	;; [unrolled: 19-line block ×38, first 2 shown]
	v_cmpx_ne_u32_e32 2, v1
	s_cbranch_execz .LBB40_338
; %bb.337:
	v_lshl_add_u32 v9, v1, 4, 0
	s_clause 0x1
	scratch_load_b128 v[1:4], v146, off
	scratch_load_b128 v[5:8], v9, off offset:-16
	s_waitcnt vmcnt(1)
	ds_store_2addr_b64 v0, v[1:2], v[3:4] offset1:1
	s_waitcnt vmcnt(0)
	s_clause 0x1
	scratch_store_b128 v146, v[5:8], off
	scratch_store_b128 v9, v[1:4], off offset:-16
.LBB40_338:
	s_or_b32 exec_lo, exec_lo, s0
	v_dual_mov_b32 v1, s16 :: v_dual_mov_b32 v2, s17
	s_mov_b32 s0, exec_lo
	flat_load_b32 v1, v[1:2]
	s_waitcnt vmcnt(0) lgkmcnt(0)
	v_cmpx_ne_u32_e32 1, v1
	s_cbranch_execz .LBB40_340
; %bb.339:
	v_lshl_add_u32 v9, v1, 4, 0
	scratch_load_b128 v[1:4], off, off
	scratch_load_b128 v[5:8], v9, off offset:-16
	s_waitcnt vmcnt(1)
	ds_store_2addr_b64 v0, v[1:2], v[3:4] offset1:1
	s_waitcnt vmcnt(0)
	scratch_store_b128 off, v[5:8], off
	scratch_store_b128 v9, v[1:4], off offset:-16
.LBB40_340:
	s_or_b32 exec_lo, exec_lo, s0
.LBB40_341:
	scratch_load_b128 v[0:3], off, off
	s_clause 0x13
	scratch_load_b128 v[4:7], v146, off
	scratch_load_b128 v[8:11], v145, off
	;; [unrolled: 1-line block ×20, first 2 shown]
	s_waitcnt vmcnt(20)
	global_store_b128 v[42:43], v[0:3], off
	s_clause 0x1
	scratch_load_b128 v[0:3], v148, off
	scratch_load_b128 v[40:43], v147, off
	s_waitcnt vmcnt(21)
	global_store_b128 v[44:45], v[4:7], off
	s_clause 0x1
	scratch_load_b128 v[4:7], v142, off
	scratch_load_b128 v[190:193], v141, off
	;; [unrolled: 5-line block ×10, first 2 shown]
	s_waitcnt vmcnt(30)
	global_store_b128 v[62:63], v[143:146], off
	s_waitcnt vmcnt(29)
	global_store_b128 v[64:65], v[158:161], off
	s_waitcnt vmcnt(28)
	global_store_b128 v[66:67], v[162:165], off
	s_waitcnt vmcnt(27)
	global_store_b128 v[68:69], v[166:169], off
	s_waitcnt vmcnt(26)
	global_store_b128 v[70:71], v[170:173], off
	s_waitcnt vmcnt(25)
	global_store_b128 v[72:73], v[154:157], off
	s_waitcnt vmcnt(24)
	global_store_b128 v[74:75], v[174:177], off
	s_waitcnt vmcnt(23)
	global_store_b128 v[76:77], v[178:181], off
	s_waitcnt vmcnt(22)
	global_store_b128 v[78:79], v[182:185], off
	s_waitcnt vmcnt(21)
	global_store_b128 v[80:81], v[150:153], off
	s_waitcnt vmcnt(20)
	global_store_b128 v[82:83], v[186:189], off
	s_waitcnt vmcnt(19)
	global_store_b128 v[84:85], v[0:3], off
	s_waitcnt vmcnt(18)
	global_store_b128 v[86:87], v[40:43], off
	s_waitcnt vmcnt(17)
	global_store_b128 v[88:89], v[4:7], off
	s_waitcnt vmcnt(16)
	global_store_b128 v[90:91], v[190:193], off
	s_waitcnt vmcnt(15)
	global_store_b128 v[92:93], v[8:11], off
	s_waitcnt vmcnt(14)
	global_store_b128 v[94:95], v[44:47], off
	s_waitcnt vmcnt(13)
	global_store_b128 v[96:97], v[12:15], off
	s_waitcnt vmcnt(12)
	global_store_b128 v[98:99], v[194:197], off
	s_waitcnt vmcnt(11)
	global_store_b128 v[100:101], v[16:19], off
	s_waitcnt vmcnt(10)
	global_store_b128 v[102:103], v[48:51], off
	s_waitcnt vmcnt(9)
	global_store_b128 v[104:105], v[20:23], off
	s_waitcnt vmcnt(8)
	global_store_b128 v[106:107], v[136:139], off
	s_waitcnt vmcnt(7)
	global_store_b128 v[108:109], v[24:27], off
	s_waitcnt vmcnt(6)
	global_store_b128 v[110:111], v[52:55], off
	s_waitcnt vmcnt(5)
	global_store_b128 v[112:113], v[28:31], off
	s_waitcnt vmcnt(4)
	global_store_b128 v[114:115], v[130:133], off
	s_waitcnt vmcnt(3)
	global_store_b128 v[116:117], v[32:35], off
	s_waitcnt vmcnt(2)
	global_store_b128 v[118:119], v[56:59], off
	s_waitcnt vmcnt(1)
	global_store_b128 v[120:121], v[36:39], off
	s_waitcnt vmcnt(0)
	global_store_b128 v[122:123], v[124:127], off
	s_endpgm
	.section	.rodata,"a",@progbits
	.p2align	6, 0x0
	.amdhsa_kernel _ZN9rocsolver6v33100L18getri_kernel_smallILi41E19rocblas_complex_numIdEPS3_EEvT1_iilPiilS6_bb
		.amdhsa_group_segment_fixed_size 2344
		.amdhsa_private_segment_fixed_size 672
		.amdhsa_kernarg_size 60
		.amdhsa_user_sgpr_count 15
		.amdhsa_user_sgpr_dispatch_ptr 1
		.amdhsa_user_sgpr_queue_ptr 0
		.amdhsa_user_sgpr_kernarg_segment_ptr 1
		.amdhsa_user_sgpr_dispatch_id 0
		.amdhsa_user_sgpr_private_segment_size 0
		.amdhsa_wavefront_size32 1
		.amdhsa_uses_dynamic_stack 0
		.amdhsa_enable_private_segment 1
		.amdhsa_system_sgpr_workgroup_id_x 1
		.amdhsa_system_sgpr_workgroup_id_y 0
		.amdhsa_system_sgpr_workgroup_id_z 0
		.amdhsa_system_sgpr_workgroup_info 0
		.amdhsa_system_vgpr_workitem_id 2
		.amdhsa_next_free_vgpr 213
		.amdhsa_next_free_sgpr 47
		.amdhsa_reserve_vcc 1
		.amdhsa_float_round_mode_32 0
		.amdhsa_float_round_mode_16_64 0
		.amdhsa_float_denorm_mode_32 3
		.amdhsa_float_denorm_mode_16_64 3
		.amdhsa_dx10_clamp 1
		.amdhsa_ieee_mode 1
		.amdhsa_fp16_overflow 0
		.amdhsa_workgroup_processor_mode 1
		.amdhsa_memory_ordered 1
		.amdhsa_forward_progress 0
		.amdhsa_shared_vgpr_count 0
		.amdhsa_exception_fp_ieee_invalid_op 0
		.amdhsa_exception_fp_denorm_src 0
		.amdhsa_exception_fp_ieee_div_zero 0
		.amdhsa_exception_fp_ieee_overflow 0
		.amdhsa_exception_fp_ieee_underflow 0
		.amdhsa_exception_fp_ieee_inexact 0
		.amdhsa_exception_int_div_zero 0
	.end_amdhsa_kernel
	.section	.text._ZN9rocsolver6v33100L18getri_kernel_smallILi41E19rocblas_complex_numIdEPS3_EEvT1_iilPiilS6_bb,"axG",@progbits,_ZN9rocsolver6v33100L18getri_kernel_smallILi41E19rocblas_complex_numIdEPS3_EEvT1_iilPiilS6_bb,comdat
.Lfunc_end40:
	.size	_ZN9rocsolver6v33100L18getri_kernel_smallILi41E19rocblas_complex_numIdEPS3_EEvT1_iilPiilS6_bb, .Lfunc_end40-_ZN9rocsolver6v33100L18getri_kernel_smallILi41E19rocblas_complex_numIdEPS3_EEvT1_iilPiilS6_bb
                                        ; -- End function
	.section	.AMDGPU.csdata,"",@progbits
; Kernel info:
; codeLenInByte = 81396
; NumSgprs: 49
; NumVgprs: 213
; ScratchSize: 672
; MemoryBound: 0
; FloatMode: 240
; IeeeMode: 1
; LDSByteSize: 2344 bytes/workgroup (compile time only)
; SGPRBlocks: 6
; VGPRBlocks: 26
; NumSGPRsForWavesPerEU: 49
; NumVGPRsForWavesPerEU: 213
; Occupancy: 7
; WaveLimiterHint : 1
; COMPUTE_PGM_RSRC2:SCRATCH_EN: 1
; COMPUTE_PGM_RSRC2:USER_SGPR: 15
; COMPUTE_PGM_RSRC2:TRAP_HANDLER: 0
; COMPUTE_PGM_RSRC2:TGID_X_EN: 1
; COMPUTE_PGM_RSRC2:TGID_Y_EN: 0
; COMPUTE_PGM_RSRC2:TGID_Z_EN: 0
; COMPUTE_PGM_RSRC2:TIDIG_COMP_CNT: 2
	.section	.text._ZN9rocsolver6v33100L18getri_kernel_smallILi42E19rocblas_complex_numIdEPS3_EEvT1_iilPiilS6_bb,"axG",@progbits,_ZN9rocsolver6v33100L18getri_kernel_smallILi42E19rocblas_complex_numIdEPS3_EEvT1_iilPiilS6_bb,comdat
	.globl	_ZN9rocsolver6v33100L18getri_kernel_smallILi42E19rocblas_complex_numIdEPS3_EEvT1_iilPiilS6_bb ; -- Begin function _ZN9rocsolver6v33100L18getri_kernel_smallILi42E19rocblas_complex_numIdEPS3_EEvT1_iilPiilS6_bb
	.p2align	8
	.type	_ZN9rocsolver6v33100L18getri_kernel_smallILi42E19rocblas_complex_numIdEPS3_EEvT1_iilPiilS6_bb,@function
_ZN9rocsolver6v33100L18getri_kernel_smallILi42E19rocblas_complex_numIdEPS3_EEvT1_iilPiilS6_bb: ; @_ZN9rocsolver6v33100L18getri_kernel_smallILi42E19rocblas_complex_numIdEPS3_EEvT1_iilPiilS6_bb
; %bb.0:
	v_and_b32_e32 v126, 0x3ff, v0
	s_mov_b32 s4, exec_lo
	s_delay_alu instid0(VALU_DEP_1)
	v_cmpx_gt_u32_e32 42, v126
	s_cbranch_execz .LBB41_182
; %bb.1:
	s_mov_b32 s18, s15
	s_clause 0x2
	s_load_b32 s21, s[2:3], 0x38
	s_load_b128 s[12:15], s[2:3], 0x10
	s_load_b128 s[4:7], s[2:3], 0x28
                                        ; implicit-def: $sgpr16_sgpr17
	s_waitcnt lgkmcnt(0)
	s_bitcmp1_b32 s21, 8
	s_cselect_b32 s20, -1, 0
	s_bfe_u32 s8, s21, 0x10008
	s_ashr_i32 s19, s18, 31
	s_cmp_eq_u32 s8, 0
	s_cbranch_scc1 .LBB41_3
; %bb.2:
	s_load_b32 s8, s[2:3], 0x20
	s_mul_i32 s5, s18, s5
	s_mul_hi_u32 s9, s18, s4
	s_mul_i32 s10, s19, s4
	s_add_i32 s5, s9, s5
	s_mul_i32 s4, s18, s4
	s_add_i32 s5, s5, s10
	s_delay_alu instid0(SALU_CYCLE_1)
	s_lshl_b64 s[4:5], s[4:5], 2
	s_waitcnt lgkmcnt(0)
	s_ashr_i32 s9, s8, 31
	s_add_u32 s10, s14, s4
	s_addc_u32 s11, s15, s5
	s_lshl_b64 s[4:5], s[8:9], 2
	s_delay_alu instid0(SALU_CYCLE_1)
	s_add_u32 s16, s10, s4
	s_addc_u32 s17, s11, s5
.LBB41_3:
	s_load_b128 s[8:11], s[2:3], 0x0
	s_mul_i32 s2, s18, s13
	s_mul_hi_u32 s3, s18, s12
	s_mul_i32 s4, s19, s12
	s_add_i32 s3, s3, s2
	s_mul_i32 s2, s18, s12
	s_add_i32 s3, s3, s4
	v_lshlrev_b32_e32 v13, 4, v126
	s_lshl_b64 s[2:3], s[2:3], 4
	s_movk_i32 s12, 0xd0
	s_movk_i32 s13, 0xe0
	;; [unrolled: 1-line block ×11, first 2 shown]
	s_waitcnt lgkmcnt(0)
	v_add3_u32 v5, s11, s11, v126
	s_ashr_i32 s5, s10, 31
	s_mov_b32 s4, s10
	s_add_u32 s8, s8, s2
	s_addc_u32 s9, s9, s3
	v_add_nc_u32_e32 v7, s11, v5
	s_lshl_b64 s[2:3], s[4:5], 4
	v_ashrrev_i32_e32 v6, 31, v5
	s_add_u32 s2, s8, s2
	s_addc_u32 s3, s9, s3
	v_add_nc_u32_e32 v14, s11, v7
	v_add_co_u32 v42, s8, s2, v13
	v_ashrrev_i32_e32 v8, 31, v7
	s_mov_b32 s4, s11
	s_delay_alu instid0(VALU_DEP_3) | instskip(SKIP_3) | instid1(VALU_DEP_3)
	v_add_nc_u32_e32 v16, s11, v14
	s_ashr_i32 s5, s11, 31
	v_add_co_ci_u32_e64 v43, null, s3, 0, s8
	v_lshlrev_b64 v[5:6], 4, v[5:6]
	v_add_nc_u32_e32 v22, s11, v16
	s_lshl_b64 s[4:5], s[4:5], 4
	v_ashrrev_i32_e32 v15, 31, v14
	v_add_co_u32 v46, vcc_lo, v42, s4
	s_delay_alu instid0(VALU_DEP_3) | instskip(SKIP_3) | instid1(VALU_DEP_4)
	v_add_nc_u32_e32 v24, s11, v22
	v_lshlrev_b64 v[18:19], 4, v[7:8]
	v_ashrrev_i32_e32 v17, 31, v16
	v_add_co_ci_u32_e32 v47, vcc_lo, s5, v43, vcc_lo
	v_add_nc_u32_e32 v30, s11, v24
	v_add_co_u32 v44, vcc_lo, s2, v5
	v_lshlrev_b64 v[14:15], 4, v[14:15]
	v_ashrrev_i32_e32 v23, 31, v22
	s_delay_alu instid0(VALU_DEP_4) | instskip(SKIP_3) | instid1(VALU_DEP_4)
	v_add_nc_u32_e32 v32, s11, v30
	v_add_co_ci_u32_e32 v45, vcc_lo, s3, v6, vcc_lo
	v_add_co_u32 v50, vcc_lo, s2, v18
	v_lshlrev_b64 v[26:27], 4, v[16:17]
	v_add_nc_u32_e32 v38, s11, v32
	v_ashrrev_i32_e32 v25, 31, v24
	v_add_co_ci_u32_e32 v51, vcc_lo, s3, v19, vcc_lo
	v_add_co_u32 v48, vcc_lo, s2, v14
	v_lshlrev_b64 v[22:23], 4, v[22:23]
	v_ashrrev_i32_e32 v31, 31, v30
	v_add_co_ci_u32_e32 v49, vcc_lo, s3, v15, vcc_lo
	v_add_nc_u32_e32 v40, s11, v38
	v_add_co_u32 v54, vcc_lo, s2, v26
	v_lshlrev_b64 v[34:35], 4, v[24:25]
	v_ashrrev_i32_e32 v33, 31, v32
	v_add_co_ci_u32_e32 v55, vcc_lo, s3, v27, vcc_lo
	v_add_co_u32 v52, vcc_lo, s2, v22
	v_lshlrev_b64 v[30:31], 4, v[30:31]
	v_ashrrev_i32_e32 v39, 31, v38
	v_add_nc_u32_e32 v64, s11, v40
	v_add_co_ci_u32_e32 v53, vcc_lo, s3, v23, vcc_lo
	v_add_co_u32 v58, vcc_lo, s2, v34
	v_lshlrev_b64 v[60:61], 4, v[32:33]
	v_ashrrev_i32_e32 v41, 31, v40
	v_add_co_ci_u32_e32 v59, vcc_lo, s3, v35, vcc_lo
	v_add_co_u32 v56, vcc_lo, s2, v30
	v_lshlrev_b64 v[38:39], 4, v[38:39]
	v_add_nc_u32_e32 v68, s11, v64
	v_ashrrev_i32_e32 v65, 31, v64
	v_add_co_ci_u32_e32 v57, vcc_lo, s3, v31, vcc_lo
	v_add_co_u32 v62, vcc_lo, s2, v60
	v_lshlrev_b64 v[66:67], 4, v[40:41]
	v_add_co_ci_u32_e32 v63, vcc_lo, s3, v61, vcc_lo
	v_add_nc_u32_e32 v70, s11, v68
	v_add_co_u32 v60, vcc_lo, s2, v38
	v_lshlrev_b64 v[71:72], 4, v[64:65]
	s_clause 0x2
	global_load_b128 v[1:4], v13, s[2:3]
	global_load_b128 v[5:8], v[46:47], off
	global_load_b128 v[9:12], v[44:45], off
	v_add_co_ci_u32_e32 v61, vcc_lo, s3, v39, vcc_lo
	s_clause 0x1
	global_load_b128 v[14:17], v[50:51], off
	global_load_b128 v[18:21], v[48:49], off
	v_ashrrev_i32_e32 v69, 31, v68
	v_add_co_u32 v64, vcc_lo, s2, v66
	s_clause 0x1
	global_load_b128 v[22:25], v[54:55], off
	global_load_b128 v[26:29], v[52:53], off
	v_add_nc_u32_e32 v73, s11, v70
	s_clause 0x1
	global_load_b128 v[30:33], v[58:59], off
	global_load_b128 v[34:37], v[56:57], off
	v_add_co_ci_u32_e32 v65, vcc_lo, s3, v67, vcc_lo
	s_clause 0x1
	global_load_b128 v[38:41], v[62:63], off
	global_load_b128 v[114:117], v[60:61], off
	v_add_co_u32 v66, vcc_lo, s2, v71
	v_ashrrev_i32_e32 v71, 31, v70
	v_lshlrev_b64 v[68:69], 4, v[68:69]
	v_ashrrev_i32_e32 v74, 31, v73
	v_add_co_ci_u32_e32 v67, vcc_lo, s3, v72, vcc_lo
	s_delay_alu instid0(VALU_DEP_4)
	v_lshlrev_b64 v[70:71], 4, v[70:71]
	v_add_nc_u32_e32 v76, s11, v73
	s_clause 0x1
	global_load_b128 v[118:121], v[64:65], off
	global_load_b128 v[122:125], v[66:67], off
	v_add_co_u32 v68, vcc_lo, s2, v68
	v_lshlrev_b64 v[72:73], 4, v[73:74]
	v_add_co_ci_u32_e32 v69, vcc_lo, s3, v69, vcc_lo
	v_add_co_u32 v70, vcc_lo, s2, v70
	v_add_co_ci_u32_e32 v71, vcc_lo, s3, v71, vcc_lo
	s_delay_alu instid0(VALU_DEP_4)
	v_add_co_u32 v72, vcc_lo, s2, v72
	v_add_co_ci_u32_e32 v73, vcc_lo, s3, v73, vcc_lo
	s_clause 0x2
	global_load_b128 v[127:130], v[68:69], off
	global_load_b128 v[131:134], v[70:71], off
	;; [unrolled: 1-line block ×3, first 2 shown]
	v_ashrrev_i32_e32 v77, 31, v76
	s_movk_i32 s4, 0x70
	s_movk_i32 s5, 0x80
	;; [unrolled: 1-line block ×4, first 2 shown]
	v_lshlrev_b64 v[74:75], 4, v[76:77]
	v_add_nc_u32_e32 v76, s11, v76
	s_movk_i32 s10, 0xb0
	s_movk_i32 s29, 0x180
	;; [unrolled: 1-line block ×4, first 2 shown]
	v_add_nc_u32_e32 v78, s11, v76
	v_ashrrev_i32_e32 v77, 31, v76
	v_add_co_u32 v74, vcc_lo, s2, v74
	v_add_co_ci_u32_e32 v75, vcc_lo, s3, v75, vcc_lo
	s_delay_alu instid0(VALU_DEP_4)
	v_add_nc_u32_e32 v80, s11, v78
	v_ashrrev_i32_e32 v79, 31, v78
	v_lshlrev_b64 v[76:77], 4, v[76:77]
	global_load_b128 v[139:142], v[74:75], off
	s_movk_i32 s33, 0x1b0
	v_add_nc_u32_e32 v82, s11, v80
	v_ashrrev_i32_e32 v81, 31, v80
	v_lshlrev_b64 v[78:79], 4, v[78:79]
	v_add_co_u32 v76, vcc_lo, s2, v76
	s_delay_alu instid0(VALU_DEP_4) | instskip(SKIP_3) | instid1(VALU_DEP_4)
	v_add_nc_u32_e32 v84, s11, v82
	v_ashrrev_i32_e32 v83, 31, v82
	v_lshlrev_b64 v[80:81], 4, v[80:81]
	v_add_co_ci_u32_e32 v77, vcc_lo, s3, v77, vcc_lo
	v_add_nc_u32_e32 v86, s11, v84
	v_ashrrev_i32_e32 v85, 31, v84
	v_add_co_u32 v78, vcc_lo, s2, v78
	v_lshlrev_b64 v[82:83], 4, v[82:83]
	s_delay_alu instid0(VALU_DEP_4) | instskip(SKIP_3) | instid1(VALU_DEP_4)
	v_add_nc_u32_e32 v88, s11, v86
	v_ashrrev_i32_e32 v87, 31, v86
	v_add_co_ci_u32_e32 v79, vcc_lo, s3, v79, vcc_lo
	v_add_co_u32 v80, vcc_lo, s2, v80
	v_add_nc_u32_e32 v90, s11, v88
	v_lshlrev_b64 v[84:85], 4, v[84:85]
	v_ashrrev_i32_e32 v89, 31, v88
	v_add_co_ci_u32_e32 v81, vcc_lo, s3, v81, vcc_lo
	s_delay_alu instid0(VALU_DEP_4) | instskip(SKIP_3) | instid1(VALU_DEP_4)
	v_add_nc_u32_e32 v92, s11, v90
	v_add_co_u32 v82, vcc_lo, s2, v82
	v_lshlrev_b64 v[86:87], 4, v[86:87]
	v_add_co_ci_u32_e32 v83, vcc_lo, s3, v83, vcc_lo
	v_add_nc_u32_e32 v94, s11, v92
	v_add_co_u32 v84, vcc_lo, s2, v84
	v_lshlrev_b64 v[88:89], 4, v[88:89]
	v_ashrrev_i32_e32 v91, 31, v90
	s_delay_alu instid0(VALU_DEP_4) | instskip(SKIP_2) | instid1(VALU_DEP_3)
	v_add_nc_u32_e32 v96, s11, v94
	v_add_co_ci_u32_e32 v85, vcc_lo, s3, v85, vcc_lo
	v_add_co_u32 v86, vcc_lo, s2, v86
	v_add_nc_u32_e32 v98, s11, v96
	v_ashrrev_i32_e32 v93, 31, v92
	v_add_co_ci_u32_e32 v87, vcc_lo, s3, v87, vcc_lo
	v_lshlrev_b64 v[166:167], 4, v[90:91]
	s_delay_alu instid0(VALU_DEP_4) | instskip(SKIP_3) | instid1(VALU_DEP_4)
	v_add_nc_u32_e32 v100, s11, v98
	v_add_co_u32 v90, vcc_lo, s2, v88
	v_ashrrev_i32_e32 v95, 31, v94
	v_add_co_ci_u32_e32 v91, vcc_lo, s3, v89, vcc_lo
	v_add_nc_u32_e32 v102, s11, v100
	v_lshlrev_b64 v[188:189], 4, v[92:93]
	v_ashrrev_i32_e32 v97, 31, v96
	v_ashrrev_i32_e32 v99, 31, v98
	;; [unrolled: 1-line block ×3, first 2 shown]
	v_add_nc_u32_e32 v104, s11, v102
	v_ashrrev_i32_e32 v103, 31, v102
	s_clause 0x5
	global_load_b128 v[143:146], v[76:77], off
	global_load_b128 v[151:154], v[78:79], off
	;; [unrolled: 1-line block ×6, first 2 shown]
	v_add_nc_u32_e32 v106, s11, v104
	v_ashrrev_i32_e32 v105, 31, v104
	s_movk_i32 s34, 0x1c0
	s_movk_i32 s35, 0x1d0
	s_movk_i32 s36, 0x1e0
	v_add_nc_u32_e32 v108, s11, v106
	v_ashrrev_i32_e32 v107, 31, v106
	s_movk_i32 s37, 0x1f0
	s_movk_i32 s38, 0x200
	s_movk_i32 s39, 0x210
	;; [unrolled: 5-line block ×4, first 2 shown]
	v_add_nc_u32_e32 v147, s11, v112
	v_ashrrev_i32_e32 v113, 31, v112
	s_movk_i32 s46, 0x280
	s_movk_i32 s47, 0x290
	s_bitcmp0_b32 s21, 0
	v_add_nc_u32_e32 v149, s11, v147
	v_ashrrev_i32_e32 v148, 31, v147
	s_delay_alu instid0(VALU_DEP_2) | instskip(NEXT) | instid1(VALU_DEP_2)
	v_add_nc_u32_e32 v159, s11, v149
	v_lshlrev_b64 v[147:148], 4, v[147:148]
	v_ashrrev_i32_e32 v150, 31, v149
	s_delay_alu instid0(VALU_DEP_3) | instskip(SKIP_1) | instid1(VALU_DEP_3)
	v_add_nc_u32_e32 v161, s11, v159
	v_ashrrev_i32_e32 v160, 31, v159
	v_lshlrev_b64 v[149:150], 4, v[149:150]
	s_delay_alu instid0(VALU_DEP_3) | instskip(SKIP_1) | instid1(VALU_DEP_2)
	v_add_nc_u32_e32 v163, s11, v161
	v_ashrrev_i32_e32 v162, 31, v161
	v_add_nc_u32_e32 v164, s11, v163
	s_movk_i32 s11, 0xc0
	s_delay_alu instid0(VALU_DEP_1) | instskip(NEXT) | instid1(VALU_DEP_1)
	v_ashrrev_i32_e32 v165, 31, v164
	v_lshlrev_b64 v[164:165], 4, v[164:165]
	s_delay_alu instid0(VALU_DEP_1) | instskip(NEXT) | instid1(VALU_DEP_2)
	v_add_co_u32 v88, vcc_lo, s2, v164
	v_add_co_ci_u32_e32 v89, vcc_lo, s3, v165, vcc_lo
	v_add_co_u32 v92, vcc_lo, s2, v166
	v_lshlrev_b64 v[164:165], 4, v[94:95]
	v_add_co_ci_u32_e32 v93, vcc_lo, s3, v167, vcc_lo
	v_add_co_u32 v94, vcc_lo, s2, v188
	v_lshlrev_b64 v[166:167], 4, v[96:97]
	v_add_co_ci_u32_e32 v95, vcc_lo, s3, v189, vcc_lo
	v_add_co_u32 v96, vcc_lo, s2, v164
	v_add_co_ci_u32_e32 v97, vcc_lo, s3, v165, vcc_lo
	v_lshlrev_b64 v[164:165], 4, v[98:99]
	v_add_co_u32 v98, vcc_lo, s2, v166
	v_add_co_ci_u32_e32 v99, vcc_lo, s3, v167, vcc_lo
	v_lshlrev_b64 v[166:167], 4, v[100:101]
	s_delay_alu instid0(VALU_DEP_4) | instskip(SKIP_2) | instid1(VALU_DEP_4)
	v_add_co_u32 v100, vcc_lo, s2, v164
	v_add_co_ci_u32_e32 v101, vcc_lo, s3, v165, vcc_lo
	v_lshlrev_b64 v[164:165], 4, v[102:103]
	v_add_co_u32 v102, vcc_lo, s2, v166
	v_add_co_ci_u32_e32 v103, vcc_lo, s3, v167, vcc_lo
	v_lshlrev_b64 v[166:167], 4, v[104:105]
	s_delay_alu instid0(VALU_DEP_4) | instskip(SKIP_2) | instid1(VALU_DEP_4)
	;; [unrolled: 7-line block ×3, first 2 shown]
	v_add_co_u32 v108, vcc_lo, s2, v164
	v_add_co_ci_u32_e32 v109, vcc_lo, s3, v165, vcc_lo
	v_lshlrev_b64 v[164:165], 4, v[110:111]
	v_add_co_u32 v110, vcc_lo, s2, v166
	v_add_co_ci_u32_e32 v111, vcc_lo, s3, v167, vcc_lo
	v_lshlrev_b64 v[166:167], 4, v[112:113]
	global_load_b128 v[180:183], v[88:89], off
	v_add_co_u32 v112, vcc_lo, s2, v164
	v_add_co_ci_u32_e32 v113, vcc_lo, s3, v165, vcc_lo
	v_ashrrev_i32_e32 v164, 31, v163
	s_waitcnt vmcnt(23)
	scratch_store_b128 off, v[1:4], off
	s_clause 0x1
	global_load_b128 v[1:4], v[90:91], off
	global_load_b128 v[184:187], v[92:93], off
	s_waitcnt vmcnt(24)
	scratch_store_b128 off, v[5:8], off offset:16
	s_waitcnt vmcnt(23)
	scratch_store_b128 off, v[9:12], off offset:32
	s_clause 0x1
	global_load_b128 v[5:8], v[94:95], off
	global_load_b128 v[9:12], v[96:97], off
	s_waitcnt vmcnt(24)
	scratch_store_b128 off, v[14:17], off offset:48
	s_waitcnt vmcnt(23)
	scratch_store_b128 off, v[18:21], off offset:64
	;; [unrolled: 7-line block ×5, first 2 shown]
	v_add_co_u32 v114, vcc_lo, s2, v166
	v_add_co_ci_u32_e32 v115, vcc_lo, s3, v167, vcc_lo
	v_add_co_u32 v116, vcc_lo, s2, v147
	v_add_co_ci_u32_e32 v117, vcc_lo, s3, v148, vcc_lo
	v_lshlrev_b64 v[147:148], 4, v[159:160]
	s_clause 0x1
	global_load_b128 v[38:41], v[110:111], off
	global_load_b128 v[188:191], v[112:113], off
	s_waitcnt vmcnt(24)
	scratch_store_b128 off, v[118:121], off offset:176
	s_waitcnt vmcnt(23)
	scratch_store_b128 off, v[122:125], off offset:192
	v_add_co_u32 v118, vcc_lo, s2, v149
	v_lshlrev_b64 v[122:123], 4, v[161:162]
	v_add_co_ci_u32_e32 v119, vcc_lo, s3, v150, vcc_lo
	v_add_co_u32 v120, vcc_lo, s2, v147
	v_lshlrev_b64 v[124:125], 4, v[163:164]
	v_add_co_ci_u32_e32 v121, vcc_lo, s3, v148, vcc_lo
	v_add_co_u32 v122, vcc_lo, s2, v122
	v_add_co_ci_u32_e32 v123, vcc_lo, s3, v123, vcc_lo
	s_delay_alu instid0(VALU_DEP_4)
	v_add_co_u32 v124, vcc_lo, s2, v124
	s_clause 0x1
	global_load_b128 v[192:195], v[114:115], off
	global_load_b128 v[196:199], v[116:117], off
	s_waitcnt vmcnt(24)
	scratch_store_b128 off, v[127:130], off offset:208
	s_waitcnt vmcnt(23)
	scratch_store_b128 off, v[131:134], off offset:224
	s_clause 0x1
	global_load_b128 v[200:203], v[118:119], off
	global_load_b128 v[204:207], v[120:121], off
	v_add_co_ci_u32_e32 v125, vcc_lo, s3, v125, vcc_lo
	s_waitcnt vmcnt(24)
	scratch_store_b128 off, v[135:138], off offset:240
	global_load_b128 v[132:135], v[122:123], off
	s_movk_i32 s2, 0x50
	global_load_b128 v[208:211], v[124:125], off
	s_movk_i32 s3, 0x60
	v_add_nc_u32_e64 v150, 0, 16
	v_add_nc_u32_e64 v148, 0, 32
	;; [unrolled: 1-line block ×8, first 2 shown]
	s_waitcnt vmcnt(25)
	scratch_store_b128 off, v[139:142], off offset:256
	v_add_nc_u32_e64 v163, s8, 0
	v_add_nc_u32_e64 v162, s9, 0
	;; [unrolled: 1-line block ×17, first 2 shown]
	s_mov_b32 s3, -1
	s_waitcnt vmcnt(24)
	scratch_store_b128 off, v[143:146], off offset:272
	s_waitcnt vmcnt(23)
	scratch_store_b128 off, v[151:154], off offset:288
	;; [unrolled: 2-line block ×4, first 2 shown]
	v_add_nc_u32_e64 v158, s13, 0
	v_add_nc_u32_e64 v157, s14, 0
	;; [unrolled: 1-line block ×5, first 2 shown]
	s_waitcnt vmcnt(20)
	scratch_store_b128 off, v[172:175], off offset:336
	s_waitcnt vmcnt(19)
	scratch_store_b128 off, v[176:179], off offset:352
	v_add_nc_u32_e64 v154, s24, 0
	v_add_nc_u32_e64 v152, s25, 0
	;; [unrolled: 1-line block ×7, first 2 shown]
	s_waitcnt vmcnt(17)
	scratch_store_b128 off, v[1:4], off offset:368
	s_waitcnt vmcnt(16)
	scratch_store_b128 off, v[184:187], off offset:384
	;; [unrolled: 2-line block ×17, first 2 shown]
	v_add_nc_u32_e64 v135, s44, 0
	v_add_nc_u32_e64 v134, s45, 0
	v_add_nc_u32_e64 v133, s46, 0
	v_add_nc_u32_e64 v132, s47, 0
	s_waitcnt vmcnt(0)
	s_clause 0x1
	scratch_store_b128 off, v[208:211], off offset:640
	scratch_store_b128 off, v[180:183], off offset:656
	s_cbranch_scc1 .LBB41_180
; %bb.4:
	v_cmp_eq_u32_e64 s2, 0, v126
	s_delay_alu instid0(VALU_DEP_1)
	s_and_saveexec_b32 s3, s2
	s_cbranch_execz .LBB41_6
; %bb.5:
	v_mov_b32_e32 v1, 0
	ds_store_b32 v1, v1 offset:1344
.LBB41_6:
	s_or_b32 exec_lo, exec_lo, s3
	s_waitcnt lgkmcnt(0)
	s_waitcnt_vscnt null, 0x0
	s_barrier
	buffer_gl0_inv
	scratch_load_b128 v[1:4], v13, off
	s_waitcnt vmcnt(0)
	v_cmp_eq_f64_e32 vcc_lo, 0, v[1:2]
	v_cmp_eq_f64_e64 s3, 0, v[3:4]
	s_delay_alu instid0(VALU_DEP_1) | instskip(NEXT) | instid1(SALU_CYCLE_1)
	s_and_b32 s3, vcc_lo, s3
	s_and_saveexec_b32 s4, s3
	s_cbranch_execz .LBB41_10
; %bb.7:
	v_mov_b32_e32 v1, 0
	s_mov_b32 s5, 0
	ds_load_b32 v2, v1 offset:1344
	s_waitcnt lgkmcnt(0)
	v_readfirstlane_b32 s3, v2
	v_add_nc_u32_e32 v2, 1, v126
	s_delay_alu instid0(VALU_DEP_2) | instskip(NEXT) | instid1(VALU_DEP_1)
	s_cmp_eq_u32 s3, 0
	v_cmp_gt_i32_e32 vcc_lo, s3, v2
	s_cselect_b32 s8, -1, 0
	s_delay_alu instid0(SALU_CYCLE_1) | instskip(NEXT) | instid1(SALU_CYCLE_1)
	s_or_b32 s8, s8, vcc_lo
	s_and_b32 exec_lo, exec_lo, s8
	s_cbranch_execz .LBB41_10
; %bb.8:
	v_mov_b32_e32 v3, s3
.LBB41_9:                               ; =>This Inner Loop Header: Depth=1
	ds_cmpstore_rtn_b32 v3, v1, v2, v3 offset:1344
	s_waitcnt lgkmcnt(0)
	v_cmp_ne_u32_e32 vcc_lo, 0, v3
	v_cmp_le_i32_e64 s3, v3, v2
	s_delay_alu instid0(VALU_DEP_1) | instskip(NEXT) | instid1(SALU_CYCLE_1)
	s_and_b32 s3, vcc_lo, s3
	s_and_b32 s3, exec_lo, s3
	s_delay_alu instid0(SALU_CYCLE_1) | instskip(NEXT) | instid1(SALU_CYCLE_1)
	s_or_b32 s5, s3, s5
	s_and_not1_b32 exec_lo, exec_lo, s5
	s_cbranch_execnz .LBB41_9
.LBB41_10:
	s_or_b32 exec_lo, exec_lo, s4
	v_mov_b32_e32 v1, 0
	s_barrier
	buffer_gl0_inv
	ds_load_b32 v2, v1 offset:1344
	s_and_saveexec_b32 s3, s2
	s_cbranch_execz .LBB41_12
; %bb.11:
	s_lshl_b64 s[4:5], s[18:19], 2
	s_delay_alu instid0(SALU_CYCLE_1)
	s_add_u32 s4, s6, s4
	s_addc_u32 s5, s7, s5
	s_waitcnt lgkmcnt(0)
	global_store_b32 v1, v2, s[4:5]
.LBB41_12:
	s_or_b32 exec_lo, exec_lo, s3
	s_waitcnt lgkmcnt(0)
	v_cmp_ne_u32_e32 vcc_lo, 0, v2
	s_mov_b32 s3, 0
	s_cbranch_vccnz .LBB41_180
; %bb.13:
	v_add_nc_u32_e32 v14, 0, v13
                                        ; implicit-def: $vgpr9_vgpr10
	scratch_load_b128 v[1:4], v14, off
	s_waitcnt vmcnt(0)
	v_mov_b32_e32 v5, v1
	v_cmp_gt_f64_e32 vcc_lo, 0, v[1:2]
	v_xor_b32_e32 v6, 0x80000000, v2
	v_xor_b32_e32 v7, 0x80000000, v4
	s_delay_alu instid0(VALU_DEP_2) | instskip(SKIP_1) | instid1(VALU_DEP_3)
	v_cndmask_b32_e32 v6, v2, v6, vcc_lo
	v_cmp_gt_f64_e32 vcc_lo, 0, v[3:4]
	v_dual_cndmask_b32 v8, v4, v7 :: v_dual_mov_b32 v7, v3
	s_delay_alu instid0(VALU_DEP_1) | instskip(SKIP_1) | instid1(SALU_CYCLE_1)
	v_cmp_ngt_f64_e32 vcc_lo, v[5:6], v[7:8]
                                        ; implicit-def: $vgpr5_vgpr6
	s_and_saveexec_b32 s3, vcc_lo
	s_xor_b32 s3, exec_lo, s3
	s_cbranch_execz .LBB41_15
; %bb.14:
	v_div_scale_f64 v[5:6], null, v[3:4], v[3:4], v[1:2]
	v_div_scale_f64 v[11:12], vcc_lo, v[1:2], v[3:4], v[1:2]
	s_delay_alu instid0(VALU_DEP_2) | instskip(SKIP_2) | instid1(VALU_DEP_1)
	v_rcp_f64_e32 v[7:8], v[5:6]
	s_waitcnt_depctr 0xfff
	v_fma_f64 v[9:10], -v[5:6], v[7:8], 1.0
	v_fma_f64 v[7:8], v[7:8], v[9:10], v[7:8]
	s_delay_alu instid0(VALU_DEP_1) | instskip(NEXT) | instid1(VALU_DEP_1)
	v_fma_f64 v[9:10], -v[5:6], v[7:8], 1.0
	v_fma_f64 v[7:8], v[7:8], v[9:10], v[7:8]
	s_delay_alu instid0(VALU_DEP_1) | instskip(NEXT) | instid1(VALU_DEP_1)
	v_mul_f64 v[9:10], v[11:12], v[7:8]
	v_fma_f64 v[5:6], -v[5:6], v[9:10], v[11:12]
	s_delay_alu instid0(VALU_DEP_1) | instskip(NEXT) | instid1(VALU_DEP_1)
	v_div_fmas_f64 v[5:6], v[5:6], v[7:8], v[9:10]
	v_div_fixup_f64 v[5:6], v[5:6], v[3:4], v[1:2]
	s_delay_alu instid0(VALU_DEP_1) | instskip(NEXT) | instid1(VALU_DEP_1)
	v_fma_f64 v[1:2], v[1:2], v[5:6], v[3:4]
	v_div_scale_f64 v[3:4], null, v[1:2], v[1:2], 1.0
	v_div_scale_f64 v[11:12], vcc_lo, 1.0, v[1:2], 1.0
	s_delay_alu instid0(VALU_DEP_2) | instskip(SKIP_2) | instid1(VALU_DEP_1)
	v_rcp_f64_e32 v[7:8], v[3:4]
	s_waitcnt_depctr 0xfff
	v_fma_f64 v[9:10], -v[3:4], v[7:8], 1.0
	v_fma_f64 v[7:8], v[7:8], v[9:10], v[7:8]
	s_delay_alu instid0(VALU_DEP_1) | instskip(NEXT) | instid1(VALU_DEP_1)
	v_fma_f64 v[9:10], -v[3:4], v[7:8], 1.0
	v_fma_f64 v[7:8], v[7:8], v[9:10], v[7:8]
	s_delay_alu instid0(VALU_DEP_1) | instskip(NEXT) | instid1(VALU_DEP_1)
	v_mul_f64 v[9:10], v[11:12], v[7:8]
	v_fma_f64 v[3:4], -v[3:4], v[9:10], v[11:12]
	s_delay_alu instid0(VALU_DEP_1) | instskip(NEXT) | instid1(VALU_DEP_1)
	v_div_fmas_f64 v[3:4], v[3:4], v[7:8], v[9:10]
	v_div_fixup_f64 v[7:8], v[3:4], v[1:2], 1.0
                                        ; implicit-def: $vgpr1_vgpr2
	s_delay_alu instid0(VALU_DEP_1) | instskip(SKIP_1) | instid1(VALU_DEP_2)
	v_mul_f64 v[5:6], v[5:6], v[7:8]
	v_xor_b32_e32 v8, 0x80000000, v8
	v_xor_b32_e32 v10, 0x80000000, v6
	s_delay_alu instid0(VALU_DEP_3)
	v_mov_b32_e32 v9, v5
.LBB41_15:
	s_and_not1_saveexec_b32 s3, s3
	s_cbranch_execz .LBB41_17
; %bb.16:
	v_div_scale_f64 v[5:6], null, v[1:2], v[1:2], v[3:4]
	v_div_scale_f64 v[11:12], vcc_lo, v[3:4], v[1:2], v[3:4]
	s_delay_alu instid0(VALU_DEP_2) | instskip(SKIP_2) | instid1(VALU_DEP_1)
	v_rcp_f64_e32 v[7:8], v[5:6]
	s_waitcnt_depctr 0xfff
	v_fma_f64 v[9:10], -v[5:6], v[7:8], 1.0
	v_fma_f64 v[7:8], v[7:8], v[9:10], v[7:8]
	s_delay_alu instid0(VALU_DEP_1) | instskip(NEXT) | instid1(VALU_DEP_1)
	v_fma_f64 v[9:10], -v[5:6], v[7:8], 1.0
	v_fma_f64 v[7:8], v[7:8], v[9:10], v[7:8]
	s_delay_alu instid0(VALU_DEP_1) | instskip(NEXT) | instid1(VALU_DEP_1)
	v_mul_f64 v[9:10], v[11:12], v[7:8]
	v_fma_f64 v[5:6], -v[5:6], v[9:10], v[11:12]
	s_delay_alu instid0(VALU_DEP_1) | instskip(NEXT) | instid1(VALU_DEP_1)
	v_div_fmas_f64 v[5:6], v[5:6], v[7:8], v[9:10]
	v_div_fixup_f64 v[7:8], v[5:6], v[1:2], v[3:4]
	s_delay_alu instid0(VALU_DEP_1) | instskip(NEXT) | instid1(VALU_DEP_1)
	v_fma_f64 v[1:2], v[3:4], v[7:8], v[1:2]
	v_div_scale_f64 v[3:4], null, v[1:2], v[1:2], 1.0
	s_delay_alu instid0(VALU_DEP_1) | instskip(SKIP_2) | instid1(VALU_DEP_1)
	v_rcp_f64_e32 v[5:6], v[3:4]
	s_waitcnt_depctr 0xfff
	v_fma_f64 v[9:10], -v[3:4], v[5:6], 1.0
	v_fma_f64 v[5:6], v[5:6], v[9:10], v[5:6]
	s_delay_alu instid0(VALU_DEP_1) | instskip(NEXT) | instid1(VALU_DEP_1)
	v_fma_f64 v[9:10], -v[3:4], v[5:6], 1.0
	v_fma_f64 v[5:6], v[5:6], v[9:10], v[5:6]
	v_div_scale_f64 v[9:10], vcc_lo, 1.0, v[1:2], 1.0
	s_delay_alu instid0(VALU_DEP_1) | instskip(NEXT) | instid1(VALU_DEP_1)
	v_mul_f64 v[11:12], v[9:10], v[5:6]
	v_fma_f64 v[3:4], -v[3:4], v[11:12], v[9:10]
	s_delay_alu instid0(VALU_DEP_1) | instskip(NEXT) | instid1(VALU_DEP_1)
	v_div_fmas_f64 v[3:4], v[3:4], v[5:6], v[11:12]
	v_div_fixup_f64 v[5:6], v[3:4], v[1:2], 1.0
	s_delay_alu instid0(VALU_DEP_1)
	v_mul_f64 v[7:8], v[7:8], -v[5:6]
	v_xor_b32_e32 v10, 0x80000000, v6
	v_mov_b32_e32 v9, v5
.LBB41_17:
	s_or_b32 exec_lo, exec_lo, s3
	scratch_store_b128 v14, v[5:8], off
	scratch_load_b128 v[1:4], v150, off
	v_xor_b32_e32 v12, 0x80000000, v8
	v_mov_b32_e32 v11, v7
	v_add_nc_u32_e32 v5, 0x2a0, v13
	ds_store_b128 v13, v[9:12]
	s_waitcnt vmcnt(0)
	ds_store_b128 v13, v[1:4] offset:672
	s_waitcnt lgkmcnt(0)
	s_waitcnt_vscnt null, 0x0
	s_barrier
	buffer_gl0_inv
	s_and_saveexec_b32 s3, s2
	s_cbranch_execz .LBB41_19
; %bb.18:
	scratch_load_b128 v[1:4], v14, off
	ds_load_b128 v[6:9], v5
	v_mov_b32_e32 v10, 0
	ds_load_b128 v[15:18], v10 offset:16
	s_waitcnt vmcnt(0) lgkmcnt(1)
	v_mul_f64 v[10:11], v[6:7], v[3:4]
	v_mul_f64 v[3:4], v[8:9], v[3:4]
	s_delay_alu instid0(VALU_DEP_2) | instskip(NEXT) | instid1(VALU_DEP_2)
	v_fma_f64 v[8:9], v[8:9], v[1:2], v[10:11]
	v_fma_f64 v[1:2], v[6:7], v[1:2], -v[3:4]
	s_delay_alu instid0(VALU_DEP_2) | instskip(NEXT) | instid1(VALU_DEP_2)
	v_add_f64 v[3:4], v[8:9], 0
	v_add_f64 v[1:2], v[1:2], 0
	s_waitcnt lgkmcnt(0)
	s_delay_alu instid0(VALU_DEP_2) | instskip(NEXT) | instid1(VALU_DEP_2)
	v_mul_f64 v[6:7], v[3:4], v[17:18]
	v_mul_f64 v[8:9], v[1:2], v[17:18]
	s_delay_alu instid0(VALU_DEP_2) | instskip(NEXT) | instid1(VALU_DEP_2)
	v_fma_f64 v[1:2], v[1:2], v[15:16], -v[6:7]
	v_fma_f64 v[3:4], v[3:4], v[15:16], v[8:9]
	scratch_store_b128 off, v[1:4], off offset:16
.LBB41_19:
	s_or_b32 exec_lo, exec_lo, s3
	s_waitcnt_vscnt null, 0x0
	s_barrier
	buffer_gl0_inv
	scratch_load_b128 v[1:4], v148, off
	s_mov_b32 s3, exec_lo
	s_waitcnt vmcnt(0)
	ds_store_b128 v5, v[1:4]
	s_waitcnt lgkmcnt(0)
	s_barrier
	buffer_gl0_inv
	v_cmpx_gt_u32_e32 2, v126
	s_cbranch_execz .LBB41_23
; %bb.20:
	scratch_load_b128 v[1:4], v14, off
	ds_load_b128 v[6:9], v5
	s_waitcnt vmcnt(0) lgkmcnt(0)
	v_mul_f64 v[10:11], v[8:9], v[3:4]
	v_mul_f64 v[3:4], v[6:7], v[3:4]
	s_delay_alu instid0(VALU_DEP_2) | instskip(NEXT) | instid1(VALU_DEP_2)
	v_fma_f64 v[6:7], v[6:7], v[1:2], -v[10:11]
	v_fma_f64 v[3:4], v[8:9], v[1:2], v[3:4]
	s_delay_alu instid0(VALU_DEP_2) | instskip(NEXT) | instid1(VALU_DEP_2)
	v_add_f64 v[1:2], v[6:7], 0
	v_add_f64 v[3:4], v[3:4], 0
	s_and_saveexec_b32 s4, s2
	s_cbranch_execz .LBB41_22
; %bb.21:
	scratch_load_b128 v[6:9], off, off offset:16
	v_mov_b32_e32 v10, 0
	ds_load_b128 v[15:18], v10 offset:688
	s_waitcnt vmcnt(0) lgkmcnt(0)
	v_mul_f64 v[10:11], v[15:16], v[8:9]
	v_mul_f64 v[8:9], v[17:18], v[8:9]
	s_delay_alu instid0(VALU_DEP_2) | instskip(NEXT) | instid1(VALU_DEP_2)
	v_fma_f64 v[10:11], v[17:18], v[6:7], v[10:11]
	v_fma_f64 v[6:7], v[15:16], v[6:7], -v[8:9]
	s_delay_alu instid0(VALU_DEP_2) | instskip(NEXT) | instid1(VALU_DEP_2)
	v_add_f64 v[3:4], v[3:4], v[10:11]
	v_add_f64 v[1:2], v[1:2], v[6:7]
.LBB41_22:
	s_or_b32 exec_lo, exec_lo, s4
	v_mov_b32_e32 v6, 0
	ds_load_b128 v[6:9], v6 offset:32
	s_waitcnt lgkmcnt(0)
	v_mul_f64 v[10:11], v[3:4], v[8:9]
	v_mul_f64 v[8:9], v[1:2], v[8:9]
	s_delay_alu instid0(VALU_DEP_2) | instskip(NEXT) | instid1(VALU_DEP_2)
	v_fma_f64 v[1:2], v[1:2], v[6:7], -v[10:11]
	v_fma_f64 v[3:4], v[3:4], v[6:7], v[8:9]
	scratch_store_b128 off, v[1:4], off offset:32
.LBB41_23:
	s_or_b32 exec_lo, exec_lo, s3
	s_waitcnt_vscnt null, 0x0
	s_barrier
	buffer_gl0_inv
	scratch_load_b128 v[1:4], v149, off
	v_add_nc_u32_e32 v6, -1, v126
	s_mov_b32 s2, exec_lo
	s_waitcnt vmcnt(0)
	ds_store_b128 v5, v[1:4]
	s_waitcnt lgkmcnt(0)
	s_barrier
	buffer_gl0_inv
	v_cmpx_gt_u32_e32 3, v126
	s_cbranch_execz .LBB41_27
; %bb.24:
	v_dual_mov_b32 v1, 0 :: v_dual_add_nc_u32 v8, 0x2a0, v13
	v_dual_mov_b32 v2, 0 :: v_dual_add_nc_u32 v7, -1, v126
	v_or_b32_e32 v9, 8, v14
	s_mov_b32 s3, 0
	s_delay_alu instid0(VALU_DEP_2)
	v_dual_mov_b32 v4, v2 :: v_dual_mov_b32 v3, v1
	.p2align	6
.LBB41_25:                              ; =>This Inner Loop Header: Depth=1
	scratch_load_b128 v[15:18], v9, off offset:-8
	ds_load_b128 v[19:22], v8
	v_add_nc_u32_e32 v7, 1, v7
	v_add_nc_u32_e32 v8, 16, v8
	;; [unrolled: 1-line block ×3, first 2 shown]
	s_delay_alu instid0(VALU_DEP_3) | instskip(SKIP_4) | instid1(VALU_DEP_2)
	v_cmp_lt_u32_e32 vcc_lo, 1, v7
	s_or_b32 s3, vcc_lo, s3
	s_waitcnt vmcnt(0) lgkmcnt(0)
	v_mul_f64 v[10:11], v[21:22], v[17:18]
	v_mul_f64 v[17:18], v[19:20], v[17:18]
	v_fma_f64 v[10:11], v[19:20], v[15:16], -v[10:11]
	s_delay_alu instid0(VALU_DEP_2) | instskip(NEXT) | instid1(VALU_DEP_2)
	v_fma_f64 v[15:16], v[21:22], v[15:16], v[17:18]
	v_add_f64 v[3:4], v[3:4], v[10:11]
	s_delay_alu instid0(VALU_DEP_2)
	v_add_f64 v[1:2], v[1:2], v[15:16]
	s_and_not1_b32 exec_lo, exec_lo, s3
	s_cbranch_execnz .LBB41_25
; %bb.26:
	s_or_b32 exec_lo, exec_lo, s3
	v_mov_b32_e32 v7, 0
	ds_load_b128 v[7:10], v7 offset:48
	s_waitcnt lgkmcnt(0)
	v_mul_f64 v[11:12], v[1:2], v[9:10]
	v_mul_f64 v[15:16], v[3:4], v[9:10]
	s_delay_alu instid0(VALU_DEP_2) | instskip(NEXT) | instid1(VALU_DEP_2)
	v_fma_f64 v[9:10], v[3:4], v[7:8], -v[11:12]
	v_fma_f64 v[11:12], v[1:2], v[7:8], v[15:16]
	scratch_store_b128 off, v[9:12], off offset:48
.LBB41_27:
	s_or_b32 exec_lo, exec_lo, s2
	s_waitcnt_vscnt null, 0x0
	s_barrier
	buffer_gl0_inv
	scratch_load_b128 v[1:4], v147, off
	s_mov_b32 s2, exec_lo
	s_waitcnt vmcnt(0)
	ds_store_b128 v5, v[1:4]
	s_waitcnt lgkmcnt(0)
	s_barrier
	buffer_gl0_inv
	v_cmpx_gt_u32_e32 4, v126
	s_cbranch_execz .LBB41_31
; %bb.28:
	v_dual_mov_b32 v1, 0 :: v_dual_add_nc_u32 v8, 0x2a0, v13
	v_dual_mov_b32 v2, 0 :: v_dual_add_nc_u32 v7, -1, v126
	v_or_b32_e32 v9, 8, v14
	s_mov_b32 s3, 0
	s_delay_alu instid0(VALU_DEP_2)
	v_dual_mov_b32 v4, v2 :: v_dual_mov_b32 v3, v1
	.p2align	6
.LBB41_29:                              ; =>This Inner Loop Header: Depth=1
	scratch_load_b128 v[15:18], v9, off offset:-8
	ds_load_b128 v[19:22], v8
	v_add_nc_u32_e32 v7, 1, v7
	v_add_nc_u32_e32 v8, 16, v8
	;; [unrolled: 1-line block ×3, first 2 shown]
	s_delay_alu instid0(VALU_DEP_3) | instskip(SKIP_4) | instid1(VALU_DEP_2)
	v_cmp_lt_u32_e32 vcc_lo, 2, v7
	s_or_b32 s3, vcc_lo, s3
	s_waitcnt vmcnt(0) lgkmcnt(0)
	v_mul_f64 v[10:11], v[21:22], v[17:18]
	v_mul_f64 v[17:18], v[19:20], v[17:18]
	v_fma_f64 v[10:11], v[19:20], v[15:16], -v[10:11]
	s_delay_alu instid0(VALU_DEP_2) | instskip(NEXT) | instid1(VALU_DEP_2)
	v_fma_f64 v[15:16], v[21:22], v[15:16], v[17:18]
	v_add_f64 v[3:4], v[3:4], v[10:11]
	s_delay_alu instid0(VALU_DEP_2)
	v_add_f64 v[1:2], v[1:2], v[15:16]
	s_and_not1_b32 exec_lo, exec_lo, s3
	s_cbranch_execnz .LBB41_29
; %bb.30:
	s_or_b32 exec_lo, exec_lo, s3
	v_mov_b32_e32 v7, 0
	ds_load_b128 v[7:10], v7 offset:64
	s_waitcnt lgkmcnt(0)
	v_mul_f64 v[11:12], v[1:2], v[9:10]
	v_mul_f64 v[15:16], v[3:4], v[9:10]
	s_delay_alu instid0(VALU_DEP_2) | instskip(NEXT) | instid1(VALU_DEP_2)
	v_fma_f64 v[9:10], v[3:4], v[7:8], -v[11:12]
	v_fma_f64 v[11:12], v[1:2], v[7:8], v[15:16]
	scratch_store_b128 off, v[9:12], off offset:64
.LBB41_31:
	s_or_b32 exec_lo, exec_lo, s2
	s_waitcnt_vscnt null, 0x0
	s_barrier
	buffer_gl0_inv
	scratch_load_b128 v[1:4], v167, off
	s_mov_b32 s2, exec_lo
	s_waitcnt vmcnt(0)
	ds_store_b128 v5, v[1:4]
	s_waitcnt lgkmcnt(0)
	s_barrier
	buffer_gl0_inv
	v_cmpx_gt_u32_e32 5, v126
	s_cbranch_execz .LBB41_35
; %bb.32:
	v_dual_mov_b32 v1, 0 :: v_dual_add_nc_u32 v8, 0x2a0, v13
	v_dual_mov_b32 v2, 0 :: v_dual_add_nc_u32 v7, -1, v126
	v_or_b32_e32 v9, 8, v14
	s_mov_b32 s3, 0
	s_delay_alu instid0(VALU_DEP_2)
	v_dual_mov_b32 v4, v2 :: v_dual_mov_b32 v3, v1
	.p2align	6
.LBB41_33:                              ; =>This Inner Loop Header: Depth=1
	scratch_load_b128 v[15:18], v9, off offset:-8
	ds_load_b128 v[19:22], v8
	v_add_nc_u32_e32 v7, 1, v7
	v_add_nc_u32_e32 v8, 16, v8
	;; [unrolled: 1-line block ×3, first 2 shown]
	s_delay_alu instid0(VALU_DEP_3) | instskip(SKIP_4) | instid1(VALU_DEP_2)
	v_cmp_lt_u32_e32 vcc_lo, 3, v7
	s_or_b32 s3, vcc_lo, s3
	s_waitcnt vmcnt(0) lgkmcnt(0)
	v_mul_f64 v[10:11], v[21:22], v[17:18]
	v_mul_f64 v[17:18], v[19:20], v[17:18]
	v_fma_f64 v[10:11], v[19:20], v[15:16], -v[10:11]
	s_delay_alu instid0(VALU_DEP_2) | instskip(NEXT) | instid1(VALU_DEP_2)
	v_fma_f64 v[15:16], v[21:22], v[15:16], v[17:18]
	v_add_f64 v[3:4], v[3:4], v[10:11]
	s_delay_alu instid0(VALU_DEP_2)
	v_add_f64 v[1:2], v[1:2], v[15:16]
	s_and_not1_b32 exec_lo, exec_lo, s3
	s_cbranch_execnz .LBB41_33
; %bb.34:
	s_or_b32 exec_lo, exec_lo, s3
	v_mov_b32_e32 v7, 0
	ds_load_b128 v[7:10], v7 offset:80
	s_waitcnt lgkmcnt(0)
	v_mul_f64 v[11:12], v[1:2], v[9:10]
	v_mul_f64 v[15:16], v[3:4], v[9:10]
	s_delay_alu instid0(VALU_DEP_2) | instskip(NEXT) | instid1(VALU_DEP_2)
	v_fma_f64 v[9:10], v[3:4], v[7:8], -v[11:12]
	v_fma_f64 v[11:12], v[1:2], v[7:8], v[15:16]
	scratch_store_b128 off, v[9:12], off offset:80
.LBB41_35:
	s_or_b32 exec_lo, exec_lo, s2
	s_waitcnt_vscnt null, 0x0
	s_barrier
	buffer_gl0_inv
	scratch_load_b128 v[1:4], v165, off
	s_mov_b32 s2, exec_lo
	s_waitcnt vmcnt(0)
	ds_store_b128 v5, v[1:4]
	s_waitcnt lgkmcnt(0)
	s_barrier
	buffer_gl0_inv
	v_cmpx_gt_u32_e32 6, v126
	s_cbranch_execz .LBB41_39
; %bb.36:
	v_dual_mov_b32 v1, 0 :: v_dual_add_nc_u32 v8, 0x2a0, v13
	v_dual_mov_b32 v2, 0 :: v_dual_add_nc_u32 v7, -1, v126
	v_or_b32_e32 v9, 8, v14
	s_mov_b32 s3, 0
	s_delay_alu instid0(VALU_DEP_2)
	v_dual_mov_b32 v4, v2 :: v_dual_mov_b32 v3, v1
	.p2align	6
.LBB41_37:                              ; =>This Inner Loop Header: Depth=1
	scratch_load_b128 v[15:18], v9, off offset:-8
	ds_load_b128 v[19:22], v8
	v_add_nc_u32_e32 v7, 1, v7
	v_add_nc_u32_e32 v8, 16, v8
	;; [unrolled: 1-line block ×3, first 2 shown]
	s_delay_alu instid0(VALU_DEP_3) | instskip(SKIP_4) | instid1(VALU_DEP_2)
	v_cmp_lt_u32_e32 vcc_lo, 4, v7
	s_or_b32 s3, vcc_lo, s3
	s_waitcnt vmcnt(0) lgkmcnt(0)
	v_mul_f64 v[10:11], v[21:22], v[17:18]
	v_mul_f64 v[17:18], v[19:20], v[17:18]
	v_fma_f64 v[10:11], v[19:20], v[15:16], -v[10:11]
	s_delay_alu instid0(VALU_DEP_2) | instskip(NEXT) | instid1(VALU_DEP_2)
	v_fma_f64 v[15:16], v[21:22], v[15:16], v[17:18]
	v_add_f64 v[3:4], v[3:4], v[10:11]
	s_delay_alu instid0(VALU_DEP_2)
	v_add_f64 v[1:2], v[1:2], v[15:16]
	s_and_not1_b32 exec_lo, exec_lo, s3
	s_cbranch_execnz .LBB41_37
; %bb.38:
	s_or_b32 exec_lo, exec_lo, s3
	v_mov_b32_e32 v7, 0
	ds_load_b128 v[7:10], v7 offset:96
	s_waitcnt lgkmcnt(0)
	v_mul_f64 v[11:12], v[1:2], v[9:10]
	v_mul_f64 v[15:16], v[3:4], v[9:10]
	s_delay_alu instid0(VALU_DEP_2) | instskip(NEXT) | instid1(VALU_DEP_2)
	v_fma_f64 v[9:10], v[3:4], v[7:8], -v[11:12]
	v_fma_f64 v[11:12], v[1:2], v[7:8], v[15:16]
	scratch_store_b128 off, v[9:12], off offset:96
.LBB41_39:
	s_or_b32 exec_lo, exec_lo, s2
	s_waitcnt_vscnt null, 0x0
	s_barrier
	buffer_gl0_inv
	scratch_load_b128 v[1:4], v166, off
	s_mov_b32 s2, exec_lo
	s_waitcnt vmcnt(0)
	ds_store_b128 v5, v[1:4]
	s_waitcnt lgkmcnt(0)
	s_barrier
	buffer_gl0_inv
	v_cmpx_gt_u32_e32 7, v126
	s_cbranch_execz .LBB41_43
; %bb.40:
	v_dual_mov_b32 v1, 0 :: v_dual_add_nc_u32 v8, 0x2a0, v13
	v_dual_mov_b32 v2, 0 :: v_dual_add_nc_u32 v7, -1, v126
	v_or_b32_e32 v9, 8, v14
	s_mov_b32 s3, 0
	s_delay_alu instid0(VALU_DEP_2)
	v_dual_mov_b32 v4, v2 :: v_dual_mov_b32 v3, v1
	.p2align	6
.LBB41_41:                              ; =>This Inner Loop Header: Depth=1
	scratch_load_b128 v[15:18], v9, off offset:-8
	ds_load_b128 v[19:22], v8
	v_add_nc_u32_e32 v7, 1, v7
	v_add_nc_u32_e32 v8, 16, v8
	;; [unrolled: 1-line block ×3, first 2 shown]
	s_delay_alu instid0(VALU_DEP_3) | instskip(SKIP_4) | instid1(VALU_DEP_2)
	v_cmp_lt_u32_e32 vcc_lo, 5, v7
	s_or_b32 s3, vcc_lo, s3
	s_waitcnt vmcnt(0) lgkmcnt(0)
	v_mul_f64 v[10:11], v[21:22], v[17:18]
	v_mul_f64 v[17:18], v[19:20], v[17:18]
	v_fma_f64 v[10:11], v[19:20], v[15:16], -v[10:11]
	s_delay_alu instid0(VALU_DEP_2) | instskip(NEXT) | instid1(VALU_DEP_2)
	v_fma_f64 v[15:16], v[21:22], v[15:16], v[17:18]
	v_add_f64 v[3:4], v[3:4], v[10:11]
	s_delay_alu instid0(VALU_DEP_2)
	v_add_f64 v[1:2], v[1:2], v[15:16]
	s_and_not1_b32 exec_lo, exec_lo, s3
	s_cbranch_execnz .LBB41_41
; %bb.42:
	s_or_b32 exec_lo, exec_lo, s3
	v_mov_b32_e32 v7, 0
	ds_load_b128 v[7:10], v7 offset:112
	s_waitcnt lgkmcnt(0)
	v_mul_f64 v[11:12], v[1:2], v[9:10]
	v_mul_f64 v[15:16], v[3:4], v[9:10]
	s_delay_alu instid0(VALU_DEP_2) | instskip(NEXT) | instid1(VALU_DEP_2)
	v_fma_f64 v[9:10], v[3:4], v[7:8], -v[11:12]
	v_fma_f64 v[11:12], v[1:2], v[7:8], v[15:16]
	scratch_store_b128 off, v[9:12], off offset:112
.LBB41_43:
	s_or_b32 exec_lo, exec_lo, s2
	s_waitcnt_vscnt null, 0x0
	s_barrier
	buffer_gl0_inv
	scratch_load_b128 v[1:4], v164, off
	s_mov_b32 s2, exec_lo
	s_waitcnt vmcnt(0)
	ds_store_b128 v5, v[1:4]
	s_waitcnt lgkmcnt(0)
	s_barrier
	buffer_gl0_inv
	v_cmpx_gt_u32_e32 8, v126
	s_cbranch_execz .LBB41_47
; %bb.44:
	v_dual_mov_b32 v1, 0 :: v_dual_add_nc_u32 v8, 0x2a0, v13
	v_dual_mov_b32 v2, 0 :: v_dual_add_nc_u32 v7, -1, v126
	v_or_b32_e32 v9, 8, v14
	s_mov_b32 s3, 0
	s_delay_alu instid0(VALU_DEP_2)
	v_dual_mov_b32 v4, v2 :: v_dual_mov_b32 v3, v1
	.p2align	6
.LBB41_45:                              ; =>This Inner Loop Header: Depth=1
	scratch_load_b128 v[15:18], v9, off offset:-8
	ds_load_b128 v[19:22], v8
	v_add_nc_u32_e32 v7, 1, v7
	v_add_nc_u32_e32 v8, 16, v8
	;; [unrolled: 1-line block ×3, first 2 shown]
	s_delay_alu instid0(VALU_DEP_3) | instskip(SKIP_4) | instid1(VALU_DEP_2)
	v_cmp_lt_u32_e32 vcc_lo, 6, v7
	s_or_b32 s3, vcc_lo, s3
	s_waitcnt vmcnt(0) lgkmcnt(0)
	v_mul_f64 v[10:11], v[21:22], v[17:18]
	v_mul_f64 v[17:18], v[19:20], v[17:18]
	v_fma_f64 v[10:11], v[19:20], v[15:16], -v[10:11]
	s_delay_alu instid0(VALU_DEP_2) | instskip(NEXT) | instid1(VALU_DEP_2)
	v_fma_f64 v[15:16], v[21:22], v[15:16], v[17:18]
	v_add_f64 v[3:4], v[3:4], v[10:11]
	s_delay_alu instid0(VALU_DEP_2)
	v_add_f64 v[1:2], v[1:2], v[15:16]
	s_and_not1_b32 exec_lo, exec_lo, s3
	s_cbranch_execnz .LBB41_45
; %bb.46:
	s_or_b32 exec_lo, exec_lo, s3
	v_mov_b32_e32 v7, 0
	ds_load_b128 v[7:10], v7 offset:128
	s_waitcnt lgkmcnt(0)
	v_mul_f64 v[11:12], v[1:2], v[9:10]
	v_mul_f64 v[15:16], v[3:4], v[9:10]
	s_delay_alu instid0(VALU_DEP_2) | instskip(NEXT) | instid1(VALU_DEP_2)
	v_fma_f64 v[9:10], v[3:4], v[7:8], -v[11:12]
	v_fma_f64 v[11:12], v[1:2], v[7:8], v[15:16]
	scratch_store_b128 off, v[9:12], off offset:128
.LBB41_47:
	s_or_b32 exec_lo, exec_lo, s2
	s_waitcnt_vscnt null, 0x0
	s_barrier
	buffer_gl0_inv
	scratch_load_b128 v[1:4], v163, off
	s_mov_b32 s2, exec_lo
	s_waitcnt vmcnt(0)
	ds_store_b128 v5, v[1:4]
	s_waitcnt lgkmcnt(0)
	s_barrier
	buffer_gl0_inv
	v_cmpx_gt_u32_e32 9, v126
	s_cbranch_execz .LBB41_51
; %bb.48:
	v_dual_mov_b32 v1, 0 :: v_dual_add_nc_u32 v8, 0x2a0, v13
	v_dual_mov_b32 v2, 0 :: v_dual_add_nc_u32 v7, -1, v126
	v_or_b32_e32 v9, 8, v14
	s_mov_b32 s3, 0
	s_delay_alu instid0(VALU_DEP_2)
	v_dual_mov_b32 v4, v2 :: v_dual_mov_b32 v3, v1
	.p2align	6
.LBB41_49:                              ; =>This Inner Loop Header: Depth=1
	scratch_load_b128 v[15:18], v9, off offset:-8
	ds_load_b128 v[19:22], v8
	v_add_nc_u32_e32 v7, 1, v7
	v_add_nc_u32_e32 v8, 16, v8
	;; [unrolled: 1-line block ×3, first 2 shown]
	s_delay_alu instid0(VALU_DEP_3) | instskip(SKIP_4) | instid1(VALU_DEP_2)
	v_cmp_lt_u32_e32 vcc_lo, 7, v7
	s_or_b32 s3, vcc_lo, s3
	s_waitcnt vmcnt(0) lgkmcnt(0)
	v_mul_f64 v[10:11], v[21:22], v[17:18]
	v_mul_f64 v[17:18], v[19:20], v[17:18]
	v_fma_f64 v[10:11], v[19:20], v[15:16], -v[10:11]
	s_delay_alu instid0(VALU_DEP_2) | instskip(NEXT) | instid1(VALU_DEP_2)
	v_fma_f64 v[15:16], v[21:22], v[15:16], v[17:18]
	v_add_f64 v[3:4], v[3:4], v[10:11]
	s_delay_alu instid0(VALU_DEP_2)
	v_add_f64 v[1:2], v[1:2], v[15:16]
	s_and_not1_b32 exec_lo, exec_lo, s3
	s_cbranch_execnz .LBB41_49
; %bb.50:
	s_or_b32 exec_lo, exec_lo, s3
	v_mov_b32_e32 v7, 0
	ds_load_b128 v[7:10], v7 offset:144
	s_waitcnt lgkmcnt(0)
	v_mul_f64 v[11:12], v[1:2], v[9:10]
	v_mul_f64 v[15:16], v[3:4], v[9:10]
	s_delay_alu instid0(VALU_DEP_2) | instskip(NEXT) | instid1(VALU_DEP_2)
	v_fma_f64 v[9:10], v[3:4], v[7:8], -v[11:12]
	v_fma_f64 v[11:12], v[1:2], v[7:8], v[15:16]
	scratch_store_b128 off, v[9:12], off offset:144
.LBB41_51:
	s_or_b32 exec_lo, exec_lo, s2
	s_waitcnt_vscnt null, 0x0
	s_barrier
	buffer_gl0_inv
	scratch_load_b128 v[1:4], v162, off
	s_mov_b32 s2, exec_lo
	s_waitcnt vmcnt(0)
	ds_store_b128 v5, v[1:4]
	s_waitcnt lgkmcnt(0)
	s_barrier
	buffer_gl0_inv
	v_cmpx_gt_u32_e32 10, v126
	s_cbranch_execz .LBB41_55
; %bb.52:
	v_dual_mov_b32 v1, 0 :: v_dual_add_nc_u32 v8, 0x2a0, v13
	v_dual_mov_b32 v2, 0 :: v_dual_add_nc_u32 v7, -1, v126
	v_or_b32_e32 v9, 8, v14
	s_mov_b32 s3, 0
	s_delay_alu instid0(VALU_DEP_2)
	v_dual_mov_b32 v4, v2 :: v_dual_mov_b32 v3, v1
	.p2align	6
.LBB41_53:                              ; =>This Inner Loop Header: Depth=1
	scratch_load_b128 v[15:18], v9, off offset:-8
	ds_load_b128 v[19:22], v8
	v_add_nc_u32_e32 v7, 1, v7
	v_add_nc_u32_e32 v8, 16, v8
	;; [unrolled: 1-line block ×3, first 2 shown]
	s_delay_alu instid0(VALU_DEP_3) | instskip(SKIP_4) | instid1(VALU_DEP_2)
	v_cmp_lt_u32_e32 vcc_lo, 8, v7
	s_or_b32 s3, vcc_lo, s3
	s_waitcnt vmcnt(0) lgkmcnt(0)
	v_mul_f64 v[10:11], v[21:22], v[17:18]
	v_mul_f64 v[17:18], v[19:20], v[17:18]
	v_fma_f64 v[10:11], v[19:20], v[15:16], -v[10:11]
	s_delay_alu instid0(VALU_DEP_2) | instskip(NEXT) | instid1(VALU_DEP_2)
	v_fma_f64 v[15:16], v[21:22], v[15:16], v[17:18]
	v_add_f64 v[3:4], v[3:4], v[10:11]
	s_delay_alu instid0(VALU_DEP_2)
	v_add_f64 v[1:2], v[1:2], v[15:16]
	s_and_not1_b32 exec_lo, exec_lo, s3
	s_cbranch_execnz .LBB41_53
; %bb.54:
	s_or_b32 exec_lo, exec_lo, s3
	v_mov_b32_e32 v7, 0
	ds_load_b128 v[7:10], v7 offset:160
	s_waitcnt lgkmcnt(0)
	v_mul_f64 v[11:12], v[1:2], v[9:10]
	v_mul_f64 v[15:16], v[3:4], v[9:10]
	s_delay_alu instid0(VALU_DEP_2) | instskip(NEXT) | instid1(VALU_DEP_2)
	v_fma_f64 v[9:10], v[3:4], v[7:8], -v[11:12]
	v_fma_f64 v[11:12], v[1:2], v[7:8], v[15:16]
	scratch_store_b128 off, v[9:12], off offset:160
.LBB41_55:
	s_or_b32 exec_lo, exec_lo, s2
	s_waitcnt_vscnt null, 0x0
	s_barrier
	buffer_gl0_inv
	scratch_load_b128 v[1:4], v161, off
	s_mov_b32 s2, exec_lo
	s_waitcnt vmcnt(0)
	ds_store_b128 v5, v[1:4]
	s_waitcnt lgkmcnt(0)
	s_barrier
	buffer_gl0_inv
	v_cmpx_gt_u32_e32 11, v126
	s_cbranch_execz .LBB41_59
; %bb.56:
	v_dual_mov_b32 v1, 0 :: v_dual_add_nc_u32 v8, 0x2a0, v13
	v_dual_mov_b32 v2, 0 :: v_dual_add_nc_u32 v7, -1, v126
	v_or_b32_e32 v9, 8, v14
	s_mov_b32 s3, 0
	s_delay_alu instid0(VALU_DEP_2)
	v_dual_mov_b32 v4, v2 :: v_dual_mov_b32 v3, v1
	.p2align	6
.LBB41_57:                              ; =>This Inner Loop Header: Depth=1
	scratch_load_b128 v[15:18], v9, off offset:-8
	ds_load_b128 v[19:22], v8
	v_add_nc_u32_e32 v7, 1, v7
	v_add_nc_u32_e32 v8, 16, v8
	;; [unrolled: 1-line block ×3, first 2 shown]
	s_delay_alu instid0(VALU_DEP_3) | instskip(SKIP_4) | instid1(VALU_DEP_2)
	v_cmp_lt_u32_e32 vcc_lo, 9, v7
	s_or_b32 s3, vcc_lo, s3
	s_waitcnt vmcnt(0) lgkmcnt(0)
	v_mul_f64 v[10:11], v[21:22], v[17:18]
	v_mul_f64 v[17:18], v[19:20], v[17:18]
	v_fma_f64 v[10:11], v[19:20], v[15:16], -v[10:11]
	s_delay_alu instid0(VALU_DEP_2) | instskip(NEXT) | instid1(VALU_DEP_2)
	v_fma_f64 v[15:16], v[21:22], v[15:16], v[17:18]
	v_add_f64 v[3:4], v[3:4], v[10:11]
	s_delay_alu instid0(VALU_DEP_2)
	v_add_f64 v[1:2], v[1:2], v[15:16]
	s_and_not1_b32 exec_lo, exec_lo, s3
	s_cbranch_execnz .LBB41_57
; %bb.58:
	s_or_b32 exec_lo, exec_lo, s3
	v_mov_b32_e32 v7, 0
	ds_load_b128 v[7:10], v7 offset:176
	s_waitcnt lgkmcnt(0)
	v_mul_f64 v[11:12], v[1:2], v[9:10]
	v_mul_f64 v[15:16], v[3:4], v[9:10]
	s_delay_alu instid0(VALU_DEP_2) | instskip(NEXT) | instid1(VALU_DEP_2)
	v_fma_f64 v[9:10], v[3:4], v[7:8], -v[11:12]
	v_fma_f64 v[11:12], v[1:2], v[7:8], v[15:16]
	scratch_store_b128 off, v[9:12], off offset:176
.LBB41_59:
	s_or_b32 exec_lo, exec_lo, s2
	s_waitcnt_vscnt null, 0x0
	s_barrier
	buffer_gl0_inv
	scratch_load_b128 v[1:4], v160, off
	s_mov_b32 s2, exec_lo
	s_waitcnt vmcnt(0)
	ds_store_b128 v5, v[1:4]
	s_waitcnt lgkmcnt(0)
	s_barrier
	buffer_gl0_inv
	v_cmpx_gt_u32_e32 12, v126
	s_cbranch_execz .LBB41_63
; %bb.60:
	v_dual_mov_b32 v1, 0 :: v_dual_add_nc_u32 v8, 0x2a0, v13
	v_dual_mov_b32 v2, 0 :: v_dual_add_nc_u32 v7, -1, v126
	v_or_b32_e32 v9, 8, v14
	s_mov_b32 s3, 0
	s_delay_alu instid0(VALU_DEP_2)
	v_dual_mov_b32 v4, v2 :: v_dual_mov_b32 v3, v1
	.p2align	6
.LBB41_61:                              ; =>This Inner Loop Header: Depth=1
	scratch_load_b128 v[15:18], v9, off offset:-8
	ds_load_b128 v[19:22], v8
	v_add_nc_u32_e32 v7, 1, v7
	v_add_nc_u32_e32 v8, 16, v8
	;; [unrolled: 1-line block ×3, first 2 shown]
	s_delay_alu instid0(VALU_DEP_3) | instskip(SKIP_4) | instid1(VALU_DEP_2)
	v_cmp_lt_u32_e32 vcc_lo, 10, v7
	s_or_b32 s3, vcc_lo, s3
	s_waitcnt vmcnt(0) lgkmcnt(0)
	v_mul_f64 v[10:11], v[21:22], v[17:18]
	v_mul_f64 v[17:18], v[19:20], v[17:18]
	v_fma_f64 v[10:11], v[19:20], v[15:16], -v[10:11]
	s_delay_alu instid0(VALU_DEP_2) | instskip(NEXT) | instid1(VALU_DEP_2)
	v_fma_f64 v[15:16], v[21:22], v[15:16], v[17:18]
	v_add_f64 v[3:4], v[3:4], v[10:11]
	s_delay_alu instid0(VALU_DEP_2)
	v_add_f64 v[1:2], v[1:2], v[15:16]
	s_and_not1_b32 exec_lo, exec_lo, s3
	s_cbranch_execnz .LBB41_61
; %bb.62:
	s_or_b32 exec_lo, exec_lo, s3
	v_mov_b32_e32 v7, 0
	ds_load_b128 v[7:10], v7 offset:192
	s_waitcnt lgkmcnt(0)
	v_mul_f64 v[11:12], v[1:2], v[9:10]
	v_mul_f64 v[15:16], v[3:4], v[9:10]
	s_delay_alu instid0(VALU_DEP_2) | instskip(NEXT) | instid1(VALU_DEP_2)
	v_fma_f64 v[9:10], v[3:4], v[7:8], -v[11:12]
	v_fma_f64 v[11:12], v[1:2], v[7:8], v[15:16]
	scratch_store_b128 off, v[9:12], off offset:192
.LBB41_63:
	s_or_b32 exec_lo, exec_lo, s2
	s_waitcnt_vscnt null, 0x0
	s_barrier
	buffer_gl0_inv
	scratch_load_b128 v[1:4], v159, off
	s_mov_b32 s2, exec_lo
	s_waitcnt vmcnt(0)
	ds_store_b128 v5, v[1:4]
	s_waitcnt lgkmcnt(0)
	s_barrier
	buffer_gl0_inv
	v_cmpx_gt_u32_e32 13, v126
	s_cbranch_execz .LBB41_67
; %bb.64:
	v_dual_mov_b32 v1, 0 :: v_dual_add_nc_u32 v8, 0x2a0, v13
	v_dual_mov_b32 v2, 0 :: v_dual_add_nc_u32 v7, -1, v126
	v_or_b32_e32 v9, 8, v14
	s_mov_b32 s3, 0
	s_delay_alu instid0(VALU_DEP_2)
	v_dual_mov_b32 v4, v2 :: v_dual_mov_b32 v3, v1
	.p2align	6
.LBB41_65:                              ; =>This Inner Loop Header: Depth=1
	scratch_load_b128 v[15:18], v9, off offset:-8
	ds_load_b128 v[19:22], v8
	v_add_nc_u32_e32 v7, 1, v7
	v_add_nc_u32_e32 v8, 16, v8
	;; [unrolled: 1-line block ×3, first 2 shown]
	s_delay_alu instid0(VALU_DEP_3) | instskip(SKIP_4) | instid1(VALU_DEP_2)
	v_cmp_lt_u32_e32 vcc_lo, 11, v7
	s_or_b32 s3, vcc_lo, s3
	s_waitcnt vmcnt(0) lgkmcnt(0)
	v_mul_f64 v[10:11], v[21:22], v[17:18]
	v_mul_f64 v[17:18], v[19:20], v[17:18]
	v_fma_f64 v[10:11], v[19:20], v[15:16], -v[10:11]
	s_delay_alu instid0(VALU_DEP_2) | instskip(NEXT) | instid1(VALU_DEP_2)
	v_fma_f64 v[15:16], v[21:22], v[15:16], v[17:18]
	v_add_f64 v[3:4], v[3:4], v[10:11]
	s_delay_alu instid0(VALU_DEP_2)
	v_add_f64 v[1:2], v[1:2], v[15:16]
	s_and_not1_b32 exec_lo, exec_lo, s3
	s_cbranch_execnz .LBB41_65
; %bb.66:
	s_or_b32 exec_lo, exec_lo, s3
	v_mov_b32_e32 v7, 0
	ds_load_b128 v[7:10], v7 offset:208
	s_waitcnt lgkmcnt(0)
	v_mul_f64 v[11:12], v[1:2], v[9:10]
	v_mul_f64 v[15:16], v[3:4], v[9:10]
	s_delay_alu instid0(VALU_DEP_2) | instskip(NEXT) | instid1(VALU_DEP_2)
	v_fma_f64 v[9:10], v[3:4], v[7:8], -v[11:12]
	v_fma_f64 v[11:12], v[1:2], v[7:8], v[15:16]
	scratch_store_b128 off, v[9:12], off offset:208
.LBB41_67:
	s_or_b32 exec_lo, exec_lo, s2
	s_waitcnt_vscnt null, 0x0
	s_barrier
	buffer_gl0_inv
	scratch_load_b128 v[1:4], v158, off
	s_mov_b32 s2, exec_lo
	s_waitcnt vmcnt(0)
	ds_store_b128 v5, v[1:4]
	s_waitcnt lgkmcnt(0)
	s_barrier
	buffer_gl0_inv
	v_cmpx_gt_u32_e32 14, v126
	s_cbranch_execz .LBB41_71
; %bb.68:
	v_dual_mov_b32 v1, 0 :: v_dual_add_nc_u32 v8, 0x2a0, v13
	v_dual_mov_b32 v2, 0 :: v_dual_add_nc_u32 v7, -1, v126
	v_or_b32_e32 v9, 8, v14
	s_mov_b32 s3, 0
	s_delay_alu instid0(VALU_DEP_2)
	v_dual_mov_b32 v4, v2 :: v_dual_mov_b32 v3, v1
	.p2align	6
.LBB41_69:                              ; =>This Inner Loop Header: Depth=1
	scratch_load_b128 v[15:18], v9, off offset:-8
	ds_load_b128 v[19:22], v8
	v_add_nc_u32_e32 v7, 1, v7
	v_add_nc_u32_e32 v8, 16, v8
	;; [unrolled: 1-line block ×3, first 2 shown]
	s_delay_alu instid0(VALU_DEP_3) | instskip(SKIP_4) | instid1(VALU_DEP_2)
	v_cmp_lt_u32_e32 vcc_lo, 12, v7
	s_or_b32 s3, vcc_lo, s3
	s_waitcnt vmcnt(0) lgkmcnt(0)
	v_mul_f64 v[10:11], v[21:22], v[17:18]
	v_mul_f64 v[17:18], v[19:20], v[17:18]
	v_fma_f64 v[10:11], v[19:20], v[15:16], -v[10:11]
	s_delay_alu instid0(VALU_DEP_2) | instskip(NEXT) | instid1(VALU_DEP_2)
	v_fma_f64 v[15:16], v[21:22], v[15:16], v[17:18]
	v_add_f64 v[3:4], v[3:4], v[10:11]
	s_delay_alu instid0(VALU_DEP_2)
	v_add_f64 v[1:2], v[1:2], v[15:16]
	s_and_not1_b32 exec_lo, exec_lo, s3
	s_cbranch_execnz .LBB41_69
; %bb.70:
	s_or_b32 exec_lo, exec_lo, s3
	v_mov_b32_e32 v7, 0
	ds_load_b128 v[7:10], v7 offset:224
	s_waitcnt lgkmcnt(0)
	v_mul_f64 v[11:12], v[1:2], v[9:10]
	v_mul_f64 v[15:16], v[3:4], v[9:10]
	s_delay_alu instid0(VALU_DEP_2) | instskip(NEXT) | instid1(VALU_DEP_2)
	v_fma_f64 v[9:10], v[3:4], v[7:8], -v[11:12]
	v_fma_f64 v[11:12], v[1:2], v[7:8], v[15:16]
	scratch_store_b128 off, v[9:12], off offset:224
.LBB41_71:
	s_or_b32 exec_lo, exec_lo, s2
	s_waitcnt_vscnt null, 0x0
	s_barrier
	buffer_gl0_inv
	scratch_load_b128 v[1:4], v157, off
	s_mov_b32 s2, exec_lo
	s_waitcnt vmcnt(0)
	ds_store_b128 v5, v[1:4]
	s_waitcnt lgkmcnt(0)
	s_barrier
	buffer_gl0_inv
	v_cmpx_gt_u32_e32 15, v126
	s_cbranch_execz .LBB41_75
; %bb.72:
	v_dual_mov_b32 v1, 0 :: v_dual_add_nc_u32 v8, 0x2a0, v13
	v_dual_mov_b32 v2, 0 :: v_dual_add_nc_u32 v7, -1, v126
	v_or_b32_e32 v9, 8, v14
	s_mov_b32 s3, 0
	s_delay_alu instid0(VALU_DEP_2)
	v_dual_mov_b32 v4, v2 :: v_dual_mov_b32 v3, v1
	.p2align	6
.LBB41_73:                              ; =>This Inner Loop Header: Depth=1
	scratch_load_b128 v[15:18], v9, off offset:-8
	ds_load_b128 v[19:22], v8
	v_add_nc_u32_e32 v7, 1, v7
	v_add_nc_u32_e32 v8, 16, v8
	;; [unrolled: 1-line block ×3, first 2 shown]
	s_delay_alu instid0(VALU_DEP_3) | instskip(SKIP_4) | instid1(VALU_DEP_2)
	v_cmp_lt_u32_e32 vcc_lo, 13, v7
	s_or_b32 s3, vcc_lo, s3
	s_waitcnt vmcnt(0) lgkmcnt(0)
	v_mul_f64 v[10:11], v[21:22], v[17:18]
	v_mul_f64 v[17:18], v[19:20], v[17:18]
	v_fma_f64 v[10:11], v[19:20], v[15:16], -v[10:11]
	s_delay_alu instid0(VALU_DEP_2) | instskip(NEXT) | instid1(VALU_DEP_2)
	v_fma_f64 v[15:16], v[21:22], v[15:16], v[17:18]
	v_add_f64 v[3:4], v[3:4], v[10:11]
	s_delay_alu instid0(VALU_DEP_2)
	v_add_f64 v[1:2], v[1:2], v[15:16]
	s_and_not1_b32 exec_lo, exec_lo, s3
	s_cbranch_execnz .LBB41_73
; %bb.74:
	s_or_b32 exec_lo, exec_lo, s3
	v_mov_b32_e32 v7, 0
	ds_load_b128 v[7:10], v7 offset:240
	s_waitcnt lgkmcnt(0)
	v_mul_f64 v[11:12], v[1:2], v[9:10]
	v_mul_f64 v[15:16], v[3:4], v[9:10]
	s_delay_alu instid0(VALU_DEP_2) | instskip(NEXT) | instid1(VALU_DEP_2)
	v_fma_f64 v[9:10], v[3:4], v[7:8], -v[11:12]
	v_fma_f64 v[11:12], v[1:2], v[7:8], v[15:16]
	scratch_store_b128 off, v[9:12], off offset:240
.LBB41_75:
	s_or_b32 exec_lo, exec_lo, s2
	s_waitcnt_vscnt null, 0x0
	s_barrier
	buffer_gl0_inv
	scratch_load_b128 v[1:4], v156, off
	s_mov_b32 s2, exec_lo
	s_waitcnt vmcnt(0)
	ds_store_b128 v5, v[1:4]
	s_waitcnt lgkmcnt(0)
	s_barrier
	buffer_gl0_inv
	v_cmpx_gt_u32_e32 16, v126
	s_cbranch_execz .LBB41_79
; %bb.76:
	v_dual_mov_b32 v1, 0 :: v_dual_add_nc_u32 v8, 0x2a0, v13
	v_dual_mov_b32 v2, 0 :: v_dual_add_nc_u32 v7, -1, v126
	v_or_b32_e32 v9, 8, v14
	s_mov_b32 s3, 0
	s_delay_alu instid0(VALU_DEP_2)
	v_dual_mov_b32 v4, v2 :: v_dual_mov_b32 v3, v1
	.p2align	6
.LBB41_77:                              ; =>This Inner Loop Header: Depth=1
	scratch_load_b128 v[15:18], v9, off offset:-8
	ds_load_b128 v[19:22], v8
	v_add_nc_u32_e32 v7, 1, v7
	v_add_nc_u32_e32 v8, 16, v8
	;; [unrolled: 1-line block ×3, first 2 shown]
	s_delay_alu instid0(VALU_DEP_3) | instskip(SKIP_4) | instid1(VALU_DEP_2)
	v_cmp_lt_u32_e32 vcc_lo, 14, v7
	s_or_b32 s3, vcc_lo, s3
	s_waitcnt vmcnt(0) lgkmcnt(0)
	v_mul_f64 v[10:11], v[21:22], v[17:18]
	v_mul_f64 v[17:18], v[19:20], v[17:18]
	v_fma_f64 v[10:11], v[19:20], v[15:16], -v[10:11]
	s_delay_alu instid0(VALU_DEP_2) | instskip(NEXT) | instid1(VALU_DEP_2)
	v_fma_f64 v[15:16], v[21:22], v[15:16], v[17:18]
	v_add_f64 v[3:4], v[3:4], v[10:11]
	s_delay_alu instid0(VALU_DEP_2)
	v_add_f64 v[1:2], v[1:2], v[15:16]
	s_and_not1_b32 exec_lo, exec_lo, s3
	s_cbranch_execnz .LBB41_77
; %bb.78:
	s_or_b32 exec_lo, exec_lo, s3
	v_mov_b32_e32 v7, 0
	ds_load_b128 v[7:10], v7 offset:256
	s_waitcnt lgkmcnt(0)
	v_mul_f64 v[11:12], v[1:2], v[9:10]
	v_mul_f64 v[15:16], v[3:4], v[9:10]
	s_delay_alu instid0(VALU_DEP_2) | instskip(NEXT) | instid1(VALU_DEP_2)
	v_fma_f64 v[9:10], v[3:4], v[7:8], -v[11:12]
	v_fma_f64 v[11:12], v[1:2], v[7:8], v[15:16]
	scratch_store_b128 off, v[9:12], off offset:256
.LBB41_79:
	s_or_b32 exec_lo, exec_lo, s2
	s_waitcnt_vscnt null, 0x0
	s_barrier
	buffer_gl0_inv
	scratch_load_b128 v[1:4], v155, off
	s_mov_b32 s2, exec_lo
	s_waitcnt vmcnt(0)
	ds_store_b128 v5, v[1:4]
	s_waitcnt lgkmcnt(0)
	s_barrier
	buffer_gl0_inv
	v_cmpx_gt_u32_e32 17, v126
	s_cbranch_execz .LBB41_83
; %bb.80:
	v_dual_mov_b32 v1, 0 :: v_dual_add_nc_u32 v8, 0x2a0, v13
	v_dual_mov_b32 v2, 0 :: v_dual_add_nc_u32 v7, -1, v126
	v_or_b32_e32 v9, 8, v14
	s_mov_b32 s3, 0
	s_delay_alu instid0(VALU_DEP_2)
	v_dual_mov_b32 v4, v2 :: v_dual_mov_b32 v3, v1
	.p2align	6
.LBB41_81:                              ; =>This Inner Loop Header: Depth=1
	scratch_load_b128 v[15:18], v9, off offset:-8
	ds_load_b128 v[19:22], v8
	v_add_nc_u32_e32 v7, 1, v7
	v_add_nc_u32_e32 v8, 16, v8
	;; [unrolled: 1-line block ×3, first 2 shown]
	s_delay_alu instid0(VALU_DEP_3) | instskip(SKIP_4) | instid1(VALU_DEP_2)
	v_cmp_lt_u32_e32 vcc_lo, 15, v7
	s_or_b32 s3, vcc_lo, s3
	s_waitcnt vmcnt(0) lgkmcnt(0)
	v_mul_f64 v[10:11], v[21:22], v[17:18]
	v_mul_f64 v[17:18], v[19:20], v[17:18]
	v_fma_f64 v[10:11], v[19:20], v[15:16], -v[10:11]
	s_delay_alu instid0(VALU_DEP_2) | instskip(NEXT) | instid1(VALU_DEP_2)
	v_fma_f64 v[15:16], v[21:22], v[15:16], v[17:18]
	v_add_f64 v[3:4], v[3:4], v[10:11]
	s_delay_alu instid0(VALU_DEP_2)
	v_add_f64 v[1:2], v[1:2], v[15:16]
	s_and_not1_b32 exec_lo, exec_lo, s3
	s_cbranch_execnz .LBB41_81
; %bb.82:
	s_or_b32 exec_lo, exec_lo, s3
	v_mov_b32_e32 v7, 0
	ds_load_b128 v[7:10], v7 offset:272
	s_waitcnt lgkmcnt(0)
	v_mul_f64 v[11:12], v[1:2], v[9:10]
	v_mul_f64 v[15:16], v[3:4], v[9:10]
	s_delay_alu instid0(VALU_DEP_2) | instskip(NEXT) | instid1(VALU_DEP_2)
	v_fma_f64 v[9:10], v[3:4], v[7:8], -v[11:12]
	v_fma_f64 v[11:12], v[1:2], v[7:8], v[15:16]
	scratch_store_b128 off, v[9:12], off offset:272
.LBB41_83:
	s_or_b32 exec_lo, exec_lo, s2
	s_waitcnt_vscnt null, 0x0
	s_barrier
	buffer_gl0_inv
	scratch_load_b128 v[1:4], v153, off
	s_mov_b32 s2, exec_lo
	s_waitcnt vmcnt(0)
	ds_store_b128 v5, v[1:4]
	s_waitcnt lgkmcnt(0)
	s_barrier
	buffer_gl0_inv
	v_cmpx_gt_u32_e32 18, v126
	s_cbranch_execz .LBB41_87
; %bb.84:
	v_dual_mov_b32 v1, 0 :: v_dual_add_nc_u32 v8, 0x2a0, v13
	v_dual_mov_b32 v2, 0 :: v_dual_add_nc_u32 v7, -1, v126
	v_or_b32_e32 v9, 8, v14
	s_mov_b32 s3, 0
	s_delay_alu instid0(VALU_DEP_2)
	v_dual_mov_b32 v4, v2 :: v_dual_mov_b32 v3, v1
	.p2align	6
.LBB41_85:                              ; =>This Inner Loop Header: Depth=1
	scratch_load_b128 v[15:18], v9, off offset:-8
	ds_load_b128 v[19:22], v8
	v_add_nc_u32_e32 v7, 1, v7
	v_add_nc_u32_e32 v8, 16, v8
	;; [unrolled: 1-line block ×3, first 2 shown]
	s_delay_alu instid0(VALU_DEP_3) | instskip(SKIP_4) | instid1(VALU_DEP_2)
	v_cmp_lt_u32_e32 vcc_lo, 16, v7
	s_or_b32 s3, vcc_lo, s3
	s_waitcnt vmcnt(0) lgkmcnt(0)
	v_mul_f64 v[10:11], v[21:22], v[17:18]
	v_mul_f64 v[17:18], v[19:20], v[17:18]
	v_fma_f64 v[10:11], v[19:20], v[15:16], -v[10:11]
	s_delay_alu instid0(VALU_DEP_2) | instskip(NEXT) | instid1(VALU_DEP_2)
	v_fma_f64 v[15:16], v[21:22], v[15:16], v[17:18]
	v_add_f64 v[3:4], v[3:4], v[10:11]
	s_delay_alu instid0(VALU_DEP_2)
	v_add_f64 v[1:2], v[1:2], v[15:16]
	s_and_not1_b32 exec_lo, exec_lo, s3
	s_cbranch_execnz .LBB41_85
; %bb.86:
	s_or_b32 exec_lo, exec_lo, s3
	v_mov_b32_e32 v7, 0
	ds_load_b128 v[7:10], v7 offset:288
	s_waitcnt lgkmcnt(0)
	v_mul_f64 v[11:12], v[1:2], v[9:10]
	v_mul_f64 v[15:16], v[3:4], v[9:10]
	s_delay_alu instid0(VALU_DEP_2) | instskip(NEXT) | instid1(VALU_DEP_2)
	v_fma_f64 v[9:10], v[3:4], v[7:8], -v[11:12]
	v_fma_f64 v[11:12], v[1:2], v[7:8], v[15:16]
	scratch_store_b128 off, v[9:12], off offset:288
.LBB41_87:
	s_or_b32 exec_lo, exec_lo, s2
	s_waitcnt_vscnt null, 0x0
	s_barrier
	buffer_gl0_inv
	scratch_load_b128 v[1:4], v154, off
	s_mov_b32 s2, exec_lo
	s_waitcnt vmcnt(0)
	ds_store_b128 v5, v[1:4]
	s_waitcnt lgkmcnt(0)
	s_barrier
	buffer_gl0_inv
	v_cmpx_gt_u32_e32 19, v126
	s_cbranch_execz .LBB41_91
; %bb.88:
	v_dual_mov_b32 v1, 0 :: v_dual_add_nc_u32 v8, 0x2a0, v13
	v_dual_mov_b32 v2, 0 :: v_dual_add_nc_u32 v7, -1, v126
	v_or_b32_e32 v9, 8, v14
	s_mov_b32 s3, 0
	s_delay_alu instid0(VALU_DEP_2)
	v_dual_mov_b32 v4, v2 :: v_dual_mov_b32 v3, v1
	.p2align	6
.LBB41_89:                              ; =>This Inner Loop Header: Depth=1
	scratch_load_b128 v[15:18], v9, off offset:-8
	ds_load_b128 v[19:22], v8
	v_add_nc_u32_e32 v7, 1, v7
	v_add_nc_u32_e32 v8, 16, v8
	;; [unrolled: 1-line block ×3, first 2 shown]
	s_delay_alu instid0(VALU_DEP_3) | instskip(SKIP_4) | instid1(VALU_DEP_2)
	v_cmp_lt_u32_e32 vcc_lo, 17, v7
	s_or_b32 s3, vcc_lo, s3
	s_waitcnt vmcnt(0) lgkmcnt(0)
	v_mul_f64 v[10:11], v[21:22], v[17:18]
	v_mul_f64 v[17:18], v[19:20], v[17:18]
	v_fma_f64 v[10:11], v[19:20], v[15:16], -v[10:11]
	s_delay_alu instid0(VALU_DEP_2) | instskip(NEXT) | instid1(VALU_DEP_2)
	v_fma_f64 v[15:16], v[21:22], v[15:16], v[17:18]
	v_add_f64 v[3:4], v[3:4], v[10:11]
	s_delay_alu instid0(VALU_DEP_2)
	v_add_f64 v[1:2], v[1:2], v[15:16]
	s_and_not1_b32 exec_lo, exec_lo, s3
	s_cbranch_execnz .LBB41_89
; %bb.90:
	s_or_b32 exec_lo, exec_lo, s3
	v_mov_b32_e32 v7, 0
	ds_load_b128 v[7:10], v7 offset:304
	s_waitcnt lgkmcnt(0)
	v_mul_f64 v[11:12], v[1:2], v[9:10]
	v_mul_f64 v[15:16], v[3:4], v[9:10]
	s_delay_alu instid0(VALU_DEP_2) | instskip(NEXT) | instid1(VALU_DEP_2)
	v_fma_f64 v[9:10], v[3:4], v[7:8], -v[11:12]
	v_fma_f64 v[11:12], v[1:2], v[7:8], v[15:16]
	scratch_store_b128 off, v[9:12], off offset:304
.LBB41_91:
	s_or_b32 exec_lo, exec_lo, s2
	s_waitcnt_vscnt null, 0x0
	s_barrier
	buffer_gl0_inv
	scratch_load_b128 v[1:4], v152, off
	s_mov_b32 s2, exec_lo
	s_waitcnt vmcnt(0)
	ds_store_b128 v5, v[1:4]
	s_waitcnt lgkmcnt(0)
	s_barrier
	buffer_gl0_inv
	v_cmpx_gt_u32_e32 20, v126
	s_cbranch_execz .LBB41_95
; %bb.92:
	v_dual_mov_b32 v1, 0 :: v_dual_add_nc_u32 v8, 0x2a0, v13
	v_dual_mov_b32 v2, 0 :: v_dual_add_nc_u32 v7, -1, v126
	v_or_b32_e32 v9, 8, v14
	s_mov_b32 s3, 0
	s_delay_alu instid0(VALU_DEP_2)
	v_dual_mov_b32 v4, v2 :: v_dual_mov_b32 v3, v1
	.p2align	6
.LBB41_93:                              ; =>This Inner Loop Header: Depth=1
	scratch_load_b128 v[15:18], v9, off offset:-8
	ds_load_b128 v[19:22], v8
	v_add_nc_u32_e32 v7, 1, v7
	v_add_nc_u32_e32 v8, 16, v8
	;; [unrolled: 1-line block ×3, first 2 shown]
	s_delay_alu instid0(VALU_DEP_3) | instskip(SKIP_4) | instid1(VALU_DEP_2)
	v_cmp_lt_u32_e32 vcc_lo, 18, v7
	s_or_b32 s3, vcc_lo, s3
	s_waitcnt vmcnt(0) lgkmcnt(0)
	v_mul_f64 v[10:11], v[21:22], v[17:18]
	v_mul_f64 v[17:18], v[19:20], v[17:18]
	v_fma_f64 v[10:11], v[19:20], v[15:16], -v[10:11]
	s_delay_alu instid0(VALU_DEP_2) | instskip(NEXT) | instid1(VALU_DEP_2)
	v_fma_f64 v[15:16], v[21:22], v[15:16], v[17:18]
	v_add_f64 v[3:4], v[3:4], v[10:11]
	s_delay_alu instid0(VALU_DEP_2)
	v_add_f64 v[1:2], v[1:2], v[15:16]
	s_and_not1_b32 exec_lo, exec_lo, s3
	s_cbranch_execnz .LBB41_93
; %bb.94:
	s_or_b32 exec_lo, exec_lo, s3
	v_mov_b32_e32 v7, 0
	ds_load_b128 v[7:10], v7 offset:320
	s_waitcnt lgkmcnt(0)
	v_mul_f64 v[11:12], v[1:2], v[9:10]
	v_mul_f64 v[15:16], v[3:4], v[9:10]
	s_delay_alu instid0(VALU_DEP_2) | instskip(NEXT) | instid1(VALU_DEP_2)
	v_fma_f64 v[9:10], v[3:4], v[7:8], -v[11:12]
	v_fma_f64 v[11:12], v[1:2], v[7:8], v[15:16]
	scratch_store_b128 off, v[9:12], off offset:320
.LBB41_95:
	s_or_b32 exec_lo, exec_lo, s2
	s_waitcnt_vscnt null, 0x0
	s_barrier
	buffer_gl0_inv
	scratch_load_b128 v[1:4], v151, off
	s_mov_b32 s2, exec_lo
	s_waitcnt vmcnt(0)
	ds_store_b128 v5, v[1:4]
	s_waitcnt lgkmcnt(0)
	s_barrier
	buffer_gl0_inv
	v_cmpx_gt_u32_e32 21, v126
	s_cbranch_execz .LBB41_99
; %bb.96:
	v_dual_mov_b32 v1, 0 :: v_dual_add_nc_u32 v8, 0x2a0, v13
	v_dual_mov_b32 v2, 0 :: v_dual_add_nc_u32 v7, -1, v126
	v_or_b32_e32 v9, 8, v14
	s_mov_b32 s3, 0
	s_delay_alu instid0(VALU_DEP_2)
	v_dual_mov_b32 v4, v2 :: v_dual_mov_b32 v3, v1
	.p2align	6
.LBB41_97:                              ; =>This Inner Loop Header: Depth=1
	scratch_load_b128 v[15:18], v9, off offset:-8
	ds_load_b128 v[19:22], v8
	v_add_nc_u32_e32 v7, 1, v7
	v_add_nc_u32_e32 v8, 16, v8
	;; [unrolled: 1-line block ×3, first 2 shown]
	s_delay_alu instid0(VALU_DEP_3) | instskip(SKIP_4) | instid1(VALU_DEP_2)
	v_cmp_lt_u32_e32 vcc_lo, 19, v7
	s_or_b32 s3, vcc_lo, s3
	s_waitcnt vmcnt(0) lgkmcnt(0)
	v_mul_f64 v[10:11], v[21:22], v[17:18]
	v_mul_f64 v[17:18], v[19:20], v[17:18]
	v_fma_f64 v[10:11], v[19:20], v[15:16], -v[10:11]
	s_delay_alu instid0(VALU_DEP_2) | instskip(NEXT) | instid1(VALU_DEP_2)
	v_fma_f64 v[15:16], v[21:22], v[15:16], v[17:18]
	v_add_f64 v[3:4], v[3:4], v[10:11]
	s_delay_alu instid0(VALU_DEP_2)
	v_add_f64 v[1:2], v[1:2], v[15:16]
	s_and_not1_b32 exec_lo, exec_lo, s3
	s_cbranch_execnz .LBB41_97
; %bb.98:
	s_or_b32 exec_lo, exec_lo, s3
	v_mov_b32_e32 v7, 0
	ds_load_b128 v[7:10], v7 offset:336
	s_waitcnt lgkmcnt(0)
	v_mul_f64 v[11:12], v[1:2], v[9:10]
	v_mul_f64 v[15:16], v[3:4], v[9:10]
	s_delay_alu instid0(VALU_DEP_2) | instskip(NEXT) | instid1(VALU_DEP_2)
	v_fma_f64 v[9:10], v[3:4], v[7:8], -v[11:12]
	v_fma_f64 v[11:12], v[1:2], v[7:8], v[15:16]
	scratch_store_b128 off, v[9:12], off offset:336
.LBB41_99:
	s_or_b32 exec_lo, exec_lo, s2
	s_waitcnt_vscnt null, 0x0
	s_barrier
	buffer_gl0_inv
	scratch_load_b128 v[1:4], v145, off
	s_mov_b32 s2, exec_lo
	s_waitcnt vmcnt(0)
	ds_store_b128 v5, v[1:4]
	s_waitcnt lgkmcnt(0)
	s_barrier
	buffer_gl0_inv
	v_cmpx_gt_u32_e32 22, v126
	s_cbranch_execz .LBB41_103
; %bb.100:
	v_dual_mov_b32 v1, 0 :: v_dual_add_nc_u32 v8, 0x2a0, v13
	v_dual_mov_b32 v2, 0 :: v_dual_add_nc_u32 v7, -1, v126
	v_or_b32_e32 v9, 8, v14
	s_mov_b32 s3, 0
	s_delay_alu instid0(VALU_DEP_2)
	v_dual_mov_b32 v4, v2 :: v_dual_mov_b32 v3, v1
	.p2align	6
.LBB41_101:                             ; =>This Inner Loop Header: Depth=1
	scratch_load_b128 v[15:18], v9, off offset:-8
	ds_load_b128 v[19:22], v8
	v_add_nc_u32_e32 v7, 1, v7
	v_add_nc_u32_e32 v8, 16, v8
	;; [unrolled: 1-line block ×3, first 2 shown]
	s_delay_alu instid0(VALU_DEP_3) | instskip(SKIP_4) | instid1(VALU_DEP_2)
	v_cmp_lt_u32_e32 vcc_lo, 20, v7
	s_or_b32 s3, vcc_lo, s3
	s_waitcnt vmcnt(0) lgkmcnt(0)
	v_mul_f64 v[10:11], v[21:22], v[17:18]
	v_mul_f64 v[17:18], v[19:20], v[17:18]
	v_fma_f64 v[10:11], v[19:20], v[15:16], -v[10:11]
	s_delay_alu instid0(VALU_DEP_2) | instskip(NEXT) | instid1(VALU_DEP_2)
	v_fma_f64 v[15:16], v[21:22], v[15:16], v[17:18]
	v_add_f64 v[3:4], v[3:4], v[10:11]
	s_delay_alu instid0(VALU_DEP_2)
	v_add_f64 v[1:2], v[1:2], v[15:16]
	s_and_not1_b32 exec_lo, exec_lo, s3
	s_cbranch_execnz .LBB41_101
; %bb.102:
	s_or_b32 exec_lo, exec_lo, s3
	v_mov_b32_e32 v7, 0
	ds_load_b128 v[7:10], v7 offset:352
	s_waitcnt lgkmcnt(0)
	v_mul_f64 v[11:12], v[1:2], v[9:10]
	v_mul_f64 v[15:16], v[3:4], v[9:10]
	s_delay_alu instid0(VALU_DEP_2) | instskip(NEXT) | instid1(VALU_DEP_2)
	v_fma_f64 v[9:10], v[3:4], v[7:8], -v[11:12]
	v_fma_f64 v[11:12], v[1:2], v[7:8], v[15:16]
	scratch_store_b128 off, v[9:12], off offset:352
.LBB41_103:
	s_or_b32 exec_lo, exec_lo, s2
	s_waitcnt_vscnt null, 0x0
	s_barrier
	buffer_gl0_inv
	scratch_load_b128 v[1:4], v146, off
	s_mov_b32 s2, exec_lo
	s_waitcnt vmcnt(0)
	ds_store_b128 v5, v[1:4]
	s_waitcnt lgkmcnt(0)
	s_barrier
	buffer_gl0_inv
	v_cmpx_gt_u32_e32 23, v126
	s_cbranch_execz .LBB41_107
; %bb.104:
	v_dual_mov_b32 v1, 0 :: v_dual_add_nc_u32 v8, 0x2a0, v13
	v_dual_mov_b32 v2, 0 :: v_dual_add_nc_u32 v7, -1, v126
	v_or_b32_e32 v9, 8, v14
	s_mov_b32 s3, 0
	s_delay_alu instid0(VALU_DEP_2)
	v_dual_mov_b32 v4, v2 :: v_dual_mov_b32 v3, v1
	.p2align	6
.LBB41_105:                             ; =>This Inner Loop Header: Depth=1
	scratch_load_b128 v[15:18], v9, off offset:-8
	ds_load_b128 v[19:22], v8
	v_add_nc_u32_e32 v7, 1, v7
	v_add_nc_u32_e32 v8, 16, v8
	;; [unrolled: 1-line block ×3, first 2 shown]
	s_delay_alu instid0(VALU_DEP_3) | instskip(SKIP_4) | instid1(VALU_DEP_2)
	v_cmp_lt_u32_e32 vcc_lo, 21, v7
	s_or_b32 s3, vcc_lo, s3
	s_waitcnt vmcnt(0) lgkmcnt(0)
	v_mul_f64 v[10:11], v[21:22], v[17:18]
	v_mul_f64 v[17:18], v[19:20], v[17:18]
	v_fma_f64 v[10:11], v[19:20], v[15:16], -v[10:11]
	s_delay_alu instid0(VALU_DEP_2) | instskip(NEXT) | instid1(VALU_DEP_2)
	v_fma_f64 v[15:16], v[21:22], v[15:16], v[17:18]
	v_add_f64 v[3:4], v[3:4], v[10:11]
	s_delay_alu instid0(VALU_DEP_2)
	v_add_f64 v[1:2], v[1:2], v[15:16]
	s_and_not1_b32 exec_lo, exec_lo, s3
	s_cbranch_execnz .LBB41_105
; %bb.106:
	s_or_b32 exec_lo, exec_lo, s3
	v_mov_b32_e32 v7, 0
	ds_load_b128 v[7:10], v7 offset:368
	s_waitcnt lgkmcnt(0)
	v_mul_f64 v[11:12], v[1:2], v[9:10]
	v_mul_f64 v[15:16], v[3:4], v[9:10]
	s_delay_alu instid0(VALU_DEP_2) | instskip(NEXT) | instid1(VALU_DEP_2)
	v_fma_f64 v[9:10], v[3:4], v[7:8], -v[11:12]
	v_fma_f64 v[11:12], v[1:2], v[7:8], v[15:16]
	scratch_store_b128 off, v[9:12], off offset:368
.LBB41_107:
	s_or_b32 exec_lo, exec_lo, s2
	s_waitcnt_vscnt null, 0x0
	s_barrier
	buffer_gl0_inv
	scratch_load_b128 v[1:4], v144, off
	s_mov_b32 s2, exec_lo
	s_waitcnt vmcnt(0)
	ds_store_b128 v5, v[1:4]
	s_waitcnt lgkmcnt(0)
	s_barrier
	buffer_gl0_inv
	v_cmpx_gt_u32_e32 24, v126
	s_cbranch_execz .LBB41_111
; %bb.108:
	v_dual_mov_b32 v1, 0 :: v_dual_add_nc_u32 v8, 0x2a0, v13
	v_dual_mov_b32 v2, 0 :: v_dual_add_nc_u32 v7, -1, v126
	v_or_b32_e32 v9, 8, v14
	s_mov_b32 s3, 0
	s_delay_alu instid0(VALU_DEP_2)
	v_dual_mov_b32 v4, v2 :: v_dual_mov_b32 v3, v1
	.p2align	6
.LBB41_109:                             ; =>This Inner Loop Header: Depth=1
	scratch_load_b128 v[15:18], v9, off offset:-8
	ds_load_b128 v[19:22], v8
	v_add_nc_u32_e32 v7, 1, v7
	v_add_nc_u32_e32 v8, 16, v8
	;; [unrolled: 1-line block ×3, first 2 shown]
	s_delay_alu instid0(VALU_DEP_3) | instskip(SKIP_4) | instid1(VALU_DEP_2)
	v_cmp_lt_u32_e32 vcc_lo, 22, v7
	s_or_b32 s3, vcc_lo, s3
	s_waitcnt vmcnt(0) lgkmcnt(0)
	v_mul_f64 v[10:11], v[21:22], v[17:18]
	v_mul_f64 v[17:18], v[19:20], v[17:18]
	v_fma_f64 v[10:11], v[19:20], v[15:16], -v[10:11]
	s_delay_alu instid0(VALU_DEP_2) | instskip(NEXT) | instid1(VALU_DEP_2)
	v_fma_f64 v[15:16], v[21:22], v[15:16], v[17:18]
	v_add_f64 v[3:4], v[3:4], v[10:11]
	s_delay_alu instid0(VALU_DEP_2)
	v_add_f64 v[1:2], v[1:2], v[15:16]
	s_and_not1_b32 exec_lo, exec_lo, s3
	s_cbranch_execnz .LBB41_109
; %bb.110:
	s_or_b32 exec_lo, exec_lo, s3
	v_mov_b32_e32 v7, 0
	ds_load_b128 v[7:10], v7 offset:384
	s_waitcnt lgkmcnt(0)
	v_mul_f64 v[11:12], v[1:2], v[9:10]
	v_mul_f64 v[15:16], v[3:4], v[9:10]
	s_delay_alu instid0(VALU_DEP_2) | instskip(NEXT) | instid1(VALU_DEP_2)
	v_fma_f64 v[9:10], v[3:4], v[7:8], -v[11:12]
	v_fma_f64 v[11:12], v[1:2], v[7:8], v[15:16]
	scratch_store_b128 off, v[9:12], off offset:384
.LBB41_111:
	s_or_b32 exec_lo, exec_lo, s2
	s_waitcnt_vscnt null, 0x0
	s_barrier
	buffer_gl0_inv
	scratch_load_b128 v[1:4], v143, off
	s_mov_b32 s2, exec_lo
	s_waitcnt vmcnt(0)
	ds_store_b128 v5, v[1:4]
	s_waitcnt lgkmcnt(0)
	s_barrier
	buffer_gl0_inv
	v_cmpx_gt_u32_e32 25, v126
	s_cbranch_execz .LBB41_115
; %bb.112:
	v_dual_mov_b32 v1, 0 :: v_dual_add_nc_u32 v8, 0x2a0, v13
	v_dual_mov_b32 v2, 0 :: v_dual_add_nc_u32 v7, -1, v126
	v_or_b32_e32 v9, 8, v14
	s_mov_b32 s3, 0
	s_delay_alu instid0(VALU_DEP_2)
	v_dual_mov_b32 v4, v2 :: v_dual_mov_b32 v3, v1
	.p2align	6
.LBB41_113:                             ; =>This Inner Loop Header: Depth=1
	scratch_load_b128 v[15:18], v9, off offset:-8
	ds_load_b128 v[19:22], v8
	v_add_nc_u32_e32 v7, 1, v7
	v_add_nc_u32_e32 v8, 16, v8
	;; [unrolled: 1-line block ×3, first 2 shown]
	s_delay_alu instid0(VALU_DEP_3) | instskip(SKIP_4) | instid1(VALU_DEP_2)
	v_cmp_lt_u32_e32 vcc_lo, 23, v7
	s_or_b32 s3, vcc_lo, s3
	s_waitcnt vmcnt(0) lgkmcnt(0)
	v_mul_f64 v[10:11], v[21:22], v[17:18]
	v_mul_f64 v[17:18], v[19:20], v[17:18]
	v_fma_f64 v[10:11], v[19:20], v[15:16], -v[10:11]
	s_delay_alu instid0(VALU_DEP_2) | instskip(NEXT) | instid1(VALU_DEP_2)
	v_fma_f64 v[15:16], v[21:22], v[15:16], v[17:18]
	v_add_f64 v[3:4], v[3:4], v[10:11]
	s_delay_alu instid0(VALU_DEP_2)
	v_add_f64 v[1:2], v[1:2], v[15:16]
	s_and_not1_b32 exec_lo, exec_lo, s3
	s_cbranch_execnz .LBB41_113
; %bb.114:
	s_or_b32 exec_lo, exec_lo, s3
	v_mov_b32_e32 v7, 0
	ds_load_b128 v[7:10], v7 offset:400
	s_waitcnt lgkmcnt(0)
	v_mul_f64 v[11:12], v[1:2], v[9:10]
	v_mul_f64 v[15:16], v[3:4], v[9:10]
	s_delay_alu instid0(VALU_DEP_2) | instskip(NEXT) | instid1(VALU_DEP_2)
	v_fma_f64 v[9:10], v[3:4], v[7:8], -v[11:12]
	v_fma_f64 v[11:12], v[1:2], v[7:8], v[15:16]
	scratch_store_b128 off, v[9:12], off offset:400
.LBB41_115:
	s_or_b32 exec_lo, exec_lo, s2
	s_waitcnt_vscnt null, 0x0
	s_barrier
	buffer_gl0_inv
	scratch_load_b128 v[1:4], v141, off
	s_mov_b32 s2, exec_lo
	s_waitcnt vmcnt(0)
	ds_store_b128 v5, v[1:4]
	s_waitcnt lgkmcnt(0)
	s_barrier
	buffer_gl0_inv
	v_cmpx_gt_u32_e32 26, v126
	s_cbranch_execz .LBB41_119
; %bb.116:
	v_dual_mov_b32 v1, 0 :: v_dual_add_nc_u32 v8, 0x2a0, v13
	v_dual_mov_b32 v2, 0 :: v_dual_add_nc_u32 v7, -1, v126
	v_or_b32_e32 v9, 8, v14
	s_mov_b32 s3, 0
	s_delay_alu instid0(VALU_DEP_2)
	v_dual_mov_b32 v4, v2 :: v_dual_mov_b32 v3, v1
	.p2align	6
.LBB41_117:                             ; =>This Inner Loop Header: Depth=1
	scratch_load_b128 v[15:18], v9, off offset:-8
	ds_load_b128 v[19:22], v8
	v_add_nc_u32_e32 v7, 1, v7
	v_add_nc_u32_e32 v8, 16, v8
	;; [unrolled: 1-line block ×3, first 2 shown]
	s_delay_alu instid0(VALU_DEP_3) | instskip(SKIP_4) | instid1(VALU_DEP_2)
	v_cmp_lt_u32_e32 vcc_lo, 24, v7
	s_or_b32 s3, vcc_lo, s3
	s_waitcnt vmcnt(0) lgkmcnt(0)
	v_mul_f64 v[10:11], v[21:22], v[17:18]
	v_mul_f64 v[17:18], v[19:20], v[17:18]
	v_fma_f64 v[10:11], v[19:20], v[15:16], -v[10:11]
	s_delay_alu instid0(VALU_DEP_2) | instskip(NEXT) | instid1(VALU_DEP_2)
	v_fma_f64 v[15:16], v[21:22], v[15:16], v[17:18]
	v_add_f64 v[3:4], v[3:4], v[10:11]
	s_delay_alu instid0(VALU_DEP_2)
	v_add_f64 v[1:2], v[1:2], v[15:16]
	s_and_not1_b32 exec_lo, exec_lo, s3
	s_cbranch_execnz .LBB41_117
; %bb.118:
	s_or_b32 exec_lo, exec_lo, s3
	v_mov_b32_e32 v7, 0
	ds_load_b128 v[7:10], v7 offset:416
	s_waitcnt lgkmcnt(0)
	v_mul_f64 v[11:12], v[1:2], v[9:10]
	v_mul_f64 v[15:16], v[3:4], v[9:10]
	s_delay_alu instid0(VALU_DEP_2) | instskip(NEXT) | instid1(VALU_DEP_2)
	v_fma_f64 v[9:10], v[3:4], v[7:8], -v[11:12]
	v_fma_f64 v[11:12], v[1:2], v[7:8], v[15:16]
	scratch_store_b128 off, v[9:12], off offset:416
.LBB41_119:
	s_or_b32 exec_lo, exec_lo, s2
	s_waitcnt_vscnt null, 0x0
	s_barrier
	buffer_gl0_inv
	scratch_load_b128 v[1:4], v142, off
	s_mov_b32 s2, exec_lo
	s_waitcnt vmcnt(0)
	ds_store_b128 v5, v[1:4]
	s_waitcnt lgkmcnt(0)
	s_barrier
	buffer_gl0_inv
	v_cmpx_gt_u32_e32 27, v126
	s_cbranch_execz .LBB41_123
; %bb.120:
	v_dual_mov_b32 v1, 0 :: v_dual_add_nc_u32 v8, 0x2a0, v13
	v_dual_mov_b32 v2, 0 :: v_dual_add_nc_u32 v7, -1, v126
	v_or_b32_e32 v9, 8, v14
	s_mov_b32 s3, 0
	s_delay_alu instid0(VALU_DEP_2)
	v_dual_mov_b32 v4, v2 :: v_dual_mov_b32 v3, v1
	.p2align	6
.LBB41_121:                             ; =>This Inner Loop Header: Depth=1
	scratch_load_b128 v[15:18], v9, off offset:-8
	ds_load_b128 v[19:22], v8
	v_add_nc_u32_e32 v7, 1, v7
	v_add_nc_u32_e32 v8, 16, v8
	;; [unrolled: 1-line block ×3, first 2 shown]
	s_delay_alu instid0(VALU_DEP_3) | instskip(SKIP_4) | instid1(VALU_DEP_2)
	v_cmp_lt_u32_e32 vcc_lo, 25, v7
	s_or_b32 s3, vcc_lo, s3
	s_waitcnt vmcnt(0) lgkmcnt(0)
	v_mul_f64 v[10:11], v[21:22], v[17:18]
	v_mul_f64 v[17:18], v[19:20], v[17:18]
	v_fma_f64 v[10:11], v[19:20], v[15:16], -v[10:11]
	s_delay_alu instid0(VALU_DEP_2) | instskip(NEXT) | instid1(VALU_DEP_2)
	v_fma_f64 v[15:16], v[21:22], v[15:16], v[17:18]
	v_add_f64 v[3:4], v[3:4], v[10:11]
	s_delay_alu instid0(VALU_DEP_2)
	v_add_f64 v[1:2], v[1:2], v[15:16]
	s_and_not1_b32 exec_lo, exec_lo, s3
	s_cbranch_execnz .LBB41_121
; %bb.122:
	s_or_b32 exec_lo, exec_lo, s3
	v_mov_b32_e32 v7, 0
	ds_load_b128 v[7:10], v7 offset:432
	s_waitcnt lgkmcnt(0)
	v_mul_f64 v[11:12], v[1:2], v[9:10]
	v_mul_f64 v[15:16], v[3:4], v[9:10]
	s_delay_alu instid0(VALU_DEP_2) | instskip(NEXT) | instid1(VALU_DEP_2)
	v_fma_f64 v[9:10], v[3:4], v[7:8], -v[11:12]
	v_fma_f64 v[11:12], v[1:2], v[7:8], v[15:16]
	scratch_store_b128 off, v[9:12], off offset:432
.LBB41_123:
	s_or_b32 exec_lo, exec_lo, s2
	s_waitcnt_vscnt null, 0x0
	s_barrier
	buffer_gl0_inv
	scratch_load_b128 v[1:4], v139, off
	s_mov_b32 s2, exec_lo
	s_waitcnt vmcnt(0)
	ds_store_b128 v5, v[1:4]
	s_waitcnt lgkmcnt(0)
	s_barrier
	buffer_gl0_inv
	v_cmpx_gt_u32_e32 28, v126
	s_cbranch_execz .LBB41_127
; %bb.124:
	v_dual_mov_b32 v1, 0 :: v_dual_add_nc_u32 v8, 0x2a0, v13
	v_dual_mov_b32 v2, 0 :: v_dual_add_nc_u32 v7, -1, v126
	v_or_b32_e32 v9, 8, v14
	s_mov_b32 s3, 0
	s_delay_alu instid0(VALU_DEP_2)
	v_dual_mov_b32 v4, v2 :: v_dual_mov_b32 v3, v1
	.p2align	6
.LBB41_125:                             ; =>This Inner Loop Header: Depth=1
	scratch_load_b128 v[15:18], v9, off offset:-8
	ds_load_b128 v[19:22], v8
	v_add_nc_u32_e32 v7, 1, v7
	v_add_nc_u32_e32 v8, 16, v8
	;; [unrolled: 1-line block ×3, first 2 shown]
	s_delay_alu instid0(VALU_DEP_3) | instskip(SKIP_4) | instid1(VALU_DEP_2)
	v_cmp_lt_u32_e32 vcc_lo, 26, v7
	s_or_b32 s3, vcc_lo, s3
	s_waitcnt vmcnt(0) lgkmcnt(0)
	v_mul_f64 v[10:11], v[21:22], v[17:18]
	v_mul_f64 v[17:18], v[19:20], v[17:18]
	v_fma_f64 v[10:11], v[19:20], v[15:16], -v[10:11]
	s_delay_alu instid0(VALU_DEP_2) | instskip(NEXT) | instid1(VALU_DEP_2)
	v_fma_f64 v[15:16], v[21:22], v[15:16], v[17:18]
	v_add_f64 v[3:4], v[3:4], v[10:11]
	s_delay_alu instid0(VALU_DEP_2)
	v_add_f64 v[1:2], v[1:2], v[15:16]
	s_and_not1_b32 exec_lo, exec_lo, s3
	s_cbranch_execnz .LBB41_125
; %bb.126:
	s_or_b32 exec_lo, exec_lo, s3
	v_mov_b32_e32 v7, 0
	ds_load_b128 v[7:10], v7 offset:448
	s_waitcnt lgkmcnt(0)
	v_mul_f64 v[11:12], v[1:2], v[9:10]
	v_mul_f64 v[15:16], v[3:4], v[9:10]
	s_delay_alu instid0(VALU_DEP_2) | instskip(NEXT) | instid1(VALU_DEP_2)
	v_fma_f64 v[9:10], v[3:4], v[7:8], -v[11:12]
	v_fma_f64 v[11:12], v[1:2], v[7:8], v[15:16]
	scratch_store_b128 off, v[9:12], off offset:448
.LBB41_127:
	s_or_b32 exec_lo, exec_lo, s2
	s_waitcnt_vscnt null, 0x0
	s_barrier
	buffer_gl0_inv
	scratch_load_b128 v[1:4], v138, off
	s_mov_b32 s2, exec_lo
	s_waitcnt vmcnt(0)
	ds_store_b128 v5, v[1:4]
	s_waitcnt lgkmcnt(0)
	s_barrier
	buffer_gl0_inv
	v_cmpx_gt_u32_e32 29, v126
	s_cbranch_execz .LBB41_131
; %bb.128:
	v_dual_mov_b32 v1, 0 :: v_dual_add_nc_u32 v8, 0x2a0, v13
	v_dual_mov_b32 v2, 0 :: v_dual_add_nc_u32 v7, -1, v126
	v_or_b32_e32 v9, 8, v14
	s_mov_b32 s3, 0
	s_delay_alu instid0(VALU_DEP_2)
	v_dual_mov_b32 v4, v2 :: v_dual_mov_b32 v3, v1
	.p2align	6
.LBB41_129:                             ; =>This Inner Loop Header: Depth=1
	scratch_load_b128 v[15:18], v9, off offset:-8
	ds_load_b128 v[19:22], v8
	v_add_nc_u32_e32 v7, 1, v7
	v_add_nc_u32_e32 v8, 16, v8
	;; [unrolled: 1-line block ×3, first 2 shown]
	s_delay_alu instid0(VALU_DEP_3) | instskip(SKIP_4) | instid1(VALU_DEP_2)
	v_cmp_lt_u32_e32 vcc_lo, 27, v7
	s_or_b32 s3, vcc_lo, s3
	s_waitcnt vmcnt(0) lgkmcnt(0)
	v_mul_f64 v[10:11], v[21:22], v[17:18]
	v_mul_f64 v[17:18], v[19:20], v[17:18]
	v_fma_f64 v[10:11], v[19:20], v[15:16], -v[10:11]
	s_delay_alu instid0(VALU_DEP_2) | instskip(NEXT) | instid1(VALU_DEP_2)
	v_fma_f64 v[15:16], v[21:22], v[15:16], v[17:18]
	v_add_f64 v[3:4], v[3:4], v[10:11]
	s_delay_alu instid0(VALU_DEP_2)
	v_add_f64 v[1:2], v[1:2], v[15:16]
	s_and_not1_b32 exec_lo, exec_lo, s3
	s_cbranch_execnz .LBB41_129
; %bb.130:
	s_or_b32 exec_lo, exec_lo, s3
	v_mov_b32_e32 v7, 0
	ds_load_b128 v[7:10], v7 offset:464
	s_waitcnt lgkmcnt(0)
	v_mul_f64 v[11:12], v[1:2], v[9:10]
	v_mul_f64 v[15:16], v[3:4], v[9:10]
	s_delay_alu instid0(VALU_DEP_2) | instskip(NEXT) | instid1(VALU_DEP_2)
	v_fma_f64 v[9:10], v[3:4], v[7:8], -v[11:12]
	v_fma_f64 v[11:12], v[1:2], v[7:8], v[15:16]
	scratch_store_b128 off, v[9:12], off offset:464
.LBB41_131:
	s_or_b32 exec_lo, exec_lo, s2
	s_waitcnt_vscnt null, 0x0
	s_barrier
	buffer_gl0_inv
	scratch_load_b128 v[1:4], v130, off
	s_mov_b32 s2, exec_lo
	s_waitcnt vmcnt(0)
	ds_store_b128 v5, v[1:4]
	s_waitcnt lgkmcnt(0)
	s_barrier
	buffer_gl0_inv
	v_cmpx_gt_u32_e32 30, v126
	s_cbranch_execz .LBB41_135
; %bb.132:
	v_dual_mov_b32 v1, 0 :: v_dual_add_nc_u32 v8, 0x2a0, v13
	v_dual_mov_b32 v2, 0 :: v_dual_add_nc_u32 v7, -1, v126
	v_or_b32_e32 v9, 8, v14
	s_mov_b32 s3, 0
	s_delay_alu instid0(VALU_DEP_2)
	v_dual_mov_b32 v4, v2 :: v_dual_mov_b32 v3, v1
	.p2align	6
.LBB41_133:                             ; =>This Inner Loop Header: Depth=1
	scratch_load_b128 v[15:18], v9, off offset:-8
	ds_load_b128 v[19:22], v8
	v_add_nc_u32_e32 v7, 1, v7
	v_add_nc_u32_e32 v8, 16, v8
	;; [unrolled: 1-line block ×3, first 2 shown]
	s_delay_alu instid0(VALU_DEP_3) | instskip(SKIP_4) | instid1(VALU_DEP_2)
	v_cmp_lt_u32_e32 vcc_lo, 28, v7
	s_or_b32 s3, vcc_lo, s3
	s_waitcnt vmcnt(0) lgkmcnt(0)
	v_mul_f64 v[10:11], v[21:22], v[17:18]
	v_mul_f64 v[17:18], v[19:20], v[17:18]
	v_fma_f64 v[10:11], v[19:20], v[15:16], -v[10:11]
	s_delay_alu instid0(VALU_DEP_2) | instskip(NEXT) | instid1(VALU_DEP_2)
	v_fma_f64 v[15:16], v[21:22], v[15:16], v[17:18]
	v_add_f64 v[3:4], v[3:4], v[10:11]
	s_delay_alu instid0(VALU_DEP_2)
	v_add_f64 v[1:2], v[1:2], v[15:16]
	s_and_not1_b32 exec_lo, exec_lo, s3
	s_cbranch_execnz .LBB41_133
; %bb.134:
	s_or_b32 exec_lo, exec_lo, s3
	v_mov_b32_e32 v7, 0
	ds_load_b128 v[7:10], v7 offset:480
	s_waitcnt lgkmcnt(0)
	v_mul_f64 v[11:12], v[1:2], v[9:10]
	v_mul_f64 v[15:16], v[3:4], v[9:10]
	s_delay_alu instid0(VALU_DEP_2) | instskip(NEXT) | instid1(VALU_DEP_2)
	v_fma_f64 v[9:10], v[3:4], v[7:8], -v[11:12]
	v_fma_f64 v[11:12], v[1:2], v[7:8], v[15:16]
	scratch_store_b128 off, v[9:12], off offset:480
.LBB41_135:
	s_or_b32 exec_lo, exec_lo, s2
	s_waitcnt_vscnt null, 0x0
	s_barrier
	buffer_gl0_inv
	scratch_load_b128 v[1:4], v131, off
	s_mov_b32 s2, exec_lo
	s_waitcnt vmcnt(0)
	ds_store_b128 v5, v[1:4]
	s_waitcnt lgkmcnt(0)
	s_barrier
	buffer_gl0_inv
	v_cmpx_gt_u32_e32 31, v126
	s_cbranch_execz .LBB41_139
; %bb.136:
	v_dual_mov_b32 v1, 0 :: v_dual_add_nc_u32 v8, 0x2a0, v13
	v_dual_mov_b32 v2, 0 :: v_dual_add_nc_u32 v7, -1, v126
	v_or_b32_e32 v9, 8, v14
	s_mov_b32 s3, 0
	s_delay_alu instid0(VALU_DEP_2)
	v_dual_mov_b32 v4, v2 :: v_dual_mov_b32 v3, v1
	.p2align	6
.LBB41_137:                             ; =>This Inner Loop Header: Depth=1
	scratch_load_b128 v[15:18], v9, off offset:-8
	ds_load_b128 v[19:22], v8
	v_add_nc_u32_e32 v7, 1, v7
	v_add_nc_u32_e32 v8, 16, v8
	;; [unrolled: 1-line block ×3, first 2 shown]
	s_delay_alu instid0(VALU_DEP_3) | instskip(SKIP_4) | instid1(VALU_DEP_2)
	v_cmp_lt_u32_e32 vcc_lo, 29, v7
	s_or_b32 s3, vcc_lo, s3
	s_waitcnt vmcnt(0) lgkmcnt(0)
	v_mul_f64 v[10:11], v[21:22], v[17:18]
	v_mul_f64 v[17:18], v[19:20], v[17:18]
	v_fma_f64 v[10:11], v[19:20], v[15:16], -v[10:11]
	s_delay_alu instid0(VALU_DEP_2) | instskip(NEXT) | instid1(VALU_DEP_2)
	v_fma_f64 v[15:16], v[21:22], v[15:16], v[17:18]
	v_add_f64 v[3:4], v[3:4], v[10:11]
	s_delay_alu instid0(VALU_DEP_2)
	v_add_f64 v[1:2], v[1:2], v[15:16]
	s_and_not1_b32 exec_lo, exec_lo, s3
	s_cbranch_execnz .LBB41_137
; %bb.138:
	s_or_b32 exec_lo, exec_lo, s3
	v_mov_b32_e32 v7, 0
	ds_load_b128 v[7:10], v7 offset:496
	s_waitcnt lgkmcnt(0)
	v_mul_f64 v[11:12], v[1:2], v[9:10]
	v_mul_f64 v[15:16], v[3:4], v[9:10]
	s_delay_alu instid0(VALU_DEP_2) | instskip(NEXT) | instid1(VALU_DEP_2)
	v_fma_f64 v[9:10], v[3:4], v[7:8], -v[11:12]
	v_fma_f64 v[11:12], v[1:2], v[7:8], v[15:16]
	scratch_store_b128 off, v[9:12], off offset:496
.LBB41_139:
	s_or_b32 exec_lo, exec_lo, s2
	s_waitcnt_vscnt null, 0x0
	s_barrier
	buffer_gl0_inv
	scratch_load_b128 v[1:4], v129, off
	s_mov_b32 s2, exec_lo
	s_waitcnt vmcnt(0)
	ds_store_b128 v5, v[1:4]
	s_waitcnt lgkmcnt(0)
	s_barrier
	buffer_gl0_inv
	v_cmpx_gt_u32_e32 32, v126
	s_cbranch_execz .LBB41_143
; %bb.140:
	v_dual_mov_b32 v1, 0 :: v_dual_add_nc_u32 v8, 0x2a0, v13
	v_dual_mov_b32 v2, 0 :: v_dual_add_nc_u32 v7, -1, v126
	v_or_b32_e32 v9, 8, v14
	s_mov_b32 s3, 0
	s_delay_alu instid0(VALU_DEP_2)
	v_dual_mov_b32 v4, v2 :: v_dual_mov_b32 v3, v1
	.p2align	6
.LBB41_141:                             ; =>This Inner Loop Header: Depth=1
	scratch_load_b128 v[15:18], v9, off offset:-8
	ds_load_b128 v[19:22], v8
	v_add_nc_u32_e32 v7, 1, v7
	v_add_nc_u32_e32 v8, 16, v8
	v_add_nc_u32_e32 v9, 16, v9
	s_delay_alu instid0(VALU_DEP_3) | instskip(SKIP_4) | instid1(VALU_DEP_2)
	v_cmp_lt_u32_e32 vcc_lo, 30, v7
	s_or_b32 s3, vcc_lo, s3
	s_waitcnt vmcnt(0) lgkmcnt(0)
	v_mul_f64 v[10:11], v[21:22], v[17:18]
	v_mul_f64 v[17:18], v[19:20], v[17:18]
	v_fma_f64 v[10:11], v[19:20], v[15:16], -v[10:11]
	s_delay_alu instid0(VALU_DEP_2) | instskip(NEXT) | instid1(VALU_DEP_2)
	v_fma_f64 v[15:16], v[21:22], v[15:16], v[17:18]
	v_add_f64 v[3:4], v[3:4], v[10:11]
	s_delay_alu instid0(VALU_DEP_2)
	v_add_f64 v[1:2], v[1:2], v[15:16]
	s_and_not1_b32 exec_lo, exec_lo, s3
	s_cbranch_execnz .LBB41_141
; %bb.142:
	s_or_b32 exec_lo, exec_lo, s3
	v_mov_b32_e32 v7, 0
	ds_load_b128 v[7:10], v7 offset:512
	s_waitcnt lgkmcnt(0)
	v_mul_f64 v[11:12], v[1:2], v[9:10]
	v_mul_f64 v[15:16], v[3:4], v[9:10]
	s_delay_alu instid0(VALU_DEP_2) | instskip(NEXT) | instid1(VALU_DEP_2)
	v_fma_f64 v[9:10], v[3:4], v[7:8], -v[11:12]
	v_fma_f64 v[11:12], v[1:2], v[7:8], v[15:16]
	scratch_store_b128 off, v[9:12], off offset:512
.LBB41_143:
	s_or_b32 exec_lo, exec_lo, s2
	s_waitcnt_vscnt null, 0x0
	s_barrier
	buffer_gl0_inv
	scratch_load_b128 v[1:4], v128, off
	s_mov_b32 s2, exec_lo
	s_waitcnt vmcnt(0)
	ds_store_b128 v5, v[1:4]
	s_waitcnt lgkmcnt(0)
	s_barrier
	buffer_gl0_inv
	v_cmpx_gt_u32_e32 33, v126
	s_cbranch_execz .LBB41_147
; %bb.144:
	v_dual_mov_b32 v1, 0 :: v_dual_add_nc_u32 v8, 0x2a0, v13
	v_dual_mov_b32 v2, 0 :: v_dual_add_nc_u32 v7, -1, v126
	v_or_b32_e32 v9, 8, v14
	s_mov_b32 s3, 0
	s_delay_alu instid0(VALU_DEP_2)
	v_dual_mov_b32 v4, v2 :: v_dual_mov_b32 v3, v1
	.p2align	6
.LBB41_145:                             ; =>This Inner Loop Header: Depth=1
	scratch_load_b128 v[15:18], v9, off offset:-8
	ds_load_b128 v[19:22], v8
	v_add_nc_u32_e32 v7, 1, v7
	v_add_nc_u32_e32 v8, 16, v8
	;; [unrolled: 1-line block ×3, first 2 shown]
	s_delay_alu instid0(VALU_DEP_3) | instskip(SKIP_4) | instid1(VALU_DEP_2)
	v_cmp_lt_u32_e32 vcc_lo, 31, v7
	s_or_b32 s3, vcc_lo, s3
	s_waitcnt vmcnt(0) lgkmcnt(0)
	v_mul_f64 v[10:11], v[21:22], v[17:18]
	v_mul_f64 v[17:18], v[19:20], v[17:18]
	v_fma_f64 v[10:11], v[19:20], v[15:16], -v[10:11]
	s_delay_alu instid0(VALU_DEP_2) | instskip(NEXT) | instid1(VALU_DEP_2)
	v_fma_f64 v[15:16], v[21:22], v[15:16], v[17:18]
	v_add_f64 v[3:4], v[3:4], v[10:11]
	s_delay_alu instid0(VALU_DEP_2)
	v_add_f64 v[1:2], v[1:2], v[15:16]
	s_and_not1_b32 exec_lo, exec_lo, s3
	s_cbranch_execnz .LBB41_145
; %bb.146:
	s_or_b32 exec_lo, exec_lo, s3
	v_mov_b32_e32 v7, 0
	ds_load_b128 v[7:10], v7 offset:528
	s_waitcnt lgkmcnt(0)
	v_mul_f64 v[11:12], v[1:2], v[9:10]
	v_mul_f64 v[15:16], v[3:4], v[9:10]
	s_delay_alu instid0(VALU_DEP_2) | instskip(NEXT) | instid1(VALU_DEP_2)
	v_fma_f64 v[9:10], v[3:4], v[7:8], -v[11:12]
	v_fma_f64 v[11:12], v[1:2], v[7:8], v[15:16]
	scratch_store_b128 off, v[9:12], off offset:528
.LBB41_147:
	s_or_b32 exec_lo, exec_lo, s2
	s_waitcnt_vscnt null, 0x0
	s_barrier
	buffer_gl0_inv
	scratch_load_b128 v[1:4], v127, off
	s_mov_b32 s2, exec_lo
	s_waitcnt vmcnt(0)
	ds_store_b128 v5, v[1:4]
	s_waitcnt lgkmcnt(0)
	s_barrier
	buffer_gl0_inv
	v_cmpx_gt_u32_e32 34, v126
	s_cbranch_execz .LBB41_151
; %bb.148:
	v_dual_mov_b32 v1, 0 :: v_dual_add_nc_u32 v8, 0x2a0, v13
	v_dual_mov_b32 v2, 0 :: v_dual_add_nc_u32 v7, -1, v126
	v_or_b32_e32 v9, 8, v14
	s_mov_b32 s3, 0
	s_delay_alu instid0(VALU_DEP_2)
	v_dual_mov_b32 v4, v2 :: v_dual_mov_b32 v3, v1
	.p2align	6
.LBB41_149:                             ; =>This Inner Loop Header: Depth=1
	scratch_load_b128 v[15:18], v9, off offset:-8
	ds_load_b128 v[19:22], v8
	v_add_nc_u32_e32 v7, 1, v7
	v_add_nc_u32_e32 v8, 16, v8
	v_add_nc_u32_e32 v9, 16, v9
	s_delay_alu instid0(VALU_DEP_3) | instskip(SKIP_4) | instid1(VALU_DEP_2)
	v_cmp_lt_u32_e32 vcc_lo, 32, v7
	s_or_b32 s3, vcc_lo, s3
	s_waitcnt vmcnt(0) lgkmcnt(0)
	v_mul_f64 v[10:11], v[21:22], v[17:18]
	v_mul_f64 v[17:18], v[19:20], v[17:18]
	v_fma_f64 v[10:11], v[19:20], v[15:16], -v[10:11]
	s_delay_alu instid0(VALU_DEP_2) | instskip(NEXT) | instid1(VALU_DEP_2)
	v_fma_f64 v[15:16], v[21:22], v[15:16], v[17:18]
	v_add_f64 v[3:4], v[3:4], v[10:11]
	s_delay_alu instid0(VALU_DEP_2)
	v_add_f64 v[1:2], v[1:2], v[15:16]
	s_and_not1_b32 exec_lo, exec_lo, s3
	s_cbranch_execnz .LBB41_149
; %bb.150:
	s_or_b32 exec_lo, exec_lo, s3
	v_mov_b32_e32 v7, 0
	ds_load_b128 v[7:10], v7 offset:544
	s_waitcnt lgkmcnt(0)
	v_mul_f64 v[11:12], v[1:2], v[9:10]
	v_mul_f64 v[15:16], v[3:4], v[9:10]
	s_delay_alu instid0(VALU_DEP_2) | instskip(NEXT) | instid1(VALU_DEP_2)
	v_fma_f64 v[9:10], v[3:4], v[7:8], -v[11:12]
	v_fma_f64 v[11:12], v[1:2], v[7:8], v[15:16]
	scratch_store_b128 off, v[9:12], off offset:544
.LBB41_151:
	s_or_b32 exec_lo, exec_lo, s2
	s_waitcnt_vscnt null, 0x0
	s_barrier
	buffer_gl0_inv
	scratch_load_b128 v[1:4], v140, off
	s_mov_b32 s2, exec_lo
	s_waitcnt vmcnt(0)
	ds_store_b128 v5, v[1:4]
	s_waitcnt lgkmcnt(0)
	s_barrier
	buffer_gl0_inv
	v_cmpx_gt_u32_e32 35, v126
	s_cbranch_execz .LBB41_155
; %bb.152:
	v_dual_mov_b32 v1, 0 :: v_dual_add_nc_u32 v8, 0x2a0, v13
	v_dual_mov_b32 v2, 0 :: v_dual_add_nc_u32 v7, -1, v126
	v_or_b32_e32 v9, 8, v14
	s_mov_b32 s3, 0
	s_delay_alu instid0(VALU_DEP_2)
	v_dual_mov_b32 v4, v2 :: v_dual_mov_b32 v3, v1
	.p2align	6
.LBB41_153:                             ; =>This Inner Loop Header: Depth=1
	scratch_load_b128 v[15:18], v9, off offset:-8
	ds_load_b128 v[19:22], v8
	v_add_nc_u32_e32 v7, 1, v7
	v_add_nc_u32_e32 v8, 16, v8
	;; [unrolled: 1-line block ×3, first 2 shown]
	s_delay_alu instid0(VALU_DEP_3) | instskip(SKIP_4) | instid1(VALU_DEP_2)
	v_cmp_lt_u32_e32 vcc_lo, 33, v7
	s_or_b32 s3, vcc_lo, s3
	s_waitcnt vmcnt(0) lgkmcnt(0)
	v_mul_f64 v[10:11], v[21:22], v[17:18]
	v_mul_f64 v[17:18], v[19:20], v[17:18]
	v_fma_f64 v[10:11], v[19:20], v[15:16], -v[10:11]
	s_delay_alu instid0(VALU_DEP_2) | instskip(NEXT) | instid1(VALU_DEP_2)
	v_fma_f64 v[15:16], v[21:22], v[15:16], v[17:18]
	v_add_f64 v[3:4], v[3:4], v[10:11]
	s_delay_alu instid0(VALU_DEP_2)
	v_add_f64 v[1:2], v[1:2], v[15:16]
	s_and_not1_b32 exec_lo, exec_lo, s3
	s_cbranch_execnz .LBB41_153
; %bb.154:
	s_or_b32 exec_lo, exec_lo, s3
	v_mov_b32_e32 v7, 0
	ds_load_b128 v[7:10], v7 offset:560
	s_waitcnt lgkmcnt(0)
	v_mul_f64 v[11:12], v[1:2], v[9:10]
	v_mul_f64 v[15:16], v[3:4], v[9:10]
	s_delay_alu instid0(VALU_DEP_2) | instskip(NEXT) | instid1(VALU_DEP_2)
	v_fma_f64 v[9:10], v[3:4], v[7:8], -v[11:12]
	v_fma_f64 v[11:12], v[1:2], v[7:8], v[15:16]
	scratch_store_b128 off, v[9:12], off offset:560
.LBB41_155:
	s_or_b32 exec_lo, exec_lo, s2
	s_waitcnt_vscnt null, 0x0
	s_barrier
	buffer_gl0_inv
	scratch_load_b128 v[1:4], v137, off
	s_mov_b32 s2, exec_lo
	s_waitcnt vmcnt(0)
	ds_store_b128 v5, v[1:4]
	s_waitcnt lgkmcnt(0)
	s_barrier
	buffer_gl0_inv
	v_cmpx_gt_u32_e32 36, v126
	s_cbranch_execz .LBB41_159
; %bb.156:
	v_dual_mov_b32 v1, 0 :: v_dual_add_nc_u32 v8, 0x2a0, v13
	v_dual_mov_b32 v2, 0 :: v_dual_add_nc_u32 v7, -1, v126
	v_or_b32_e32 v9, 8, v14
	s_mov_b32 s3, 0
	s_delay_alu instid0(VALU_DEP_2)
	v_dual_mov_b32 v4, v2 :: v_dual_mov_b32 v3, v1
	.p2align	6
.LBB41_157:                             ; =>This Inner Loop Header: Depth=1
	scratch_load_b128 v[15:18], v9, off offset:-8
	ds_load_b128 v[19:22], v8
	v_add_nc_u32_e32 v7, 1, v7
	v_add_nc_u32_e32 v8, 16, v8
	;; [unrolled: 1-line block ×3, first 2 shown]
	s_delay_alu instid0(VALU_DEP_3) | instskip(SKIP_4) | instid1(VALU_DEP_2)
	v_cmp_lt_u32_e32 vcc_lo, 34, v7
	s_or_b32 s3, vcc_lo, s3
	s_waitcnt vmcnt(0) lgkmcnt(0)
	v_mul_f64 v[10:11], v[21:22], v[17:18]
	v_mul_f64 v[17:18], v[19:20], v[17:18]
	v_fma_f64 v[10:11], v[19:20], v[15:16], -v[10:11]
	s_delay_alu instid0(VALU_DEP_2) | instskip(NEXT) | instid1(VALU_DEP_2)
	v_fma_f64 v[15:16], v[21:22], v[15:16], v[17:18]
	v_add_f64 v[3:4], v[3:4], v[10:11]
	s_delay_alu instid0(VALU_DEP_2)
	v_add_f64 v[1:2], v[1:2], v[15:16]
	s_and_not1_b32 exec_lo, exec_lo, s3
	s_cbranch_execnz .LBB41_157
; %bb.158:
	s_or_b32 exec_lo, exec_lo, s3
	v_mov_b32_e32 v7, 0
	ds_load_b128 v[7:10], v7 offset:576
	s_waitcnt lgkmcnt(0)
	v_mul_f64 v[11:12], v[1:2], v[9:10]
	v_mul_f64 v[15:16], v[3:4], v[9:10]
	s_delay_alu instid0(VALU_DEP_2) | instskip(NEXT) | instid1(VALU_DEP_2)
	v_fma_f64 v[9:10], v[3:4], v[7:8], -v[11:12]
	v_fma_f64 v[11:12], v[1:2], v[7:8], v[15:16]
	scratch_store_b128 off, v[9:12], off offset:576
.LBB41_159:
	s_or_b32 exec_lo, exec_lo, s2
	s_waitcnt_vscnt null, 0x0
	s_barrier
	buffer_gl0_inv
	scratch_load_b128 v[1:4], v136, off
	s_mov_b32 s2, exec_lo
	s_waitcnt vmcnt(0)
	ds_store_b128 v5, v[1:4]
	s_waitcnt lgkmcnt(0)
	s_barrier
	buffer_gl0_inv
	v_cmpx_gt_u32_e32 37, v126
	s_cbranch_execz .LBB41_163
; %bb.160:
	v_dual_mov_b32 v1, 0 :: v_dual_add_nc_u32 v8, 0x2a0, v13
	v_dual_mov_b32 v2, 0 :: v_dual_add_nc_u32 v7, -1, v126
	v_or_b32_e32 v9, 8, v14
	s_mov_b32 s3, 0
	s_delay_alu instid0(VALU_DEP_2)
	v_dual_mov_b32 v4, v2 :: v_dual_mov_b32 v3, v1
	.p2align	6
.LBB41_161:                             ; =>This Inner Loop Header: Depth=1
	scratch_load_b128 v[15:18], v9, off offset:-8
	ds_load_b128 v[19:22], v8
	v_add_nc_u32_e32 v7, 1, v7
	v_add_nc_u32_e32 v8, 16, v8
	;; [unrolled: 1-line block ×3, first 2 shown]
	s_delay_alu instid0(VALU_DEP_3) | instskip(SKIP_4) | instid1(VALU_DEP_2)
	v_cmp_lt_u32_e32 vcc_lo, 35, v7
	s_or_b32 s3, vcc_lo, s3
	s_waitcnt vmcnt(0) lgkmcnt(0)
	v_mul_f64 v[10:11], v[21:22], v[17:18]
	v_mul_f64 v[17:18], v[19:20], v[17:18]
	v_fma_f64 v[10:11], v[19:20], v[15:16], -v[10:11]
	s_delay_alu instid0(VALU_DEP_2) | instskip(NEXT) | instid1(VALU_DEP_2)
	v_fma_f64 v[15:16], v[21:22], v[15:16], v[17:18]
	v_add_f64 v[3:4], v[3:4], v[10:11]
	s_delay_alu instid0(VALU_DEP_2)
	v_add_f64 v[1:2], v[1:2], v[15:16]
	s_and_not1_b32 exec_lo, exec_lo, s3
	s_cbranch_execnz .LBB41_161
; %bb.162:
	s_or_b32 exec_lo, exec_lo, s3
	v_mov_b32_e32 v7, 0
	ds_load_b128 v[7:10], v7 offset:592
	s_waitcnt lgkmcnt(0)
	v_mul_f64 v[11:12], v[1:2], v[9:10]
	v_mul_f64 v[15:16], v[3:4], v[9:10]
	s_delay_alu instid0(VALU_DEP_2) | instskip(NEXT) | instid1(VALU_DEP_2)
	v_fma_f64 v[9:10], v[3:4], v[7:8], -v[11:12]
	v_fma_f64 v[11:12], v[1:2], v[7:8], v[15:16]
	scratch_store_b128 off, v[9:12], off offset:592
.LBB41_163:
	s_or_b32 exec_lo, exec_lo, s2
	s_waitcnt_vscnt null, 0x0
	s_barrier
	buffer_gl0_inv
	scratch_load_b128 v[1:4], v135, off
	s_mov_b32 s2, exec_lo
	s_waitcnt vmcnt(0)
	ds_store_b128 v5, v[1:4]
	s_waitcnt lgkmcnt(0)
	s_barrier
	buffer_gl0_inv
	v_cmpx_gt_u32_e32 38, v126
	s_cbranch_execz .LBB41_167
; %bb.164:
	v_dual_mov_b32 v1, 0 :: v_dual_add_nc_u32 v8, 0x2a0, v13
	v_dual_mov_b32 v2, 0 :: v_dual_add_nc_u32 v7, -1, v126
	v_or_b32_e32 v9, 8, v14
	s_mov_b32 s3, 0
	s_delay_alu instid0(VALU_DEP_2)
	v_dual_mov_b32 v4, v2 :: v_dual_mov_b32 v3, v1
	.p2align	6
.LBB41_165:                             ; =>This Inner Loop Header: Depth=1
	scratch_load_b128 v[15:18], v9, off offset:-8
	ds_load_b128 v[19:22], v8
	v_add_nc_u32_e32 v7, 1, v7
	v_add_nc_u32_e32 v8, 16, v8
	;; [unrolled: 1-line block ×3, first 2 shown]
	s_delay_alu instid0(VALU_DEP_3) | instskip(SKIP_4) | instid1(VALU_DEP_2)
	v_cmp_lt_u32_e32 vcc_lo, 36, v7
	s_or_b32 s3, vcc_lo, s3
	s_waitcnt vmcnt(0) lgkmcnt(0)
	v_mul_f64 v[10:11], v[21:22], v[17:18]
	v_mul_f64 v[17:18], v[19:20], v[17:18]
	v_fma_f64 v[10:11], v[19:20], v[15:16], -v[10:11]
	s_delay_alu instid0(VALU_DEP_2) | instskip(NEXT) | instid1(VALU_DEP_2)
	v_fma_f64 v[15:16], v[21:22], v[15:16], v[17:18]
	v_add_f64 v[3:4], v[3:4], v[10:11]
	s_delay_alu instid0(VALU_DEP_2)
	v_add_f64 v[1:2], v[1:2], v[15:16]
	s_and_not1_b32 exec_lo, exec_lo, s3
	s_cbranch_execnz .LBB41_165
; %bb.166:
	s_or_b32 exec_lo, exec_lo, s3
	v_mov_b32_e32 v7, 0
	ds_load_b128 v[7:10], v7 offset:608
	s_waitcnt lgkmcnt(0)
	v_mul_f64 v[11:12], v[1:2], v[9:10]
	v_mul_f64 v[15:16], v[3:4], v[9:10]
	s_delay_alu instid0(VALU_DEP_2) | instskip(NEXT) | instid1(VALU_DEP_2)
	v_fma_f64 v[9:10], v[3:4], v[7:8], -v[11:12]
	v_fma_f64 v[11:12], v[1:2], v[7:8], v[15:16]
	scratch_store_b128 off, v[9:12], off offset:608
.LBB41_167:
	s_or_b32 exec_lo, exec_lo, s2
	s_waitcnt_vscnt null, 0x0
	s_barrier
	buffer_gl0_inv
	scratch_load_b128 v[1:4], v134, off
	s_mov_b32 s2, exec_lo
	s_waitcnt vmcnt(0)
	ds_store_b128 v5, v[1:4]
	s_waitcnt lgkmcnt(0)
	s_barrier
	buffer_gl0_inv
	v_cmpx_gt_u32_e32 39, v126
	s_cbranch_execz .LBB41_171
; %bb.168:
	v_dual_mov_b32 v1, 0 :: v_dual_add_nc_u32 v8, 0x2a0, v13
	v_dual_mov_b32 v2, 0 :: v_dual_add_nc_u32 v7, -1, v126
	v_or_b32_e32 v9, 8, v14
	s_mov_b32 s3, 0
	s_delay_alu instid0(VALU_DEP_2)
	v_dual_mov_b32 v4, v2 :: v_dual_mov_b32 v3, v1
	.p2align	6
.LBB41_169:                             ; =>This Inner Loop Header: Depth=1
	scratch_load_b128 v[15:18], v9, off offset:-8
	ds_load_b128 v[19:22], v8
	v_add_nc_u32_e32 v7, 1, v7
	v_add_nc_u32_e32 v8, 16, v8
	;; [unrolled: 1-line block ×3, first 2 shown]
	s_delay_alu instid0(VALU_DEP_3) | instskip(SKIP_4) | instid1(VALU_DEP_2)
	v_cmp_lt_u32_e32 vcc_lo, 37, v7
	s_or_b32 s3, vcc_lo, s3
	s_waitcnt vmcnt(0) lgkmcnt(0)
	v_mul_f64 v[10:11], v[21:22], v[17:18]
	v_mul_f64 v[17:18], v[19:20], v[17:18]
	v_fma_f64 v[10:11], v[19:20], v[15:16], -v[10:11]
	s_delay_alu instid0(VALU_DEP_2) | instskip(NEXT) | instid1(VALU_DEP_2)
	v_fma_f64 v[15:16], v[21:22], v[15:16], v[17:18]
	v_add_f64 v[3:4], v[3:4], v[10:11]
	s_delay_alu instid0(VALU_DEP_2)
	v_add_f64 v[1:2], v[1:2], v[15:16]
	s_and_not1_b32 exec_lo, exec_lo, s3
	s_cbranch_execnz .LBB41_169
; %bb.170:
	s_or_b32 exec_lo, exec_lo, s3
	v_mov_b32_e32 v7, 0
	ds_load_b128 v[7:10], v7 offset:624
	s_waitcnt lgkmcnt(0)
	v_mul_f64 v[11:12], v[1:2], v[9:10]
	v_mul_f64 v[15:16], v[3:4], v[9:10]
	s_delay_alu instid0(VALU_DEP_2) | instskip(NEXT) | instid1(VALU_DEP_2)
	v_fma_f64 v[9:10], v[3:4], v[7:8], -v[11:12]
	v_fma_f64 v[11:12], v[1:2], v[7:8], v[15:16]
	scratch_store_b128 off, v[9:12], off offset:624
.LBB41_171:
	s_or_b32 exec_lo, exec_lo, s2
	s_waitcnt_vscnt null, 0x0
	s_barrier
	buffer_gl0_inv
	scratch_load_b128 v[1:4], v133, off
	s_mov_b32 s2, exec_lo
	s_waitcnt vmcnt(0)
	ds_store_b128 v5, v[1:4]
	s_waitcnt lgkmcnt(0)
	s_barrier
	buffer_gl0_inv
	v_cmpx_gt_u32_e32 40, v126
	s_cbranch_execz .LBB41_175
; %bb.172:
	v_dual_mov_b32 v1, 0 :: v_dual_add_nc_u32 v8, 0x2a0, v13
	v_dual_mov_b32 v2, 0 :: v_dual_add_nc_u32 v7, -1, v126
	v_or_b32_e32 v9, 8, v14
	s_mov_b32 s3, 0
	s_delay_alu instid0(VALU_DEP_2)
	v_dual_mov_b32 v4, v2 :: v_dual_mov_b32 v3, v1
	.p2align	6
.LBB41_173:                             ; =>This Inner Loop Header: Depth=1
	scratch_load_b128 v[10:13], v9, off offset:-8
	ds_load_b128 v[15:18], v8
	v_add_nc_u32_e32 v7, 1, v7
	v_add_nc_u32_e32 v8, 16, v8
	;; [unrolled: 1-line block ×3, first 2 shown]
	s_delay_alu instid0(VALU_DEP_3) | instskip(SKIP_4) | instid1(VALU_DEP_2)
	v_cmp_lt_u32_e32 vcc_lo, 38, v7
	s_or_b32 s3, vcc_lo, s3
	s_waitcnt vmcnt(0) lgkmcnt(0)
	v_mul_f64 v[19:20], v[17:18], v[12:13]
	v_mul_f64 v[12:13], v[15:16], v[12:13]
	v_fma_f64 v[15:16], v[15:16], v[10:11], -v[19:20]
	s_delay_alu instid0(VALU_DEP_2) | instskip(NEXT) | instid1(VALU_DEP_2)
	v_fma_f64 v[10:11], v[17:18], v[10:11], v[12:13]
	v_add_f64 v[3:4], v[3:4], v[15:16]
	s_delay_alu instid0(VALU_DEP_2)
	v_add_f64 v[1:2], v[1:2], v[10:11]
	s_and_not1_b32 exec_lo, exec_lo, s3
	s_cbranch_execnz .LBB41_173
; %bb.174:
	s_or_b32 exec_lo, exec_lo, s3
	v_mov_b32_e32 v7, 0
	ds_load_b128 v[7:10], v7 offset:640
	s_waitcnt lgkmcnt(0)
	v_mul_f64 v[11:12], v[1:2], v[9:10]
	v_mul_f64 v[15:16], v[3:4], v[9:10]
	s_delay_alu instid0(VALU_DEP_2) | instskip(NEXT) | instid1(VALU_DEP_2)
	v_fma_f64 v[9:10], v[3:4], v[7:8], -v[11:12]
	v_fma_f64 v[11:12], v[1:2], v[7:8], v[15:16]
	scratch_store_b128 off, v[9:12], off offset:640
.LBB41_175:
	s_or_b32 exec_lo, exec_lo, s2
	s_waitcnt_vscnt null, 0x0
	s_barrier
	buffer_gl0_inv
	scratch_load_b128 v[1:4], v132, off
	s_mov_b32 s2, exec_lo
	s_waitcnt vmcnt(0)
	ds_store_b128 v5, v[1:4]
	s_waitcnt lgkmcnt(0)
	s_barrier
	buffer_gl0_inv
	v_cmpx_ne_u32_e32 41, v126
	s_cbranch_execz .LBB41_179
; %bb.176:
	v_mov_b32_e32 v1, 0
	v_mov_b32_e32 v2, 0
	v_or_b32_e32 v7, 8, v14
	s_mov_b32 s3, 0
	s_delay_alu instid0(VALU_DEP_2)
	v_dual_mov_b32 v4, v2 :: v_dual_mov_b32 v3, v1
	.p2align	6
.LBB41_177:                             ; =>This Inner Loop Header: Depth=1
	scratch_load_b128 v[8:11], v7, off offset:-8
	ds_load_b128 v[12:15], v5
	v_add_nc_u32_e32 v6, 1, v6
	v_add_nc_u32_e32 v5, 16, v5
	;; [unrolled: 1-line block ×3, first 2 shown]
	s_delay_alu instid0(VALU_DEP_3) | instskip(SKIP_4) | instid1(VALU_DEP_2)
	v_cmp_lt_u32_e32 vcc_lo, 39, v6
	s_or_b32 s3, vcc_lo, s3
	s_waitcnt vmcnt(0) lgkmcnt(0)
	v_mul_f64 v[16:17], v[14:15], v[10:11]
	v_mul_f64 v[10:11], v[12:13], v[10:11]
	v_fma_f64 v[12:13], v[12:13], v[8:9], -v[16:17]
	s_delay_alu instid0(VALU_DEP_2) | instskip(NEXT) | instid1(VALU_DEP_2)
	v_fma_f64 v[8:9], v[14:15], v[8:9], v[10:11]
	v_add_f64 v[3:4], v[3:4], v[12:13]
	s_delay_alu instid0(VALU_DEP_2)
	v_add_f64 v[1:2], v[1:2], v[8:9]
	s_and_not1_b32 exec_lo, exec_lo, s3
	s_cbranch_execnz .LBB41_177
; %bb.178:
	s_or_b32 exec_lo, exec_lo, s3
	v_mov_b32_e32 v5, 0
	ds_load_b128 v[5:8], v5 offset:656
	s_waitcnt lgkmcnt(0)
	v_mul_f64 v[9:10], v[1:2], v[7:8]
	v_mul_f64 v[7:8], v[3:4], v[7:8]
	s_delay_alu instid0(VALU_DEP_2) | instskip(NEXT) | instid1(VALU_DEP_2)
	v_fma_f64 v[3:4], v[3:4], v[5:6], -v[9:10]
	v_fma_f64 v[5:6], v[1:2], v[5:6], v[7:8]
	scratch_store_b128 off, v[3:6], off offset:656
.LBB41_179:
	s_or_b32 exec_lo, exec_lo, s2
	s_mov_b32 s3, -1
	s_waitcnt_vscnt null, 0x0
	s_barrier
	buffer_gl0_inv
.LBB41_180:
	s_and_b32 vcc_lo, exec_lo, s3
	s_cbranch_vccz .LBB41_182
; %bb.181:
	s_lshl_b64 s[2:3], s[18:19], 2
	v_mov_b32_e32 v1, 0
	s_add_u32 s2, s6, s2
	s_addc_u32 s3, s7, s3
	global_load_b32 v1, v1, s[2:3]
	s_waitcnt vmcnt(0)
	v_cmp_ne_u32_e32 vcc_lo, 0, v1
	s_cbranch_vccz .LBB41_183
.LBB41_182:
	s_endpgm
.LBB41_183:
	v_lshl_add_u32 v168, v126, 4, 0x2a0
	s_mov_b32 s2, exec_lo
	v_cmpx_eq_u32_e32 41, v126
	s_cbranch_execz .LBB41_185
; %bb.184:
	scratch_load_b128 v[1:4], v133, off
	v_mov_b32_e32 v5, 0
	s_delay_alu instid0(VALU_DEP_1)
	v_mov_b32_e32 v6, v5
	v_mov_b32_e32 v7, v5
	;; [unrolled: 1-line block ×3, first 2 shown]
	scratch_store_b128 off, v[5:8], off offset:640
	s_waitcnt vmcnt(0)
	ds_store_b128 v168, v[1:4]
.LBB41_185:
	s_or_b32 exec_lo, exec_lo, s2
	s_waitcnt lgkmcnt(0)
	s_waitcnt_vscnt null, 0x0
	s_barrier
	buffer_gl0_inv
	s_clause 0x1
	scratch_load_b128 v[2:5], off, off offset:656
	scratch_load_b128 v[6:9], off, off offset:640
	v_mov_b32_e32 v1, 0
	s_mov_b32 s2, exec_lo
	ds_load_b128 v[10:13], v1 offset:1328
	s_waitcnt vmcnt(1) lgkmcnt(0)
	v_mul_f64 v[14:15], v[12:13], v[4:5]
	v_mul_f64 v[4:5], v[10:11], v[4:5]
	s_delay_alu instid0(VALU_DEP_2) | instskip(NEXT) | instid1(VALU_DEP_2)
	v_fma_f64 v[10:11], v[10:11], v[2:3], -v[14:15]
	v_fma_f64 v[2:3], v[12:13], v[2:3], v[4:5]
	s_delay_alu instid0(VALU_DEP_2) | instskip(NEXT) | instid1(VALU_DEP_2)
	v_add_f64 v[4:5], v[10:11], 0
	v_add_f64 v[10:11], v[2:3], 0
	s_waitcnt vmcnt(0)
	s_delay_alu instid0(VALU_DEP_2) | instskip(NEXT) | instid1(VALU_DEP_2)
	v_add_f64 v[2:3], v[6:7], -v[4:5]
	v_add_f64 v[4:5], v[8:9], -v[10:11]
	scratch_store_b128 off, v[2:5], off offset:640
	v_cmpx_lt_u32_e32 39, v126
	s_cbranch_execz .LBB41_187
; %bb.186:
	scratch_load_b128 v[5:8], v134, off
	v_mov_b32_e32 v2, v1
	v_mov_b32_e32 v3, v1
	;; [unrolled: 1-line block ×3, first 2 shown]
	scratch_store_b128 off, v[1:4], off offset:624
	s_waitcnt vmcnt(0)
	ds_store_b128 v168, v[5:8]
.LBB41_187:
	s_or_b32 exec_lo, exec_lo, s2
	s_waitcnt lgkmcnt(0)
	s_waitcnt_vscnt null, 0x0
	s_barrier
	buffer_gl0_inv
	s_clause 0x2
	scratch_load_b128 v[2:5], off, off offset:640
	scratch_load_b128 v[6:9], off, off offset:656
	;; [unrolled: 1-line block ×3, first 2 shown]
	ds_load_b128 v[14:17], v1 offset:1312
	ds_load_b128 v[18:21], v1 offset:1328
	s_mov_b32 s2, exec_lo
	s_waitcnt vmcnt(2) lgkmcnt(1)
	v_mul_f64 v[22:23], v[16:17], v[4:5]
	v_mul_f64 v[4:5], v[14:15], v[4:5]
	s_waitcnt vmcnt(1) lgkmcnt(0)
	v_mul_f64 v[24:25], v[18:19], v[8:9]
	v_mul_f64 v[8:9], v[20:21], v[8:9]
	s_delay_alu instid0(VALU_DEP_4) | instskip(NEXT) | instid1(VALU_DEP_4)
	v_fma_f64 v[14:15], v[14:15], v[2:3], -v[22:23]
	v_fma_f64 v[1:2], v[16:17], v[2:3], v[4:5]
	s_delay_alu instid0(VALU_DEP_4) | instskip(NEXT) | instid1(VALU_DEP_4)
	v_fma_f64 v[3:4], v[20:21], v[6:7], v[24:25]
	v_fma_f64 v[5:6], v[18:19], v[6:7], -v[8:9]
	s_delay_alu instid0(VALU_DEP_4) | instskip(NEXT) | instid1(VALU_DEP_4)
	v_add_f64 v[7:8], v[14:15], 0
	v_add_f64 v[1:2], v[1:2], 0
	s_delay_alu instid0(VALU_DEP_2) | instskip(NEXT) | instid1(VALU_DEP_2)
	v_add_f64 v[5:6], v[7:8], v[5:6]
	v_add_f64 v[3:4], v[1:2], v[3:4]
	s_waitcnt vmcnt(0)
	s_delay_alu instid0(VALU_DEP_2) | instskip(NEXT) | instid1(VALU_DEP_2)
	v_add_f64 v[1:2], v[10:11], -v[5:6]
	v_add_f64 v[3:4], v[12:13], -v[3:4]
	scratch_store_b128 off, v[1:4], off offset:624
	v_cmpx_lt_u32_e32 38, v126
	s_cbranch_execz .LBB41_189
; %bb.188:
	scratch_load_b128 v[1:4], v135, off
	v_mov_b32_e32 v5, 0
	s_delay_alu instid0(VALU_DEP_1)
	v_mov_b32_e32 v6, v5
	v_mov_b32_e32 v7, v5
	;; [unrolled: 1-line block ×3, first 2 shown]
	scratch_store_b128 off, v[5:8], off offset:608
	s_waitcnt vmcnt(0)
	ds_store_b128 v168, v[1:4]
.LBB41_189:
	s_or_b32 exec_lo, exec_lo, s2
	s_waitcnt lgkmcnt(0)
	s_waitcnt_vscnt null, 0x0
	s_barrier
	buffer_gl0_inv
	s_clause 0x3
	scratch_load_b128 v[2:5], off, off offset:624
	scratch_load_b128 v[6:9], off, off offset:640
	;; [unrolled: 1-line block ×4, first 2 shown]
	v_mov_b32_e32 v1, 0
	ds_load_b128 v[18:21], v1 offset:1296
	ds_load_b128 v[22:25], v1 offset:1312
	s_mov_b32 s2, exec_lo
	s_waitcnt vmcnt(3) lgkmcnt(1)
	v_mul_f64 v[26:27], v[20:21], v[4:5]
	v_mul_f64 v[4:5], v[18:19], v[4:5]
	s_waitcnt vmcnt(2) lgkmcnt(0)
	v_mul_f64 v[28:29], v[22:23], v[8:9]
	v_mul_f64 v[8:9], v[24:25], v[8:9]
	s_delay_alu instid0(VALU_DEP_4) | instskip(NEXT) | instid1(VALU_DEP_4)
	v_fma_f64 v[18:19], v[18:19], v[2:3], -v[26:27]
	v_fma_f64 v[20:21], v[20:21], v[2:3], v[4:5]
	ds_load_b128 v[2:5], v1 offset:1328
	v_fma_f64 v[24:25], v[24:25], v[6:7], v[28:29]
	v_fma_f64 v[6:7], v[22:23], v[6:7], -v[8:9]
	s_waitcnt vmcnt(1) lgkmcnt(0)
	v_mul_f64 v[26:27], v[2:3], v[12:13]
	v_mul_f64 v[12:13], v[4:5], v[12:13]
	v_add_f64 v[8:9], v[18:19], 0
	v_add_f64 v[18:19], v[20:21], 0
	s_delay_alu instid0(VALU_DEP_4) | instskip(NEXT) | instid1(VALU_DEP_4)
	v_fma_f64 v[4:5], v[4:5], v[10:11], v[26:27]
	v_fma_f64 v[2:3], v[2:3], v[10:11], -v[12:13]
	s_delay_alu instid0(VALU_DEP_4) | instskip(NEXT) | instid1(VALU_DEP_4)
	v_add_f64 v[6:7], v[8:9], v[6:7]
	v_add_f64 v[8:9], v[18:19], v[24:25]
	s_delay_alu instid0(VALU_DEP_2) | instskip(NEXT) | instid1(VALU_DEP_2)
	v_add_f64 v[2:3], v[6:7], v[2:3]
	v_add_f64 v[4:5], v[8:9], v[4:5]
	s_waitcnt vmcnt(0)
	s_delay_alu instid0(VALU_DEP_2) | instskip(NEXT) | instid1(VALU_DEP_2)
	v_add_f64 v[2:3], v[14:15], -v[2:3]
	v_add_f64 v[4:5], v[16:17], -v[4:5]
	scratch_store_b128 off, v[2:5], off offset:608
	v_cmpx_lt_u32_e32 37, v126
	s_cbranch_execz .LBB41_191
; %bb.190:
	scratch_load_b128 v[5:8], v136, off
	v_mov_b32_e32 v2, v1
	v_mov_b32_e32 v3, v1
	;; [unrolled: 1-line block ×3, first 2 shown]
	scratch_store_b128 off, v[1:4], off offset:592
	s_waitcnt vmcnt(0)
	ds_store_b128 v168, v[5:8]
.LBB41_191:
	s_or_b32 exec_lo, exec_lo, s2
	s_waitcnt lgkmcnt(0)
	s_waitcnt_vscnt null, 0x0
	s_barrier
	buffer_gl0_inv
	s_clause 0x4
	scratch_load_b128 v[2:5], off, off offset:608
	scratch_load_b128 v[6:9], off, off offset:624
	;; [unrolled: 1-line block ×5, first 2 shown]
	ds_load_b128 v[22:25], v1 offset:1280
	ds_load_b128 v[26:29], v1 offset:1296
	s_mov_b32 s2, exec_lo
	s_waitcnt vmcnt(4) lgkmcnt(1)
	v_mul_f64 v[30:31], v[24:25], v[4:5]
	v_mul_f64 v[4:5], v[22:23], v[4:5]
	s_waitcnt vmcnt(3) lgkmcnt(0)
	v_mul_f64 v[32:33], v[26:27], v[8:9]
	v_mul_f64 v[8:9], v[28:29], v[8:9]
	s_delay_alu instid0(VALU_DEP_4) | instskip(NEXT) | instid1(VALU_DEP_4)
	v_fma_f64 v[30:31], v[22:23], v[2:3], -v[30:31]
	v_fma_f64 v[34:35], v[24:25], v[2:3], v[4:5]
	ds_load_b128 v[2:5], v1 offset:1312
	ds_load_b128 v[22:25], v1 offset:1328
	v_fma_f64 v[28:29], v[28:29], v[6:7], v[32:33]
	v_fma_f64 v[6:7], v[26:27], v[6:7], -v[8:9]
	s_waitcnt vmcnt(2) lgkmcnt(1)
	v_mul_f64 v[36:37], v[2:3], v[12:13]
	v_mul_f64 v[12:13], v[4:5], v[12:13]
	v_add_f64 v[8:9], v[30:31], 0
	v_add_f64 v[26:27], v[34:35], 0
	s_waitcnt vmcnt(1) lgkmcnt(0)
	v_mul_f64 v[30:31], v[22:23], v[16:17]
	v_mul_f64 v[16:17], v[24:25], v[16:17]
	v_fma_f64 v[4:5], v[4:5], v[10:11], v[36:37]
	v_fma_f64 v[1:2], v[2:3], v[10:11], -v[12:13]
	v_add_f64 v[6:7], v[8:9], v[6:7]
	v_add_f64 v[8:9], v[26:27], v[28:29]
	v_fma_f64 v[10:11], v[24:25], v[14:15], v[30:31]
	v_fma_f64 v[12:13], v[22:23], v[14:15], -v[16:17]
	s_delay_alu instid0(VALU_DEP_4) | instskip(NEXT) | instid1(VALU_DEP_4)
	v_add_f64 v[1:2], v[6:7], v[1:2]
	v_add_f64 v[3:4], v[8:9], v[4:5]
	s_delay_alu instid0(VALU_DEP_2) | instskip(NEXT) | instid1(VALU_DEP_2)
	v_add_f64 v[1:2], v[1:2], v[12:13]
	v_add_f64 v[3:4], v[3:4], v[10:11]
	s_waitcnt vmcnt(0)
	s_delay_alu instid0(VALU_DEP_2) | instskip(NEXT) | instid1(VALU_DEP_2)
	v_add_f64 v[1:2], v[18:19], -v[1:2]
	v_add_f64 v[3:4], v[20:21], -v[3:4]
	scratch_store_b128 off, v[1:4], off offset:592
	v_cmpx_lt_u32_e32 36, v126
	s_cbranch_execz .LBB41_193
; %bb.192:
	scratch_load_b128 v[1:4], v137, off
	v_mov_b32_e32 v5, 0
	s_delay_alu instid0(VALU_DEP_1)
	v_mov_b32_e32 v6, v5
	v_mov_b32_e32 v7, v5
	;; [unrolled: 1-line block ×3, first 2 shown]
	scratch_store_b128 off, v[5:8], off offset:576
	s_waitcnt vmcnt(0)
	ds_store_b128 v168, v[1:4]
.LBB41_193:
	s_or_b32 exec_lo, exec_lo, s2
	s_waitcnt lgkmcnt(0)
	s_waitcnt_vscnt null, 0x0
	s_barrier
	buffer_gl0_inv
	s_clause 0x5
	scratch_load_b128 v[2:5], off, off offset:592
	scratch_load_b128 v[6:9], off, off offset:608
	;; [unrolled: 1-line block ×6, first 2 shown]
	v_mov_b32_e32 v1, 0
	ds_load_b128 v[26:29], v1 offset:1264
	ds_load_b128 v[30:33], v1 offset:1280
	s_mov_b32 s2, exec_lo
	s_waitcnt vmcnt(5) lgkmcnt(1)
	v_mul_f64 v[34:35], v[28:29], v[4:5]
	v_mul_f64 v[4:5], v[26:27], v[4:5]
	s_waitcnt vmcnt(4) lgkmcnt(0)
	v_mul_f64 v[36:37], v[30:31], v[8:9]
	v_mul_f64 v[8:9], v[32:33], v[8:9]
	s_delay_alu instid0(VALU_DEP_4) | instskip(NEXT) | instid1(VALU_DEP_4)
	v_fma_f64 v[34:35], v[26:27], v[2:3], -v[34:35]
	v_fma_f64 v[38:39], v[28:29], v[2:3], v[4:5]
	ds_load_b128 v[2:5], v1 offset:1296
	ds_load_b128 v[26:29], v1 offset:1312
	v_fma_f64 v[32:33], v[32:33], v[6:7], v[36:37]
	v_fma_f64 v[6:7], v[30:31], v[6:7], -v[8:9]
	s_waitcnt vmcnt(3) lgkmcnt(1)
	v_mul_f64 v[40:41], v[2:3], v[12:13]
	v_mul_f64 v[12:13], v[4:5], v[12:13]
	v_add_f64 v[8:9], v[34:35], 0
	v_add_f64 v[30:31], v[38:39], 0
	s_waitcnt vmcnt(2) lgkmcnt(0)
	v_mul_f64 v[34:35], v[26:27], v[16:17]
	v_mul_f64 v[16:17], v[28:29], v[16:17]
	v_fma_f64 v[36:37], v[4:5], v[10:11], v[40:41]
	v_fma_f64 v[10:11], v[2:3], v[10:11], -v[12:13]
	ds_load_b128 v[2:5], v1 offset:1328
	v_add_f64 v[6:7], v[8:9], v[6:7]
	v_add_f64 v[8:9], v[30:31], v[32:33]
	v_fma_f64 v[28:29], v[28:29], v[14:15], v[34:35]
	v_fma_f64 v[14:15], v[26:27], v[14:15], -v[16:17]
	s_waitcnt vmcnt(1) lgkmcnt(0)
	v_mul_f64 v[12:13], v[2:3], v[20:21]
	v_mul_f64 v[20:21], v[4:5], v[20:21]
	v_add_f64 v[6:7], v[6:7], v[10:11]
	v_add_f64 v[8:9], v[8:9], v[36:37]
	s_delay_alu instid0(VALU_DEP_4) | instskip(NEXT) | instid1(VALU_DEP_4)
	v_fma_f64 v[4:5], v[4:5], v[18:19], v[12:13]
	v_fma_f64 v[2:3], v[2:3], v[18:19], -v[20:21]
	s_delay_alu instid0(VALU_DEP_4) | instskip(NEXT) | instid1(VALU_DEP_4)
	v_add_f64 v[6:7], v[6:7], v[14:15]
	v_add_f64 v[8:9], v[8:9], v[28:29]
	s_delay_alu instid0(VALU_DEP_2) | instskip(NEXT) | instid1(VALU_DEP_2)
	v_add_f64 v[2:3], v[6:7], v[2:3]
	v_add_f64 v[4:5], v[8:9], v[4:5]
	s_waitcnt vmcnt(0)
	s_delay_alu instid0(VALU_DEP_2) | instskip(NEXT) | instid1(VALU_DEP_2)
	v_add_f64 v[2:3], v[22:23], -v[2:3]
	v_add_f64 v[4:5], v[24:25], -v[4:5]
	scratch_store_b128 off, v[2:5], off offset:576
	v_cmpx_lt_u32_e32 35, v126
	s_cbranch_execz .LBB41_195
; %bb.194:
	scratch_load_b128 v[5:8], v140, off
	v_mov_b32_e32 v2, v1
	v_mov_b32_e32 v3, v1
	;; [unrolled: 1-line block ×3, first 2 shown]
	scratch_store_b128 off, v[1:4], off offset:560
	s_waitcnt vmcnt(0)
	ds_store_b128 v168, v[5:8]
.LBB41_195:
	s_or_b32 exec_lo, exec_lo, s2
	s_waitcnt lgkmcnt(0)
	s_waitcnt_vscnt null, 0x0
	s_barrier
	buffer_gl0_inv
	s_clause 0x5
	scratch_load_b128 v[2:5], off, off offset:576
	scratch_load_b128 v[6:9], off, off offset:592
	;; [unrolled: 1-line block ×6, first 2 shown]
	ds_load_b128 v[26:29], v1 offset:1248
	ds_load_b128 v[34:37], v1 offset:1264
	scratch_load_b128 v[30:33], off, off offset:560
	s_mov_b32 s2, exec_lo
	s_waitcnt vmcnt(6) lgkmcnt(1)
	v_mul_f64 v[38:39], v[28:29], v[4:5]
	v_mul_f64 v[4:5], v[26:27], v[4:5]
	s_waitcnt vmcnt(5) lgkmcnt(0)
	v_mul_f64 v[40:41], v[34:35], v[8:9]
	v_mul_f64 v[8:9], v[36:37], v[8:9]
	s_delay_alu instid0(VALU_DEP_4) | instskip(NEXT) | instid1(VALU_DEP_4)
	v_fma_f64 v[38:39], v[26:27], v[2:3], -v[38:39]
	v_fma_f64 v[169:170], v[28:29], v[2:3], v[4:5]
	ds_load_b128 v[2:5], v1 offset:1280
	ds_load_b128 v[26:29], v1 offset:1296
	v_fma_f64 v[36:37], v[36:37], v[6:7], v[40:41]
	v_fma_f64 v[6:7], v[34:35], v[6:7], -v[8:9]
	s_waitcnt vmcnt(4) lgkmcnt(1)
	v_mul_f64 v[171:172], v[2:3], v[12:13]
	v_mul_f64 v[12:13], v[4:5], v[12:13]
	v_add_f64 v[8:9], v[38:39], 0
	v_add_f64 v[34:35], v[169:170], 0
	s_waitcnt vmcnt(3) lgkmcnt(0)
	v_mul_f64 v[38:39], v[26:27], v[16:17]
	v_mul_f64 v[16:17], v[28:29], v[16:17]
	v_fma_f64 v[40:41], v[4:5], v[10:11], v[171:172]
	v_fma_f64 v[10:11], v[2:3], v[10:11], -v[12:13]
	v_add_f64 v[12:13], v[8:9], v[6:7]
	v_add_f64 v[34:35], v[34:35], v[36:37]
	ds_load_b128 v[2:5], v1 offset:1312
	ds_load_b128 v[6:9], v1 offset:1328
	v_fma_f64 v[28:29], v[28:29], v[14:15], v[38:39]
	v_fma_f64 v[14:15], v[26:27], v[14:15], -v[16:17]
	s_waitcnt vmcnt(2) lgkmcnt(1)
	v_mul_f64 v[36:37], v[2:3], v[20:21]
	v_mul_f64 v[20:21], v[4:5], v[20:21]
	s_waitcnt vmcnt(1) lgkmcnt(0)
	v_mul_f64 v[16:17], v[6:7], v[24:25]
	v_mul_f64 v[24:25], v[8:9], v[24:25]
	v_add_f64 v[10:11], v[12:13], v[10:11]
	v_add_f64 v[12:13], v[34:35], v[40:41]
	v_fma_f64 v[4:5], v[4:5], v[18:19], v[36:37]
	v_fma_f64 v[1:2], v[2:3], v[18:19], -v[20:21]
	v_fma_f64 v[8:9], v[8:9], v[22:23], v[16:17]
	v_fma_f64 v[6:7], v[6:7], v[22:23], -v[24:25]
	v_add_f64 v[10:11], v[10:11], v[14:15]
	v_add_f64 v[12:13], v[12:13], v[28:29]
	s_delay_alu instid0(VALU_DEP_2) | instskip(NEXT) | instid1(VALU_DEP_2)
	v_add_f64 v[1:2], v[10:11], v[1:2]
	v_add_f64 v[3:4], v[12:13], v[4:5]
	s_delay_alu instid0(VALU_DEP_2) | instskip(NEXT) | instid1(VALU_DEP_2)
	v_add_f64 v[1:2], v[1:2], v[6:7]
	v_add_f64 v[3:4], v[3:4], v[8:9]
	s_waitcnt vmcnt(0)
	s_delay_alu instid0(VALU_DEP_2) | instskip(NEXT) | instid1(VALU_DEP_2)
	v_add_f64 v[1:2], v[30:31], -v[1:2]
	v_add_f64 v[3:4], v[32:33], -v[3:4]
	scratch_store_b128 off, v[1:4], off offset:560
	v_cmpx_lt_u32_e32 34, v126
	s_cbranch_execz .LBB41_197
; %bb.196:
	scratch_load_b128 v[1:4], v127, off
	v_mov_b32_e32 v5, 0
	s_delay_alu instid0(VALU_DEP_1)
	v_mov_b32_e32 v6, v5
	v_mov_b32_e32 v7, v5
	;; [unrolled: 1-line block ×3, first 2 shown]
	scratch_store_b128 off, v[5:8], off offset:544
	s_waitcnt vmcnt(0)
	ds_store_b128 v168, v[1:4]
.LBB41_197:
	s_or_b32 exec_lo, exec_lo, s2
	s_waitcnt lgkmcnt(0)
	s_waitcnt_vscnt null, 0x0
	s_barrier
	buffer_gl0_inv
	s_clause 0x6
	scratch_load_b128 v[2:5], off, off offset:560
	scratch_load_b128 v[6:9], off, off offset:576
	;; [unrolled: 1-line block ×7, first 2 shown]
	v_mov_b32_e32 v1, 0
	scratch_load_b128 v[34:37], off, off offset:544
	s_mov_b32 s2, exec_lo
	ds_load_b128 v[30:33], v1 offset:1232
	ds_load_b128 v[38:41], v1 offset:1248
	s_waitcnt vmcnt(7) lgkmcnt(1)
	v_mul_f64 v[169:170], v[32:33], v[4:5]
	v_mul_f64 v[4:5], v[30:31], v[4:5]
	s_waitcnt vmcnt(6) lgkmcnt(0)
	v_mul_f64 v[171:172], v[38:39], v[8:9]
	v_mul_f64 v[8:9], v[40:41], v[8:9]
	s_delay_alu instid0(VALU_DEP_4) | instskip(NEXT) | instid1(VALU_DEP_4)
	v_fma_f64 v[169:170], v[30:31], v[2:3], -v[169:170]
	v_fma_f64 v[173:174], v[32:33], v[2:3], v[4:5]
	ds_load_b128 v[2:5], v1 offset:1264
	ds_load_b128 v[30:33], v1 offset:1280
	v_fma_f64 v[40:41], v[40:41], v[6:7], v[171:172]
	v_fma_f64 v[6:7], v[38:39], v[6:7], -v[8:9]
	s_waitcnt vmcnt(5) lgkmcnt(1)
	v_mul_f64 v[175:176], v[2:3], v[12:13]
	v_mul_f64 v[12:13], v[4:5], v[12:13]
	v_add_f64 v[8:9], v[169:170], 0
	v_add_f64 v[38:39], v[173:174], 0
	s_waitcnt vmcnt(4) lgkmcnt(0)
	v_mul_f64 v[169:170], v[30:31], v[16:17]
	v_mul_f64 v[16:17], v[32:33], v[16:17]
	v_fma_f64 v[171:172], v[4:5], v[10:11], v[175:176]
	v_fma_f64 v[10:11], v[2:3], v[10:11], -v[12:13]
	v_add_f64 v[12:13], v[8:9], v[6:7]
	v_add_f64 v[38:39], v[38:39], v[40:41]
	ds_load_b128 v[2:5], v1 offset:1296
	ds_load_b128 v[6:9], v1 offset:1312
	v_fma_f64 v[32:33], v[32:33], v[14:15], v[169:170]
	v_fma_f64 v[14:15], v[30:31], v[14:15], -v[16:17]
	s_waitcnt vmcnt(3) lgkmcnt(1)
	v_mul_f64 v[40:41], v[2:3], v[20:21]
	v_mul_f64 v[20:21], v[4:5], v[20:21]
	s_waitcnt vmcnt(2) lgkmcnt(0)
	v_mul_f64 v[16:17], v[6:7], v[24:25]
	v_mul_f64 v[24:25], v[8:9], v[24:25]
	v_add_f64 v[10:11], v[12:13], v[10:11]
	v_add_f64 v[12:13], v[38:39], v[171:172]
	v_fma_f64 v[30:31], v[4:5], v[18:19], v[40:41]
	v_fma_f64 v[18:19], v[2:3], v[18:19], -v[20:21]
	ds_load_b128 v[2:5], v1 offset:1328
	v_fma_f64 v[8:9], v[8:9], v[22:23], v[16:17]
	v_fma_f64 v[6:7], v[6:7], v[22:23], -v[24:25]
	v_add_f64 v[10:11], v[10:11], v[14:15]
	v_add_f64 v[12:13], v[12:13], v[32:33]
	s_waitcnt vmcnt(1) lgkmcnt(0)
	v_mul_f64 v[14:15], v[2:3], v[28:29]
	v_mul_f64 v[20:21], v[4:5], v[28:29]
	s_delay_alu instid0(VALU_DEP_4) | instskip(NEXT) | instid1(VALU_DEP_4)
	v_add_f64 v[10:11], v[10:11], v[18:19]
	v_add_f64 v[12:13], v[12:13], v[30:31]
	s_delay_alu instid0(VALU_DEP_4) | instskip(NEXT) | instid1(VALU_DEP_4)
	v_fma_f64 v[4:5], v[4:5], v[26:27], v[14:15]
	v_fma_f64 v[2:3], v[2:3], v[26:27], -v[20:21]
	s_delay_alu instid0(VALU_DEP_4) | instskip(NEXT) | instid1(VALU_DEP_4)
	v_add_f64 v[6:7], v[10:11], v[6:7]
	v_add_f64 v[8:9], v[12:13], v[8:9]
	s_delay_alu instid0(VALU_DEP_2) | instskip(NEXT) | instid1(VALU_DEP_2)
	v_add_f64 v[2:3], v[6:7], v[2:3]
	v_add_f64 v[4:5], v[8:9], v[4:5]
	s_waitcnt vmcnt(0)
	s_delay_alu instid0(VALU_DEP_2) | instskip(NEXT) | instid1(VALU_DEP_2)
	v_add_f64 v[2:3], v[34:35], -v[2:3]
	v_add_f64 v[4:5], v[36:37], -v[4:5]
	scratch_store_b128 off, v[2:5], off offset:544
	v_cmpx_lt_u32_e32 33, v126
	s_cbranch_execz .LBB41_199
; %bb.198:
	scratch_load_b128 v[5:8], v128, off
	v_mov_b32_e32 v2, v1
	v_mov_b32_e32 v3, v1
	v_mov_b32_e32 v4, v1
	scratch_store_b128 off, v[1:4], off offset:528
	s_waitcnt vmcnt(0)
	ds_store_b128 v168, v[5:8]
.LBB41_199:
	s_or_b32 exec_lo, exec_lo, s2
	s_waitcnt lgkmcnt(0)
	s_waitcnt_vscnt null, 0x0
	s_barrier
	buffer_gl0_inv
	s_clause 0x7
	scratch_load_b128 v[2:5], off, off offset:544
	scratch_load_b128 v[6:9], off, off offset:560
	;; [unrolled: 1-line block ×8, first 2 shown]
	ds_load_b128 v[34:37], v1 offset:1216
	ds_load_b128 v[38:41], v1 offset:1232
	scratch_load_b128 v[169:172], off, off offset:528
	s_mov_b32 s2, exec_lo
	s_waitcnt vmcnt(8) lgkmcnt(1)
	v_mul_f64 v[173:174], v[36:37], v[4:5]
	v_mul_f64 v[4:5], v[34:35], v[4:5]
	s_waitcnt vmcnt(7) lgkmcnt(0)
	v_mul_f64 v[175:176], v[38:39], v[8:9]
	v_mul_f64 v[8:9], v[40:41], v[8:9]
	s_delay_alu instid0(VALU_DEP_4) | instskip(NEXT) | instid1(VALU_DEP_4)
	v_fma_f64 v[173:174], v[34:35], v[2:3], -v[173:174]
	v_fma_f64 v[177:178], v[36:37], v[2:3], v[4:5]
	ds_load_b128 v[2:5], v1 offset:1248
	ds_load_b128 v[34:37], v1 offset:1264
	v_fma_f64 v[40:41], v[40:41], v[6:7], v[175:176]
	v_fma_f64 v[6:7], v[38:39], v[6:7], -v[8:9]
	s_waitcnt vmcnt(6) lgkmcnt(1)
	v_mul_f64 v[179:180], v[2:3], v[12:13]
	v_mul_f64 v[12:13], v[4:5], v[12:13]
	v_add_f64 v[8:9], v[173:174], 0
	v_add_f64 v[38:39], v[177:178], 0
	s_waitcnt vmcnt(5) lgkmcnt(0)
	v_mul_f64 v[173:174], v[34:35], v[16:17]
	v_mul_f64 v[16:17], v[36:37], v[16:17]
	v_fma_f64 v[175:176], v[4:5], v[10:11], v[179:180]
	v_fma_f64 v[10:11], v[2:3], v[10:11], -v[12:13]
	v_add_f64 v[12:13], v[8:9], v[6:7]
	v_add_f64 v[38:39], v[38:39], v[40:41]
	ds_load_b128 v[2:5], v1 offset:1280
	ds_load_b128 v[6:9], v1 offset:1296
	v_fma_f64 v[36:37], v[36:37], v[14:15], v[173:174]
	v_fma_f64 v[14:15], v[34:35], v[14:15], -v[16:17]
	s_waitcnt vmcnt(4) lgkmcnt(1)
	v_mul_f64 v[40:41], v[2:3], v[20:21]
	v_mul_f64 v[20:21], v[4:5], v[20:21]
	s_waitcnt vmcnt(3) lgkmcnt(0)
	v_mul_f64 v[16:17], v[6:7], v[24:25]
	v_mul_f64 v[24:25], v[8:9], v[24:25]
	v_add_f64 v[10:11], v[12:13], v[10:11]
	v_add_f64 v[12:13], v[38:39], v[175:176]
	v_fma_f64 v[34:35], v[4:5], v[18:19], v[40:41]
	v_fma_f64 v[18:19], v[2:3], v[18:19], -v[20:21]
	v_fma_f64 v[8:9], v[8:9], v[22:23], v[16:17]
	v_fma_f64 v[6:7], v[6:7], v[22:23], -v[24:25]
	v_add_f64 v[14:15], v[10:11], v[14:15]
	v_add_f64 v[20:21], v[12:13], v[36:37]
	ds_load_b128 v[2:5], v1 offset:1312
	ds_load_b128 v[10:13], v1 offset:1328
	s_waitcnt vmcnt(2) lgkmcnt(1)
	v_mul_f64 v[36:37], v[2:3], v[28:29]
	v_mul_f64 v[28:29], v[4:5], v[28:29]
	v_add_f64 v[14:15], v[14:15], v[18:19]
	v_add_f64 v[16:17], v[20:21], v[34:35]
	s_waitcnt vmcnt(1) lgkmcnt(0)
	v_mul_f64 v[18:19], v[10:11], v[32:33]
	v_mul_f64 v[20:21], v[12:13], v[32:33]
	v_fma_f64 v[4:5], v[4:5], v[26:27], v[36:37]
	v_fma_f64 v[1:2], v[2:3], v[26:27], -v[28:29]
	v_add_f64 v[6:7], v[14:15], v[6:7]
	v_add_f64 v[8:9], v[16:17], v[8:9]
	v_fma_f64 v[12:13], v[12:13], v[30:31], v[18:19]
	v_fma_f64 v[10:11], v[10:11], v[30:31], -v[20:21]
	s_delay_alu instid0(VALU_DEP_4) | instskip(NEXT) | instid1(VALU_DEP_4)
	v_add_f64 v[1:2], v[6:7], v[1:2]
	v_add_f64 v[3:4], v[8:9], v[4:5]
	s_delay_alu instid0(VALU_DEP_2) | instskip(NEXT) | instid1(VALU_DEP_2)
	v_add_f64 v[1:2], v[1:2], v[10:11]
	v_add_f64 v[3:4], v[3:4], v[12:13]
	s_waitcnt vmcnt(0)
	s_delay_alu instid0(VALU_DEP_2) | instskip(NEXT) | instid1(VALU_DEP_2)
	v_add_f64 v[1:2], v[169:170], -v[1:2]
	v_add_f64 v[3:4], v[171:172], -v[3:4]
	scratch_store_b128 off, v[1:4], off offset:528
	v_cmpx_lt_u32_e32 32, v126
	s_cbranch_execz .LBB41_201
; %bb.200:
	scratch_load_b128 v[1:4], v129, off
	v_mov_b32_e32 v5, 0
	s_delay_alu instid0(VALU_DEP_1)
	v_mov_b32_e32 v6, v5
	v_mov_b32_e32 v7, v5
	;; [unrolled: 1-line block ×3, first 2 shown]
	scratch_store_b128 off, v[5:8], off offset:512
	s_waitcnt vmcnt(0)
	ds_store_b128 v168, v[1:4]
.LBB41_201:
	s_or_b32 exec_lo, exec_lo, s2
	s_waitcnt lgkmcnt(0)
	s_waitcnt_vscnt null, 0x0
	s_barrier
	buffer_gl0_inv
	s_clause 0x7
	scratch_load_b128 v[2:5], off, off offset:528
	scratch_load_b128 v[6:9], off, off offset:544
	;; [unrolled: 1-line block ×8, first 2 shown]
	v_mov_b32_e32 v1, 0
	s_mov_b32 s2, exec_lo
	ds_load_b128 v[34:37], v1 offset:1200
	s_clause 0x1
	scratch_load_b128 v[38:41], off, off offset:656
	scratch_load_b128 v[169:172], off, off offset:512
	ds_load_b128 v[173:176], v1 offset:1216
	s_waitcnt vmcnt(9) lgkmcnt(1)
	v_mul_f64 v[177:178], v[36:37], v[4:5]
	v_mul_f64 v[4:5], v[34:35], v[4:5]
	s_waitcnt vmcnt(8) lgkmcnt(0)
	v_mul_f64 v[179:180], v[173:174], v[8:9]
	v_mul_f64 v[8:9], v[175:176], v[8:9]
	s_delay_alu instid0(VALU_DEP_4) | instskip(NEXT) | instid1(VALU_DEP_4)
	v_fma_f64 v[177:178], v[34:35], v[2:3], -v[177:178]
	v_fma_f64 v[181:182], v[36:37], v[2:3], v[4:5]
	ds_load_b128 v[2:5], v1 offset:1232
	ds_load_b128 v[34:37], v1 offset:1248
	v_fma_f64 v[175:176], v[175:176], v[6:7], v[179:180]
	v_fma_f64 v[6:7], v[173:174], v[6:7], -v[8:9]
	s_waitcnt vmcnt(7) lgkmcnt(1)
	v_mul_f64 v[183:184], v[2:3], v[12:13]
	v_mul_f64 v[12:13], v[4:5], v[12:13]
	v_add_f64 v[8:9], v[177:178], 0
	v_add_f64 v[173:174], v[181:182], 0
	s_waitcnt vmcnt(6) lgkmcnt(0)
	v_mul_f64 v[177:178], v[34:35], v[16:17]
	v_mul_f64 v[16:17], v[36:37], v[16:17]
	v_fma_f64 v[179:180], v[4:5], v[10:11], v[183:184]
	v_fma_f64 v[10:11], v[2:3], v[10:11], -v[12:13]
	v_add_f64 v[12:13], v[8:9], v[6:7]
	v_add_f64 v[173:174], v[173:174], v[175:176]
	ds_load_b128 v[2:5], v1 offset:1264
	ds_load_b128 v[6:9], v1 offset:1280
	v_fma_f64 v[36:37], v[36:37], v[14:15], v[177:178]
	v_fma_f64 v[14:15], v[34:35], v[14:15], -v[16:17]
	s_waitcnt vmcnt(5) lgkmcnt(1)
	v_mul_f64 v[175:176], v[2:3], v[20:21]
	v_mul_f64 v[20:21], v[4:5], v[20:21]
	s_waitcnt vmcnt(4) lgkmcnt(0)
	v_mul_f64 v[16:17], v[6:7], v[24:25]
	v_mul_f64 v[24:25], v[8:9], v[24:25]
	v_add_f64 v[10:11], v[12:13], v[10:11]
	v_add_f64 v[12:13], v[173:174], v[179:180]
	v_fma_f64 v[34:35], v[4:5], v[18:19], v[175:176]
	v_fma_f64 v[18:19], v[2:3], v[18:19], -v[20:21]
	v_fma_f64 v[8:9], v[8:9], v[22:23], v[16:17]
	v_fma_f64 v[6:7], v[6:7], v[22:23], -v[24:25]
	v_add_f64 v[14:15], v[10:11], v[14:15]
	v_add_f64 v[20:21], v[12:13], v[36:37]
	ds_load_b128 v[2:5], v1 offset:1296
	ds_load_b128 v[10:13], v1 offset:1312
	s_waitcnt vmcnt(3) lgkmcnt(1)
	v_mul_f64 v[36:37], v[2:3], v[28:29]
	v_mul_f64 v[28:29], v[4:5], v[28:29]
	v_add_f64 v[14:15], v[14:15], v[18:19]
	v_add_f64 v[16:17], v[20:21], v[34:35]
	s_waitcnt vmcnt(2) lgkmcnt(0)
	v_mul_f64 v[18:19], v[10:11], v[32:33]
	v_mul_f64 v[20:21], v[12:13], v[32:33]
	v_fma_f64 v[22:23], v[4:5], v[26:27], v[36:37]
	v_fma_f64 v[24:25], v[2:3], v[26:27], -v[28:29]
	ds_load_b128 v[2:5], v1 offset:1328
	v_add_f64 v[6:7], v[14:15], v[6:7]
	v_add_f64 v[8:9], v[16:17], v[8:9]
	v_fma_f64 v[12:13], v[12:13], v[30:31], v[18:19]
	v_fma_f64 v[10:11], v[10:11], v[30:31], -v[20:21]
	s_waitcnt vmcnt(1) lgkmcnt(0)
	v_mul_f64 v[14:15], v[2:3], v[40:41]
	v_mul_f64 v[16:17], v[4:5], v[40:41]
	v_add_f64 v[6:7], v[6:7], v[24:25]
	v_add_f64 v[8:9], v[8:9], v[22:23]
	s_delay_alu instid0(VALU_DEP_4) | instskip(NEXT) | instid1(VALU_DEP_4)
	v_fma_f64 v[4:5], v[4:5], v[38:39], v[14:15]
	v_fma_f64 v[2:3], v[2:3], v[38:39], -v[16:17]
	s_delay_alu instid0(VALU_DEP_4) | instskip(NEXT) | instid1(VALU_DEP_4)
	v_add_f64 v[6:7], v[6:7], v[10:11]
	v_add_f64 v[8:9], v[8:9], v[12:13]
	s_delay_alu instid0(VALU_DEP_2) | instskip(NEXT) | instid1(VALU_DEP_2)
	v_add_f64 v[2:3], v[6:7], v[2:3]
	v_add_f64 v[4:5], v[8:9], v[4:5]
	s_waitcnt vmcnt(0)
	s_delay_alu instid0(VALU_DEP_2) | instskip(NEXT) | instid1(VALU_DEP_2)
	v_add_f64 v[2:3], v[169:170], -v[2:3]
	v_add_f64 v[4:5], v[171:172], -v[4:5]
	scratch_store_b128 off, v[2:5], off offset:512
	v_cmpx_lt_u32_e32 31, v126
	s_cbranch_execz .LBB41_203
; %bb.202:
	scratch_load_b128 v[5:8], v131, off
	v_mov_b32_e32 v2, v1
	v_mov_b32_e32 v3, v1
	;; [unrolled: 1-line block ×3, first 2 shown]
	scratch_store_b128 off, v[1:4], off offset:496
	s_waitcnt vmcnt(0)
	ds_store_b128 v168, v[5:8]
.LBB41_203:
	s_or_b32 exec_lo, exec_lo, s2
	s_waitcnt lgkmcnt(0)
	s_waitcnt_vscnt null, 0x0
	s_barrier
	buffer_gl0_inv
	s_clause 0x8
	scratch_load_b128 v[2:5], off, off offset:512
	scratch_load_b128 v[6:9], off, off offset:528
	;; [unrolled: 1-line block ×9, first 2 shown]
	ds_load_b128 v[38:41], v1 offset:1184
	ds_load_b128 v[169:172], v1 offset:1200
	s_clause 0x1
	scratch_load_b128 v[173:176], off, off offset:496
	scratch_load_b128 v[177:180], off, off offset:656
	s_mov_b32 s2, exec_lo
	s_waitcnt vmcnt(10) lgkmcnt(1)
	v_mul_f64 v[181:182], v[40:41], v[4:5]
	v_mul_f64 v[4:5], v[38:39], v[4:5]
	s_waitcnt vmcnt(9) lgkmcnt(0)
	v_mul_f64 v[183:184], v[169:170], v[8:9]
	v_mul_f64 v[8:9], v[171:172], v[8:9]
	s_delay_alu instid0(VALU_DEP_4) | instskip(NEXT) | instid1(VALU_DEP_4)
	v_fma_f64 v[181:182], v[38:39], v[2:3], -v[181:182]
	v_fma_f64 v[185:186], v[40:41], v[2:3], v[4:5]
	ds_load_b128 v[2:5], v1 offset:1216
	ds_load_b128 v[38:41], v1 offset:1232
	v_fma_f64 v[171:172], v[171:172], v[6:7], v[183:184]
	v_fma_f64 v[6:7], v[169:170], v[6:7], -v[8:9]
	s_waitcnt vmcnt(8) lgkmcnt(1)
	v_mul_f64 v[187:188], v[2:3], v[12:13]
	v_mul_f64 v[12:13], v[4:5], v[12:13]
	v_add_f64 v[8:9], v[181:182], 0
	v_add_f64 v[169:170], v[185:186], 0
	s_waitcnt vmcnt(7) lgkmcnt(0)
	v_mul_f64 v[181:182], v[38:39], v[16:17]
	v_mul_f64 v[16:17], v[40:41], v[16:17]
	v_fma_f64 v[183:184], v[4:5], v[10:11], v[187:188]
	v_fma_f64 v[10:11], v[2:3], v[10:11], -v[12:13]
	v_add_f64 v[12:13], v[8:9], v[6:7]
	v_add_f64 v[169:170], v[169:170], v[171:172]
	ds_load_b128 v[2:5], v1 offset:1248
	ds_load_b128 v[6:9], v1 offset:1264
	v_fma_f64 v[40:41], v[40:41], v[14:15], v[181:182]
	v_fma_f64 v[14:15], v[38:39], v[14:15], -v[16:17]
	s_waitcnt vmcnt(6) lgkmcnt(1)
	v_mul_f64 v[171:172], v[2:3], v[20:21]
	v_mul_f64 v[20:21], v[4:5], v[20:21]
	s_waitcnt vmcnt(5) lgkmcnt(0)
	v_mul_f64 v[16:17], v[6:7], v[24:25]
	v_mul_f64 v[24:25], v[8:9], v[24:25]
	v_add_f64 v[10:11], v[12:13], v[10:11]
	v_add_f64 v[12:13], v[169:170], v[183:184]
	v_fma_f64 v[38:39], v[4:5], v[18:19], v[171:172]
	v_fma_f64 v[18:19], v[2:3], v[18:19], -v[20:21]
	v_fma_f64 v[8:9], v[8:9], v[22:23], v[16:17]
	v_fma_f64 v[6:7], v[6:7], v[22:23], -v[24:25]
	v_add_f64 v[14:15], v[10:11], v[14:15]
	v_add_f64 v[20:21], v[12:13], v[40:41]
	ds_load_b128 v[2:5], v1 offset:1280
	ds_load_b128 v[10:13], v1 offset:1296
	s_waitcnt vmcnt(4) lgkmcnt(1)
	v_mul_f64 v[40:41], v[2:3], v[28:29]
	v_mul_f64 v[28:29], v[4:5], v[28:29]
	v_add_f64 v[14:15], v[14:15], v[18:19]
	v_add_f64 v[16:17], v[20:21], v[38:39]
	s_waitcnt vmcnt(3) lgkmcnt(0)
	v_mul_f64 v[18:19], v[10:11], v[32:33]
	v_mul_f64 v[20:21], v[12:13], v[32:33]
	v_fma_f64 v[22:23], v[4:5], v[26:27], v[40:41]
	v_fma_f64 v[24:25], v[2:3], v[26:27], -v[28:29]
	v_add_f64 v[14:15], v[14:15], v[6:7]
	v_add_f64 v[16:17], v[16:17], v[8:9]
	ds_load_b128 v[2:5], v1 offset:1312
	ds_load_b128 v[6:9], v1 offset:1328
	v_fma_f64 v[12:13], v[12:13], v[30:31], v[18:19]
	v_fma_f64 v[10:11], v[10:11], v[30:31], -v[20:21]
	s_waitcnt vmcnt(2) lgkmcnt(1)
	v_mul_f64 v[26:27], v[2:3], v[36:37]
	v_mul_f64 v[28:29], v[4:5], v[36:37]
	s_waitcnt vmcnt(0) lgkmcnt(0)
	v_mul_f64 v[18:19], v[6:7], v[179:180]
	v_mul_f64 v[20:21], v[8:9], v[179:180]
	v_add_f64 v[14:15], v[14:15], v[24:25]
	v_add_f64 v[16:17], v[16:17], v[22:23]
	v_fma_f64 v[4:5], v[4:5], v[34:35], v[26:27]
	v_fma_f64 v[1:2], v[2:3], v[34:35], -v[28:29]
	v_fma_f64 v[8:9], v[8:9], v[177:178], v[18:19]
	v_fma_f64 v[6:7], v[6:7], v[177:178], -v[20:21]
	v_add_f64 v[10:11], v[14:15], v[10:11]
	v_add_f64 v[12:13], v[16:17], v[12:13]
	s_delay_alu instid0(VALU_DEP_2) | instskip(NEXT) | instid1(VALU_DEP_2)
	v_add_f64 v[1:2], v[10:11], v[1:2]
	v_add_f64 v[3:4], v[12:13], v[4:5]
	s_delay_alu instid0(VALU_DEP_2) | instskip(NEXT) | instid1(VALU_DEP_2)
	;; [unrolled: 3-line block ×3, first 2 shown]
	v_add_f64 v[1:2], v[173:174], -v[1:2]
	v_add_f64 v[3:4], v[175:176], -v[3:4]
	scratch_store_b128 off, v[1:4], off offset:496
	v_cmpx_lt_u32_e32 30, v126
	s_cbranch_execz .LBB41_205
; %bb.204:
	scratch_load_b128 v[1:4], v130, off
	v_mov_b32_e32 v5, 0
	s_delay_alu instid0(VALU_DEP_1)
	v_mov_b32_e32 v6, v5
	v_mov_b32_e32 v7, v5
	;; [unrolled: 1-line block ×3, first 2 shown]
	scratch_store_b128 off, v[5:8], off offset:480
	s_waitcnt vmcnt(0)
	ds_store_b128 v168, v[1:4]
.LBB41_205:
	s_or_b32 exec_lo, exec_lo, s2
	s_waitcnt lgkmcnt(0)
	s_waitcnt_vscnt null, 0x0
	s_barrier
	buffer_gl0_inv
	s_clause 0x7
	scratch_load_b128 v[2:5], off, off offset:496
	scratch_load_b128 v[6:9], off, off offset:512
	;; [unrolled: 1-line block ×8, first 2 shown]
	v_mov_b32_e32 v1, 0
	s_clause 0x1
	scratch_load_b128 v[38:41], off, off offset:624
	scratch_load_b128 v[173:176], off, off offset:640
	s_mov_b32 s2, exec_lo
	ds_load_b128 v[34:37], v1 offset:1168
	ds_load_b128 v[169:172], v1 offset:1184
	s_waitcnt vmcnt(9) lgkmcnt(1)
	v_mul_f64 v[177:178], v[36:37], v[4:5]
	v_mul_f64 v[4:5], v[34:35], v[4:5]
	s_waitcnt vmcnt(8) lgkmcnt(0)
	v_mul_f64 v[179:180], v[169:170], v[8:9]
	v_mul_f64 v[8:9], v[171:172], v[8:9]
	s_delay_alu instid0(VALU_DEP_4) | instskip(NEXT) | instid1(VALU_DEP_4)
	v_fma_f64 v[177:178], v[34:35], v[2:3], -v[177:178]
	v_fma_f64 v[181:182], v[36:37], v[2:3], v[4:5]
	ds_load_b128 v[2:5], v1 offset:1200
	scratch_load_b128 v[34:37], off, off offset:656
	v_fma_f64 v[171:172], v[171:172], v[6:7], v[179:180]
	v_fma_f64 v[169:170], v[169:170], v[6:7], -v[8:9]
	ds_load_b128 v[6:9], v1 offset:1216
	s_waitcnt vmcnt(8) lgkmcnt(1)
	v_mul_f64 v[183:184], v[2:3], v[12:13]
	v_mul_f64 v[12:13], v[4:5], v[12:13]
	v_add_f64 v[177:178], v[177:178], 0
	v_add_f64 v[179:180], v[181:182], 0
	s_waitcnt vmcnt(7) lgkmcnt(0)
	v_mul_f64 v[181:182], v[6:7], v[16:17]
	v_mul_f64 v[16:17], v[8:9], v[16:17]
	v_fma_f64 v[183:184], v[4:5], v[10:11], v[183:184]
	v_fma_f64 v[10:11], v[2:3], v[10:11], -v[12:13]
	ds_load_b128 v[2:5], v1 offset:1232
	v_add_f64 v[12:13], v[177:178], v[169:170]
	v_add_f64 v[169:170], v[179:180], v[171:172]
	v_fma_f64 v[177:178], v[8:9], v[14:15], v[181:182]
	v_fma_f64 v[14:15], v[6:7], v[14:15], -v[16:17]
	ds_load_b128 v[6:9], v1 offset:1248
	s_waitcnt vmcnt(6) lgkmcnt(1)
	v_mul_f64 v[171:172], v[2:3], v[20:21]
	v_mul_f64 v[20:21], v[4:5], v[20:21]
	s_waitcnt vmcnt(5) lgkmcnt(0)
	v_mul_f64 v[179:180], v[6:7], v[24:25]
	v_mul_f64 v[24:25], v[8:9], v[24:25]
	v_add_f64 v[16:17], v[12:13], v[10:11]
	v_add_f64 v[169:170], v[169:170], v[183:184]
	scratch_load_b128 v[10:13], off, off offset:480
	v_fma_f64 v[171:172], v[4:5], v[18:19], v[171:172]
	v_fma_f64 v[18:19], v[2:3], v[18:19], -v[20:21]
	ds_load_b128 v[2:5], v1 offset:1264
	v_add_f64 v[14:15], v[16:17], v[14:15]
	v_add_f64 v[16:17], v[169:170], v[177:178]
	v_fma_f64 v[169:170], v[8:9], v[22:23], v[179:180]
	v_fma_f64 v[22:23], v[6:7], v[22:23], -v[24:25]
	ds_load_b128 v[6:9], v1 offset:1280
	s_waitcnt vmcnt(5) lgkmcnt(1)
	v_mul_f64 v[20:21], v[2:3], v[28:29]
	v_mul_f64 v[28:29], v[4:5], v[28:29]
	s_waitcnt vmcnt(4) lgkmcnt(0)
	v_mul_f64 v[24:25], v[8:9], v[32:33]
	v_add_f64 v[14:15], v[14:15], v[18:19]
	v_add_f64 v[16:17], v[16:17], v[171:172]
	v_mul_f64 v[18:19], v[6:7], v[32:33]
	v_fma_f64 v[20:21], v[4:5], v[26:27], v[20:21]
	v_fma_f64 v[26:27], v[2:3], v[26:27], -v[28:29]
	ds_load_b128 v[2:5], v1 offset:1296
	v_fma_f64 v[24:25], v[6:7], v[30:31], -v[24:25]
	v_add_f64 v[14:15], v[14:15], v[22:23]
	v_add_f64 v[16:17], v[16:17], v[169:170]
	v_fma_f64 v[18:19], v[8:9], v[30:31], v[18:19]
	ds_load_b128 v[6:9], v1 offset:1312
	s_waitcnt vmcnt(3) lgkmcnt(1)
	v_mul_f64 v[22:23], v[2:3], v[40:41]
	v_mul_f64 v[28:29], v[4:5], v[40:41]
	v_add_f64 v[14:15], v[14:15], v[26:27]
	v_add_f64 v[16:17], v[16:17], v[20:21]
	s_waitcnt vmcnt(2) lgkmcnt(0)
	v_mul_f64 v[20:21], v[6:7], v[175:176]
	v_mul_f64 v[26:27], v[8:9], v[175:176]
	v_fma_f64 v[22:23], v[4:5], v[38:39], v[22:23]
	v_fma_f64 v[28:29], v[2:3], v[38:39], -v[28:29]
	ds_load_b128 v[2:5], v1 offset:1328
	v_add_f64 v[14:15], v[14:15], v[24:25]
	v_add_f64 v[16:17], v[16:17], v[18:19]
	v_fma_f64 v[8:9], v[8:9], v[173:174], v[20:21]
	v_fma_f64 v[6:7], v[6:7], v[173:174], -v[26:27]
	s_waitcnt vmcnt(1) lgkmcnt(0)
	v_mul_f64 v[18:19], v[2:3], v[36:37]
	v_mul_f64 v[24:25], v[4:5], v[36:37]
	v_add_f64 v[14:15], v[14:15], v[28:29]
	v_add_f64 v[16:17], v[16:17], v[22:23]
	s_delay_alu instid0(VALU_DEP_4) | instskip(NEXT) | instid1(VALU_DEP_4)
	v_fma_f64 v[4:5], v[4:5], v[34:35], v[18:19]
	v_fma_f64 v[2:3], v[2:3], v[34:35], -v[24:25]
	s_delay_alu instid0(VALU_DEP_4) | instskip(NEXT) | instid1(VALU_DEP_4)
	v_add_f64 v[6:7], v[14:15], v[6:7]
	v_add_f64 v[8:9], v[16:17], v[8:9]
	s_delay_alu instid0(VALU_DEP_2) | instskip(NEXT) | instid1(VALU_DEP_2)
	v_add_f64 v[2:3], v[6:7], v[2:3]
	v_add_f64 v[4:5], v[8:9], v[4:5]
	s_waitcnt vmcnt(0)
	s_delay_alu instid0(VALU_DEP_2) | instskip(NEXT) | instid1(VALU_DEP_2)
	v_add_f64 v[2:3], v[10:11], -v[2:3]
	v_add_f64 v[4:5], v[12:13], -v[4:5]
	scratch_store_b128 off, v[2:5], off offset:480
	v_cmpx_lt_u32_e32 29, v126
	s_cbranch_execz .LBB41_207
; %bb.206:
	scratch_load_b128 v[5:8], v138, off
	v_mov_b32_e32 v2, v1
	v_mov_b32_e32 v3, v1
	;; [unrolled: 1-line block ×3, first 2 shown]
	scratch_store_b128 off, v[1:4], off offset:464
	s_waitcnt vmcnt(0)
	ds_store_b128 v168, v[5:8]
.LBB41_207:
	s_or_b32 exec_lo, exec_lo, s2
	s_waitcnt lgkmcnt(0)
	s_waitcnt_vscnt null, 0x0
	s_barrier
	buffer_gl0_inv
	s_clause 0x7
	scratch_load_b128 v[2:5], off, off offset:480
	scratch_load_b128 v[6:9], off, off offset:496
	;; [unrolled: 1-line block ×8, first 2 shown]
	ds_load_b128 v[34:37], v1 offset:1152
	ds_load_b128 v[169:172], v1 offset:1168
	s_clause 0x1
	scratch_load_b128 v[38:41], off, off offset:608
	scratch_load_b128 v[173:176], off, off offset:624
	s_mov_b32 s2, exec_lo
	s_waitcnt vmcnt(9) lgkmcnt(1)
	v_mul_f64 v[177:178], v[36:37], v[4:5]
	v_mul_f64 v[4:5], v[34:35], v[4:5]
	s_waitcnt vmcnt(8) lgkmcnt(0)
	v_mul_f64 v[179:180], v[169:170], v[8:9]
	v_mul_f64 v[8:9], v[171:172], v[8:9]
	s_delay_alu instid0(VALU_DEP_4) | instskip(NEXT) | instid1(VALU_DEP_4)
	v_fma_f64 v[177:178], v[34:35], v[2:3], -v[177:178]
	v_fma_f64 v[181:182], v[36:37], v[2:3], v[4:5]
	scratch_load_b128 v[34:37], off, off offset:640
	ds_load_b128 v[2:5], v1 offset:1184
	v_fma_f64 v[179:180], v[171:172], v[6:7], v[179:180]
	v_fma_f64 v[185:186], v[169:170], v[6:7], -v[8:9]
	ds_load_b128 v[6:9], v1 offset:1200
	scratch_load_b128 v[169:172], off, off offset:656
	s_waitcnt vmcnt(9) lgkmcnt(1)
	v_mul_f64 v[183:184], v[2:3], v[12:13]
	v_mul_f64 v[12:13], v[4:5], v[12:13]
	s_waitcnt vmcnt(8) lgkmcnt(0)
	v_mul_f64 v[187:188], v[6:7], v[16:17]
	v_mul_f64 v[16:17], v[8:9], v[16:17]
	v_add_f64 v[177:178], v[177:178], 0
	v_add_f64 v[181:182], v[181:182], 0
	v_fma_f64 v[183:184], v[4:5], v[10:11], v[183:184]
	v_fma_f64 v[10:11], v[2:3], v[10:11], -v[12:13]
	ds_load_b128 v[2:5], v1 offset:1216
	v_add_f64 v[12:13], v[177:178], v[185:186]
	v_add_f64 v[177:178], v[181:182], v[179:180]
	v_fma_f64 v[181:182], v[8:9], v[14:15], v[187:188]
	v_fma_f64 v[14:15], v[6:7], v[14:15], -v[16:17]
	ds_load_b128 v[6:9], v1 offset:1232
	s_waitcnt vmcnt(7) lgkmcnt(1)
	v_mul_f64 v[179:180], v[2:3], v[20:21]
	v_mul_f64 v[20:21], v[4:5], v[20:21]
	s_waitcnt vmcnt(6) lgkmcnt(0)
	v_mul_f64 v[16:17], v[6:7], v[24:25]
	v_mul_f64 v[24:25], v[8:9], v[24:25]
	v_add_f64 v[10:11], v[12:13], v[10:11]
	v_add_f64 v[12:13], v[177:178], v[183:184]
	v_fma_f64 v[177:178], v[4:5], v[18:19], v[179:180]
	v_fma_f64 v[18:19], v[2:3], v[18:19], -v[20:21]
	ds_load_b128 v[2:5], v1 offset:1248
	v_fma_f64 v[16:17], v[8:9], v[22:23], v[16:17]
	v_fma_f64 v[22:23], v[6:7], v[22:23], -v[24:25]
	ds_load_b128 v[6:9], v1 offset:1264
	s_waitcnt vmcnt(5) lgkmcnt(1)
	v_mul_f64 v[179:180], v[2:3], v[28:29]
	v_mul_f64 v[28:29], v[4:5], v[28:29]
	v_add_f64 v[14:15], v[10:11], v[14:15]
	v_add_f64 v[20:21], v[12:13], v[181:182]
	scratch_load_b128 v[10:13], off, off offset:464
	s_waitcnt vmcnt(5) lgkmcnt(0)
	v_mul_f64 v[24:25], v[8:9], v[32:33]
	v_add_f64 v[14:15], v[14:15], v[18:19]
	v_add_f64 v[18:19], v[20:21], v[177:178]
	v_mul_f64 v[20:21], v[6:7], v[32:33]
	v_fma_f64 v[32:33], v[4:5], v[26:27], v[179:180]
	v_fma_f64 v[26:27], v[2:3], v[26:27], -v[28:29]
	ds_load_b128 v[2:5], v1 offset:1280
	v_fma_f64 v[24:25], v[6:7], v[30:31], -v[24:25]
	v_add_f64 v[14:15], v[14:15], v[22:23]
	v_add_f64 v[16:17], v[18:19], v[16:17]
	v_fma_f64 v[20:21], v[8:9], v[30:31], v[20:21]
	ds_load_b128 v[6:9], v1 offset:1296
	s_waitcnt vmcnt(4) lgkmcnt(1)
	v_mul_f64 v[18:19], v[2:3], v[40:41]
	v_mul_f64 v[22:23], v[4:5], v[40:41]
	s_waitcnt vmcnt(3) lgkmcnt(0)
	v_mul_f64 v[28:29], v[8:9], v[175:176]
	v_add_f64 v[14:15], v[14:15], v[26:27]
	v_add_f64 v[16:17], v[16:17], v[32:33]
	v_mul_f64 v[26:27], v[6:7], v[175:176]
	v_fma_f64 v[18:19], v[4:5], v[38:39], v[18:19]
	v_fma_f64 v[22:23], v[2:3], v[38:39], -v[22:23]
	ds_load_b128 v[2:5], v1 offset:1312
	v_fma_f64 v[28:29], v[6:7], v[173:174], -v[28:29]
	v_add_f64 v[14:15], v[14:15], v[24:25]
	v_add_f64 v[16:17], v[16:17], v[20:21]
	v_fma_f64 v[26:27], v[8:9], v[173:174], v[26:27]
	ds_load_b128 v[6:9], v1 offset:1328
	s_waitcnt vmcnt(2) lgkmcnt(1)
	v_mul_f64 v[20:21], v[2:3], v[36:37]
	v_mul_f64 v[24:25], v[4:5], v[36:37]
	v_add_f64 v[14:15], v[14:15], v[22:23]
	v_add_f64 v[16:17], v[16:17], v[18:19]
	s_waitcnt vmcnt(1) lgkmcnt(0)
	v_mul_f64 v[18:19], v[6:7], v[171:172]
	v_mul_f64 v[22:23], v[8:9], v[171:172]
	v_fma_f64 v[4:5], v[4:5], v[34:35], v[20:21]
	v_fma_f64 v[1:2], v[2:3], v[34:35], -v[24:25]
	v_add_f64 v[14:15], v[14:15], v[28:29]
	v_add_f64 v[16:17], v[16:17], v[26:27]
	v_fma_f64 v[8:9], v[8:9], v[169:170], v[18:19]
	v_fma_f64 v[6:7], v[6:7], v[169:170], -v[22:23]
	s_delay_alu instid0(VALU_DEP_4) | instskip(NEXT) | instid1(VALU_DEP_4)
	v_add_f64 v[1:2], v[14:15], v[1:2]
	v_add_f64 v[3:4], v[16:17], v[4:5]
	s_delay_alu instid0(VALU_DEP_2) | instskip(NEXT) | instid1(VALU_DEP_2)
	v_add_f64 v[1:2], v[1:2], v[6:7]
	v_add_f64 v[3:4], v[3:4], v[8:9]
	s_waitcnt vmcnt(0)
	s_delay_alu instid0(VALU_DEP_2) | instskip(NEXT) | instid1(VALU_DEP_2)
	v_add_f64 v[1:2], v[10:11], -v[1:2]
	v_add_f64 v[3:4], v[12:13], -v[3:4]
	scratch_store_b128 off, v[1:4], off offset:464
	v_cmpx_lt_u32_e32 28, v126
	s_cbranch_execz .LBB41_209
; %bb.208:
	scratch_load_b128 v[1:4], v139, off
	v_mov_b32_e32 v5, 0
	s_delay_alu instid0(VALU_DEP_1)
	v_mov_b32_e32 v6, v5
	v_mov_b32_e32 v7, v5
	v_mov_b32_e32 v8, v5
	scratch_store_b128 off, v[5:8], off offset:448
	s_waitcnt vmcnt(0)
	ds_store_b128 v168, v[1:4]
.LBB41_209:
	s_or_b32 exec_lo, exec_lo, s2
	s_waitcnt lgkmcnt(0)
	s_waitcnt_vscnt null, 0x0
	s_barrier
	buffer_gl0_inv
	s_clause 0x7
	scratch_load_b128 v[2:5], off, off offset:464
	scratch_load_b128 v[6:9], off, off offset:480
	;; [unrolled: 1-line block ×8, first 2 shown]
	v_mov_b32_e32 v1, 0
	s_clause 0x1
	scratch_load_b128 v[38:41], off, off offset:592
	scratch_load_b128 v[173:176], off, off offset:608
	s_mov_b32 s2, exec_lo
	ds_load_b128 v[34:37], v1 offset:1136
	ds_load_b128 v[169:172], v1 offset:1152
	s_waitcnt vmcnt(9) lgkmcnt(1)
	v_mul_f64 v[177:178], v[36:37], v[4:5]
	v_mul_f64 v[4:5], v[34:35], v[4:5]
	s_waitcnt vmcnt(8) lgkmcnt(0)
	v_mul_f64 v[179:180], v[169:170], v[8:9]
	v_mul_f64 v[8:9], v[171:172], v[8:9]
	s_delay_alu instid0(VALU_DEP_4) | instskip(NEXT) | instid1(VALU_DEP_4)
	v_fma_f64 v[177:178], v[34:35], v[2:3], -v[177:178]
	v_fma_f64 v[181:182], v[36:37], v[2:3], v[4:5]
	ds_load_b128 v[2:5], v1 offset:1168
	scratch_load_b128 v[34:37], off, off offset:624
	v_fma_f64 v[179:180], v[171:172], v[6:7], v[179:180]
	v_fma_f64 v[185:186], v[169:170], v[6:7], -v[8:9]
	ds_load_b128 v[6:9], v1 offset:1184
	scratch_load_b128 v[169:172], off, off offset:640
	s_waitcnt vmcnt(9) lgkmcnt(1)
	v_mul_f64 v[183:184], v[2:3], v[12:13]
	v_mul_f64 v[12:13], v[4:5], v[12:13]
	s_waitcnt vmcnt(8) lgkmcnt(0)
	v_mul_f64 v[187:188], v[6:7], v[16:17]
	v_mul_f64 v[16:17], v[8:9], v[16:17]
	v_add_f64 v[177:178], v[177:178], 0
	v_add_f64 v[181:182], v[181:182], 0
	v_fma_f64 v[183:184], v[4:5], v[10:11], v[183:184]
	v_fma_f64 v[189:190], v[2:3], v[10:11], -v[12:13]
	scratch_load_b128 v[10:13], off, off offset:656
	ds_load_b128 v[2:5], v1 offset:1200
	v_add_f64 v[177:178], v[177:178], v[185:186]
	v_add_f64 v[179:180], v[181:182], v[179:180]
	v_fma_f64 v[185:186], v[8:9], v[14:15], v[187:188]
	v_fma_f64 v[14:15], v[6:7], v[14:15], -v[16:17]
	ds_load_b128 v[6:9], v1 offset:1216
	s_waitcnt vmcnt(8) lgkmcnt(1)
	v_mul_f64 v[181:182], v[2:3], v[20:21]
	v_mul_f64 v[20:21], v[4:5], v[20:21]
	v_add_f64 v[16:17], v[177:178], v[189:190]
	v_add_f64 v[177:178], v[179:180], v[183:184]
	s_waitcnt vmcnt(7) lgkmcnt(0)
	v_mul_f64 v[179:180], v[6:7], v[24:25]
	v_mul_f64 v[24:25], v[8:9], v[24:25]
	v_fma_f64 v[181:182], v[4:5], v[18:19], v[181:182]
	v_fma_f64 v[18:19], v[2:3], v[18:19], -v[20:21]
	ds_load_b128 v[2:5], v1 offset:1232
	v_add_f64 v[14:15], v[16:17], v[14:15]
	v_add_f64 v[16:17], v[177:178], v[185:186]
	v_fma_f64 v[177:178], v[8:9], v[22:23], v[179:180]
	v_fma_f64 v[22:23], v[6:7], v[22:23], -v[24:25]
	ds_load_b128 v[6:9], v1 offset:1248
	s_waitcnt vmcnt(6) lgkmcnt(1)
	v_mul_f64 v[20:21], v[2:3], v[28:29]
	v_mul_f64 v[28:29], v[4:5], v[28:29]
	s_waitcnt vmcnt(5) lgkmcnt(0)
	v_mul_f64 v[179:180], v[6:7], v[32:33]
	v_mul_f64 v[32:33], v[8:9], v[32:33]
	v_add_f64 v[18:19], v[14:15], v[18:19]
	v_add_f64 v[24:25], v[16:17], v[181:182]
	scratch_load_b128 v[14:17], off, off offset:448
	v_fma_f64 v[20:21], v[4:5], v[26:27], v[20:21]
	v_fma_f64 v[26:27], v[2:3], v[26:27], -v[28:29]
	ds_load_b128 v[2:5], v1 offset:1264
	s_waitcnt vmcnt(5) lgkmcnt(0)
	v_mul_f64 v[28:29], v[4:5], v[40:41]
	v_add_f64 v[18:19], v[18:19], v[22:23]
	v_add_f64 v[22:23], v[24:25], v[177:178]
	v_mul_f64 v[24:25], v[2:3], v[40:41]
	v_fma_f64 v[40:41], v[8:9], v[30:31], v[179:180]
	v_fma_f64 v[30:31], v[6:7], v[30:31], -v[32:33]
	ds_load_b128 v[6:9], v1 offset:1280
	v_fma_f64 v[28:29], v[2:3], v[38:39], -v[28:29]
	v_add_f64 v[18:19], v[18:19], v[26:27]
	v_add_f64 v[20:21], v[22:23], v[20:21]
	v_fma_f64 v[24:25], v[4:5], v[38:39], v[24:25]
	ds_load_b128 v[2:5], v1 offset:1296
	s_waitcnt vmcnt(4) lgkmcnt(1)
	v_mul_f64 v[22:23], v[6:7], v[175:176]
	v_mul_f64 v[26:27], v[8:9], v[175:176]
	v_add_f64 v[18:19], v[18:19], v[30:31]
	v_add_f64 v[20:21], v[20:21], v[40:41]
	s_delay_alu instid0(VALU_DEP_4) | instskip(NEXT) | instid1(VALU_DEP_4)
	v_fma_f64 v[22:23], v[8:9], v[173:174], v[22:23]
	v_fma_f64 v[26:27], v[6:7], v[173:174], -v[26:27]
	ds_load_b128 v[6:9], v1 offset:1312
	s_waitcnt vmcnt(3) lgkmcnt(1)
	v_mul_f64 v[30:31], v[2:3], v[36:37]
	v_mul_f64 v[32:33], v[4:5], v[36:37]
	v_add_f64 v[18:19], v[18:19], v[28:29]
	v_add_f64 v[20:21], v[20:21], v[24:25]
	s_delay_alu instid0(VALU_DEP_4) | instskip(NEXT) | instid1(VALU_DEP_4)
	v_fma_f64 v[30:31], v[4:5], v[34:35], v[30:31]
	v_fma_f64 v[32:33], v[2:3], v[34:35], -v[32:33]
	ds_load_b128 v[2:5], v1 offset:1328
	s_waitcnt vmcnt(2) lgkmcnt(1)
	v_mul_f64 v[24:25], v[6:7], v[171:172]
	v_mul_f64 v[28:29], v[8:9], v[171:172]
	v_add_f64 v[18:19], v[18:19], v[26:27]
	v_add_f64 v[20:21], v[20:21], v[22:23]
	s_waitcnt vmcnt(1) lgkmcnt(0)
	v_mul_f64 v[22:23], v[2:3], v[12:13]
	v_mul_f64 v[12:13], v[4:5], v[12:13]
	v_fma_f64 v[8:9], v[8:9], v[169:170], v[24:25]
	v_fma_f64 v[6:7], v[6:7], v[169:170], -v[28:29]
	v_add_f64 v[18:19], v[18:19], v[32:33]
	v_add_f64 v[20:21], v[20:21], v[30:31]
	v_fma_f64 v[4:5], v[4:5], v[10:11], v[22:23]
	v_fma_f64 v[2:3], v[2:3], v[10:11], -v[12:13]
	s_delay_alu instid0(VALU_DEP_4) | instskip(NEXT) | instid1(VALU_DEP_4)
	v_add_f64 v[6:7], v[18:19], v[6:7]
	v_add_f64 v[8:9], v[20:21], v[8:9]
	s_delay_alu instid0(VALU_DEP_2) | instskip(NEXT) | instid1(VALU_DEP_2)
	v_add_f64 v[2:3], v[6:7], v[2:3]
	v_add_f64 v[4:5], v[8:9], v[4:5]
	s_waitcnt vmcnt(0)
	s_delay_alu instid0(VALU_DEP_2) | instskip(NEXT) | instid1(VALU_DEP_2)
	v_add_f64 v[2:3], v[14:15], -v[2:3]
	v_add_f64 v[4:5], v[16:17], -v[4:5]
	scratch_store_b128 off, v[2:5], off offset:448
	v_cmpx_lt_u32_e32 27, v126
	s_cbranch_execz .LBB41_211
; %bb.210:
	scratch_load_b128 v[5:8], v142, off
	v_mov_b32_e32 v2, v1
	v_mov_b32_e32 v3, v1
	;; [unrolled: 1-line block ×3, first 2 shown]
	scratch_store_b128 off, v[1:4], off offset:432
	s_waitcnt vmcnt(0)
	ds_store_b128 v168, v[5:8]
.LBB41_211:
	s_or_b32 exec_lo, exec_lo, s2
	s_waitcnt lgkmcnt(0)
	s_waitcnt_vscnt null, 0x0
	s_barrier
	buffer_gl0_inv
	s_clause 0x7
	scratch_load_b128 v[2:5], off, off offset:448
	scratch_load_b128 v[6:9], off, off offset:464
	;; [unrolled: 1-line block ×8, first 2 shown]
	ds_load_b128 v[34:37], v1 offset:1120
	ds_load_b128 v[169:172], v1 offset:1136
	s_clause 0x1
	scratch_load_b128 v[38:41], off, off offset:576
	scratch_load_b128 v[173:176], off, off offset:592
	s_mov_b32 s2, exec_lo
	s_waitcnt vmcnt(9) lgkmcnt(1)
	v_mul_f64 v[177:178], v[36:37], v[4:5]
	v_mul_f64 v[4:5], v[34:35], v[4:5]
	s_waitcnt vmcnt(8) lgkmcnt(0)
	v_mul_f64 v[179:180], v[169:170], v[8:9]
	v_mul_f64 v[8:9], v[171:172], v[8:9]
	s_delay_alu instid0(VALU_DEP_4) | instskip(NEXT) | instid1(VALU_DEP_4)
	v_fma_f64 v[177:178], v[34:35], v[2:3], -v[177:178]
	v_fma_f64 v[181:182], v[36:37], v[2:3], v[4:5]
	scratch_load_b128 v[34:37], off, off offset:608
	ds_load_b128 v[2:5], v1 offset:1152
	v_fma_f64 v[179:180], v[171:172], v[6:7], v[179:180]
	v_fma_f64 v[185:186], v[169:170], v[6:7], -v[8:9]
	ds_load_b128 v[6:9], v1 offset:1168
	scratch_load_b128 v[169:172], off, off offset:624
	s_waitcnt vmcnt(9) lgkmcnt(1)
	v_mul_f64 v[183:184], v[2:3], v[12:13]
	v_mul_f64 v[12:13], v[4:5], v[12:13]
	s_waitcnt vmcnt(8) lgkmcnt(0)
	v_mul_f64 v[187:188], v[6:7], v[16:17]
	v_mul_f64 v[16:17], v[8:9], v[16:17]
	v_add_f64 v[177:178], v[177:178], 0
	v_add_f64 v[181:182], v[181:182], 0
	v_fma_f64 v[183:184], v[4:5], v[10:11], v[183:184]
	v_fma_f64 v[189:190], v[2:3], v[10:11], -v[12:13]
	scratch_load_b128 v[10:13], off, off offset:640
	ds_load_b128 v[2:5], v1 offset:1184
	v_add_f64 v[177:178], v[177:178], v[185:186]
	v_add_f64 v[179:180], v[181:182], v[179:180]
	v_fma_f64 v[185:186], v[8:9], v[14:15], v[187:188]
	v_fma_f64 v[187:188], v[6:7], v[14:15], -v[16:17]
	ds_load_b128 v[6:9], v1 offset:1200
	scratch_load_b128 v[14:17], off, off offset:656
	s_waitcnt vmcnt(9) lgkmcnt(1)
	v_mul_f64 v[181:182], v[2:3], v[20:21]
	v_mul_f64 v[20:21], v[4:5], v[20:21]
	v_add_f64 v[177:178], v[177:178], v[189:190]
	v_add_f64 v[179:180], v[179:180], v[183:184]
	s_waitcnt vmcnt(8) lgkmcnt(0)
	v_mul_f64 v[183:184], v[6:7], v[24:25]
	v_mul_f64 v[24:25], v[8:9], v[24:25]
	v_fma_f64 v[181:182], v[4:5], v[18:19], v[181:182]
	v_fma_f64 v[18:19], v[2:3], v[18:19], -v[20:21]
	ds_load_b128 v[2:5], v1 offset:1216
	v_add_f64 v[20:21], v[177:178], v[187:188]
	v_add_f64 v[177:178], v[179:180], v[185:186]
	v_fma_f64 v[183:184], v[8:9], v[22:23], v[183:184]
	v_fma_f64 v[22:23], v[6:7], v[22:23], -v[24:25]
	ds_load_b128 v[6:9], v1 offset:1232
	s_waitcnt vmcnt(7) lgkmcnt(1)
	v_mul_f64 v[179:180], v[2:3], v[28:29]
	v_mul_f64 v[28:29], v[4:5], v[28:29]
	s_waitcnt vmcnt(6) lgkmcnt(0)
	v_mul_f64 v[24:25], v[6:7], v[32:33]
	v_mul_f64 v[32:33], v[8:9], v[32:33]
	v_add_f64 v[18:19], v[20:21], v[18:19]
	v_add_f64 v[20:21], v[177:178], v[181:182]
	v_fma_f64 v[177:178], v[4:5], v[26:27], v[179:180]
	v_fma_f64 v[26:27], v[2:3], v[26:27], -v[28:29]
	ds_load_b128 v[2:5], v1 offset:1248
	v_fma_f64 v[24:25], v[8:9], v[30:31], v[24:25]
	v_fma_f64 v[30:31], v[6:7], v[30:31], -v[32:33]
	ds_load_b128 v[6:9], v1 offset:1264
	v_add_f64 v[22:23], v[18:19], v[22:23]
	v_add_f64 v[28:29], v[20:21], v[183:184]
	scratch_load_b128 v[18:21], off, off offset:432
	s_waitcnt vmcnt(6) lgkmcnt(1)
	v_mul_f64 v[179:180], v[2:3], v[40:41]
	v_mul_f64 v[40:41], v[4:5], v[40:41]
	s_waitcnt vmcnt(5) lgkmcnt(0)
	v_mul_f64 v[32:33], v[8:9], v[175:176]
	v_add_f64 v[22:23], v[22:23], v[26:27]
	v_add_f64 v[26:27], v[28:29], v[177:178]
	v_mul_f64 v[28:29], v[6:7], v[175:176]
	v_fma_f64 v[175:176], v[4:5], v[38:39], v[179:180]
	v_fma_f64 v[38:39], v[2:3], v[38:39], -v[40:41]
	ds_load_b128 v[2:5], v1 offset:1280
	v_fma_f64 v[32:33], v[6:7], v[173:174], -v[32:33]
	v_add_f64 v[22:23], v[22:23], v[30:31]
	v_add_f64 v[24:25], v[26:27], v[24:25]
	v_fma_f64 v[28:29], v[8:9], v[173:174], v[28:29]
	ds_load_b128 v[6:9], v1 offset:1296
	s_waitcnt vmcnt(4) lgkmcnt(1)
	v_mul_f64 v[26:27], v[2:3], v[36:37]
	v_mul_f64 v[30:31], v[4:5], v[36:37]
	s_waitcnt vmcnt(3) lgkmcnt(0)
	v_mul_f64 v[36:37], v[6:7], v[171:172]
	v_add_f64 v[22:23], v[22:23], v[38:39]
	v_add_f64 v[24:25], v[24:25], v[175:176]
	v_mul_f64 v[38:39], v[8:9], v[171:172]
	v_fma_f64 v[26:27], v[4:5], v[34:35], v[26:27]
	v_fma_f64 v[30:31], v[2:3], v[34:35], -v[30:31]
	ds_load_b128 v[2:5], v1 offset:1312
	v_add_f64 v[22:23], v[22:23], v[32:33]
	v_add_f64 v[24:25], v[24:25], v[28:29]
	v_fma_f64 v[32:33], v[8:9], v[169:170], v[36:37]
	v_fma_f64 v[34:35], v[6:7], v[169:170], -v[38:39]
	ds_load_b128 v[6:9], v1 offset:1328
	s_waitcnt vmcnt(2) lgkmcnt(1)
	v_mul_f64 v[28:29], v[2:3], v[12:13]
	v_mul_f64 v[12:13], v[4:5], v[12:13]
	v_add_f64 v[22:23], v[22:23], v[30:31]
	v_add_f64 v[24:25], v[24:25], v[26:27]
	s_waitcnt vmcnt(1) lgkmcnt(0)
	v_mul_f64 v[26:27], v[6:7], v[16:17]
	v_mul_f64 v[16:17], v[8:9], v[16:17]
	v_fma_f64 v[4:5], v[4:5], v[10:11], v[28:29]
	v_fma_f64 v[1:2], v[2:3], v[10:11], -v[12:13]
	v_add_f64 v[10:11], v[22:23], v[34:35]
	v_add_f64 v[12:13], v[24:25], v[32:33]
	v_fma_f64 v[8:9], v[8:9], v[14:15], v[26:27]
	v_fma_f64 v[6:7], v[6:7], v[14:15], -v[16:17]
	s_delay_alu instid0(VALU_DEP_4) | instskip(NEXT) | instid1(VALU_DEP_4)
	v_add_f64 v[1:2], v[10:11], v[1:2]
	v_add_f64 v[3:4], v[12:13], v[4:5]
	s_delay_alu instid0(VALU_DEP_2) | instskip(NEXT) | instid1(VALU_DEP_2)
	v_add_f64 v[1:2], v[1:2], v[6:7]
	v_add_f64 v[3:4], v[3:4], v[8:9]
	s_waitcnt vmcnt(0)
	s_delay_alu instid0(VALU_DEP_2) | instskip(NEXT) | instid1(VALU_DEP_2)
	v_add_f64 v[1:2], v[18:19], -v[1:2]
	v_add_f64 v[3:4], v[20:21], -v[3:4]
	scratch_store_b128 off, v[1:4], off offset:432
	v_cmpx_lt_u32_e32 26, v126
	s_cbranch_execz .LBB41_213
; %bb.212:
	scratch_load_b128 v[1:4], v141, off
	v_mov_b32_e32 v5, 0
	s_delay_alu instid0(VALU_DEP_1)
	v_mov_b32_e32 v6, v5
	v_mov_b32_e32 v7, v5
	;; [unrolled: 1-line block ×3, first 2 shown]
	scratch_store_b128 off, v[5:8], off offset:416
	s_waitcnt vmcnt(0)
	ds_store_b128 v168, v[1:4]
.LBB41_213:
	s_or_b32 exec_lo, exec_lo, s2
	s_waitcnt lgkmcnt(0)
	s_waitcnt_vscnt null, 0x0
	s_barrier
	buffer_gl0_inv
	s_clause 0x7
	scratch_load_b128 v[2:5], off, off offset:432
	scratch_load_b128 v[6:9], off, off offset:448
	;; [unrolled: 1-line block ×8, first 2 shown]
	v_mov_b32_e32 v1, 0
	s_clause 0x1
	scratch_load_b128 v[38:41], off, off offset:560
	scratch_load_b128 v[173:176], off, off offset:576
	s_mov_b32 s2, exec_lo
	ds_load_b128 v[34:37], v1 offset:1104
	ds_load_b128 v[169:172], v1 offset:1120
	s_waitcnt vmcnt(9) lgkmcnt(1)
	v_mul_f64 v[177:178], v[36:37], v[4:5]
	v_mul_f64 v[4:5], v[34:35], v[4:5]
	s_waitcnt vmcnt(8) lgkmcnt(0)
	v_mul_f64 v[179:180], v[169:170], v[8:9]
	v_mul_f64 v[8:9], v[171:172], v[8:9]
	s_delay_alu instid0(VALU_DEP_4) | instskip(NEXT) | instid1(VALU_DEP_4)
	v_fma_f64 v[177:178], v[34:35], v[2:3], -v[177:178]
	v_fma_f64 v[181:182], v[36:37], v[2:3], v[4:5]
	ds_load_b128 v[2:5], v1 offset:1136
	scratch_load_b128 v[34:37], off, off offset:592
	v_fma_f64 v[179:180], v[171:172], v[6:7], v[179:180]
	v_fma_f64 v[185:186], v[169:170], v[6:7], -v[8:9]
	ds_load_b128 v[6:9], v1 offset:1152
	scratch_load_b128 v[169:172], off, off offset:608
	s_waitcnt vmcnt(9) lgkmcnt(1)
	v_mul_f64 v[183:184], v[2:3], v[12:13]
	v_mul_f64 v[12:13], v[4:5], v[12:13]
	s_waitcnt vmcnt(8) lgkmcnt(0)
	v_mul_f64 v[187:188], v[6:7], v[16:17]
	v_mul_f64 v[16:17], v[8:9], v[16:17]
	v_add_f64 v[177:178], v[177:178], 0
	v_add_f64 v[181:182], v[181:182], 0
	v_fma_f64 v[183:184], v[4:5], v[10:11], v[183:184]
	v_fma_f64 v[189:190], v[2:3], v[10:11], -v[12:13]
	scratch_load_b128 v[10:13], off, off offset:624
	ds_load_b128 v[2:5], v1 offset:1168
	v_add_f64 v[177:178], v[177:178], v[185:186]
	v_add_f64 v[179:180], v[181:182], v[179:180]
	v_fma_f64 v[185:186], v[8:9], v[14:15], v[187:188]
	v_fma_f64 v[187:188], v[6:7], v[14:15], -v[16:17]
	ds_load_b128 v[6:9], v1 offset:1184
	scratch_load_b128 v[14:17], off, off offset:640
	s_waitcnt vmcnt(9) lgkmcnt(1)
	v_mul_f64 v[181:182], v[2:3], v[20:21]
	v_mul_f64 v[20:21], v[4:5], v[20:21]
	v_add_f64 v[177:178], v[177:178], v[189:190]
	v_add_f64 v[179:180], v[179:180], v[183:184]
	s_waitcnt vmcnt(8) lgkmcnt(0)
	v_mul_f64 v[183:184], v[6:7], v[24:25]
	v_mul_f64 v[24:25], v[8:9], v[24:25]
	v_fma_f64 v[181:182], v[4:5], v[18:19], v[181:182]
	v_fma_f64 v[189:190], v[2:3], v[18:19], -v[20:21]
	scratch_load_b128 v[18:21], off, off offset:656
	ds_load_b128 v[2:5], v1 offset:1200
	v_add_f64 v[177:178], v[177:178], v[187:188]
	v_add_f64 v[179:180], v[179:180], v[185:186]
	v_fma_f64 v[183:184], v[8:9], v[22:23], v[183:184]
	v_fma_f64 v[22:23], v[6:7], v[22:23], -v[24:25]
	ds_load_b128 v[6:9], v1 offset:1216
	s_waitcnt vmcnt(8) lgkmcnt(1)
	v_mul_f64 v[185:186], v[2:3], v[28:29]
	v_mul_f64 v[28:29], v[4:5], v[28:29]
	v_add_f64 v[24:25], v[177:178], v[189:190]
	v_add_f64 v[177:178], v[179:180], v[181:182]
	s_waitcnt vmcnt(7) lgkmcnt(0)
	v_mul_f64 v[179:180], v[6:7], v[32:33]
	v_mul_f64 v[32:33], v[8:9], v[32:33]
	v_fma_f64 v[181:182], v[4:5], v[26:27], v[185:186]
	v_fma_f64 v[26:27], v[2:3], v[26:27], -v[28:29]
	ds_load_b128 v[2:5], v1 offset:1232
	v_add_f64 v[22:23], v[24:25], v[22:23]
	v_add_f64 v[24:25], v[177:178], v[183:184]
	v_fma_f64 v[177:178], v[8:9], v[30:31], v[179:180]
	v_fma_f64 v[30:31], v[6:7], v[30:31], -v[32:33]
	ds_load_b128 v[6:9], v1 offset:1248
	s_waitcnt vmcnt(5) lgkmcnt(0)
	v_mul_f64 v[179:180], v[6:7], v[175:176]
	v_mul_f64 v[175:176], v[8:9], v[175:176]
	v_add_f64 v[26:27], v[22:23], v[26:27]
	v_add_f64 v[32:33], v[24:25], v[181:182]
	scratch_load_b128 v[22:25], off, off offset:416
	v_mul_f64 v[28:29], v[2:3], v[40:41]
	v_mul_f64 v[40:41], v[4:5], v[40:41]
	v_add_f64 v[26:27], v[26:27], v[30:31]
	v_add_f64 v[30:31], v[32:33], v[177:178]
	s_delay_alu instid0(VALU_DEP_4) | instskip(NEXT) | instid1(VALU_DEP_4)
	v_fma_f64 v[28:29], v[4:5], v[38:39], v[28:29]
	v_fma_f64 v[38:39], v[2:3], v[38:39], -v[40:41]
	ds_load_b128 v[2:5], v1 offset:1264
	v_fma_f64 v[40:41], v[8:9], v[173:174], v[179:180]
	v_fma_f64 v[173:174], v[6:7], v[173:174], -v[175:176]
	ds_load_b128 v[6:9], v1 offset:1280
	s_waitcnt vmcnt(5) lgkmcnt(1)
	v_mul_f64 v[32:33], v[2:3], v[36:37]
	v_mul_f64 v[36:37], v[4:5], v[36:37]
	v_add_f64 v[28:29], v[30:31], v[28:29]
	v_add_f64 v[26:27], v[26:27], v[38:39]
	s_waitcnt vmcnt(4) lgkmcnt(0)
	v_mul_f64 v[30:31], v[6:7], v[171:172]
	v_mul_f64 v[38:39], v[8:9], v[171:172]
	v_fma_f64 v[32:33], v[4:5], v[34:35], v[32:33]
	v_fma_f64 v[34:35], v[2:3], v[34:35], -v[36:37]
	ds_load_b128 v[2:5], v1 offset:1296
	v_add_f64 v[28:29], v[28:29], v[40:41]
	v_add_f64 v[26:27], v[26:27], v[173:174]
	v_fma_f64 v[30:31], v[8:9], v[169:170], v[30:31]
	v_fma_f64 v[38:39], v[6:7], v[169:170], -v[38:39]
	ds_load_b128 v[6:9], v1 offset:1312
	s_waitcnt vmcnt(3) lgkmcnt(1)
	v_mul_f64 v[36:37], v[2:3], v[12:13]
	v_mul_f64 v[12:13], v[4:5], v[12:13]
	v_add_f64 v[28:29], v[28:29], v[32:33]
	v_add_f64 v[26:27], v[26:27], v[34:35]
	s_waitcnt vmcnt(2) lgkmcnt(0)
	v_mul_f64 v[32:33], v[6:7], v[16:17]
	v_mul_f64 v[16:17], v[8:9], v[16:17]
	v_fma_f64 v[34:35], v[4:5], v[10:11], v[36:37]
	v_fma_f64 v[10:11], v[2:3], v[10:11], -v[12:13]
	ds_load_b128 v[2:5], v1 offset:1328
	v_add_f64 v[12:13], v[26:27], v[38:39]
	v_add_f64 v[26:27], v[28:29], v[30:31]
	s_waitcnt vmcnt(1) lgkmcnt(0)
	v_mul_f64 v[28:29], v[2:3], v[20:21]
	v_mul_f64 v[20:21], v[4:5], v[20:21]
	v_fma_f64 v[8:9], v[8:9], v[14:15], v[32:33]
	v_fma_f64 v[6:7], v[6:7], v[14:15], -v[16:17]
	v_add_f64 v[10:11], v[12:13], v[10:11]
	v_add_f64 v[12:13], v[26:27], v[34:35]
	v_fma_f64 v[4:5], v[4:5], v[18:19], v[28:29]
	v_fma_f64 v[2:3], v[2:3], v[18:19], -v[20:21]
	s_delay_alu instid0(VALU_DEP_4) | instskip(NEXT) | instid1(VALU_DEP_4)
	v_add_f64 v[6:7], v[10:11], v[6:7]
	v_add_f64 v[8:9], v[12:13], v[8:9]
	s_delay_alu instid0(VALU_DEP_2) | instskip(NEXT) | instid1(VALU_DEP_2)
	v_add_f64 v[2:3], v[6:7], v[2:3]
	v_add_f64 v[4:5], v[8:9], v[4:5]
	s_waitcnt vmcnt(0)
	s_delay_alu instid0(VALU_DEP_2) | instskip(NEXT) | instid1(VALU_DEP_2)
	v_add_f64 v[2:3], v[22:23], -v[2:3]
	v_add_f64 v[4:5], v[24:25], -v[4:5]
	scratch_store_b128 off, v[2:5], off offset:416
	v_cmpx_lt_u32_e32 25, v126
	s_cbranch_execz .LBB41_215
; %bb.214:
	scratch_load_b128 v[5:8], v143, off
	v_mov_b32_e32 v2, v1
	v_mov_b32_e32 v3, v1
	v_mov_b32_e32 v4, v1
	scratch_store_b128 off, v[1:4], off offset:400
	s_waitcnt vmcnt(0)
	ds_store_b128 v168, v[5:8]
.LBB41_215:
	s_or_b32 exec_lo, exec_lo, s2
	s_waitcnt lgkmcnt(0)
	s_waitcnt_vscnt null, 0x0
	s_barrier
	buffer_gl0_inv
	s_clause 0x7
	scratch_load_b128 v[2:5], off, off offset:416
	scratch_load_b128 v[6:9], off, off offset:432
	;; [unrolled: 1-line block ×8, first 2 shown]
	ds_load_b128 v[34:37], v1 offset:1088
	ds_load_b128 v[169:172], v1 offset:1104
	s_clause 0x1
	scratch_load_b128 v[38:41], off, off offset:544
	scratch_load_b128 v[173:176], off, off offset:560
	s_mov_b32 s2, exec_lo
	s_waitcnt vmcnt(9) lgkmcnt(1)
	v_mul_f64 v[177:178], v[36:37], v[4:5]
	v_mul_f64 v[4:5], v[34:35], v[4:5]
	s_waitcnt vmcnt(8) lgkmcnt(0)
	v_mul_f64 v[179:180], v[169:170], v[8:9]
	v_mul_f64 v[8:9], v[171:172], v[8:9]
	s_delay_alu instid0(VALU_DEP_4) | instskip(NEXT) | instid1(VALU_DEP_4)
	v_fma_f64 v[177:178], v[34:35], v[2:3], -v[177:178]
	v_fma_f64 v[181:182], v[36:37], v[2:3], v[4:5]
	ds_load_b128 v[2:5], v1 offset:1120
	scratch_load_b128 v[34:37], off, off offset:576
	v_fma_f64 v[179:180], v[171:172], v[6:7], v[179:180]
	v_fma_f64 v[185:186], v[169:170], v[6:7], -v[8:9]
	ds_load_b128 v[6:9], v1 offset:1136
	scratch_load_b128 v[169:172], off, off offset:592
	s_waitcnt vmcnt(9) lgkmcnt(1)
	v_mul_f64 v[183:184], v[2:3], v[12:13]
	v_mul_f64 v[12:13], v[4:5], v[12:13]
	s_waitcnt vmcnt(8) lgkmcnt(0)
	v_mul_f64 v[187:188], v[6:7], v[16:17]
	v_mul_f64 v[16:17], v[8:9], v[16:17]
	v_add_f64 v[177:178], v[177:178], 0
	v_add_f64 v[181:182], v[181:182], 0
	v_fma_f64 v[183:184], v[4:5], v[10:11], v[183:184]
	v_fma_f64 v[189:190], v[2:3], v[10:11], -v[12:13]
	scratch_load_b128 v[10:13], off, off offset:608
	ds_load_b128 v[2:5], v1 offset:1152
	v_add_f64 v[177:178], v[177:178], v[185:186]
	v_add_f64 v[179:180], v[181:182], v[179:180]
	v_fma_f64 v[185:186], v[8:9], v[14:15], v[187:188]
	v_fma_f64 v[187:188], v[6:7], v[14:15], -v[16:17]
	ds_load_b128 v[6:9], v1 offset:1168
	scratch_load_b128 v[14:17], off, off offset:624
	s_waitcnt vmcnt(9) lgkmcnt(1)
	v_mul_f64 v[181:182], v[2:3], v[20:21]
	v_mul_f64 v[20:21], v[4:5], v[20:21]
	v_add_f64 v[177:178], v[177:178], v[189:190]
	v_add_f64 v[179:180], v[179:180], v[183:184]
	s_waitcnt vmcnt(8) lgkmcnt(0)
	v_mul_f64 v[183:184], v[6:7], v[24:25]
	v_mul_f64 v[24:25], v[8:9], v[24:25]
	v_fma_f64 v[181:182], v[4:5], v[18:19], v[181:182]
	v_fma_f64 v[189:190], v[2:3], v[18:19], -v[20:21]
	scratch_load_b128 v[18:21], off, off offset:640
	ds_load_b128 v[2:5], v1 offset:1184
	v_add_f64 v[177:178], v[177:178], v[187:188]
	v_add_f64 v[179:180], v[179:180], v[185:186]
	v_fma_f64 v[183:184], v[8:9], v[22:23], v[183:184]
	v_fma_f64 v[187:188], v[6:7], v[22:23], -v[24:25]
	ds_load_b128 v[6:9], v1 offset:1200
	s_waitcnt vmcnt(8) lgkmcnt(1)
	v_mul_f64 v[185:186], v[2:3], v[28:29]
	v_mul_f64 v[28:29], v[4:5], v[28:29]
	scratch_load_b128 v[22:25], off, off offset:656
	v_add_f64 v[177:178], v[177:178], v[189:190]
	v_add_f64 v[179:180], v[179:180], v[181:182]
	s_waitcnt vmcnt(8) lgkmcnt(0)
	v_mul_f64 v[181:182], v[6:7], v[32:33]
	v_mul_f64 v[32:33], v[8:9], v[32:33]
	v_fma_f64 v[185:186], v[4:5], v[26:27], v[185:186]
	v_fma_f64 v[26:27], v[2:3], v[26:27], -v[28:29]
	ds_load_b128 v[2:5], v1 offset:1216
	v_add_f64 v[28:29], v[177:178], v[187:188]
	v_add_f64 v[177:178], v[179:180], v[183:184]
	v_fma_f64 v[181:182], v[8:9], v[30:31], v[181:182]
	v_fma_f64 v[30:31], v[6:7], v[30:31], -v[32:33]
	ds_load_b128 v[6:9], v1 offset:1232
	s_waitcnt vmcnt(7) lgkmcnt(1)
	v_mul_f64 v[179:180], v[2:3], v[40:41]
	v_mul_f64 v[40:41], v[4:5], v[40:41]
	v_add_f64 v[26:27], v[28:29], v[26:27]
	v_add_f64 v[28:29], v[177:178], v[185:186]
	s_delay_alu instid0(VALU_DEP_4) | instskip(NEXT) | instid1(VALU_DEP_4)
	v_fma_f64 v[177:178], v[4:5], v[38:39], v[179:180]
	v_fma_f64 v[38:39], v[2:3], v[38:39], -v[40:41]
	ds_load_b128 v[2:5], v1 offset:1248
	v_add_f64 v[30:31], v[26:27], v[30:31]
	v_add_f64 v[40:41], v[28:29], v[181:182]
	scratch_load_b128 v[26:29], off, off offset:400
	s_waitcnt vmcnt(7) lgkmcnt(1)
	v_mul_f64 v[32:33], v[6:7], v[175:176]
	v_mul_f64 v[175:176], v[8:9], v[175:176]
	v_add_f64 v[30:31], v[30:31], v[38:39]
	v_add_f64 v[38:39], v[40:41], v[177:178]
	s_delay_alu instid0(VALU_DEP_4) | instskip(NEXT) | instid1(VALU_DEP_4)
	v_fma_f64 v[32:33], v[8:9], v[173:174], v[32:33]
	v_fma_f64 v[173:174], v[6:7], v[173:174], -v[175:176]
	ds_load_b128 v[6:9], v1 offset:1264
	s_waitcnt vmcnt(6) lgkmcnt(1)
	v_mul_f64 v[179:180], v[2:3], v[36:37]
	v_mul_f64 v[36:37], v[4:5], v[36:37]
	s_waitcnt vmcnt(5) lgkmcnt(0)
	v_mul_f64 v[40:41], v[6:7], v[171:172]
	v_mul_f64 v[171:172], v[8:9], v[171:172]
	v_add_f64 v[32:33], v[38:39], v[32:33]
	v_add_f64 v[30:31], v[30:31], v[173:174]
	v_fma_f64 v[175:176], v[4:5], v[34:35], v[179:180]
	v_fma_f64 v[34:35], v[2:3], v[34:35], -v[36:37]
	ds_load_b128 v[2:5], v1 offset:1280
	v_fma_f64 v[38:39], v[8:9], v[169:170], v[40:41]
	v_fma_f64 v[40:41], v[6:7], v[169:170], -v[171:172]
	ds_load_b128 v[6:9], v1 offset:1296
	s_waitcnt vmcnt(4) lgkmcnt(1)
	v_mul_f64 v[36:37], v[2:3], v[12:13]
	v_mul_f64 v[12:13], v[4:5], v[12:13]
	v_add_f64 v[32:33], v[32:33], v[175:176]
	v_add_f64 v[30:31], v[30:31], v[34:35]
	s_waitcnt vmcnt(3) lgkmcnt(0)
	v_mul_f64 v[34:35], v[6:7], v[16:17]
	v_mul_f64 v[16:17], v[8:9], v[16:17]
	v_fma_f64 v[36:37], v[4:5], v[10:11], v[36:37]
	v_fma_f64 v[10:11], v[2:3], v[10:11], -v[12:13]
	ds_load_b128 v[2:5], v1 offset:1312
	v_add_f64 v[12:13], v[30:31], v[40:41]
	v_add_f64 v[30:31], v[32:33], v[38:39]
	v_fma_f64 v[34:35], v[8:9], v[14:15], v[34:35]
	v_fma_f64 v[14:15], v[6:7], v[14:15], -v[16:17]
	ds_load_b128 v[6:9], v1 offset:1328
	s_waitcnt vmcnt(2) lgkmcnt(1)
	v_mul_f64 v[32:33], v[2:3], v[20:21]
	v_mul_f64 v[20:21], v[4:5], v[20:21]
	s_waitcnt vmcnt(1) lgkmcnt(0)
	v_mul_f64 v[16:17], v[6:7], v[24:25]
	v_mul_f64 v[24:25], v[8:9], v[24:25]
	v_add_f64 v[10:11], v[12:13], v[10:11]
	v_add_f64 v[12:13], v[30:31], v[36:37]
	v_fma_f64 v[4:5], v[4:5], v[18:19], v[32:33]
	v_fma_f64 v[1:2], v[2:3], v[18:19], -v[20:21]
	v_fma_f64 v[8:9], v[8:9], v[22:23], v[16:17]
	v_fma_f64 v[6:7], v[6:7], v[22:23], -v[24:25]
	v_add_f64 v[10:11], v[10:11], v[14:15]
	v_add_f64 v[12:13], v[12:13], v[34:35]
	s_delay_alu instid0(VALU_DEP_2) | instskip(NEXT) | instid1(VALU_DEP_2)
	v_add_f64 v[1:2], v[10:11], v[1:2]
	v_add_f64 v[3:4], v[12:13], v[4:5]
	s_delay_alu instid0(VALU_DEP_2) | instskip(NEXT) | instid1(VALU_DEP_2)
	v_add_f64 v[1:2], v[1:2], v[6:7]
	v_add_f64 v[3:4], v[3:4], v[8:9]
	s_waitcnt vmcnt(0)
	s_delay_alu instid0(VALU_DEP_2) | instskip(NEXT) | instid1(VALU_DEP_2)
	v_add_f64 v[1:2], v[26:27], -v[1:2]
	v_add_f64 v[3:4], v[28:29], -v[3:4]
	scratch_store_b128 off, v[1:4], off offset:400
	v_cmpx_lt_u32_e32 24, v126
	s_cbranch_execz .LBB41_217
; %bb.216:
	scratch_load_b128 v[1:4], v144, off
	v_mov_b32_e32 v5, 0
	s_delay_alu instid0(VALU_DEP_1)
	v_mov_b32_e32 v6, v5
	v_mov_b32_e32 v7, v5
	;; [unrolled: 1-line block ×3, first 2 shown]
	scratch_store_b128 off, v[5:8], off offset:384
	s_waitcnt vmcnt(0)
	ds_store_b128 v168, v[1:4]
.LBB41_217:
	s_or_b32 exec_lo, exec_lo, s2
	s_waitcnt lgkmcnt(0)
	s_waitcnt_vscnt null, 0x0
	s_barrier
	buffer_gl0_inv
	s_clause 0x7
	scratch_load_b128 v[2:5], off, off offset:400
	scratch_load_b128 v[6:9], off, off offset:416
	;; [unrolled: 1-line block ×8, first 2 shown]
	v_mov_b32_e32 v1, 0
	s_clause 0x1
	scratch_load_b128 v[38:41], off, off offset:528
	scratch_load_b128 v[173:176], off, off offset:544
	s_mov_b32 s2, exec_lo
	ds_load_b128 v[34:37], v1 offset:1072
	ds_load_b128 v[169:172], v1 offset:1088
	s_waitcnt vmcnt(9) lgkmcnt(1)
	v_mul_f64 v[177:178], v[36:37], v[4:5]
	v_mul_f64 v[4:5], v[34:35], v[4:5]
	s_waitcnt vmcnt(8) lgkmcnt(0)
	v_mul_f64 v[179:180], v[169:170], v[8:9]
	v_mul_f64 v[8:9], v[171:172], v[8:9]
	s_delay_alu instid0(VALU_DEP_4) | instskip(NEXT) | instid1(VALU_DEP_4)
	v_fma_f64 v[177:178], v[34:35], v[2:3], -v[177:178]
	v_fma_f64 v[181:182], v[36:37], v[2:3], v[4:5]
	ds_load_b128 v[2:5], v1 offset:1104
	scratch_load_b128 v[34:37], off, off offset:560
	v_fma_f64 v[179:180], v[171:172], v[6:7], v[179:180]
	v_fma_f64 v[185:186], v[169:170], v[6:7], -v[8:9]
	ds_load_b128 v[6:9], v1 offset:1120
	scratch_load_b128 v[169:172], off, off offset:576
	s_waitcnt vmcnt(9) lgkmcnt(1)
	v_mul_f64 v[183:184], v[2:3], v[12:13]
	v_mul_f64 v[12:13], v[4:5], v[12:13]
	s_waitcnt vmcnt(8) lgkmcnt(0)
	v_mul_f64 v[187:188], v[6:7], v[16:17]
	v_mul_f64 v[16:17], v[8:9], v[16:17]
	v_add_f64 v[177:178], v[177:178], 0
	v_add_f64 v[181:182], v[181:182], 0
	v_fma_f64 v[183:184], v[4:5], v[10:11], v[183:184]
	v_fma_f64 v[189:190], v[2:3], v[10:11], -v[12:13]
	scratch_load_b128 v[10:13], off, off offset:592
	ds_load_b128 v[2:5], v1 offset:1136
	v_add_f64 v[177:178], v[177:178], v[185:186]
	v_add_f64 v[179:180], v[181:182], v[179:180]
	v_fma_f64 v[185:186], v[8:9], v[14:15], v[187:188]
	v_fma_f64 v[187:188], v[6:7], v[14:15], -v[16:17]
	ds_load_b128 v[6:9], v1 offset:1152
	scratch_load_b128 v[14:17], off, off offset:608
	s_waitcnt vmcnt(9) lgkmcnt(1)
	v_mul_f64 v[181:182], v[2:3], v[20:21]
	v_mul_f64 v[20:21], v[4:5], v[20:21]
	v_add_f64 v[177:178], v[177:178], v[189:190]
	v_add_f64 v[179:180], v[179:180], v[183:184]
	s_waitcnt vmcnt(8) lgkmcnt(0)
	v_mul_f64 v[183:184], v[6:7], v[24:25]
	v_mul_f64 v[24:25], v[8:9], v[24:25]
	v_fma_f64 v[181:182], v[4:5], v[18:19], v[181:182]
	v_fma_f64 v[189:190], v[2:3], v[18:19], -v[20:21]
	scratch_load_b128 v[18:21], off, off offset:624
	ds_load_b128 v[2:5], v1 offset:1168
	v_add_f64 v[177:178], v[177:178], v[187:188]
	v_add_f64 v[179:180], v[179:180], v[185:186]
	v_fma_f64 v[183:184], v[8:9], v[22:23], v[183:184]
	v_fma_f64 v[187:188], v[6:7], v[22:23], -v[24:25]
	ds_load_b128 v[6:9], v1 offset:1184
	s_waitcnt vmcnt(8) lgkmcnt(1)
	v_mul_f64 v[185:186], v[2:3], v[28:29]
	v_mul_f64 v[28:29], v[4:5], v[28:29]
	scratch_load_b128 v[22:25], off, off offset:640
	v_add_f64 v[177:178], v[177:178], v[189:190]
	v_add_f64 v[179:180], v[179:180], v[181:182]
	s_waitcnt vmcnt(8) lgkmcnt(0)
	v_mul_f64 v[181:182], v[6:7], v[32:33]
	v_mul_f64 v[32:33], v[8:9], v[32:33]
	v_fma_f64 v[185:186], v[4:5], v[26:27], v[185:186]
	v_fma_f64 v[189:190], v[2:3], v[26:27], -v[28:29]
	scratch_load_b128 v[26:29], off, off offset:656
	ds_load_b128 v[2:5], v1 offset:1200
	v_add_f64 v[177:178], v[177:178], v[187:188]
	v_add_f64 v[179:180], v[179:180], v[183:184]
	v_fma_f64 v[181:182], v[8:9], v[30:31], v[181:182]
	v_fma_f64 v[30:31], v[6:7], v[30:31], -v[32:33]
	ds_load_b128 v[6:9], v1 offset:1216
	s_waitcnt vmcnt(8) lgkmcnt(1)
	v_mul_f64 v[183:184], v[2:3], v[40:41]
	v_mul_f64 v[40:41], v[4:5], v[40:41]
	v_add_f64 v[32:33], v[177:178], v[189:190]
	v_add_f64 v[177:178], v[179:180], v[185:186]
	s_waitcnt vmcnt(7) lgkmcnt(0)
	v_mul_f64 v[179:180], v[6:7], v[175:176]
	v_mul_f64 v[175:176], v[8:9], v[175:176]
	v_fma_f64 v[183:184], v[4:5], v[38:39], v[183:184]
	v_fma_f64 v[38:39], v[2:3], v[38:39], -v[40:41]
	ds_load_b128 v[2:5], v1 offset:1232
	v_add_f64 v[30:31], v[32:33], v[30:31]
	v_add_f64 v[32:33], v[177:178], v[181:182]
	v_fma_f64 v[177:178], v[8:9], v[173:174], v[179:180]
	v_fma_f64 v[173:174], v[6:7], v[173:174], -v[175:176]
	ds_load_b128 v[6:9], v1 offset:1248
	s_waitcnt vmcnt(5) lgkmcnt(0)
	v_mul_f64 v[179:180], v[6:7], v[171:172]
	v_mul_f64 v[171:172], v[8:9], v[171:172]
	v_add_f64 v[38:39], v[30:31], v[38:39]
	v_add_f64 v[175:176], v[32:33], v[183:184]
	scratch_load_b128 v[30:33], off, off offset:384
	v_mul_f64 v[40:41], v[2:3], v[36:37]
	v_mul_f64 v[36:37], v[4:5], v[36:37]
	s_delay_alu instid0(VALU_DEP_2) | instskip(NEXT) | instid1(VALU_DEP_2)
	v_fma_f64 v[40:41], v[4:5], v[34:35], v[40:41]
	v_fma_f64 v[34:35], v[2:3], v[34:35], -v[36:37]
	v_add_f64 v[36:37], v[38:39], v[173:174]
	v_add_f64 v[38:39], v[175:176], v[177:178]
	ds_load_b128 v[2:5], v1 offset:1264
	v_fma_f64 v[175:176], v[8:9], v[169:170], v[179:180]
	v_fma_f64 v[169:170], v[6:7], v[169:170], -v[171:172]
	ds_load_b128 v[6:9], v1 offset:1280
	s_waitcnt vmcnt(5) lgkmcnt(1)
	v_mul_f64 v[173:174], v[2:3], v[12:13]
	v_mul_f64 v[12:13], v[4:5], v[12:13]
	v_add_f64 v[34:35], v[36:37], v[34:35]
	v_add_f64 v[36:37], v[38:39], v[40:41]
	s_waitcnt vmcnt(4) lgkmcnt(0)
	v_mul_f64 v[38:39], v[6:7], v[16:17]
	v_mul_f64 v[16:17], v[8:9], v[16:17]
	v_fma_f64 v[40:41], v[4:5], v[10:11], v[173:174]
	v_fma_f64 v[10:11], v[2:3], v[10:11], -v[12:13]
	ds_load_b128 v[2:5], v1 offset:1296
	v_add_f64 v[12:13], v[34:35], v[169:170]
	v_add_f64 v[34:35], v[36:37], v[175:176]
	v_fma_f64 v[38:39], v[8:9], v[14:15], v[38:39]
	v_fma_f64 v[14:15], v[6:7], v[14:15], -v[16:17]
	ds_load_b128 v[6:9], v1 offset:1312
	s_waitcnt vmcnt(3) lgkmcnt(1)
	v_mul_f64 v[36:37], v[2:3], v[20:21]
	v_mul_f64 v[20:21], v[4:5], v[20:21]
	s_waitcnt vmcnt(2) lgkmcnt(0)
	v_mul_f64 v[16:17], v[6:7], v[24:25]
	v_mul_f64 v[24:25], v[8:9], v[24:25]
	v_add_f64 v[10:11], v[12:13], v[10:11]
	v_add_f64 v[12:13], v[34:35], v[40:41]
	v_fma_f64 v[34:35], v[4:5], v[18:19], v[36:37]
	v_fma_f64 v[18:19], v[2:3], v[18:19], -v[20:21]
	ds_load_b128 v[2:5], v1 offset:1328
	v_fma_f64 v[8:9], v[8:9], v[22:23], v[16:17]
	v_fma_f64 v[6:7], v[6:7], v[22:23], -v[24:25]
	s_waitcnt vmcnt(1) lgkmcnt(0)
	v_mul_f64 v[20:21], v[4:5], v[28:29]
	v_add_f64 v[10:11], v[10:11], v[14:15]
	v_add_f64 v[12:13], v[12:13], v[38:39]
	v_mul_f64 v[14:15], v[2:3], v[28:29]
	s_delay_alu instid0(VALU_DEP_4) | instskip(NEXT) | instid1(VALU_DEP_4)
	v_fma_f64 v[2:3], v[2:3], v[26:27], -v[20:21]
	v_add_f64 v[10:11], v[10:11], v[18:19]
	s_delay_alu instid0(VALU_DEP_4) | instskip(NEXT) | instid1(VALU_DEP_4)
	v_add_f64 v[12:13], v[12:13], v[34:35]
	v_fma_f64 v[4:5], v[4:5], v[26:27], v[14:15]
	s_delay_alu instid0(VALU_DEP_3) | instskip(NEXT) | instid1(VALU_DEP_3)
	v_add_f64 v[6:7], v[10:11], v[6:7]
	v_add_f64 v[8:9], v[12:13], v[8:9]
	s_delay_alu instid0(VALU_DEP_2) | instskip(NEXT) | instid1(VALU_DEP_2)
	v_add_f64 v[2:3], v[6:7], v[2:3]
	v_add_f64 v[4:5], v[8:9], v[4:5]
	s_waitcnt vmcnt(0)
	s_delay_alu instid0(VALU_DEP_2) | instskip(NEXT) | instid1(VALU_DEP_2)
	v_add_f64 v[2:3], v[30:31], -v[2:3]
	v_add_f64 v[4:5], v[32:33], -v[4:5]
	scratch_store_b128 off, v[2:5], off offset:384
	v_cmpx_lt_u32_e32 23, v126
	s_cbranch_execz .LBB41_219
; %bb.218:
	scratch_load_b128 v[5:8], v146, off
	v_mov_b32_e32 v2, v1
	v_mov_b32_e32 v3, v1
	;; [unrolled: 1-line block ×3, first 2 shown]
	scratch_store_b128 off, v[1:4], off offset:368
	s_waitcnt vmcnt(0)
	ds_store_b128 v168, v[5:8]
.LBB41_219:
	s_or_b32 exec_lo, exec_lo, s2
	s_waitcnt lgkmcnt(0)
	s_waitcnt_vscnt null, 0x0
	s_barrier
	buffer_gl0_inv
	s_clause 0x7
	scratch_load_b128 v[2:5], off, off offset:384
	scratch_load_b128 v[6:9], off, off offset:400
	;; [unrolled: 1-line block ×8, first 2 shown]
	ds_load_b128 v[34:37], v1 offset:1056
	ds_load_b128 v[169:172], v1 offset:1072
	s_clause 0x1
	scratch_load_b128 v[38:41], off, off offset:512
	scratch_load_b128 v[173:176], off, off offset:528
	s_mov_b32 s2, exec_lo
	s_waitcnt vmcnt(9) lgkmcnt(1)
	v_mul_f64 v[177:178], v[36:37], v[4:5]
	v_mul_f64 v[4:5], v[34:35], v[4:5]
	s_waitcnt vmcnt(8) lgkmcnt(0)
	v_mul_f64 v[179:180], v[169:170], v[8:9]
	v_mul_f64 v[8:9], v[171:172], v[8:9]
	s_delay_alu instid0(VALU_DEP_4) | instskip(NEXT) | instid1(VALU_DEP_4)
	v_fma_f64 v[177:178], v[34:35], v[2:3], -v[177:178]
	v_fma_f64 v[181:182], v[36:37], v[2:3], v[4:5]
	scratch_load_b128 v[34:37], off, off offset:544
	ds_load_b128 v[2:5], v1 offset:1088
	v_fma_f64 v[179:180], v[171:172], v[6:7], v[179:180]
	v_fma_f64 v[185:186], v[169:170], v[6:7], -v[8:9]
	ds_load_b128 v[6:9], v1 offset:1104
	scratch_load_b128 v[169:172], off, off offset:560
	s_waitcnt vmcnt(9) lgkmcnt(1)
	v_mul_f64 v[183:184], v[2:3], v[12:13]
	v_mul_f64 v[12:13], v[4:5], v[12:13]
	s_waitcnt vmcnt(8) lgkmcnt(0)
	v_mul_f64 v[187:188], v[6:7], v[16:17]
	v_mul_f64 v[16:17], v[8:9], v[16:17]
	v_add_f64 v[177:178], v[177:178], 0
	v_add_f64 v[181:182], v[181:182], 0
	v_fma_f64 v[183:184], v[4:5], v[10:11], v[183:184]
	v_fma_f64 v[189:190], v[2:3], v[10:11], -v[12:13]
	scratch_load_b128 v[10:13], off, off offset:576
	ds_load_b128 v[2:5], v1 offset:1120
	v_add_f64 v[177:178], v[177:178], v[185:186]
	v_add_f64 v[179:180], v[181:182], v[179:180]
	v_fma_f64 v[185:186], v[8:9], v[14:15], v[187:188]
	v_fma_f64 v[187:188], v[6:7], v[14:15], -v[16:17]
	ds_load_b128 v[6:9], v1 offset:1136
	scratch_load_b128 v[14:17], off, off offset:592
	s_waitcnt vmcnt(9) lgkmcnt(1)
	v_mul_f64 v[181:182], v[2:3], v[20:21]
	v_mul_f64 v[20:21], v[4:5], v[20:21]
	v_add_f64 v[177:178], v[177:178], v[189:190]
	v_add_f64 v[179:180], v[179:180], v[183:184]
	s_waitcnt vmcnt(8) lgkmcnt(0)
	v_mul_f64 v[183:184], v[6:7], v[24:25]
	v_mul_f64 v[24:25], v[8:9], v[24:25]
	v_fma_f64 v[181:182], v[4:5], v[18:19], v[181:182]
	v_fma_f64 v[189:190], v[2:3], v[18:19], -v[20:21]
	scratch_load_b128 v[18:21], off, off offset:608
	ds_load_b128 v[2:5], v1 offset:1152
	v_add_f64 v[177:178], v[177:178], v[187:188]
	v_add_f64 v[179:180], v[179:180], v[185:186]
	v_fma_f64 v[183:184], v[8:9], v[22:23], v[183:184]
	v_fma_f64 v[187:188], v[6:7], v[22:23], -v[24:25]
	ds_load_b128 v[6:9], v1 offset:1168
	s_waitcnt vmcnt(8) lgkmcnt(1)
	v_mul_f64 v[185:186], v[2:3], v[28:29]
	v_mul_f64 v[28:29], v[4:5], v[28:29]
	scratch_load_b128 v[22:25], off, off offset:624
	v_add_f64 v[177:178], v[177:178], v[189:190]
	v_add_f64 v[179:180], v[179:180], v[181:182]
	s_waitcnt vmcnt(8) lgkmcnt(0)
	v_mul_f64 v[181:182], v[6:7], v[32:33]
	v_mul_f64 v[32:33], v[8:9], v[32:33]
	v_fma_f64 v[185:186], v[4:5], v[26:27], v[185:186]
	v_fma_f64 v[189:190], v[2:3], v[26:27], -v[28:29]
	scratch_load_b128 v[26:29], off, off offset:640
	ds_load_b128 v[2:5], v1 offset:1184
	v_add_f64 v[177:178], v[177:178], v[187:188]
	v_add_f64 v[179:180], v[179:180], v[183:184]
	v_fma_f64 v[181:182], v[8:9], v[30:31], v[181:182]
	v_fma_f64 v[187:188], v[6:7], v[30:31], -v[32:33]
	ds_load_b128 v[6:9], v1 offset:1200
	s_waitcnt vmcnt(8) lgkmcnt(1)
	v_mul_f64 v[183:184], v[2:3], v[40:41]
	v_mul_f64 v[40:41], v[4:5], v[40:41]
	scratch_load_b128 v[30:33], off, off offset:656
	v_add_f64 v[177:178], v[177:178], v[189:190]
	v_add_f64 v[179:180], v[179:180], v[185:186]
	v_fma_f64 v[183:184], v[4:5], v[38:39], v[183:184]
	v_fma_f64 v[38:39], v[2:3], v[38:39], -v[40:41]
	ds_load_b128 v[2:5], v1 offset:1216
	v_add_f64 v[40:41], v[177:178], v[187:188]
	v_add_f64 v[177:178], v[179:180], v[181:182]
	s_waitcnt vmcnt(7) lgkmcnt(0)
	v_mul_f64 v[179:180], v[2:3], v[36:37]
	v_mul_f64 v[36:37], v[4:5], v[36:37]
	s_delay_alu instid0(VALU_DEP_4) | instskip(NEXT) | instid1(VALU_DEP_4)
	v_add_f64 v[38:39], v[40:41], v[38:39]
	v_add_f64 v[40:41], v[177:178], v[183:184]
	s_delay_alu instid0(VALU_DEP_4) | instskip(NEXT) | instid1(VALU_DEP_4)
	v_fma_f64 v[177:178], v[4:5], v[34:35], v[179:180]
	v_fma_f64 v[179:180], v[2:3], v[34:35], -v[36:37]
	scratch_load_b128 v[34:37], off, off offset:368
	v_mul_f64 v[185:186], v[6:7], v[175:176]
	v_mul_f64 v[175:176], v[8:9], v[175:176]
	ds_load_b128 v[2:5], v1 offset:1248
	v_fma_f64 v[181:182], v[8:9], v[173:174], v[185:186]
	v_fma_f64 v[173:174], v[6:7], v[173:174], -v[175:176]
	ds_load_b128 v[6:9], v1 offset:1232
	s_waitcnt vmcnt(7) lgkmcnt(0)
	v_mul_f64 v[175:176], v[6:7], v[171:172]
	v_mul_f64 v[171:172], v[8:9], v[171:172]
	v_add_f64 v[40:41], v[40:41], v[181:182]
	v_add_f64 v[38:39], v[38:39], v[173:174]
	s_waitcnt vmcnt(6)
	v_mul_f64 v[173:174], v[2:3], v[12:13]
	v_mul_f64 v[12:13], v[4:5], v[12:13]
	v_fma_f64 v[175:176], v[8:9], v[169:170], v[175:176]
	v_fma_f64 v[169:170], v[6:7], v[169:170], -v[171:172]
	ds_load_b128 v[6:9], v1 offset:1264
	v_add_f64 v[40:41], v[40:41], v[177:178]
	v_add_f64 v[38:39], v[38:39], v[179:180]
	v_fma_f64 v[173:174], v[4:5], v[10:11], v[173:174]
	v_fma_f64 v[10:11], v[2:3], v[10:11], -v[12:13]
	ds_load_b128 v[2:5], v1 offset:1280
	s_waitcnt vmcnt(5) lgkmcnt(1)
	v_mul_f64 v[171:172], v[6:7], v[16:17]
	v_mul_f64 v[16:17], v[8:9], v[16:17]
	v_add_f64 v[12:13], v[38:39], v[169:170]
	v_add_f64 v[38:39], v[40:41], v[175:176]
	s_waitcnt vmcnt(4) lgkmcnt(0)
	v_mul_f64 v[40:41], v[2:3], v[20:21]
	v_mul_f64 v[20:21], v[4:5], v[20:21]
	v_fma_f64 v[169:170], v[8:9], v[14:15], v[171:172]
	v_fma_f64 v[14:15], v[6:7], v[14:15], -v[16:17]
	ds_load_b128 v[6:9], v1 offset:1296
	v_add_f64 v[10:11], v[12:13], v[10:11]
	v_add_f64 v[12:13], v[38:39], v[173:174]
	v_fma_f64 v[38:39], v[4:5], v[18:19], v[40:41]
	v_fma_f64 v[18:19], v[2:3], v[18:19], -v[20:21]
	ds_load_b128 v[2:5], v1 offset:1312
	s_waitcnt vmcnt(3) lgkmcnt(1)
	v_mul_f64 v[16:17], v[6:7], v[24:25]
	v_mul_f64 v[24:25], v[8:9], v[24:25]
	s_waitcnt vmcnt(2) lgkmcnt(0)
	v_mul_f64 v[20:21], v[4:5], v[28:29]
	v_add_f64 v[10:11], v[10:11], v[14:15]
	v_add_f64 v[12:13], v[12:13], v[169:170]
	v_mul_f64 v[14:15], v[2:3], v[28:29]
	v_fma_f64 v[16:17], v[8:9], v[22:23], v[16:17]
	v_fma_f64 v[22:23], v[6:7], v[22:23], -v[24:25]
	ds_load_b128 v[6:9], v1 offset:1328
	v_fma_f64 v[1:2], v[2:3], v[26:27], -v[20:21]
	s_waitcnt vmcnt(1) lgkmcnt(0)
	v_mul_f64 v[24:25], v[8:9], v[32:33]
	v_add_f64 v[10:11], v[10:11], v[18:19]
	v_add_f64 v[12:13], v[12:13], v[38:39]
	v_mul_f64 v[18:19], v[6:7], v[32:33]
	v_fma_f64 v[4:5], v[4:5], v[26:27], v[14:15]
	v_fma_f64 v[6:7], v[6:7], v[30:31], -v[24:25]
	v_add_f64 v[10:11], v[10:11], v[22:23]
	v_add_f64 v[12:13], v[12:13], v[16:17]
	v_fma_f64 v[8:9], v[8:9], v[30:31], v[18:19]
	s_delay_alu instid0(VALU_DEP_3) | instskip(NEXT) | instid1(VALU_DEP_3)
	v_add_f64 v[1:2], v[10:11], v[1:2]
	v_add_f64 v[3:4], v[12:13], v[4:5]
	s_delay_alu instid0(VALU_DEP_2) | instskip(NEXT) | instid1(VALU_DEP_2)
	v_add_f64 v[1:2], v[1:2], v[6:7]
	v_add_f64 v[3:4], v[3:4], v[8:9]
	s_waitcnt vmcnt(0)
	s_delay_alu instid0(VALU_DEP_2) | instskip(NEXT) | instid1(VALU_DEP_2)
	v_add_f64 v[1:2], v[34:35], -v[1:2]
	v_add_f64 v[3:4], v[36:37], -v[3:4]
	scratch_store_b128 off, v[1:4], off offset:368
	v_cmpx_lt_u32_e32 22, v126
	s_cbranch_execz .LBB41_221
; %bb.220:
	scratch_load_b128 v[1:4], v145, off
	v_mov_b32_e32 v5, 0
	s_delay_alu instid0(VALU_DEP_1)
	v_mov_b32_e32 v6, v5
	v_mov_b32_e32 v7, v5
	;; [unrolled: 1-line block ×3, first 2 shown]
	scratch_store_b128 off, v[5:8], off offset:352
	s_waitcnt vmcnt(0)
	ds_store_b128 v168, v[1:4]
.LBB41_221:
	s_or_b32 exec_lo, exec_lo, s2
	s_waitcnt lgkmcnt(0)
	s_waitcnt_vscnt null, 0x0
	s_barrier
	buffer_gl0_inv
	s_clause 0x7
	scratch_load_b128 v[2:5], off, off offset:368
	scratch_load_b128 v[6:9], off, off offset:384
	;; [unrolled: 1-line block ×8, first 2 shown]
	v_mov_b32_e32 v1, 0
	s_clause 0x1
	scratch_load_b128 v[38:41], off, off offset:496
	scratch_load_b128 v[173:176], off, off offset:512
	s_mov_b32 s2, exec_lo
	ds_load_b128 v[34:37], v1 offset:1040
	ds_load_b128 v[169:172], v1 offset:1056
	s_waitcnt vmcnt(9) lgkmcnt(1)
	v_mul_f64 v[177:178], v[36:37], v[4:5]
	v_mul_f64 v[4:5], v[34:35], v[4:5]
	s_waitcnt vmcnt(8) lgkmcnt(0)
	v_mul_f64 v[179:180], v[169:170], v[8:9]
	v_mul_f64 v[8:9], v[171:172], v[8:9]
	s_delay_alu instid0(VALU_DEP_4) | instskip(NEXT) | instid1(VALU_DEP_4)
	v_fma_f64 v[177:178], v[34:35], v[2:3], -v[177:178]
	v_fma_f64 v[181:182], v[36:37], v[2:3], v[4:5]
	ds_load_b128 v[2:5], v1 offset:1072
	scratch_load_b128 v[34:37], off, off offset:528
	v_fma_f64 v[179:180], v[171:172], v[6:7], v[179:180]
	v_fma_f64 v[185:186], v[169:170], v[6:7], -v[8:9]
	scratch_load_b128 v[169:172], off, off offset:544
	ds_load_b128 v[6:9], v1 offset:1088
	s_waitcnt vmcnt(9) lgkmcnt(1)
	v_mul_f64 v[183:184], v[2:3], v[12:13]
	v_mul_f64 v[12:13], v[4:5], v[12:13]
	s_waitcnt vmcnt(8) lgkmcnt(0)
	v_mul_f64 v[187:188], v[6:7], v[16:17]
	v_mul_f64 v[16:17], v[8:9], v[16:17]
	v_add_f64 v[177:178], v[177:178], 0
	v_add_f64 v[181:182], v[181:182], 0
	v_fma_f64 v[183:184], v[4:5], v[10:11], v[183:184]
	v_fma_f64 v[189:190], v[2:3], v[10:11], -v[12:13]
	ds_load_b128 v[2:5], v1 offset:1104
	scratch_load_b128 v[10:13], off, off offset:560
	v_add_f64 v[177:178], v[177:178], v[185:186]
	v_add_f64 v[179:180], v[181:182], v[179:180]
	v_fma_f64 v[185:186], v[8:9], v[14:15], v[187:188]
	v_fma_f64 v[187:188], v[6:7], v[14:15], -v[16:17]
	ds_load_b128 v[6:9], v1 offset:1120
	scratch_load_b128 v[14:17], off, off offset:576
	s_waitcnt vmcnt(9) lgkmcnt(1)
	v_mul_f64 v[181:182], v[2:3], v[20:21]
	v_mul_f64 v[20:21], v[4:5], v[20:21]
	v_add_f64 v[177:178], v[177:178], v[189:190]
	v_add_f64 v[179:180], v[179:180], v[183:184]
	s_waitcnt vmcnt(8) lgkmcnt(0)
	v_mul_f64 v[183:184], v[6:7], v[24:25]
	v_mul_f64 v[24:25], v[8:9], v[24:25]
	v_fma_f64 v[181:182], v[4:5], v[18:19], v[181:182]
	v_fma_f64 v[189:190], v[2:3], v[18:19], -v[20:21]
	scratch_load_b128 v[18:21], off, off offset:592
	ds_load_b128 v[2:5], v1 offset:1136
	v_add_f64 v[177:178], v[177:178], v[187:188]
	v_add_f64 v[179:180], v[179:180], v[185:186]
	v_fma_f64 v[183:184], v[8:9], v[22:23], v[183:184]
	v_fma_f64 v[187:188], v[6:7], v[22:23], -v[24:25]
	ds_load_b128 v[6:9], v1 offset:1152
	s_waitcnt vmcnt(8) lgkmcnt(1)
	v_mul_f64 v[185:186], v[2:3], v[28:29]
	v_mul_f64 v[28:29], v[4:5], v[28:29]
	scratch_load_b128 v[22:25], off, off offset:608
	v_add_f64 v[177:178], v[177:178], v[189:190]
	v_add_f64 v[179:180], v[179:180], v[181:182]
	s_waitcnt vmcnt(8) lgkmcnt(0)
	v_mul_f64 v[181:182], v[6:7], v[32:33]
	v_mul_f64 v[32:33], v[8:9], v[32:33]
	v_fma_f64 v[185:186], v[4:5], v[26:27], v[185:186]
	v_fma_f64 v[189:190], v[2:3], v[26:27], -v[28:29]
	scratch_load_b128 v[26:29], off, off offset:624
	ds_load_b128 v[2:5], v1 offset:1168
	v_add_f64 v[177:178], v[177:178], v[187:188]
	v_add_f64 v[179:180], v[179:180], v[183:184]
	v_fma_f64 v[181:182], v[8:9], v[30:31], v[181:182]
	v_fma_f64 v[187:188], v[6:7], v[30:31], -v[32:33]
	ds_load_b128 v[6:9], v1 offset:1184
	s_waitcnt vmcnt(8) lgkmcnt(1)
	v_mul_f64 v[183:184], v[2:3], v[40:41]
	v_mul_f64 v[40:41], v[4:5], v[40:41]
	scratch_load_b128 v[30:33], off, off offset:640
	v_add_f64 v[177:178], v[177:178], v[189:190]
	v_add_f64 v[179:180], v[179:180], v[185:186]
	s_waitcnt vmcnt(8) lgkmcnt(0)
	v_mul_f64 v[185:186], v[6:7], v[175:176]
	v_mul_f64 v[175:176], v[8:9], v[175:176]
	v_fma_f64 v[183:184], v[4:5], v[38:39], v[183:184]
	v_fma_f64 v[189:190], v[2:3], v[38:39], -v[40:41]
	scratch_load_b128 v[38:41], off, off offset:656
	ds_load_b128 v[2:5], v1 offset:1200
	v_add_f64 v[177:178], v[177:178], v[187:188]
	v_add_f64 v[179:180], v[179:180], v[181:182]
	v_fma_f64 v[185:186], v[8:9], v[173:174], v[185:186]
	v_fma_f64 v[173:174], v[6:7], v[173:174], -v[175:176]
	ds_load_b128 v[6:9], v1 offset:1216
	s_waitcnt vmcnt(8) lgkmcnt(1)
	v_mul_f64 v[181:182], v[2:3], v[36:37]
	v_mul_f64 v[36:37], v[4:5], v[36:37]
	v_add_f64 v[175:176], v[177:178], v[189:190]
	v_add_f64 v[177:178], v[179:180], v[183:184]
	s_waitcnt vmcnt(7) lgkmcnt(0)
	v_mul_f64 v[179:180], v[6:7], v[171:172]
	v_mul_f64 v[171:172], v[8:9], v[171:172]
	v_fma_f64 v[181:182], v[4:5], v[34:35], v[181:182]
	v_fma_f64 v[34:35], v[2:3], v[34:35], -v[36:37]
	ds_load_b128 v[2:5], v1 offset:1232
	v_add_f64 v[36:37], v[175:176], v[173:174]
	v_add_f64 v[173:174], v[177:178], v[185:186]
	v_fma_f64 v[177:178], v[8:9], v[169:170], v[179:180]
	v_fma_f64 v[169:170], v[6:7], v[169:170], -v[171:172]
	ds_load_b128 v[6:9], v1 offset:1248
	s_waitcnt vmcnt(5) lgkmcnt(0)
	v_mul_f64 v[179:180], v[6:7], v[16:17]
	v_mul_f64 v[16:17], v[8:9], v[16:17]
	v_add_f64 v[171:172], v[36:37], v[34:35]
	v_add_f64 v[173:174], v[173:174], v[181:182]
	scratch_load_b128 v[34:37], off, off offset:352
	v_mul_f64 v[175:176], v[2:3], v[12:13]
	v_mul_f64 v[12:13], v[4:5], v[12:13]
	s_delay_alu instid0(VALU_DEP_2) | instskip(NEXT) | instid1(VALU_DEP_2)
	v_fma_f64 v[175:176], v[4:5], v[10:11], v[175:176]
	v_fma_f64 v[10:11], v[2:3], v[10:11], -v[12:13]
	v_add_f64 v[12:13], v[171:172], v[169:170]
	v_add_f64 v[169:170], v[173:174], v[177:178]
	ds_load_b128 v[2:5], v1 offset:1264
	v_fma_f64 v[173:174], v[8:9], v[14:15], v[179:180]
	v_fma_f64 v[14:15], v[6:7], v[14:15], -v[16:17]
	ds_load_b128 v[6:9], v1 offset:1280
	s_waitcnt vmcnt(5) lgkmcnt(1)
	v_mul_f64 v[171:172], v[2:3], v[20:21]
	v_mul_f64 v[20:21], v[4:5], v[20:21]
	s_waitcnt vmcnt(4) lgkmcnt(0)
	v_mul_f64 v[16:17], v[6:7], v[24:25]
	v_mul_f64 v[24:25], v[8:9], v[24:25]
	v_add_f64 v[10:11], v[12:13], v[10:11]
	v_add_f64 v[12:13], v[169:170], v[175:176]
	v_fma_f64 v[169:170], v[4:5], v[18:19], v[171:172]
	v_fma_f64 v[18:19], v[2:3], v[18:19], -v[20:21]
	ds_load_b128 v[2:5], v1 offset:1296
	v_fma_f64 v[16:17], v[8:9], v[22:23], v[16:17]
	v_fma_f64 v[22:23], v[6:7], v[22:23], -v[24:25]
	ds_load_b128 v[6:9], v1 offset:1312
	v_add_f64 v[10:11], v[10:11], v[14:15]
	v_add_f64 v[12:13], v[12:13], v[173:174]
	s_waitcnt vmcnt(3) lgkmcnt(1)
	v_mul_f64 v[14:15], v[2:3], v[28:29]
	v_mul_f64 v[20:21], v[4:5], v[28:29]
	s_waitcnt vmcnt(2) lgkmcnt(0)
	v_mul_f64 v[24:25], v[8:9], v[32:33]
	v_add_f64 v[10:11], v[10:11], v[18:19]
	v_add_f64 v[12:13], v[12:13], v[169:170]
	v_mul_f64 v[18:19], v[6:7], v[32:33]
	v_fma_f64 v[14:15], v[4:5], v[26:27], v[14:15]
	v_fma_f64 v[20:21], v[2:3], v[26:27], -v[20:21]
	ds_load_b128 v[2:5], v1 offset:1328
	v_fma_f64 v[6:7], v[6:7], v[30:31], -v[24:25]
	v_add_f64 v[10:11], v[10:11], v[22:23]
	v_add_f64 v[12:13], v[12:13], v[16:17]
	s_waitcnt vmcnt(1) lgkmcnt(0)
	v_mul_f64 v[16:17], v[2:3], v[40:41]
	v_mul_f64 v[22:23], v[4:5], v[40:41]
	v_fma_f64 v[8:9], v[8:9], v[30:31], v[18:19]
	v_add_f64 v[10:11], v[10:11], v[20:21]
	v_add_f64 v[12:13], v[12:13], v[14:15]
	v_fma_f64 v[4:5], v[4:5], v[38:39], v[16:17]
	v_fma_f64 v[2:3], v[2:3], v[38:39], -v[22:23]
	s_delay_alu instid0(VALU_DEP_4) | instskip(NEXT) | instid1(VALU_DEP_4)
	v_add_f64 v[6:7], v[10:11], v[6:7]
	v_add_f64 v[8:9], v[12:13], v[8:9]
	s_delay_alu instid0(VALU_DEP_2) | instskip(NEXT) | instid1(VALU_DEP_2)
	v_add_f64 v[2:3], v[6:7], v[2:3]
	v_add_f64 v[4:5], v[8:9], v[4:5]
	s_waitcnt vmcnt(0)
	s_delay_alu instid0(VALU_DEP_2) | instskip(NEXT) | instid1(VALU_DEP_2)
	v_add_f64 v[2:3], v[34:35], -v[2:3]
	v_add_f64 v[4:5], v[36:37], -v[4:5]
	scratch_store_b128 off, v[2:5], off offset:352
	v_cmpx_lt_u32_e32 21, v126
	s_cbranch_execz .LBB41_223
; %bb.222:
	scratch_load_b128 v[5:8], v151, off
	v_mov_b32_e32 v2, v1
	v_mov_b32_e32 v3, v1
	;; [unrolled: 1-line block ×3, first 2 shown]
	scratch_store_b128 off, v[1:4], off offset:336
	s_waitcnt vmcnt(0)
	ds_store_b128 v168, v[5:8]
.LBB41_223:
	s_or_b32 exec_lo, exec_lo, s2
	s_waitcnt lgkmcnt(0)
	s_waitcnt_vscnt null, 0x0
	s_barrier
	buffer_gl0_inv
	s_clause 0x7
	scratch_load_b128 v[2:5], off, off offset:352
	scratch_load_b128 v[6:9], off, off offset:368
	scratch_load_b128 v[10:13], off, off offset:384
	scratch_load_b128 v[14:17], off, off offset:400
	scratch_load_b128 v[18:21], off, off offset:416
	scratch_load_b128 v[22:25], off, off offset:432
	scratch_load_b128 v[26:29], off, off offset:448
	scratch_load_b128 v[30:33], off, off offset:464
	ds_load_b128 v[34:37], v1 offset:1024
	ds_load_b128 v[169:172], v1 offset:1040
	s_clause 0x1
	scratch_load_b128 v[38:41], off, off offset:480
	scratch_load_b128 v[173:176], off, off offset:496
	s_mov_b32 s2, exec_lo
	s_waitcnt vmcnt(9) lgkmcnt(1)
	v_mul_f64 v[177:178], v[36:37], v[4:5]
	v_mul_f64 v[4:5], v[34:35], v[4:5]
	s_waitcnt vmcnt(8) lgkmcnt(0)
	v_mul_f64 v[179:180], v[169:170], v[8:9]
	v_mul_f64 v[8:9], v[171:172], v[8:9]
	s_delay_alu instid0(VALU_DEP_4) | instskip(NEXT) | instid1(VALU_DEP_4)
	v_fma_f64 v[177:178], v[34:35], v[2:3], -v[177:178]
	v_fma_f64 v[181:182], v[36:37], v[2:3], v[4:5]
	ds_load_b128 v[2:5], v1 offset:1056
	scratch_load_b128 v[34:37], off, off offset:512
	v_fma_f64 v[179:180], v[171:172], v[6:7], v[179:180]
	v_fma_f64 v[185:186], v[169:170], v[6:7], -v[8:9]
	ds_load_b128 v[6:9], v1 offset:1072
	scratch_load_b128 v[169:172], off, off offset:528
	s_waitcnt vmcnt(9) lgkmcnt(1)
	v_mul_f64 v[183:184], v[2:3], v[12:13]
	v_mul_f64 v[12:13], v[4:5], v[12:13]
	s_waitcnt vmcnt(8) lgkmcnt(0)
	v_mul_f64 v[187:188], v[6:7], v[16:17]
	v_mul_f64 v[16:17], v[8:9], v[16:17]
	v_add_f64 v[177:178], v[177:178], 0
	v_add_f64 v[181:182], v[181:182], 0
	v_fma_f64 v[183:184], v[4:5], v[10:11], v[183:184]
	v_fma_f64 v[189:190], v[2:3], v[10:11], -v[12:13]
	scratch_load_b128 v[10:13], off, off offset:544
	ds_load_b128 v[2:5], v1 offset:1088
	v_add_f64 v[177:178], v[177:178], v[185:186]
	v_add_f64 v[179:180], v[181:182], v[179:180]
	v_fma_f64 v[185:186], v[8:9], v[14:15], v[187:188]
	v_fma_f64 v[187:188], v[6:7], v[14:15], -v[16:17]
	ds_load_b128 v[6:9], v1 offset:1104
	scratch_load_b128 v[14:17], off, off offset:560
	s_waitcnt vmcnt(9) lgkmcnt(1)
	v_mul_f64 v[181:182], v[2:3], v[20:21]
	v_mul_f64 v[20:21], v[4:5], v[20:21]
	v_add_f64 v[177:178], v[177:178], v[189:190]
	v_add_f64 v[179:180], v[179:180], v[183:184]
	s_waitcnt vmcnt(8) lgkmcnt(0)
	v_mul_f64 v[183:184], v[6:7], v[24:25]
	v_mul_f64 v[24:25], v[8:9], v[24:25]
	v_fma_f64 v[181:182], v[4:5], v[18:19], v[181:182]
	v_fma_f64 v[189:190], v[2:3], v[18:19], -v[20:21]
	scratch_load_b128 v[18:21], off, off offset:576
	ds_load_b128 v[2:5], v1 offset:1120
	v_add_f64 v[177:178], v[177:178], v[187:188]
	v_add_f64 v[179:180], v[179:180], v[185:186]
	v_fma_f64 v[183:184], v[8:9], v[22:23], v[183:184]
	v_fma_f64 v[187:188], v[6:7], v[22:23], -v[24:25]
	ds_load_b128 v[6:9], v1 offset:1136
	s_waitcnt vmcnt(8) lgkmcnt(1)
	v_mul_f64 v[185:186], v[2:3], v[28:29]
	v_mul_f64 v[28:29], v[4:5], v[28:29]
	scratch_load_b128 v[22:25], off, off offset:592
	v_add_f64 v[177:178], v[177:178], v[189:190]
	v_add_f64 v[179:180], v[179:180], v[181:182]
	s_waitcnt vmcnt(8) lgkmcnt(0)
	v_mul_f64 v[181:182], v[6:7], v[32:33]
	v_mul_f64 v[32:33], v[8:9], v[32:33]
	v_fma_f64 v[185:186], v[4:5], v[26:27], v[185:186]
	v_fma_f64 v[189:190], v[2:3], v[26:27], -v[28:29]
	scratch_load_b128 v[26:29], off, off offset:608
	ds_load_b128 v[2:5], v1 offset:1152
	v_add_f64 v[177:178], v[177:178], v[187:188]
	v_add_f64 v[179:180], v[179:180], v[183:184]
	v_fma_f64 v[181:182], v[8:9], v[30:31], v[181:182]
	v_fma_f64 v[187:188], v[6:7], v[30:31], -v[32:33]
	ds_load_b128 v[6:9], v1 offset:1168
	s_waitcnt vmcnt(8) lgkmcnt(1)
	v_mul_f64 v[183:184], v[2:3], v[40:41]
	v_mul_f64 v[40:41], v[4:5], v[40:41]
	scratch_load_b128 v[30:33], off, off offset:624
	v_add_f64 v[177:178], v[177:178], v[189:190]
	v_add_f64 v[179:180], v[179:180], v[185:186]
	s_waitcnt vmcnt(8) lgkmcnt(0)
	v_mul_f64 v[185:186], v[6:7], v[175:176]
	v_mul_f64 v[175:176], v[8:9], v[175:176]
	v_fma_f64 v[183:184], v[4:5], v[38:39], v[183:184]
	v_fma_f64 v[189:190], v[2:3], v[38:39], -v[40:41]
	scratch_load_b128 v[38:41], off, off offset:640
	ds_load_b128 v[2:5], v1 offset:1184
	v_add_f64 v[177:178], v[177:178], v[187:188]
	v_add_f64 v[179:180], v[179:180], v[181:182]
	v_fma_f64 v[185:186], v[8:9], v[173:174], v[185:186]
	v_fma_f64 v[187:188], v[6:7], v[173:174], -v[175:176]
	ds_load_b128 v[6:9], v1 offset:1200
	scratch_load_b128 v[173:176], off, off offset:656
	s_waitcnt vmcnt(9) lgkmcnt(1)
	v_mul_f64 v[181:182], v[2:3], v[36:37]
	v_mul_f64 v[36:37], v[4:5], v[36:37]
	v_add_f64 v[177:178], v[177:178], v[189:190]
	v_add_f64 v[179:180], v[179:180], v[183:184]
	s_delay_alu instid0(VALU_DEP_4) | instskip(NEXT) | instid1(VALU_DEP_4)
	v_fma_f64 v[181:182], v[4:5], v[34:35], v[181:182]
	v_fma_f64 v[34:35], v[2:3], v[34:35], -v[36:37]
	ds_load_b128 v[2:5], v1 offset:1216
	v_add_f64 v[36:37], v[177:178], v[187:188]
	v_add_f64 v[177:178], v[179:180], v[185:186]
	s_waitcnt vmcnt(7) lgkmcnt(0)
	v_mul_f64 v[179:180], v[2:3], v[12:13]
	v_mul_f64 v[12:13], v[4:5], v[12:13]
	s_delay_alu instid0(VALU_DEP_4) | instskip(NEXT) | instid1(VALU_DEP_4)
	v_add_f64 v[34:35], v[36:37], v[34:35]
	v_add_f64 v[36:37], v[177:178], v[181:182]
	s_delay_alu instid0(VALU_DEP_4) | instskip(NEXT) | instid1(VALU_DEP_4)
	v_fma_f64 v[177:178], v[4:5], v[10:11], v[179:180]
	v_fma_f64 v[179:180], v[2:3], v[10:11], -v[12:13]
	scratch_load_b128 v[10:13], off, off offset:336
	v_mul_f64 v[183:184], v[6:7], v[171:172]
	v_mul_f64 v[171:172], v[8:9], v[171:172]
	ds_load_b128 v[2:5], v1 offset:1248
	v_fma_f64 v[183:184], v[8:9], v[169:170], v[183:184]
	v_fma_f64 v[169:170], v[6:7], v[169:170], -v[171:172]
	ds_load_b128 v[6:9], v1 offset:1232
	s_waitcnt vmcnt(7) lgkmcnt(0)
	v_mul_f64 v[171:172], v[6:7], v[16:17]
	v_mul_f64 v[16:17], v[8:9], v[16:17]
	v_add_f64 v[36:37], v[36:37], v[183:184]
	v_add_f64 v[34:35], v[34:35], v[169:170]
	s_waitcnt vmcnt(6)
	v_mul_f64 v[169:170], v[2:3], v[20:21]
	v_mul_f64 v[20:21], v[4:5], v[20:21]
	v_fma_f64 v[171:172], v[8:9], v[14:15], v[171:172]
	v_fma_f64 v[14:15], v[6:7], v[14:15], -v[16:17]
	ds_load_b128 v[6:9], v1 offset:1264
	v_add_f64 v[16:17], v[34:35], v[179:180]
	v_add_f64 v[34:35], v[36:37], v[177:178]
	v_fma_f64 v[169:170], v[4:5], v[18:19], v[169:170]
	v_fma_f64 v[18:19], v[2:3], v[18:19], -v[20:21]
	ds_load_b128 v[2:5], v1 offset:1280
	s_waitcnt vmcnt(5) lgkmcnt(1)
	v_mul_f64 v[36:37], v[6:7], v[24:25]
	v_mul_f64 v[24:25], v[8:9], v[24:25]
	s_waitcnt vmcnt(4) lgkmcnt(0)
	v_mul_f64 v[20:21], v[2:3], v[28:29]
	v_mul_f64 v[28:29], v[4:5], v[28:29]
	v_add_f64 v[14:15], v[16:17], v[14:15]
	v_add_f64 v[16:17], v[34:35], v[171:172]
	v_fma_f64 v[34:35], v[8:9], v[22:23], v[36:37]
	v_fma_f64 v[22:23], v[6:7], v[22:23], -v[24:25]
	ds_load_b128 v[6:9], v1 offset:1296
	v_fma_f64 v[20:21], v[4:5], v[26:27], v[20:21]
	v_fma_f64 v[26:27], v[2:3], v[26:27], -v[28:29]
	ds_load_b128 v[2:5], v1 offset:1312
	s_waitcnt vmcnt(3) lgkmcnt(1)
	v_mul_f64 v[24:25], v[8:9], v[32:33]
	v_add_f64 v[14:15], v[14:15], v[18:19]
	v_add_f64 v[16:17], v[16:17], v[169:170]
	v_mul_f64 v[18:19], v[6:7], v[32:33]
	s_waitcnt vmcnt(2) lgkmcnt(0)
	v_mul_f64 v[28:29], v[4:5], v[40:41]
	v_fma_f64 v[24:25], v[6:7], v[30:31], -v[24:25]
	v_add_f64 v[14:15], v[14:15], v[22:23]
	v_add_f64 v[16:17], v[16:17], v[34:35]
	v_mul_f64 v[22:23], v[2:3], v[40:41]
	v_fma_f64 v[18:19], v[8:9], v[30:31], v[18:19]
	ds_load_b128 v[6:9], v1 offset:1328
	v_fma_f64 v[1:2], v[2:3], v[38:39], -v[28:29]
	v_add_f64 v[14:15], v[14:15], v[26:27]
	v_add_f64 v[16:17], v[16:17], v[20:21]
	s_waitcnt vmcnt(1) lgkmcnt(0)
	v_mul_f64 v[20:21], v[6:7], v[175:176]
	v_mul_f64 v[26:27], v[8:9], v[175:176]
	v_fma_f64 v[4:5], v[4:5], v[38:39], v[22:23]
	v_add_f64 v[14:15], v[14:15], v[24:25]
	v_add_f64 v[16:17], v[16:17], v[18:19]
	v_fma_f64 v[8:9], v[8:9], v[173:174], v[20:21]
	v_fma_f64 v[6:7], v[6:7], v[173:174], -v[26:27]
	s_delay_alu instid0(VALU_DEP_4) | instskip(NEXT) | instid1(VALU_DEP_4)
	v_add_f64 v[1:2], v[14:15], v[1:2]
	v_add_f64 v[3:4], v[16:17], v[4:5]
	s_delay_alu instid0(VALU_DEP_2) | instskip(NEXT) | instid1(VALU_DEP_2)
	v_add_f64 v[1:2], v[1:2], v[6:7]
	v_add_f64 v[3:4], v[3:4], v[8:9]
	s_waitcnt vmcnt(0)
	s_delay_alu instid0(VALU_DEP_2) | instskip(NEXT) | instid1(VALU_DEP_2)
	v_add_f64 v[1:2], v[10:11], -v[1:2]
	v_add_f64 v[3:4], v[12:13], -v[3:4]
	scratch_store_b128 off, v[1:4], off offset:336
	v_cmpx_lt_u32_e32 20, v126
	s_cbranch_execz .LBB41_225
; %bb.224:
	scratch_load_b128 v[1:4], v152, off
	v_mov_b32_e32 v5, 0
	s_delay_alu instid0(VALU_DEP_1)
	v_mov_b32_e32 v6, v5
	v_mov_b32_e32 v7, v5
	;; [unrolled: 1-line block ×3, first 2 shown]
	scratch_store_b128 off, v[5:8], off offset:320
	s_waitcnt vmcnt(0)
	ds_store_b128 v168, v[1:4]
.LBB41_225:
	s_or_b32 exec_lo, exec_lo, s2
	s_waitcnt lgkmcnt(0)
	s_waitcnt_vscnt null, 0x0
	s_barrier
	buffer_gl0_inv
	s_clause 0x7
	scratch_load_b128 v[2:5], off, off offset:336
	scratch_load_b128 v[6:9], off, off offset:352
	;; [unrolled: 1-line block ×8, first 2 shown]
	v_mov_b32_e32 v1, 0
	s_clause 0x1
	scratch_load_b128 v[38:41], off, off offset:464
	scratch_load_b128 v[173:176], off, off offset:480
	s_mov_b32 s2, exec_lo
	ds_load_b128 v[34:37], v1 offset:1008
	ds_load_b128 v[169:172], v1 offset:1024
	s_waitcnt vmcnt(9) lgkmcnt(1)
	v_mul_f64 v[177:178], v[36:37], v[4:5]
	v_mul_f64 v[4:5], v[34:35], v[4:5]
	s_waitcnt vmcnt(8) lgkmcnt(0)
	v_mul_f64 v[179:180], v[169:170], v[8:9]
	v_mul_f64 v[8:9], v[171:172], v[8:9]
	s_delay_alu instid0(VALU_DEP_4) | instskip(NEXT) | instid1(VALU_DEP_4)
	v_fma_f64 v[177:178], v[34:35], v[2:3], -v[177:178]
	v_fma_f64 v[181:182], v[36:37], v[2:3], v[4:5]
	ds_load_b128 v[2:5], v1 offset:1040
	scratch_load_b128 v[34:37], off, off offset:496
	v_fma_f64 v[179:180], v[171:172], v[6:7], v[179:180]
	v_fma_f64 v[185:186], v[169:170], v[6:7], -v[8:9]
	scratch_load_b128 v[169:172], off, off offset:512
	ds_load_b128 v[6:9], v1 offset:1056
	s_waitcnt vmcnt(9) lgkmcnt(1)
	v_mul_f64 v[183:184], v[2:3], v[12:13]
	v_mul_f64 v[12:13], v[4:5], v[12:13]
	s_waitcnt vmcnt(8) lgkmcnt(0)
	v_mul_f64 v[187:188], v[6:7], v[16:17]
	v_mul_f64 v[16:17], v[8:9], v[16:17]
	v_add_f64 v[177:178], v[177:178], 0
	v_add_f64 v[181:182], v[181:182], 0
	v_fma_f64 v[183:184], v[4:5], v[10:11], v[183:184]
	v_fma_f64 v[189:190], v[2:3], v[10:11], -v[12:13]
	ds_load_b128 v[2:5], v1 offset:1072
	scratch_load_b128 v[10:13], off, off offset:528
	v_add_f64 v[177:178], v[177:178], v[185:186]
	v_add_f64 v[179:180], v[181:182], v[179:180]
	v_fma_f64 v[185:186], v[8:9], v[14:15], v[187:188]
	v_fma_f64 v[187:188], v[6:7], v[14:15], -v[16:17]
	scratch_load_b128 v[14:17], off, off offset:544
	ds_load_b128 v[6:9], v1 offset:1088
	s_waitcnt vmcnt(9) lgkmcnt(1)
	v_mul_f64 v[181:182], v[2:3], v[20:21]
	v_mul_f64 v[20:21], v[4:5], v[20:21]
	v_add_f64 v[177:178], v[177:178], v[189:190]
	v_add_f64 v[179:180], v[179:180], v[183:184]
	s_waitcnt vmcnt(8) lgkmcnt(0)
	v_mul_f64 v[183:184], v[6:7], v[24:25]
	v_mul_f64 v[24:25], v[8:9], v[24:25]
	v_fma_f64 v[181:182], v[4:5], v[18:19], v[181:182]
	v_fma_f64 v[189:190], v[2:3], v[18:19], -v[20:21]
	ds_load_b128 v[2:5], v1 offset:1104
	scratch_load_b128 v[18:21], off, off offset:560
	v_add_f64 v[177:178], v[177:178], v[187:188]
	v_add_f64 v[179:180], v[179:180], v[185:186]
	v_fma_f64 v[183:184], v[8:9], v[22:23], v[183:184]
	v_fma_f64 v[187:188], v[6:7], v[22:23], -v[24:25]
	ds_load_b128 v[6:9], v1 offset:1120
	s_waitcnt vmcnt(8) lgkmcnt(1)
	v_mul_f64 v[185:186], v[2:3], v[28:29]
	v_mul_f64 v[28:29], v[4:5], v[28:29]
	scratch_load_b128 v[22:25], off, off offset:576
	v_add_f64 v[177:178], v[177:178], v[189:190]
	v_add_f64 v[179:180], v[179:180], v[181:182]
	s_waitcnt vmcnt(8) lgkmcnt(0)
	v_mul_f64 v[181:182], v[6:7], v[32:33]
	v_mul_f64 v[32:33], v[8:9], v[32:33]
	v_fma_f64 v[185:186], v[4:5], v[26:27], v[185:186]
	v_fma_f64 v[189:190], v[2:3], v[26:27], -v[28:29]
	scratch_load_b128 v[26:29], off, off offset:592
	ds_load_b128 v[2:5], v1 offset:1136
	v_add_f64 v[177:178], v[177:178], v[187:188]
	v_add_f64 v[179:180], v[179:180], v[183:184]
	v_fma_f64 v[181:182], v[8:9], v[30:31], v[181:182]
	v_fma_f64 v[187:188], v[6:7], v[30:31], -v[32:33]
	ds_load_b128 v[6:9], v1 offset:1152
	s_waitcnt vmcnt(8) lgkmcnt(1)
	v_mul_f64 v[183:184], v[2:3], v[40:41]
	v_mul_f64 v[40:41], v[4:5], v[40:41]
	scratch_load_b128 v[30:33], off, off offset:608
	v_add_f64 v[177:178], v[177:178], v[189:190]
	v_add_f64 v[179:180], v[179:180], v[185:186]
	s_waitcnt vmcnt(8) lgkmcnt(0)
	v_mul_f64 v[185:186], v[6:7], v[175:176]
	v_mul_f64 v[175:176], v[8:9], v[175:176]
	v_fma_f64 v[183:184], v[4:5], v[38:39], v[183:184]
	v_fma_f64 v[189:190], v[2:3], v[38:39], -v[40:41]
	scratch_load_b128 v[38:41], off, off offset:624
	ds_load_b128 v[2:5], v1 offset:1168
	v_add_f64 v[177:178], v[177:178], v[187:188]
	v_add_f64 v[179:180], v[179:180], v[181:182]
	v_fma_f64 v[185:186], v[8:9], v[173:174], v[185:186]
	v_fma_f64 v[187:188], v[6:7], v[173:174], -v[175:176]
	ds_load_b128 v[6:9], v1 offset:1184
	scratch_load_b128 v[173:176], off, off offset:640
	s_waitcnt vmcnt(9) lgkmcnt(1)
	v_mul_f64 v[181:182], v[2:3], v[36:37]
	v_mul_f64 v[36:37], v[4:5], v[36:37]
	v_add_f64 v[177:178], v[177:178], v[189:190]
	v_add_f64 v[179:180], v[179:180], v[183:184]
	s_waitcnt vmcnt(8) lgkmcnt(0)
	v_mul_f64 v[183:184], v[6:7], v[171:172]
	v_mul_f64 v[171:172], v[8:9], v[171:172]
	v_fma_f64 v[181:182], v[4:5], v[34:35], v[181:182]
	v_fma_f64 v[189:190], v[2:3], v[34:35], -v[36:37]
	scratch_load_b128 v[34:37], off, off offset:656
	ds_load_b128 v[2:5], v1 offset:1200
	v_add_f64 v[177:178], v[177:178], v[187:188]
	v_add_f64 v[179:180], v[179:180], v[185:186]
	v_fma_f64 v[183:184], v[8:9], v[169:170], v[183:184]
	v_fma_f64 v[169:170], v[6:7], v[169:170], -v[171:172]
	ds_load_b128 v[6:9], v1 offset:1216
	s_waitcnt vmcnt(8) lgkmcnt(1)
	v_mul_f64 v[185:186], v[2:3], v[12:13]
	v_mul_f64 v[12:13], v[4:5], v[12:13]
	v_add_f64 v[171:172], v[177:178], v[189:190]
	v_add_f64 v[177:178], v[179:180], v[181:182]
	s_waitcnt vmcnt(7) lgkmcnt(0)
	v_mul_f64 v[179:180], v[6:7], v[16:17]
	v_mul_f64 v[16:17], v[8:9], v[16:17]
	v_fma_f64 v[181:182], v[4:5], v[10:11], v[185:186]
	v_fma_f64 v[10:11], v[2:3], v[10:11], -v[12:13]
	ds_load_b128 v[2:5], v1 offset:1232
	v_add_f64 v[12:13], v[171:172], v[169:170]
	v_add_f64 v[169:170], v[177:178], v[183:184]
	v_fma_f64 v[177:178], v[8:9], v[14:15], v[179:180]
	v_fma_f64 v[14:15], v[6:7], v[14:15], -v[16:17]
	ds_load_b128 v[6:9], v1 offset:1248
	s_waitcnt vmcnt(5) lgkmcnt(0)
	v_mul_f64 v[179:180], v[6:7], v[24:25]
	v_mul_f64 v[24:25], v[8:9], v[24:25]
	v_add_f64 v[16:17], v[12:13], v[10:11]
	v_add_f64 v[169:170], v[169:170], v[181:182]
	scratch_load_b128 v[10:13], off, off offset:320
	v_mul_f64 v[171:172], v[2:3], v[20:21]
	v_mul_f64 v[20:21], v[4:5], v[20:21]
	v_add_f64 v[14:15], v[16:17], v[14:15]
	v_add_f64 v[16:17], v[169:170], v[177:178]
	v_fma_f64 v[169:170], v[8:9], v[22:23], v[179:180]
	v_fma_f64 v[171:172], v[4:5], v[18:19], v[171:172]
	v_fma_f64 v[18:19], v[2:3], v[18:19], -v[20:21]
	ds_load_b128 v[2:5], v1 offset:1264
	v_fma_f64 v[22:23], v[6:7], v[22:23], -v[24:25]
	ds_load_b128 v[6:9], v1 offset:1280
	s_waitcnt vmcnt(5) lgkmcnt(1)
	v_mul_f64 v[20:21], v[2:3], v[28:29]
	v_mul_f64 v[28:29], v[4:5], v[28:29]
	s_waitcnt vmcnt(4) lgkmcnt(0)
	v_mul_f64 v[24:25], v[8:9], v[32:33]
	v_add_f64 v[16:17], v[16:17], v[171:172]
	v_add_f64 v[14:15], v[14:15], v[18:19]
	v_mul_f64 v[18:19], v[6:7], v[32:33]
	v_fma_f64 v[20:21], v[4:5], v[26:27], v[20:21]
	v_fma_f64 v[26:27], v[2:3], v[26:27], -v[28:29]
	ds_load_b128 v[2:5], v1 offset:1296
	v_fma_f64 v[24:25], v[6:7], v[30:31], -v[24:25]
	v_add_f64 v[16:17], v[16:17], v[169:170]
	v_add_f64 v[14:15], v[14:15], v[22:23]
	v_fma_f64 v[18:19], v[8:9], v[30:31], v[18:19]
	ds_load_b128 v[6:9], v1 offset:1312
	s_waitcnt vmcnt(3) lgkmcnt(1)
	v_mul_f64 v[22:23], v[2:3], v[40:41]
	v_mul_f64 v[28:29], v[4:5], v[40:41]
	v_add_f64 v[16:17], v[16:17], v[20:21]
	v_add_f64 v[14:15], v[14:15], v[26:27]
	s_waitcnt vmcnt(2) lgkmcnt(0)
	v_mul_f64 v[20:21], v[6:7], v[175:176]
	v_mul_f64 v[26:27], v[8:9], v[175:176]
	v_fma_f64 v[22:23], v[4:5], v[38:39], v[22:23]
	v_fma_f64 v[28:29], v[2:3], v[38:39], -v[28:29]
	ds_load_b128 v[2:5], v1 offset:1328
	v_add_f64 v[16:17], v[16:17], v[18:19]
	v_add_f64 v[14:15], v[14:15], v[24:25]
	s_waitcnt vmcnt(1) lgkmcnt(0)
	v_mul_f64 v[18:19], v[2:3], v[36:37]
	v_mul_f64 v[24:25], v[4:5], v[36:37]
	v_fma_f64 v[8:9], v[8:9], v[173:174], v[20:21]
	v_fma_f64 v[6:7], v[6:7], v[173:174], -v[26:27]
	v_add_f64 v[16:17], v[16:17], v[22:23]
	v_add_f64 v[14:15], v[14:15], v[28:29]
	v_fma_f64 v[4:5], v[4:5], v[34:35], v[18:19]
	v_fma_f64 v[2:3], v[2:3], v[34:35], -v[24:25]
	s_delay_alu instid0(VALU_DEP_4) | instskip(NEXT) | instid1(VALU_DEP_4)
	v_add_f64 v[8:9], v[16:17], v[8:9]
	v_add_f64 v[6:7], v[14:15], v[6:7]
	s_delay_alu instid0(VALU_DEP_2) | instskip(NEXT) | instid1(VALU_DEP_2)
	v_add_f64 v[4:5], v[8:9], v[4:5]
	v_add_f64 v[2:3], v[6:7], v[2:3]
	s_waitcnt vmcnt(0)
	s_delay_alu instid0(VALU_DEP_2) | instskip(NEXT) | instid1(VALU_DEP_2)
	v_add_f64 v[4:5], v[12:13], -v[4:5]
	v_add_f64 v[2:3], v[10:11], -v[2:3]
	scratch_store_b128 off, v[2:5], off offset:320
	v_cmpx_lt_u32_e32 19, v126
	s_cbranch_execz .LBB41_227
; %bb.226:
	scratch_load_b128 v[5:8], v154, off
	v_mov_b32_e32 v2, v1
	v_mov_b32_e32 v3, v1
	;; [unrolled: 1-line block ×3, first 2 shown]
	scratch_store_b128 off, v[1:4], off offset:304
	s_waitcnt vmcnt(0)
	ds_store_b128 v168, v[5:8]
.LBB41_227:
	s_or_b32 exec_lo, exec_lo, s2
	s_waitcnt lgkmcnt(0)
	s_waitcnt_vscnt null, 0x0
	s_barrier
	buffer_gl0_inv
	s_clause 0x7
	scratch_load_b128 v[2:5], off, off offset:320
	scratch_load_b128 v[6:9], off, off offset:336
	;; [unrolled: 1-line block ×8, first 2 shown]
	ds_load_b128 v[34:37], v1 offset:992
	ds_load_b128 v[169:172], v1 offset:1008
	s_clause 0x1
	scratch_load_b128 v[38:41], off, off offset:448
	scratch_load_b128 v[173:176], off, off offset:464
	s_mov_b32 s2, exec_lo
	s_waitcnt vmcnt(9) lgkmcnt(1)
	v_mul_f64 v[177:178], v[36:37], v[4:5]
	v_mul_f64 v[4:5], v[34:35], v[4:5]
	s_waitcnt vmcnt(8) lgkmcnt(0)
	v_mul_f64 v[179:180], v[169:170], v[8:9]
	v_mul_f64 v[8:9], v[171:172], v[8:9]
	s_delay_alu instid0(VALU_DEP_4) | instskip(NEXT) | instid1(VALU_DEP_4)
	v_fma_f64 v[177:178], v[34:35], v[2:3], -v[177:178]
	v_fma_f64 v[181:182], v[36:37], v[2:3], v[4:5]
	ds_load_b128 v[2:5], v1 offset:1024
	scratch_load_b128 v[34:37], off, off offset:480
	v_fma_f64 v[179:180], v[171:172], v[6:7], v[179:180]
	v_fma_f64 v[185:186], v[169:170], v[6:7], -v[8:9]
	scratch_load_b128 v[169:172], off, off offset:496
	ds_load_b128 v[6:9], v1 offset:1040
	s_waitcnt vmcnt(9) lgkmcnt(1)
	v_mul_f64 v[183:184], v[2:3], v[12:13]
	v_mul_f64 v[12:13], v[4:5], v[12:13]
	s_waitcnt vmcnt(8) lgkmcnt(0)
	v_mul_f64 v[187:188], v[6:7], v[16:17]
	v_mul_f64 v[16:17], v[8:9], v[16:17]
	v_add_f64 v[177:178], v[177:178], 0
	v_add_f64 v[181:182], v[181:182], 0
	v_fma_f64 v[183:184], v[4:5], v[10:11], v[183:184]
	v_fma_f64 v[189:190], v[2:3], v[10:11], -v[12:13]
	ds_load_b128 v[2:5], v1 offset:1056
	scratch_load_b128 v[10:13], off, off offset:512
	v_add_f64 v[177:178], v[177:178], v[185:186]
	v_add_f64 v[179:180], v[181:182], v[179:180]
	v_fma_f64 v[185:186], v[8:9], v[14:15], v[187:188]
	v_fma_f64 v[187:188], v[6:7], v[14:15], -v[16:17]
	scratch_load_b128 v[14:17], off, off offset:528
	ds_load_b128 v[6:9], v1 offset:1072
	s_waitcnt vmcnt(9) lgkmcnt(1)
	v_mul_f64 v[181:182], v[2:3], v[20:21]
	v_mul_f64 v[20:21], v[4:5], v[20:21]
	v_add_f64 v[177:178], v[177:178], v[189:190]
	v_add_f64 v[179:180], v[179:180], v[183:184]
	s_waitcnt vmcnt(8) lgkmcnt(0)
	v_mul_f64 v[183:184], v[6:7], v[24:25]
	v_mul_f64 v[24:25], v[8:9], v[24:25]
	v_fma_f64 v[181:182], v[4:5], v[18:19], v[181:182]
	v_fma_f64 v[189:190], v[2:3], v[18:19], -v[20:21]
	ds_load_b128 v[2:5], v1 offset:1088
	scratch_load_b128 v[18:21], off, off offset:544
	v_add_f64 v[177:178], v[177:178], v[187:188]
	v_add_f64 v[179:180], v[179:180], v[185:186]
	v_fma_f64 v[183:184], v[8:9], v[22:23], v[183:184]
	v_fma_f64 v[187:188], v[6:7], v[22:23], -v[24:25]
	ds_load_b128 v[6:9], v1 offset:1104
	s_waitcnt vmcnt(8) lgkmcnt(1)
	v_mul_f64 v[185:186], v[2:3], v[28:29]
	v_mul_f64 v[28:29], v[4:5], v[28:29]
	scratch_load_b128 v[22:25], off, off offset:560
	v_add_f64 v[177:178], v[177:178], v[189:190]
	v_add_f64 v[179:180], v[179:180], v[181:182]
	s_waitcnt vmcnt(8) lgkmcnt(0)
	v_mul_f64 v[181:182], v[6:7], v[32:33]
	v_mul_f64 v[32:33], v[8:9], v[32:33]
	v_fma_f64 v[185:186], v[4:5], v[26:27], v[185:186]
	v_fma_f64 v[189:190], v[2:3], v[26:27], -v[28:29]
	ds_load_b128 v[2:5], v1 offset:1120
	scratch_load_b128 v[26:29], off, off offset:576
	v_add_f64 v[177:178], v[177:178], v[187:188]
	v_add_f64 v[179:180], v[179:180], v[183:184]
	v_fma_f64 v[181:182], v[8:9], v[30:31], v[181:182]
	v_fma_f64 v[187:188], v[6:7], v[30:31], -v[32:33]
	ds_load_b128 v[6:9], v1 offset:1136
	s_waitcnt vmcnt(8) lgkmcnt(1)
	v_mul_f64 v[183:184], v[2:3], v[40:41]
	v_mul_f64 v[40:41], v[4:5], v[40:41]
	scratch_load_b128 v[30:33], off, off offset:592
	v_add_f64 v[177:178], v[177:178], v[189:190]
	v_add_f64 v[179:180], v[179:180], v[185:186]
	s_waitcnt vmcnt(8) lgkmcnt(0)
	v_mul_f64 v[185:186], v[6:7], v[175:176]
	v_mul_f64 v[175:176], v[8:9], v[175:176]
	v_fma_f64 v[183:184], v[4:5], v[38:39], v[183:184]
	v_fma_f64 v[189:190], v[2:3], v[38:39], -v[40:41]
	scratch_load_b128 v[38:41], off, off offset:608
	ds_load_b128 v[2:5], v1 offset:1152
	v_add_f64 v[177:178], v[177:178], v[187:188]
	v_add_f64 v[179:180], v[179:180], v[181:182]
	v_fma_f64 v[185:186], v[8:9], v[173:174], v[185:186]
	v_fma_f64 v[187:188], v[6:7], v[173:174], -v[175:176]
	ds_load_b128 v[6:9], v1 offset:1168
	scratch_load_b128 v[173:176], off, off offset:624
	s_waitcnt vmcnt(9) lgkmcnt(1)
	v_mul_f64 v[181:182], v[2:3], v[36:37]
	v_mul_f64 v[36:37], v[4:5], v[36:37]
	v_add_f64 v[177:178], v[177:178], v[189:190]
	v_add_f64 v[179:180], v[179:180], v[183:184]
	s_waitcnt vmcnt(8) lgkmcnt(0)
	v_mul_f64 v[183:184], v[6:7], v[171:172]
	v_mul_f64 v[171:172], v[8:9], v[171:172]
	v_fma_f64 v[181:182], v[4:5], v[34:35], v[181:182]
	v_fma_f64 v[189:190], v[2:3], v[34:35], -v[36:37]
	scratch_load_b128 v[34:37], off, off offset:640
	ds_load_b128 v[2:5], v1 offset:1184
	v_add_f64 v[177:178], v[177:178], v[187:188]
	v_add_f64 v[179:180], v[179:180], v[185:186]
	v_fma_f64 v[183:184], v[8:9], v[169:170], v[183:184]
	v_fma_f64 v[187:188], v[6:7], v[169:170], -v[171:172]
	ds_load_b128 v[6:9], v1 offset:1200
	s_waitcnt vmcnt(8) lgkmcnt(1)
	v_mul_f64 v[185:186], v[2:3], v[12:13]
	v_mul_f64 v[12:13], v[4:5], v[12:13]
	scratch_load_b128 v[169:172], off, off offset:656
	v_add_f64 v[177:178], v[177:178], v[189:190]
	v_add_f64 v[179:180], v[179:180], v[181:182]
	s_waitcnt vmcnt(8) lgkmcnt(0)
	v_mul_f64 v[181:182], v[6:7], v[16:17]
	v_mul_f64 v[16:17], v[8:9], v[16:17]
	v_fma_f64 v[185:186], v[4:5], v[10:11], v[185:186]
	v_fma_f64 v[10:11], v[2:3], v[10:11], -v[12:13]
	ds_load_b128 v[2:5], v1 offset:1216
	v_add_f64 v[12:13], v[177:178], v[187:188]
	v_add_f64 v[177:178], v[179:180], v[183:184]
	v_fma_f64 v[181:182], v[8:9], v[14:15], v[181:182]
	v_fma_f64 v[14:15], v[6:7], v[14:15], -v[16:17]
	ds_load_b128 v[6:9], v1 offset:1232
	s_waitcnt vmcnt(7) lgkmcnt(1)
	v_mul_f64 v[179:180], v[2:3], v[20:21]
	v_mul_f64 v[20:21], v[4:5], v[20:21]
	v_add_f64 v[10:11], v[12:13], v[10:11]
	v_add_f64 v[12:13], v[177:178], v[185:186]
	s_delay_alu instid0(VALU_DEP_4) | instskip(NEXT) | instid1(VALU_DEP_4)
	v_fma_f64 v[177:178], v[4:5], v[18:19], v[179:180]
	v_fma_f64 v[18:19], v[2:3], v[18:19], -v[20:21]
	ds_load_b128 v[2:5], v1 offset:1248
	v_add_f64 v[14:15], v[10:11], v[14:15]
	v_add_f64 v[20:21], v[12:13], v[181:182]
	scratch_load_b128 v[10:13], off, off offset:304
	s_waitcnt vmcnt(7) lgkmcnt(1)
	v_mul_f64 v[16:17], v[6:7], v[24:25]
	v_mul_f64 v[24:25], v[8:9], v[24:25]
	v_add_f64 v[14:15], v[14:15], v[18:19]
	v_add_f64 v[18:19], v[20:21], v[177:178]
	s_delay_alu instid0(VALU_DEP_4) | instskip(NEXT) | instid1(VALU_DEP_4)
	v_fma_f64 v[16:17], v[8:9], v[22:23], v[16:17]
	v_fma_f64 v[22:23], v[6:7], v[22:23], -v[24:25]
	ds_load_b128 v[6:9], v1 offset:1264
	s_waitcnt vmcnt(6) lgkmcnt(1)
	v_mul_f64 v[179:180], v[2:3], v[28:29]
	v_mul_f64 v[28:29], v[4:5], v[28:29]
	s_waitcnt vmcnt(5) lgkmcnt(0)
	v_mul_f64 v[20:21], v[6:7], v[32:33]
	v_mul_f64 v[24:25], v[8:9], v[32:33]
	v_add_f64 v[16:17], v[18:19], v[16:17]
	v_add_f64 v[14:15], v[14:15], v[22:23]
	v_fma_f64 v[32:33], v[4:5], v[26:27], v[179:180]
	v_fma_f64 v[26:27], v[2:3], v[26:27], -v[28:29]
	ds_load_b128 v[2:5], v1 offset:1280
	v_fma_f64 v[20:21], v[8:9], v[30:31], v[20:21]
	v_fma_f64 v[24:25], v[6:7], v[30:31], -v[24:25]
	ds_load_b128 v[6:9], v1 offset:1296
	s_waitcnt vmcnt(4) lgkmcnt(1)
	v_mul_f64 v[18:19], v[2:3], v[40:41]
	v_mul_f64 v[22:23], v[4:5], v[40:41]
	v_add_f64 v[16:17], v[16:17], v[32:33]
	v_add_f64 v[14:15], v[14:15], v[26:27]
	s_waitcnt vmcnt(3) lgkmcnt(0)
	v_mul_f64 v[26:27], v[6:7], v[175:176]
	v_mul_f64 v[28:29], v[8:9], v[175:176]
	v_fma_f64 v[18:19], v[4:5], v[38:39], v[18:19]
	v_fma_f64 v[22:23], v[2:3], v[38:39], -v[22:23]
	ds_load_b128 v[2:5], v1 offset:1312
	v_add_f64 v[16:17], v[16:17], v[20:21]
	v_add_f64 v[14:15], v[14:15], v[24:25]
	v_fma_f64 v[26:27], v[8:9], v[173:174], v[26:27]
	v_fma_f64 v[28:29], v[6:7], v[173:174], -v[28:29]
	ds_load_b128 v[6:9], v1 offset:1328
	s_waitcnt vmcnt(2) lgkmcnt(1)
	v_mul_f64 v[20:21], v[2:3], v[36:37]
	v_mul_f64 v[24:25], v[4:5], v[36:37]
	v_add_f64 v[16:17], v[16:17], v[18:19]
	v_add_f64 v[14:15], v[14:15], v[22:23]
	s_waitcnt vmcnt(1) lgkmcnt(0)
	v_mul_f64 v[18:19], v[6:7], v[171:172]
	v_mul_f64 v[22:23], v[8:9], v[171:172]
	v_fma_f64 v[4:5], v[4:5], v[34:35], v[20:21]
	v_fma_f64 v[1:2], v[2:3], v[34:35], -v[24:25]
	v_add_f64 v[16:17], v[16:17], v[26:27]
	v_add_f64 v[14:15], v[14:15], v[28:29]
	v_fma_f64 v[8:9], v[8:9], v[169:170], v[18:19]
	v_fma_f64 v[6:7], v[6:7], v[169:170], -v[22:23]
	s_delay_alu instid0(VALU_DEP_4) | instskip(NEXT) | instid1(VALU_DEP_4)
	v_add_f64 v[3:4], v[16:17], v[4:5]
	v_add_f64 v[1:2], v[14:15], v[1:2]
	s_delay_alu instid0(VALU_DEP_2) | instskip(NEXT) | instid1(VALU_DEP_2)
	v_add_f64 v[3:4], v[3:4], v[8:9]
	v_add_f64 v[1:2], v[1:2], v[6:7]
	s_waitcnt vmcnt(0)
	s_delay_alu instid0(VALU_DEP_2) | instskip(NEXT) | instid1(VALU_DEP_2)
	v_add_f64 v[3:4], v[12:13], -v[3:4]
	v_add_f64 v[1:2], v[10:11], -v[1:2]
	scratch_store_b128 off, v[1:4], off offset:304
	v_cmpx_lt_u32_e32 18, v126
	s_cbranch_execz .LBB41_229
; %bb.228:
	scratch_load_b128 v[1:4], v153, off
	v_mov_b32_e32 v5, 0
	s_delay_alu instid0(VALU_DEP_1)
	v_mov_b32_e32 v6, v5
	v_mov_b32_e32 v7, v5
	;; [unrolled: 1-line block ×3, first 2 shown]
	scratch_store_b128 off, v[5:8], off offset:288
	s_waitcnt vmcnt(0)
	ds_store_b128 v168, v[1:4]
.LBB41_229:
	s_or_b32 exec_lo, exec_lo, s2
	s_waitcnt lgkmcnt(0)
	s_waitcnt_vscnt null, 0x0
	s_barrier
	buffer_gl0_inv
	s_clause 0x7
	scratch_load_b128 v[2:5], off, off offset:304
	scratch_load_b128 v[6:9], off, off offset:320
	;; [unrolled: 1-line block ×8, first 2 shown]
	v_mov_b32_e32 v1, 0
	s_clause 0x1
	scratch_load_b128 v[38:41], off, off offset:432
	scratch_load_b128 v[173:176], off, off offset:448
	s_mov_b32 s2, exec_lo
	ds_load_b128 v[34:37], v1 offset:976
	ds_load_b128 v[169:172], v1 offset:992
	s_waitcnt vmcnt(9) lgkmcnt(1)
	v_mul_f64 v[177:178], v[36:37], v[4:5]
	v_mul_f64 v[4:5], v[34:35], v[4:5]
	s_waitcnt vmcnt(8) lgkmcnt(0)
	v_mul_f64 v[179:180], v[169:170], v[8:9]
	v_mul_f64 v[8:9], v[171:172], v[8:9]
	s_delay_alu instid0(VALU_DEP_4) | instskip(NEXT) | instid1(VALU_DEP_4)
	v_fma_f64 v[177:178], v[34:35], v[2:3], -v[177:178]
	v_fma_f64 v[181:182], v[36:37], v[2:3], v[4:5]
	ds_load_b128 v[2:5], v1 offset:1008
	scratch_load_b128 v[34:37], off, off offset:464
	v_fma_f64 v[179:180], v[171:172], v[6:7], v[179:180]
	v_fma_f64 v[185:186], v[169:170], v[6:7], -v[8:9]
	scratch_load_b128 v[169:172], off, off offset:480
	ds_load_b128 v[6:9], v1 offset:1024
	s_waitcnt vmcnt(9) lgkmcnt(1)
	v_mul_f64 v[183:184], v[2:3], v[12:13]
	v_mul_f64 v[12:13], v[4:5], v[12:13]
	s_waitcnt vmcnt(8) lgkmcnt(0)
	v_mul_f64 v[187:188], v[6:7], v[16:17]
	v_mul_f64 v[16:17], v[8:9], v[16:17]
	v_add_f64 v[177:178], v[177:178], 0
	v_add_f64 v[181:182], v[181:182], 0
	v_fma_f64 v[183:184], v[4:5], v[10:11], v[183:184]
	v_fma_f64 v[189:190], v[2:3], v[10:11], -v[12:13]
	ds_load_b128 v[2:5], v1 offset:1040
	scratch_load_b128 v[10:13], off, off offset:496
	v_add_f64 v[177:178], v[177:178], v[185:186]
	v_add_f64 v[179:180], v[181:182], v[179:180]
	v_fma_f64 v[185:186], v[8:9], v[14:15], v[187:188]
	v_fma_f64 v[187:188], v[6:7], v[14:15], -v[16:17]
	scratch_load_b128 v[14:17], off, off offset:512
	ds_load_b128 v[6:9], v1 offset:1056
	s_waitcnt vmcnt(9) lgkmcnt(1)
	v_mul_f64 v[181:182], v[2:3], v[20:21]
	v_mul_f64 v[20:21], v[4:5], v[20:21]
	v_add_f64 v[177:178], v[177:178], v[189:190]
	v_add_f64 v[179:180], v[179:180], v[183:184]
	s_waitcnt vmcnt(8) lgkmcnt(0)
	v_mul_f64 v[183:184], v[6:7], v[24:25]
	v_mul_f64 v[24:25], v[8:9], v[24:25]
	v_fma_f64 v[181:182], v[4:5], v[18:19], v[181:182]
	v_fma_f64 v[189:190], v[2:3], v[18:19], -v[20:21]
	ds_load_b128 v[2:5], v1 offset:1072
	scratch_load_b128 v[18:21], off, off offset:528
	v_add_f64 v[177:178], v[177:178], v[187:188]
	v_add_f64 v[179:180], v[179:180], v[185:186]
	v_fma_f64 v[183:184], v[8:9], v[22:23], v[183:184]
	v_fma_f64 v[187:188], v[6:7], v[22:23], -v[24:25]
	scratch_load_b128 v[22:25], off, off offset:544
	ds_load_b128 v[6:9], v1 offset:1088
	s_waitcnt vmcnt(9) lgkmcnt(1)
	v_mul_f64 v[185:186], v[2:3], v[28:29]
	v_mul_f64 v[28:29], v[4:5], v[28:29]
	v_add_f64 v[177:178], v[177:178], v[189:190]
	v_add_f64 v[179:180], v[179:180], v[181:182]
	s_waitcnt vmcnt(8) lgkmcnt(0)
	v_mul_f64 v[181:182], v[6:7], v[32:33]
	v_mul_f64 v[32:33], v[8:9], v[32:33]
	v_fma_f64 v[185:186], v[4:5], v[26:27], v[185:186]
	v_fma_f64 v[189:190], v[2:3], v[26:27], -v[28:29]
	ds_load_b128 v[2:5], v1 offset:1104
	scratch_load_b128 v[26:29], off, off offset:560
	v_add_f64 v[177:178], v[177:178], v[187:188]
	v_add_f64 v[179:180], v[179:180], v[183:184]
	v_fma_f64 v[181:182], v[8:9], v[30:31], v[181:182]
	v_fma_f64 v[187:188], v[6:7], v[30:31], -v[32:33]
	ds_load_b128 v[6:9], v1 offset:1120
	s_waitcnt vmcnt(8) lgkmcnt(1)
	v_mul_f64 v[183:184], v[2:3], v[40:41]
	v_mul_f64 v[40:41], v[4:5], v[40:41]
	scratch_load_b128 v[30:33], off, off offset:576
	v_add_f64 v[177:178], v[177:178], v[189:190]
	v_add_f64 v[179:180], v[179:180], v[185:186]
	s_waitcnt vmcnt(8) lgkmcnt(0)
	v_mul_f64 v[185:186], v[6:7], v[175:176]
	v_mul_f64 v[175:176], v[8:9], v[175:176]
	v_fma_f64 v[183:184], v[4:5], v[38:39], v[183:184]
	v_fma_f64 v[189:190], v[2:3], v[38:39], -v[40:41]
	scratch_load_b128 v[38:41], off, off offset:592
	ds_load_b128 v[2:5], v1 offset:1136
	v_add_f64 v[177:178], v[177:178], v[187:188]
	v_add_f64 v[179:180], v[179:180], v[181:182]
	v_fma_f64 v[185:186], v[8:9], v[173:174], v[185:186]
	v_fma_f64 v[187:188], v[6:7], v[173:174], -v[175:176]
	ds_load_b128 v[6:9], v1 offset:1152
	scratch_load_b128 v[173:176], off, off offset:608
	s_waitcnt vmcnt(9) lgkmcnt(1)
	v_mul_f64 v[181:182], v[2:3], v[36:37]
	v_mul_f64 v[36:37], v[4:5], v[36:37]
	v_add_f64 v[177:178], v[177:178], v[189:190]
	v_add_f64 v[179:180], v[179:180], v[183:184]
	s_waitcnt vmcnt(8) lgkmcnt(0)
	v_mul_f64 v[183:184], v[6:7], v[171:172]
	v_mul_f64 v[171:172], v[8:9], v[171:172]
	v_fma_f64 v[181:182], v[4:5], v[34:35], v[181:182]
	v_fma_f64 v[189:190], v[2:3], v[34:35], -v[36:37]
	scratch_load_b128 v[34:37], off, off offset:624
	ds_load_b128 v[2:5], v1 offset:1168
	v_add_f64 v[177:178], v[177:178], v[187:188]
	v_add_f64 v[179:180], v[179:180], v[185:186]
	v_fma_f64 v[183:184], v[8:9], v[169:170], v[183:184]
	v_fma_f64 v[187:188], v[6:7], v[169:170], -v[171:172]
	ds_load_b128 v[6:9], v1 offset:1184
	s_waitcnt vmcnt(8) lgkmcnt(1)
	v_mul_f64 v[185:186], v[2:3], v[12:13]
	v_mul_f64 v[12:13], v[4:5], v[12:13]
	scratch_load_b128 v[169:172], off, off offset:640
	v_add_f64 v[177:178], v[177:178], v[189:190]
	v_add_f64 v[179:180], v[179:180], v[181:182]
	s_waitcnt vmcnt(8) lgkmcnt(0)
	v_mul_f64 v[181:182], v[6:7], v[16:17]
	v_mul_f64 v[16:17], v[8:9], v[16:17]
	v_fma_f64 v[185:186], v[4:5], v[10:11], v[185:186]
	v_fma_f64 v[189:190], v[2:3], v[10:11], -v[12:13]
	scratch_load_b128 v[10:13], off, off offset:656
	ds_load_b128 v[2:5], v1 offset:1200
	v_add_f64 v[177:178], v[177:178], v[187:188]
	v_add_f64 v[179:180], v[179:180], v[183:184]
	v_fma_f64 v[181:182], v[8:9], v[14:15], v[181:182]
	v_fma_f64 v[14:15], v[6:7], v[14:15], -v[16:17]
	ds_load_b128 v[6:9], v1 offset:1216
	s_waitcnt vmcnt(8) lgkmcnt(1)
	v_mul_f64 v[183:184], v[2:3], v[20:21]
	v_mul_f64 v[20:21], v[4:5], v[20:21]
	v_add_f64 v[16:17], v[177:178], v[189:190]
	v_add_f64 v[177:178], v[179:180], v[185:186]
	s_waitcnt vmcnt(7) lgkmcnt(0)
	v_mul_f64 v[179:180], v[6:7], v[24:25]
	v_mul_f64 v[24:25], v[8:9], v[24:25]
	v_fma_f64 v[183:184], v[4:5], v[18:19], v[183:184]
	v_fma_f64 v[18:19], v[2:3], v[18:19], -v[20:21]
	ds_load_b128 v[2:5], v1 offset:1232
	v_add_f64 v[14:15], v[16:17], v[14:15]
	v_add_f64 v[16:17], v[177:178], v[181:182]
	v_fma_f64 v[177:178], v[8:9], v[22:23], v[179:180]
	v_fma_f64 v[22:23], v[6:7], v[22:23], -v[24:25]
	ds_load_b128 v[6:9], v1 offset:1248
	s_waitcnt vmcnt(5) lgkmcnt(0)
	v_mul_f64 v[179:180], v[6:7], v[32:33]
	v_mul_f64 v[32:33], v[8:9], v[32:33]
	v_add_f64 v[18:19], v[14:15], v[18:19]
	v_add_f64 v[24:25], v[16:17], v[183:184]
	scratch_load_b128 v[14:17], off, off offset:288
	v_mul_f64 v[20:21], v[2:3], v[28:29]
	v_mul_f64 v[28:29], v[4:5], v[28:29]
	v_add_f64 v[18:19], v[18:19], v[22:23]
	v_add_f64 v[22:23], v[24:25], v[177:178]
	s_delay_alu instid0(VALU_DEP_4) | instskip(NEXT) | instid1(VALU_DEP_4)
	v_fma_f64 v[20:21], v[4:5], v[26:27], v[20:21]
	v_fma_f64 v[26:27], v[2:3], v[26:27], -v[28:29]
	ds_load_b128 v[2:5], v1 offset:1264
	s_waitcnt vmcnt(5) lgkmcnt(0)
	v_mul_f64 v[24:25], v[2:3], v[40:41]
	v_mul_f64 v[28:29], v[4:5], v[40:41]
	v_fma_f64 v[40:41], v[8:9], v[30:31], v[179:180]
	v_fma_f64 v[30:31], v[6:7], v[30:31], -v[32:33]
	ds_load_b128 v[6:9], v1 offset:1280
	v_add_f64 v[20:21], v[22:23], v[20:21]
	v_add_f64 v[18:19], v[18:19], v[26:27]
	v_fma_f64 v[24:25], v[4:5], v[38:39], v[24:25]
	v_fma_f64 v[28:29], v[2:3], v[38:39], -v[28:29]
	ds_load_b128 v[2:5], v1 offset:1296
	s_waitcnt vmcnt(4) lgkmcnt(1)
	v_mul_f64 v[22:23], v[6:7], v[175:176]
	v_mul_f64 v[26:27], v[8:9], v[175:176]
	v_add_f64 v[20:21], v[20:21], v[40:41]
	v_add_f64 v[18:19], v[18:19], v[30:31]
	s_waitcnt vmcnt(3) lgkmcnt(0)
	v_mul_f64 v[30:31], v[2:3], v[36:37]
	v_mul_f64 v[32:33], v[4:5], v[36:37]
	v_fma_f64 v[22:23], v[8:9], v[173:174], v[22:23]
	v_fma_f64 v[26:27], v[6:7], v[173:174], -v[26:27]
	ds_load_b128 v[6:9], v1 offset:1312
	v_add_f64 v[20:21], v[20:21], v[24:25]
	v_add_f64 v[18:19], v[18:19], v[28:29]
	v_fma_f64 v[30:31], v[4:5], v[34:35], v[30:31]
	v_fma_f64 v[32:33], v[2:3], v[34:35], -v[32:33]
	ds_load_b128 v[2:5], v1 offset:1328
	s_waitcnt vmcnt(2) lgkmcnt(1)
	v_mul_f64 v[24:25], v[6:7], v[171:172]
	v_mul_f64 v[28:29], v[8:9], v[171:172]
	v_add_f64 v[20:21], v[20:21], v[22:23]
	v_add_f64 v[18:19], v[18:19], v[26:27]
	s_waitcnt vmcnt(1) lgkmcnt(0)
	v_mul_f64 v[22:23], v[2:3], v[12:13]
	v_mul_f64 v[12:13], v[4:5], v[12:13]
	v_fma_f64 v[8:9], v[8:9], v[169:170], v[24:25]
	v_fma_f64 v[6:7], v[6:7], v[169:170], -v[28:29]
	v_add_f64 v[20:21], v[20:21], v[30:31]
	v_add_f64 v[18:19], v[18:19], v[32:33]
	v_fma_f64 v[4:5], v[4:5], v[10:11], v[22:23]
	v_fma_f64 v[2:3], v[2:3], v[10:11], -v[12:13]
	s_delay_alu instid0(VALU_DEP_4) | instskip(NEXT) | instid1(VALU_DEP_4)
	v_add_f64 v[8:9], v[20:21], v[8:9]
	v_add_f64 v[6:7], v[18:19], v[6:7]
	s_delay_alu instid0(VALU_DEP_2) | instskip(NEXT) | instid1(VALU_DEP_2)
	v_add_f64 v[4:5], v[8:9], v[4:5]
	v_add_f64 v[2:3], v[6:7], v[2:3]
	s_waitcnt vmcnt(0)
	s_delay_alu instid0(VALU_DEP_2) | instskip(NEXT) | instid1(VALU_DEP_2)
	v_add_f64 v[4:5], v[16:17], -v[4:5]
	v_add_f64 v[2:3], v[14:15], -v[2:3]
	scratch_store_b128 off, v[2:5], off offset:288
	v_cmpx_lt_u32_e32 17, v126
	s_cbranch_execz .LBB41_231
; %bb.230:
	scratch_load_b128 v[5:8], v155, off
	v_mov_b32_e32 v2, v1
	v_mov_b32_e32 v3, v1
	;; [unrolled: 1-line block ×3, first 2 shown]
	scratch_store_b128 off, v[1:4], off offset:272
	s_waitcnt vmcnt(0)
	ds_store_b128 v168, v[5:8]
.LBB41_231:
	s_or_b32 exec_lo, exec_lo, s2
	s_waitcnt lgkmcnt(0)
	s_waitcnt_vscnt null, 0x0
	s_barrier
	buffer_gl0_inv
	s_clause 0x7
	scratch_load_b128 v[2:5], off, off offset:288
	scratch_load_b128 v[6:9], off, off offset:304
	scratch_load_b128 v[10:13], off, off offset:320
	scratch_load_b128 v[14:17], off, off offset:336
	scratch_load_b128 v[18:21], off, off offset:352
	scratch_load_b128 v[22:25], off, off offset:368
	scratch_load_b128 v[26:29], off, off offset:384
	scratch_load_b128 v[30:33], off, off offset:400
	ds_load_b128 v[34:37], v1 offset:960
	ds_load_b128 v[169:172], v1 offset:976
	s_clause 0x1
	scratch_load_b128 v[38:41], off, off offset:416
	scratch_load_b128 v[173:176], off, off offset:432
	s_mov_b32 s2, exec_lo
	s_waitcnt vmcnt(9) lgkmcnt(1)
	v_mul_f64 v[177:178], v[36:37], v[4:5]
	v_mul_f64 v[4:5], v[34:35], v[4:5]
	s_waitcnt vmcnt(8) lgkmcnt(0)
	v_mul_f64 v[179:180], v[169:170], v[8:9]
	v_mul_f64 v[8:9], v[171:172], v[8:9]
	s_delay_alu instid0(VALU_DEP_4) | instskip(NEXT) | instid1(VALU_DEP_4)
	v_fma_f64 v[177:178], v[34:35], v[2:3], -v[177:178]
	v_fma_f64 v[181:182], v[36:37], v[2:3], v[4:5]
	ds_load_b128 v[2:5], v1 offset:992
	scratch_load_b128 v[34:37], off, off offset:448
	v_fma_f64 v[179:180], v[171:172], v[6:7], v[179:180]
	v_fma_f64 v[185:186], v[169:170], v[6:7], -v[8:9]
	scratch_load_b128 v[169:172], off, off offset:464
	ds_load_b128 v[6:9], v1 offset:1008
	s_waitcnt vmcnt(9) lgkmcnt(1)
	v_mul_f64 v[183:184], v[2:3], v[12:13]
	v_mul_f64 v[12:13], v[4:5], v[12:13]
	s_waitcnt vmcnt(8) lgkmcnt(0)
	v_mul_f64 v[187:188], v[6:7], v[16:17]
	v_mul_f64 v[16:17], v[8:9], v[16:17]
	v_add_f64 v[177:178], v[177:178], 0
	v_add_f64 v[181:182], v[181:182], 0
	v_fma_f64 v[183:184], v[4:5], v[10:11], v[183:184]
	v_fma_f64 v[189:190], v[2:3], v[10:11], -v[12:13]
	ds_load_b128 v[2:5], v1 offset:1024
	scratch_load_b128 v[10:13], off, off offset:480
	v_add_f64 v[177:178], v[177:178], v[185:186]
	v_add_f64 v[179:180], v[181:182], v[179:180]
	v_fma_f64 v[185:186], v[8:9], v[14:15], v[187:188]
	v_fma_f64 v[187:188], v[6:7], v[14:15], -v[16:17]
	scratch_load_b128 v[14:17], off, off offset:496
	ds_load_b128 v[6:9], v1 offset:1040
	s_waitcnt vmcnt(9) lgkmcnt(1)
	v_mul_f64 v[181:182], v[2:3], v[20:21]
	v_mul_f64 v[20:21], v[4:5], v[20:21]
	v_add_f64 v[177:178], v[177:178], v[189:190]
	v_add_f64 v[179:180], v[179:180], v[183:184]
	s_waitcnt vmcnt(8) lgkmcnt(0)
	v_mul_f64 v[183:184], v[6:7], v[24:25]
	v_mul_f64 v[24:25], v[8:9], v[24:25]
	v_fma_f64 v[181:182], v[4:5], v[18:19], v[181:182]
	v_fma_f64 v[189:190], v[2:3], v[18:19], -v[20:21]
	ds_load_b128 v[2:5], v1 offset:1056
	scratch_load_b128 v[18:21], off, off offset:512
	v_add_f64 v[177:178], v[177:178], v[187:188]
	v_add_f64 v[179:180], v[179:180], v[185:186]
	v_fma_f64 v[183:184], v[8:9], v[22:23], v[183:184]
	v_fma_f64 v[187:188], v[6:7], v[22:23], -v[24:25]
	scratch_load_b128 v[22:25], off, off offset:528
	ds_load_b128 v[6:9], v1 offset:1072
	s_waitcnt vmcnt(9) lgkmcnt(1)
	v_mul_f64 v[185:186], v[2:3], v[28:29]
	v_mul_f64 v[28:29], v[4:5], v[28:29]
	v_add_f64 v[177:178], v[177:178], v[189:190]
	v_add_f64 v[179:180], v[179:180], v[181:182]
	s_waitcnt vmcnt(8) lgkmcnt(0)
	v_mul_f64 v[181:182], v[6:7], v[32:33]
	v_mul_f64 v[32:33], v[8:9], v[32:33]
	v_fma_f64 v[185:186], v[4:5], v[26:27], v[185:186]
	v_fma_f64 v[189:190], v[2:3], v[26:27], -v[28:29]
	ds_load_b128 v[2:5], v1 offset:1088
	scratch_load_b128 v[26:29], off, off offset:544
	v_add_f64 v[177:178], v[177:178], v[187:188]
	v_add_f64 v[179:180], v[179:180], v[183:184]
	v_fma_f64 v[181:182], v[8:9], v[30:31], v[181:182]
	v_fma_f64 v[187:188], v[6:7], v[30:31], -v[32:33]
	ds_load_b128 v[6:9], v1 offset:1104
	s_waitcnt vmcnt(8) lgkmcnt(1)
	v_mul_f64 v[183:184], v[2:3], v[40:41]
	v_mul_f64 v[40:41], v[4:5], v[40:41]
	scratch_load_b128 v[30:33], off, off offset:560
	v_add_f64 v[177:178], v[177:178], v[189:190]
	v_add_f64 v[179:180], v[179:180], v[185:186]
	s_waitcnt vmcnt(8) lgkmcnt(0)
	v_mul_f64 v[185:186], v[6:7], v[175:176]
	v_mul_f64 v[175:176], v[8:9], v[175:176]
	v_fma_f64 v[183:184], v[4:5], v[38:39], v[183:184]
	v_fma_f64 v[189:190], v[2:3], v[38:39], -v[40:41]
	ds_load_b128 v[2:5], v1 offset:1120
	scratch_load_b128 v[38:41], off, off offset:576
	v_add_f64 v[177:178], v[177:178], v[187:188]
	v_add_f64 v[179:180], v[179:180], v[181:182]
	v_fma_f64 v[185:186], v[8:9], v[173:174], v[185:186]
	v_fma_f64 v[187:188], v[6:7], v[173:174], -v[175:176]
	ds_load_b128 v[6:9], v1 offset:1136
	scratch_load_b128 v[173:176], off, off offset:592
	s_waitcnt vmcnt(9) lgkmcnt(1)
	v_mul_f64 v[181:182], v[2:3], v[36:37]
	v_mul_f64 v[36:37], v[4:5], v[36:37]
	v_add_f64 v[177:178], v[177:178], v[189:190]
	v_add_f64 v[179:180], v[179:180], v[183:184]
	s_waitcnt vmcnt(8) lgkmcnt(0)
	v_mul_f64 v[183:184], v[6:7], v[171:172]
	v_mul_f64 v[171:172], v[8:9], v[171:172]
	v_fma_f64 v[181:182], v[4:5], v[34:35], v[181:182]
	v_fma_f64 v[189:190], v[2:3], v[34:35], -v[36:37]
	scratch_load_b128 v[34:37], off, off offset:608
	ds_load_b128 v[2:5], v1 offset:1152
	v_add_f64 v[177:178], v[177:178], v[187:188]
	v_add_f64 v[179:180], v[179:180], v[185:186]
	v_fma_f64 v[183:184], v[8:9], v[169:170], v[183:184]
	v_fma_f64 v[187:188], v[6:7], v[169:170], -v[171:172]
	ds_load_b128 v[6:9], v1 offset:1168
	s_waitcnt vmcnt(8) lgkmcnt(1)
	v_mul_f64 v[185:186], v[2:3], v[12:13]
	v_mul_f64 v[12:13], v[4:5], v[12:13]
	scratch_load_b128 v[169:172], off, off offset:624
	v_add_f64 v[177:178], v[177:178], v[189:190]
	v_add_f64 v[179:180], v[179:180], v[181:182]
	s_waitcnt vmcnt(8) lgkmcnt(0)
	v_mul_f64 v[181:182], v[6:7], v[16:17]
	v_mul_f64 v[16:17], v[8:9], v[16:17]
	v_fma_f64 v[185:186], v[4:5], v[10:11], v[185:186]
	v_fma_f64 v[189:190], v[2:3], v[10:11], -v[12:13]
	scratch_load_b128 v[10:13], off, off offset:640
	ds_load_b128 v[2:5], v1 offset:1184
	v_add_f64 v[177:178], v[177:178], v[187:188]
	v_add_f64 v[179:180], v[179:180], v[183:184]
	v_fma_f64 v[181:182], v[8:9], v[14:15], v[181:182]
	v_fma_f64 v[187:188], v[6:7], v[14:15], -v[16:17]
	ds_load_b128 v[6:9], v1 offset:1200
	s_waitcnt vmcnt(8) lgkmcnt(1)
	v_mul_f64 v[183:184], v[2:3], v[20:21]
	v_mul_f64 v[20:21], v[4:5], v[20:21]
	scratch_load_b128 v[14:17], off, off offset:656
	v_add_f64 v[177:178], v[177:178], v[189:190]
	v_add_f64 v[179:180], v[179:180], v[185:186]
	s_waitcnt vmcnt(8) lgkmcnt(0)
	v_mul_f64 v[185:186], v[6:7], v[24:25]
	v_mul_f64 v[24:25], v[8:9], v[24:25]
	v_fma_f64 v[183:184], v[4:5], v[18:19], v[183:184]
	v_fma_f64 v[18:19], v[2:3], v[18:19], -v[20:21]
	ds_load_b128 v[2:5], v1 offset:1216
	v_add_f64 v[20:21], v[177:178], v[187:188]
	v_add_f64 v[177:178], v[179:180], v[181:182]
	v_fma_f64 v[181:182], v[8:9], v[22:23], v[185:186]
	v_fma_f64 v[22:23], v[6:7], v[22:23], -v[24:25]
	ds_load_b128 v[6:9], v1 offset:1232
	s_waitcnt vmcnt(7) lgkmcnt(1)
	v_mul_f64 v[179:180], v[2:3], v[28:29]
	v_mul_f64 v[28:29], v[4:5], v[28:29]
	v_add_f64 v[18:19], v[20:21], v[18:19]
	v_add_f64 v[20:21], v[177:178], v[183:184]
	s_delay_alu instid0(VALU_DEP_4) | instskip(NEXT) | instid1(VALU_DEP_4)
	v_fma_f64 v[177:178], v[4:5], v[26:27], v[179:180]
	v_fma_f64 v[26:27], v[2:3], v[26:27], -v[28:29]
	ds_load_b128 v[2:5], v1 offset:1248
	v_add_f64 v[22:23], v[18:19], v[22:23]
	v_add_f64 v[28:29], v[20:21], v[181:182]
	scratch_load_b128 v[18:21], off, off offset:272
	s_waitcnt vmcnt(7) lgkmcnt(1)
	v_mul_f64 v[24:25], v[6:7], v[32:33]
	v_mul_f64 v[32:33], v[8:9], v[32:33]
	v_add_f64 v[22:23], v[22:23], v[26:27]
	v_add_f64 v[26:27], v[28:29], v[177:178]
	s_delay_alu instid0(VALU_DEP_4) | instskip(NEXT) | instid1(VALU_DEP_4)
	v_fma_f64 v[24:25], v[8:9], v[30:31], v[24:25]
	v_fma_f64 v[30:31], v[6:7], v[30:31], -v[32:33]
	ds_load_b128 v[6:9], v1 offset:1264
	s_waitcnt vmcnt(6) lgkmcnt(1)
	v_mul_f64 v[179:180], v[2:3], v[40:41]
	v_mul_f64 v[40:41], v[4:5], v[40:41]
	s_waitcnt vmcnt(5) lgkmcnt(0)
	v_mul_f64 v[28:29], v[6:7], v[175:176]
	v_mul_f64 v[32:33], v[8:9], v[175:176]
	v_add_f64 v[24:25], v[26:27], v[24:25]
	v_add_f64 v[22:23], v[22:23], v[30:31]
	v_fma_f64 v[175:176], v[4:5], v[38:39], v[179:180]
	v_fma_f64 v[38:39], v[2:3], v[38:39], -v[40:41]
	ds_load_b128 v[2:5], v1 offset:1280
	v_fma_f64 v[28:29], v[8:9], v[173:174], v[28:29]
	v_fma_f64 v[32:33], v[6:7], v[173:174], -v[32:33]
	ds_load_b128 v[6:9], v1 offset:1296
	s_waitcnt vmcnt(4) lgkmcnt(1)
	v_mul_f64 v[26:27], v[2:3], v[36:37]
	v_mul_f64 v[30:31], v[4:5], v[36:37]
	v_add_f64 v[24:25], v[24:25], v[175:176]
	v_add_f64 v[22:23], v[22:23], v[38:39]
	s_waitcnt vmcnt(3) lgkmcnt(0)
	v_mul_f64 v[36:37], v[6:7], v[171:172]
	v_mul_f64 v[38:39], v[8:9], v[171:172]
	v_fma_f64 v[26:27], v[4:5], v[34:35], v[26:27]
	v_fma_f64 v[30:31], v[2:3], v[34:35], -v[30:31]
	ds_load_b128 v[2:5], v1 offset:1312
	v_add_f64 v[24:25], v[24:25], v[28:29]
	v_add_f64 v[22:23], v[22:23], v[32:33]
	v_fma_f64 v[32:33], v[8:9], v[169:170], v[36:37]
	v_fma_f64 v[34:35], v[6:7], v[169:170], -v[38:39]
	ds_load_b128 v[6:9], v1 offset:1328
	s_waitcnt vmcnt(2) lgkmcnt(1)
	v_mul_f64 v[28:29], v[2:3], v[12:13]
	v_mul_f64 v[12:13], v[4:5], v[12:13]
	v_add_f64 v[24:25], v[24:25], v[26:27]
	v_add_f64 v[22:23], v[22:23], v[30:31]
	s_waitcnt vmcnt(1) lgkmcnt(0)
	v_mul_f64 v[26:27], v[6:7], v[16:17]
	v_mul_f64 v[16:17], v[8:9], v[16:17]
	v_fma_f64 v[4:5], v[4:5], v[10:11], v[28:29]
	v_fma_f64 v[1:2], v[2:3], v[10:11], -v[12:13]
	v_add_f64 v[12:13], v[24:25], v[32:33]
	v_add_f64 v[10:11], v[22:23], v[34:35]
	v_fma_f64 v[8:9], v[8:9], v[14:15], v[26:27]
	v_fma_f64 v[6:7], v[6:7], v[14:15], -v[16:17]
	s_delay_alu instid0(VALU_DEP_4) | instskip(NEXT) | instid1(VALU_DEP_4)
	v_add_f64 v[3:4], v[12:13], v[4:5]
	v_add_f64 v[1:2], v[10:11], v[1:2]
	s_delay_alu instid0(VALU_DEP_2) | instskip(NEXT) | instid1(VALU_DEP_2)
	v_add_f64 v[3:4], v[3:4], v[8:9]
	v_add_f64 v[1:2], v[1:2], v[6:7]
	s_waitcnt vmcnt(0)
	s_delay_alu instid0(VALU_DEP_2) | instskip(NEXT) | instid1(VALU_DEP_2)
	v_add_f64 v[3:4], v[20:21], -v[3:4]
	v_add_f64 v[1:2], v[18:19], -v[1:2]
	scratch_store_b128 off, v[1:4], off offset:272
	v_cmpx_lt_u32_e32 16, v126
	s_cbranch_execz .LBB41_233
; %bb.232:
	scratch_load_b128 v[1:4], v156, off
	v_mov_b32_e32 v5, 0
	s_delay_alu instid0(VALU_DEP_1)
	v_mov_b32_e32 v6, v5
	v_mov_b32_e32 v7, v5
	;; [unrolled: 1-line block ×3, first 2 shown]
	scratch_store_b128 off, v[5:8], off offset:256
	s_waitcnt vmcnt(0)
	ds_store_b128 v168, v[1:4]
.LBB41_233:
	s_or_b32 exec_lo, exec_lo, s2
	s_waitcnt lgkmcnt(0)
	s_waitcnt_vscnt null, 0x0
	s_barrier
	buffer_gl0_inv
	s_clause 0x7
	scratch_load_b128 v[2:5], off, off offset:272
	scratch_load_b128 v[6:9], off, off offset:288
	;; [unrolled: 1-line block ×8, first 2 shown]
	v_mov_b32_e32 v1, 0
	s_clause 0x1
	scratch_load_b128 v[38:41], off, off offset:400
	scratch_load_b128 v[173:176], off, off offset:416
	s_mov_b32 s2, exec_lo
	ds_load_b128 v[34:37], v1 offset:944
	ds_load_b128 v[169:172], v1 offset:960
	s_waitcnt vmcnt(9) lgkmcnt(1)
	v_mul_f64 v[177:178], v[36:37], v[4:5]
	v_mul_f64 v[4:5], v[34:35], v[4:5]
	s_waitcnt vmcnt(8) lgkmcnt(0)
	v_mul_f64 v[179:180], v[169:170], v[8:9]
	v_mul_f64 v[8:9], v[171:172], v[8:9]
	s_delay_alu instid0(VALU_DEP_4) | instskip(NEXT) | instid1(VALU_DEP_4)
	v_fma_f64 v[177:178], v[34:35], v[2:3], -v[177:178]
	v_fma_f64 v[181:182], v[36:37], v[2:3], v[4:5]
	ds_load_b128 v[2:5], v1 offset:976
	scratch_load_b128 v[34:37], off, off offset:432
	v_fma_f64 v[179:180], v[171:172], v[6:7], v[179:180]
	v_fma_f64 v[185:186], v[169:170], v[6:7], -v[8:9]
	scratch_load_b128 v[169:172], off, off offset:448
	ds_load_b128 v[6:9], v1 offset:992
	s_waitcnt vmcnt(9) lgkmcnt(1)
	v_mul_f64 v[183:184], v[2:3], v[12:13]
	v_mul_f64 v[12:13], v[4:5], v[12:13]
	s_waitcnt vmcnt(8) lgkmcnt(0)
	v_mul_f64 v[187:188], v[6:7], v[16:17]
	v_mul_f64 v[16:17], v[8:9], v[16:17]
	v_add_f64 v[177:178], v[177:178], 0
	v_add_f64 v[181:182], v[181:182], 0
	v_fma_f64 v[183:184], v[4:5], v[10:11], v[183:184]
	v_fma_f64 v[189:190], v[2:3], v[10:11], -v[12:13]
	ds_load_b128 v[2:5], v1 offset:1008
	scratch_load_b128 v[10:13], off, off offset:464
	v_add_f64 v[177:178], v[177:178], v[185:186]
	v_add_f64 v[179:180], v[181:182], v[179:180]
	v_fma_f64 v[185:186], v[8:9], v[14:15], v[187:188]
	v_fma_f64 v[187:188], v[6:7], v[14:15], -v[16:17]
	scratch_load_b128 v[14:17], off, off offset:480
	ds_load_b128 v[6:9], v1 offset:1024
	s_waitcnt vmcnt(9) lgkmcnt(1)
	v_mul_f64 v[181:182], v[2:3], v[20:21]
	v_mul_f64 v[20:21], v[4:5], v[20:21]
	v_add_f64 v[177:178], v[177:178], v[189:190]
	v_add_f64 v[179:180], v[179:180], v[183:184]
	s_waitcnt vmcnt(8) lgkmcnt(0)
	v_mul_f64 v[183:184], v[6:7], v[24:25]
	v_mul_f64 v[24:25], v[8:9], v[24:25]
	v_fma_f64 v[181:182], v[4:5], v[18:19], v[181:182]
	v_fma_f64 v[189:190], v[2:3], v[18:19], -v[20:21]
	ds_load_b128 v[2:5], v1 offset:1040
	scratch_load_b128 v[18:21], off, off offset:496
	v_add_f64 v[177:178], v[177:178], v[187:188]
	v_add_f64 v[179:180], v[179:180], v[185:186]
	v_fma_f64 v[183:184], v[8:9], v[22:23], v[183:184]
	v_fma_f64 v[187:188], v[6:7], v[22:23], -v[24:25]
	scratch_load_b128 v[22:25], off, off offset:512
	ds_load_b128 v[6:9], v1 offset:1056
	s_waitcnt vmcnt(9) lgkmcnt(1)
	v_mul_f64 v[185:186], v[2:3], v[28:29]
	v_mul_f64 v[28:29], v[4:5], v[28:29]
	v_add_f64 v[177:178], v[177:178], v[189:190]
	v_add_f64 v[179:180], v[179:180], v[181:182]
	s_waitcnt vmcnt(8) lgkmcnt(0)
	v_mul_f64 v[181:182], v[6:7], v[32:33]
	v_mul_f64 v[32:33], v[8:9], v[32:33]
	;; [unrolled: 18-line block ×3, first 2 shown]
	v_fma_f64 v[183:184], v[4:5], v[38:39], v[183:184]
	v_fma_f64 v[189:190], v[2:3], v[38:39], -v[40:41]
	ds_load_b128 v[2:5], v1 offset:1104
	scratch_load_b128 v[38:41], off, off offset:560
	v_add_f64 v[177:178], v[177:178], v[187:188]
	v_add_f64 v[179:180], v[179:180], v[181:182]
	v_fma_f64 v[185:186], v[8:9], v[173:174], v[185:186]
	v_fma_f64 v[187:188], v[6:7], v[173:174], -v[175:176]
	ds_load_b128 v[6:9], v1 offset:1120
	scratch_load_b128 v[173:176], off, off offset:576
	s_waitcnt vmcnt(9) lgkmcnt(1)
	v_mul_f64 v[181:182], v[2:3], v[36:37]
	v_mul_f64 v[36:37], v[4:5], v[36:37]
	v_add_f64 v[177:178], v[177:178], v[189:190]
	v_add_f64 v[179:180], v[179:180], v[183:184]
	s_waitcnt vmcnt(8) lgkmcnt(0)
	v_mul_f64 v[183:184], v[6:7], v[171:172]
	v_mul_f64 v[171:172], v[8:9], v[171:172]
	v_fma_f64 v[181:182], v[4:5], v[34:35], v[181:182]
	v_fma_f64 v[189:190], v[2:3], v[34:35], -v[36:37]
	scratch_load_b128 v[34:37], off, off offset:592
	ds_load_b128 v[2:5], v1 offset:1136
	v_add_f64 v[177:178], v[177:178], v[187:188]
	v_add_f64 v[179:180], v[179:180], v[185:186]
	v_fma_f64 v[183:184], v[8:9], v[169:170], v[183:184]
	v_fma_f64 v[187:188], v[6:7], v[169:170], -v[171:172]
	ds_load_b128 v[6:9], v1 offset:1152
	s_waitcnt vmcnt(8) lgkmcnt(1)
	v_mul_f64 v[185:186], v[2:3], v[12:13]
	v_mul_f64 v[12:13], v[4:5], v[12:13]
	scratch_load_b128 v[169:172], off, off offset:608
	v_add_f64 v[177:178], v[177:178], v[189:190]
	v_add_f64 v[179:180], v[179:180], v[181:182]
	s_waitcnt vmcnt(8) lgkmcnt(0)
	v_mul_f64 v[181:182], v[6:7], v[16:17]
	v_mul_f64 v[16:17], v[8:9], v[16:17]
	v_fma_f64 v[185:186], v[4:5], v[10:11], v[185:186]
	v_fma_f64 v[189:190], v[2:3], v[10:11], -v[12:13]
	scratch_load_b128 v[10:13], off, off offset:624
	ds_load_b128 v[2:5], v1 offset:1168
	v_add_f64 v[177:178], v[177:178], v[187:188]
	v_add_f64 v[179:180], v[179:180], v[183:184]
	v_fma_f64 v[181:182], v[8:9], v[14:15], v[181:182]
	v_fma_f64 v[187:188], v[6:7], v[14:15], -v[16:17]
	ds_load_b128 v[6:9], v1 offset:1184
	s_waitcnt vmcnt(8) lgkmcnt(1)
	v_mul_f64 v[183:184], v[2:3], v[20:21]
	v_mul_f64 v[20:21], v[4:5], v[20:21]
	scratch_load_b128 v[14:17], off, off offset:640
	v_add_f64 v[177:178], v[177:178], v[189:190]
	v_add_f64 v[179:180], v[179:180], v[185:186]
	s_waitcnt vmcnt(8) lgkmcnt(0)
	v_mul_f64 v[185:186], v[6:7], v[24:25]
	v_mul_f64 v[24:25], v[8:9], v[24:25]
	v_fma_f64 v[183:184], v[4:5], v[18:19], v[183:184]
	v_fma_f64 v[189:190], v[2:3], v[18:19], -v[20:21]
	scratch_load_b128 v[18:21], off, off offset:656
	ds_load_b128 v[2:5], v1 offset:1200
	v_add_f64 v[177:178], v[177:178], v[187:188]
	v_add_f64 v[179:180], v[179:180], v[181:182]
	v_fma_f64 v[185:186], v[8:9], v[22:23], v[185:186]
	v_fma_f64 v[22:23], v[6:7], v[22:23], -v[24:25]
	ds_load_b128 v[6:9], v1 offset:1216
	s_waitcnt vmcnt(8) lgkmcnt(1)
	v_mul_f64 v[181:182], v[2:3], v[28:29]
	v_mul_f64 v[28:29], v[4:5], v[28:29]
	v_add_f64 v[24:25], v[177:178], v[189:190]
	v_add_f64 v[177:178], v[179:180], v[183:184]
	s_waitcnt vmcnt(7) lgkmcnt(0)
	v_mul_f64 v[179:180], v[6:7], v[32:33]
	v_mul_f64 v[32:33], v[8:9], v[32:33]
	v_fma_f64 v[181:182], v[4:5], v[26:27], v[181:182]
	v_fma_f64 v[26:27], v[2:3], v[26:27], -v[28:29]
	ds_load_b128 v[2:5], v1 offset:1232
	v_add_f64 v[22:23], v[24:25], v[22:23]
	v_add_f64 v[24:25], v[177:178], v[185:186]
	v_fma_f64 v[177:178], v[8:9], v[30:31], v[179:180]
	v_fma_f64 v[30:31], v[6:7], v[30:31], -v[32:33]
	ds_load_b128 v[6:9], v1 offset:1248
	s_waitcnt vmcnt(5) lgkmcnt(0)
	v_mul_f64 v[179:180], v[6:7], v[175:176]
	v_mul_f64 v[175:176], v[8:9], v[175:176]
	v_add_f64 v[26:27], v[22:23], v[26:27]
	v_add_f64 v[32:33], v[24:25], v[181:182]
	scratch_load_b128 v[22:25], off, off offset:256
	v_mul_f64 v[28:29], v[2:3], v[40:41]
	v_mul_f64 v[40:41], v[4:5], v[40:41]
	v_add_f64 v[26:27], v[26:27], v[30:31]
	v_add_f64 v[30:31], v[32:33], v[177:178]
	s_delay_alu instid0(VALU_DEP_4) | instskip(NEXT) | instid1(VALU_DEP_4)
	v_fma_f64 v[28:29], v[4:5], v[38:39], v[28:29]
	v_fma_f64 v[38:39], v[2:3], v[38:39], -v[40:41]
	ds_load_b128 v[2:5], v1 offset:1264
	v_fma_f64 v[40:41], v[8:9], v[173:174], v[179:180]
	v_fma_f64 v[173:174], v[6:7], v[173:174], -v[175:176]
	ds_load_b128 v[6:9], v1 offset:1280
	s_waitcnt vmcnt(5) lgkmcnt(1)
	v_mul_f64 v[32:33], v[2:3], v[36:37]
	v_mul_f64 v[36:37], v[4:5], v[36:37]
	v_add_f64 v[28:29], v[30:31], v[28:29]
	v_add_f64 v[26:27], v[26:27], v[38:39]
	s_waitcnt vmcnt(4) lgkmcnt(0)
	v_mul_f64 v[30:31], v[6:7], v[171:172]
	v_mul_f64 v[38:39], v[8:9], v[171:172]
	v_fma_f64 v[32:33], v[4:5], v[34:35], v[32:33]
	v_fma_f64 v[34:35], v[2:3], v[34:35], -v[36:37]
	ds_load_b128 v[2:5], v1 offset:1296
	v_add_f64 v[28:29], v[28:29], v[40:41]
	v_add_f64 v[26:27], v[26:27], v[173:174]
	v_fma_f64 v[30:31], v[8:9], v[169:170], v[30:31]
	v_fma_f64 v[38:39], v[6:7], v[169:170], -v[38:39]
	ds_load_b128 v[6:9], v1 offset:1312
	s_waitcnt vmcnt(3) lgkmcnt(1)
	v_mul_f64 v[36:37], v[2:3], v[12:13]
	v_mul_f64 v[12:13], v[4:5], v[12:13]
	v_add_f64 v[28:29], v[28:29], v[32:33]
	v_add_f64 v[26:27], v[26:27], v[34:35]
	s_waitcnt vmcnt(2) lgkmcnt(0)
	v_mul_f64 v[32:33], v[6:7], v[16:17]
	v_mul_f64 v[16:17], v[8:9], v[16:17]
	v_fma_f64 v[34:35], v[4:5], v[10:11], v[36:37]
	v_fma_f64 v[10:11], v[2:3], v[10:11], -v[12:13]
	ds_load_b128 v[2:5], v1 offset:1328
	v_add_f64 v[12:13], v[26:27], v[38:39]
	v_add_f64 v[26:27], v[28:29], v[30:31]
	s_waitcnt vmcnt(1) lgkmcnt(0)
	v_mul_f64 v[28:29], v[2:3], v[20:21]
	v_mul_f64 v[20:21], v[4:5], v[20:21]
	v_fma_f64 v[8:9], v[8:9], v[14:15], v[32:33]
	v_fma_f64 v[6:7], v[6:7], v[14:15], -v[16:17]
	v_add_f64 v[10:11], v[12:13], v[10:11]
	v_add_f64 v[12:13], v[26:27], v[34:35]
	v_fma_f64 v[4:5], v[4:5], v[18:19], v[28:29]
	v_fma_f64 v[2:3], v[2:3], v[18:19], -v[20:21]
	s_delay_alu instid0(VALU_DEP_4) | instskip(NEXT) | instid1(VALU_DEP_4)
	v_add_f64 v[6:7], v[10:11], v[6:7]
	v_add_f64 v[8:9], v[12:13], v[8:9]
	s_delay_alu instid0(VALU_DEP_2) | instskip(NEXT) | instid1(VALU_DEP_2)
	v_add_f64 v[2:3], v[6:7], v[2:3]
	v_add_f64 v[4:5], v[8:9], v[4:5]
	s_waitcnt vmcnt(0)
	s_delay_alu instid0(VALU_DEP_2) | instskip(NEXT) | instid1(VALU_DEP_2)
	v_add_f64 v[2:3], v[22:23], -v[2:3]
	v_add_f64 v[4:5], v[24:25], -v[4:5]
	scratch_store_b128 off, v[2:5], off offset:256
	v_cmpx_lt_u32_e32 15, v126
	s_cbranch_execz .LBB41_235
; %bb.234:
	scratch_load_b128 v[5:8], v157, off
	v_mov_b32_e32 v2, v1
	v_mov_b32_e32 v3, v1
	;; [unrolled: 1-line block ×3, first 2 shown]
	scratch_store_b128 off, v[1:4], off offset:240
	s_waitcnt vmcnt(0)
	ds_store_b128 v168, v[5:8]
.LBB41_235:
	s_or_b32 exec_lo, exec_lo, s2
	s_waitcnt lgkmcnt(0)
	s_waitcnt_vscnt null, 0x0
	s_barrier
	buffer_gl0_inv
	s_clause 0x7
	scratch_load_b128 v[2:5], off, off offset:256
	scratch_load_b128 v[6:9], off, off offset:272
	;; [unrolled: 1-line block ×8, first 2 shown]
	ds_load_b128 v[38:41], v1 offset:928
	ds_load_b128 v[169:172], v1 offset:944
	s_clause 0x1
	scratch_load_b128 v[34:37], off, off offset:384
	scratch_load_b128 v[173:176], off, off offset:400
	s_mov_b32 s2, exec_lo
	s_waitcnt vmcnt(9) lgkmcnt(1)
	v_mul_f64 v[177:178], v[40:41], v[4:5]
	v_mul_f64 v[4:5], v[38:39], v[4:5]
	s_waitcnt vmcnt(8) lgkmcnt(0)
	v_mul_f64 v[179:180], v[169:170], v[8:9]
	v_mul_f64 v[8:9], v[171:172], v[8:9]
	s_delay_alu instid0(VALU_DEP_4) | instskip(NEXT) | instid1(VALU_DEP_4)
	v_fma_f64 v[177:178], v[38:39], v[2:3], -v[177:178]
	v_fma_f64 v[181:182], v[40:41], v[2:3], v[4:5]
	ds_load_b128 v[2:5], v1 offset:960
	scratch_load_b128 v[38:41], off, off offset:416
	v_fma_f64 v[179:180], v[171:172], v[6:7], v[179:180]
	v_fma_f64 v[185:186], v[169:170], v[6:7], -v[8:9]
	scratch_load_b128 v[169:172], off, off offset:432
	ds_load_b128 v[6:9], v1 offset:976
	s_waitcnt vmcnt(9) lgkmcnt(1)
	v_mul_f64 v[183:184], v[2:3], v[12:13]
	v_mul_f64 v[12:13], v[4:5], v[12:13]
	s_waitcnt vmcnt(8) lgkmcnt(0)
	v_mul_f64 v[187:188], v[6:7], v[16:17]
	v_mul_f64 v[16:17], v[8:9], v[16:17]
	v_add_f64 v[177:178], v[177:178], 0
	v_add_f64 v[181:182], v[181:182], 0
	v_fma_f64 v[183:184], v[4:5], v[10:11], v[183:184]
	v_fma_f64 v[189:190], v[2:3], v[10:11], -v[12:13]
	ds_load_b128 v[2:5], v1 offset:992
	scratch_load_b128 v[10:13], off, off offset:448
	v_add_f64 v[177:178], v[177:178], v[185:186]
	v_add_f64 v[179:180], v[181:182], v[179:180]
	v_fma_f64 v[185:186], v[8:9], v[14:15], v[187:188]
	v_fma_f64 v[187:188], v[6:7], v[14:15], -v[16:17]
	scratch_load_b128 v[14:17], off, off offset:464
	ds_load_b128 v[6:9], v1 offset:1008
	s_waitcnt vmcnt(9) lgkmcnt(1)
	v_mul_f64 v[181:182], v[2:3], v[20:21]
	v_mul_f64 v[20:21], v[4:5], v[20:21]
	v_add_f64 v[177:178], v[177:178], v[189:190]
	v_add_f64 v[179:180], v[179:180], v[183:184]
	s_waitcnt vmcnt(8) lgkmcnt(0)
	v_mul_f64 v[183:184], v[6:7], v[24:25]
	v_mul_f64 v[24:25], v[8:9], v[24:25]
	v_fma_f64 v[181:182], v[4:5], v[18:19], v[181:182]
	v_fma_f64 v[189:190], v[2:3], v[18:19], -v[20:21]
	ds_load_b128 v[2:5], v1 offset:1024
	scratch_load_b128 v[18:21], off, off offset:480
	v_add_f64 v[177:178], v[177:178], v[187:188]
	v_add_f64 v[179:180], v[179:180], v[185:186]
	v_fma_f64 v[183:184], v[8:9], v[22:23], v[183:184]
	v_fma_f64 v[187:188], v[6:7], v[22:23], -v[24:25]
	scratch_load_b128 v[22:25], off, off offset:496
	ds_load_b128 v[6:9], v1 offset:1040
	s_waitcnt vmcnt(9) lgkmcnt(1)
	v_mul_f64 v[185:186], v[2:3], v[28:29]
	v_mul_f64 v[28:29], v[4:5], v[28:29]
	v_add_f64 v[177:178], v[177:178], v[189:190]
	v_add_f64 v[179:180], v[179:180], v[181:182]
	s_waitcnt vmcnt(8) lgkmcnt(0)
	v_mul_f64 v[181:182], v[6:7], v[32:33]
	v_mul_f64 v[32:33], v[8:9], v[32:33]
	v_fma_f64 v[185:186], v[4:5], v[26:27], v[185:186]
	v_fma_f64 v[189:190], v[2:3], v[26:27], -v[28:29]
	ds_load_b128 v[2:5], v1 offset:1056
	scratch_load_b128 v[26:29], off, off offset:512
	v_add_f64 v[177:178], v[177:178], v[187:188]
	v_add_f64 v[179:180], v[179:180], v[183:184]
	v_fma_f64 v[181:182], v[8:9], v[30:31], v[181:182]
	v_fma_f64 v[187:188], v[6:7], v[30:31], -v[32:33]
	scratch_load_b128 v[30:33], off, off offset:528
	ds_load_b128 v[6:9], v1 offset:1072
	s_waitcnt vmcnt(9) lgkmcnt(1)
	v_mul_f64 v[183:184], v[2:3], v[36:37]
	v_mul_f64 v[36:37], v[4:5], v[36:37]
	v_add_f64 v[177:178], v[177:178], v[189:190]
	v_add_f64 v[179:180], v[179:180], v[185:186]
	s_waitcnt vmcnt(8) lgkmcnt(0)
	v_mul_f64 v[185:186], v[6:7], v[175:176]
	v_mul_f64 v[175:176], v[8:9], v[175:176]
	v_fma_f64 v[183:184], v[4:5], v[34:35], v[183:184]
	v_fma_f64 v[189:190], v[2:3], v[34:35], -v[36:37]
	ds_load_b128 v[2:5], v1 offset:1088
	scratch_load_b128 v[34:37], off, off offset:544
	v_add_f64 v[177:178], v[177:178], v[187:188]
	v_add_f64 v[179:180], v[179:180], v[181:182]
	v_fma_f64 v[185:186], v[8:9], v[173:174], v[185:186]
	v_fma_f64 v[187:188], v[6:7], v[173:174], -v[175:176]
	ds_load_b128 v[6:9], v1 offset:1104
	scratch_load_b128 v[173:176], off, off offset:560
	s_waitcnt vmcnt(9) lgkmcnt(1)
	v_mul_f64 v[181:182], v[2:3], v[40:41]
	v_mul_f64 v[40:41], v[4:5], v[40:41]
	v_add_f64 v[177:178], v[177:178], v[189:190]
	v_add_f64 v[179:180], v[179:180], v[183:184]
	s_waitcnt vmcnt(8) lgkmcnt(0)
	v_mul_f64 v[183:184], v[6:7], v[171:172]
	v_mul_f64 v[171:172], v[8:9], v[171:172]
	v_fma_f64 v[181:182], v[4:5], v[38:39], v[181:182]
	v_fma_f64 v[189:190], v[2:3], v[38:39], -v[40:41]
	ds_load_b128 v[2:5], v1 offset:1120
	scratch_load_b128 v[38:41], off, off offset:576
	v_add_f64 v[177:178], v[177:178], v[187:188]
	v_add_f64 v[179:180], v[179:180], v[185:186]
	v_fma_f64 v[183:184], v[8:9], v[169:170], v[183:184]
	v_fma_f64 v[187:188], v[6:7], v[169:170], -v[171:172]
	ds_load_b128 v[6:9], v1 offset:1136
	s_waitcnt vmcnt(8) lgkmcnt(1)
	v_mul_f64 v[185:186], v[2:3], v[12:13]
	v_mul_f64 v[12:13], v[4:5], v[12:13]
	scratch_load_b128 v[169:172], off, off offset:592
	v_add_f64 v[177:178], v[177:178], v[189:190]
	v_add_f64 v[179:180], v[179:180], v[181:182]
	s_waitcnt vmcnt(8) lgkmcnt(0)
	v_mul_f64 v[181:182], v[6:7], v[16:17]
	v_mul_f64 v[16:17], v[8:9], v[16:17]
	v_fma_f64 v[185:186], v[4:5], v[10:11], v[185:186]
	v_fma_f64 v[189:190], v[2:3], v[10:11], -v[12:13]
	scratch_load_b128 v[10:13], off, off offset:608
	ds_load_b128 v[2:5], v1 offset:1152
	v_add_f64 v[177:178], v[177:178], v[187:188]
	v_add_f64 v[179:180], v[179:180], v[183:184]
	v_fma_f64 v[181:182], v[8:9], v[14:15], v[181:182]
	v_fma_f64 v[187:188], v[6:7], v[14:15], -v[16:17]
	ds_load_b128 v[6:9], v1 offset:1168
	s_waitcnt vmcnt(8) lgkmcnt(1)
	v_mul_f64 v[183:184], v[2:3], v[20:21]
	v_mul_f64 v[20:21], v[4:5], v[20:21]
	scratch_load_b128 v[14:17], off, off offset:624
	v_add_f64 v[177:178], v[177:178], v[189:190]
	v_add_f64 v[179:180], v[179:180], v[185:186]
	s_waitcnt vmcnt(8) lgkmcnt(0)
	v_mul_f64 v[185:186], v[6:7], v[24:25]
	v_mul_f64 v[24:25], v[8:9], v[24:25]
	v_fma_f64 v[183:184], v[4:5], v[18:19], v[183:184]
	v_fma_f64 v[189:190], v[2:3], v[18:19], -v[20:21]
	scratch_load_b128 v[18:21], off, off offset:640
	ds_load_b128 v[2:5], v1 offset:1184
	v_add_f64 v[177:178], v[177:178], v[187:188]
	v_add_f64 v[179:180], v[179:180], v[181:182]
	v_fma_f64 v[185:186], v[8:9], v[22:23], v[185:186]
	v_fma_f64 v[187:188], v[6:7], v[22:23], -v[24:25]
	ds_load_b128 v[6:9], v1 offset:1200
	s_waitcnt vmcnt(8) lgkmcnt(1)
	v_mul_f64 v[181:182], v[2:3], v[28:29]
	v_mul_f64 v[28:29], v[4:5], v[28:29]
	scratch_load_b128 v[22:25], off, off offset:656
	v_add_f64 v[177:178], v[177:178], v[189:190]
	v_add_f64 v[179:180], v[179:180], v[183:184]
	s_waitcnt vmcnt(8) lgkmcnt(0)
	v_mul_f64 v[183:184], v[6:7], v[32:33]
	v_mul_f64 v[32:33], v[8:9], v[32:33]
	v_fma_f64 v[181:182], v[4:5], v[26:27], v[181:182]
	v_fma_f64 v[26:27], v[2:3], v[26:27], -v[28:29]
	ds_load_b128 v[2:5], v1 offset:1216
	v_add_f64 v[28:29], v[177:178], v[187:188]
	v_add_f64 v[177:178], v[179:180], v[185:186]
	v_fma_f64 v[183:184], v[8:9], v[30:31], v[183:184]
	v_fma_f64 v[30:31], v[6:7], v[30:31], -v[32:33]
	ds_load_b128 v[6:9], v1 offset:1232
	s_waitcnt vmcnt(7) lgkmcnt(1)
	v_mul_f64 v[179:180], v[2:3], v[36:37]
	v_mul_f64 v[36:37], v[4:5], v[36:37]
	v_add_f64 v[26:27], v[28:29], v[26:27]
	v_add_f64 v[28:29], v[177:178], v[181:182]
	s_delay_alu instid0(VALU_DEP_4) | instskip(NEXT) | instid1(VALU_DEP_4)
	v_fma_f64 v[177:178], v[4:5], v[34:35], v[179:180]
	v_fma_f64 v[34:35], v[2:3], v[34:35], -v[36:37]
	ds_load_b128 v[2:5], v1 offset:1248
	v_add_f64 v[30:31], v[26:27], v[30:31]
	v_add_f64 v[36:37], v[28:29], v[183:184]
	scratch_load_b128 v[26:29], off, off offset:240
	s_waitcnt vmcnt(7) lgkmcnt(1)
	v_mul_f64 v[32:33], v[6:7], v[175:176]
	v_mul_f64 v[175:176], v[8:9], v[175:176]
	v_add_f64 v[30:31], v[30:31], v[34:35]
	v_add_f64 v[34:35], v[36:37], v[177:178]
	s_delay_alu instid0(VALU_DEP_4) | instskip(NEXT) | instid1(VALU_DEP_4)
	v_fma_f64 v[32:33], v[8:9], v[173:174], v[32:33]
	v_fma_f64 v[173:174], v[6:7], v[173:174], -v[175:176]
	ds_load_b128 v[6:9], v1 offset:1264
	s_waitcnt vmcnt(6) lgkmcnt(1)
	v_mul_f64 v[179:180], v[2:3], v[40:41]
	v_mul_f64 v[40:41], v[4:5], v[40:41]
	s_waitcnt vmcnt(5) lgkmcnt(0)
	v_mul_f64 v[36:37], v[6:7], v[171:172]
	v_mul_f64 v[171:172], v[8:9], v[171:172]
	v_add_f64 v[32:33], v[34:35], v[32:33]
	v_add_f64 v[30:31], v[30:31], v[173:174]
	v_fma_f64 v[175:176], v[4:5], v[38:39], v[179:180]
	v_fma_f64 v[38:39], v[2:3], v[38:39], -v[40:41]
	ds_load_b128 v[2:5], v1 offset:1280
	v_fma_f64 v[36:37], v[8:9], v[169:170], v[36:37]
	v_fma_f64 v[40:41], v[6:7], v[169:170], -v[171:172]
	ds_load_b128 v[6:9], v1 offset:1296
	s_waitcnt vmcnt(4) lgkmcnt(1)
	v_mul_f64 v[34:35], v[2:3], v[12:13]
	v_mul_f64 v[12:13], v[4:5], v[12:13]
	v_add_f64 v[32:33], v[32:33], v[175:176]
	v_add_f64 v[30:31], v[30:31], v[38:39]
	s_waitcnt vmcnt(3) lgkmcnt(0)
	v_mul_f64 v[38:39], v[6:7], v[16:17]
	v_mul_f64 v[16:17], v[8:9], v[16:17]
	v_fma_f64 v[34:35], v[4:5], v[10:11], v[34:35]
	v_fma_f64 v[10:11], v[2:3], v[10:11], -v[12:13]
	ds_load_b128 v[2:5], v1 offset:1312
	v_add_f64 v[12:13], v[30:31], v[40:41]
	v_add_f64 v[30:31], v[32:33], v[36:37]
	v_fma_f64 v[36:37], v[8:9], v[14:15], v[38:39]
	v_fma_f64 v[14:15], v[6:7], v[14:15], -v[16:17]
	ds_load_b128 v[6:9], v1 offset:1328
	s_waitcnt vmcnt(2) lgkmcnt(1)
	v_mul_f64 v[32:33], v[2:3], v[20:21]
	v_mul_f64 v[20:21], v[4:5], v[20:21]
	s_waitcnt vmcnt(1) lgkmcnt(0)
	v_mul_f64 v[16:17], v[6:7], v[24:25]
	v_mul_f64 v[24:25], v[8:9], v[24:25]
	v_add_f64 v[10:11], v[12:13], v[10:11]
	v_add_f64 v[12:13], v[30:31], v[34:35]
	v_fma_f64 v[4:5], v[4:5], v[18:19], v[32:33]
	v_fma_f64 v[1:2], v[2:3], v[18:19], -v[20:21]
	v_fma_f64 v[8:9], v[8:9], v[22:23], v[16:17]
	v_fma_f64 v[6:7], v[6:7], v[22:23], -v[24:25]
	v_add_f64 v[10:11], v[10:11], v[14:15]
	v_add_f64 v[12:13], v[12:13], v[36:37]
	s_delay_alu instid0(VALU_DEP_2) | instskip(NEXT) | instid1(VALU_DEP_2)
	v_add_f64 v[1:2], v[10:11], v[1:2]
	v_add_f64 v[3:4], v[12:13], v[4:5]
	s_delay_alu instid0(VALU_DEP_2) | instskip(NEXT) | instid1(VALU_DEP_2)
	v_add_f64 v[1:2], v[1:2], v[6:7]
	v_add_f64 v[3:4], v[3:4], v[8:9]
	s_waitcnt vmcnt(0)
	s_delay_alu instid0(VALU_DEP_2) | instskip(NEXT) | instid1(VALU_DEP_2)
	v_add_f64 v[1:2], v[26:27], -v[1:2]
	v_add_f64 v[3:4], v[28:29], -v[3:4]
	scratch_store_b128 off, v[1:4], off offset:240
	v_cmpx_lt_u32_e32 14, v126
	s_cbranch_execz .LBB41_237
; %bb.236:
	scratch_load_b128 v[1:4], v158, off
	v_mov_b32_e32 v5, 0
	s_delay_alu instid0(VALU_DEP_1)
	v_mov_b32_e32 v6, v5
	v_mov_b32_e32 v7, v5
	;; [unrolled: 1-line block ×3, first 2 shown]
	scratch_store_b128 off, v[5:8], off offset:224
	s_waitcnt vmcnt(0)
	ds_store_b128 v168, v[1:4]
.LBB41_237:
	s_or_b32 exec_lo, exec_lo, s2
	s_waitcnt lgkmcnt(0)
	s_waitcnt_vscnt null, 0x0
	s_barrier
	buffer_gl0_inv
	s_clause 0x7
	scratch_load_b128 v[2:5], off, off offset:240
	scratch_load_b128 v[6:9], off, off offset:256
	;; [unrolled: 1-line block ×8, first 2 shown]
	v_mov_b32_e32 v1, 0
	s_clause 0x1
	scratch_load_b128 v[34:37], off, off offset:368
	scratch_load_b128 v[173:176], off, off offset:384
	s_mov_b32 s2, exec_lo
	ds_load_b128 v[38:41], v1 offset:912
	ds_load_b128 v[169:172], v1 offset:928
	s_waitcnt vmcnt(9) lgkmcnt(1)
	v_mul_f64 v[177:178], v[40:41], v[4:5]
	v_mul_f64 v[4:5], v[38:39], v[4:5]
	s_waitcnt vmcnt(8) lgkmcnt(0)
	v_mul_f64 v[179:180], v[169:170], v[8:9]
	v_mul_f64 v[8:9], v[171:172], v[8:9]
	s_delay_alu instid0(VALU_DEP_4) | instskip(NEXT) | instid1(VALU_DEP_4)
	v_fma_f64 v[177:178], v[38:39], v[2:3], -v[177:178]
	v_fma_f64 v[181:182], v[40:41], v[2:3], v[4:5]
	ds_load_b128 v[2:5], v1 offset:944
	scratch_load_b128 v[38:41], off, off offset:400
	v_fma_f64 v[179:180], v[171:172], v[6:7], v[179:180]
	v_fma_f64 v[185:186], v[169:170], v[6:7], -v[8:9]
	scratch_load_b128 v[169:172], off, off offset:416
	ds_load_b128 v[6:9], v1 offset:960
	s_waitcnt vmcnt(9) lgkmcnt(1)
	v_mul_f64 v[183:184], v[2:3], v[12:13]
	v_mul_f64 v[12:13], v[4:5], v[12:13]
	s_waitcnt vmcnt(8) lgkmcnt(0)
	v_mul_f64 v[187:188], v[6:7], v[16:17]
	v_mul_f64 v[16:17], v[8:9], v[16:17]
	v_add_f64 v[177:178], v[177:178], 0
	v_add_f64 v[181:182], v[181:182], 0
	v_fma_f64 v[183:184], v[4:5], v[10:11], v[183:184]
	v_fma_f64 v[189:190], v[2:3], v[10:11], -v[12:13]
	ds_load_b128 v[2:5], v1 offset:976
	scratch_load_b128 v[10:13], off, off offset:432
	v_add_f64 v[177:178], v[177:178], v[185:186]
	v_add_f64 v[179:180], v[181:182], v[179:180]
	v_fma_f64 v[185:186], v[8:9], v[14:15], v[187:188]
	v_fma_f64 v[187:188], v[6:7], v[14:15], -v[16:17]
	scratch_load_b128 v[14:17], off, off offset:448
	ds_load_b128 v[6:9], v1 offset:992
	s_waitcnt vmcnt(9) lgkmcnt(1)
	v_mul_f64 v[181:182], v[2:3], v[20:21]
	v_mul_f64 v[20:21], v[4:5], v[20:21]
	v_add_f64 v[177:178], v[177:178], v[189:190]
	v_add_f64 v[179:180], v[179:180], v[183:184]
	s_waitcnt vmcnt(8) lgkmcnt(0)
	v_mul_f64 v[183:184], v[6:7], v[24:25]
	v_mul_f64 v[24:25], v[8:9], v[24:25]
	v_fma_f64 v[181:182], v[4:5], v[18:19], v[181:182]
	v_fma_f64 v[189:190], v[2:3], v[18:19], -v[20:21]
	ds_load_b128 v[2:5], v1 offset:1008
	scratch_load_b128 v[18:21], off, off offset:464
	v_add_f64 v[177:178], v[177:178], v[187:188]
	v_add_f64 v[179:180], v[179:180], v[185:186]
	v_fma_f64 v[183:184], v[8:9], v[22:23], v[183:184]
	v_fma_f64 v[187:188], v[6:7], v[22:23], -v[24:25]
	scratch_load_b128 v[22:25], off, off offset:480
	ds_load_b128 v[6:9], v1 offset:1024
	s_waitcnt vmcnt(9) lgkmcnt(1)
	v_mul_f64 v[185:186], v[2:3], v[28:29]
	v_mul_f64 v[28:29], v[4:5], v[28:29]
	v_add_f64 v[177:178], v[177:178], v[189:190]
	v_add_f64 v[179:180], v[179:180], v[181:182]
	s_waitcnt vmcnt(8) lgkmcnt(0)
	v_mul_f64 v[181:182], v[6:7], v[32:33]
	v_mul_f64 v[32:33], v[8:9], v[32:33]
	v_fma_f64 v[185:186], v[4:5], v[26:27], v[185:186]
	v_fma_f64 v[189:190], v[2:3], v[26:27], -v[28:29]
	ds_load_b128 v[2:5], v1 offset:1040
	scratch_load_b128 v[26:29], off, off offset:496
	v_add_f64 v[177:178], v[177:178], v[187:188]
	v_add_f64 v[179:180], v[179:180], v[183:184]
	v_fma_f64 v[181:182], v[8:9], v[30:31], v[181:182]
	v_fma_f64 v[187:188], v[6:7], v[30:31], -v[32:33]
	scratch_load_b128 v[30:33], off, off offset:512
	ds_load_b128 v[6:9], v1 offset:1056
	s_waitcnt vmcnt(9) lgkmcnt(1)
	v_mul_f64 v[183:184], v[2:3], v[36:37]
	v_mul_f64 v[36:37], v[4:5], v[36:37]
	v_add_f64 v[177:178], v[177:178], v[189:190]
	v_add_f64 v[179:180], v[179:180], v[185:186]
	s_waitcnt vmcnt(8) lgkmcnt(0)
	v_mul_f64 v[185:186], v[6:7], v[175:176]
	v_mul_f64 v[175:176], v[8:9], v[175:176]
	v_fma_f64 v[183:184], v[4:5], v[34:35], v[183:184]
	v_fma_f64 v[189:190], v[2:3], v[34:35], -v[36:37]
	ds_load_b128 v[2:5], v1 offset:1072
	scratch_load_b128 v[34:37], off, off offset:528
	v_add_f64 v[177:178], v[177:178], v[187:188]
	v_add_f64 v[179:180], v[179:180], v[181:182]
	v_fma_f64 v[185:186], v[8:9], v[173:174], v[185:186]
	v_fma_f64 v[187:188], v[6:7], v[173:174], -v[175:176]
	scratch_load_b128 v[173:176], off, off offset:544
	ds_load_b128 v[6:9], v1 offset:1088
	s_waitcnt vmcnt(9) lgkmcnt(1)
	v_mul_f64 v[181:182], v[2:3], v[40:41]
	v_mul_f64 v[40:41], v[4:5], v[40:41]
	v_add_f64 v[177:178], v[177:178], v[189:190]
	v_add_f64 v[179:180], v[179:180], v[183:184]
	s_waitcnt vmcnt(8) lgkmcnt(0)
	v_mul_f64 v[183:184], v[6:7], v[171:172]
	v_mul_f64 v[171:172], v[8:9], v[171:172]
	v_fma_f64 v[181:182], v[4:5], v[38:39], v[181:182]
	v_fma_f64 v[189:190], v[2:3], v[38:39], -v[40:41]
	ds_load_b128 v[2:5], v1 offset:1104
	scratch_load_b128 v[38:41], off, off offset:560
	v_add_f64 v[177:178], v[177:178], v[187:188]
	v_add_f64 v[179:180], v[179:180], v[185:186]
	v_fma_f64 v[183:184], v[8:9], v[169:170], v[183:184]
	v_fma_f64 v[187:188], v[6:7], v[169:170], -v[171:172]
	ds_load_b128 v[6:9], v1 offset:1120
	s_waitcnt vmcnt(8) lgkmcnt(1)
	v_mul_f64 v[185:186], v[2:3], v[12:13]
	v_mul_f64 v[12:13], v[4:5], v[12:13]
	scratch_load_b128 v[169:172], off, off offset:576
	v_add_f64 v[177:178], v[177:178], v[189:190]
	v_add_f64 v[179:180], v[179:180], v[181:182]
	s_waitcnt vmcnt(8) lgkmcnt(0)
	v_mul_f64 v[181:182], v[6:7], v[16:17]
	v_mul_f64 v[16:17], v[8:9], v[16:17]
	v_fma_f64 v[185:186], v[4:5], v[10:11], v[185:186]
	v_fma_f64 v[189:190], v[2:3], v[10:11], -v[12:13]
	scratch_load_b128 v[10:13], off, off offset:592
	ds_load_b128 v[2:5], v1 offset:1136
	v_add_f64 v[177:178], v[177:178], v[187:188]
	v_add_f64 v[179:180], v[179:180], v[183:184]
	v_fma_f64 v[181:182], v[8:9], v[14:15], v[181:182]
	v_fma_f64 v[187:188], v[6:7], v[14:15], -v[16:17]
	ds_load_b128 v[6:9], v1 offset:1152
	s_waitcnt vmcnt(8) lgkmcnt(1)
	v_mul_f64 v[183:184], v[2:3], v[20:21]
	v_mul_f64 v[20:21], v[4:5], v[20:21]
	scratch_load_b128 v[14:17], off, off offset:608
	v_add_f64 v[177:178], v[177:178], v[189:190]
	v_add_f64 v[179:180], v[179:180], v[185:186]
	s_waitcnt vmcnt(8) lgkmcnt(0)
	v_mul_f64 v[185:186], v[6:7], v[24:25]
	v_mul_f64 v[24:25], v[8:9], v[24:25]
	v_fma_f64 v[183:184], v[4:5], v[18:19], v[183:184]
	v_fma_f64 v[189:190], v[2:3], v[18:19], -v[20:21]
	scratch_load_b128 v[18:21], off, off offset:624
	ds_load_b128 v[2:5], v1 offset:1168
	;; [unrolled: 18-line block ×3, first 2 shown]
	v_add_f64 v[177:178], v[177:178], v[187:188]
	v_add_f64 v[179:180], v[179:180], v[185:186]
	v_fma_f64 v[183:184], v[8:9], v[30:31], v[183:184]
	v_fma_f64 v[30:31], v[6:7], v[30:31], -v[32:33]
	ds_load_b128 v[6:9], v1 offset:1216
	s_waitcnt vmcnt(8) lgkmcnt(1)
	v_mul_f64 v[185:186], v[2:3], v[36:37]
	v_mul_f64 v[36:37], v[4:5], v[36:37]
	v_add_f64 v[32:33], v[177:178], v[189:190]
	v_add_f64 v[177:178], v[179:180], v[181:182]
	s_waitcnt vmcnt(7) lgkmcnt(0)
	v_mul_f64 v[179:180], v[6:7], v[175:176]
	v_mul_f64 v[175:176], v[8:9], v[175:176]
	v_fma_f64 v[181:182], v[4:5], v[34:35], v[185:186]
	v_fma_f64 v[34:35], v[2:3], v[34:35], -v[36:37]
	ds_load_b128 v[2:5], v1 offset:1232
	v_add_f64 v[30:31], v[32:33], v[30:31]
	v_add_f64 v[32:33], v[177:178], v[183:184]
	v_fma_f64 v[177:178], v[8:9], v[173:174], v[179:180]
	v_fma_f64 v[173:174], v[6:7], v[173:174], -v[175:176]
	ds_load_b128 v[6:9], v1 offset:1248
	s_waitcnt vmcnt(5) lgkmcnt(0)
	v_mul_f64 v[179:180], v[6:7], v[171:172]
	v_mul_f64 v[171:172], v[8:9], v[171:172]
	v_add_f64 v[34:35], v[30:31], v[34:35]
	v_add_f64 v[175:176], v[32:33], v[181:182]
	scratch_load_b128 v[30:33], off, off offset:224
	v_mul_f64 v[36:37], v[2:3], v[40:41]
	v_mul_f64 v[40:41], v[4:5], v[40:41]
	v_add_f64 v[34:35], v[34:35], v[173:174]
	s_delay_alu instid0(VALU_DEP_3) | instskip(NEXT) | instid1(VALU_DEP_3)
	v_fma_f64 v[36:37], v[4:5], v[38:39], v[36:37]
	v_fma_f64 v[38:39], v[2:3], v[38:39], -v[40:41]
	v_add_f64 v[40:41], v[175:176], v[177:178]
	ds_load_b128 v[2:5], v1 offset:1264
	v_fma_f64 v[175:176], v[8:9], v[169:170], v[179:180]
	v_fma_f64 v[169:170], v[6:7], v[169:170], -v[171:172]
	ds_load_b128 v[6:9], v1 offset:1280
	s_waitcnt vmcnt(5) lgkmcnt(1)
	v_mul_f64 v[173:174], v[2:3], v[12:13]
	v_mul_f64 v[12:13], v[4:5], v[12:13]
	v_add_f64 v[34:35], v[34:35], v[38:39]
	v_add_f64 v[36:37], v[40:41], v[36:37]
	s_waitcnt vmcnt(4) lgkmcnt(0)
	v_mul_f64 v[38:39], v[6:7], v[16:17]
	v_mul_f64 v[16:17], v[8:9], v[16:17]
	v_fma_f64 v[40:41], v[4:5], v[10:11], v[173:174]
	v_fma_f64 v[10:11], v[2:3], v[10:11], -v[12:13]
	ds_load_b128 v[2:5], v1 offset:1296
	v_add_f64 v[12:13], v[34:35], v[169:170]
	v_add_f64 v[34:35], v[36:37], v[175:176]
	v_fma_f64 v[38:39], v[8:9], v[14:15], v[38:39]
	v_fma_f64 v[14:15], v[6:7], v[14:15], -v[16:17]
	ds_load_b128 v[6:9], v1 offset:1312
	s_waitcnt vmcnt(3) lgkmcnt(1)
	v_mul_f64 v[36:37], v[2:3], v[20:21]
	v_mul_f64 v[20:21], v[4:5], v[20:21]
	s_waitcnt vmcnt(2) lgkmcnt(0)
	v_mul_f64 v[16:17], v[6:7], v[24:25]
	v_mul_f64 v[24:25], v[8:9], v[24:25]
	v_add_f64 v[10:11], v[12:13], v[10:11]
	v_add_f64 v[12:13], v[34:35], v[40:41]
	v_fma_f64 v[34:35], v[4:5], v[18:19], v[36:37]
	v_fma_f64 v[18:19], v[2:3], v[18:19], -v[20:21]
	ds_load_b128 v[2:5], v1 offset:1328
	v_fma_f64 v[8:9], v[8:9], v[22:23], v[16:17]
	v_fma_f64 v[6:7], v[6:7], v[22:23], -v[24:25]
	s_waitcnt vmcnt(1) lgkmcnt(0)
	v_mul_f64 v[20:21], v[4:5], v[28:29]
	v_add_f64 v[10:11], v[10:11], v[14:15]
	v_add_f64 v[12:13], v[12:13], v[38:39]
	v_mul_f64 v[14:15], v[2:3], v[28:29]
	s_delay_alu instid0(VALU_DEP_4) | instskip(NEXT) | instid1(VALU_DEP_4)
	v_fma_f64 v[2:3], v[2:3], v[26:27], -v[20:21]
	v_add_f64 v[10:11], v[10:11], v[18:19]
	s_delay_alu instid0(VALU_DEP_4) | instskip(NEXT) | instid1(VALU_DEP_4)
	v_add_f64 v[12:13], v[12:13], v[34:35]
	v_fma_f64 v[4:5], v[4:5], v[26:27], v[14:15]
	s_delay_alu instid0(VALU_DEP_3) | instskip(NEXT) | instid1(VALU_DEP_3)
	v_add_f64 v[6:7], v[10:11], v[6:7]
	v_add_f64 v[8:9], v[12:13], v[8:9]
	s_delay_alu instid0(VALU_DEP_2) | instskip(NEXT) | instid1(VALU_DEP_2)
	v_add_f64 v[2:3], v[6:7], v[2:3]
	v_add_f64 v[4:5], v[8:9], v[4:5]
	s_waitcnt vmcnt(0)
	s_delay_alu instid0(VALU_DEP_2) | instskip(NEXT) | instid1(VALU_DEP_2)
	v_add_f64 v[2:3], v[30:31], -v[2:3]
	v_add_f64 v[4:5], v[32:33], -v[4:5]
	scratch_store_b128 off, v[2:5], off offset:224
	v_cmpx_lt_u32_e32 13, v126
	s_cbranch_execz .LBB41_239
; %bb.238:
	scratch_load_b128 v[5:8], v159, off
	v_mov_b32_e32 v2, v1
	v_mov_b32_e32 v3, v1
	;; [unrolled: 1-line block ×3, first 2 shown]
	scratch_store_b128 off, v[1:4], off offset:208
	s_waitcnt vmcnt(0)
	ds_store_b128 v168, v[5:8]
.LBB41_239:
	s_or_b32 exec_lo, exec_lo, s2
	s_waitcnt lgkmcnt(0)
	s_waitcnt_vscnt null, 0x0
	s_barrier
	buffer_gl0_inv
	s_clause 0x7
	scratch_load_b128 v[2:5], off, off offset:224
	scratch_load_b128 v[6:9], off, off offset:240
	;; [unrolled: 1-line block ×8, first 2 shown]
	ds_load_b128 v[38:41], v1 offset:896
	ds_load_b128 v[169:172], v1 offset:912
	s_clause 0x1
	scratch_load_b128 v[34:37], off, off offset:352
	scratch_load_b128 v[173:176], off, off offset:368
	s_mov_b32 s2, exec_lo
	s_waitcnt vmcnt(9) lgkmcnt(1)
	v_mul_f64 v[177:178], v[40:41], v[4:5]
	v_mul_f64 v[4:5], v[38:39], v[4:5]
	s_waitcnt vmcnt(8) lgkmcnt(0)
	v_mul_f64 v[179:180], v[169:170], v[8:9]
	v_mul_f64 v[8:9], v[171:172], v[8:9]
	s_delay_alu instid0(VALU_DEP_4) | instskip(NEXT) | instid1(VALU_DEP_4)
	v_fma_f64 v[177:178], v[38:39], v[2:3], -v[177:178]
	v_fma_f64 v[181:182], v[40:41], v[2:3], v[4:5]
	ds_load_b128 v[2:5], v1 offset:928
	scratch_load_b128 v[38:41], off, off offset:384
	v_fma_f64 v[179:180], v[171:172], v[6:7], v[179:180]
	v_fma_f64 v[185:186], v[169:170], v[6:7], -v[8:9]
	scratch_load_b128 v[169:172], off, off offset:400
	ds_load_b128 v[6:9], v1 offset:944
	s_waitcnt vmcnt(9) lgkmcnt(1)
	v_mul_f64 v[183:184], v[2:3], v[12:13]
	v_mul_f64 v[12:13], v[4:5], v[12:13]
	s_waitcnt vmcnt(8) lgkmcnt(0)
	v_mul_f64 v[187:188], v[6:7], v[16:17]
	v_mul_f64 v[16:17], v[8:9], v[16:17]
	v_add_f64 v[177:178], v[177:178], 0
	v_add_f64 v[181:182], v[181:182], 0
	v_fma_f64 v[183:184], v[4:5], v[10:11], v[183:184]
	v_fma_f64 v[189:190], v[2:3], v[10:11], -v[12:13]
	ds_load_b128 v[2:5], v1 offset:960
	scratch_load_b128 v[10:13], off, off offset:416
	v_add_f64 v[177:178], v[177:178], v[185:186]
	v_add_f64 v[179:180], v[181:182], v[179:180]
	v_fma_f64 v[185:186], v[8:9], v[14:15], v[187:188]
	v_fma_f64 v[187:188], v[6:7], v[14:15], -v[16:17]
	scratch_load_b128 v[14:17], off, off offset:432
	ds_load_b128 v[6:9], v1 offset:976
	s_waitcnt vmcnt(9) lgkmcnt(1)
	v_mul_f64 v[181:182], v[2:3], v[20:21]
	v_mul_f64 v[20:21], v[4:5], v[20:21]
	v_add_f64 v[177:178], v[177:178], v[189:190]
	v_add_f64 v[179:180], v[179:180], v[183:184]
	s_waitcnt vmcnt(8) lgkmcnt(0)
	v_mul_f64 v[183:184], v[6:7], v[24:25]
	v_mul_f64 v[24:25], v[8:9], v[24:25]
	v_fma_f64 v[181:182], v[4:5], v[18:19], v[181:182]
	v_fma_f64 v[189:190], v[2:3], v[18:19], -v[20:21]
	ds_load_b128 v[2:5], v1 offset:992
	scratch_load_b128 v[18:21], off, off offset:448
	v_add_f64 v[177:178], v[177:178], v[187:188]
	v_add_f64 v[179:180], v[179:180], v[185:186]
	v_fma_f64 v[183:184], v[8:9], v[22:23], v[183:184]
	v_fma_f64 v[187:188], v[6:7], v[22:23], -v[24:25]
	scratch_load_b128 v[22:25], off, off offset:464
	ds_load_b128 v[6:9], v1 offset:1008
	s_waitcnt vmcnt(9) lgkmcnt(1)
	v_mul_f64 v[185:186], v[2:3], v[28:29]
	v_mul_f64 v[28:29], v[4:5], v[28:29]
	v_add_f64 v[177:178], v[177:178], v[189:190]
	v_add_f64 v[179:180], v[179:180], v[181:182]
	s_waitcnt vmcnt(8) lgkmcnt(0)
	v_mul_f64 v[181:182], v[6:7], v[32:33]
	v_mul_f64 v[32:33], v[8:9], v[32:33]
	;; [unrolled: 18-line block ×4, first 2 shown]
	v_fma_f64 v[181:182], v[4:5], v[38:39], v[181:182]
	v_fma_f64 v[189:190], v[2:3], v[38:39], -v[40:41]
	ds_load_b128 v[2:5], v1 offset:1088
	scratch_load_b128 v[38:41], off, off offset:544
	v_add_f64 v[177:178], v[177:178], v[187:188]
	v_add_f64 v[179:180], v[179:180], v[185:186]
	v_fma_f64 v[183:184], v[8:9], v[169:170], v[183:184]
	v_fma_f64 v[187:188], v[6:7], v[169:170], -v[171:172]
	ds_load_b128 v[6:9], v1 offset:1104
	s_waitcnt vmcnt(8) lgkmcnt(1)
	v_mul_f64 v[185:186], v[2:3], v[12:13]
	v_mul_f64 v[12:13], v[4:5], v[12:13]
	scratch_load_b128 v[169:172], off, off offset:560
	v_add_f64 v[177:178], v[177:178], v[189:190]
	v_add_f64 v[179:180], v[179:180], v[181:182]
	s_waitcnt vmcnt(8) lgkmcnt(0)
	v_mul_f64 v[181:182], v[6:7], v[16:17]
	v_mul_f64 v[16:17], v[8:9], v[16:17]
	v_fma_f64 v[185:186], v[4:5], v[10:11], v[185:186]
	v_fma_f64 v[189:190], v[2:3], v[10:11], -v[12:13]
	ds_load_b128 v[2:5], v1 offset:1120
	scratch_load_b128 v[10:13], off, off offset:576
	v_add_f64 v[177:178], v[177:178], v[187:188]
	v_add_f64 v[179:180], v[179:180], v[183:184]
	v_fma_f64 v[181:182], v[8:9], v[14:15], v[181:182]
	v_fma_f64 v[187:188], v[6:7], v[14:15], -v[16:17]
	ds_load_b128 v[6:9], v1 offset:1136
	s_waitcnt vmcnt(8) lgkmcnt(1)
	v_mul_f64 v[183:184], v[2:3], v[20:21]
	v_mul_f64 v[20:21], v[4:5], v[20:21]
	scratch_load_b128 v[14:17], off, off offset:592
	v_add_f64 v[177:178], v[177:178], v[189:190]
	v_add_f64 v[179:180], v[179:180], v[185:186]
	s_waitcnt vmcnt(8) lgkmcnt(0)
	v_mul_f64 v[185:186], v[6:7], v[24:25]
	v_mul_f64 v[24:25], v[8:9], v[24:25]
	v_fma_f64 v[183:184], v[4:5], v[18:19], v[183:184]
	v_fma_f64 v[189:190], v[2:3], v[18:19], -v[20:21]
	scratch_load_b128 v[18:21], off, off offset:608
	ds_load_b128 v[2:5], v1 offset:1152
	v_add_f64 v[177:178], v[177:178], v[187:188]
	v_add_f64 v[179:180], v[179:180], v[181:182]
	v_fma_f64 v[185:186], v[8:9], v[22:23], v[185:186]
	v_fma_f64 v[187:188], v[6:7], v[22:23], -v[24:25]
	ds_load_b128 v[6:9], v1 offset:1168
	s_waitcnt vmcnt(8) lgkmcnt(1)
	v_mul_f64 v[181:182], v[2:3], v[28:29]
	v_mul_f64 v[28:29], v[4:5], v[28:29]
	scratch_load_b128 v[22:25], off, off offset:624
	v_add_f64 v[177:178], v[177:178], v[189:190]
	v_add_f64 v[179:180], v[179:180], v[183:184]
	s_waitcnt vmcnt(8) lgkmcnt(0)
	v_mul_f64 v[183:184], v[6:7], v[32:33]
	v_mul_f64 v[32:33], v[8:9], v[32:33]
	v_fma_f64 v[181:182], v[4:5], v[26:27], v[181:182]
	v_fma_f64 v[189:190], v[2:3], v[26:27], -v[28:29]
	scratch_load_b128 v[26:29], off, off offset:640
	ds_load_b128 v[2:5], v1 offset:1184
	v_add_f64 v[177:178], v[177:178], v[187:188]
	v_add_f64 v[179:180], v[179:180], v[185:186]
	v_fma_f64 v[183:184], v[8:9], v[30:31], v[183:184]
	v_fma_f64 v[187:188], v[6:7], v[30:31], -v[32:33]
	ds_load_b128 v[6:9], v1 offset:1200
	s_waitcnt vmcnt(8) lgkmcnt(1)
	v_mul_f64 v[185:186], v[2:3], v[36:37]
	v_mul_f64 v[36:37], v[4:5], v[36:37]
	scratch_load_b128 v[30:33], off, off offset:656
	v_add_f64 v[177:178], v[177:178], v[189:190]
	v_add_f64 v[179:180], v[179:180], v[181:182]
	s_waitcnt vmcnt(8) lgkmcnt(0)
	v_mul_f64 v[181:182], v[6:7], v[175:176]
	v_mul_f64 v[175:176], v[8:9], v[175:176]
	v_fma_f64 v[185:186], v[4:5], v[34:35], v[185:186]
	v_fma_f64 v[34:35], v[2:3], v[34:35], -v[36:37]
	ds_load_b128 v[2:5], v1 offset:1216
	v_add_f64 v[36:37], v[177:178], v[187:188]
	v_add_f64 v[177:178], v[179:180], v[183:184]
	v_fma_f64 v[181:182], v[8:9], v[173:174], v[181:182]
	v_fma_f64 v[173:174], v[6:7], v[173:174], -v[175:176]
	ds_load_b128 v[6:9], v1 offset:1232
	s_waitcnt vmcnt(7) lgkmcnt(1)
	v_mul_f64 v[179:180], v[2:3], v[40:41]
	v_mul_f64 v[40:41], v[4:5], v[40:41]
	v_add_f64 v[34:35], v[36:37], v[34:35]
	v_add_f64 v[36:37], v[177:178], v[185:186]
	s_delay_alu instid0(VALU_DEP_4) | instskip(NEXT) | instid1(VALU_DEP_4)
	v_fma_f64 v[177:178], v[4:5], v[38:39], v[179:180]
	v_fma_f64 v[38:39], v[2:3], v[38:39], -v[40:41]
	ds_load_b128 v[2:5], v1 offset:1248
	v_add_f64 v[40:41], v[34:35], v[173:174]
	v_add_f64 v[173:174], v[36:37], v[181:182]
	scratch_load_b128 v[34:37], off, off offset:208
	s_waitcnt vmcnt(7) lgkmcnt(1)
	v_mul_f64 v[175:176], v[6:7], v[171:172]
	v_mul_f64 v[171:172], v[8:9], v[171:172]
	v_add_f64 v[38:39], v[40:41], v[38:39]
	v_add_f64 v[40:41], v[173:174], v[177:178]
	s_delay_alu instid0(VALU_DEP_4) | instskip(NEXT) | instid1(VALU_DEP_4)
	v_fma_f64 v[175:176], v[8:9], v[169:170], v[175:176]
	v_fma_f64 v[169:170], v[6:7], v[169:170], -v[171:172]
	ds_load_b128 v[6:9], v1 offset:1264
	s_waitcnt vmcnt(6) lgkmcnt(1)
	v_mul_f64 v[179:180], v[2:3], v[12:13]
	v_mul_f64 v[12:13], v[4:5], v[12:13]
	s_waitcnt vmcnt(5) lgkmcnt(0)
	v_mul_f64 v[171:172], v[6:7], v[16:17]
	v_mul_f64 v[16:17], v[8:9], v[16:17]
	s_delay_alu instid0(VALU_DEP_4) | instskip(NEXT) | instid1(VALU_DEP_4)
	v_fma_f64 v[173:174], v[4:5], v[10:11], v[179:180]
	v_fma_f64 v[10:11], v[2:3], v[10:11], -v[12:13]
	v_add_f64 v[12:13], v[38:39], v[169:170]
	v_add_f64 v[38:39], v[40:41], v[175:176]
	ds_load_b128 v[2:5], v1 offset:1280
	v_fma_f64 v[169:170], v[8:9], v[14:15], v[171:172]
	v_fma_f64 v[14:15], v[6:7], v[14:15], -v[16:17]
	ds_load_b128 v[6:9], v1 offset:1296
	s_waitcnt vmcnt(4) lgkmcnt(1)
	v_mul_f64 v[40:41], v[2:3], v[20:21]
	v_mul_f64 v[20:21], v[4:5], v[20:21]
	v_add_f64 v[10:11], v[12:13], v[10:11]
	v_add_f64 v[12:13], v[38:39], v[173:174]
	s_waitcnt vmcnt(3) lgkmcnt(0)
	v_mul_f64 v[16:17], v[6:7], v[24:25]
	v_mul_f64 v[24:25], v[8:9], v[24:25]
	v_fma_f64 v[38:39], v[4:5], v[18:19], v[40:41]
	v_fma_f64 v[18:19], v[2:3], v[18:19], -v[20:21]
	ds_load_b128 v[2:5], v1 offset:1312
	v_add_f64 v[10:11], v[10:11], v[14:15]
	v_add_f64 v[12:13], v[12:13], v[169:170]
	v_fma_f64 v[16:17], v[8:9], v[22:23], v[16:17]
	v_fma_f64 v[22:23], v[6:7], v[22:23], -v[24:25]
	ds_load_b128 v[6:9], v1 offset:1328
	s_waitcnt vmcnt(2) lgkmcnt(1)
	v_mul_f64 v[14:15], v[2:3], v[28:29]
	v_mul_f64 v[20:21], v[4:5], v[28:29]
	s_waitcnt vmcnt(1) lgkmcnt(0)
	v_mul_f64 v[24:25], v[8:9], v[32:33]
	v_add_f64 v[10:11], v[10:11], v[18:19]
	v_add_f64 v[12:13], v[12:13], v[38:39]
	v_mul_f64 v[18:19], v[6:7], v[32:33]
	v_fma_f64 v[4:5], v[4:5], v[26:27], v[14:15]
	v_fma_f64 v[1:2], v[2:3], v[26:27], -v[20:21]
	v_fma_f64 v[6:7], v[6:7], v[30:31], -v[24:25]
	v_add_f64 v[10:11], v[10:11], v[22:23]
	v_add_f64 v[12:13], v[12:13], v[16:17]
	v_fma_f64 v[8:9], v[8:9], v[30:31], v[18:19]
	s_delay_alu instid0(VALU_DEP_3) | instskip(NEXT) | instid1(VALU_DEP_3)
	v_add_f64 v[1:2], v[10:11], v[1:2]
	v_add_f64 v[3:4], v[12:13], v[4:5]
	s_delay_alu instid0(VALU_DEP_2) | instskip(NEXT) | instid1(VALU_DEP_2)
	v_add_f64 v[1:2], v[1:2], v[6:7]
	v_add_f64 v[3:4], v[3:4], v[8:9]
	s_waitcnt vmcnt(0)
	s_delay_alu instid0(VALU_DEP_2) | instskip(NEXT) | instid1(VALU_DEP_2)
	v_add_f64 v[1:2], v[34:35], -v[1:2]
	v_add_f64 v[3:4], v[36:37], -v[3:4]
	scratch_store_b128 off, v[1:4], off offset:208
	v_cmpx_lt_u32_e32 12, v126
	s_cbranch_execz .LBB41_241
; %bb.240:
	scratch_load_b128 v[1:4], v160, off
	v_mov_b32_e32 v5, 0
	s_delay_alu instid0(VALU_DEP_1)
	v_mov_b32_e32 v6, v5
	v_mov_b32_e32 v7, v5
	;; [unrolled: 1-line block ×3, first 2 shown]
	scratch_store_b128 off, v[5:8], off offset:192
	s_waitcnt vmcnt(0)
	ds_store_b128 v168, v[1:4]
.LBB41_241:
	s_or_b32 exec_lo, exec_lo, s2
	s_waitcnt lgkmcnt(0)
	s_waitcnt_vscnt null, 0x0
	s_barrier
	buffer_gl0_inv
	s_clause 0x7
	scratch_load_b128 v[2:5], off, off offset:208
	scratch_load_b128 v[6:9], off, off offset:224
	;; [unrolled: 1-line block ×8, first 2 shown]
	v_mov_b32_e32 v1, 0
	s_clause 0x1
	scratch_load_b128 v[34:37], off, off offset:336
	scratch_load_b128 v[173:176], off, off offset:352
	s_mov_b32 s2, exec_lo
	ds_load_b128 v[38:41], v1 offset:880
	ds_load_b128 v[169:172], v1 offset:896
	s_waitcnt vmcnt(9) lgkmcnt(1)
	v_mul_f64 v[177:178], v[40:41], v[4:5]
	v_mul_f64 v[4:5], v[38:39], v[4:5]
	s_waitcnt vmcnt(8) lgkmcnt(0)
	v_mul_f64 v[179:180], v[169:170], v[8:9]
	v_mul_f64 v[8:9], v[171:172], v[8:9]
	s_delay_alu instid0(VALU_DEP_4) | instskip(NEXT) | instid1(VALU_DEP_4)
	v_fma_f64 v[177:178], v[38:39], v[2:3], -v[177:178]
	v_fma_f64 v[181:182], v[40:41], v[2:3], v[4:5]
	ds_load_b128 v[2:5], v1 offset:912
	scratch_load_b128 v[38:41], off, off offset:368
	v_fma_f64 v[179:180], v[171:172], v[6:7], v[179:180]
	v_fma_f64 v[185:186], v[169:170], v[6:7], -v[8:9]
	scratch_load_b128 v[169:172], off, off offset:384
	ds_load_b128 v[6:9], v1 offset:928
	s_waitcnt vmcnt(9) lgkmcnt(1)
	v_mul_f64 v[183:184], v[2:3], v[12:13]
	v_mul_f64 v[12:13], v[4:5], v[12:13]
	s_waitcnt vmcnt(8) lgkmcnt(0)
	v_mul_f64 v[187:188], v[6:7], v[16:17]
	v_mul_f64 v[16:17], v[8:9], v[16:17]
	v_add_f64 v[177:178], v[177:178], 0
	v_add_f64 v[181:182], v[181:182], 0
	v_fma_f64 v[183:184], v[4:5], v[10:11], v[183:184]
	v_fma_f64 v[189:190], v[2:3], v[10:11], -v[12:13]
	ds_load_b128 v[2:5], v1 offset:944
	scratch_load_b128 v[10:13], off, off offset:400
	v_add_f64 v[177:178], v[177:178], v[185:186]
	v_add_f64 v[179:180], v[181:182], v[179:180]
	v_fma_f64 v[185:186], v[8:9], v[14:15], v[187:188]
	v_fma_f64 v[187:188], v[6:7], v[14:15], -v[16:17]
	scratch_load_b128 v[14:17], off, off offset:416
	ds_load_b128 v[6:9], v1 offset:960
	s_waitcnt vmcnt(9) lgkmcnt(1)
	v_mul_f64 v[181:182], v[2:3], v[20:21]
	v_mul_f64 v[20:21], v[4:5], v[20:21]
	v_add_f64 v[177:178], v[177:178], v[189:190]
	v_add_f64 v[179:180], v[179:180], v[183:184]
	s_waitcnt vmcnt(8) lgkmcnt(0)
	v_mul_f64 v[183:184], v[6:7], v[24:25]
	v_mul_f64 v[24:25], v[8:9], v[24:25]
	v_fma_f64 v[181:182], v[4:5], v[18:19], v[181:182]
	v_fma_f64 v[189:190], v[2:3], v[18:19], -v[20:21]
	ds_load_b128 v[2:5], v1 offset:976
	scratch_load_b128 v[18:21], off, off offset:432
	v_add_f64 v[177:178], v[177:178], v[187:188]
	v_add_f64 v[179:180], v[179:180], v[185:186]
	v_fma_f64 v[183:184], v[8:9], v[22:23], v[183:184]
	v_fma_f64 v[187:188], v[6:7], v[22:23], -v[24:25]
	scratch_load_b128 v[22:25], off, off offset:448
	ds_load_b128 v[6:9], v1 offset:992
	s_waitcnt vmcnt(9) lgkmcnt(1)
	v_mul_f64 v[185:186], v[2:3], v[28:29]
	v_mul_f64 v[28:29], v[4:5], v[28:29]
	v_add_f64 v[177:178], v[177:178], v[189:190]
	v_add_f64 v[179:180], v[179:180], v[181:182]
	s_waitcnt vmcnt(8) lgkmcnt(0)
	v_mul_f64 v[181:182], v[6:7], v[32:33]
	v_mul_f64 v[32:33], v[8:9], v[32:33]
	;; [unrolled: 18-line block ×5, first 2 shown]
	v_fma_f64 v[185:186], v[4:5], v[10:11], v[185:186]
	v_fma_f64 v[189:190], v[2:3], v[10:11], -v[12:13]
	ds_load_b128 v[2:5], v1 offset:1104
	scratch_load_b128 v[10:13], off, off offset:560
	v_add_f64 v[177:178], v[177:178], v[187:188]
	v_add_f64 v[179:180], v[179:180], v[183:184]
	v_fma_f64 v[181:182], v[8:9], v[14:15], v[181:182]
	v_fma_f64 v[187:188], v[6:7], v[14:15], -v[16:17]
	ds_load_b128 v[6:9], v1 offset:1120
	s_waitcnt vmcnt(8) lgkmcnt(1)
	v_mul_f64 v[183:184], v[2:3], v[20:21]
	v_mul_f64 v[20:21], v[4:5], v[20:21]
	scratch_load_b128 v[14:17], off, off offset:576
	v_add_f64 v[177:178], v[177:178], v[189:190]
	v_add_f64 v[179:180], v[179:180], v[185:186]
	s_waitcnt vmcnt(8) lgkmcnt(0)
	v_mul_f64 v[185:186], v[6:7], v[24:25]
	v_mul_f64 v[24:25], v[8:9], v[24:25]
	v_fma_f64 v[183:184], v[4:5], v[18:19], v[183:184]
	v_fma_f64 v[189:190], v[2:3], v[18:19], -v[20:21]
	scratch_load_b128 v[18:21], off, off offset:592
	ds_load_b128 v[2:5], v1 offset:1136
	v_add_f64 v[177:178], v[177:178], v[187:188]
	v_add_f64 v[179:180], v[179:180], v[181:182]
	v_fma_f64 v[185:186], v[8:9], v[22:23], v[185:186]
	v_fma_f64 v[187:188], v[6:7], v[22:23], -v[24:25]
	ds_load_b128 v[6:9], v1 offset:1152
	s_waitcnt vmcnt(8) lgkmcnt(1)
	v_mul_f64 v[181:182], v[2:3], v[28:29]
	v_mul_f64 v[28:29], v[4:5], v[28:29]
	scratch_load_b128 v[22:25], off, off offset:608
	v_add_f64 v[177:178], v[177:178], v[189:190]
	v_add_f64 v[179:180], v[179:180], v[183:184]
	s_waitcnt vmcnt(8) lgkmcnt(0)
	v_mul_f64 v[183:184], v[6:7], v[32:33]
	v_mul_f64 v[32:33], v[8:9], v[32:33]
	v_fma_f64 v[181:182], v[4:5], v[26:27], v[181:182]
	v_fma_f64 v[189:190], v[2:3], v[26:27], -v[28:29]
	scratch_load_b128 v[26:29], off, off offset:624
	ds_load_b128 v[2:5], v1 offset:1168
	;; [unrolled: 18-line block ×3, first 2 shown]
	v_add_f64 v[177:178], v[177:178], v[187:188]
	v_add_f64 v[179:180], v[179:180], v[183:184]
	v_fma_f64 v[181:182], v[8:9], v[173:174], v[181:182]
	v_fma_f64 v[173:174], v[6:7], v[173:174], -v[175:176]
	ds_load_b128 v[6:9], v1 offset:1216
	s_waitcnt vmcnt(8) lgkmcnt(1)
	v_mul_f64 v[183:184], v[2:3], v[40:41]
	v_mul_f64 v[40:41], v[4:5], v[40:41]
	v_add_f64 v[175:176], v[177:178], v[189:190]
	v_add_f64 v[177:178], v[179:180], v[185:186]
	s_waitcnt vmcnt(7) lgkmcnt(0)
	v_mul_f64 v[179:180], v[6:7], v[171:172]
	v_mul_f64 v[171:172], v[8:9], v[171:172]
	v_fma_f64 v[183:184], v[4:5], v[38:39], v[183:184]
	v_fma_f64 v[38:39], v[2:3], v[38:39], -v[40:41]
	ds_load_b128 v[2:5], v1 offset:1232
	v_add_f64 v[40:41], v[175:176], v[173:174]
	v_add_f64 v[173:174], v[177:178], v[181:182]
	v_fma_f64 v[177:178], v[8:9], v[169:170], v[179:180]
	v_fma_f64 v[169:170], v[6:7], v[169:170], -v[171:172]
	ds_load_b128 v[6:9], v1 offset:1248
	s_waitcnt vmcnt(5) lgkmcnt(0)
	v_mul_f64 v[179:180], v[6:7], v[16:17]
	v_mul_f64 v[16:17], v[8:9], v[16:17]
	v_add_f64 v[171:172], v[40:41], v[38:39]
	v_add_f64 v[173:174], v[173:174], v[183:184]
	scratch_load_b128 v[38:41], off, off offset:192
	v_mul_f64 v[175:176], v[2:3], v[12:13]
	v_mul_f64 v[12:13], v[4:5], v[12:13]
	s_delay_alu instid0(VALU_DEP_2) | instskip(NEXT) | instid1(VALU_DEP_2)
	v_fma_f64 v[175:176], v[4:5], v[10:11], v[175:176]
	v_fma_f64 v[10:11], v[2:3], v[10:11], -v[12:13]
	v_add_f64 v[12:13], v[171:172], v[169:170]
	v_add_f64 v[169:170], v[173:174], v[177:178]
	ds_load_b128 v[2:5], v1 offset:1264
	v_fma_f64 v[173:174], v[8:9], v[14:15], v[179:180]
	v_fma_f64 v[14:15], v[6:7], v[14:15], -v[16:17]
	ds_load_b128 v[6:9], v1 offset:1280
	s_waitcnt vmcnt(5) lgkmcnt(1)
	v_mul_f64 v[171:172], v[2:3], v[20:21]
	v_mul_f64 v[20:21], v[4:5], v[20:21]
	s_waitcnt vmcnt(4) lgkmcnt(0)
	v_mul_f64 v[16:17], v[6:7], v[24:25]
	v_mul_f64 v[24:25], v[8:9], v[24:25]
	v_add_f64 v[10:11], v[12:13], v[10:11]
	v_add_f64 v[12:13], v[169:170], v[175:176]
	v_fma_f64 v[169:170], v[4:5], v[18:19], v[171:172]
	v_fma_f64 v[18:19], v[2:3], v[18:19], -v[20:21]
	ds_load_b128 v[2:5], v1 offset:1296
	v_fma_f64 v[16:17], v[8:9], v[22:23], v[16:17]
	v_fma_f64 v[22:23], v[6:7], v[22:23], -v[24:25]
	ds_load_b128 v[6:9], v1 offset:1312
	v_add_f64 v[10:11], v[10:11], v[14:15]
	v_add_f64 v[12:13], v[12:13], v[173:174]
	s_waitcnt vmcnt(3) lgkmcnt(1)
	v_mul_f64 v[14:15], v[2:3], v[28:29]
	v_mul_f64 v[20:21], v[4:5], v[28:29]
	s_waitcnt vmcnt(2) lgkmcnt(0)
	v_mul_f64 v[24:25], v[8:9], v[32:33]
	v_add_f64 v[10:11], v[10:11], v[18:19]
	v_add_f64 v[12:13], v[12:13], v[169:170]
	v_mul_f64 v[18:19], v[6:7], v[32:33]
	v_fma_f64 v[14:15], v[4:5], v[26:27], v[14:15]
	v_fma_f64 v[20:21], v[2:3], v[26:27], -v[20:21]
	ds_load_b128 v[2:5], v1 offset:1328
	v_fma_f64 v[6:7], v[6:7], v[30:31], -v[24:25]
	v_add_f64 v[10:11], v[10:11], v[22:23]
	v_add_f64 v[12:13], v[12:13], v[16:17]
	s_waitcnt vmcnt(1) lgkmcnt(0)
	v_mul_f64 v[16:17], v[2:3], v[36:37]
	v_mul_f64 v[22:23], v[4:5], v[36:37]
	v_fma_f64 v[8:9], v[8:9], v[30:31], v[18:19]
	v_add_f64 v[10:11], v[10:11], v[20:21]
	v_add_f64 v[12:13], v[12:13], v[14:15]
	v_fma_f64 v[4:5], v[4:5], v[34:35], v[16:17]
	v_fma_f64 v[2:3], v[2:3], v[34:35], -v[22:23]
	s_delay_alu instid0(VALU_DEP_4) | instskip(NEXT) | instid1(VALU_DEP_4)
	v_add_f64 v[6:7], v[10:11], v[6:7]
	v_add_f64 v[8:9], v[12:13], v[8:9]
	s_delay_alu instid0(VALU_DEP_2) | instskip(NEXT) | instid1(VALU_DEP_2)
	v_add_f64 v[2:3], v[6:7], v[2:3]
	v_add_f64 v[4:5], v[8:9], v[4:5]
	s_waitcnt vmcnt(0)
	s_delay_alu instid0(VALU_DEP_2) | instskip(NEXT) | instid1(VALU_DEP_2)
	v_add_f64 v[2:3], v[38:39], -v[2:3]
	v_add_f64 v[4:5], v[40:41], -v[4:5]
	scratch_store_b128 off, v[2:5], off offset:192
	v_cmpx_lt_u32_e32 11, v126
	s_cbranch_execz .LBB41_243
; %bb.242:
	scratch_load_b128 v[5:8], v161, off
	v_mov_b32_e32 v2, v1
	v_mov_b32_e32 v3, v1
	;; [unrolled: 1-line block ×3, first 2 shown]
	scratch_store_b128 off, v[1:4], off offset:176
	s_waitcnt vmcnt(0)
	ds_store_b128 v168, v[5:8]
.LBB41_243:
	s_or_b32 exec_lo, exec_lo, s2
	s_waitcnt lgkmcnt(0)
	s_waitcnt_vscnt null, 0x0
	s_barrier
	buffer_gl0_inv
	s_clause 0x7
	scratch_load_b128 v[2:5], off, off offset:192
	scratch_load_b128 v[6:9], off, off offset:208
	;; [unrolled: 1-line block ×8, first 2 shown]
	ds_load_b128 v[38:41], v1 offset:864
	ds_load_b128 v[169:172], v1 offset:880
	s_clause 0x1
	scratch_load_b128 v[34:37], off, off offset:320
	scratch_load_b128 v[173:176], off, off offset:336
	s_mov_b32 s2, exec_lo
	s_waitcnt vmcnt(9) lgkmcnt(1)
	v_mul_f64 v[177:178], v[40:41], v[4:5]
	v_mul_f64 v[4:5], v[38:39], v[4:5]
	s_waitcnt vmcnt(8) lgkmcnt(0)
	v_mul_f64 v[179:180], v[169:170], v[8:9]
	v_mul_f64 v[8:9], v[171:172], v[8:9]
	s_delay_alu instid0(VALU_DEP_4) | instskip(NEXT) | instid1(VALU_DEP_4)
	v_fma_f64 v[177:178], v[38:39], v[2:3], -v[177:178]
	v_fma_f64 v[181:182], v[40:41], v[2:3], v[4:5]
	ds_load_b128 v[2:5], v1 offset:896
	scratch_load_b128 v[38:41], off, off offset:352
	v_fma_f64 v[179:180], v[171:172], v[6:7], v[179:180]
	v_fma_f64 v[185:186], v[169:170], v[6:7], -v[8:9]
	scratch_load_b128 v[169:172], off, off offset:368
	ds_load_b128 v[6:9], v1 offset:912
	s_waitcnt vmcnt(9) lgkmcnt(1)
	v_mul_f64 v[183:184], v[2:3], v[12:13]
	v_mul_f64 v[12:13], v[4:5], v[12:13]
	s_waitcnt vmcnt(8) lgkmcnt(0)
	v_mul_f64 v[187:188], v[6:7], v[16:17]
	v_mul_f64 v[16:17], v[8:9], v[16:17]
	v_add_f64 v[177:178], v[177:178], 0
	v_add_f64 v[181:182], v[181:182], 0
	v_fma_f64 v[183:184], v[4:5], v[10:11], v[183:184]
	v_fma_f64 v[189:190], v[2:3], v[10:11], -v[12:13]
	scratch_load_b128 v[10:13], off, off offset:384
	ds_load_b128 v[2:5], v1 offset:928
	v_add_f64 v[177:178], v[177:178], v[185:186]
	v_add_f64 v[179:180], v[181:182], v[179:180]
	v_fma_f64 v[185:186], v[8:9], v[14:15], v[187:188]
	v_fma_f64 v[187:188], v[6:7], v[14:15], -v[16:17]
	ds_load_b128 v[6:9], v1 offset:944
	scratch_load_b128 v[14:17], off, off offset:400
	s_waitcnt vmcnt(9) lgkmcnt(1)
	v_mul_f64 v[181:182], v[2:3], v[20:21]
	v_mul_f64 v[20:21], v[4:5], v[20:21]
	v_add_f64 v[177:178], v[177:178], v[189:190]
	v_add_f64 v[179:180], v[179:180], v[183:184]
	s_waitcnt vmcnt(8) lgkmcnt(0)
	v_mul_f64 v[183:184], v[6:7], v[24:25]
	v_mul_f64 v[24:25], v[8:9], v[24:25]
	v_fma_f64 v[181:182], v[4:5], v[18:19], v[181:182]
	v_fma_f64 v[189:190], v[2:3], v[18:19], -v[20:21]
	ds_load_b128 v[2:5], v1 offset:960
	scratch_load_b128 v[18:21], off, off offset:416
	v_add_f64 v[177:178], v[177:178], v[187:188]
	v_add_f64 v[179:180], v[179:180], v[185:186]
	v_fma_f64 v[183:184], v[8:9], v[22:23], v[183:184]
	v_fma_f64 v[187:188], v[6:7], v[22:23], -v[24:25]
	scratch_load_b128 v[22:25], off, off offset:432
	ds_load_b128 v[6:9], v1 offset:976
	s_waitcnt vmcnt(9) lgkmcnt(1)
	v_mul_f64 v[185:186], v[2:3], v[28:29]
	v_mul_f64 v[28:29], v[4:5], v[28:29]
	v_add_f64 v[177:178], v[177:178], v[189:190]
	v_add_f64 v[179:180], v[179:180], v[181:182]
	s_waitcnt vmcnt(8) lgkmcnt(0)
	v_mul_f64 v[181:182], v[6:7], v[32:33]
	v_mul_f64 v[32:33], v[8:9], v[32:33]
	v_fma_f64 v[185:186], v[4:5], v[26:27], v[185:186]
	v_fma_f64 v[189:190], v[2:3], v[26:27], -v[28:29]
	ds_load_b128 v[2:5], v1 offset:992
	scratch_load_b128 v[26:29], off, off offset:448
	v_add_f64 v[177:178], v[177:178], v[187:188]
	v_add_f64 v[179:180], v[179:180], v[183:184]
	v_fma_f64 v[181:182], v[8:9], v[30:31], v[181:182]
	v_fma_f64 v[187:188], v[6:7], v[30:31], -v[32:33]
	scratch_load_b128 v[30:33], off, off offset:464
	ds_load_b128 v[6:9], v1 offset:1008
	;; [unrolled: 18-line block ×3, first 2 shown]
	s_waitcnt vmcnt(9) lgkmcnt(1)
	v_mul_f64 v[181:182], v[2:3], v[40:41]
	v_mul_f64 v[40:41], v[4:5], v[40:41]
	v_add_f64 v[177:178], v[177:178], v[189:190]
	v_add_f64 v[179:180], v[179:180], v[183:184]
	s_waitcnt vmcnt(8) lgkmcnt(0)
	v_mul_f64 v[183:184], v[6:7], v[171:172]
	v_mul_f64 v[171:172], v[8:9], v[171:172]
	v_fma_f64 v[181:182], v[4:5], v[38:39], v[181:182]
	v_fma_f64 v[189:190], v[2:3], v[38:39], -v[40:41]
	ds_load_b128 v[2:5], v1 offset:1056
	scratch_load_b128 v[38:41], off, off offset:512
	v_add_f64 v[177:178], v[177:178], v[187:188]
	v_add_f64 v[179:180], v[179:180], v[185:186]
	v_fma_f64 v[183:184], v[8:9], v[169:170], v[183:184]
	v_fma_f64 v[187:188], v[6:7], v[169:170], -v[171:172]
	ds_load_b128 v[6:9], v1 offset:1072
	s_waitcnt vmcnt(8) lgkmcnt(1)
	v_mul_f64 v[185:186], v[2:3], v[12:13]
	v_mul_f64 v[12:13], v[4:5], v[12:13]
	scratch_load_b128 v[169:172], off, off offset:528
	v_add_f64 v[177:178], v[177:178], v[189:190]
	v_add_f64 v[179:180], v[179:180], v[181:182]
	s_waitcnt vmcnt(8) lgkmcnt(0)
	v_mul_f64 v[181:182], v[6:7], v[16:17]
	v_mul_f64 v[16:17], v[8:9], v[16:17]
	v_fma_f64 v[185:186], v[4:5], v[10:11], v[185:186]
	v_fma_f64 v[189:190], v[2:3], v[10:11], -v[12:13]
	scratch_load_b128 v[10:13], off, off offset:544
	ds_load_b128 v[2:5], v1 offset:1088
	v_add_f64 v[177:178], v[177:178], v[187:188]
	v_add_f64 v[179:180], v[179:180], v[183:184]
	v_fma_f64 v[181:182], v[8:9], v[14:15], v[181:182]
	v_fma_f64 v[187:188], v[6:7], v[14:15], -v[16:17]
	ds_load_b128 v[6:9], v1 offset:1104
	s_waitcnt vmcnt(8) lgkmcnt(1)
	v_mul_f64 v[183:184], v[2:3], v[20:21]
	v_mul_f64 v[20:21], v[4:5], v[20:21]
	scratch_load_b128 v[14:17], off, off offset:560
	v_add_f64 v[177:178], v[177:178], v[189:190]
	v_add_f64 v[179:180], v[179:180], v[185:186]
	s_waitcnt vmcnt(8) lgkmcnt(0)
	v_mul_f64 v[185:186], v[6:7], v[24:25]
	v_mul_f64 v[24:25], v[8:9], v[24:25]
	v_fma_f64 v[183:184], v[4:5], v[18:19], v[183:184]
	v_fma_f64 v[189:190], v[2:3], v[18:19], -v[20:21]
	scratch_load_b128 v[18:21], off, off offset:576
	ds_load_b128 v[2:5], v1 offset:1120
	;; [unrolled: 18-line block ×4, first 2 shown]
	v_add_f64 v[177:178], v[177:178], v[187:188]
	v_add_f64 v[179:180], v[179:180], v[183:184]
	v_fma_f64 v[181:182], v[8:9], v[173:174], v[181:182]
	v_fma_f64 v[187:188], v[6:7], v[173:174], -v[175:176]
	ds_load_b128 v[6:9], v1 offset:1200
	s_waitcnt vmcnt(8) lgkmcnt(1)
	v_mul_f64 v[183:184], v[2:3], v[40:41]
	v_mul_f64 v[40:41], v[4:5], v[40:41]
	scratch_load_b128 v[173:176], off, off offset:656
	v_add_f64 v[177:178], v[177:178], v[189:190]
	v_add_f64 v[179:180], v[179:180], v[185:186]
	v_fma_f64 v[183:184], v[4:5], v[38:39], v[183:184]
	v_fma_f64 v[38:39], v[2:3], v[38:39], -v[40:41]
	ds_load_b128 v[2:5], v1 offset:1216
	v_add_f64 v[40:41], v[177:178], v[187:188]
	v_add_f64 v[177:178], v[179:180], v[181:182]
	s_waitcnt vmcnt(7) lgkmcnt(0)
	v_mul_f64 v[179:180], v[2:3], v[12:13]
	v_mul_f64 v[12:13], v[4:5], v[12:13]
	s_delay_alu instid0(VALU_DEP_4) | instskip(NEXT) | instid1(VALU_DEP_4)
	v_add_f64 v[38:39], v[40:41], v[38:39]
	v_add_f64 v[40:41], v[177:178], v[183:184]
	s_delay_alu instid0(VALU_DEP_4) | instskip(NEXT) | instid1(VALU_DEP_4)
	v_fma_f64 v[177:178], v[4:5], v[10:11], v[179:180]
	v_fma_f64 v[179:180], v[2:3], v[10:11], -v[12:13]
	scratch_load_b128 v[10:13], off, off offset:176
	v_mul_f64 v[185:186], v[6:7], v[171:172]
	v_mul_f64 v[171:172], v[8:9], v[171:172]
	ds_load_b128 v[2:5], v1 offset:1248
	v_fma_f64 v[181:182], v[8:9], v[169:170], v[185:186]
	v_fma_f64 v[169:170], v[6:7], v[169:170], -v[171:172]
	ds_load_b128 v[6:9], v1 offset:1232
	s_waitcnt vmcnt(7) lgkmcnt(0)
	v_mul_f64 v[171:172], v[6:7], v[16:17]
	v_mul_f64 v[16:17], v[8:9], v[16:17]
	v_add_f64 v[40:41], v[40:41], v[181:182]
	v_add_f64 v[38:39], v[38:39], v[169:170]
	s_waitcnt vmcnt(6)
	v_mul_f64 v[169:170], v[2:3], v[20:21]
	v_mul_f64 v[20:21], v[4:5], v[20:21]
	v_fma_f64 v[171:172], v[8:9], v[14:15], v[171:172]
	v_fma_f64 v[14:15], v[6:7], v[14:15], -v[16:17]
	ds_load_b128 v[6:9], v1 offset:1264
	v_add_f64 v[16:17], v[38:39], v[179:180]
	v_add_f64 v[38:39], v[40:41], v[177:178]
	v_fma_f64 v[169:170], v[4:5], v[18:19], v[169:170]
	v_fma_f64 v[18:19], v[2:3], v[18:19], -v[20:21]
	ds_load_b128 v[2:5], v1 offset:1280
	s_waitcnt vmcnt(5) lgkmcnt(1)
	v_mul_f64 v[40:41], v[6:7], v[24:25]
	v_mul_f64 v[24:25], v[8:9], v[24:25]
	s_waitcnt vmcnt(4) lgkmcnt(0)
	v_mul_f64 v[20:21], v[2:3], v[28:29]
	v_mul_f64 v[28:29], v[4:5], v[28:29]
	v_add_f64 v[14:15], v[16:17], v[14:15]
	v_add_f64 v[16:17], v[38:39], v[171:172]
	v_fma_f64 v[38:39], v[8:9], v[22:23], v[40:41]
	v_fma_f64 v[22:23], v[6:7], v[22:23], -v[24:25]
	ds_load_b128 v[6:9], v1 offset:1296
	v_fma_f64 v[20:21], v[4:5], v[26:27], v[20:21]
	v_fma_f64 v[26:27], v[2:3], v[26:27], -v[28:29]
	ds_load_b128 v[2:5], v1 offset:1312
	s_waitcnt vmcnt(3) lgkmcnt(1)
	v_mul_f64 v[24:25], v[8:9], v[32:33]
	v_add_f64 v[14:15], v[14:15], v[18:19]
	v_add_f64 v[16:17], v[16:17], v[169:170]
	v_mul_f64 v[18:19], v[6:7], v[32:33]
	s_waitcnt vmcnt(2) lgkmcnt(0)
	v_mul_f64 v[28:29], v[4:5], v[36:37]
	v_fma_f64 v[24:25], v[6:7], v[30:31], -v[24:25]
	v_add_f64 v[14:15], v[14:15], v[22:23]
	v_add_f64 v[16:17], v[16:17], v[38:39]
	v_mul_f64 v[22:23], v[2:3], v[36:37]
	v_fma_f64 v[18:19], v[8:9], v[30:31], v[18:19]
	ds_load_b128 v[6:9], v1 offset:1328
	v_fma_f64 v[1:2], v[2:3], v[34:35], -v[28:29]
	v_add_f64 v[14:15], v[14:15], v[26:27]
	v_add_f64 v[16:17], v[16:17], v[20:21]
	s_waitcnt vmcnt(1) lgkmcnt(0)
	v_mul_f64 v[20:21], v[6:7], v[175:176]
	v_mul_f64 v[26:27], v[8:9], v[175:176]
	v_fma_f64 v[4:5], v[4:5], v[34:35], v[22:23]
	v_add_f64 v[14:15], v[14:15], v[24:25]
	v_add_f64 v[16:17], v[16:17], v[18:19]
	v_fma_f64 v[8:9], v[8:9], v[173:174], v[20:21]
	v_fma_f64 v[6:7], v[6:7], v[173:174], -v[26:27]
	s_delay_alu instid0(VALU_DEP_4) | instskip(NEXT) | instid1(VALU_DEP_4)
	v_add_f64 v[1:2], v[14:15], v[1:2]
	v_add_f64 v[3:4], v[16:17], v[4:5]
	s_delay_alu instid0(VALU_DEP_2) | instskip(NEXT) | instid1(VALU_DEP_2)
	v_add_f64 v[1:2], v[1:2], v[6:7]
	v_add_f64 v[3:4], v[3:4], v[8:9]
	s_waitcnt vmcnt(0)
	s_delay_alu instid0(VALU_DEP_2) | instskip(NEXT) | instid1(VALU_DEP_2)
	v_add_f64 v[1:2], v[10:11], -v[1:2]
	v_add_f64 v[3:4], v[12:13], -v[3:4]
	scratch_store_b128 off, v[1:4], off offset:176
	v_cmpx_lt_u32_e32 10, v126
	s_cbranch_execz .LBB41_245
; %bb.244:
	scratch_load_b128 v[1:4], v162, off
	v_mov_b32_e32 v5, 0
	s_delay_alu instid0(VALU_DEP_1)
	v_mov_b32_e32 v6, v5
	v_mov_b32_e32 v7, v5
	v_mov_b32_e32 v8, v5
	scratch_store_b128 off, v[5:8], off offset:160
	s_waitcnt vmcnt(0)
	ds_store_b128 v168, v[1:4]
.LBB41_245:
	s_or_b32 exec_lo, exec_lo, s2
	s_waitcnt lgkmcnt(0)
	s_waitcnt_vscnt null, 0x0
	s_barrier
	buffer_gl0_inv
	s_clause 0x7
	scratch_load_b128 v[2:5], off, off offset:176
	scratch_load_b128 v[6:9], off, off offset:192
	;; [unrolled: 1-line block ×8, first 2 shown]
	v_mov_b32_e32 v1, 0
	s_clause 0x1
	scratch_load_b128 v[34:37], off, off offset:304
	scratch_load_b128 v[173:176], off, off offset:320
	s_mov_b32 s2, exec_lo
	ds_load_b128 v[38:41], v1 offset:848
	ds_load_b128 v[169:172], v1 offset:864
	s_waitcnt vmcnt(9) lgkmcnt(1)
	v_mul_f64 v[177:178], v[40:41], v[4:5]
	v_mul_f64 v[4:5], v[38:39], v[4:5]
	s_waitcnt vmcnt(8) lgkmcnt(0)
	v_mul_f64 v[179:180], v[169:170], v[8:9]
	v_mul_f64 v[8:9], v[171:172], v[8:9]
	s_delay_alu instid0(VALU_DEP_4) | instskip(NEXT) | instid1(VALU_DEP_4)
	v_fma_f64 v[177:178], v[38:39], v[2:3], -v[177:178]
	v_fma_f64 v[181:182], v[40:41], v[2:3], v[4:5]
	ds_load_b128 v[2:5], v1 offset:880
	scratch_load_b128 v[38:41], off, off offset:336
	v_fma_f64 v[179:180], v[171:172], v[6:7], v[179:180]
	v_fma_f64 v[185:186], v[169:170], v[6:7], -v[8:9]
	scratch_load_b128 v[169:172], off, off offset:352
	ds_load_b128 v[6:9], v1 offset:896
	s_waitcnt vmcnt(9) lgkmcnt(1)
	v_mul_f64 v[183:184], v[2:3], v[12:13]
	v_mul_f64 v[12:13], v[4:5], v[12:13]
	s_waitcnt vmcnt(8) lgkmcnt(0)
	v_mul_f64 v[187:188], v[6:7], v[16:17]
	v_mul_f64 v[16:17], v[8:9], v[16:17]
	v_add_f64 v[177:178], v[177:178], 0
	v_add_f64 v[181:182], v[181:182], 0
	v_fma_f64 v[183:184], v[4:5], v[10:11], v[183:184]
	v_fma_f64 v[189:190], v[2:3], v[10:11], -v[12:13]
	ds_load_b128 v[2:5], v1 offset:912
	scratch_load_b128 v[10:13], off, off offset:368
	v_add_f64 v[177:178], v[177:178], v[185:186]
	v_add_f64 v[179:180], v[181:182], v[179:180]
	v_fma_f64 v[185:186], v[8:9], v[14:15], v[187:188]
	v_fma_f64 v[187:188], v[6:7], v[14:15], -v[16:17]
	scratch_load_b128 v[14:17], off, off offset:384
	ds_load_b128 v[6:9], v1 offset:928
	s_waitcnt vmcnt(9) lgkmcnt(1)
	v_mul_f64 v[181:182], v[2:3], v[20:21]
	v_mul_f64 v[20:21], v[4:5], v[20:21]
	v_add_f64 v[177:178], v[177:178], v[189:190]
	v_add_f64 v[179:180], v[179:180], v[183:184]
	s_waitcnt vmcnt(8) lgkmcnt(0)
	v_mul_f64 v[183:184], v[6:7], v[24:25]
	v_mul_f64 v[24:25], v[8:9], v[24:25]
	v_fma_f64 v[181:182], v[4:5], v[18:19], v[181:182]
	v_fma_f64 v[189:190], v[2:3], v[18:19], -v[20:21]
	ds_load_b128 v[2:5], v1 offset:944
	scratch_load_b128 v[18:21], off, off offset:400
	v_add_f64 v[177:178], v[177:178], v[187:188]
	v_add_f64 v[179:180], v[179:180], v[185:186]
	v_fma_f64 v[183:184], v[8:9], v[22:23], v[183:184]
	v_fma_f64 v[187:188], v[6:7], v[22:23], -v[24:25]
	scratch_load_b128 v[22:25], off, off offset:416
	ds_load_b128 v[6:9], v1 offset:960
	s_waitcnt vmcnt(9) lgkmcnt(1)
	v_mul_f64 v[185:186], v[2:3], v[28:29]
	v_mul_f64 v[28:29], v[4:5], v[28:29]
	v_add_f64 v[177:178], v[177:178], v[189:190]
	v_add_f64 v[179:180], v[179:180], v[181:182]
	s_waitcnt vmcnt(8) lgkmcnt(0)
	v_mul_f64 v[181:182], v[6:7], v[32:33]
	v_mul_f64 v[32:33], v[8:9], v[32:33]
	;; [unrolled: 18-line block ×6, first 2 shown]
	v_fma_f64 v[183:184], v[4:5], v[18:19], v[183:184]
	v_fma_f64 v[189:190], v[2:3], v[18:19], -v[20:21]
	ds_load_b128 v[2:5], v1 offset:1104
	scratch_load_b128 v[18:21], off, off offset:560
	v_add_f64 v[177:178], v[177:178], v[187:188]
	v_add_f64 v[179:180], v[179:180], v[181:182]
	v_fma_f64 v[185:186], v[8:9], v[22:23], v[185:186]
	v_fma_f64 v[187:188], v[6:7], v[22:23], -v[24:25]
	ds_load_b128 v[6:9], v1 offset:1120
	s_waitcnt vmcnt(8) lgkmcnt(1)
	v_mul_f64 v[181:182], v[2:3], v[28:29]
	v_mul_f64 v[28:29], v[4:5], v[28:29]
	scratch_load_b128 v[22:25], off, off offset:576
	v_add_f64 v[177:178], v[177:178], v[189:190]
	v_add_f64 v[179:180], v[179:180], v[183:184]
	s_waitcnt vmcnt(8) lgkmcnt(0)
	v_mul_f64 v[183:184], v[6:7], v[32:33]
	v_mul_f64 v[32:33], v[8:9], v[32:33]
	v_fma_f64 v[181:182], v[4:5], v[26:27], v[181:182]
	v_fma_f64 v[189:190], v[2:3], v[26:27], -v[28:29]
	scratch_load_b128 v[26:29], off, off offset:592
	ds_load_b128 v[2:5], v1 offset:1136
	v_add_f64 v[177:178], v[177:178], v[187:188]
	v_add_f64 v[179:180], v[179:180], v[185:186]
	v_fma_f64 v[183:184], v[8:9], v[30:31], v[183:184]
	v_fma_f64 v[187:188], v[6:7], v[30:31], -v[32:33]
	ds_load_b128 v[6:9], v1 offset:1152
	s_waitcnt vmcnt(8) lgkmcnt(1)
	v_mul_f64 v[185:186], v[2:3], v[36:37]
	v_mul_f64 v[36:37], v[4:5], v[36:37]
	scratch_load_b128 v[30:33], off, off offset:608
	v_add_f64 v[177:178], v[177:178], v[189:190]
	v_add_f64 v[179:180], v[179:180], v[181:182]
	s_waitcnt vmcnt(8) lgkmcnt(0)
	v_mul_f64 v[181:182], v[6:7], v[175:176]
	v_mul_f64 v[175:176], v[8:9], v[175:176]
	v_fma_f64 v[185:186], v[4:5], v[34:35], v[185:186]
	v_fma_f64 v[189:190], v[2:3], v[34:35], -v[36:37]
	scratch_load_b128 v[34:37], off, off offset:624
	ds_load_b128 v[2:5], v1 offset:1168
	v_add_f64 v[177:178], v[177:178], v[187:188]
	v_add_f64 v[179:180], v[179:180], v[183:184]
	v_fma_f64 v[181:182], v[8:9], v[173:174], v[181:182]
	v_fma_f64 v[187:188], v[6:7], v[173:174], -v[175:176]
	ds_load_b128 v[6:9], v1 offset:1184
	s_waitcnt vmcnt(8) lgkmcnt(1)
	v_mul_f64 v[183:184], v[2:3], v[40:41]
	v_mul_f64 v[40:41], v[4:5], v[40:41]
	scratch_load_b128 v[173:176], off, off offset:640
	v_add_f64 v[177:178], v[177:178], v[189:190]
	v_add_f64 v[179:180], v[179:180], v[185:186]
	s_waitcnt vmcnt(8) lgkmcnt(0)
	v_mul_f64 v[185:186], v[6:7], v[171:172]
	v_mul_f64 v[171:172], v[8:9], v[171:172]
	v_fma_f64 v[183:184], v[4:5], v[38:39], v[183:184]
	v_fma_f64 v[189:190], v[2:3], v[38:39], -v[40:41]
	scratch_load_b128 v[38:41], off, off offset:656
	ds_load_b128 v[2:5], v1 offset:1200
	v_add_f64 v[177:178], v[177:178], v[187:188]
	v_add_f64 v[179:180], v[179:180], v[181:182]
	v_fma_f64 v[185:186], v[8:9], v[169:170], v[185:186]
	v_fma_f64 v[169:170], v[6:7], v[169:170], -v[171:172]
	ds_load_b128 v[6:9], v1 offset:1216
	s_waitcnt vmcnt(8) lgkmcnt(1)
	v_mul_f64 v[181:182], v[2:3], v[12:13]
	v_mul_f64 v[12:13], v[4:5], v[12:13]
	v_add_f64 v[171:172], v[177:178], v[189:190]
	v_add_f64 v[177:178], v[179:180], v[183:184]
	s_waitcnt vmcnt(7) lgkmcnt(0)
	v_mul_f64 v[179:180], v[6:7], v[16:17]
	v_mul_f64 v[16:17], v[8:9], v[16:17]
	v_fma_f64 v[181:182], v[4:5], v[10:11], v[181:182]
	v_fma_f64 v[10:11], v[2:3], v[10:11], -v[12:13]
	ds_load_b128 v[2:5], v1 offset:1232
	v_add_f64 v[12:13], v[171:172], v[169:170]
	v_add_f64 v[169:170], v[177:178], v[185:186]
	v_fma_f64 v[177:178], v[8:9], v[14:15], v[179:180]
	v_fma_f64 v[14:15], v[6:7], v[14:15], -v[16:17]
	ds_load_b128 v[6:9], v1 offset:1248
	s_waitcnt vmcnt(5) lgkmcnt(0)
	v_mul_f64 v[179:180], v[6:7], v[24:25]
	v_mul_f64 v[24:25], v[8:9], v[24:25]
	v_add_f64 v[16:17], v[12:13], v[10:11]
	v_add_f64 v[169:170], v[169:170], v[181:182]
	scratch_load_b128 v[10:13], off, off offset:160
	v_mul_f64 v[171:172], v[2:3], v[20:21]
	v_mul_f64 v[20:21], v[4:5], v[20:21]
	v_add_f64 v[14:15], v[16:17], v[14:15]
	v_add_f64 v[16:17], v[169:170], v[177:178]
	v_fma_f64 v[169:170], v[8:9], v[22:23], v[179:180]
	v_fma_f64 v[171:172], v[4:5], v[18:19], v[171:172]
	v_fma_f64 v[18:19], v[2:3], v[18:19], -v[20:21]
	ds_load_b128 v[2:5], v1 offset:1264
	v_fma_f64 v[22:23], v[6:7], v[22:23], -v[24:25]
	ds_load_b128 v[6:9], v1 offset:1280
	s_waitcnt vmcnt(5) lgkmcnt(1)
	v_mul_f64 v[20:21], v[2:3], v[28:29]
	v_mul_f64 v[28:29], v[4:5], v[28:29]
	s_waitcnt vmcnt(4) lgkmcnt(0)
	v_mul_f64 v[24:25], v[8:9], v[32:33]
	v_add_f64 v[16:17], v[16:17], v[171:172]
	v_add_f64 v[14:15], v[14:15], v[18:19]
	v_mul_f64 v[18:19], v[6:7], v[32:33]
	v_fma_f64 v[20:21], v[4:5], v[26:27], v[20:21]
	v_fma_f64 v[26:27], v[2:3], v[26:27], -v[28:29]
	ds_load_b128 v[2:5], v1 offset:1296
	v_fma_f64 v[24:25], v[6:7], v[30:31], -v[24:25]
	v_add_f64 v[16:17], v[16:17], v[169:170]
	v_add_f64 v[14:15], v[14:15], v[22:23]
	v_fma_f64 v[18:19], v[8:9], v[30:31], v[18:19]
	ds_load_b128 v[6:9], v1 offset:1312
	s_waitcnt vmcnt(3) lgkmcnt(1)
	v_mul_f64 v[22:23], v[2:3], v[36:37]
	v_mul_f64 v[28:29], v[4:5], v[36:37]
	v_add_f64 v[16:17], v[16:17], v[20:21]
	v_add_f64 v[14:15], v[14:15], v[26:27]
	s_waitcnt vmcnt(2) lgkmcnt(0)
	v_mul_f64 v[20:21], v[6:7], v[175:176]
	v_mul_f64 v[26:27], v[8:9], v[175:176]
	v_fma_f64 v[22:23], v[4:5], v[34:35], v[22:23]
	v_fma_f64 v[28:29], v[2:3], v[34:35], -v[28:29]
	ds_load_b128 v[2:5], v1 offset:1328
	v_add_f64 v[16:17], v[16:17], v[18:19]
	v_add_f64 v[14:15], v[14:15], v[24:25]
	s_waitcnt vmcnt(1) lgkmcnt(0)
	v_mul_f64 v[18:19], v[2:3], v[40:41]
	v_mul_f64 v[24:25], v[4:5], v[40:41]
	v_fma_f64 v[8:9], v[8:9], v[173:174], v[20:21]
	v_fma_f64 v[6:7], v[6:7], v[173:174], -v[26:27]
	v_add_f64 v[16:17], v[16:17], v[22:23]
	v_add_f64 v[14:15], v[14:15], v[28:29]
	v_fma_f64 v[4:5], v[4:5], v[38:39], v[18:19]
	v_fma_f64 v[2:3], v[2:3], v[38:39], -v[24:25]
	s_delay_alu instid0(VALU_DEP_4) | instskip(NEXT) | instid1(VALU_DEP_4)
	v_add_f64 v[8:9], v[16:17], v[8:9]
	v_add_f64 v[6:7], v[14:15], v[6:7]
	s_delay_alu instid0(VALU_DEP_2) | instskip(NEXT) | instid1(VALU_DEP_2)
	v_add_f64 v[4:5], v[8:9], v[4:5]
	v_add_f64 v[2:3], v[6:7], v[2:3]
	s_waitcnt vmcnt(0)
	s_delay_alu instid0(VALU_DEP_2) | instskip(NEXT) | instid1(VALU_DEP_2)
	v_add_f64 v[4:5], v[12:13], -v[4:5]
	v_add_f64 v[2:3], v[10:11], -v[2:3]
	scratch_store_b128 off, v[2:5], off offset:160
	v_cmpx_lt_u32_e32 9, v126
	s_cbranch_execz .LBB41_247
; %bb.246:
	scratch_load_b128 v[5:8], v163, off
	v_mov_b32_e32 v2, v1
	v_mov_b32_e32 v3, v1
	;; [unrolled: 1-line block ×3, first 2 shown]
	scratch_store_b128 off, v[1:4], off offset:144
	s_waitcnt vmcnt(0)
	ds_store_b128 v168, v[5:8]
.LBB41_247:
	s_or_b32 exec_lo, exec_lo, s2
	s_waitcnt lgkmcnt(0)
	s_waitcnt_vscnt null, 0x0
	s_barrier
	buffer_gl0_inv
	s_clause 0x7
	scratch_load_b128 v[2:5], off, off offset:160
	scratch_load_b128 v[6:9], off, off offset:176
	;; [unrolled: 1-line block ×8, first 2 shown]
	ds_load_b128 v[38:41], v1 offset:832
	ds_load_b128 v[169:172], v1 offset:848
	s_clause 0x1
	scratch_load_b128 v[34:37], off, off offset:288
	scratch_load_b128 v[173:176], off, off offset:304
	s_mov_b32 s2, exec_lo
	s_waitcnt vmcnt(9) lgkmcnt(1)
	v_mul_f64 v[177:178], v[40:41], v[4:5]
	v_mul_f64 v[4:5], v[38:39], v[4:5]
	s_waitcnt vmcnt(8) lgkmcnt(0)
	v_mul_f64 v[179:180], v[169:170], v[8:9]
	v_mul_f64 v[8:9], v[171:172], v[8:9]
	s_delay_alu instid0(VALU_DEP_4) | instskip(NEXT) | instid1(VALU_DEP_4)
	v_fma_f64 v[177:178], v[38:39], v[2:3], -v[177:178]
	v_fma_f64 v[181:182], v[40:41], v[2:3], v[4:5]
	ds_load_b128 v[2:5], v1 offset:864
	scratch_load_b128 v[38:41], off, off offset:320
	v_fma_f64 v[179:180], v[171:172], v[6:7], v[179:180]
	v_fma_f64 v[185:186], v[169:170], v[6:7], -v[8:9]
	scratch_load_b128 v[169:172], off, off offset:336
	ds_load_b128 v[6:9], v1 offset:880
	s_waitcnt vmcnt(9) lgkmcnt(1)
	v_mul_f64 v[183:184], v[2:3], v[12:13]
	v_mul_f64 v[12:13], v[4:5], v[12:13]
	s_waitcnt vmcnt(8) lgkmcnt(0)
	v_mul_f64 v[187:188], v[6:7], v[16:17]
	v_mul_f64 v[16:17], v[8:9], v[16:17]
	v_add_f64 v[177:178], v[177:178], 0
	v_add_f64 v[181:182], v[181:182], 0
	v_fma_f64 v[183:184], v[4:5], v[10:11], v[183:184]
	v_fma_f64 v[189:190], v[2:3], v[10:11], -v[12:13]
	ds_load_b128 v[2:5], v1 offset:896
	scratch_load_b128 v[10:13], off, off offset:352
	v_add_f64 v[177:178], v[177:178], v[185:186]
	v_add_f64 v[179:180], v[181:182], v[179:180]
	v_fma_f64 v[185:186], v[8:9], v[14:15], v[187:188]
	v_fma_f64 v[187:188], v[6:7], v[14:15], -v[16:17]
	scratch_load_b128 v[14:17], off, off offset:368
	ds_load_b128 v[6:9], v1 offset:912
	s_waitcnt vmcnt(9) lgkmcnt(1)
	v_mul_f64 v[181:182], v[2:3], v[20:21]
	v_mul_f64 v[20:21], v[4:5], v[20:21]
	v_add_f64 v[177:178], v[177:178], v[189:190]
	v_add_f64 v[179:180], v[179:180], v[183:184]
	s_waitcnt vmcnt(8) lgkmcnt(0)
	v_mul_f64 v[183:184], v[6:7], v[24:25]
	v_mul_f64 v[24:25], v[8:9], v[24:25]
	v_fma_f64 v[181:182], v[4:5], v[18:19], v[181:182]
	v_fma_f64 v[189:190], v[2:3], v[18:19], -v[20:21]
	ds_load_b128 v[2:5], v1 offset:928
	scratch_load_b128 v[18:21], off, off offset:384
	v_add_f64 v[177:178], v[177:178], v[187:188]
	v_add_f64 v[179:180], v[179:180], v[185:186]
	v_fma_f64 v[183:184], v[8:9], v[22:23], v[183:184]
	v_fma_f64 v[187:188], v[6:7], v[22:23], -v[24:25]
	scratch_load_b128 v[22:25], off, off offset:400
	ds_load_b128 v[6:9], v1 offset:944
	s_waitcnt vmcnt(9) lgkmcnt(1)
	v_mul_f64 v[185:186], v[2:3], v[28:29]
	v_mul_f64 v[28:29], v[4:5], v[28:29]
	v_add_f64 v[177:178], v[177:178], v[189:190]
	v_add_f64 v[179:180], v[179:180], v[181:182]
	s_waitcnt vmcnt(8) lgkmcnt(0)
	v_mul_f64 v[181:182], v[6:7], v[32:33]
	v_mul_f64 v[32:33], v[8:9], v[32:33]
	;; [unrolled: 18-line block ×6, first 2 shown]
	v_fma_f64 v[183:184], v[4:5], v[18:19], v[183:184]
	v_fma_f64 v[189:190], v[2:3], v[18:19], -v[20:21]
	ds_load_b128 v[2:5], v1 offset:1088
	scratch_load_b128 v[18:21], off, off offset:544
	v_add_f64 v[177:178], v[177:178], v[187:188]
	v_add_f64 v[179:180], v[179:180], v[181:182]
	v_fma_f64 v[185:186], v[8:9], v[22:23], v[185:186]
	v_fma_f64 v[187:188], v[6:7], v[22:23], -v[24:25]
	ds_load_b128 v[6:9], v1 offset:1104
	s_waitcnt vmcnt(8) lgkmcnt(1)
	v_mul_f64 v[181:182], v[2:3], v[28:29]
	v_mul_f64 v[28:29], v[4:5], v[28:29]
	scratch_load_b128 v[22:25], off, off offset:560
	v_add_f64 v[177:178], v[177:178], v[189:190]
	v_add_f64 v[179:180], v[179:180], v[183:184]
	s_waitcnt vmcnt(8) lgkmcnt(0)
	v_mul_f64 v[183:184], v[6:7], v[32:33]
	v_mul_f64 v[32:33], v[8:9], v[32:33]
	v_fma_f64 v[181:182], v[4:5], v[26:27], v[181:182]
	v_fma_f64 v[189:190], v[2:3], v[26:27], -v[28:29]
	ds_load_b128 v[2:5], v1 offset:1120
	scratch_load_b128 v[26:29], off, off offset:576
	v_add_f64 v[177:178], v[177:178], v[187:188]
	v_add_f64 v[179:180], v[179:180], v[185:186]
	v_fma_f64 v[183:184], v[8:9], v[30:31], v[183:184]
	v_fma_f64 v[187:188], v[6:7], v[30:31], -v[32:33]
	ds_load_b128 v[6:9], v1 offset:1136
	s_waitcnt vmcnt(8) lgkmcnt(1)
	v_mul_f64 v[185:186], v[2:3], v[36:37]
	v_mul_f64 v[36:37], v[4:5], v[36:37]
	scratch_load_b128 v[30:33], off, off offset:592
	v_add_f64 v[177:178], v[177:178], v[189:190]
	v_add_f64 v[179:180], v[179:180], v[181:182]
	s_waitcnt vmcnt(8) lgkmcnt(0)
	v_mul_f64 v[181:182], v[6:7], v[175:176]
	v_mul_f64 v[175:176], v[8:9], v[175:176]
	v_fma_f64 v[185:186], v[4:5], v[34:35], v[185:186]
	v_fma_f64 v[189:190], v[2:3], v[34:35], -v[36:37]
	scratch_load_b128 v[34:37], off, off offset:608
	ds_load_b128 v[2:5], v1 offset:1152
	v_add_f64 v[177:178], v[177:178], v[187:188]
	v_add_f64 v[179:180], v[179:180], v[183:184]
	v_fma_f64 v[181:182], v[8:9], v[173:174], v[181:182]
	v_fma_f64 v[187:188], v[6:7], v[173:174], -v[175:176]
	ds_load_b128 v[6:9], v1 offset:1168
	s_waitcnt vmcnt(8) lgkmcnt(1)
	v_mul_f64 v[183:184], v[2:3], v[40:41]
	v_mul_f64 v[40:41], v[4:5], v[40:41]
	scratch_load_b128 v[173:176], off, off offset:624
	v_add_f64 v[177:178], v[177:178], v[189:190]
	v_add_f64 v[179:180], v[179:180], v[185:186]
	s_waitcnt vmcnt(8) lgkmcnt(0)
	v_mul_f64 v[185:186], v[6:7], v[171:172]
	v_mul_f64 v[171:172], v[8:9], v[171:172]
	v_fma_f64 v[183:184], v[4:5], v[38:39], v[183:184]
	v_fma_f64 v[189:190], v[2:3], v[38:39], -v[40:41]
	scratch_load_b128 v[38:41], off, off offset:640
	ds_load_b128 v[2:5], v1 offset:1184
	v_add_f64 v[177:178], v[177:178], v[187:188]
	v_add_f64 v[179:180], v[179:180], v[181:182]
	v_fma_f64 v[185:186], v[8:9], v[169:170], v[185:186]
	v_fma_f64 v[187:188], v[6:7], v[169:170], -v[171:172]
	ds_load_b128 v[6:9], v1 offset:1200
	s_waitcnt vmcnt(8) lgkmcnt(1)
	v_mul_f64 v[181:182], v[2:3], v[12:13]
	v_mul_f64 v[12:13], v[4:5], v[12:13]
	scratch_load_b128 v[169:172], off, off offset:656
	v_add_f64 v[177:178], v[177:178], v[189:190]
	v_add_f64 v[179:180], v[179:180], v[183:184]
	s_waitcnt vmcnt(8) lgkmcnt(0)
	v_mul_f64 v[183:184], v[6:7], v[16:17]
	v_mul_f64 v[16:17], v[8:9], v[16:17]
	v_fma_f64 v[181:182], v[4:5], v[10:11], v[181:182]
	v_fma_f64 v[10:11], v[2:3], v[10:11], -v[12:13]
	ds_load_b128 v[2:5], v1 offset:1216
	v_add_f64 v[12:13], v[177:178], v[187:188]
	v_add_f64 v[177:178], v[179:180], v[185:186]
	v_fma_f64 v[183:184], v[8:9], v[14:15], v[183:184]
	v_fma_f64 v[14:15], v[6:7], v[14:15], -v[16:17]
	ds_load_b128 v[6:9], v1 offset:1232
	s_waitcnt vmcnt(7) lgkmcnt(1)
	v_mul_f64 v[179:180], v[2:3], v[20:21]
	v_mul_f64 v[20:21], v[4:5], v[20:21]
	v_add_f64 v[10:11], v[12:13], v[10:11]
	v_add_f64 v[12:13], v[177:178], v[181:182]
	s_delay_alu instid0(VALU_DEP_4) | instskip(NEXT) | instid1(VALU_DEP_4)
	v_fma_f64 v[177:178], v[4:5], v[18:19], v[179:180]
	v_fma_f64 v[18:19], v[2:3], v[18:19], -v[20:21]
	ds_load_b128 v[2:5], v1 offset:1248
	v_add_f64 v[14:15], v[10:11], v[14:15]
	v_add_f64 v[20:21], v[12:13], v[183:184]
	scratch_load_b128 v[10:13], off, off offset:144
	s_waitcnt vmcnt(7) lgkmcnt(1)
	v_mul_f64 v[16:17], v[6:7], v[24:25]
	v_mul_f64 v[24:25], v[8:9], v[24:25]
	v_add_f64 v[14:15], v[14:15], v[18:19]
	v_add_f64 v[18:19], v[20:21], v[177:178]
	s_delay_alu instid0(VALU_DEP_4) | instskip(NEXT) | instid1(VALU_DEP_4)
	v_fma_f64 v[16:17], v[8:9], v[22:23], v[16:17]
	v_fma_f64 v[22:23], v[6:7], v[22:23], -v[24:25]
	ds_load_b128 v[6:9], v1 offset:1264
	s_waitcnt vmcnt(6) lgkmcnt(1)
	v_mul_f64 v[179:180], v[2:3], v[28:29]
	v_mul_f64 v[28:29], v[4:5], v[28:29]
	s_waitcnt vmcnt(5) lgkmcnt(0)
	v_mul_f64 v[20:21], v[6:7], v[32:33]
	v_mul_f64 v[24:25], v[8:9], v[32:33]
	v_add_f64 v[16:17], v[18:19], v[16:17]
	v_add_f64 v[14:15], v[14:15], v[22:23]
	v_fma_f64 v[32:33], v[4:5], v[26:27], v[179:180]
	v_fma_f64 v[26:27], v[2:3], v[26:27], -v[28:29]
	ds_load_b128 v[2:5], v1 offset:1280
	v_fma_f64 v[20:21], v[8:9], v[30:31], v[20:21]
	v_fma_f64 v[24:25], v[6:7], v[30:31], -v[24:25]
	ds_load_b128 v[6:9], v1 offset:1296
	s_waitcnt vmcnt(4) lgkmcnt(1)
	v_mul_f64 v[18:19], v[2:3], v[36:37]
	v_mul_f64 v[22:23], v[4:5], v[36:37]
	v_add_f64 v[16:17], v[16:17], v[32:33]
	v_add_f64 v[14:15], v[14:15], v[26:27]
	s_waitcnt vmcnt(3) lgkmcnt(0)
	v_mul_f64 v[26:27], v[6:7], v[175:176]
	v_mul_f64 v[28:29], v[8:9], v[175:176]
	v_fma_f64 v[18:19], v[4:5], v[34:35], v[18:19]
	v_fma_f64 v[22:23], v[2:3], v[34:35], -v[22:23]
	ds_load_b128 v[2:5], v1 offset:1312
	v_add_f64 v[16:17], v[16:17], v[20:21]
	v_add_f64 v[14:15], v[14:15], v[24:25]
	v_fma_f64 v[26:27], v[8:9], v[173:174], v[26:27]
	v_fma_f64 v[28:29], v[6:7], v[173:174], -v[28:29]
	ds_load_b128 v[6:9], v1 offset:1328
	s_waitcnt vmcnt(2) lgkmcnt(1)
	v_mul_f64 v[20:21], v[2:3], v[40:41]
	v_mul_f64 v[24:25], v[4:5], v[40:41]
	v_add_f64 v[16:17], v[16:17], v[18:19]
	v_add_f64 v[14:15], v[14:15], v[22:23]
	s_waitcnt vmcnt(1) lgkmcnt(0)
	v_mul_f64 v[18:19], v[6:7], v[171:172]
	v_mul_f64 v[22:23], v[8:9], v[171:172]
	v_fma_f64 v[4:5], v[4:5], v[38:39], v[20:21]
	v_fma_f64 v[1:2], v[2:3], v[38:39], -v[24:25]
	v_add_f64 v[16:17], v[16:17], v[26:27]
	v_add_f64 v[14:15], v[14:15], v[28:29]
	v_fma_f64 v[8:9], v[8:9], v[169:170], v[18:19]
	v_fma_f64 v[6:7], v[6:7], v[169:170], -v[22:23]
	s_delay_alu instid0(VALU_DEP_4) | instskip(NEXT) | instid1(VALU_DEP_4)
	v_add_f64 v[3:4], v[16:17], v[4:5]
	v_add_f64 v[1:2], v[14:15], v[1:2]
	s_delay_alu instid0(VALU_DEP_2) | instskip(NEXT) | instid1(VALU_DEP_2)
	v_add_f64 v[3:4], v[3:4], v[8:9]
	v_add_f64 v[1:2], v[1:2], v[6:7]
	s_waitcnt vmcnt(0)
	s_delay_alu instid0(VALU_DEP_2) | instskip(NEXT) | instid1(VALU_DEP_2)
	v_add_f64 v[3:4], v[12:13], -v[3:4]
	v_add_f64 v[1:2], v[10:11], -v[1:2]
	scratch_store_b128 off, v[1:4], off offset:144
	v_cmpx_lt_u32_e32 8, v126
	s_cbranch_execz .LBB41_249
; %bb.248:
	scratch_load_b128 v[1:4], v164, off
	v_mov_b32_e32 v5, 0
	s_delay_alu instid0(VALU_DEP_1)
	v_mov_b32_e32 v6, v5
	v_mov_b32_e32 v7, v5
	;; [unrolled: 1-line block ×3, first 2 shown]
	scratch_store_b128 off, v[5:8], off offset:128
	s_waitcnt vmcnt(0)
	ds_store_b128 v168, v[1:4]
.LBB41_249:
	s_or_b32 exec_lo, exec_lo, s2
	s_waitcnt lgkmcnt(0)
	s_waitcnt_vscnt null, 0x0
	s_barrier
	buffer_gl0_inv
	s_clause 0x7
	scratch_load_b128 v[2:5], off, off offset:144
	scratch_load_b128 v[6:9], off, off offset:160
	;; [unrolled: 1-line block ×8, first 2 shown]
	v_mov_b32_e32 v1, 0
	s_clause 0x1
	scratch_load_b128 v[34:37], off, off offset:272
	scratch_load_b128 v[173:176], off, off offset:288
	s_mov_b32 s2, exec_lo
	ds_load_b128 v[38:41], v1 offset:816
	ds_load_b128 v[169:172], v1 offset:832
	s_waitcnt vmcnt(9) lgkmcnt(1)
	v_mul_f64 v[177:178], v[40:41], v[4:5]
	v_mul_f64 v[4:5], v[38:39], v[4:5]
	s_waitcnt vmcnt(8) lgkmcnt(0)
	v_mul_f64 v[179:180], v[169:170], v[8:9]
	v_mul_f64 v[8:9], v[171:172], v[8:9]
	s_delay_alu instid0(VALU_DEP_4) | instskip(NEXT) | instid1(VALU_DEP_4)
	v_fma_f64 v[177:178], v[38:39], v[2:3], -v[177:178]
	v_fma_f64 v[181:182], v[40:41], v[2:3], v[4:5]
	ds_load_b128 v[2:5], v1 offset:848
	scratch_load_b128 v[38:41], off, off offset:304
	v_fma_f64 v[179:180], v[171:172], v[6:7], v[179:180]
	v_fma_f64 v[185:186], v[169:170], v[6:7], -v[8:9]
	scratch_load_b128 v[169:172], off, off offset:320
	ds_load_b128 v[6:9], v1 offset:864
	s_waitcnt vmcnt(9) lgkmcnt(1)
	v_mul_f64 v[183:184], v[2:3], v[12:13]
	v_mul_f64 v[12:13], v[4:5], v[12:13]
	s_waitcnt vmcnt(8) lgkmcnt(0)
	v_mul_f64 v[187:188], v[6:7], v[16:17]
	v_mul_f64 v[16:17], v[8:9], v[16:17]
	v_add_f64 v[177:178], v[177:178], 0
	v_add_f64 v[181:182], v[181:182], 0
	v_fma_f64 v[183:184], v[4:5], v[10:11], v[183:184]
	v_fma_f64 v[189:190], v[2:3], v[10:11], -v[12:13]
	ds_load_b128 v[2:5], v1 offset:880
	scratch_load_b128 v[10:13], off, off offset:336
	v_add_f64 v[177:178], v[177:178], v[185:186]
	v_add_f64 v[179:180], v[181:182], v[179:180]
	v_fma_f64 v[185:186], v[8:9], v[14:15], v[187:188]
	v_fma_f64 v[187:188], v[6:7], v[14:15], -v[16:17]
	scratch_load_b128 v[14:17], off, off offset:352
	ds_load_b128 v[6:9], v1 offset:896
	s_waitcnt vmcnt(9) lgkmcnt(1)
	v_mul_f64 v[181:182], v[2:3], v[20:21]
	v_mul_f64 v[20:21], v[4:5], v[20:21]
	v_add_f64 v[177:178], v[177:178], v[189:190]
	v_add_f64 v[179:180], v[179:180], v[183:184]
	s_waitcnt vmcnt(8) lgkmcnt(0)
	v_mul_f64 v[183:184], v[6:7], v[24:25]
	v_mul_f64 v[24:25], v[8:9], v[24:25]
	v_fma_f64 v[181:182], v[4:5], v[18:19], v[181:182]
	v_fma_f64 v[189:190], v[2:3], v[18:19], -v[20:21]
	ds_load_b128 v[2:5], v1 offset:912
	scratch_load_b128 v[18:21], off, off offset:368
	v_add_f64 v[177:178], v[177:178], v[187:188]
	v_add_f64 v[179:180], v[179:180], v[185:186]
	v_fma_f64 v[183:184], v[8:9], v[22:23], v[183:184]
	v_fma_f64 v[187:188], v[6:7], v[22:23], -v[24:25]
	scratch_load_b128 v[22:25], off, off offset:384
	ds_load_b128 v[6:9], v1 offset:928
	s_waitcnt vmcnt(9) lgkmcnt(1)
	v_mul_f64 v[185:186], v[2:3], v[28:29]
	v_mul_f64 v[28:29], v[4:5], v[28:29]
	v_add_f64 v[177:178], v[177:178], v[189:190]
	v_add_f64 v[179:180], v[179:180], v[181:182]
	s_waitcnt vmcnt(8) lgkmcnt(0)
	v_mul_f64 v[181:182], v[6:7], v[32:33]
	v_mul_f64 v[32:33], v[8:9], v[32:33]
	;; [unrolled: 18-line block ×7, first 2 shown]
	v_fma_f64 v[181:182], v[4:5], v[26:27], v[181:182]
	v_fma_f64 v[189:190], v[2:3], v[26:27], -v[28:29]
	ds_load_b128 v[2:5], v1 offset:1104
	scratch_load_b128 v[26:29], off, off offset:560
	v_add_f64 v[177:178], v[177:178], v[187:188]
	v_add_f64 v[179:180], v[179:180], v[185:186]
	v_fma_f64 v[183:184], v[8:9], v[30:31], v[183:184]
	v_fma_f64 v[187:188], v[6:7], v[30:31], -v[32:33]
	ds_load_b128 v[6:9], v1 offset:1120
	s_waitcnt vmcnt(8) lgkmcnt(1)
	v_mul_f64 v[185:186], v[2:3], v[36:37]
	v_mul_f64 v[36:37], v[4:5], v[36:37]
	scratch_load_b128 v[30:33], off, off offset:576
	v_add_f64 v[177:178], v[177:178], v[189:190]
	v_add_f64 v[179:180], v[179:180], v[181:182]
	s_waitcnt vmcnt(8) lgkmcnt(0)
	v_mul_f64 v[181:182], v[6:7], v[175:176]
	v_mul_f64 v[175:176], v[8:9], v[175:176]
	v_fma_f64 v[185:186], v[4:5], v[34:35], v[185:186]
	v_fma_f64 v[189:190], v[2:3], v[34:35], -v[36:37]
	scratch_load_b128 v[34:37], off, off offset:592
	ds_load_b128 v[2:5], v1 offset:1136
	v_add_f64 v[177:178], v[177:178], v[187:188]
	v_add_f64 v[179:180], v[179:180], v[183:184]
	v_fma_f64 v[181:182], v[8:9], v[173:174], v[181:182]
	v_fma_f64 v[187:188], v[6:7], v[173:174], -v[175:176]
	ds_load_b128 v[6:9], v1 offset:1152
	s_waitcnt vmcnt(8) lgkmcnt(1)
	v_mul_f64 v[183:184], v[2:3], v[40:41]
	v_mul_f64 v[40:41], v[4:5], v[40:41]
	scratch_load_b128 v[173:176], off, off offset:608
	v_add_f64 v[177:178], v[177:178], v[189:190]
	v_add_f64 v[179:180], v[179:180], v[185:186]
	s_waitcnt vmcnt(8) lgkmcnt(0)
	v_mul_f64 v[185:186], v[6:7], v[171:172]
	v_mul_f64 v[171:172], v[8:9], v[171:172]
	v_fma_f64 v[183:184], v[4:5], v[38:39], v[183:184]
	v_fma_f64 v[189:190], v[2:3], v[38:39], -v[40:41]
	scratch_load_b128 v[38:41], off, off offset:624
	ds_load_b128 v[2:5], v1 offset:1168
	;; [unrolled: 18-line block ×3, first 2 shown]
	v_add_f64 v[177:178], v[177:178], v[187:188]
	v_add_f64 v[179:180], v[179:180], v[185:186]
	v_fma_f64 v[183:184], v[8:9], v[14:15], v[183:184]
	v_fma_f64 v[14:15], v[6:7], v[14:15], -v[16:17]
	ds_load_b128 v[6:9], v1 offset:1216
	s_waitcnt vmcnt(8) lgkmcnt(1)
	v_mul_f64 v[185:186], v[2:3], v[20:21]
	v_mul_f64 v[20:21], v[4:5], v[20:21]
	v_add_f64 v[16:17], v[177:178], v[189:190]
	v_add_f64 v[177:178], v[179:180], v[181:182]
	s_waitcnt vmcnt(7) lgkmcnt(0)
	v_mul_f64 v[179:180], v[6:7], v[24:25]
	v_mul_f64 v[24:25], v[8:9], v[24:25]
	v_fma_f64 v[181:182], v[4:5], v[18:19], v[185:186]
	v_fma_f64 v[18:19], v[2:3], v[18:19], -v[20:21]
	ds_load_b128 v[2:5], v1 offset:1232
	v_add_f64 v[14:15], v[16:17], v[14:15]
	v_add_f64 v[16:17], v[177:178], v[183:184]
	v_fma_f64 v[177:178], v[8:9], v[22:23], v[179:180]
	v_fma_f64 v[22:23], v[6:7], v[22:23], -v[24:25]
	ds_load_b128 v[6:9], v1 offset:1248
	s_waitcnt vmcnt(5) lgkmcnt(0)
	v_mul_f64 v[179:180], v[6:7], v[32:33]
	v_mul_f64 v[32:33], v[8:9], v[32:33]
	v_add_f64 v[18:19], v[14:15], v[18:19]
	v_add_f64 v[24:25], v[16:17], v[181:182]
	scratch_load_b128 v[14:17], off, off offset:128
	v_mul_f64 v[20:21], v[2:3], v[28:29]
	v_mul_f64 v[28:29], v[4:5], v[28:29]
	v_add_f64 v[18:19], v[18:19], v[22:23]
	v_add_f64 v[22:23], v[24:25], v[177:178]
	s_delay_alu instid0(VALU_DEP_4) | instskip(NEXT) | instid1(VALU_DEP_4)
	v_fma_f64 v[20:21], v[4:5], v[26:27], v[20:21]
	v_fma_f64 v[26:27], v[2:3], v[26:27], -v[28:29]
	ds_load_b128 v[2:5], v1 offset:1264
	s_waitcnt vmcnt(5) lgkmcnt(0)
	v_mul_f64 v[24:25], v[2:3], v[36:37]
	v_mul_f64 v[28:29], v[4:5], v[36:37]
	v_fma_f64 v[36:37], v[8:9], v[30:31], v[179:180]
	v_fma_f64 v[30:31], v[6:7], v[30:31], -v[32:33]
	ds_load_b128 v[6:9], v1 offset:1280
	v_add_f64 v[20:21], v[22:23], v[20:21]
	v_add_f64 v[18:19], v[18:19], v[26:27]
	v_fma_f64 v[24:25], v[4:5], v[34:35], v[24:25]
	v_fma_f64 v[28:29], v[2:3], v[34:35], -v[28:29]
	ds_load_b128 v[2:5], v1 offset:1296
	s_waitcnt vmcnt(4) lgkmcnt(1)
	v_mul_f64 v[22:23], v[6:7], v[175:176]
	v_mul_f64 v[26:27], v[8:9], v[175:176]
	v_add_f64 v[20:21], v[20:21], v[36:37]
	v_add_f64 v[18:19], v[18:19], v[30:31]
	s_waitcnt vmcnt(3) lgkmcnt(0)
	v_mul_f64 v[30:31], v[2:3], v[40:41]
	v_mul_f64 v[32:33], v[4:5], v[40:41]
	v_fma_f64 v[22:23], v[8:9], v[173:174], v[22:23]
	v_fma_f64 v[26:27], v[6:7], v[173:174], -v[26:27]
	ds_load_b128 v[6:9], v1 offset:1312
	v_add_f64 v[20:21], v[20:21], v[24:25]
	v_add_f64 v[18:19], v[18:19], v[28:29]
	v_fma_f64 v[30:31], v[4:5], v[38:39], v[30:31]
	v_fma_f64 v[32:33], v[2:3], v[38:39], -v[32:33]
	ds_load_b128 v[2:5], v1 offset:1328
	s_waitcnt vmcnt(2) lgkmcnt(1)
	v_mul_f64 v[24:25], v[6:7], v[171:172]
	v_mul_f64 v[28:29], v[8:9], v[171:172]
	v_add_f64 v[20:21], v[20:21], v[22:23]
	v_add_f64 v[18:19], v[18:19], v[26:27]
	s_waitcnt vmcnt(1) lgkmcnt(0)
	v_mul_f64 v[22:23], v[2:3], v[12:13]
	v_mul_f64 v[12:13], v[4:5], v[12:13]
	v_fma_f64 v[8:9], v[8:9], v[169:170], v[24:25]
	v_fma_f64 v[6:7], v[6:7], v[169:170], -v[28:29]
	v_add_f64 v[20:21], v[20:21], v[30:31]
	v_add_f64 v[18:19], v[18:19], v[32:33]
	v_fma_f64 v[4:5], v[4:5], v[10:11], v[22:23]
	v_fma_f64 v[2:3], v[2:3], v[10:11], -v[12:13]
	s_delay_alu instid0(VALU_DEP_4) | instskip(NEXT) | instid1(VALU_DEP_4)
	v_add_f64 v[8:9], v[20:21], v[8:9]
	v_add_f64 v[6:7], v[18:19], v[6:7]
	s_delay_alu instid0(VALU_DEP_2) | instskip(NEXT) | instid1(VALU_DEP_2)
	v_add_f64 v[4:5], v[8:9], v[4:5]
	v_add_f64 v[2:3], v[6:7], v[2:3]
	s_waitcnt vmcnt(0)
	s_delay_alu instid0(VALU_DEP_2) | instskip(NEXT) | instid1(VALU_DEP_2)
	v_add_f64 v[4:5], v[16:17], -v[4:5]
	v_add_f64 v[2:3], v[14:15], -v[2:3]
	scratch_store_b128 off, v[2:5], off offset:128
	v_cmpx_lt_u32_e32 7, v126
	s_cbranch_execz .LBB41_251
; %bb.250:
	scratch_load_b128 v[5:8], v166, off
	v_mov_b32_e32 v2, v1
	v_mov_b32_e32 v3, v1
	;; [unrolled: 1-line block ×3, first 2 shown]
	scratch_store_b128 off, v[1:4], off offset:112
	s_waitcnt vmcnt(0)
	ds_store_b128 v168, v[5:8]
.LBB41_251:
	s_or_b32 exec_lo, exec_lo, s2
	s_waitcnt lgkmcnt(0)
	s_waitcnt_vscnt null, 0x0
	s_barrier
	buffer_gl0_inv
	s_clause 0x7
	scratch_load_b128 v[2:5], off, off offset:128
	scratch_load_b128 v[6:9], off, off offset:144
	;; [unrolled: 1-line block ×8, first 2 shown]
	ds_load_b128 v[38:41], v1 offset:800
	ds_load_b128 v[169:172], v1 offset:816
	s_clause 0x1
	scratch_load_b128 v[34:37], off, off offset:256
	scratch_load_b128 v[173:176], off, off offset:272
	s_mov_b32 s2, exec_lo
	s_waitcnt vmcnt(9) lgkmcnt(1)
	v_mul_f64 v[177:178], v[40:41], v[4:5]
	v_mul_f64 v[4:5], v[38:39], v[4:5]
	s_waitcnt vmcnt(8) lgkmcnt(0)
	v_mul_f64 v[179:180], v[169:170], v[8:9]
	v_mul_f64 v[8:9], v[171:172], v[8:9]
	s_delay_alu instid0(VALU_DEP_4) | instskip(NEXT) | instid1(VALU_DEP_4)
	v_fma_f64 v[177:178], v[38:39], v[2:3], -v[177:178]
	v_fma_f64 v[181:182], v[40:41], v[2:3], v[4:5]
	ds_load_b128 v[2:5], v1 offset:832
	scratch_load_b128 v[38:41], off, off offset:288
	v_fma_f64 v[179:180], v[171:172], v[6:7], v[179:180]
	v_fma_f64 v[185:186], v[169:170], v[6:7], -v[8:9]
	scratch_load_b128 v[169:172], off, off offset:304
	ds_load_b128 v[6:9], v1 offset:848
	s_waitcnt vmcnt(9) lgkmcnt(1)
	v_mul_f64 v[183:184], v[2:3], v[12:13]
	v_mul_f64 v[12:13], v[4:5], v[12:13]
	s_waitcnt vmcnt(8) lgkmcnt(0)
	v_mul_f64 v[187:188], v[6:7], v[16:17]
	v_mul_f64 v[16:17], v[8:9], v[16:17]
	v_add_f64 v[177:178], v[177:178], 0
	v_add_f64 v[181:182], v[181:182], 0
	v_fma_f64 v[183:184], v[4:5], v[10:11], v[183:184]
	v_fma_f64 v[189:190], v[2:3], v[10:11], -v[12:13]
	ds_load_b128 v[2:5], v1 offset:864
	scratch_load_b128 v[10:13], off, off offset:320
	v_add_f64 v[177:178], v[177:178], v[185:186]
	v_add_f64 v[179:180], v[181:182], v[179:180]
	v_fma_f64 v[185:186], v[8:9], v[14:15], v[187:188]
	v_fma_f64 v[187:188], v[6:7], v[14:15], -v[16:17]
	scratch_load_b128 v[14:17], off, off offset:336
	ds_load_b128 v[6:9], v1 offset:880
	s_waitcnt vmcnt(9) lgkmcnt(1)
	v_mul_f64 v[181:182], v[2:3], v[20:21]
	v_mul_f64 v[20:21], v[4:5], v[20:21]
	v_add_f64 v[177:178], v[177:178], v[189:190]
	v_add_f64 v[179:180], v[179:180], v[183:184]
	s_waitcnt vmcnt(8) lgkmcnt(0)
	v_mul_f64 v[183:184], v[6:7], v[24:25]
	v_mul_f64 v[24:25], v[8:9], v[24:25]
	v_fma_f64 v[181:182], v[4:5], v[18:19], v[181:182]
	v_fma_f64 v[189:190], v[2:3], v[18:19], -v[20:21]
	ds_load_b128 v[2:5], v1 offset:896
	scratch_load_b128 v[18:21], off, off offset:352
	v_add_f64 v[177:178], v[177:178], v[187:188]
	v_add_f64 v[179:180], v[179:180], v[185:186]
	v_fma_f64 v[183:184], v[8:9], v[22:23], v[183:184]
	v_fma_f64 v[187:188], v[6:7], v[22:23], -v[24:25]
	scratch_load_b128 v[22:25], off, off offset:368
	ds_load_b128 v[6:9], v1 offset:912
	s_waitcnt vmcnt(9) lgkmcnt(1)
	v_mul_f64 v[185:186], v[2:3], v[28:29]
	v_mul_f64 v[28:29], v[4:5], v[28:29]
	v_add_f64 v[177:178], v[177:178], v[189:190]
	v_add_f64 v[179:180], v[179:180], v[181:182]
	s_waitcnt vmcnt(8) lgkmcnt(0)
	v_mul_f64 v[181:182], v[6:7], v[32:33]
	v_mul_f64 v[32:33], v[8:9], v[32:33]
	;; [unrolled: 18-line block ×7, first 2 shown]
	v_fma_f64 v[181:182], v[4:5], v[26:27], v[181:182]
	v_fma_f64 v[189:190], v[2:3], v[26:27], -v[28:29]
	ds_load_b128 v[2:5], v1 offset:1088
	scratch_load_b128 v[26:29], off, off offset:544
	v_add_f64 v[177:178], v[177:178], v[187:188]
	v_add_f64 v[179:180], v[179:180], v[185:186]
	v_fma_f64 v[183:184], v[8:9], v[30:31], v[183:184]
	v_fma_f64 v[187:188], v[6:7], v[30:31], -v[32:33]
	ds_load_b128 v[6:9], v1 offset:1104
	s_waitcnt vmcnt(8) lgkmcnt(1)
	v_mul_f64 v[185:186], v[2:3], v[36:37]
	v_mul_f64 v[36:37], v[4:5], v[36:37]
	scratch_load_b128 v[30:33], off, off offset:560
	v_add_f64 v[177:178], v[177:178], v[189:190]
	v_add_f64 v[179:180], v[179:180], v[181:182]
	s_waitcnt vmcnt(8) lgkmcnt(0)
	v_mul_f64 v[181:182], v[6:7], v[175:176]
	v_mul_f64 v[175:176], v[8:9], v[175:176]
	v_fma_f64 v[185:186], v[4:5], v[34:35], v[185:186]
	v_fma_f64 v[189:190], v[2:3], v[34:35], -v[36:37]
	ds_load_b128 v[2:5], v1 offset:1120
	scratch_load_b128 v[34:37], off, off offset:576
	v_add_f64 v[177:178], v[177:178], v[187:188]
	v_add_f64 v[179:180], v[179:180], v[183:184]
	v_fma_f64 v[181:182], v[8:9], v[173:174], v[181:182]
	v_fma_f64 v[187:188], v[6:7], v[173:174], -v[175:176]
	ds_load_b128 v[6:9], v1 offset:1136
	s_waitcnt vmcnt(8) lgkmcnt(1)
	v_mul_f64 v[183:184], v[2:3], v[40:41]
	v_mul_f64 v[40:41], v[4:5], v[40:41]
	scratch_load_b128 v[173:176], off, off offset:592
	v_add_f64 v[177:178], v[177:178], v[189:190]
	v_add_f64 v[179:180], v[179:180], v[185:186]
	s_waitcnt vmcnt(8) lgkmcnt(0)
	v_mul_f64 v[185:186], v[6:7], v[171:172]
	v_mul_f64 v[171:172], v[8:9], v[171:172]
	v_fma_f64 v[183:184], v[4:5], v[38:39], v[183:184]
	v_fma_f64 v[189:190], v[2:3], v[38:39], -v[40:41]
	scratch_load_b128 v[38:41], off, off offset:608
	ds_load_b128 v[2:5], v1 offset:1152
	v_add_f64 v[177:178], v[177:178], v[187:188]
	v_add_f64 v[179:180], v[179:180], v[181:182]
	v_fma_f64 v[185:186], v[8:9], v[169:170], v[185:186]
	v_fma_f64 v[187:188], v[6:7], v[169:170], -v[171:172]
	ds_load_b128 v[6:9], v1 offset:1168
	s_waitcnt vmcnt(8) lgkmcnt(1)
	v_mul_f64 v[181:182], v[2:3], v[12:13]
	v_mul_f64 v[12:13], v[4:5], v[12:13]
	scratch_load_b128 v[169:172], off, off offset:624
	v_add_f64 v[177:178], v[177:178], v[189:190]
	v_add_f64 v[179:180], v[179:180], v[183:184]
	s_waitcnt vmcnt(8) lgkmcnt(0)
	v_mul_f64 v[183:184], v[6:7], v[16:17]
	v_mul_f64 v[16:17], v[8:9], v[16:17]
	v_fma_f64 v[181:182], v[4:5], v[10:11], v[181:182]
	v_fma_f64 v[189:190], v[2:3], v[10:11], -v[12:13]
	scratch_load_b128 v[10:13], off, off offset:640
	ds_load_b128 v[2:5], v1 offset:1184
	v_add_f64 v[177:178], v[177:178], v[187:188]
	v_add_f64 v[179:180], v[179:180], v[185:186]
	v_fma_f64 v[183:184], v[8:9], v[14:15], v[183:184]
	v_fma_f64 v[187:188], v[6:7], v[14:15], -v[16:17]
	ds_load_b128 v[6:9], v1 offset:1200
	s_waitcnt vmcnt(8) lgkmcnt(1)
	v_mul_f64 v[185:186], v[2:3], v[20:21]
	v_mul_f64 v[20:21], v[4:5], v[20:21]
	scratch_load_b128 v[14:17], off, off offset:656
	v_add_f64 v[177:178], v[177:178], v[189:190]
	v_add_f64 v[179:180], v[179:180], v[181:182]
	s_waitcnt vmcnt(8) lgkmcnt(0)
	v_mul_f64 v[181:182], v[6:7], v[24:25]
	v_mul_f64 v[24:25], v[8:9], v[24:25]
	v_fma_f64 v[185:186], v[4:5], v[18:19], v[185:186]
	v_fma_f64 v[18:19], v[2:3], v[18:19], -v[20:21]
	ds_load_b128 v[2:5], v1 offset:1216
	v_add_f64 v[20:21], v[177:178], v[187:188]
	v_add_f64 v[177:178], v[179:180], v[183:184]
	v_fma_f64 v[181:182], v[8:9], v[22:23], v[181:182]
	v_fma_f64 v[22:23], v[6:7], v[22:23], -v[24:25]
	ds_load_b128 v[6:9], v1 offset:1232
	s_waitcnt vmcnt(7) lgkmcnt(1)
	v_mul_f64 v[179:180], v[2:3], v[28:29]
	v_mul_f64 v[28:29], v[4:5], v[28:29]
	v_add_f64 v[18:19], v[20:21], v[18:19]
	v_add_f64 v[20:21], v[177:178], v[185:186]
	s_delay_alu instid0(VALU_DEP_4) | instskip(NEXT) | instid1(VALU_DEP_4)
	v_fma_f64 v[177:178], v[4:5], v[26:27], v[179:180]
	v_fma_f64 v[26:27], v[2:3], v[26:27], -v[28:29]
	ds_load_b128 v[2:5], v1 offset:1248
	v_add_f64 v[22:23], v[18:19], v[22:23]
	v_add_f64 v[28:29], v[20:21], v[181:182]
	scratch_load_b128 v[18:21], off, off offset:112
	s_waitcnt vmcnt(7) lgkmcnt(1)
	v_mul_f64 v[24:25], v[6:7], v[32:33]
	v_mul_f64 v[32:33], v[8:9], v[32:33]
	v_add_f64 v[22:23], v[22:23], v[26:27]
	v_add_f64 v[26:27], v[28:29], v[177:178]
	s_delay_alu instid0(VALU_DEP_4) | instskip(NEXT) | instid1(VALU_DEP_4)
	v_fma_f64 v[24:25], v[8:9], v[30:31], v[24:25]
	v_fma_f64 v[30:31], v[6:7], v[30:31], -v[32:33]
	ds_load_b128 v[6:9], v1 offset:1264
	s_waitcnt vmcnt(6) lgkmcnt(1)
	v_mul_f64 v[179:180], v[2:3], v[36:37]
	v_mul_f64 v[36:37], v[4:5], v[36:37]
	s_waitcnt vmcnt(5) lgkmcnt(0)
	v_mul_f64 v[28:29], v[6:7], v[175:176]
	v_mul_f64 v[32:33], v[8:9], v[175:176]
	v_add_f64 v[24:25], v[26:27], v[24:25]
	v_add_f64 v[22:23], v[22:23], v[30:31]
	v_fma_f64 v[175:176], v[4:5], v[34:35], v[179:180]
	v_fma_f64 v[34:35], v[2:3], v[34:35], -v[36:37]
	ds_load_b128 v[2:5], v1 offset:1280
	v_fma_f64 v[28:29], v[8:9], v[173:174], v[28:29]
	v_fma_f64 v[32:33], v[6:7], v[173:174], -v[32:33]
	ds_load_b128 v[6:9], v1 offset:1296
	s_waitcnt vmcnt(4) lgkmcnt(1)
	v_mul_f64 v[26:27], v[2:3], v[40:41]
	v_mul_f64 v[30:31], v[4:5], v[40:41]
	v_add_f64 v[24:25], v[24:25], v[175:176]
	v_add_f64 v[22:23], v[22:23], v[34:35]
	s_waitcnt vmcnt(3) lgkmcnt(0)
	v_mul_f64 v[34:35], v[6:7], v[171:172]
	v_mul_f64 v[36:37], v[8:9], v[171:172]
	v_fma_f64 v[26:27], v[4:5], v[38:39], v[26:27]
	v_fma_f64 v[30:31], v[2:3], v[38:39], -v[30:31]
	ds_load_b128 v[2:5], v1 offset:1312
	v_add_f64 v[24:25], v[24:25], v[28:29]
	v_add_f64 v[22:23], v[22:23], v[32:33]
	v_fma_f64 v[32:33], v[8:9], v[169:170], v[34:35]
	v_fma_f64 v[34:35], v[6:7], v[169:170], -v[36:37]
	ds_load_b128 v[6:9], v1 offset:1328
	s_waitcnt vmcnt(2) lgkmcnt(1)
	v_mul_f64 v[28:29], v[2:3], v[12:13]
	v_mul_f64 v[12:13], v[4:5], v[12:13]
	v_add_f64 v[24:25], v[24:25], v[26:27]
	v_add_f64 v[22:23], v[22:23], v[30:31]
	s_waitcnt vmcnt(1) lgkmcnt(0)
	v_mul_f64 v[26:27], v[6:7], v[16:17]
	v_mul_f64 v[16:17], v[8:9], v[16:17]
	v_fma_f64 v[4:5], v[4:5], v[10:11], v[28:29]
	v_fma_f64 v[1:2], v[2:3], v[10:11], -v[12:13]
	v_add_f64 v[12:13], v[24:25], v[32:33]
	v_add_f64 v[10:11], v[22:23], v[34:35]
	v_fma_f64 v[8:9], v[8:9], v[14:15], v[26:27]
	v_fma_f64 v[6:7], v[6:7], v[14:15], -v[16:17]
	s_delay_alu instid0(VALU_DEP_4) | instskip(NEXT) | instid1(VALU_DEP_4)
	v_add_f64 v[3:4], v[12:13], v[4:5]
	v_add_f64 v[1:2], v[10:11], v[1:2]
	s_delay_alu instid0(VALU_DEP_2) | instskip(NEXT) | instid1(VALU_DEP_2)
	v_add_f64 v[3:4], v[3:4], v[8:9]
	v_add_f64 v[1:2], v[1:2], v[6:7]
	s_waitcnt vmcnt(0)
	s_delay_alu instid0(VALU_DEP_2) | instskip(NEXT) | instid1(VALU_DEP_2)
	v_add_f64 v[3:4], v[20:21], -v[3:4]
	v_add_f64 v[1:2], v[18:19], -v[1:2]
	scratch_store_b128 off, v[1:4], off offset:112
	v_cmpx_lt_u32_e32 6, v126
	s_cbranch_execz .LBB41_253
; %bb.252:
	scratch_load_b128 v[1:4], v165, off
	v_mov_b32_e32 v5, 0
	s_delay_alu instid0(VALU_DEP_1)
	v_mov_b32_e32 v6, v5
	v_mov_b32_e32 v7, v5
	v_mov_b32_e32 v8, v5
	scratch_store_b128 off, v[5:8], off offset:96
	s_waitcnt vmcnt(0)
	ds_store_b128 v168, v[1:4]
.LBB41_253:
	s_or_b32 exec_lo, exec_lo, s2
	s_waitcnt lgkmcnt(0)
	s_waitcnt_vscnt null, 0x0
	s_barrier
	buffer_gl0_inv
	s_clause 0x7
	scratch_load_b128 v[2:5], off, off offset:112
	scratch_load_b128 v[6:9], off, off offset:128
	;; [unrolled: 1-line block ×8, first 2 shown]
	v_mov_b32_e32 v1, 0
	s_clause 0x1
	scratch_load_b128 v[34:37], off, off offset:240
	scratch_load_b128 v[173:176], off, off offset:256
	s_mov_b32 s2, exec_lo
	ds_load_b128 v[38:41], v1 offset:784
	ds_load_b128 v[169:172], v1 offset:800
	s_waitcnt vmcnt(9) lgkmcnt(1)
	v_mul_f64 v[177:178], v[40:41], v[4:5]
	v_mul_f64 v[4:5], v[38:39], v[4:5]
	s_waitcnt vmcnt(8) lgkmcnt(0)
	v_mul_f64 v[179:180], v[169:170], v[8:9]
	v_mul_f64 v[8:9], v[171:172], v[8:9]
	s_delay_alu instid0(VALU_DEP_4) | instskip(NEXT) | instid1(VALU_DEP_4)
	v_fma_f64 v[177:178], v[38:39], v[2:3], -v[177:178]
	v_fma_f64 v[181:182], v[40:41], v[2:3], v[4:5]
	ds_load_b128 v[2:5], v1 offset:816
	scratch_load_b128 v[38:41], off, off offset:272
	v_fma_f64 v[179:180], v[171:172], v[6:7], v[179:180]
	v_fma_f64 v[185:186], v[169:170], v[6:7], -v[8:9]
	scratch_load_b128 v[169:172], off, off offset:288
	ds_load_b128 v[6:9], v1 offset:832
	s_waitcnt vmcnt(9) lgkmcnt(1)
	v_mul_f64 v[183:184], v[2:3], v[12:13]
	v_mul_f64 v[12:13], v[4:5], v[12:13]
	s_waitcnt vmcnt(8) lgkmcnt(0)
	v_mul_f64 v[187:188], v[6:7], v[16:17]
	v_mul_f64 v[16:17], v[8:9], v[16:17]
	v_add_f64 v[177:178], v[177:178], 0
	v_add_f64 v[181:182], v[181:182], 0
	v_fma_f64 v[183:184], v[4:5], v[10:11], v[183:184]
	v_fma_f64 v[189:190], v[2:3], v[10:11], -v[12:13]
	ds_load_b128 v[2:5], v1 offset:848
	scratch_load_b128 v[10:13], off, off offset:304
	v_add_f64 v[177:178], v[177:178], v[185:186]
	v_add_f64 v[179:180], v[181:182], v[179:180]
	v_fma_f64 v[185:186], v[8:9], v[14:15], v[187:188]
	v_fma_f64 v[187:188], v[6:7], v[14:15], -v[16:17]
	scratch_load_b128 v[14:17], off, off offset:320
	ds_load_b128 v[6:9], v1 offset:864
	s_waitcnt vmcnt(9) lgkmcnt(1)
	v_mul_f64 v[181:182], v[2:3], v[20:21]
	v_mul_f64 v[20:21], v[4:5], v[20:21]
	v_add_f64 v[177:178], v[177:178], v[189:190]
	v_add_f64 v[179:180], v[179:180], v[183:184]
	s_waitcnt vmcnt(8) lgkmcnt(0)
	v_mul_f64 v[183:184], v[6:7], v[24:25]
	v_mul_f64 v[24:25], v[8:9], v[24:25]
	v_fma_f64 v[181:182], v[4:5], v[18:19], v[181:182]
	v_fma_f64 v[189:190], v[2:3], v[18:19], -v[20:21]
	ds_load_b128 v[2:5], v1 offset:880
	scratch_load_b128 v[18:21], off, off offset:336
	v_add_f64 v[177:178], v[177:178], v[187:188]
	v_add_f64 v[179:180], v[179:180], v[185:186]
	v_fma_f64 v[183:184], v[8:9], v[22:23], v[183:184]
	v_fma_f64 v[187:188], v[6:7], v[22:23], -v[24:25]
	scratch_load_b128 v[22:25], off, off offset:352
	ds_load_b128 v[6:9], v1 offset:896
	s_waitcnt vmcnt(9) lgkmcnt(1)
	v_mul_f64 v[185:186], v[2:3], v[28:29]
	v_mul_f64 v[28:29], v[4:5], v[28:29]
	v_add_f64 v[177:178], v[177:178], v[189:190]
	v_add_f64 v[179:180], v[179:180], v[181:182]
	s_waitcnt vmcnt(8) lgkmcnt(0)
	v_mul_f64 v[181:182], v[6:7], v[32:33]
	v_mul_f64 v[32:33], v[8:9], v[32:33]
	;; [unrolled: 18-line block ×8, first 2 shown]
	v_fma_f64 v[185:186], v[4:5], v[34:35], v[185:186]
	v_fma_f64 v[189:190], v[2:3], v[34:35], -v[36:37]
	ds_load_b128 v[2:5], v1 offset:1104
	scratch_load_b128 v[34:37], off, off offset:560
	v_add_f64 v[177:178], v[177:178], v[187:188]
	v_add_f64 v[179:180], v[179:180], v[183:184]
	v_fma_f64 v[181:182], v[8:9], v[173:174], v[181:182]
	v_fma_f64 v[187:188], v[6:7], v[173:174], -v[175:176]
	ds_load_b128 v[6:9], v1 offset:1120
	s_waitcnt vmcnt(8) lgkmcnt(1)
	v_mul_f64 v[183:184], v[2:3], v[40:41]
	v_mul_f64 v[40:41], v[4:5], v[40:41]
	scratch_load_b128 v[173:176], off, off offset:576
	v_add_f64 v[177:178], v[177:178], v[189:190]
	v_add_f64 v[179:180], v[179:180], v[185:186]
	s_waitcnt vmcnt(8) lgkmcnt(0)
	v_mul_f64 v[185:186], v[6:7], v[171:172]
	v_mul_f64 v[171:172], v[8:9], v[171:172]
	v_fma_f64 v[183:184], v[4:5], v[38:39], v[183:184]
	v_fma_f64 v[189:190], v[2:3], v[38:39], -v[40:41]
	scratch_load_b128 v[38:41], off, off offset:592
	ds_load_b128 v[2:5], v1 offset:1136
	v_add_f64 v[177:178], v[177:178], v[187:188]
	v_add_f64 v[179:180], v[179:180], v[181:182]
	v_fma_f64 v[185:186], v[8:9], v[169:170], v[185:186]
	v_fma_f64 v[187:188], v[6:7], v[169:170], -v[171:172]
	ds_load_b128 v[6:9], v1 offset:1152
	s_waitcnt vmcnt(8) lgkmcnt(1)
	v_mul_f64 v[181:182], v[2:3], v[12:13]
	v_mul_f64 v[12:13], v[4:5], v[12:13]
	scratch_load_b128 v[169:172], off, off offset:608
	v_add_f64 v[177:178], v[177:178], v[189:190]
	v_add_f64 v[179:180], v[179:180], v[183:184]
	s_waitcnt vmcnt(8) lgkmcnt(0)
	v_mul_f64 v[183:184], v[6:7], v[16:17]
	v_mul_f64 v[16:17], v[8:9], v[16:17]
	v_fma_f64 v[181:182], v[4:5], v[10:11], v[181:182]
	v_fma_f64 v[189:190], v[2:3], v[10:11], -v[12:13]
	scratch_load_b128 v[10:13], off, off offset:624
	ds_load_b128 v[2:5], v1 offset:1168
	;; [unrolled: 18-line block ×3, first 2 shown]
	v_add_f64 v[177:178], v[177:178], v[187:188]
	v_add_f64 v[179:180], v[179:180], v[183:184]
	v_fma_f64 v[181:182], v[8:9], v[22:23], v[181:182]
	v_fma_f64 v[22:23], v[6:7], v[22:23], -v[24:25]
	ds_load_b128 v[6:9], v1 offset:1216
	s_waitcnt vmcnt(8) lgkmcnt(1)
	v_mul_f64 v[183:184], v[2:3], v[28:29]
	v_mul_f64 v[28:29], v[4:5], v[28:29]
	v_add_f64 v[24:25], v[177:178], v[189:190]
	v_add_f64 v[177:178], v[179:180], v[185:186]
	s_waitcnt vmcnt(7) lgkmcnt(0)
	v_mul_f64 v[179:180], v[6:7], v[32:33]
	v_mul_f64 v[32:33], v[8:9], v[32:33]
	v_fma_f64 v[183:184], v[4:5], v[26:27], v[183:184]
	v_fma_f64 v[26:27], v[2:3], v[26:27], -v[28:29]
	ds_load_b128 v[2:5], v1 offset:1232
	v_add_f64 v[22:23], v[24:25], v[22:23]
	v_add_f64 v[24:25], v[177:178], v[181:182]
	v_fma_f64 v[177:178], v[8:9], v[30:31], v[179:180]
	v_fma_f64 v[30:31], v[6:7], v[30:31], -v[32:33]
	ds_load_b128 v[6:9], v1 offset:1248
	s_waitcnt vmcnt(5) lgkmcnt(0)
	v_mul_f64 v[179:180], v[6:7], v[175:176]
	v_mul_f64 v[175:176], v[8:9], v[175:176]
	v_add_f64 v[26:27], v[22:23], v[26:27]
	v_add_f64 v[32:33], v[24:25], v[183:184]
	scratch_load_b128 v[22:25], off, off offset:96
	v_mul_f64 v[28:29], v[2:3], v[36:37]
	v_mul_f64 v[36:37], v[4:5], v[36:37]
	v_add_f64 v[26:27], v[26:27], v[30:31]
	v_add_f64 v[30:31], v[32:33], v[177:178]
	s_delay_alu instid0(VALU_DEP_4) | instskip(NEXT) | instid1(VALU_DEP_4)
	v_fma_f64 v[28:29], v[4:5], v[34:35], v[28:29]
	v_fma_f64 v[34:35], v[2:3], v[34:35], -v[36:37]
	ds_load_b128 v[2:5], v1 offset:1264
	s_waitcnt vmcnt(5) lgkmcnt(0)
	v_mul_f64 v[32:33], v[2:3], v[40:41]
	v_mul_f64 v[36:37], v[4:5], v[40:41]
	v_fma_f64 v[40:41], v[8:9], v[173:174], v[179:180]
	v_fma_f64 v[173:174], v[6:7], v[173:174], -v[175:176]
	ds_load_b128 v[6:9], v1 offset:1280
	v_add_f64 v[28:29], v[30:31], v[28:29]
	v_add_f64 v[26:27], v[26:27], v[34:35]
	v_fma_f64 v[32:33], v[4:5], v[38:39], v[32:33]
	v_fma_f64 v[36:37], v[2:3], v[38:39], -v[36:37]
	ds_load_b128 v[2:5], v1 offset:1296
	s_waitcnt vmcnt(4) lgkmcnt(1)
	v_mul_f64 v[30:31], v[6:7], v[171:172]
	v_mul_f64 v[34:35], v[8:9], v[171:172]
	v_add_f64 v[28:29], v[28:29], v[40:41]
	v_add_f64 v[26:27], v[26:27], v[173:174]
	s_waitcnt vmcnt(3) lgkmcnt(0)
	v_mul_f64 v[38:39], v[2:3], v[12:13]
	v_mul_f64 v[12:13], v[4:5], v[12:13]
	v_fma_f64 v[30:31], v[8:9], v[169:170], v[30:31]
	v_fma_f64 v[34:35], v[6:7], v[169:170], -v[34:35]
	ds_load_b128 v[6:9], v1 offset:1312
	v_add_f64 v[28:29], v[28:29], v[32:33]
	v_add_f64 v[26:27], v[26:27], v[36:37]
	v_fma_f64 v[36:37], v[4:5], v[10:11], v[38:39]
	v_fma_f64 v[10:11], v[2:3], v[10:11], -v[12:13]
	ds_load_b128 v[2:5], v1 offset:1328
	s_waitcnt vmcnt(2) lgkmcnt(1)
	v_mul_f64 v[32:33], v[6:7], v[16:17]
	v_mul_f64 v[16:17], v[8:9], v[16:17]
	v_add_f64 v[12:13], v[26:27], v[34:35]
	v_add_f64 v[26:27], v[28:29], v[30:31]
	s_waitcnt vmcnt(1) lgkmcnt(0)
	v_mul_f64 v[28:29], v[2:3], v[20:21]
	v_mul_f64 v[20:21], v[4:5], v[20:21]
	v_fma_f64 v[8:9], v[8:9], v[14:15], v[32:33]
	v_fma_f64 v[6:7], v[6:7], v[14:15], -v[16:17]
	v_add_f64 v[10:11], v[12:13], v[10:11]
	v_add_f64 v[12:13], v[26:27], v[36:37]
	v_fma_f64 v[4:5], v[4:5], v[18:19], v[28:29]
	v_fma_f64 v[2:3], v[2:3], v[18:19], -v[20:21]
	s_delay_alu instid0(VALU_DEP_4) | instskip(NEXT) | instid1(VALU_DEP_4)
	v_add_f64 v[6:7], v[10:11], v[6:7]
	v_add_f64 v[8:9], v[12:13], v[8:9]
	s_delay_alu instid0(VALU_DEP_2) | instskip(NEXT) | instid1(VALU_DEP_2)
	v_add_f64 v[2:3], v[6:7], v[2:3]
	v_add_f64 v[4:5], v[8:9], v[4:5]
	s_waitcnt vmcnt(0)
	s_delay_alu instid0(VALU_DEP_2) | instskip(NEXT) | instid1(VALU_DEP_2)
	v_add_f64 v[2:3], v[22:23], -v[2:3]
	v_add_f64 v[4:5], v[24:25], -v[4:5]
	scratch_store_b128 off, v[2:5], off offset:96
	v_cmpx_lt_u32_e32 5, v126
	s_cbranch_execz .LBB41_255
; %bb.254:
	scratch_load_b128 v[5:8], v167, off
	v_mov_b32_e32 v2, v1
	v_mov_b32_e32 v3, v1
	;; [unrolled: 1-line block ×3, first 2 shown]
	scratch_store_b128 off, v[1:4], off offset:80
	s_waitcnt vmcnt(0)
	ds_store_b128 v168, v[5:8]
.LBB41_255:
	s_or_b32 exec_lo, exec_lo, s2
	s_waitcnt lgkmcnt(0)
	s_waitcnt_vscnt null, 0x0
	s_barrier
	buffer_gl0_inv
	s_clause 0x7
	scratch_load_b128 v[2:5], off, off offset:96
	scratch_load_b128 v[6:9], off, off offset:112
	;; [unrolled: 1-line block ×8, first 2 shown]
	ds_load_b128 v[38:41], v1 offset:768
	ds_load_b128 v[169:172], v1 offset:784
	s_clause 0x1
	scratch_load_b128 v[34:37], off, off offset:224
	scratch_load_b128 v[173:176], off, off offset:240
	s_mov_b32 s2, exec_lo
	s_waitcnt vmcnt(9) lgkmcnt(1)
	v_mul_f64 v[177:178], v[40:41], v[4:5]
	v_mul_f64 v[4:5], v[38:39], v[4:5]
	s_waitcnt vmcnt(8) lgkmcnt(0)
	v_mul_f64 v[179:180], v[169:170], v[8:9]
	v_mul_f64 v[8:9], v[171:172], v[8:9]
	s_delay_alu instid0(VALU_DEP_4) | instskip(NEXT) | instid1(VALU_DEP_4)
	v_fma_f64 v[177:178], v[38:39], v[2:3], -v[177:178]
	v_fma_f64 v[181:182], v[40:41], v[2:3], v[4:5]
	ds_load_b128 v[2:5], v1 offset:800
	scratch_load_b128 v[38:41], off, off offset:256
	v_fma_f64 v[179:180], v[171:172], v[6:7], v[179:180]
	v_fma_f64 v[185:186], v[169:170], v[6:7], -v[8:9]
	scratch_load_b128 v[169:172], off, off offset:272
	ds_load_b128 v[6:9], v1 offset:816
	s_waitcnt vmcnt(9) lgkmcnt(1)
	v_mul_f64 v[183:184], v[2:3], v[12:13]
	v_mul_f64 v[12:13], v[4:5], v[12:13]
	s_waitcnt vmcnt(8) lgkmcnt(0)
	v_mul_f64 v[187:188], v[6:7], v[16:17]
	v_mul_f64 v[16:17], v[8:9], v[16:17]
	v_add_f64 v[177:178], v[177:178], 0
	v_add_f64 v[181:182], v[181:182], 0
	v_fma_f64 v[183:184], v[4:5], v[10:11], v[183:184]
	v_fma_f64 v[189:190], v[2:3], v[10:11], -v[12:13]
	ds_load_b128 v[2:5], v1 offset:832
	scratch_load_b128 v[10:13], off, off offset:288
	v_add_f64 v[177:178], v[177:178], v[185:186]
	v_add_f64 v[179:180], v[181:182], v[179:180]
	v_fma_f64 v[185:186], v[8:9], v[14:15], v[187:188]
	v_fma_f64 v[187:188], v[6:7], v[14:15], -v[16:17]
	scratch_load_b128 v[14:17], off, off offset:304
	ds_load_b128 v[6:9], v1 offset:848
	s_waitcnt vmcnt(9) lgkmcnt(1)
	v_mul_f64 v[181:182], v[2:3], v[20:21]
	v_mul_f64 v[20:21], v[4:5], v[20:21]
	v_add_f64 v[177:178], v[177:178], v[189:190]
	v_add_f64 v[179:180], v[179:180], v[183:184]
	s_waitcnt vmcnt(8) lgkmcnt(0)
	v_mul_f64 v[183:184], v[6:7], v[24:25]
	v_mul_f64 v[24:25], v[8:9], v[24:25]
	v_fma_f64 v[181:182], v[4:5], v[18:19], v[181:182]
	v_fma_f64 v[189:190], v[2:3], v[18:19], -v[20:21]
	ds_load_b128 v[2:5], v1 offset:864
	scratch_load_b128 v[18:21], off, off offset:320
	v_add_f64 v[177:178], v[177:178], v[187:188]
	v_add_f64 v[179:180], v[179:180], v[185:186]
	v_fma_f64 v[183:184], v[8:9], v[22:23], v[183:184]
	v_fma_f64 v[187:188], v[6:7], v[22:23], -v[24:25]
	scratch_load_b128 v[22:25], off, off offset:336
	ds_load_b128 v[6:9], v1 offset:880
	s_waitcnt vmcnt(9) lgkmcnt(1)
	v_mul_f64 v[185:186], v[2:3], v[28:29]
	v_mul_f64 v[28:29], v[4:5], v[28:29]
	v_add_f64 v[177:178], v[177:178], v[189:190]
	v_add_f64 v[179:180], v[179:180], v[181:182]
	s_waitcnt vmcnt(8) lgkmcnt(0)
	v_mul_f64 v[181:182], v[6:7], v[32:33]
	v_mul_f64 v[32:33], v[8:9], v[32:33]
	;; [unrolled: 18-line block ×8, first 2 shown]
	v_fma_f64 v[185:186], v[4:5], v[34:35], v[185:186]
	v_fma_f64 v[189:190], v[2:3], v[34:35], -v[36:37]
	ds_load_b128 v[2:5], v1 offset:1088
	scratch_load_b128 v[34:37], off, off offset:544
	v_add_f64 v[177:178], v[177:178], v[187:188]
	v_add_f64 v[179:180], v[179:180], v[183:184]
	v_fma_f64 v[181:182], v[8:9], v[173:174], v[181:182]
	v_fma_f64 v[187:188], v[6:7], v[173:174], -v[175:176]
	ds_load_b128 v[6:9], v1 offset:1104
	s_waitcnt vmcnt(8) lgkmcnt(1)
	v_mul_f64 v[183:184], v[2:3], v[40:41]
	v_mul_f64 v[40:41], v[4:5], v[40:41]
	scratch_load_b128 v[173:176], off, off offset:560
	v_add_f64 v[177:178], v[177:178], v[189:190]
	v_add_f64 v[179:180], v[179:180], v[185:186]
	s_waitcnt vmcnt(8) lgkmcnt(0)
	v_mul_f64 v[185:186], v[6:7], v[171:172]
	v_mul_f64 v[171:172], v[8:9], v[171:172]
	v_fma_f64 v[183:184], v[4:5], v[38:39], v[183:184]
	v_fma_f64 v[189:190], v[2:3], v[38:39], -v[40:41]
	ds_load_b128 v[2:5], v1 offset:1120
	scratch_load_b128 v[38:41], off, off offset:576
	v_add_f64 v[177:178], v[177:178], v[187:188]
	v_add_f64 v[179:180], v[179:180], v[181:182]
	v_fma_f64 v[185:186], v[8:9], v[169:170], v[185:186]
	v_fma_f64 v[187:188], v[6:7], v[169:170], -v[171:172]
	ds_load_b128 v[6:9], v1 offset:1136
	s_waitcnt vmcnt(8) lgkmcnt(1)
	v_mul_f64 v[181:182], v[2:3], v[12:13]
	v_mul_f64 v[12:13], v[4:5], v[12:13]
	scratch_load_b128 v[169:172], off, off offset:592
	v_add_f64 v[177:178], v[177:178], v[189:190]
	v_add_f64 v[179:180], v[179:180], v[183:184]
	s_waitcnt vmcnt(8) lgkmcnt(0)
	v_mul_f64 v[183:184], v[6:7], v[16:17]
	v_mul_f64 v[16:17], v[8:9], v[16:17]
	v_fma_f64 v[181:182], v[4:5], v[10:11], v[181:182]
	v_fma_f64 v[189:190], v[2:3], v[10:11], -v[12:13]
	scratch_load_b128 v[10:13], off, off offset:608
	ds_load_b128 v[2:5], v1 offset:1152
	v_add_f64 v[177:178], v[177:178], v[187:188]
	v_add_f64 v[179:180], v[179:180], v[185:186]
	v_fma_f64 v[183:184], v[8:9], v[14:15], v[183:184]
	v_fma_f64 v[187:188], v[6:7], v[14:15], -v[16:17]
	ds_load_b128 v[6:9], v1 offset:1168
	s_waitcnt vmcnt(8) lgkmcnt(1)
	v_mul_f64 v[185:186], v[2:3], v[20:21]
	v_mul_f64 v[20:21], v[4:5], v[20:21]
	scratch_load_b128 v[14:17], off, off offset:624
	v_add_f64 v[177:178], v[177:178], v[189:190]
	v_add_f64 v[179:180], v[179:180], v[181:182]
	s_waitcnt vmcnt(8) lgkmcnt(0)
	v_mul_f64 v[181:182], v[6:7], v[24:25]
	v_mul_f64 v[24:25], v[8:9], v[24:25]
	v_fma_f64 v[185:186], v[4:5], v[18:19], v[185:186]
	v_fma_f64 v[189:190], v[2:3], v[18:19], -v[20:21]
	scratch_load_b128 v[18:21], off, off offset:640
	ds_load_b128 v[2:5], v1 offset:1184
	v_add_f64 v[177:178], v[177:178], v[187:188]
	v_add_f64 v[179:180], v[179:180], v[183:184]
	v_fma_f64 v[181:182], v[8:9], v[22:23], v[181:182]
	v_fma_f64 v[187:188], v[6:7], v[22:23], -v[24:25]
	ds_load_b128 v[6:9], v1 offset:1200
	s_waitcnt vmcnt(8) lgkmcnt(1)
	v_mul_f64 v[183:184], v[2:3], v[28:29]
	v_mul_f64 v[28:29], v[4:5], v[28:29]
	scratch_load_b128 v[22:25], off, off offset:656
	v_add_f64 v[177:178], v[177:178], v[189:190]
	v_add_f64 v[179:180], v[179:180], v[185:186]
	s_waitcnt vmcnt(8) lgkmcnt(0)
	v_mul_f64 v[185:186], v[6:7], v[32:33]
	v_mul_f64 v[32:33], v[8:9], v[32:33]
	v_fma_f64 v[183:184], v[4:5], v[26:27], v[183:184]
	v_fma_f64 v[26:27], v[2:3], v[26:27], -v[28:29]
	ds_load_b128 v[2:5], v1 offset:1216
	v_add_f64 v[28:29], v[177:178], v[187:188]
	v_add_f64 v[177:178], v[179:180], v[181:182]
	v_fma_f64 v[181:182], v[8:9], v[30:31], v[185:186]
	v_fma_f64 v[30:31], v[6:7], v[30:31], -v[32:33]
	ds_load_b128 v[6:9], v1 offset:1232
	s_waitcnt vmcnt(7) lgkmcnt(1)
	v_mul_f64 v[179:180], v[2:3], v[36:37]
	v_mul_f64 v[36:37], v[4:5], v[36:37]
	v_add_f64 v[26:27], v[28:29], v[26:27]
	v_add_f64 v[28:29], v[177:178], v[183:184]
	s_delay_alu instid0(VALU_DEP_4) | instskip(NEXT) | instid1(VALU_DEP_4)
	v_fma_f64 v[177:178], v[4:5], v[34:35], v[179:180]
	v_fma_f64 v[34:35], v[2:3], v[34:35], -v[36:37]
	ds_load_b128 v[2:5], v1 offset:1248
	v_add_f64 v[30:31], v[26:27], v[30:31]
	v_add_f64 v[36:37], v[28:29], v[181:182]
	scratch_load_b128 v[26:29], off, off offset:80
	s_waitcnt vmcnt(7) lgkmcnt(1)
	v_mul_f64 v[32:33], v[6:7], v[175:176]
	v_mul_f64 v[175:176], v[8:9], v[175:176]
	v_add_f64 v[30:31], v[30:31], v[34:35]
	v_add_f64 v[34:35], v[36:37], v[177:178]
	s_delay_alu instid0(VALU_DEP_4) | instskip(NEXT) | instid1(VALU_DEP_4)
	v_fma_f64 v[32:33], v[8:9], v[173:174], v[32:33]
	v_fma_f64 v[173:174], v[6:7], v[173:174], -v[175:176]
	ds_load_b128 v[6:9], v1 offset:1264
	s_waitcnt vmcnt(6) lgkmcnt(1)
	v_mul_f64 v[179:180], v[2:3], v[40:41]
	v_mul_f64 v[40:41], v[4:5], v[40:41]
	s_waitcnt vmcnt(5) lgkmcnt(0)
	v_mul_f64 v[36:37], v[6:7], v[171:172]
	v_mul_f64 v[171:172], v[8:9], v[171:172]
	v_add_f64 v[32:33], v[34:35], v[32:33]
	v_add_f64 v[30:31], v[30:31], v[173:174]
	v_fma_f64 v[175:176], v[4:5], v[38:39], v[179:180]
	v_fma_f64 v[38:39], v[2:3], v[38:39], -v[40:41]
	ds_load_b128 v[2:5], v1 offset:1280
	v_fma_f64 v[36:37], v[8:9], v[169:170], v[36:37]
	v_fma_f64 v[40:41], v[6:7], v[169:170], -v[171:172]
	ds_load_b128 v[6:9], v1 offset:1296
	s_waitcnt vmcnt(4) lgkmcnt(1)
	v_mul_f64 v[34:35], v[2:3], v[12:13]
	v_mul_f64 v[12:13], v[4:5], v[12:13]
	v_add_f64 v[32:33], v[32:33], v[175:176]
	v_add_f64 v[30:31], v[30:31], v[38:39]
	s_waitcnt vmcnt(3) lgkmcnt(0)
	v_mul_f64 v[38:39], v[6:7], v[16:17]
	v_mul_f64 v[16:17], v[8:9], v[16:17]
	v_fma_f64 v[34:35], v[4:5], v[10:11], v[34:35]
	v_fma_f64 v[10:11], v[2:3], v[10:11], -v[12:13]
	ds_load_b128 v[2:5], v1 offset:1312
	v_add_f64 v[12:13], v[30:31], v[40:41]
	v_add_f64 v[30:31], v[32:33], v[36:37]
	v_fma_f64 v[36:37], v[8:9], v[14:15], v[38:39]
	v_fma_f64 v[14:15], v[6:7], v[14:15], -v[16:17]
	ds_load_b128 v[6:9], v1 offset:1328
	s_waitcnt vmcnt(2) lgkmcnt(1)
	v_mul_f64 v[32:33], v[2:3], v[20:21]
	v_mul_f64 v[20:21], v[4:5], v[20:21]
	s_waitcnt vmcnt(1) lgkmcnt(0)
	v_mul_f64 v[16:17], v[6:7], v[24:25]
	v_mul_f64 v[24:25], v[8:9], v[24:25]
	v_add_f64 v[10:11], v[12:13], v[10:11]
	v_add_f64 v[12:13], v[30:31], v[34:35]
	v_fma_f64 v[4:5], v[4:5], v[18:19], v[32:33]
	v_fma_f64 v[1:2], v[2:3], v[18:19], -v[20:21]
	v_fma_f64 v[8:9], v[8:9], v[22:23], v[16:17]
	v_fma_f64 v[6:7], v[6:7], v[22:23], -v[24:25]
	v_add_f64 v[10:11], v[10:11], v[14:15]
	v_add_f64 v[12:13], v[12:13], v[36:37]
	s_delay_alu instid0(VALU_DEP_2) | instskip(NEXT) | instid1(VALU_DEP_2)
	v_add_f64 v[1:2], v[10:11], v[1:2]
	v_add_f64 v[3:4], v[12:13], v[4:5]
	s_delay_alu instid0(VALU_DEP_2) | instskip(NEXT) | instid1(VALU_DEP_2)
	v_add_f64 v[1:2], v[1:2], v[6:7]
	v_add_f64 v[3:4], v[3:4], v[8:9]
	s_waitcnt vmcnt(0)
	s_delay_alu instid0(VALU_DEP_2) | instskip(NEXT) | instid1(VALU_DEP_2)
	v_add_f64 v[1:2], v[26:27], -v[1:2]
	v_add_f64 v[3:4], v[28:29], -v[3:4]
	scratch_store_b128 off, v[1:4], off offset:80
	v_cmpx_lt_u32_e32 4, v126
	s_cbranch_execz .LBB41_257
; %bb.256:
	scratch_load_b128 v[1:4], v147, off
	v_mov_b32_e32 v5, 0
	s_delay_alu instid0(VALU_DEP_1)
	v_mov_b32_e32 v6, v5
	v_mov_b32_e32 v7, v5
	;; [unrolled: 1-line block ×3, first 2 shown]
	scratch_store_b128 off, v[5:8], off offset:64
	s_waitcnt vmcnt(0)
	ds_store_b128 v168, v[1:4]
.LBB41_257:
	s_or_b32 exec_lo, exec_lo, s2
	s_waitcnt lgkmcnt(0)
	s_waitcnt_vscnt null, 0x0
	s_barrier
	buffer_gl0_inv
	s_clause 0x7
	scratch_load_b128 v[2:5], off, off offset:80
	scratch_load_b128 v[6:9], off, off offset:96
	;; [unrolled: 1-line block ×8, first 2 shown]
	v_mov_b32_e32 v1, 0
	s_clause 0x1
	scratch_load_b128 v[34:37], off, off offset:208
	scratch_load_b128 v[173:176], off, off offset:224
	s_mov_b32 s2, exec_lo
	ds_load_b128 v[38:41], v1 offset:752
	ds_load_b128 v[169:172], v1 offset:768
	s_waitcnt vmcnt(9) lgkmcnt(1)
	v_mul_f64 v[177:178], v[40:41], v[4:5]
	v_mul_f64 v[4:5], v[38:39], v[4:5]
	s_waitcnt vmcnt(8) lgkmcnt(0)
	v_mul_f64 v[179:180], v[169:170], v[8:9]
	v_mul_f64 v[8:9], v[171:172], v[8:9]
	s_delay_alu instid0(VALU_DEP_4) | instskip(NEXT) | instid1(VALU_DEP_4)
	v_fma_f64 v[177:178], v[38:39], v[2:3], -v[177:178]
	v_fma_f64 v[181:182], v[40:41], v[2:3], v[4:5]
	ds_load_b128 v[2:5], v1 offset:784
	scratch_load_b128 v[38:41], off, off offset:240
	v_fma_f64 v[179:180], v[171:172], v[6:7], v[179:180]
	v_fma_f64 v[185:186], v[169:170], v[6:7], -v[8:9]
	scratch_load_b128 v[169:172], off, off offset:256
	ds_load_b128 v[6:9], v1 offset:800
	s_waitcnt vmcnt(9) lgkmcnt(1)
	v_mul_f64 v[183:184], v[2:3], v[12:13]
	v_mul_f64 v[12:13], v[4:5], v[12:13]
	s_waitcnt vmcnt(8) lgkmcnt(0)
	v_mul_f64 v[187:188], v[6:7], v[16:17]
	v_mul_f64 v[16:17], v[8:9], v[16:17]
	v_add_f64 v[177:178], v[177:178], 0
	v_add_f64 v[181:182], v[181:182], 0
	v_fma_f64 v[183:184], v[4:5], v[10:11], v[183:184]
	v_fma_f64 v[189:190], v[2:3], v[10:11], -v[12:13]
	ds_load_b128 v[2:5], v1 offset:816
	scratch_load_b128 v[10:13], off, off offset:272
	v_add_f64 v[177:178], v[177:178], v[185:186]
	v_add_f64 v[179:180], v[181:182], v[179:180]
	v_fma_f64 v[185:186], v[8:9], v[14:15], v[187:188]
	v_fma_f64 v[187:188], v[6:7], v[14:15], -v[16:17]
	scratch_load_b128 v[14:17], off, off offset:288
	ds_load_b128 v[6:9], v1 offset:832
	s_waitcnt vmcnt(9) lgkmcnt(1)
	v_mul_f64 v[181:182], v[2:3], v[20:21]
	v_mul_f64 v[20:21], v[4:5], v[20:21]
	v_add_f64 v[177:178], v[177:178], v[189:190]
	v_add_f64 v[179:180], v[179:180], v[183:184]
	s_waitcnt vmcnt(8) lgkmcnt(0)
	v_mul_f64 v[183:184], v[6:7], v[24:25]
	v_mul_f64 v[24:25], v[8:9], v[24:25]
	v_fma_f64 v[181:182], v[4:5], v[18:19], v[181:182]
	v_fma_f64 v[189:190], v[2:3], v[18:19], -v[20:21]
	ds_load_b128 v[2:5], v1 offset:848
	scratch_load_b128 v[18:21], off, off offset:304
	v_add_f64 v[177:178], v[177:178], v[187:188]
	v_add_f64 v[179:180], v[179:180], v[185:186]
	v_fma_f64 v[183:184], v[8:9], v[22:23], v[183:184]
	v_fma_f64 v[187:188], v[6:7], v[22:23], -v[24:25]
	scratch_load_b128 v[22:25], off, off offset:320
	ds_load_b128 v[6:9], v1 offset:864
	s_waitcnt vmcnt(9) lgkmcnt(1)
	v_mul_f64 v[185:186], v[2:3], v[28:29]
	v_mul_f64 v[28:29], v[4:5], v[28:29]
	v_add_f64 v[177:178], v[177:178], v[189:190]
	v_add_f64 v[179:180], v[179:180], v[181:182]
	s_waitcnt vmcnt(8) lgkmcnt(0)
	v_mul_f64 v[181:182], v[6:7], v[32:33]
	v_mul_f64 v[32:33], v[8:9], v[32:33]
	;; [unrolled: 18-line block ×9, first 2 shown]
	v_fma_f64 v[183:184], v[4:5], v[38:39], v[183:184]
	v_fma_f64 v[189:190], v[2:3], v[38:39], -v[40:41]
	ds_load_b128 v[2:5], v1 offset:1104
	scratch_load_b128 v[38:41], off, off offset:560
	v_add_f64 v[177:178], v[177:178], v[187:188]
	v_add_f64 v[179:180], v[179:180], v[181:182]
	v_fma_f64 v[185:186], v[8:9], v[169:170], v[185:186]
	v_fma_f64 v[187:188], v[6:7], v[169:170], -v[171:172]
	ds_load_b128 v[6:9], v1 offset:1120
	s_waitcnt vmcnt(8) lgkmcnt(1)
	v_mul_f64 v[181:182], v[2:3], v[12:13]
	v_mul_f64 v[12:13], v[4:5], v[12:13]
	scratch_load_b128 v[169:172], off, off offset:576
	v_add_f64 v[177:178], v[177:178], v[189:190]
	v_add_f64 v[179:180], v[179:180], v[183:184]
	s_waitcnt vmcnt(8) lgkmcnt(0)
	v_mul_f64 v[183:184], v[6:7], v[16:17]
	v_mul_f64 v[16:17], v[8:9], v[16:17]
	v_fma_f64 v[181:182], v[4:5], v[10:11], v[181:182]
	v_fma_f64 v[189:190], v[2:3], v[10:11], -v[12:13]
	scratch_load_b128 v[10:13], off, off offset:592
	ds_load_b128 v[2:5], v1 offset:1136
	v_add_f64 v[177:178], v[177:178], v[187:188]
	v_add_f64 v[179:180], v[179:180], v[185:186]
	v_fma_f64 v[183:184], v[8:9], v[14:15], v[183:184]
	v_fma_f64 v[187:188], v[6:7], v[14:15], -v[16:17]
	ds_load_b128 v[6:9], v1 offset:1152
	s_waitcnt vmcnt(8) lgkmcnt(1)
	v_mul_f64 v[185:186], v[2:3], v[20:21]
	v_mul_f64 v[20:21], v[4:5], v[20:21]
	scratch_load_b128 v[14:17], off, off offset:608
	v_add_f64 v[177:178], v[177:178], v[189:190]
	v_add_f64 v[179:180], v[179:180], v[181:182]
	s_waitcnt vmcnt(8) lgkmcnt(0)
	v_mul_f64 v[181:182], v[6:7], v[24:25]
	v_mul_f64 v[24:25], v[8:9], v[24:25]
	v_fma_f64 v[185:186], v[4:5], v[18:19], v[185:186]
	v_fma_f64 v[189:190], v[2:3], v[18:19], -v[20:21]
	scratch_load_b128 v[18:21], off, off offset:624
	ds_load_b128 v[2:5], v1 offset:1168
	;; [unrolled: 18-line block ×3, first 2 shown]
	v_add_f64 v[177:178], v[177:178], v[187:188]
	v_add_f64 v[179:180], v[179:180], v[181:182]
	v_fma_f64 v[185:186], v[8:9], v[30:31], v[185:186]
	v_fma_f64 v[30:31], v[6:7], v[30:31], -v[32:33]
	ds_load_b128 v[6:9], v1 offset:1216
	s_waitcnt vmcnt(8) lgkmcnt(1)
	v_mul_f64 v[181:182], v[2:3], v[36:37]
	v_mul_f64 v[36:37], v[4:5], v[36:37]
	v_add_f64 v[32:33], v[177:178], v[189:190]
	v_add_f64 v[177:178], v[179:180], v[183:184]
	s_waitcnt vmcnt(7) lgkmcnt(0)
	v_mul_f64 v[179:180], v[6:7], v[175:176]
	v_mul_f64 v[175:176], v[8:9], v[175:176]
	v_fma_f64 v[181:182], v[4:5], v[34:35], v[181:182]
	v_fma_f64 v[34:35], v[2:3], v[34:35], -v[36:37]
	ds_load_b128 v[2:5], v1 offset:1232
	v_add_f64 v[30:31], v[32:33], v[30:31]
	v_add_f64 v[32:33], v[177:178], v[185:186]
	v_fma_f64 v[177:178], v[8:9], v[173:174], v[179:180]
	v_fma_f64 v[173:174], v[6:7], v[173:174], -v[175:176]
	ds_load_b128 v[6:9], v1 offset:1248
	s_waitcnt vmcnt(5) lgkmcnt(0)
	v_mul_f64 v[179:180], v[6:7], v[171:172]
	v_mul_f64 v[171:172], v[8:9], v[171:172]
	v_add_f64 v[34:35], v[30:31], v[34:35]
	v_add_f64 v[175:176], v[32:33], v[181:182]
	scratch_load_b128 v[30:33], off, off offset:64
	v_mul_f64 v[36:37], v[2:3], v[40:41]
	v_mul_f64 v[40:41], v[4:5], v[40:41]
	v_add_f64 v[34:35], v[34:35], v[173:174]
	s_delay_alu instid0(VALU_DEP_3) | instskip(NEXT) | instid1(VALU_DEP_3)
	v_fma_f64 v[36:37], v[4:5], v[38:39], v[36:37]
	v_fma_f64 v[38:39], v[2:3], v[38:39], -v[40:41]
	v_add_f64 v[40:41], v[175:176], v[177:178]
	ds_load_b128 v[2:5], v1 offset:1264
	v_fma_f64 v[175:176], v[8:9], v[169:170], v[179:180]
	v_fma_f64 v[169:170], v[6:7], v[169:170], -v[171:172]
	ds_load_b128 v[6:9], v1 offset:1280
	s_waitcnt vmcnt(5) lgkmcnt(1)
	v_mul_f64 v[173:174], v[2:3], v[12:13]
	v_mul_f64 v[12:13], v[4:5], v[12:13]
	v_add_f64 v[34:35], v[34:35], v[38:39]
	v_add_f64 v[36:37], v[40:41], v[36:37]
	s_waitcnt vmcnt(4) lgkmcnt(0)
	v_mul_f64 v[38:39], v[6:7], v[16:17]
	v_mul_f64 v[16:17], v[8:9], v[16:17]
	v_fma_f64 v[40:41], v[4:5], v[10:11], v[173:174]
	v_fma_f64 v[10:11], v[2:3], v[10:11], -v[12:13]
	ds_load_b128 v[2:5], v1 offset:1296
	v_add_f64 v[12:13], v[34:35], v[169:170]
	v_add_f64 v[34:35], v[36:37], v[175:176]
	v_fma_f64 v[38:39], v[8:9], v[14:15], v[38:39]
	v_fma_f64 v[14:15], v[6:7], v[14:15], -v[16:17]
	ds_load_b128 v[6:9], v1 offset:1312
	s_waitcnt vmcnt(3) lgkmcnt(1)
	v_mul_f64 v[36:37], v[2:3], v[20:21]
	v_mul_f64 v[20:21], v[4:5], v[20:21]
	s_waitcnt vmcnt(2) lgkmcnt(0)
	v_mul_f64 v[16:17], v[6:7], v[24:25]
	v_mul_f64 v[24:25], v[8:9], v[24:25]
	v_add_f64 v[10:11], v[12:13], v[10:11]
	v_add_f64 v[12:13], v[34:35], v[40:41]
	v_fma_f64 v[34:35], v[4:5], v[18:19], v[36:37]
	v_fma_f64 v[18:19], v[2:3], v[18:19], -v[20:21]
	ds_load_b128 v[2:5], v1 offset:1328
	v_fma_f64 v[8:9], v[8:9], v[22:23], v[16:17]
	v_fma_f64 v[6:7], v[6:7], v[22:23], -v[24:25]
	s_waitcnt vmcnt(1) lgkmcnt(0)
	v_mul_f64 v[20:21], v[4:5], v[28:29]
	v_add_f64 v[10:11], v[10:11], v[14:15]
	v_add_f64 v[12:13], v[12:13], v[38:39]
	v_mul_f64 v[14:15], v[2:3], v[28:29]
	s_delay_alu instid0(VALU_DEP_4) | instskip(NEXT) | instid1(VALU_DEP_4)
	v_fma_f64 v[2:3], v[2:3], v[26:27], -v[20:21]
	v_add_f64 v[10:11], v[10:11], v[18:19]
	s_delay_alu instid0(VALU_DEP_4) | instskip(NEXT) | instid1(VALU_DEP_4)
	v_add_f64 v[12:13], v[12:13], v[34:35]
	v_fma_f64 v[4:5], v[4:5], v[26:27], v[14:15]
	s_delay_alu instid0(VALU_DEP_3) | instskip(NEXT) | instid1(VALU_DEP_3)
	v_add_f64 v[6:7], v[10:11], v[6:7]
	v_add_f64 v[8:9], v[12:13], v[8:9]
	s_delay_alu instid0(VALU_DEP_2) | instskip(NEXT) | instid1(VALU_DEP_2)
	v_add_f64 v[2:3], v[6:7], v[2:3]
	v_add_f64 v[4:5], v[8:9], v[4:5]
	s_waitcnt vmcnt(0)
	s_delay_alu instid0(VALU_DEP_2) | instskip(NEXT) | instid1(VALU_DEP_2)
	v_add_f64 v[2:3], v[30:31], -v[2:3]
	v_add_f64 v[4:5], v[32:33], -v[4:5]
	scratch_store_b128 off, v[2:5], off offset:64
	v_cmpx_lt_u32_e32 3, v126
	s_cbranch_execz .LBB41_259
; %bb.258:
	scratch_load_b128 v[5:8], v149, off
	v_mov_b32_e32 v2, v1
	v_mov_b32_e32 v3, v1
	;; [unrolled: 1-line block ×3, first 2 shown]
	scratch_store_b128 off, v[1:4], off offset:48
	s_waitcnt vmcnt(0)
	ds_store_b128 v168, v[5:8]
.LBB41_259:
	s_or_b32 exec_lo, exec_lo, s2
	s_waitcnt lgkmcnt(0)
	s_waitcnt_vscnt null, 0x0
	s_barrier
	buffer_gl0_inv
	s_clause 0x7
	scratch_load_b128 v[2:5], off, off offset:64
	scratch_load_b128 v[6:9], off, off offset:80
	;; [unrolled: 1-line block ×8, first 2 shown]
	ds_load_b128 v[38:41], v1 offset:736
	ds_load_b128 v[169:172], v1 offset:752
	s_clause 0x1
	scratch_load_b128 v[34:37], off, off offset:192
	scratch_load_b128 v[173:176], off, off offset:208
	s_mov_b32 s2, exec_lo
	s_waitcnt vmcnt(9) lgkmcnt(1)
	v_mul_f64 v[177:178], v[40:41], v[4:5]
	v_mul_f64 v[4:5], v[38:39], v[4:5]
	s_waitcnt vmcnt(8) lgkmcnt(0)
	v_mul_f64 v[179:180], v[169:170], v[8:9]
	v_mul_f64 v[8:9], v[171:172], v[8:9]
	s_delay_alu instid0(VALU_DEP_4) | instskip(NEXT) | instid1(VALU_DEP_4)
	v_fma_f64 v[177:178], v[38:39], v[2:3], -v[177:178]
	v_fma_f64 v[181:182], v[40:41], v[2:3], v[4:5]
	ds_load_b128 v[2:5], v1 offset:768
	scratch_load_b128 v[38:41], off, off offset:224
	v_fma_f64 v[179:180], v[171:172], v[6:7], v[179:180]
	v_fma_f64 v[185:186], v[169:170], v[6:7], -v[8:9]
	scratch_load_b128 v[169:172], off, off offset:240
	ds_load_b128 v[6:9], v1 offset:784
	s_waitcnt vmcnt(9) lgkmcnt(1)
	v_mul_f64 v[183:184], v[2:3], v[12:13]
	v_mul_f64 v[12:13], v[4:5], v[12:13]
	s_waitcnt vmcnt(8) lgkmcnt(0)
	v_mul_f64 v[187:188], v[6:7], v[16:17]
	v_mul_f64 v[16:17], v[8:9], v[16:17]
	v_add_f64 v[177:178], v[177:178], 0
	v_add_f64 v[181:182], v[181:182], 0
	v_fma_f64 v[183:184], v[4:5], v[10:11], v[183:184]
	v_fma_f64 v[189:190], v[2:3], v[10:11], -v[12:13]
	ds_load_b128 v[2:5], v1 offset:800
	scratch_load_b128 v[10:13], off, off offset:256
	v_add_f64 v[177:178], v[177:178], v[185:186]
	v_add_f64 v[179:180], v[181:182], v[179:180]
	v_fma_f64 v[185:186], v[8:9], v[14:15], v[187:188]
	v_fma_f64 v[187:188], v[6:7], v[14:15], -v[16:17]
	scratch_load_b128 v[14:17], off, off offset:272
	ds_load_b128 v[6:9], v1 offset:816
	s_waitcnt vmcnt(9) lgkmcnt(1)
	v_mul_f64 v[181:182], v[2:3], v[20:21]
	v_mul_f64 v[20:21], v[4:5], v[20:21]
	v_add_f64 v[177:178], v[177:178], v[189:190]
	v_add_f64 v[179:180], v[179:180], v[183:184]
	s_waitcnt vmcnt(8) lgkmcnt(0)
	v_mul_f64 v[183:184], v[6:7], v[24:25]
	v_mul_f64 v[24:25], v[8:9], v[24:25]
	v_fma_f64 v[181:182], v[4:5], v[18:19], v[181:182]
	v_fma_f64 v[189:190], v[2:3], v[18:19], -v[20:21]
	ds_load_b128 v[2:5], v1 offset:832
	scratch_load_b128 v[18:21], off, off offset:288
	v_add_f64 v[177:178], v[177:178], v[187:188]
	v_add_f64 v[179:180], v[179:180], v[185:186]
	v_fma_f64 v[183:184], v[8:9], v[22:23], v[183:184]
	v_fma_f64 v[187:188], v[6:7], v[22:23], -v[24:25]
	scratch_load_b128 v[22:25], off, off offset:304
	ds_load_b128 v[6:9], v1 offset:848
	s_waitcnt vmcnt(9) lgkmcnt(1)
	v_mul_f64 v[185:186], v[2:3], v[28:29]
	v_mul_f64 v[28:29], v[4:5], v[28:29]
	v_add_f64 v[177:178], v[177:178], v[189:190]
	v_add_f64 v[179:180], v[179:180], v[181:182]
	s_waitcnt vmcnt(8) lgkmcnt(0)
	v_mul_f64 v[181:182], v[6:7], v[32:33]
	v_mul_f64 v[32:33], v[8:9], v[32:33]
	v_fma_f64 v[185:186], v[4:5], v[26:27], v[185:186]
	v_fma_f64 v[189:190], v[2:3], v[26:27], -v[28:29]
	ds_load_b128 v[2:5], v1 offset:864
	scratch_load_b128 v[26:29], off, off offset:320
	v_add_f64 v[177:178], v[177:178], v[187:188]
	v_add_f64 v[179:180], v[179:180], v[183:184]
	v_fma_f64 v[181:182], v[8:9], v[30:31], v[181:182]
	v_fma_f64 v[187:188], v[6:7], v[30:31], -v[32:33]
	scratch_load_b128 v[30:33], off, off offset:336
	ds_load_b128 v[6:9], v1 offset:880
	s_waitcnt vmcnt(9) lgkmcnt(1)
	v_mul_f64 v[183:184], v[2:3], v[36:37]
	v_mul_f64 v[36:37], v[4:5], v[36:37]
	v_add_f64 v[177:178], v[177:178], v[189:190]
	v_add_f64 v[179:180], v[179:180], v[185:186]
	s_waitcnt vmcnt(8) lgkmcnt(0)
	v_mul_f64 v[185:186], v[6:7], v[175:176]
	v_mul_f64 v[175:176], v[8:9], v[175:176]
	v_fma_f64 v[183:184], v[4:5], v[34:35], v[183:184]
	v_fma_f64 v[189:190], v[2:3], v[34:35], -v[36:37]
	ds_load_b128 v[2:5], v1 offset:896
	scratch_load_b128 v[34:37], off, off offset:352
	v_add_f64 v[177:178], v[177:178], v[187:188]
	v_add_f64 v[179:180], v[179:180], v[181:182]
	v_fma_f64 v[185:186], v[8:9], v[173:174], v[185:186]
	v_fma_f64 v[187:188], v[6:7], v[173:174], -v[175:176]
	scratch_load_b128 v[173:176], off, off offset:368
	ds_load_b128 v[6:9], v1 offset:912
	s_waitcnt vmcnt(9) lgkmcnt(1)
	v_mul_f64 v[181:182], v[2:3], v[40:41]
	v_mul_f64 v[40:41], v[4:5], v[40:41]
	v_add_f64 v[177:178], v[177:178], v[189:190]
	v_add_f64 v[179:180], v[179:180], v[183:184]
	s_waitcnt vmcnt(8) lgkmcnt(0)
	v_mul_f64 v[183:184], v[6:7], v[171:172]
	v_mul_f64 v[171:172], v[8:9], v[171:172]
	v_fma_f64 v[181:182], v[4:5], v[38:39], v[181:182]
	v_fma_f64 v[189:190], v[2:3], v[38:39], -v[40:41]
	ds_load_b128 v[2:5], v1 offset:928
	scratch_load_b128 v[38:41], off, off offset:384
	v_add_f64 v[177:178], v[177:178], v[187:188]
	v_add_f64 v[179:180], v[179:180], v[185:186]
	v_fma_f64 v[183:184], v[8:9], v[169:170], v[183:184]
	v_fma_f64 v[187:188], v[6:7], v[169:170], -v[171:172]
	scratch_load_b128 v[169:172], off, off offset:400
	ds_load_b128 v[6:9], v1 offset:944
	s_waitcnt vmcnt(9) lgkmcnt(1)
	v_mul_f64 v[185:186], v[2:3], v[12:13]
	v_mul_f64 v[12:13], v[4:5], v[12:13]
	v_add_f64 v[177:178], v[177:178], v[189:190]
	v_add_f64 v[179:180], v[179:180], v[181:182]
	s_waitcnt vmcnt(8) lgkmcnt(0)
	v_mul_f64 v[181:182], v[6:7], v[16:17]
	v_mul_f64 v[16:17], v[8:9], v[16:17]
	v_fma_f64 v[185:186], v[4:5], v[10:11], v[185:186]
	v_fma_f64 v[189:190], v[2:3], v[10:11], -v[12:13]
	ds_load_b128 v[2:5], v1 offset:960
	scratch_load_b128 v[10:13], off, off offset:416
	v_add_f64 v[177:178], v[177:178], v[187:188]
	v_add_f64 v[179:180], v[179:180], v[183:184]
	v_fma_f64 v[181:182], v[8:9], v[14:15], v[181:182]
	v_fma_f64 v[187:188], v[6:7], v[14:15], -v[16:17]
	scratch_load_b128 v[14:17], off, off offset:432
	ds_load_b128 v[6:9], v1 offset:976
	s_waitcnt vmcnt(9) lgkmcnt(1)
	v_mul_f64 v[183:184], v[2:3], v[20:21]
	v_mul_f64 v[20:21], v[4:5], v[20:21]
	v_add_f64 v[177:178], v[177:178], v[189:190]
	v_add_f64 v[179:180], v[179:180], v[185:186]
	s_waitcnt vmcnt(8) lgkmcnt(0)
	v_mul_f64 v[185:186], v[6:7], v[24:25]
	v_mul_f64 v[24:25], v[8:9], v[24:25]
	v_fma_f64 v[183:184], v[4:5], v[18:19], v[183:184]
	v_fma_f64 v[189:190], v[2:3], v[18:19], -v[20:21]
	ds_load_b128 v[2:5], v1 offset:992
	scratch_load_b128 v[18:21], off, off offset:448
	v_add_f64 v[177:178], v[177:178], v[187:188]
	v_add_f64 v[179:180], v[179:180], v[181:182]
	v_fma_f64 v[185:186], v[8:9], v[22:23], v[185:186]
	v_fma_f64 v[187:188], v[6:7], v[22:23], -v[24:25]
	scratch_load_b128 v[22:25], off, off offset:464
	ds_load_b128 v[6:9], v1 offset:1008
	s_waitcnt vmcnt(9) lgkmcnt(1)
	v_mul_f64 v[181:182], v[2:3], v[28:29]
	v_mul_f64 v[28:29], v[4:5], v[28:29]
	v_add_f64 v[177:178], v[177:178], v[189:190]
	v_add_f64 v[179:180], v[179:180], v[183:184]
	s_waitcnt vmcnt(8) lgkmcnt(0)
	v_mul_f64 v[183:184], v[6:7], v[32:33]
	v_mul_f64 v[32:33], v[8:9], v[32:33]
	v_fma_f64 v[181:182], v[4:5], v[26:27], v[181:182]
	v_fma_f64 v[189:190], v[2:3], v[26:27], -v[28:29]
	ds_load_b128 v[2:5], v1 offset:1024
	scratch_load_b128 v[26:29], off, off offset:480
	v_add_f64 v[177:178], v[177:178], v[187:188]
	v_add_f64 v[179:180], v[179:180], v[185:186]
	v_fma_f64 v[183:184], v[8:9], v[30:31], v[183:184]
	v_fma_f64 v[187:188], v[6:7], v[30:31], -v[32:33]
	scratch_load_b128 v[30:33], off, off offset:496
	ds_load_b128 v[6:9], v1 offset:1040
	s_waitcnt vmcnt(9) lgkmcnt(1)
	v_mul_f64 v[185:186], v[2:3], v[36:37]
	v_mul_f64 v[36:37], v[4:5], v[36:37]
	v_add_f64 v[177:178], v[177:178], v[189:190]
	v_add_f64 v[179:180], v[179:180], v[181:182]
	s_waitcnt vmcnt(8) lgkmcnt(0)
	v_mul_f64 v[181:182], v[6:7], v[175:176]
	v_mul_f64 v[175:176], v[8:9], v[175:176]
	v_fma_f64 v[185:186], v[4:5], v[34:35], v[185:186]
	v_fma_f64 v[189:190], v[2:3], v[34:35], -v[36:37]
	ds_load_b128 v[2:5], v1 offset:1056
	scratch_load_b128 v[34:37], off, off offset:512
	v_add_f64 v[177:178], v[177:178], v[187:188]
	v_add_f64 v[179:180], v[179:180], v[183:184]
	v_fma_f64 v[181:182], v[8:9], v[173:174], v[181:182]
	v_fma_f64 v[187:188], v[6:7], v[173:174], -v[175:176]
	scratch_load_b128 v[173:176], off, off offset:528
	ds_load_b128 v[6:9], v1 offset:1072
	s_waitcnt vmcnt(9) lgkmcnt(1)
	v_mul_f64 v[183:184], v[2:3], v[40:41]
	v_mul_f64 v[40:41], v[4:5], v[40:41]
	v_add_f64 v[177:178], v[177:178], v[189:190]
	v_add_f64 v[179:180], v[179:180], v[185:186]
	s_waitcnt vmcnt(8) lgkmcnt(0)
	v_mul_f64 v[185:186], v[6:7], v[171:172]
	v_mul_f64 v[171:172], v[8:9], v[171:172]
	v_fma_f64 v[183:184], v[4:5], v[38:39], v[183:184]
	v_fma_f64 v[189:190], v[2:3], v[38:39], -v[40:41]
	ds_load_b128 v[2:5], v1 offset:1088
	scratch_load_b128 v[38:41], off, off offset:544
	v_add_f64 v[177:178], v[177:178], v[187:188]
	v_add_f64 v[179:180], v[179:180], v[181:182]
	v_fma_f64 v[185:186], v[8:9], v[169:170], v[185:186]
	v_fma_f64 v[187:188], v[6:7], v[169:170], -v[171:172]
	ds_load_b128 v[6:9], v1 offset:1104
	s_waitcnt vmcnt(8) lgkmcnt(1)
	v_mul_f64 v[181:182], v[2:3], v[12:13]
	v_mul_f64 v[12:13], v[4:5], v[12:13]
	scratch_load_b128 v[169:172], off, off offset:560
	v_add_f64 v[177:178], v[177:178], v[189:190]
	v_add_f64 v[179:180], v[179:180], v[183:184]
	s_waitcnt vmcnt(8) lgkmcnt(0)
	v_mul_f64 v[183:184], v[6:7], v[16:17]
	v_mul_f64 v[16:17], v[8:9], v[16:17]
	v_fma_f64 v[181:182], v[4:5], v[10:11], v[181:182]
	v_fma_f64 v[189:190], v[2:3], v[10:11], -v[12:13]
	ds_load_b128 v[2:5], v1 offset:1120
	scratch_load_b128 v[10:13], off, off offset:576
	v_add_f64 v[177:178], v[177:178], v[187:188]
	v_add_f64 v[179:180], v[179:180], v[185:186]
	v_fma_f64 v[183:184], v[8:9], v[14:15], v[183:184]
	v_fma_f64 v[187:188], v[6:7], v[14:15], -v[16:17]
	ds_load_b128 v[6:9], v1 offset:1136
	s_waitcnt vmcnt(8) lgkmcnt(1)
	v_mul_f64 v[185:186], v[2:3], v[20:21]
	v_mul_f64 v[20:21], v[4:5], v[20:21]
	scratch_load_b128 v[14:17], off, off offset:592
	v_add_f64 v[177:178], v[177:178], v[189:190]
	v_add_f64 v[179:180], v[179:180], v[181:182]
	s_waitcnt vmcnt(8) lgkmcnt(0)
	v_mul_f64 v[181:182], v[6:7], v[24:25]
	v_mul_f64 v[24:25], v[8:9], v[24:25]
	v_fma_f64 v[185:186], v[4:5], v[18:19], v[185:186]
	v_fma_f64 v[189:190], v[2:3], v[18:19], -v[20:21]
	scratch_load_b128 v[18:21], off, off offset:608
	ds_load_b128 v[2:5], v1 offset:1152
	v_add_f64 v[177:178], v[177:178], v[187:188]
	v_add_f64 v[179:180], v[179:180], v[183:184]
	v_fma_f64 v[181:182], v[8:9], v[22:23], v[181:182]
	v_fma_f64 v[187:188], v[6:7], v[22:23], -v[24:25]
	ds_load_b128 v[6:9], v1 offset:1168
	s_waitcnt vmcnt(8) lgkmcnt(1)
	v_mul_f64 v[183:184], v[2:3], v[28:29]
	v_mul_f64 v[28:29], v[4:5], v[28:29]
	scratch_load_b128 v[22:25], off, off offset:624
	v_add_f64 v[177:178], v[177:178], v[189:190]
	v_add_f64 v[179:180], v[179:180], v[185:186]
	s_waitcnt vmcnt(8) lgkmcnt(0)
	v_mul_f64 v[185:186], v[6:7], v[32:33]
	v_mul_f64 v[32:33], v[8:9], v[32:33]
	v_fma_f64 v[183:184], v[4:5], v[26:27], v[183:184]
	v_fma_f64 v[189:190], v[2:3], v[26:27], -v[28:29]
	scratch_load_b128 v[26:29], off, off offset:640
	ds_load_b128 v[2:5], v1 offset:1184
	v_add_f64 v[177:178], v[177:178], v[187:188]
	v_add_f64 v[179:180], v[179:180], v[181:182]
	v_fma_f64 v[185:186], v[8:9], v[30:31], v[185:186]
	v_fma_f64 v[187:188], v[6:7], v[30:31], -v[32:33]
	ds_load_b128 v[6:9], v1 offset:1200
	s_waitcnt vmcnt(8) lgkmcnt(1)
	v_mul_f64 v[181:182], v[2:3], v[36:37]
	v_mul_f64 v[36:37], v[4:5], v[36:37]
	scratch_load_b128 v[30:33], off, off offset:656
	v_add_f64 v[177:178], v[177:178], v[189:190]
	v_add_f64 v[179:180], v[179:180], v[183:184]
	s_waitcnt vmcnt(8) lgkmcnt(0)
	v_mul_f64 v[183:184], v[6:7], v[175:176]
	v_mul_f64 v[175:176], v[8:9], v[175:176]
	v_fma_f64 v[181:182], v[4:5], v[34:35], v[181:182]
	v_fma_f64 v[34:35], v[2:3], v[34:35], -v[36:37]
	ds_load_b128 v[2:5], v1 offset:1216
	v_add_f64 v[36:37], v[177:178], v[187:188]
	v_add_f64 v[177:178], v[179:180], v[185:186]
	v_fma_f64 v[183:184], v[8:9], v[173:174], v[183:184]
	v_fma_f64 v[173:174], v[6:7], v[173:174], -v[175:176]
	ds_load_b128 v[6:9], v1 offset:1232
	s_waitcnt vmcnt(7) lgkmcnt(1)
	v_mul_f64 v[179:180], v[2:3], v[40:41]
	v_mul_f64 v[40:41], v[4:5], v[40:41]
	v_add_f64 v[34:35], v[36:37], v[34:35]
	v_add_f64 v[36:37], v[177:178], v[181:182]
	s_delay_alu instid0(VALU_DEP_4) | instskip(NEXT) | instid1(VALU_DEP_4)
	v_fma_f64 v[177:178], v[4:5], v[38:39], v[179:180]
	v_fma_f64 v[38:39], v[2:3], v[38:39], -v[40:41]
	ds_load_b128 v[2:5], v1 offset:1248
	v_add_f64 v[40:41], v[34:35], v[173:174]
	v_add_f64 v[173:174], v[36:37], v[183:184]
	scratch_load_b128 v[34:37], off, off offset:48
	s_waitcnt vmcnt(7) lgkmcnt(1)
	v_mul_f64 v[175:176], v[6:7], v[171:172]
	v_mul_f64 v[171:172], v[8:9], v[171:172]
	v_add_f64 v[38:39], v[40:41], v[38:39]
	v_add_f64 v[40:41], v[173:174], v[177:178]
	s_delay_alu instid0(VALU_DEP_4) | instskip(NEXT) | instid1(VALU_DEP_4)
	v_fma_f64 v[175:176], v[8:9], v[169:170], v[175:176]
	v_fma_f64 v[169:170], v[6:7], v[169:170], -v[171:172]
	ds_load_b128 v[6:9], v1 offset:1264
	s_waitcnt vmcnt(6) lgkmcnt(1)
	v_mul_f64 v[179:180], v[2:3], v[12:13]
	v_mul_f64 v[12:13], v[4:5], v[12:13]
	s_waitcnt vmcnt(5) lgkmcnt(0)
	v_mul_f64 v[171:172], v[6:7], v[16:17]
	v_mul_f64 v[16:17], v[8:9], v[16:17]
	s_delay_alu instid0(VALU_DEP_4) | instskip(NEXT) | instid1(VALU_DEP_4)
	v_fma_f64 v[173:174], v[4:5], v[10:11], v[179:180]
	v_fma_f64 v[10:11], v[2:3], v[10:11], -v[12:13]
	v_add_f64 v[12:13], v[38:39], v[169:170]
	v_add_f64 v[38:39], v[40:41], v[175:176]
	ds_load_b128 v[2:5], v1 offset:1280
	v_fma_f64 v[169:170], v[8:9], v[14:15], v[171:172]
	v_fma_f64 v[14:15], v[6:7], v[14:15], -v[16:17]
	ds_load_b128 v[6:9], v1 offset:1296
	s_waitcnt vmcnt(4) lgkmcnt(1)
	v_mul_f64 v[40:41], v[2:3], v[20:21]
	v_mul_f64 v[20:21], v[4:5], v[20:21]
	v_add_f64 v[10:11], v[12:13], v[10:11]
	v_add_f64 v[12:13], v[38:39], v[173:174]
	s_waitcnt vmcnt(3) lgkmcnt(0)
	v_mul_f64 v[16:17], v[6:7], v[24:25]
	v_mul_f64 v[24:25], v[8:9], v[24:25]
	v_fma_f64 v[38:39], v[4:5], v[18:19], v[40:41]
	v_fma_f64 v[18:19], v[2:3], v[18:19], -v[20:21]
	ds_load_b128 v[2:5], v1 offset:1312
	v_add_f64 v[10:11], v[10:11], v[14:15]
	v_add_f64 v[12:13], v[12:13], v[169:170]
	v_fma_f64 v[16:17], v[8:9], v[22:23], v[16:17]
	v_fma_f64 v[22:23], v[6:7], v[22:23], -v[24:25]
	ds_load_b128 v[6:9], v1 offset:1328
	s_waitcnt vmcnt(2) lgkmcnt(1)
	v_mul_f64 v[14:15], v[2:3], v[28:29]
	v_mul_f64 v[20:21], v[4:5], v[28:29]
	s_waitcnt vmcnt(1) lgkmcnt(0)
	v_mul_f64 v[24:25], v[8:9], v[32:33]
	v_add_f64 v[10:11], v[10:11], v[18:19]
	v_add_f64 v[12:13], v[12:13], v[38:39]
	v_mul_f64 v[18:19], v[6:7], v[32:33]
	v_fma_f64 v[4:5], v[4:5], v[26:27], v[14:15]
	v_fma_f64 v[1:2], v[2:3], v[26:27], -v[20:21]
	v_fma_f64 v[6:7], v[6:7], v[30:31], -v[24:25]
	v_add_f64 v[10:11], v[10:11], v[22:23]
	v_add_f64 v[12:13], v[12:13], v[16:17]
	v_fma_f64 v[8:9], v[8:9], v[30:31], v[18:19]
	s_delay_alu instid0(VALU_DEP_3) | instskip(NEXT) | instid1(VALU_DEP_3)
	v_add_f64 v[1:2], v[10:11], v[1:2]
	v_add_f64 v[3:4], v[12:13], v[4:5]
	s_delay_alu instid0(VALU_DEP_2) | instskip(NEXT) | instid1(VALU_DEP_2)
	v_add_f64 v[1:2], v[1:2], v[6:7]
	v_add_f64 v[3:4], v[3:4], v[8:9]
	s_waitcnt vmcnt(0)
	s_delay_alu instid0(VALU_DEP_2) | instskip(NEXT) | instid1(VALU_DEP_2)
	v_add_f64 v[1:2], v[34:35], -v[1:2]
	v_add_f64 v[3:4], v[36:37], -v[3:4]
	scratch_store_b128 off, v[1:4], off offset:48
	v_cmpx_lt_u32_e32 2, v126
	s_cbranch_execz .LBB41_261
; %bb.260:
	scratch_load_b128 v[1:4], v148, off
	v_mov_b32_e32 v5, 0
	s_delay_alu instid0(VALU_DEP_1)
	v_mov_b32_e32 v6, v5
	v_mov_b32_e32 v7, v5
	;; [unrolled: 1-line block ×3, first 2 shown]
	scratch_store_b128 off, v[5:8], off offset:32
	s_waitcnt vmcnt(0)
	ds_store_b128 v168, v[1:4]
.LBB41_261:
	s_or_b32 exec_lo, exec_lo, s2
	s_waitcnt lgkmcnt(0)
	s_waitcnt_vscnt null, 0x0
	s_barrier
	buffer_gl0_inv
	s_clause 0x7
	scratch_load_b128 v[2:5], off, off offset:48
	scratch_load_b128 v[6:9], off, off offset:64
	;; [unrolled: 1-line block ×8, first 2 shown]
	v_mov_b32_e32 v1, 0
	s_clause 0x1
	scratch_load_b128 v[34:37], off, off offset:176
	scratch_load_b128 v[173:176], off, off offset:192
	s_mov_b32 s2, exec_lo
	ds_load_b128 v[38:41], v1 offset:720
	ds_load_b128 v[169:172], v1 offset:736
	s_waitcnt vmcnt(9) lgkmcnt(1)
	v_mul_f64 v[177:178], v[40:41], v[4:5]
	v_mul_f64 v[4:5], v[38:39], v[4:5]
	s_waitcnt vmcnt(8) lgkmcnt(0)
	v_mul_f64 v[179:180], v[169:170], v[8:9]
	v_mul_f64 v[8:9], v[171:172], v[8:9]
	s_delay_alu instid0(VALU_DEP_4) | instskip(NEXT) | instid1(VALU_DEP_4)
	v_fma_f64 v[177:178], v[38:39], v[2:3], -v[177:178]
	v_fma_f64 v[181:182], v[40:41], v[2:3], v[4:5]
	ds_load_b128 v[2:5], v1 offset:752
	scratch_load_b128 v[38:41], off, off offset:208
	v_fma_f64 v[179:180], v[171:172], v[6:7], v[179:180]
	v_fma_f64 v[185:186], v[169:170], v[6:7], -v[8:9]
	scratch_load_b128 v[169:172], off, off offset:224
	ds_load_b128 v[6:9], v1 offset:768
	s_waitcnt vmcnt(9) lgkmcnt(1)
	v_mul_f64 v[183:184], v[2:3], v[12:13]
	v_mul_f64 v[12:13], v[4:5], v[12:13]
	s_waitcnt vmcnt(8) lgkmcnt(0)
	v_mul_f64 v[187:188], v[6:7], v[16:17]
	v_mul_f64 v[16:17], v[8:9], v[16:17]
	v_add_f64 v[177:178], v[177:178], 0
	v_add_f64 v[181:182], v[181:182], 0
	v_fma_f64 v[183:184], v[4:5], v[10:11], v[183:184]
	v_fma_f64 v[189:190], v[2:3], v[10:11], -v[12:13]
	ds_load_b128 v[2:5], v1 offset:784
	scratch_load_b128 v[10:13], off, off offset:240
	v_add_f64 v[177:178], v[177:178], v[185:186]
	v_add_f64 v[179:180], v[181:182], v[179:180]
	v_fma_f64 v[185:186], v[8:9], v[14:15], v[187:188]
	v_fma_f64 v[187:188], v[6:7], v[14:15], -v[16:17]
	scratch_load_b128 v[14:17], off, off offset:256
	ds_load_b128 v[6:9], v1 offset:800
	s_waitcnt vmcnt(9) lgkmcnt(1)
	v_mul_f64 v[181:182], v[2:3], v[20:21]
	v_mul_f64 v[20:21], v[4:5], v[20:21]
	v_add_f64 v[177:178], v[177:178], v[189:190]
	v_add_f64 v[179:180], v[179:180], v[183:184]
	s_waitcnt vmcnt(8) lgkmcnt(0)
	v_mul_f64 v[183:184], v[6:7], v[24:25]
	v_mul_f64 v[24:25], v[8:9], v[24:25]
	v_fma_f64 v[181:182], v[4:5], v[18:19], v[181:182]
	v_fma_f64 v[189:190], v[2:3], v[18:19], -v[20:21]
	ds_load_b128 v[2:5], v1 offset:816
	scratch_load_b128 v[18:21], off, off offset:272
	v_add_f64 v[177:178], v[177:178], v[187:188]
	v_add_f64 v[179:180], v[179:180], v[185:186]
	v_fma_f64 v[183:184], v[8:9], v[22:23], v[183:184]
	v_fma_f64 v[187:188], v[6:7], v[22:23], -v[24:25]
	scratch_load_b128 v[22:25], off, off offset:288
	ds_load_b128 v[6:9], v1 offset:832
	s_waitcnt vmcnt(9) lgkmcnt(1)
	v_mul_f64 v[185:186], v[2:3], v[28:29]
	v_mul_f64 v[28:29], v[4:5], v[28:29]
	v_add_f64 v[177:178], v[177:178], v[189:190]
	v_add_f64 v[179:180], v[179:180], v[181:182]
	s_waitcnt vmcnt(8) lgkmcnt(0)
	v_mul_f64 v[181:182], v[6:7], v[32:33]
	v_mul_f64 v[32:33], v[8:9], v[32:33]
	;; [unrolled: 18-line block ×10, first 2 shown]
	v_fma_f64 v[181:182], v[4:5], v[10:11], v[181:182]
	v_fma_f64 v[189:190], v[2:3], v[10:11], -v[12:13]
	ds_load_b128 v[2:5], v1 offset:1104
	scratch_load_b128 v[10:13], off, off offset:560
	v_add_f64 v[177:178], v[177:178], v[187:188]
	v_add_f64 v[179:180], v[179:180], v[185:186]
	v_fma_f64 v[183:184], v[8:9], v[14:15], v[183:184]
	v_fma_f64 v[187:188], v[6:7], v[14:15], -v[16:17]
	ds_load_b128 v[6:9], v1 offset:1120
	s_waitcnt vmcnt(8) lgkmcnt(1)
	v_mul_f64 v[185:186], v[2:3], v[20:21]
	v_mul_f64 v[20:21], v[4:5], v[20:21]
	scratch_load_b128 v[14:17], off, off offset:576
	v_add_f64 v[177:178], v[177:178], v[189:190]
	v_add_f64 v[179:180], v[179:180], v[181:182]
	s_waitcnt vmcnt(8) lgkmcnt(0)
	v_mul_f64 v[181:182], v[6:7], v[24:25]
	v_mul_f64 v[24:25], v[8:9], v[24:25]
	v_fma_f64 v[185:186], v[4:5], v[18:19], v[185:186]
	v_fma_f64 v[189:190], v[2:3], v[18:19], -v[20:21]
	scratch_load_b128 v[18:21], off, off offset:592
	ds_load_b128 v[2:5], v1 offset:1136
	v_add_f64 v[177:178], v[177:178], v[187:188]
	v_add_f64 v[179:180], v[179:180], v[183:184]
	v_fma_f64 v[181:182], v[8:9], v[22:23], v[181:182]
	v_fma_f64 v[187:188], v[6:7], v[22:23], -v[24:25]
	ds_load_b128 v[6:9], v1 offset:1152
	s_waitcnt vmcnt(8) lgkmcnt(1)
	v_mul_f64 v[183:184], v[2:3], v[28:29]
	v_mul_f64 v[28:29], v[4:5], v[28:29]
	scratch_load_b128 v[22:25], off, off offset:608
	v_add_f64 v[177:178], v[177:178], v[189:190]
	v_add_f64 v[179:180], v[179:180], v[185:186]
	s_waitcnt vmcnt(8) lgkmcnt(0)
	v_mul_f64 v[185:186], v[6:7], v[32:33]
	v_mul_f64 v[32:33], v[8:9], v[32:33]
	v_fma_f64 v[183:184], v[4:5], v[26:27], v[183:184]
	v_fma_f64 v[189:190], v[2:3], v[26:27], -v[28:29]
	scratch_load_b128 v[26:29], off, off offset:624
	ds_load_b128 v[2:5], v1 offset:1168
	v_add_f64 v[177:178], v[177:178], v[187:188]
	v_add_f64 v[179:180], v[179:180], v[181:182]
	v_fma_f64 v[185:186], v[8:9], v[30:31], v[185:186]
	v_fma_f64 v[187:188], v[6:7], v[30:31], -v[32:33]
	ds_load_b128 v[6:9], v1 offset:1184
	s_waitcnt vmcnt(8) lgkmcnt(1)
	v_mul_f64 v[181:182], v[2:3], v[36:37]
	v_mul_f64 v[36:37], v[4:5], v[36:37]
	scratch_load_b128 v[30:33], off, off offset:640
	v_add_f64 v[177:178], v[177:178], v[189:190]
	v_add_f64 v[179:180], v[179:180], v[183:184]
	s_waitcnt vmcnt(8) lgkmcnt(0)
	v_mul_f64 v[183:184], v[6:7], v[175:176]
	v_mul_f64 v[175:176], v[8:9], v[175:176]
	v_fma_f64 v[181:182], v[4:5], v[34:35], v[181:182]
	v_fma_f64 v[189:190], v[2:3], v[34:35], -v[36:37]
	scratch_load_b128 v[34:37], off, off offset:656
	ds_load_b128 v[2:5], v1 offset:1200
	v_add_f64 v[177:178], v[177:178], v[187:188]
	v_add_f64 v[179:180], v[179:180], v[185:186]
	v_fma_f64 v[183:184], v[8:9], v[173:174], v[183:184]
	v_fma_f64 v[173:174], v[6:7], v[173:174], -v[175:176]
	ds_load_b128 v[6:9], v1 offset:1216
	s_waitcnt vmcnt(8) lgkmcnt(1)
	v_mul_f64 v[185:186], v[2:3], v[40:41]
	v_mul_f64 v[40:41], v[4:5], v[40:41]
	v_add_f64 v[175:176], v[177:178], v[189:190]
	v_add_f64 v[177:178], v[179:180], v[181:182]
	s_waitcnt vmcnt(7) lgkmcnt(0)
	v_mul_f64 v[179:180], v[6:7], v[171:172]
	v_mul_f64 v[171:172], v[8:9], v[171:172]
	v_fma_f64 v[181:182], v[4:5], v[38:39], v[185:186]
	v_fma_f64 v[38:39], v[2:3], v[38:39], -v[40:41]
	ds_load_b128 v[2:5], v1 offset:1232
	v_add_f64 v[40:41], v[175:176], v[173:174]
	v_add_f64 v[173:174], v[177:178], v[183:184]
	v_fma_f64 v[177:178], v[8:9], v[169:170], v[179:180]
	v_fma_f64 v[169:170], v[6:7], v[169:170], -v[171:172]
	ds_load_b128 v[6:9], v1 offset:1248
	s_waitcnt vmcnt(5) lgkmcnt(0)
	v_mul_f64 v[179:180], v[6:7], v[16:17]
	v_mul_f64 v[16:17], v[8:9], v[16:17]
	v_add_f64 v[171:172], v[40:41], v[38:39]
	v_add_f64 v[173:174], v[173:174], v[181:182]
	scratch_load_b128 v[38:41], off, off offset:32
	v_mul_f64 v[175:176], v[2:3], v[12:13]
	v_mul_f64 v[12:13], v[4:5], v[12:13]
	s_delay_alu instid0(VALU_DEP_2) | instskip(NEXT) | instid1(VALU_DEP_2)
	v_fma_f64 v[175:176], v[4:5], v[10:11], v[175:176]
	v_fma_f64 v[10:11], v[2:3], v[10:11], -v[12:13]
	v_add_f64 v[12:13], v[171:172], v[169:170]
	v_add_f64 v[169:170], v[173:174], v[177:178]
	ds_load_b128 v[2:5], v1 offset:1264
	v_fma_f64 v[173:174], v[8:9], v[14:15], v[179:180]
	v_fma_f64 v[14:15], v[6:7], v[14:15], -v[16:17]
	ds_load_b128 v[6:9], v1 offset:1280
	s_waitcnt vmcnt(5) lgkmcnt(1)
	v_mul_f64 v[171:172], v[2:3], v[20:21]
	v_mul_f64 v[20:21], v[4:5], v[20:21]
	s_waitcnt vmcnt(4) lgkmcnt(0)
	v_mul_f64 v[16:17], v[6:7], v[24:25]
	v_mul_f64 v[24:25], v[8:9], v[24:25]
	v_add_f64 v[10:11], v[12:13], v[10:11]
	v_add_f64 v[12:13], v[169:170], v[175:176]
	v_fma_f64 v[169:170], v[4:5], v[18:19], v[171:172]
	v_fma_f64 v[18:19], v[2:3], v[18:19], -v[20:21]
	ds_load_b128 v[2:5], v1 offset:1296
	v_fma_f64 v[16:17], v[8:9], v[22:23], v[16:17]
	v_fma_f64 v[22:23], v[6:7], v[22:23], -v[24:25]
	ds_load_b128 v[6:9], v1 offset:1312
	v_add_f64 v[10:11], v[10:11], v[14:15]
	v_add_f64 v[12:13], v[12:13], v[173:174]
	s_waitcnt vmcnt(3) lgkmcnt(1)
	v_mul_f64 v[14:15], v[2:3], v[28:29]
	v_mul_f64 v[20:21], v[4:5], v[28:29]
	s_waitcnt vmcnt(2) lgkmcnt(0)
	v_mul_f64 v[24:25], v[8:9], v[32:33]
	v_add_f64 v[10:11], v[10:11], v[18:19]
	v_add_f64 v[12:13], v[12:13], v[169:170]
	v_mul_f64 v[18:19], v[6:7], v[32:33]
	v_fma_f64 v[14:15], v[4:5], v[26:27], v[14:15]
	v_fma_f64 v[20:21], v[2:3], v[26:27], -v[20:21]
	ds_load_b128 v[2:5], v1 offset:1328
	v_fma_f64 v[6:7], v[6:7], v[30:31], -v[24:25]
	v_add_f64 v[10:11], v[10:11], v[22:23]
	v_add_f64 v[12:13], v[12:13], v[16:17]
	s_waitcnt vmcnt(1) lgkmcnt(0)
	v_mul_f64 v[16:17], v[2:3], v[36:37]
	v_mul_f64 v[22:23], v[4:5], v[36:37]
	v_fma_f64 v[8:9], v[8:9], v[30:31], v[18:19]
	v_add_f64 v[10:11], v[10:11], v[20:21]
	v_add_f64 v[12:13], v[12:13], v[14:15]
	v_fma_f64 v[4:5], v[4:5], v[34:35], v[16:17]
	v_fma_f64 v[2:3], v[2:3], v[34:35], -v[22:23]
	s_delay_alu instid0(VALU_DEP_4) | instskip(NEXT) | instid1(VALU_DEP_4)
	v_add_f64 v[6:7], v[10:11], v[6:7]
	v_add_f64 v[8:9], v[12:13], v[8:9]
	s_delay_alu instid0(VALU_DEP_2) | instskip(NEXT) | instid1(VALU_DEP_2)
	v_add_f64 v[2:3], v[6:7], v[2:3]
	v_add_f64 v[4:5], v[8:9], v[4:5]
	s_waitcnt vmcnt(0)
	s_delay_alu instid0(VALU_DEP_2) | instskip(NEXT) | instid1(VALU_DEP_2)
	v_add_f64 v[2:3], v[38:39], -v[2:3]
	v_add_f64 v[4:5], v[40:41], -v[4:5]
	scratch_store_b128 off, v[2:5], off offset:32
	v_cmpx_lt_u32_e32 1, v126
	s_cbranch_execz .LBB41_263
; %bb.262:
	scratch_load_b128 v[5:8], v150, off
	v_mov_b32_e32 v2, v1
	v_mov_b32_e32 v3, v1
	;; [unrolled: 1-line block ×3, first 2 shown]
	scratch_store_b128 off, v[1:4], off offset:16
	s_waitcnt vmcnt(0)
	ds_store_b128 v168, v[5:8]
.LBB41_263:
	s_or_b32 exec_lo, exec_lo, s2
	s_waitcnt lgkmcnt(0)
	s_waitcnt_vscnt null, 0x0
	s_barrier
	buffer_gl0_inv
	s_clause 0x7
	scratch_load_b128 v[2:5], off, off offset:32
	scratch_load_b128 v[6:9], off, off offset:48
	;; [unrolled: 1-line block ×8, first 2 shown]
	ds_load_b128 v[38:41], v1 offset:704
	ds_load_b128 v[169:172], v1 offset:720
	s_clause 0x1
	scratch_load_b128 v[34:37], off, off offset:160
	scratch_load_b128 v[173:176], off, off offset:176
	s_mov_b32 s2, exec_lo
	s_waitcnt vmcnt(9) lgkmcnt(1)
	v_mul_f64 v[177:178], v[40:41], v[4:5]
	v_mul_f64 v[4:5], v[38:39], v[4:5]
	s_waitcnt vmcnt(8) lgkmcnt(0)
	v_mul_f64 v[179:180], v[169:170], v[8:9]
	v_mul_f64 v[8:9], v[171:172], v[8:9]
	s_delay_alu instid0(VALU_DEP_4) | instskip(NEXT) | instid1(VALU_DEP_4)
	v_fma_f64 v[177:178], v[38:39], v[2:3], -v[177:178]
	v_fma_f64 v[181:182], v[40:41], v[2:3], v[4:5]
	ds_load_b128 v[2:5], v1 offset:736
	scratch_load_b128 v[38:41], off, off offset:192
	v_fma_f64 v[179:180], v[171:172], v[6:7], v[179:180]
	v_fma_f64 v[185:186], v[169:170], v[6:7], -v[8:9]
	scratch_load_b128 v[169:172], off, off offset:208
	ds_load_b128 v[6:9], v1 offset:752
	s_waitcnt vmcnt(9) lgkmcnt(1)
	v_mul_f64 v[183:184], v[2:3], v[12:13]
	v_mul_f64 v[12:13], v[4:5], v[12:13]
	s_waitcnt vmcnt(8) lgkmcnt(0)
	v_mul_f64 v[187:188], v[6:7], v[16:17]
	v_mul_f64 v[16:17], v[8:9], v[16:17]
	v_add_f64 v[177:178], v[177:178], 0
	v_add_f64 v[181:182], v[181:182], 0
	v_fma_f64 v[183:184], v[4:5], v[10:11], v[183:184]
	v_fma_f64 v[189:190], v[2:3], v[10:11], -v[12:13]
	ds_load_b128 v[2:5], v1 offset:768
	scratch_load_b128 v[10:13], off, off offset:224
	v_add_f64 v[177:178], v[177:178], v[185:186]
	v_add_f64 v[179:180], v[181:182], v[179:180]
	v_fma_f64 v[185:186], v[8:9], v[14:15], v[187:188]
	v_fma_f64 v[187:188], v[6:7], v[14:15], -v[16:17]
	scratch_load_b128 v[14:17], off, off offset:240
	ds_load_b128 v[6:9], v1 offset:784
	s_waitcnt vmcnt(9) lgkmcnt(1)
	v_mul_f64 v[181:182], v[2:3], v[20:21]
	v_mul_f64 v[20:21], v[4:5], v[20:21]
	v_add_f64 v[177:178], v[177:178], v[189:190]
	v_add_f64 v[179:180], v[179:180], v[183:184]
	s_waitcnt vmcnt(8) lgkmcnt(0)
	v_mul_f64 v[183:184], v[6:7], v[24:25]
	v_mul_f64 v[24:25], v[8:9], v[24:25]
	v_fma_f64 v[181:182], v[4:5], v[18:19], v[181:182]
	v_fma_f64 v[189:190], v[2:3], v[18:19], -v[20:21]
	ds_load_b128 v[2:5], v1 offset:800
	scratch_load_b128 v[18:21], off, off offset:256
	v_add_f64 v[177:178], v[177:178], v[187:188]
	v_add_f64 v[179:180], v[179:180], v[185:186]
	v_fma_f64 v[183:184], v[8:9], v[22:23], v[183:184]
	v_fma_f64 v[187:188], v[6:7], v[22:23], -v[24:25]
	scratch_load_b128 v[22:25], off, off offset:272
	ds_load_b128 v[6:9], v1 offset:816
	s_waitcnt vmcnt(9) lgkmcnt(1)
	v_mul_f64 v[185:186], v[2:3], v[28:29]
	v_mul_f64 v[28:29], v[4:5], v[28:29]
	v_add_f64 v[177:178], v[177:178], v[189:190]
	v_add_f64 v[179:180], v[179:180], v[181:182]
	s_waitcnt vmcnt(8) lgkmcnt(0)
	v_mul_f64 v[181:182], v[6:7], v[32:33]
	v_mul_f64 v[32:33], v[8:9], v[32:33]
	;; [unrolled: 18-line block ×5, first 2 shown]
	v_fma_f64 v[185:186], v[4:5], v[10:11], v[185:186]
	v_fma_f64 v[189:190], v[2:3], v[10:11], -v[12:13]
	scratch_load_b128 v[10:13], off, off offset:384
	ds_load_b128 v[2:5], v1 offset:928
	v_add_f64 v[177:178], v[177:178], v[187:188]
	v_add_f64 v[179:180], v[179:180], v[183:184]
	v_fma_f64 v[181:182], v[8:9], v[14:15], v[181:182]
	v_fma_f64 v[187:188], v[6:7], v[14:15], -v[16:17]
	ds_load_b128 v[6:9], v1 offset:944
	s_waitcnt vmcnt(8) lgkmcnt(1)
	v_mul_f64 v[183:184], v[2:3], v[20:21]
	v_mul_f64 v[20:21], v[4:5], v[20:21]
	scratch_load_b128 v[14:17], off, off offset:400
	v_add_f64 v[177:178], v[177:178], v[189:190]
	v_add_f64 v[179:180], v[179:180], v[185:186]
	s_waitcnt vmcnt(8) lgkmcnt(0)
	v_mul_f64 v[185:186], v[6:7], v[24:25]
	v_mul_f64 v[24:25], v[8:9], v[24:25]
	v_fma_f64 v[183:184], v[4:5], v[18:19], v[183:184]
	v_fma_f64 v[189:190], v[2:3], v[18:19], -v[20:21]
	ds_load_b128 v[2:5], v1 offset:960
	scratch_load_b128 v[18:21], off, off offset:416
	v_add_f64 v[177:178], v[177:178], v[187:188]
	v_add_f64 v[179:180], v[179:180], v[181:182]
	v_fma_f64 v[185:186], v[8:9], v[22:23], v[185:186]
	v_fma_f64 v[187:188], v[6:7], v[22:23], -v[24:25]
	scratch_load_b128 v[22:25], off, off offset:432
	ds_load_b128 v[6:9], v1 offset:976
	s_waitcnt vmcnt(9) lgkmcnt(1)
	v_mul_f64 v[181:182], v[2:3], v[28:29]
	v_mul_f64 v[28:29], v[4:5], v[28:29]
	v_add_f64 v[177:178], v[177:178], v[189:190]
	v_add_f64 v[179:180], v[179:180], v[183:184]
	s_waitcnt vmcnt(8) lgkmcnt(0)
	v_mul_f64 v[183:184], v[6:7], v[32:33]
	v_mul_f64 v[32:33], v[8:9], v[32:33]
	v_fma_f64 v[181:182], v[4:5], v[26:27], v[181:182]
	v_fma_f64 v[189:190], v[2:3], v[26:27], -v[28:29]
	ds_load_b128 v[2:5], v1 offset:992
	scratch_load_b128 v[26:29], off, off offset:448
	v_add_f64 v[177:178], v[177:178], v[187:188]
	v_add_f64 v[179:180], v[179:180], v[185:186]
	v_fma_f64 v[183:184], v[8:9], v[30:31], v[183:184]
	v_fma_f64 v[187:188], v[6:7], v[30:31], -v[32:33]
	scratch_load_b128 v[30:33], off, off offset:464
	ds_load_b128 v[6:9], v1 offset:1008
	s_waitcnt vmcnt(9) lgkmcnt(1)
	v_mul_f64 v[185:186], v[2:3], v[36:37]
	v_mul_f64 v[36:37], v[4:5], v[36:37]
	;; [unrolled: 18-line block ×3, first 2 shown]
	v_add_f64 v[177:178], v[177:178], v[189:190]
	v_add_f64 v[179:180], v[179:180], v[185:186]
	s_waitcnt vmcnt(8) lgkmcnt(0)
	v_mul_f64 v[185:186], v[6:7], v[171:172]
	v_mul_f64 v[171:172], v[8:9], v[171:172]
	v_fma_f64 v[183:184], v[4:5], v[38:39], v[183:184]
	v_fma_f64 v[189:190], v[2:3], v[38:39], -v[40:41]
	ds_load_b128 v[2:5], v1 offset:1056
	scratch_load_b128 v[38:41], off, off offset:512
	v_add_f64 v[177:178], v[177:178], v[187:188]
	v_add_f64 v[179:180], v[179:180], v[181:182]
	v_fma_f64 v[185:186], v[8:9], v[169:170], v[185:186]
	v_fma_f64 v[187:188], v[6:7], v[169:170], -v[171:172]
	ds_load_b128 v[6:9], v1 offset:1072
	s_waitcnt vmcnt(8) lgkmcnt(1)
	v_mul_f64 v[181:182], v[2:3], v[12:13]
	v_mul_f64 v[12:13], v[4:5], v[12:13]
	scratch_load_b128 v[169:172], off, off offset:528
	v_add_f64 v[177:178], v[177:178], v[189:190]
	v_add_f64 v[179:180], v[179:180], v[183:184]
	s_waitcnt vmcnt(8) lgkmcnt(0)
	v_mul_f64 v[183:184], v[6:7], v[16:17]
	v_mul_f64 v[16:17], v[8:9], v[16:17]
	v_fma_f64 v[181:182], v[4:5], v[10:11], v[181:182]
	v_fma_f64 v[189:190], v[2:3], v[10:11], -v[12:13]
	scratch_load_b128 v[10:13], off, off offset:544
	ds_load_b128 v[2:5], v1 offset:1088
	v_add_f64 v[177:178], v[177:178], v[187:188]
	v_add_f64 v[179:180], v[179:180], v[185:186]
	v_fma_f64 v[183:184], v[8:9], v[14:15], v[183:184]
	v_fma_f64 v[187:188], v[6:7], v[14:15], -v[16:17]
	ds_load_b128 v[6:9], v1 offset:1104
	s_waitcnt vmcnt(8) lgkmcnt(1)
	v_mul_f64 v[185:186], v[2:3], v[20:21]
	v_mul_f64 v[20:21], v[4:5], v[20:21]
	scratch_load_b128 v[14:17], off, off offset:560
	v_add_f64 v[177:178], v[177:178], v[189:190]
	v_add_f64 v[179:180], v[179:180], v[181:182]
	s_waitcnt vmcnt(8) lgkmcnt(0)
	v_mul_f64 v[181:182], v[6:7], v[24:25]
	v_mul_f64 v[24:25], v[8:9], v[24:25]
	v_fma_f64 v[185:186], v[4:5], v[18:19], v[185:186]
	v_fma_f64 v[189:190], v[2:3], v[18:19], -v[20:21]
	scratch_load_b128 v[18:21], off, off offset:576
	ds_load_b128 v[2:5], v1 offset:1120
	;; [unrolled: 18-line block ×4, first 2 shown]
	v_add_f64 v[177:178], v[177:178], v[187:188]
	v_add_f64 v[179:180], v[179:180], v[185:186]
	v_fma_f64 v[183:184], v[8:9], v[173:174], v[183:184]
	v_fma_f64 v[187:188], v[6:7], v[173:174], -v[175:176]
	ds_load_b128 v[6:9], v1 offset:1200
	s_waitcnt vmcnt(8) lgkmcnt(1)
	v_mul_f64 v[185:186], v[2:3], v[40:41]
	v_mul_f64 v[40:41], v[4:5], v[40:41]
	scratch_load_b128 v[173:176], off, off offset:656
	v_add_f64 v[177:178], v[177:178], v[189:190]
	v_add_f64 v[179:180], v[179:180], v[181:182]
	v_fma_f64 v[185:186], v[4:5], v[38:39], v[185:186]
	v_fma_f64 v[38:39], v[2:3], v[38:39], -v[40:41]
	ds_load_b128 v[2:5], v1 offset:1216
	v_add_f64 v[40:41], v[177:178], v[187:188]
	v_add_f64 v[177:178], v[179:180], v[183:184]
	s_waitcnt vmcnt(7) lgkmcnt(0)
	v_mul_f64 v[179:180], v[2:3], v[12:13]
	v_mul_f64 v[12:13], v[4:5], v[12:13]
	s_delay_alu instid0(VALU_DEP_4) | instskip(NEXT) | instid1(VALU_DEP_4)
	v_add_f64 v[38:39], v[40:41], v[38:39]
	v_add_f64 v[40:41], v[177:178], v[185:186]
	s_delay_alu instid0(VALU_DEP_4) | instskip(NEXT) | instid1(VALU_DEP_4)
	v_fma_f64 v[177:178], v[4:5], v[10:11], v[179:180]
	v_fma_f64 v[179:180], v[2:3], v[10:11], -v[12:13]
	scratch_load_b128 v[10:13], off, off offset:16
	v_mul_f64 v[181:182], v[6:7], v[171:172]
	v_mul_f64 v[171:172], v[8:9], v[171:172]
	ds_load_b128 v[2:5], v1 offset:1248
	v_fma_f64 v[181:182], v[8:9], v[169:170], v[181:182]
	v_fma_f64 v[169:170], v[6:7], v[169:170], -v[171:172]
	ds_load_b128 v[6:9], v1 offset:1232
	s_waitcnt vmcnt(7) lgkmcnt(0)
	v_mul_f64 v[171:172], v[6:7], v[16:17]
	v_mul_f64 v[16:17], v[8:9], v[16:17]
	v_add_f64 v[40:41], v[40:41], v[181:182]
	v_add_f64 v[38:39], v[38:39], v[169:170]
	s_waitcnt vmcnt(6)
	v_mul_f64 v[169:170], v[2:3], v[20:21]
	v_mul_f64 v[20:21], v[4:5], v[20:21]
	v_fma_f64 v[171:172], v[8:9], v[14:15], v[171:172]
	v_fma_f64 v[14:15], v[6:7], v[14:15], -v[16:17]
	ds_load_b128 v[6:9], v1 offset:1264
	v_add_f64 v[16:17], v[38:39], v[179:180]
	v_add_f64 v[38:39], v[40:41], v[177:178]
	v_fma_f64 v[169:170], v[4:5], v[18:19], v[169:170]
	v_fma_f64 v[18:19], v[2:3], v[18:19], -v[20:21]
	ds_load_b128 v[2:5], v1 offset:1280
	s_waitcnt vmcnt(5) lgkmcnt(1)
	v_mul_f64 v[40:41], v[6:7], v[24:25]
	v_mul_f64 v[24:25], v[8:9], v[24:25]
	s_waitcnt vmcnt(4) lgkmcnt(0)
	v_mul_f64 v[20:21], v[2:3], v[28:29]
	v_mul_f64 v[28:29], v[4:5], v[28:29]
	v_add_f64 v[14:15], v[16:17], v[14:15]
	v_add_f64 v[16:17], v[38:39], v[171:172]
	v_fma_f64 v[38:39], v[8:9], v[22:23], v[40:41]
	v_fma_f64 v[22:23], v[6:7], v[22:23], -v[24:25]
	ds_load_b128 v[6:9], v1 offset:1296
	v_fma_f64 v[20:21], v[4:5], v[26:27], v[20:21]
	v_fma_f64 v[26:27], v[2:3], v[26:27], -v[28:29]
	ds_load_b128 v[2:5], v1 offset:1312
	s_waitcnt vmcnt(3) lgkmcnt(1)
	v_mul_f64 v[24:25], v[8:9], v[32:33]
	v_add_f64 v[14:15], v[14:15], v[18:19]
	v_add_f64 v[16:17], v[16:17], v[169:170]
	v_mul_f64 v[18:19], v[6:7], v[32:33]
	s_waitcnt vmcnt(2) lgkmcnt(0)
	v_mul_f64 v[28:29], v[4:5], v[36:37]
	v_fma_f64 v[24:25], v[6:7], v[30:31], -v[24:25]
	v_add_f64 v[14:15], v[14:15], v[22:23]
	v_add_f64 v[16:17], v[16:17], v[38:39]
	v_mul_f64 v[22:23], v[2:3], v[36:37]
	v_fma_f64 v[18:19], v[8:9], v[30:31], v[18:19]
	ds_load_b128 v[6:9], v1 offset:1328
	v_fma_f64 v[1:2], v[2:3], v[34:35], -v[28:29]
	v_add_f64 v[14:15], v[14:15], v[26:27]
	v_add_f64 v[16:17], v[16:17], v[20:21]
	s_waitcnt vmcnt(1) lgkmcnt(0)
	v_mul_f64 v[20:21], v[6:7], v[175:176]
	v_mul_f64 v[26:27], v[8:9], v[175:176]
	v_fma_f64 v[4:5], v[4:5], v[34:35], v[22:23]
	v_add_f64 v[14:15], v[14:15], v[24:25]
	v_add_f64 v[16:17], v[16:17], v[18:19]
	v_fma_f64 v[8:9], v[8:9], v[173:174], v[20:21]
	v_fma_f64 v[6:7], v[6:7], v[173:174], -v[26:27]
	s_delay_alu instid0(VALU_DEP_4) | instskip(NEXT) | instid1(VALU_DEP_4)
	v_add_f64 v[1:2], v[14:15], v[1:2]
	v_add_f64 v[3:4], v[16:17], v[4:5]
	s_delay_alu instid0(VALU_DEP_2) | instskip(NEXT) | instid1(VALU_DEP_2)
	v_add_f64 v[1:2], v[1:2], v[6:7]
	v_add_f64 v[3:4], v[3:4], v[8:9]
	s_waitcnt vmcnt(0)
	s_delay_alu instid0(VALU_DEP_2) | instskip(NEXT) | instid1(VALU_DEP_2)
	v_add_f64 v[1:2], v[10:11], -v[1:2]
	v_add_f64 v[3:4], v[12:13], -v[3:4]
	scratch_store_b128 off, v[1:4], off offset:16
	v_cmpx_ne_u32_e32 0, v126
	s_cbranch_execz .LBB41_265
; %bb.264:
	scratch_load_b128 v[1:4], off, off
	v_mov_b32_e32 v5, 0
	s_delay_alu instid0(VALU_DEP_1)
	v_mov_b32_e32 v6, v5
	v_mov_b32_e32 v7, v5
	;; [unrolled: 1-line block ×3, first 2 shown]
	scratch_store_b128 off, v[5:8], off
	s_waitcnt vmcnt(0)
	ds_store_b128 v168, v[1:4]
.LBB41_265:
	s_or_b32 exec_lo, exec_lo, s2
	s_waitcnt lgkmcnt(0)
	s_waitcnt_vscnt null, 0x0
	s_barrier
	buffer_gl0_inv
	s_clause 0x7
	scratch_load_b128 v[1:4], off, off offset:16
	scratch_load_b128 v[5:8], off, off offset:32
	;; [unrolled: 1-line block ×8, first 2 shown]
	v_mov_b32_e32 v41, 0
	s_clause 0x1
	scratch_load_b128 v[33:36], off, off offset:144
	scratch_load_b128 v[172:175], off, off offset:160
	s_and_b32 vcc_lo, exec_lo, s20
	ds_load_b128 v[37:40], v41 offset:688
	ds_load_b128 v[168:171], v41 offset:704
	s_waitcnt vmcnt(9) lgkmcnt(1)
	v_mul_f64 v[176:177], v[39:40], v[3:4]
	v_mul_f64 v[3:4], v[37:38], v[3:4]
	s_waitcnt vmcnt(8) lgkmcnt(0)
	v_mul_f64 v[178:179], v[168:169], v[7:8]
	v_mul_f64 v[7:8], v[170:171], v[7:8]
	s_delay_alu instid0(VALU_DEP_4) | instskip(NEXT) | instid1(VALU_DEP_4)
	v_fma_f64 v[176:177], v[37:38], v[1:2], -v[176:177]
	v_fma_f64 v[180:181], v[39:40], v[1:2], v[3:4]
	ds_load_b128 v[1:4], v41 offset:720
	scratch_load_b128 v[37:40], off, off offset:176
	v_fma_f64 v[178:179], v[170:171], v[5:6], v[178:179]
	v_fma_f64 v[184:185], v[168:169], v[5:6], -v[7:8]
	scratch_load_b128 v[168:171], off, off offset:192
	ds_load_b128 v[5:8], v41 offset:736
	s_waitcnt vmcnt(9) lgkmcnt(1)
	v_mul_f64 v[182:183], v[1:2], v[11:12]
	v_mul_f64 v[11:12], v[3:4], v[11:12]
	s_waitcnt vmcnt(8) lgkmcnt(0)
	v_mul_f64 v[186:187], v[5:6], v[15:16]
	v_mul_f64 v[15:16], v[7:8], v[15:16]
	v_add_f64 v[176:177], v[176:177], 0
	v_add_f64 v[180:181], v[180:181], 0
	v_fma_f64 v[182:183], v[3:4], v[9:10], v[182:183]
	v_fma_f64 v[188:189], v[1:2], v[9:10], -v[11:12]
	ds_load_b128 v[1:4], v41 offset:752
	scratch_load_b128 v[9:12], off, off offset:208
	v_add_f64 v[176:177], v[176:177], v[184:185]
	v_add_f64 v[178:179], v[180:181], v[178:179]
	v_fma_f64 v[184:185], v[7:8], v[13:14], v[186:187]
	v_fma_f64 v[186:187], v[5:6], v[13:14], -v[15:16]
	scratch_load_b128 v[13:16], off, off offset:224
	ds_load_b128 v[5:8], v41 offset:768
	s_waitcnt vmcnt(9) lgkmcnt(1)
	v_mul_f64 v[180:181], v[1:2], v[19:20]
	v_mul_f64 v[19:20], v[3:4], v[19:20]
	v_add_f64 v[176:177], v[176:177], v[188:189]
	v_add_f64 v[178:179], v[178:179], v[182:183]
	s_waitcnt vmcnt(8) lgkmcnt(0)
	v_mul_f64 v[182:183], v[5:6], v[23:24]
	v_mul_f64 v[23:24], v[7:8], v[23:24]
	v_fma_f64 v[180:181], v[3:4], v[17:18], v[180:181]
	v_fma_f64 v[188:189], v[1:2], v[17:18], -v[19:20]
	ds_load_b128 v[1:4], v41 offset:784
	scratch_load_b128 v[17:20], off, off offset:240
	v_add_f64 v[176:177], v[176:177], v[186:187]
	v_add_f64 v[178:179], v[178:179], v[184:185]
	v_fma_f64 v[182:183], v[7:8], v[21:22], v[182:183]
	v_fma_f64 v[186:187], v[5:6], v[21:22], -v[23:24]
	scratch_load_b128 v[21:24], off, off offset:256
	ds_load_b128 v[5:8], v41 offset:800
	s_waitcnt vmcnt(9) lgkmcnt(1)
	v_mul_f64 v[184:185], v[1:2], v[27:28]
	v_mul_f64 v[27:28], v[3:4], v[27:28]
	v_add_f64 v[176:177], v[176:177], v[188:189]
	v_add_f64 v[178:179], v[178:179], v[180:181]
	s_waitcnt vmcnt(8) lgkmcnt(0)
	v_mul_f64 v[180:181], v[5:6], v[31:32]
	v_mul_f64 v[31:32], v[7:8], v[31:32]
	;; [unrolled: 18-line block ×11, first 2 shown]
	v_fma_f64 v[184:185], v[3:4], v[17:18], v[184:185]
	v_fma_f64 v[188:189], v[1:2], v[17:18], -v[19:20]
	ds_load_b128 v[1:4], v41 offset:1104
	scratch_load_b128 v[17:20], off, off offset:560
	v_add_f64 v[176:177], v[176:177], v[186:187]
	v_add_f64 v[178:179], v[178:179], v[182:183]
	v_fma_f64 v[180:181], v[7:8], v[21:22], v[180:181]
	v_fma_f64 v[186:187], v[5:6], v[21:22], -v[23:24]
	ds_load_b128 v[5:8], v41 offset:1120
	s_waitcnt vmcnt(8) lgkmcnt(1)
	v_mul_f64 v[182:183], v[1:2], v[27:28]
	v_mul_f64 v[27:28], v[3:4], v[27:28]
	scratch_load_b128 v[21:24], off, off offset:576
	v_add_f64 v[176:177], v[176:177], v[188:189]
	v_add_f64 v[178:179], v[178:179], v[184:185]
	s_waitcnt vmcnt(8) lgkmcnt(0)
	v_mul_f64 v[184:185], v[5:6], v[31:32]
	v_mul_f64 v[31:32], v[7:8], v[31:32]
	v_fma_f64 v[182:183], v[3:4], v[25:26], v[182:183]
	v_fma_f64 v[188:189], v[1:2], v[25:26], -v[27:28]
	scratch_load_b128 v[25:28], off, off offset:592
	ds_load_b128 v[1:4], v41 offset:1136
	v_add_f64 v[176:177], v[176:177], v[186:187]
	v_add_f64 v[178:179], v[178:179], v[180:181]
	v_fma_f64 v[184:185], v[7:8], v[29:30], v[184:185]
	v_fma_f64 v[186:187], v[5:6], v[29:30], -v[31:32]
	ds_load_b128 v[5:8], v41 offset:1152
	s_waitcnt vmcnt(8) lgkmcnt(1)
	v_mul_f64 v[180:181], v[1:2], v[35:36]
	v_mul_f64 v[35:36], v[3:4], v[35:36]
	scratch_load_b128 v[29:32], off, off offset:608
	v_add_f64 v[176:177], v[176:177], v[188:189]
	v_add_f64 v[178:179], v[178:179], v[182:183]
	s_waitcnt vmcnt(8) lgkmcnt(0)
	v_mul_f64 v[182:183], v[5:6], v[174:175]
	v_mul_f64 v[174:175], v[7:8], v[174:175]
	v_fma_f64 v[180:181], v[3:4], v[33:34], v[180:181]
	v_fma_f64 v[188:189], v[1:2], v[33:34], -v[35:36]
	scratch_load_b128 v[33:36], off, off offset:624
	ds_load_b128 v[1:4], v41 offset:1168
	;; [unrolled: 18-line block ×3, first 2 shown]
	v_add_f64 v[176:177], v[176:177], v[186:187]
	v_add_f64 v[178:179], v[178:179], v[182:183]
	v_fma_f64 v[180:181], v[7:8], v[168:169], v[180:181]
	v_fma_f64 v[168:169], v[5:6], v[168:169], -v[170:171]
	ds_load_b128 v[5:8], v41 offset:1216
	s_waitcnt vmcnt(8) lgkmcnt(1)
	v_mul_f64 v[182:183], v[1:2], v[11:12]
	v_mul_f64 v[11:12], v[3:4], v[11:12]
	v_add_f64 v[170:171], v[176:177], v[188:189]
	v_add_f64 v[176:177], v[178:179], v[184:185]
	s_waitcnt vmcnt(7) lgkmcnt(0)
	v_mul_f64 v[178:179], v[5:6], v[15:16]
	v_mul_f64 v[15:16], v[7:8], v[15:16]
	v_fma_f64 v[182:183], v[3:4], v[9:10], v[182:183]
	v_fma_f64 v[9:10], v[1:2], v[9:10], -v[11:12]
	ds_load_b128 v[1:4], v41 offset:1232
	v_add_f64 v[11:12], v[170:171], v[168:169]
	v_add_f64 v[168:169], v[176:177], v[180:181]
	v_fma_f64 v[176:177], v[7:8], v[13:14], v[178:179]
	v_fma_f64 v[13:14], v[5:6], v[13:14], -v[15:16]
	ds_load_b128 v[5:8], v41 offset:1248
	s_waitcnt vmcnt(5) lgkmcnt(0)
	v_mul_f64 v[178:179], v[5:6], v[23:24]
	v_mul_f64 v[23:24], v[7:8], v[23:24]
	v_add_f64 v[15:16], v[11:12], v[9:10]
	v_add_f64 v[168:169], v[168:169], v[182:183]
	scratch_load_b128 v[9:12], off, off
	v_mul_f64 v[170:171], v[1:2], v[19:20]
	v_mul_f64 v[19:20], v[3:4], v[19:20]
	v_add_f64 v[13:14], v[15:16], v[13:14]
	v_add_f64 v[15:16], v[168:169], v[176:177]
	v_fma_f64 v[168:169], v[7:8], v[21:22], v[178:179]
	v_fma_f64 v[170:171], v[3:4], v[17:18], v[170:171]
	v_fma_f64 v[17:18], v[1:2], v[17:18], -v[19:20]
	ds_load_b128 v[1:4], v41 offset:1264
	v_fma_f64 v[21:22], v[5:6], v[21:22], -v[23:24]
	ds_load_b128 v[5:8], v41 offset:1280
	s_waitcnt vmcnt(5) lgkmcnt(1)
	v_mul_f64 v[19:20], v[1:2], v[27:28]
	v_mul_f64 v[27:28], v[3:4], v[27:28]
	s_waitcnt vmcnt(4) lgkmcnt(0)
	v_mul_f64 v[23:24], v[7:8], v[31:32]
	v_add_f64 v[15:16], v[15:16], v[170:171]
	v_add_f64 v[13:14], v[13:14], v[17:18]
	v_mul_f64 v[17:18], v[5:6], v[31:32]
	v_fma_f64 v[19:20], v[3:4], v[25:26], v[19:20]
	v_fma_f64 v[25:26], v[1:2], v[25:26], -v[27:28]
	ds_load_b128 v[1:4], v41 offset:1296
	v_fma_f64 v[23:24], v[5:6], v[29:30], -v[23:24]
	v_add_f64 v[15:16], v[15:16], v[168:169]
	v_add_f64 v[13:14], v[13:14], v[21:22]
	v_fma_f64 v[17:18], v[7:8], v[29:30], v[17:18]
	ds_load_b128 v[5:8], v41 offset:1312
	s_waitcnt vmcnt(3) lgkmcnt(1)
	v_mul_f64 v[21:22], v[1:2], v[35:36]
	v_mul_f64 v[27:28], v[3:4], v[35:36]
	v_add_f64 v[15:16], v[15:16], v[19:20]
	v_add_f64 v[13:14], v[13:14], v[25:26]
	s_waitcnt vmcnt(2) lgkmcnt(0)
	v_mul_f64 v[19:20], v[5:6], v[174:175]
	v_mul_f64 v[25:26], v[7:8], v[174:175]
	v_fma_f64 v[21:22], v[3:4], v[33:34], v[21:22]
	v_fma_f64 v[27:28], v[1:2], v[33:34], -v[27:28]
	ds_load_b128 v[1:4], v41 offset:1328
	v_add_f64 v[15:16], v[15:16], v[17:18]
	v_add_f64 v[13:14], v[13:14], v[23:24]
	s_waitcnt vmcnt(1) lgkmcnt(0)
	v_mul_f64 v[17:18], v[1:2], v[39:40]
	v_mul_f64 v[23:24], v[3:4], v[39:40]
	v_fma_f64 v[7:8], v[7:8], v[172:173], v[19:20]
	v_fma_f64 v[5:6], v[5:6], v[172:173], -v[25:26]
	v_add_f64 v[15:16], v[15:16], v[21:22]
	v_add_f64 v[13:14], v[13:14], v[27:28]
	v_fma_f64 v[3:4], v[3:4], v[37:38], v[17:18]
	v_fma_f64 v[1:2], v[1:2], v[37:38], -v[23:24]
	s_delay_alu instid0(VALU_DEP_4) | instskip(NEXT) | instid1(VALU_DEP_4)
	v_add_f64 v[7:8], v[15:16], v[7:8]
	v_add_f64 v[5:6], v[13:14], v[5:6]
	s_delay_alu instid0(VALU_DEP_2) | instskip(NEXT) | instid1(VALU_DEP_2)
	v_add_f64 v[3:4], v[7:8], v[3:4]
	v_add_f64 v[1:2], v[5:6], v[1:2]
	s_waitcnt vmcnt(0)
	s_delay_alu instid0(VALU_DEP_2) | instskip(NEXT) | instid1(VALU_DEP_2)
	v_add_f64 v[3:4], v[11:12], -v[3:4]
	v_add_f64 v[1:2], v[9:10], -v[1:2]
	scratch_store_b128 off, v[1:4], off
	s_cbranch_vccz .LBB41_349
; %bb.266:
	v_dual_mov_b32 v1, s16 :: v_dual_mov_b32 v2, s17
	s_load_b64 s[0:1], s[0:1], 0x4
	flat_load_b32 v1, v[1:2] offset:160
	v_bfe_u32 v2, v0, 10, 10
	v_bfe_u32 v0, v0, 20, 10
	s_waitcnt lgkmcnt(0)
	s_lshr_b32 s0, s0, 16
	s_delay_alu instid0(VALU_DEP_2) | instskip(SKIP_1) | instid1(SALU_CYCLE_1)
	v_mul_u32_u24_e32 v2, s1, v2
	s_mul_i32 s0, s0, s1
	v_mul_u32_u24_e32 v3, s0, v126
	s_mov_b32 s0, exec_lo
	s_delay_alu instid0(VALU_DEP_1) | instskip(NEXT) | instid1(VALU_DEP_1)
	v_add3_u32 v0, v3, v2, v0
	v_lshl_add_u32 v0, v0, 4, 0x548
	s_waitcnt vmcnt(0)
	v_cmpx_ne_u32_e32 41, v1
	s_cbranch_execz .LBB41_268
; %bb.267:
	v_lshl_add_u32 v9, v1, 4, 0
	s_clause 0x1
	scratch_load_b128 v[1:4], v133, off
	scratch_load_b128 v[5:8], v9, off offset:-16
	s_waitcnt vmcnt(1)
	ds_store_2addr_b64 v0, v[1:2], v[3:4] offset1:1
	s_waitcnt vmcnt(0)
	s_clause 0x1
	scratch_store_b128 v133, v[5:8], off
	scratch_store_b128 v9, v[1:4], off offset:-16
.LBB41_268:
	s_or_b32 exec_lo, exec_lo, s0
	v_dual_mov_b32 v1, s16 :: v_dual_mov_b32 v2, s17
	s_mov_b32 s0, exec_lo
	flat_load_b32 v1, v[1:2] offset:156
	s_waitcnt vmcnt(0) lgkmcnt(0)
	v_cmpx_ne_u32_e32 40, v1
	s_cbranch_execz .LBB41_270
; %bb.269:
	v_lshl_add_u32 v9, v1, 4, 0
	s_clause 0x1
	scratch_load_b128 v[1:4], v134, off
	scratch_load_b128 v[5:8], v9, off offset:-16
	s_waitcnt vmcnt(1)
	ds_store_2addr_b64 v0, v[1:2], v[3:4] offset1:1
	s_waitcnt vmcnt(0)
	s_clause 0x1
	scratch_store_b128 v134, v[5:8], off
	scratch_store_b128 v9, v[1:4], off offset:-16
.LBB41_270:
	s_or_b32 exec_lo, exec_lo, s0
	v_dual_mov_b32 v1, s16 :: v_dual_mov_b32 v2, s17
	s_mov_b32 s0, exec_lo
	flat_load_b32 v1, v[1:2] offset:152
	s_waitcnt vmcnt(0) lgkmcnt(0)
	;; [unrolled: 19-line block ×39, first 2 shown]
	v_cmpx_ne_u32_e32 2, v1
	s_cbranch_execz .LBB41_346
; %bb.345:
	v_lshl_add_u32 v9, v1, 4, 0
	s_clause 0x1
	scratch_load_b128 v[1:4], v150, off
	scratch_load_b128 v[5:8], v9, off offset:-16
	s_waitcnt vmcnt(1)
	ds_store_2addr_b64 v0, v[1:2], v[3:4] offset1:1
	s_waitcnt vmcnt(0)
	s_clause 0x1
	scratch_store_b128 v150, v[5:8], off
	scratch_store_b128 v9, v[1:4], off offset:-16
.LBB41_346:
	s_or_b32 exec_lo, exec_lo, s0
	v_dual_mov_b32 v1, s16 :: v_dual_mov_b32 v2, s17
	s_mov_b32 s0, exec_lo
	flat_load_b32 v1, v[1:2]
	s_waitcnt vmcnt(0) lgkmcnt(0)
	v_cmpx_ne_u32_e32 1, v1
	s_cbranch_execz .LBB41_348
; %bb.347:
	v_lshl_add_u32 v9, v1, 4, 0
	scratch_load_b128 v[1:4], off, off
	scratch_load_b128 v[5:8], v9, off offset:-16
	s_waitcnt vmcnt(1)
	ds_store_2addr_b64 v0, v[1:2], v[3:4] offset1:1
	s_waitcnt vmcnt(0)
	scratch_store_b128 off, v[5:8], off
	scratch_store_b128 v9, v[1:4], off offset:-16
.LBB41_348:
	s_or_b32 exec_lo, exec_lo, s0
.LBB41_349:
	scratch_load_b128 v[0:3], off, off
	s_clause 0x12
	scratch_load_b128 v[4:7], v150, off
	scratch_load_b128 v[8:11], v148, off
	;; [unrolled: 1-line block ×19, first 2 shown]
	s_waitcnt vmcnt(19)
	global_store_b128 v[42:43], v[0:3], off
	s_clause 0x1
	scratch_load_b128 v[0:3], v152, off
	scratch_load_b128 v[40:43], v151, off
	s_waitcnt vmcnt(20)
	global_store_b128 v[46:47], v[4:7], off
	s_clause 0x1
	scratch_load_b128 v[4:7], v145, off
	scratch_load_b128 v[189:192], v146, off
	;; [unrolled: 5-line block ×11, first 2 shown]
	s_waitcnt vmcnt(30)
	global_store_b128 v[64:65], v[161:164], off
	s_waitcnt vmcnt(29)
	global_store_b128 v[66:67], v[165:168], off
	;; [unrolled: 2-line block ×31, first 2 shown]
	s_endpgm
	.section	.rodata,"a",@progbits
	.p2align	6, 0x0
	.amdhsa_kernel _ZN9rocsolver6v33100L18getri_kernel_smallILi42E19rocblas_complex_numIdEPS3_EEvT1_iilPiilS6_bb
		.amdhsa_group_segment_fixed_size 2376
		.amdhsa_private_segment_fixed_size 688
		.amdhsa_kernarg_size 60
		.amdhsa_user_sgpr_count 15
		.amdhsa_user_sgpr_dispatch_ptr 1
		.amdhsa_user_sgpr_queue_ptr 0
		.amdhsa_user_sgpr_kernarg_segment_ptr 1
		.amdhsa_user_sgpr_dispatch_id 0
		.amdhsa_user_sgpr_private_segment_size 0
		.amdhsa_wavefront_size32 1
		.amdhsa_uses_dynamic_stack 0
		.amdhsa_enable_private_segment 1
		.amdhsa_system_sgpr_workgroup_id_x 1
		.amdhsa_system_sgpr_workgroup_id_y 0
		.amdhsa_system_sgpr_workgroup_id_z 0
		.amdhsa_system_sgpr_workgroup_info 0
		.amdhsa_system_vgpr_workitem_id 2
		.amdhsa_next_free_vgpr 212
		.amdhsa_next_free_sgpr 48
		.amdhsa_reserve_vcc 1
		.amdhsa_float_round_mode_32 0
		.amdhsa_float_round_mode_16_64 0
		.amdhsa_float_denorm_mode_32 3
		.amdhsa_float_denorm_mode_16_64 3
		.amdhsa_dx10_clamp 1
		.amdhsa_ieee_mode 1
		.amdhsa_fp16_overflow 0
		.amdhsa_workgroup_processor_mode 1
		.amdhsa_memory_ordered 1
		.amdhsa_forward_progress 0
		.amdhsa_shared_vgpr_count 0
		.amdhsa_exception_fp_ieee_invalid_op 0
		.amdhsa_exception_fp_denorm_src 0
		.amdhsa_exception_fp_ieee_div_zero 0
		.amdhsa_exception_fp_ieee_overflow 0
		.amdhsa_exception_fp_ieee_underflow 0
		.amdhsa_exception_fp_ieee_inexact 0
		.amdhsa_exception_int_div_zero 0
	.end_amdhsa_kernel
	.section	.text._ZN9rocsolver6v33100L18getri_kernel_smallILi42E19rocblas_complex_numIdEPS3_EEvT1_iilPiilS6_bb,"axG",@progbits,_ZN9rocsolver6v33100L18getri_kernel_smallILi42E19rocblas_complex_numIdEPS3_EEvT1_iilPiilS6_bb,comdat
.Lfunc_end41:
	.size	_ZN9rocsolver6v33100L18getri_kernel_smallILi42E19rocblas_complex_numIdEPS3_EEvT1_iilPiilS6_bb, .Lfunc_end41-_ZN9rocsolver6v33100L18getri_kernel_smallILi42E19rocblas_complex_numIdEPS3_EEvT1_iilPiilS6_bb
                                        ; -- End function
	.section	.AMDGPU.csdata,"",@progbits
; Kernel info:
; codeLenInByte = 84820
; NumSgprs: 50
; NumVgprs: 212
; ScratchSize: 688
; MemoryBound: 0
; FloatMode: 240
; IeeeMode: 1
; LDSByteSize: 2376 bytes/workgroup (compile time only)
; SGPRBlocks: 6
; VGPRBlocks: 26
; NumSGPRsForWavesPerEU: 50
; NumVGPRsForWavesPerEU: 212
; Occupancy: 7
; WaveLimiterHint : 1
; COMPUTE_PGM_RSRC2:SCRATCH_EN: 1
; COMPUTE_PGM_RSRC2:USER_SGPR: 15
; COMPUTE_PGM_RSRC2:TRAP_HANDLER: 0
; COMPUTE_PGM_RSRC2:TGID_X_EN: 1
; COMPUTE_PGM_RSRC2:TGID_Y_EN: 0
; COMPUTE_PGM_RSRC2:TGID_Z_EN: 0
; COMPUTE_PGM_RSRC2:TIDIG_COMP_CNT: 2
	.section	.text._ZN9rocsolver6v33100L18getri_kernel_smallILi43E19rocblas_complex_numIdEPS3_EEvT1_iilPiilS6_bb,"axG",@progbits,_ZN9rocsolver6v33100L18getri_kernel_smallILi43E19rocblas_complex_numIdEPS3_EEvT1_iilPiilS6_bb,comdat
	.globl	_ZN9rocsolver6v33100L18getri_kernel_smallILi43E19rocblas_complex_numIdEPS3_EEvT1_iilPiilS6_bb ; -- Begin function _ZN9rocsolver6v33100L18getri_kernel_smallILi43E19rocblas_complex_numIdEPS3_EEvT1_iilPiilS6_bb
	.p2align	8
	.type	_ZN9rocsolver6v33100L18getri_kernel_smallILi43E19rocblas_complex_numIdEPS3_EEvT1_iilPiilS6_bb,@function
_ZN9rocsolver6v33100L18getri_kernel_smallILi43E19rocblas_complex_numIdEPS3_EEvT1_iilPiilS6_bb: ; @_ZN9rocsolver6v33100L18getri_kernel_smallILi43E19rocblas_complex_numIdEPS3_EEvT1_iilPiilS6_bb
; %bb.0:
	v_and_b32_e32 v132, 0x3ff, v0
	s_mov_b32 s4, exec_lo
	s_delay_alu instid0(VALU_DEP_1)
	v_cmpx_gt_u32_e32 43, v132
	s_cbranch_execz .LBB42_186
; %bb.1:
	s_mov_b32 s18, s15
	s_clause 0x2
	s_load_b32 s21, s[2:3], 0x38
	s_load_b128 s[12:15], s[2:3], 0x10
	s_load_b128 s[4:7], s[2:3], 0x28
                                        ; implicit-def: $sgpr16_sgpr17
	s_waitcnt lgkmcnt(0)
	s_bitcmp1_b32 s21, 8
	s_cselect_b32 s20, -1, 0
	s_bfe_u32 s8, s21, 0x10008
	s_ashr_i32 s19, s18, 31
	s_cmp_eq_u32 s8, 0
	s_cbranch_scc1 .LBB42_3
; %bb.2:
	s_load_b32 s8, s[2:3], 0x20
	s_mul_i32 s5, s18, s5
	s_mul_hi_u32 s9, s18, s4
	s_mul_i32 s10, s19, s4
	s_add_i32 s5, s9, s5
	s_mul_i32 s4, s18, s4
	s_add_i32 s5, s5, s10
	s_delay_alu instid0(SALU_CYCLE_1)
	s_lshl_b64 s[4:5], s[4:5], 2
	s_waitcnt lgkmcnt(0)
	s_ashr_i32 s9, s8, 31
	s_add_u32 s10, s14, s4
	s_addc_u32 s11, s15, s5
	s_lshl_b64 s[4:5], s[8:9], 2
	s_delay_alu instid0(SALU_CYCLE_1)
	s_add_u32 s16, s10, s4
	s_addc_u32 s17, s11, s5
.LBB42_3:
	s_load_b128 s[8:11], s[2:3], 0x0
	s_mul_i32 s2, s18, s13
	s_mul_hi_u32 s3, s18, s12
	s_mul_i32 s4, s19, s12
	s_add_i32 s3, s3, s2
	s_mul_i32 s2, s18, s12
	s_add_i32 s3, s3, s4
	v_lshlrev_b32_e32 v13, 4, v132
	s_lshl_b64 s[2:3], s[2:3], 4
	s_movk_i32 s12, 0xd0
	s_movk_i32 s13, 0xe0
	;; [unrolled: 1-line block ×11, first 2 shown]
	s_waitcnt lgkmcnt(0)
	v_add3_u32 v5, s11, s11, v132
	s_ashr_i32 s5, s10, 31
	s_mov_b32 s4, s10
	s_add_u32 s8, s8, s2
	s_addc_u32 s9, s9, s3
	v_add_nc_u32_e32 v7, s11, v5
	s_lshl_b64 s[2:3], s[4:5], 4
	v_ashrrev_i32_e32 v6, 31, v5
	s_add_u32 s2, s8, s2
	s_addc_u32 s3, s9, s3
	v_add_co_u32 v46, s8, s2, v13
	v_add_nc_u32_e32 v9, s11, v7
	s_mov_b32 s4, s11
	s_ashr_i32 s5, s11, 31
	v_add_co_ci_u32_e64 v47, null, s3, 0, s8
	v_ashrrev_i32_e32 v8, 31, v7
	v_lshlrev_b64 v[5:6], 4, v[5:6]
	s_lshl_b64 s[4:5], s[4:5], 4
	v_ashrrev_i32_e32 v10, 31, v9
	v_add_co_u32 v48, vcc_lo, v46, s4
	v_add_nc_u32_e32 v11, s11, v9
	v_add_co_ci_u32_e32 v49, vcc_lo, s5, v47, vcc_lo
	v_lshlrev_b64 v[7:8], 4, v[7:8]
	v_add_co_u32 v50, vcc_lo, s2, v5
	v_add_co_ci_u32_e32 v51, vcc_lo, s3, v6, vcc_lo
	v_lshlrev_b64 v[5:6], 4, v[9:10]
	v_ashrrev_i32_e32 v12, 31, v11
	v_add_nc_u32_e32 v9, s11, v11
	v_add_co_u32 v52, vcc_lo, s2, v7
	v_add_co_ci_u32_e32 v53, vcc_lo, s3, v8, vcc_lo
	s_delay_alu instid0(VALU_DEP_4) | instskip(NEXT) | instid1(VALU_DEP_4)
	v_lshlrev_b64 v[7:8], 4, v[11:12]
	v_ashrrev_i32_e32 v10, 31, v9
	v_add_nc_u32_e32 v11, s11, v9
	v_add_co_u32 v54, vcc_lo, s2, v5
	v_add_co_ci_u32_e32 v55, vcc_lo, s3, v6, vcc_lo
	s_delay_alu instid0(VALU_DEP_4) | instskip(NEXT) | instid1(VALU_DEP_4)
	;; [unrolled: 6-line block ×3, first 2 shown]
	v_lshlrev_b64 v[7:8], 4, v[11:12]
	v_add_nc_u32_e32 v11, s11, v9
	v_ashrrev_i32_e32 v10, 31, v9
	v_add_co_u32 v58, vcc_lo, s2, v5
	v_add_co_ci_u32_e32 v59, vcc_lo, s3, v6, vcc_lo
	s_delay_alu instid0(VALU_DEP_4) | instskip(SKIP_3) | instid1(VALU_DEP_4)
	v_add_nc_u32_e32 v20, s11, v11
	v_ashrrev_i32_e32 v12, 31, v11
	v_lshlrev_b64 v[18:19], 4, v[9:10]
	v_add_co_u32 v60, vcc_lo, s2, v7
	v_add_nc_u32_e32 v70, s11, v20
	s_delay_alu instid0(VALU_DEP_4)
	v_lshlrev_b64 v[38:39], 4, v[11:12]
	v_ashrrev_i32_e32 v21, 31, v20
	v_add_co_ci_u32_e32 v61, vcc_lo, s3, v8, vcc_lo
	v_add_co_u32 v62, vcc_lo, s2, v18
	v_ashrrev_i32_e32 v71, 31, v70
	v_add_co_ci_u32_e32 v63, vcc_lo, s3, v19, vcc_lo
	v_lshlrev_b64 v[40:41], 4, v[20:21]
	v_add_co_u32 v64, vcc_lo, s2, v38
	v_add_co_ci_u32_e32 v65, vcc_lo, s3, v39, vcc_lo
	v_lshlrev_b64 v[38:39], 4, v[70:71]
	s_delay_alu instid0(VALU_DEP_4)
	v_add_co_u32 v66, vcc_lo, s2, v40
	v_add_co_ci_u32_e32 v67, vcc_lo, s3, v41, vcc_lo
	global_load_b128 v[1:4], v13, s[2:3]
	v_add_co_u32 v68, vcc_lo, s2, v38
	s_clause 0x4
	global_load_b128 v[5:8], v[48:49], off
	global_load_b128 v[9:12], v[50:51], off
	;; [unrolled: 1-line block ×5, first 2 shown]
	v_add_co_ci_u32_e32 v69, vcc_lo, s3, v39, vcc_lo
	s_clause 0x5
	global_load_b128 v[26:29], v[58:59], off
	global_load_b128 v[30:33], v[60:61], off
	;; [unrolled: 1-line block ×6, first 2 shown]
	v_add_nc_u32_e32 v70, s11, v70
	s_movk_i32 s4, 0x70
	s_movk_i32 s5, 0x80
	s_movk_i32 s8, 0x90
	s_movk_i32 s9, 0xa0
	v_add_nc_u32_e32 v72, s11, v70
	v_ashrrev_i32_e32 v71, 31, v70
	s_movk_i32 s10, 0xb0
	s_movk_i32 s29, 0x180
	;; [unrolled: 1-line block ×3, first 2 shown]
	v_add_nc_u32_e32 v74, s11, v72
	v_ashrrev_i32_e32 v73, 31, v72
	v_lshlrev_b64 v[70:71], 4, v[70:71]
	s_movk_i32 s31, 0x1a0
	s_movk_i32 s33, 0x1b0
	v_add_nc_u32_e32 v76, s11, v74
	v_ashrrev_i32_e32 v75, 31, v74
	v_lshlrev_b64 v[72:73], 4, v[72:73]
	v_add_co_u32 v70, vcc_lo, s2, v70
	s_delay_alu instid0(VALU_DEP_4) | instskip(SKIP_3) | instid1(VALU_DEP_4)
	v_add_nc_u32_e32 v78, s11, v76
	v_ashrrev_i32_e32 v77, 31, v76
	v_lshlrev_b64 v[74:75], 4, v[74:75]
	v_add_co_ci_u32_e32 v71, vcc_lo, s3, v71, vcc_lo
	v_add_nc_u32_e32 v80, s11, v78
	v_ashrrev_i32_e32 v79, 31, v78
	v_add_co_u32 v72, vcc_lo, s2, v72
	v_lshlrev_b64 v[76:77], 4, v[76:77]
	s_delay_alu instid0(VALU_DEP_4) | instskip(SKIP_3) | instid1(VALU_DEP_4)
	v_add_nc_u32_e32 v82, s11, v80
	v_ashrrev_i32_e32 v81, 31, v80
	v_add_co_ci_u32_e32 v73, vcc_lo, s3, v73, vcc_lo
	v_add_co_u32 v74, vcc_lo, s2, v74
	v_add_nc_u32_e32 v84, s11, v82
	v_lshlrev_b64 v[78:79], 4, v[78:79]
	v_ashrrev_i32_e32 v83, 31, v82
	v_add_co_ci_u32_e32 v75, vcc_lo, s3, v75, vcc_lo
	s_delay_alu instid0(VALU_DEP_4) | instskip(SKIP_3) | instid1(VALU_DEP_4)
	v_add_nc_u32_e32 v86, s11, v84
	v_add_co_u32 v76, vcc_lo, s2, v76
	v_lshlrev_b64 v[80:81], 4, v[80:81]
	v_ashrrev_i32_e32 v85, 31, v84
	v_add_nc_u32_e32 v88, s11, v86
	v_add_co_ci_u32_e32 v77, vcc_lo, s3, v77, vcc_lo
	v_add_co_u32 v78, vcc_lo, s2, v78
	s_delay_alu instid0(VALU_DEP_3) | instskip(SKIP_3) | instid1(VALU_DEP_4)
	v_add_nc_u32_e32 v90, s11, v88
	v_lshlrev_b64 v[82:83], 4, v[82:83]
	v_ashrrev_i32_e32 v87, 31, v86
	v_add_co_ci_u32_e32 v79, vcc_lo, s3, v79, vcc_lo
	v_add_nc_u32_e32 v92, s11, v90
	v_add_co_u32 v80, vcc_lo, s2, v80
	v_lshlrev_b64 v[84:85], 4, v[84:85]
	v_ashrrev_i32_e32 v89, 31, v88
	s_delay_alu instid0(VALU_DEP_4) | instskip(SKIP_2) | instid1(VALU_DEP_3)
	v_add_nc_u32_e32 v94, s11, v92
	v_add_co_ci_u32_e32 v81, vcc_lo, s3, v81, vcc_lo
	v_add_co_u32 v82, vcc_lo, s2, v82
	v_add_nc_u32_e32 v96, s11, v94
	v_lshlrev_b64 v[86:87], 4, v[86:87]
	v_ashrrev_i32_e32 v91, 31, v90
	v_add_co_ci_u32_e32 v83, vcc_lo, s3, v83, vcc_lo
	s_delay_alu instid0(VALU_DEP_4) | instskip(SKIP_3) | instid1(VALU_DEP_4)
	v_add_nc_u32_e32 v98, s11, v96
	v_add_co_u32 v84, vcc_lo, s2, v84
	v_lshlrev_b64 v[88:89], 4, v[88:89]
	v_ashrrev_i32_e32 v93, 31, v92
	v_add_nc_u32_e32 v100, s11, v98
	v_add_co_ci_u32_e32 v85, vcc_lo, s3, v85, vcc_lo
	v_add_co_u32 v86, vcc_lo, s2, v86
	s_delay_alu instid0(VALU_DEP_3) | instskip(SKIP_3) | instid1(VALU_DEP_4)
	v_add_nc_u32_e32 v102, s11, v100
	v_lshlrev_b64 v[90:91], 4, v[90:91]
	v_ashrrev_i32_e32 v95, 31, v94
	v_add_co_ci_u32_e32 v87, vcc_lo, s3, v87, vcc_lo
	v_add_nc_u32_e32 v104, s11, v102
	v_add_co_u32 v88, vcc_lo, s2, v88
	v_lshlrev_b64 v[92:93], 4, v[92:93]
	v_ashrrev_i32_e32 v97, 31, v96
	s_delay_alu instid0(VALU_DEP_4) | instskip(SKIP_2) | instid1(VALU_DEP_3)
	v_add_nc_u32_e32 v106, s11, v104
	v_add_co_ci_u32_e32 v89, vcc_lo, s3, v89, vcc_lo
	v_add_co_u32 v90, vcc_lo, s2, v90
	v_add_nc_u32_e32 v108, s11, v106
	v_lshlrev_b64 v[94:95], 4, v[94:95]
	v_ashrrev_i32_e32 v99, 31, v98
	v_add_co_ci_u32_e32 v91, vcc_lo, s3, v91, vcc_lo
	s_delay_alu instid0(VALU_DEP_4) | instskip(SKIP_3) | instid1(VALU_DEP_4)
	v_add_nc_u32_e32 v110, s11, v108
	v_add_co_u32 v92, vcc_lo, s2, v92
	v_lshlrev_b64 v[96:97], 4, v[96:97]
	v_ashrrev_i32_e32 v101, 31, v100
	v_add_nc_u32_e32 v112, s11, v110
	v_add_co_ci_u32_e32 v93, vcc_lo, s3, v93, vcc_lo
	v_add_co_u32 v94, vcc_lo, s2, v94
	s_delay_alu instid0(VALU_DEP_3)
	v_add_nc_u32_e32 v114, s11, v112
	v_lshlrev_b64 v[98:99], 4, v[98:99]
	v_ashrrev_i32_e32 v103, 31, v102
	v_add_co_ci_u32_e32 v95, vcc_lo, s3, v95, vcc_lo
	v_add_co_u32 v96, vcc_lo, s2, v96
	v_lshlrev_b64 v[100:101], 4, v[100:101]
	v_add_nc_u32_e32 v116, s11, v114
	v_ashrrev_i32_e32 v105, 31, v104
	v_add_co_ci_u32_e32 v97, vcc_lo, s3, v97, vcc_lo
	v_add_co_u32 v98, vcc_lo, s2, v98
	v_lshlrev_b64 v[102:103], 4, v[102:103]
	v_ashrrev_i32_e32 v107, 31, v106
	v_add_co_ci_u32_e32 v99, vcc_lo, s3, v99, vcc_lo
	v_add_nc_u32_e32 v118, s11, v116
	v_add_co_u32 v100, vcc_lo, s2, v100
	v_lshlrev_b64 v[104:105], 4, v[104:105]
	v_ashrrev_i32_e32 v109, 31, v108
	v_add_co_ci_u32_e32 v101, vcc_lo, s3, v101, vcc_lo
	v_add_co_u32 v102, vcc_lo, s2, v102
	v_lshlrev_b64 v[106:107], 4, v[106:107]
	v_ashrrev_i32_e32 v111, 31, v110
	v_add_nc_u32_e32 v120, s11, v118
	v_add_co_ci_u32_e32 v103, vcc_lo, s3, v103, vcc_lo
	v_add_co_u32 v104, vcc_lo, s2, v104
	v_lshlrev_b64 v[108:109], 4, v[108:109]
	v_ashrrev_i32_e32 v113, 31, v112
	v_add_co_ci_u32_e32 v105, vcc_lo, s3, v105, vcc_lo
	v_add_co_u32 v106, vcc_lo, s2, v106
	v_lshlrev_b64 v[110:111], 4, v[110:111]
	v_add_nc_u32_e32 v122, s11, v120
	v_ashrrev_i32_e32 v115, 31, v114
	v_add_co_ci_u32_e32 v107, vcc_lo, s3, v107, vcc_lo
	v_add_co_u32 v108, vcc_lo, s2, v108
	v_lshlrev_b64 v[112:113], 4, v[112:113]
	v_ashrrev_i32_e32 v117, 31, v116
	v_add_co_ci_u32_e32 v109, vcc_lo, s3, v109, vcc_lo
	v_add_nc_u32_e32 v124, s11, v122
	v_add_co_u32 v110, vcc_lo, s2, v110
	v_lshlrev_b64 v[114:115], 4, v[114:115]
	v_ashrrev_i32_e32 v119, 31, v118
	v_add_co_ci_u32_e32 v111, vcc_lo, s3, v111, vcc_lo
	v_add_co_u32 v112, vcc_lo, s2, v112
	v_lshlrev_b64 v[116:117], 4, v[116:117]
	v_ashrrev_i32_e32 v121, 31, v120
	v_add_nc_u32_e32 v126, s11, v124
	v_add_co_ci_u32_e32 v113, vcc_lo, s3, v113, vcc_lo
	v_add_co_u32 v114, vcc_lo, s2, v114
	v_lshlrev_b64 v[118:119], 4, v[118:119]
	v_ashrrev_i32_e32 v123, 31, v122
	v_add_co_ci_u32_e32 v115, vcc_lo, s3, v115, vcc_lo
	v_add_co_u32 v116, vcc_lo, s2, v116
	v_lshlrev_b64 v[120:121], 4, v[120:121]
	v_add_nc_u32_e32 v128, s11, v126
	v_ashrrev_i32_e32 v125, 31, v124
	v_add_co_ci_u32_e32 v117, vcc_lo, s3, v117, vcc_lo
	v_add_co_u32 v118, vcc_lo, s2, v118
	v_lshlrev_b64 v[122:123], 4, v[122:123]
	v_ashrrev_i32_e32 v127, 31, v126
	v_add_co_ci_u32_e32 v119, vcc_lo, s3, v119, vcc_lo
	v_add_nc_u32_e32 v130, s11, v128
	v_add_co_u32 v120, vcc_lo, s2, v120
	v_lshlrev_b64 v[124:125], 4, v[124:125]
	v_ashrrev_i32_e32 v129, 31, v128
	v_add_co_ci_u32_e32 v121, vcc_lo, s3, v121, vcc_lo
	v_add_co_u32 v122, vcc_lo, s2, v122
	v_lshlrev_b64 v[126:127], 4, v[126:127]
	v_ashrrev_i32_e32 v131, 31, v130
	v_add_co_ci_u32_e32 v123, vcc_lo, s3, v123, vcc_lo
	v_add_co_u32 v124, vcc_lo, s2, v124
	v_lshlrev_b64 v[128:129], 4, v[128:129]
	v_add_co_ci_u32_e32 v125, vcc_lo, s3, v125, vcc_lo
	v_add_co_u32 v126, vcc_lo, s2, v126
	v_lshlrev_b64 v[130:131], 4, v[130:131]
	v_add_co_ci_u32_e32 v127, vcc_lo, s3, v127, vcc_lo
	v_add_co_u32 v128, vcc_lo, s2, v128
	v_add_co_ci_u32_e32 v129, vcc_lo, s3, v129, vcc_lo
	s_delay_alu instid0(VALU_DEP_4)
	v_add_co_u32 v130, vcc_lo, s2, v130
	s_clause 0x4
	global_load_b128 v[137:140], v[70:71], off
	global_load_b128 v[141:144], v[72:73], off
	;; [unrolled: 1-line block ×5, first 2 shown]
	v_add_co_ci_u32_e32 v131, vcc_lo, s3, v131, vcc_lo
	s_clause 0xd
	global_load_b128 v[175:178], v[80:81], off
	global_load_b128 v[179:182], v[82:83], off
	;; [unrolled: 1-line block ×14, first 2 shown]
	s_movk_i32 s2, 0x50
	s_movk_i32 s3, 0x60
	;; [unrolled: 1-line block ×18, first 2 shown]
	v_add_nc_u32_e64 v174, s2, 0
	v_add_nc_u32_e64 v173, s3, 0
	;; [unrolled: 1-line block ×16, first 2 shown]
	s_waitcnt vmcnt(30)
	scratch_store_b128 off, v[1:4], off
	s_waitcnt vmcnt(29)
	scratch_store_b128 off, v[5:8], off offset:16
	s_clause 0x1
	global_load_b128 v[1:4], v[108:109], off
	global_load_b128 v[5:8], v[110:111], off
	s_waitcnt vmcnt(30)
	scratch_store_b128 off, v[9:12], off offset:32
	s_waitcnt vmcnt(29)
	scratch_store_b128 off, v[14:17], off offset:48
	s_clause 0x1
	global_load_b128 v[9:12], v[112:113], off
	global_load_b128 v[14:17], v[114:115], off
	s_waitcnt vmcnt(30)
	scratch_store_b128 off, v[18:21], off offset:64
	;; [unrolled: 7-line block ×5, first 2 shown]
	s_waitcnt vmcnt(29)
	scratch_store_b128 off, v[133:136], off offset:176
	s_clause 0x1
	global_load_b128 v[42:45], v[128:129], off
	global_load_b128 v[231:234], v[130:131], off
	v_add_nc_u32_e64 v136, 0, 16
	v_add_nc_u32_e64 v135, 0, 32
	;; [unrolled: 1-line block ×6, first 2 shown]
	s_bitcmp0_b32 s21, 0
	s_mov_b32 s3, -1
	s_waitcnt vmcnt(30)
	scratch_store_b128 off, v[137:140], off offset:192
	s_waitcnt vmcnt(29)
	scratch_store_b128 off, v[141:144], off offset:208
	;; [unrolled: 2-line block ×6, first 2 shown]
	v_add_nc_u32_e64 v155, s24, 0
	v_add_nc_u32_e64 v154, s25, 0
	;; [unrolled: 1-line block ×20, first 2 shown]
	s_waitcnt vmcnt(24)
	scratch_store_b128 off, v[179:182], off offset:288
	s_waitcnt vmcnt(23)
	scratch_store_b128 off, v[183:186], off offset:304
	;; [unrolled: 2-line block ×25, first 2 shown]
	s_cbranch_scc1 .LBB42_184
; %bb.4:
	v_cmp_eq_u32_e64 s2, 0, v132
	s_delay_alu instid0(VALU_DEP_1)
	s_and_saveexec_b32 s3, s2
	s_cbranch_execz .LBB42_6
; %bb.5:
	v_mov_b32_e32 v1, 0
	ds_store_b32 v1, v1 offset:1376
.LBB42_6:
	s_or_b32 exec_lo, exec_lo, s3
	s_waitcnt lgkmcnt(0)
	s_waitcnt_vscnt null, 0x0
	s_barrier
	buffer_gl0_inv
	scratch_load_b128 v[1:4], v13, off
	s_waitcnt vmcnt(0)
	v_cmp_eq_f64_e32 vcc_lo, 0, v[1:2]
	v_cmp_eq_f64_e64 s3, 0, v[3:4]
	s_delay_alu instid0(VALU_DEP_1) | instskip(NEXT) | instid1(SALU_CYCLE_1)
	s_and_b32 s3, vcc_lo, s3
	s_and_saveexec_b32 s4, s3
	s_cbranch_execz .LBB42_10
; %bb.7:
	v_mov_b32_e32 v1, 0
	s_mov_b32 s5, 0
	ds_load_b32 v2, v1 offset:1376
	s_waitcnt lgkmcnt(0)
	v_readfirstlane_b32 s3, v2
	v_add_nc_u32_e32 v2, 1, v132
	s_delay_alu instid0(VALU_DEP_2) | instskip(NEXT) | instid1(VALU_DEP_1)
	s_cmp_eq_u32 s3, 0
	v_cmp_gt_i32_e32 vcc_lo, s3, v2
	s_cselect_b32 s8, -1, 0
	s_delay_alu instid0(SALU_CYCLE_1) | instskip(NEXT) | instid1(SALU_CYCLE_1)
	s_or_b32 s8, s8, vcc_lo
	s_and_b32 exec_lo, exec_lo, s8
	s_cbranch_execz .LBB42_10
; %bb.8:
	v_mov_b32_e32 v3, s3
.LBB42_9:                               ; =>This Inner Loop Header: Depth=1
	ds_cmpstore_rtn_b32 v3, v1, v2, v3 offset:1376
	s_waitcnt lgkmcnt(0)
	v_cmp_ne_u32_e32 vcc_lo, 0, v3
	v_cmp_le_i32_e64 s3, v3, v2
	s_delay_alu instid0(VALU_DEP_1) | instskip(NEXT) | instid1(SALU_CYCLE_1)
	s_and_b32 s3, vcc_lo, s3
	s_and_b32 s3, exec_lo, s3
	s_delay_alu instid0(SALU_CYCLE_1) | instskip(NEXT) | instid1(SALU_CYCLE_1)
	s_or_b32 s5, s3, s5
	s_and_not1_b32 exec_lo, exec_lo, s5
	s_cbranch_execnz .LBB42_9
.LBB42_10:
	s_or_b32 exec_lo, exec_lo, s4
	v_mov_b32_e32 v1, 0
	s_barrier
	buffer_gl0_inv
	ds_load_b32 v2, v1 offset:1376
	s_and_saveexec_b32 s3, s2
	s_cbranch_execz .LBB42_12
; %bb.11:
	s_lshl_b64 s[4:5], s[18:19], 2
	s_delay_alu instid0(SALU_CYCLE_1)
	s_add_u32 s4, s6, s4
	s_addc_u32 s5, s7, s5
	s_waitcnt lgkmcnt(0)
	global_store_b32 v1, v2, s[4:5]
.LBB42_12:
	s_or_b32 exec_lo, exec_lo, s3
	s_waitcnt lgkmcnt(0)
	v_cmp_ne_u32_e32 vcc_lo, 0, v2
	s_mov_b32 s3, 0
	s_cbranch_vccnz .LBB42_184
; %bb.13:
	v_add_nc_u32_e32 v14, 0, v13
                                        ; implicit-def: $vgpr9_vgpr10
	scratch_load_b128 v[1:4], v14, off
	s_waitcnt vmcnt(0)
	v_mov_b32_e32 v5, v1
	v_cmp_gt_f64_e32 vcc_lo, 0, v[1:2]
	v_xor_b32_e32 v6, 0x80000000, v2
	v_xor_b32_e32 v7, 0x80000000, v4
	s_delay_alu instid0(VALU_DEP_2) | instskip(SKIP_1) | instid1(VALU_DEP_3)
	v_cndmask_b32_e32 v6, v2, v6, vcc_lo
	v_cmp_gt_f64_e32 vcc_lo, 0, v[3:4]
	v_dual_cndmask_b32 v8, v4, v7 :: v_dual_mov_b32 v7, v3
	s_delay_alu instid0(VALU_DEP_1) | instskip(SKIP_1) | instid1(SALU_CYCLE_1)
	v_cmp_ngt_f64_e32 vcc_lo, v[5:6], v[7:8]
                                        ; implicit-def: $vgpr5_vgpr6
	s_and_saveexec_b32 s3, vcc_lo
	s_xor_b32 s3, exec_lo, s3
	s_cbranch_execz .LBB42_15
; %bb.14:
	v_div_scale_f64 v[5:6], null, v[3:4], v[3:4], v[1:2]
	v_div_scale_f64 v[11:12], vcc_lo, v[1:2], v[3:4], v[1:2]
	s_delay_alu instid0(VALU_DEP_2) | instskip(SKIP_2) | instid1(VALU_DEP_1)
	v_rcp_f64_e32 v[7:8], v[5:6]
	s_waitcnt_depctr 0xfff
	v_fma_f64 v[9:10], -v[5:6], v[7:8], 1.0
	v_fma_f64 v[7:8], v[7:8], v[9:10], v[7:8]
	s_delay_alu instid0(VALU_DEP_1) | instskip(NEXT) | instid1(VALU_DEP_1)
	v_fma_f64 v[9:10], -v[5:6], v[7:8], 1.0
	v_fma_f64 v[7:8], v[7:8], v[9:10], v[7:8]
	s_delay_alu instid0(VALU_DEP_1) | instskip(NEXT) | instid1(VALU_DEP_1)
	v_mul_f64 v[9:10], v[11:12], v[7:8]
	v_fma_f64 v[5:6], -v[5:6], v[9:10], v[11:12]
	s_delay_alu instid0(VALU_DEP_1) | instskip(NEXT) | instid1(VALU_DEP_1)
	v_div_fmas_f64 v[5:6], v[5:6], v[7:8], v[9:10]
	v_div_fixup_f64 v[5:6], v[5:6], v[3:4], v[1:2]
	s_delay_alu instid0(VALU_DEP_1) | instskip(NEXT) | instid1(VALU_DEP_1)
	v_fma_f64 v[1:2], v[1:2], v[5:6], v[3:4]
	v_div_scale_f64 v[3:4], null, v[1:2], v[1:2], 1.0
	v_div_scale_f64 v[11:12], vcc_lo, 1.0, v[1:2], 1.0
	s_delay_alu instid0(VALU_DEP_2) | instskip(SKIP_2) | instid1(VALU_DEP_1)
	v_rcp_f64_e32 v[7:8], v[3:4]
	s_waitcnt_depctr 0xfff
	v_fma_f64 v[9:10], -v[3:4], v[7:8], 1.0
	v_fma_f64 v[7:8], v[7:8], v[9:10], v[7:8]
	s_delay_alu instid0(VALU_DEP_1) | instskip(NEXT) | instid1(VALU_DEP_1)
	v_fma_f64 v[9:10], -v[3:4], v[7:8], 1.0
	v_fma_f64 v[7:8], v[7:8], v[9:10], v[7:8]
	s_delay_alu instid0(VALU_DEP_1) | instskip(NEXT) | instid1(VALU_DEP_1)
	v_mul_f64 v[9:10], v[11:12], v[7:8]
	v_fma_f64 v[3:4], -v[3:4], v[9:10], v[11:12]
	s_delay_alu instid0(VALU_DEP_1) | instskip(NEXT) | instid1(VALU_DEP_1)
	v_div_fmas_f64 v[3:4], v[3:4], v[7:8], v[9:10]
	v_div_fixup_f64 v[7:8], v[3:4], v[1:2], 1.0
                                        ; implicit-def: $vgpr1_vgpr2
	s_delay_alu instid0(VALU_DEP_1) | instskip(SKIP_1) | instid1(VALU_DEP_2)
	v_mul_f64 v[5:6], v[5:6], v[7:8]
	v_xor_b32_e32 v8, 0x80000000, v8
	v_xor_b32_e32 v10, 0x80000000, v6
	s_delay_alu instid0(VALU_DEP_3)
	v_mov_b32_e32 v9, v5
.LBB42_15:
	s_and_not1_saveexec_b32 s3, s3
	s_cbranch_execz .LBB42_17
; %bb.16:
	v_div_scale_f64 v[5:6], null, v[1:2], v[1:2], v[3:4]
	v_div_scale_f64 v[11:12], vcc_lo, v[3:4], v[1:2], v[3:4]
	s_delay_alu instid0(VALU_DEP_2) | instskip(SKIP_2) | instid1(VALU_DEP_1)
	v_rcp_f64_e32 v[7:8], v[5:6]
	s_waitcnt_depctr 0xfff
	v_fma_f64 v[9:10], -v[5:6], v[7:8], 1.0
	v_fma_f64 v[7:8], v[7:8], v[9:10], v[7:8]
	s_delay_alu instid0(VALU_DEP_1) | instskip(NEXT) | instid1(VALU_DEP_1)
	v_fma_f64 v[9:10], -v[5:6], v[7:8], 1.0
	v_fma_f64 v[7:8], v[7:8], v[9:10], v[7:8]
	s_delay_alu instid0(VALU_DEP_1) | instskip(NEXT) | instid1(VALU_DEP_1)
	v_mul_f64 v[9:10], v[11:12], v[7:8]
	v_fma_f64 v[5:6], -v[5:6], v[9:10], v[11:12]
	s_delay_alu instid0(VALU_DEP_1) | instskip(NEXT) | instid1(VALU_DEP_1)
	v_div_fmas_f64 v[5:6], v[5:6], v[7:8], v[9:10]
	v_div_fixup_f64 v[7:8], v[5:6], v[1:2], v[3:4]
	s_delay_alu instid0(VALU_DEP_1) | instskip(NEXT) | instid1(VALU_DEP_1)
	v_fma_f64 v[1:2], v[3:4], v[7:8], v[1:2]
	v_div_scale_f64 v[3:4], null, v[1:2], v[1:2], 1.0
	s_delay_alu instid0(VALU_DEP_1) | instskip(SKIP_2) | instid1(VALU_DEP_1)
	v_rcp_f64_e32 v[5:6], v[3:4]
	s_waitcnt_depctr 0xfff
	v_fma_f64 v[9:10], -v[3:4], v[5:6], 1.0
	v_fma_f64 v[5:6], v[5:6], v[9:10], v[5:6]
	s_delay_alu instid0(VALU_DEP_1) | instskip(NEXT) | instid1(VALU_DEP_1)
	v_fma_f64 v[9:10], -v[3:4], v[5:6], 1.0
	v_fma_f64 v[5:6], v[5:6], v[9:10], v[5:6]
	v_div_scale_f64 v[9:10], vcc_lo, 1.0, v[1:2], 1.0
	s_delay_alu instid0(VALU_DEP_1) | instskip(NEXT) | instid1(VALU_DEP_1)
	v_mul_f64 v[11:12], v[9:10], v[5:6]
	v_fma_f64 v[3:4], -v[3:4], v[11:12], v[9:10]
	s_delay_alu instid0(VALU_DEP_1) | instskip(NEXT) | instid1(VALU_DEP_1)
	v_div_fmas_f64 v[3:4], v[3:4], v[5:6], v[11:12]
	v_div_fixup_f64 v[5:6], v[3:4], v[1:2], 1.0
	s_delay_alu instid0(VALU_DEP_1)
	v_mul_f64 v[7:8], v[7:8], -v[5:6]
	v_xor_b32_e32 v10, 0x80000000, v6
	v_mov_b32_e32 v9, v5
.LBB42_17:
	s_or_b32 exec_lo, exec_lo, s3
	scratch_store_b128 v14, v[5:8], off
	scratch_load_b128 v[1:4], v136, off
	v_xor_b32_e32 v12, 0x80000000, v8
	v_mov_b32_e32 v11, v7
	v_add_nc_u32_e32 v5, 0x2b0, v13
	ds_store_b128 v13, v[9:12]
	s_waitcnt vmcnt(0)
	ds_store_b128 v13, v[1:4] offset:688
	s_waitcnt lgkmcnt(0)
	s_waitcnt_vscnt null, 0x0
	s_barrier
	buffer_gl0_inv
	s_and_saveexec_b32 s3, s2
	s_cbranch_execz .LBB42_19
; %bb.18:
	scratch_load_b128 v[1:4], v14, off
	ds_load_b128 v[6:9], v5
	v_mov_b32_e32 v10, 0
	ds_load_b128 v[15:18], v10 offset:16
	s_waitcnt vmcnt(0) lgkmcnt(1)
	v_mul_f64 v[10:11], v[6:7], v[3:4]
	v_mul_f64 v[3:4], v[8:9], v[3:4]
	s_delay_alu instid0(VALU_DEP_2) | instskip(NEXT) | instid1(VALU_DEP_2)
	v_fma_f64 v[8:9], v[8:9], v[1:2], v[10:11]
	v_fma_f64 v[1:2], v[6:7], v[1:2], -v[3:4]
	s_delay_alu instid0(VALU_DEP_2) | instskip(NEXT) | instid1(VALU_DEP_2)
	v_add_f64 v[3:4], v[8:9], 0
	v_add_f64 v[1:2], v[1:2], 0
	s_waitcnt lgkmcnt(0)
	s_delay_alu instid0(VALU_DEP_2) | instskip(NEXT) | instid1(VALU_DEP_2)
	v_mul_f64 v[6:7], v[3:4], v[17:18]
	v_mul_f64 v[8:9], v[1:2], v[17:18]
	s_delay_alu instid0(VALU_DEP_2) | instskip(NEXT) | instid1(VALU_DEP_2)
	v_fma_f64 v[1:2], v[1:2], v[15:16], -v[6:7]
	v_fma_f64 v[3:4], v[3:4], v[15:16], v[8:9]
	scratch_store_b128 off, v[1:4], off offset:16
.LBB42_19:
	s_or_b32 exec_lo, exec_lo, s3
	s_waitcnt_vscnt null, 0x0
	s_barrier
	buffer_gl0_inv
	scratch_load_b128 v[1:4], v135, off
	s_mov_b32 s3, exec_lo
	s_waitcnt vmcnt(0)
	ds_store_b128 v5, v[1:4]
	s_waitcnt lgkmcnt(0)
	s_barrier
	buffer_gl0_inv
	v_cmpx_gt_u32_e32 2, v132
	s_cbranch_execz .LBB42_23
; %bb.20:
	scratch_load_b128 v[1:4], v14, off
	ds_load_b128 v[6:9], v5
	s_waitcnt vmcnt(0) lgkmcnt(0)
	v_mul_f64 v[10:11], v[8:9], v[3:4]
	v_mul_f64 v[3:4], v[6:7], v[3:4]
	s_delay_alu instid0(VALU_DEP_2) | instskip(NEXT) | instid1(VALU_DEP_2)
	v_fma_f64 v[6:7], v[6:7], v[1:2], -v[10:11]
	v_fma_f64 v[3:4], v[8:9], v[1:2], v[3:4]
	s_delay_alu instid0(VALU_DEP_2) | instskip(NEXT) | instid1(VALU_DEP_2)
	v_add_f64 v[1:2], v[6:7], 0
	v_add_f64 v[3:4], v[3:4], 0
	s_and_saveexec_b32 s4, s2
	s_cbranch_execz .LBB42_22
; %bb.21:
	scratch_load_b128 v[6:9], off, off offset:16
	v_mov_b32_e32 v10, 0
	ds_load_b128 v[15:18], v10 offset:704
	s_waitcnt vmcnt(0) lgkmcnt(0)
	v_mul_f64 v[10:11], v[15:16], v[8:9]
	v_mul_f64 v[8:9], v[17:18], v[8:9]
	s_delay_alu instid0(VALU_DEP_2) | instskip(NEXT) | instid1(VALU_DEP_2)
	v_fma_f64 v[10:11], v[17:18], v[6:7], v[10:11]
	v_fma_f64 v[6:7], v[15:16], v[6:7], -v[8:9]
	s_delay_alu instid0(VALU_DEP_2) | instskip(NEXT) | instid1(VALU_DEP_2)
	v_add_f64 v[3:4], v[3:4], v[10:11]
	v_add_f64 v[1:2], v[1:2], v[6:7]
.LBB42_22:
	s_or_b32 exec_lo, exec_lo, s4
	v_mov_b32_e32 v6, 0
	ds_load_b128 v[6:9], v6 offset:32
	s_waitcnt lgkmcnt(0)
	v_mul_f64 v[10:11], v[3:4], v[8:9]
	v_mul_f64 v[8:9], v[1:2], v[8:9]
	s_delay_alu instid0(VALU_DEP_2) | instskip(NEXT) | instid1(VALU_DEP_2)
	v_fma_f64 v[1:2], v[1:2], v[6:7], -v[10:11]
	v_fma_f64 v[3:4], v[3:4], v[6:7], v[8:9]
	scratch_store_b128 off, v[1:4], off offset:32
.LBB42_23:
	s_or_b32 exec_lo, exec_lo, s3
	s_waitcnt_vscnt null, 0x0
	s_barrier
	buffer_gl0_inv
	scratch_load_b128 v[1:4], v134, off
	v_add_nc_u32_e32 v6, -1, v132
	s_mov_b32 s2, exec_lo
	s_waitcnt vmcnt(0)
	ds_store_b128 v5, v[1:4]
	s_waitcnt lgkmcnt(0)
	s_barrier
	buffer_gl0_inv
	v_cmpx_gt_u32_e32 3, v132
	s_cbranch_execz .LBB42_27
; %bb.24:
	v_dual_mov_b32 v1, 0 :: v_dual_add_nc_u32 v8, 0x2b0, v13
	v_dual_mov_b32 v2, 0 :: v_dual_add_nc_u32 v7, -1, v132
	v_or_b32_e32 v9, 8, v14
	s_mov_b32 s3, 0
	s_delay_alu instid0(VALU_DEP_2)
	v_dual_mov_b32 v4, v2 :: v_dual_mov_b32 v3, v1
	.p2align	6
.LBB42_25:                              ; =>This Inner Loop Header: Depth=1
	scratch_load_b128 v[15:18], v9, off offset:-8
	ds_load_b128 v[19:22], v8
	v_add_nc_u32_e32 v7, 1, v7
	v_add_nc_u32_e32 v8, 16, v8
	;; [unrolled: 1-line block ×3, first 2 shown]
	s_delay_alu instid0(VALU_DEP_3) | instskip(SKIP_4) | instid1(VALU_DEP_2)
	v_cmp_lt_u32_e32 vcc_lo, 1, v7
	s_or_b32 s3, vcc_lo, s3
	s_waitcnt vmcnt(0) lgkmcnt(0)
	v_mul_f64 v[10:11], v[21:22], v[17:18]
	v_mul_f64 v[17:18], v[19:20], v[17:18]
	v_fma_f64 v[10:11], v[19:20], v[15:16], -v[10:11]
	s_delay_alu instid0(VALU_DEP_2) | instskip(NEXT) | instid1(VALU_DEP_2)
	v_fma_f64 v[15:16], v[21:22], v[15:16], v[17:18]
	v_add_f64 v[3:4], v[3:4], v[10:11]
	s_delay_alu instid0(VALU_DEP_2)
	v_add_f64 v[1:2], v[1:2], v[15:16]
	s_and_not1_b32 exec_lo, exec_lo, s3
	s_cbranch_execnz .LBB42_25
; %bb.26:
	s_or_b32 exec_lo, exec_lo, s3
	v_mov_b32_e32 v7, 0
	ds_load_b128 v[7:10], v7 offset:48
	s_waitcnt lgkmcnt(0)
	v_mul_f64 v[11:12], v[1:2], v[9:10]
	v_mul_f64 v[15:16], v[3:4], v[9:10]
	s_delay_alu instid0(VALU_DEP_2) | instskip(NEXT) | instid1(VALU_DEP_2)
	v_fma_f64 v[9:10], v[3:4], v[7:8], -v[11:12]
	v_fma_f64 v[11:12], v[1:2], v[7:8], v[15:16]
	scratch_store_b128 off, v[9:12], off offset:48
.LBB42_27:
	s_or_b32 exec_lo, exec_lo, s2
	s_waitcnt_vscnt null, 0x0
	s_barrier
	buffer_gl0_inv
	scratch_load_b128 v[1:4], v133, off
	s_mov_b32 s2, exec_lo
	s_waitcnt vmcnt(0)
	ds_store_b128 v5, v[1:4]
	s_waitcnt lgkmcnt(0)
	s_barrier
	buffer_gl0_inv
	v_cmpx_gt_u32_e32 4, v132
	s_cbranch_execz .LBB42_31
; %bb.28:
	v_dual_mov_b32 v1, 0 :: v_dual_add_nc_u32 v8, 0x2b0, v13
	v_dual_mov_b32 v2, 0 :: v_dual_add_nc_u32 v7, -1, v132
	v_or_b32_e32 v9, 8, v14
	s_mov_b32 s3, 0
	s_delay_alu instid0(VALU_DEP_2)
	v_dual_mov_b32 v4, v2 :: v_dual_mov_b32 v3, v1
	.p2align	6
.LBB42_29:                              ; =>This Inner Loop Header: Depth=1
	scratch_load_b128 v[15:18], v9, off offset:-8
	ds_load_b128 v[19:22], v8
	v_add_nc_u32_e32 v7, 1, v7
	v_add_nc_u32_e32 v8, 16, v8
	;; [unrolled: 1-line block ×3, first 2 shown]
	s_delay_alu instid0(VALU_DEP_3) | instskip(SKIP_4) | instid1(VALU_DEP_2)
	v_cmp_lt_u32_e32 vcc_lo, 2, v7
	s_or_b32 s3, vcc_lo, s3
	s_waitcnt vmcnt(0) lgkmcnt(0)
	v_mul_f64 v[10:11], v[21:22], v[17:18]
	v_mul_f64 v[17:18], v[19:20], v[17:18]
	v_fma_f64 v[10:11], v[19:20], v[15:16], -v[10:11]
	s_delay_alu instid0(VALU_DEP_2) | instskip(NEXT) | instid1(VALU_DEP_2)
	v_fma_f64 v[15:16], v[21:22], v[15:16], v[17:18]
	v_add_f64 v[3:4], v[3:4], v[10:11]
	s_delay_alu instid0(VALU_DEP_2)
	v_add_f64 v[1:2], v[1:2], v[15:16]
	s_and_not1_b32 exec_lo, exec_lo, s3
	s_cbranch_execnz .LBB42_29
; %bb.30:
	s_or_b32 exec_lo, exec_lo, s3
	v_mov_b32_e32 v7, 0
	ds_load_b128 v[7:10], v7 offset:64
	s_waitcnt lgkmcnt(0)
	v_mul_f64 v[11:12], v[1:2], v[9:10]
	v_mul_f64 v[15:16], v[3:4], v[9:10]
	s_delay_alu instid0(VALU_DEP_2) | instskip(NEXT) | instid1(VALU_DEP_2)
	v_fma_f64 v[9:10], v[3:4], v[7:8], -v[11:12]
	v_fma_f64 v[11:12], v[1:2], v[7:8], v[15:16]
	scratch_store_b128 off, v[9:12], off offset:64
.LBB42_31:
	s_or_b32 exec_lo, exec_lo, s2
	s_waitcnt_vscnt null, 0x0
	s_barrier
	buffer_gl0_inv
	scratch_load_b128 v[1:4], v174, off
	s_mov_b32 s2, exec_lo
	s_waitcnt vmcnt(0)
	ds_store_b128 v5, v[1:4]
	s_waitcnt lgkmcnt(0)
	s_barrier
	buffer_gl0_inv
	v_cmpx_gt_u32_e32 5, v132
	s_cbranch_execz .LBB42_35
; %bb.32:
	v_dual_mov_b32 v1, 0 :: v_dual_add_nc_u32 v8, 0x2b0, v13
	v_dual_mov_b32 v2, 0 :: v_dual_add_nc_u32 v7, -1, v132
	v_or_b32_e32 v9, 8, v14
	s_mov_b32 s3, 0
	s_delay_alu instid0(VALU_DEP_2)
	v_dual_mov_b32 v4, v2 :: v_dual_mov_b32 v3, v1
	.p2align	6
.LBB42_33:                              ; =>This Inner Loop Header: Depth=1
	scratch_load_b128 v[15:18], v9, off offset:-8
	ds_load_b128 v[19:22], v8
	v_add_nc_u32_e32 v7, 1, v7
	v_add_nc_u32_e32 v8, 16, v8
	;; [unrolled: 1-line block ×3, first 2 shown]
	s_delay_alu instid0(VALU_DEP_3) | instskip(SKIP_4) | instid1(VALU_DEP_2)
	v_cmp_lt_u32_e32 vcc_lo, 3, v7
	s_or_b32 s3, vcc_lo, s3
	s_waitcnt vmcnt(0) lgkmcnt(0)
	v_mul_f64 v[10:11], v[21:22], v[17:18]
	v_mul_f64 v[17:18], v[19:20], v[17:18]
	v_fma_f64 v[10:11], v[19:20], v[15:16], -v[10:11]
	s_delay_alu instid0(VALU_DEP_2) | instskip(NEXT) | instid1(VALU_DEP_2)
	v_fma_f64 v[15:16], v[21:22], v[15:16], v[17:18]
	v_add_f64 v[3:4], v[3:4], v[10:11]
	s_delay_alu instid0(VALU_DEP_2)
	v_add_f64 v[1:2], v[1:2], v[15:16]
	s_and_not1_b32 exec_lo, exec_lo, s3
	s_cbranch_execnz .LBB42_33
; %bb.34:
	s_or_b32 exec_lo, exec_lo, s3
	v_mov_b32_e32 v7, 0
	ds_load_b128 v[7:10], v7 offset:80
	s_waitcnt lgkmcnt(0)
	v_mul_f64 v[11:12], v[1:2], v[9:10]
	v_mul_f64 v[15:16], v[3:4], v[9:10]
	s_delay_alu instid0(VALU_DEP_2) | instskip(NEXT) | instid1(VALU_DEP_2)
	v_fma_f64 v[9:10], v[3:4], v[7:8], -v[11:12]
	v_fma_f64 v[11:12], v[1:2], v[7:8], v[15:16]
	scratch_store_b128 off, v[9:12], off offset:80
.LBB42_35:
	s_or_b32 exec_lo, exec_lo, s2
	s_waitcnt_vscnt null, 0x0
	s_barrier
	buffer_gl0_inv
	scratch_load_b128 v[1:4], v173, off
	s_mov_b32 s2, exec_lo
	s_waitcnt vmcnt(0)
	ds_store_b128 v5, v[1:4]
	s_waitcnt lgkmcnt(0)
	s_barrier
	buffer_gl0_inv
	v_cmpx_gt_u32_e32 6, v132
	s_cbranch_execz .LBB42_39
; %bb.36:
	v_dual_mov_b32 v1, 0 :: v_dual_add_nc_u32 v8, 0x2b0, v13
	v_dual_mov_b32 v2, 0 :: v_dual_add_nc_u32 v7, -1, v132
	v_or_b32_e32 v9, 8, v14
	s_mov_b32 s3, 0
	s_delay_alu instid0(VALU_DEP_2)
	v_dual_mov_b32 v4, v2 :: v_dual_mov_b32 v3, v1
	.p2align	6
.LBB42_37:                              ; =>This Inner Loop Header: Depth=1
	scratch_load_b128 v[15:18], v9, off offset:-8
	ds_load_b128 v[19:22], v8
	v_add_nc_u32_e32 v7, 1, v7
	v_add_nc_u32_e32 v8, 16, v8
	;; [unrolled: 1-line block ×3, first 2 shown]
	s_delay_alu instid0(VALU_DEP_3) | instskip(SKIP_4) | instid1(VALU_DEP_2)
	v_cmp_lt_u32_e32 vcc_lo, 4, v7
	s_or_b32 s3, vcc_lo, s3
	s_waitcnt vmcnt(0) lgkmcnt(0)
	v_mul_f64 v[10:11], v[21:22], v[17:18]
	v_mul_f64 v[17:18], v[19:20], v[17:18]
	v_fma_f64 v[10:11], v[19:20], v[15:16], -v[10:11]
	s_delay_alu instid0(VALU_DEP_2) | instskip(NEXT) | instid1(VALU_DEP_2)
	v_fma_f64 v[15:16], v[21:22], v[15:16], v[17:18]
	v_add_f64 v[3:4], v[3:4], v[10:11]
	s_delay_alu instid0(VALU_DEP_2)
	v_add_f64 v[1:2], v[1:2], v[15:16]
	s_and_not1_b32 exec_lo, exec_lo, s3
	s_cbranch_execnz .LBB42_37
; %bb.38:
	s_or_b32 exec_lo, exec_lo, s3
	v_mov_b32_e32 v7, 0
	ds_load_b128 v[7:10], v7 offset:96
	s_waitcnt lgkmcnt(0)
	v_mul_f64 v[11:12], v[1:2], v[9:10]
	v_mul_f64 v[15:16], v[3:4], v[9:10]
	s_delay_alu instid0(VALU_DEP_2) | instskip(NEXT) | instid1(VALU_DEP_2)
	v_fma_f64 v[9:10], v[3:4], v[7:8], -v[11:12]
	v_fma_f64 v[11:12], v[1:2], v[7:8], v[15:16]
	scratch_store_b128 off, v[9:12], off offset:96
.LBB42_39:
	s_or_b32 exec_lo, exec_lo, s2
	s_waitcnt_vscnt null, 0x0
	s_barrier
	buffer_gl0_inv
	scratch_load_b128 v[1:4], v172, off
	s_mov_b32 s2, exec_lo
	s_waitcnt vmcnt(0)
	ds_store_b128 v5, v[1:4]
	s_waitcnt lgkmcnt(0)
	s_barrier
	buffer_gl0_inv
	v_cmpx_gt_u32_e32 7, v132
	s_cbranch_execz .LBB42_43
; %bb.40:
	v_dual_mov_b32 v1, 0 :: v_dual_add_nc_u32 v8, 0x2b0, v13
	v_dual_mov_b32 v2, 0 :: v_dual_add_nc_u32 v7, -1, v132
	v_or_b32_e32 v9, 8, v14
	s_mov_b32 s3, 0
	s_delay_alu instid0(VALU_DEP_2)
	v_dual_mov_b32 v4, v2 :: v_dual_mov_b32 v3, v1
	.p2align	6
.LBB42_41:                              ; =>This Inner Loop Header: Depth=1
	scratch_load_b128 v[15:18], v9, off offset:-8
	ds_load_b128 v[19:22], v8
	v_add_nc_u32_e32 v7, 1, v7
	v_add_nc_u32_e32 v8, 16, v8
	;; [unrolled: 1-line block ×3, first 2 shown]
	s_delay_alu instid0(VALU_DEP_3) | instskip(SKIP_4) | instid1(VALU_DEP_2)
	v_cmp_lt_u32_e32 vcc_lo, 5, v7
	s_or_b32 s3, vcc_lo, s3
	s_waitcnt vmcnt(0) lgkmcnt(0)
	v_mul_f64 v[10:11], v[21:22], v[17:18]
	v_mul_f64 v[17:18], v[19:20], v[17:18]
	v_fma_f64 v[10:11], v[19:20], v[15:16], -v[10:11]
	s_delay_alu instid0(VALU_DEP_2) | instskip(NEXT) | instid1(VALU_DEP_2)
	v_fma_f64 v[15:16], v[21:22], v[15:16], v[17:18]
	v_add_f64 v[3:4], v[3:4], v[10:11]
	s_delay_alu instid0(VALU_DEP_2)
	v_add_f64 v[1:2], v[1:2], v[15:16]
	s_and_not1_b32 exec_lo, exec_lo, s3
	s_cbranch_execnz .LBB42_41
; %bb.42:
	s_or_b32 exec_lo, exec_lo, s3
	v_mov_b32_e32 v7, 0
	ds_load_b128 v[7:10], v7 offset:112
	s_waitcnt lgkmcnt(0)
	v_mul_f64 v[11:12], v[1:2], v[9:10]
	v_mul_f64 v[15:16], v[3:4], v[9:10]
	s_delay_alu instid0(VALU_DEP_2) | instskip(NEXT) | instid1(VALU_DEP_2)
	v_fma_f64 v[9:10], v[3:4], v[7:8], -v[11:12]
	v_fma_f64 v[11:12], v[1:2], v[7:8], v[15:16]
	scratch_store_b128 off, v[9:12], off offset:112
.LBB42_43:
	s_or_b32 exec_lo, exec_lo, s2
	s_waitcnt_vscnt null, 0x0
	s_barrier
	buffer_gl0_inv
	scratch_load_b128 v[1:4], v171, off
	s_mov_b32 s2, exec_lo
	s_waitcnt vmcnt(0)
	ds_store_b128 v5, v[1:4]
	s_waitcnt lgkmcnt(0)
	s_barrier
	buffer_gl0_inv
	v_cmpx_gt_u32_e32 8, v132
	s_cbranch_execz .LBB42_47
; %bb.44:
	v_dual_mov_b32 v1, 0 :: v_dual_add_nc_u32 v8, 0x2b0, v13
	v_dual_mov_b32 v2, 0 :: v_dual_add_nc_u32 v7, -1, v132
	v_or_b32_e32 v9, 8, v14
	s_mov_b32 s3, 0
	s_delay_alu instid0(VALU_DEP_2)
	v_dual_mov_b32 v4, v2 :: v_dual_mov_b32 v3, v1
	.p2align	6
.LBB42_45:                              ; =>This Inner Loop Header: Depth=1
	scratch_load_b128 v[15:18], v9, off offset:-8
	ds_load_b128 v[19:22], v8
	v_add_nc_u32_e32 v7, 1, v7
	v_add_nc_u32_e32 v8, 16, v8
	;; [unrolled: 1-line block ×3, first 2 shown]
	s_delay_alu instid0(VALU_DEP_3) | instskip(SKIP_4) | instid1(VALU_DEP_2)
	v_cmp_lt_u32_e32 vcc_lo, 6, v7
	s_or_b32 s3, vcc_lo, s3
	s_waitcnt vmcnt(0) lgkmcnt(0)
	v_mul_f64 v[10:11], v[21:22], v[17:18]
	v_mul_f64 v[17:18], v[19:20], v[17:18]
	v_fma_f64 v[10:11], v[19:20], v[15:16], -v[10:11]
	s_delay_alu instid0(VALU_DEP_2) | instskip(NEXT) | instid1(VALU_DEP_2)
	v_fma_f64 v[15:16], v[21:22], v[15:16], v[17:18]
	v_add_f64 v[3:4], v[3:4], v[10:11]
	s_delay_alu instid0(VALU_DEP_2)
	v_add_f64 v[1:2], v[1:2], v[15:16]
	s_and_not1_b32 exec_lo, exec_lo, s3
	s_cbranch_execnz .LBB42_45
; %bb.46:
	s_or_b32 exec_lo, exec_lo, s3
	v_mov_b32_e32 v7, 0
	ds_load_b128 v[7:10], v7 offset:128
	s_waitcnt lgkmcnt(0)
	v_mul_f64 v[11:12], v[1:2], v[9:10]
	v_mul_f64 v[15:16], v[3:4], v[9:10]
	s_delay_alu instid0(VALU_DEP_2) | instskip(NEXT) | instid1(VALU_DEP_2)
	v_fma_f64 v[9:10], v[3:4], v[7:8], -v[11:12]
	v_fma_f64 v[11:12], v[1:2], v[7:8], v[15:16]
	scratch_store_b128 off, v[9:12], off offset:128
.LBB42_47:
	s_or_b32 exec_lo, exec_lo, s2
	s_waitcnt_vscnt null, 0x0
	s_barrier
	buffer_gl0_inv
	scratch_load_b128 v[1:4], v170, off
	s_mov_b32 s2, exec_lo
	s_waitcnt vmcnt(0)
	ds_store_b128 v5, v[1:4]
	s_waitcnt lgkmcnt(0)
	s_barrier
	buffer_gl0_inv
	v_cmpx_gt_u32_e32 9, v132
	s_cbranch_execz .LBB42_51
; %bb.48:
	v_dual_mov_b32 v1, 0 :: v_dual_add_nc_u32 v8, 0x2b0, v13
	v_dual_mov_b32 v2, 0 :: v_dual_add_nc_u32 v7, -1, v132
	v_or_b32_e32 v9, 8, v14
	s_mov_b32 s3, 0
	s_delay_alu instid0(VALU_DEP_2)
	v_dual_mov_b32 v4, v2 :: v_dual_mov_b32 v3, v1
	.p2align	6
.LBB42_49:                              ; =>This Inner Loop Header: Depth=1
	scratch_load_b128 v[15:18], v9, off offset:-8
	ds_load_b128 v[19:22], v8
	v_add_nc_u32_e32 v7, 1, v7
	v_add_nc_u32_e32 v8, 16, v8
	;; [unrolled: 1-line block ×3, first 2 shown]
	s_delay_alu instid0(VALU_DEP_3) | instskip(SKIP_4) | instid1(VALU_DEP_2)
	v_cmp_lt_u32_e32 vcc_lo, 7, v7
	s_or_b32 s3, vcc_lo, s3
	s_waitcnt vmcnt(0) lgkmcnt(0)
	v_mul_f64 v[10:11], v[21:22], v[17:18]
	v_mul_f64 v[17:18], v[19:20], v[17:18]
	v_fma_f64 v[10:11], v[19:20], v[15:16], -v[10:11]
	s_delay_alu instid0(VALU_DEP_2) | instskip(NEXT) | instid1(VALU_DEP_2)
	v_fma_f64 v[15:16], v[21:22], v[15:16], v[17:18]
	v_add_f64 v[3:4], v[3:4], v[10:11]
	s_delay_alu instid0(VALU_DEP_2)
	v_add_f64 v[1:2], v[1:2], v[15:16]
	s_and_not1_b32 exec_lo, exec_lo, s3
	s_cbranch_execnz .LBB42_49
; %bb.50:
	s_or_b32 exec_lo, exec_lo, s3
	v_mov_b32_e32 v7, 0
	ds_load_b128 v[7:10], v7 offset:144
	s_waitcnt lgkmcnt(0)
	v_mul_f64 v[11:12], v[1:2], v[9:10]
	v_mul_f64 v[15:16], v[3:4], v[9:10]
	s_delay_alu instid0(VALU_DEP_2) | instskip(NEXT) | instid1(VALU_DEP_2)
	v_fma_f64 v[9:10], v[3:4], v[7:8], -v[11:12]
	v_fma_f64 v[11:12], v[1:2], v[7:8], v[15:16]
	scratch_store_b128 off, v[9:12], off offset:144
.LBB42_51:
	s_or_b32 exec_lo, exec_lo, s2
	s_waitcnt_vscnt null, 0x0
	s_barrier
	buffer_gl0_inv
	scratch_load_b128 v[1:4], v169, off
	s_mov_b32 s2, exec_lo
	s_waitcnt vmcnt(0)
	ds_store_b128 v5, v[1:4]
	s_waitcnt lgkmcnt(0)
	s_barrier
	buffer_gl0_inv
	v_cmpx_gt_u32_e32 10, v132
	s_cbranch_execz .LBB42_55
; %bb.52:
	v_dual_mov_b32 v1, 0 :: v_dual_add_nc_u32 v8, 0x2b0, v13
	v_dual_mov_b32 v2, 0 :: v_dual_add_nc_u32 v7, -1, v132
	v_or_b32_e32 v9, 8, v14
	s_mov_b32 s3, 0
	s_delay_alu instid0(VALU_DEP_2)
	v_dual_mov_b32 v4, v2 :: v_dual_mov_b32 v3, v1
	.p2align	6
.LBB42_53:                              ; =>This Inner Loop Header: Depth=1
	scratch_load_b128 v[15:18], v9, off offset:-8
	ds_load_b128 v[19:22], v8
	v_add_nc_u32_e32 v7, 1, v7
	v_add_nc_u32_e32 v8, 16, v8
	;; [unrolled: 1-line block ×3, first 2 shown]
	s_delay_alu instid0(VALU_DEP_3) | instskip(SKIP_4) | instid1(VALU_DEP_2)
	v_cmp_lt_u32_e32 vcc_lo, 8, v7
	s_or_b32 s3, vcc_lo, s3
	s_waitcnt vmcnt(0) lgkmcnt(0)
	v_mul_f64 v[10:11], v[21:22], v[17:18]
	v_mul_f64 v[17:18], v[19:20], v[17:18]
	v_fma_f64 v[10:11], v[19:20], v[15:16], -v[10:11]
	s_delay_alu instid0(VALU_DEP_2) | instskip(NEXT) | instid1(VALU_DEP_2)
	v_fma_f64 v[15:16], v[21:22], v[15:16], v[17:18]
	v_add_f64 v[3:4], v[3:4], v[10:11]
	s_delay_alu instid0(VALU_DEP_2)
	v_add_f64 v[1:2], v[1:2], v[15:16]
	s_and_not1_b32 exec_lo, exec_lo, s3
	s_cbranch_execnz .LBB42_53
; %bb.54:
	s_or_b32 exec_lo, exec_lo, s3
	v_mov_b32_e32 v7, 0
	ds_load_b128 v[7:10], v7 offset:160
	s_waitcnt lgkmcnt(0)
	v_mul_f64 v[11:12], v[1:2], v[9:10]
	v_mul_f64 v[15:16], v[3:4], v[9:10]
	s_delay_alu instid0(VALU_DEP_2) | instskip(NEXT) | instid1(VALU_DEP_2)
	v_fma_f64 v[9:10], v[3:4], v[7:8], -v[11:12]
	v_fma_f64 v[11:12], v[1:2], v[7:8], v[15:16]
	scratch_store_b128 off, v[9:12], off offset:160
.LBB42_55:
	s_or_b32 exec_lo, exec_lo, s2
	s_waitcnt_vscnt null, 0x0
	s_barrier
	buffer_gl0_inv
	scratch_load_b128 v[1:4], v167, off
	s_mov_b32 s2, exec_lo
	s_waitcnt vmcnt(0)
	ds_store_b128 v5, v[1:4]
	s_waitcnt lgkmcnt(0)
	s_barrier
	buffer_gl0_inv
	v_cmpx_gt_u32_e32 11, v132
	s_cbranch_execz .LBB42_59
; %bb.56:
	v_dual_mov_b32 v1, 0 :: v_dual_add_nc_u32 v8, 0x2b0, v13
	v_dual_mov_b32 v2, 0 :: v_dual_add_nc_u32 v7, -1, v132
	v_or_b32_e32 v9, 8, v14
	s_mov_b32 s3, 0
	s_delay_alu instid0(VALU_DEP_2)
	v_dual_mov_b32 v4, v2 :: v_dual_mov_b32 v3, v1
	.p2align	6
.LBB42_57:                              ; =>This Inner Loop Header: Depth=1
	scratch_load_b128 v[15:18], v9, off offset:-8
	ds_load_b128 v[19:22], v8
	v_add_nc_u32_e32 v7, 1, v7
	v_add_nc_u32_e32 v8, 16, v8
	;; [unrolled: 1-line block ×3, first 2 shown]
	s_delay_alu instid0(VALU_DEP_3) | instskip(SKIP_4) | instid1(VALU_DEP_2)
	v_cmp_lt_u32_e32 vcc_lo, 9, v7
	s_or_b32 s3, vcc_lo, s3
	s_waitcnt vmcnt(0) lgkmcnt(0)
	v_mul_f64 v[10:11], v[21:22], v[17:18]
	v_mul_f64 v[17:18], v[19:20], v[17:18]
	v_fma_f64 v[10:11], v[19:20], v[15:16], -v[10:11]
	s_delay_alu instid0(VALU_DEP_2) | instskip(NEXT) | instid1(VALU_DEP_2)
	v_fma_f64 v[15:16], v[21:22], v[15:16], v[17:18]
	v_add_f64 v[3:4], v[3:4], v[10:11]
	s_delay_alu instid0(VALU_DEP_2)
	v_add_f64 v[1:2], v[1:2], v[15:16]
	s_and_not1_b32 exec_lo, exec_lo, s3
	s_cbranch_execnz .LBB42_57
; %bb.58:
	s_or_b32 exec_lo, exec_lo, s3
	v_mov_b32_e32 v7, 0
	ds_load_b128 v[7:10], v7 offset:176
	s_waitcnt lgkmcnt(0)
	v_mul_f64 v[11:12], v[1:2], v[9:10]
	v_mul_f64 v[15:16], v[3:4], v[9:10]
	s_delay_alu instid0(VALU_DEP_2) | instskip(NEXT) | instid1(VALU_DEP_2)
	v_fma_f64 v[9:10], v[3:4], v[7:8], -v[11:12]
	v_fma_f64 v[11:12], v[1:2], v[7:8], v[15:16]
	scratch_store_b128 off, v[9:12], off offset:176
.LBB42_59:
	s_or_b32 exec_lo, exec_lo, s2
	s_waitcnt_vscnt null, 0x0
	s_barrier
	buffer_gl0_inv
	scratch_load_b128 v[1:4], v166, off
	s_mov_b32 s2, exec_lo
	s_waitcnt vmcnt(0)
	ds_store_b128 v5, v[1:4]
	s_waitcnt lgkmcnt(0)
	s_barrier
	buffer_gl0_inv
	v_cmpx_gt_u32_e32 12, v132
	s_cbranch_execz .LBB42_63
; %bb.60:
	v_dual_mov_b32 v1, 0 :: v_dual_add_nc_u32 v8, 0x2b0, v13
	v_dual_mov_b32 v2, 0 :: v_dual_add_nc_u32 v7, -1, v132
	v_or_b32_e32 v9, 8, v14
	s_mov_b32 s3, 0
	s_delay_alu instid0(VALU_DEP_2)
	v_dual_mov_b32 v4, v2 :: v_dual_mov_b32 v3, v1
	.p2align	6
.LBB42_61:                              ; =>This Inner Loop Header: Depth=1
	scratch_load_b128 v[15:18], v9, off offset:-8
	ds_load_b128 v[19:22], v8
	v_add_nc_u32_e32 v7, 1, v7
	v_add_nc_u32_e32 v8, 16, v8
	;; [unrolled: 1-line block ×3, first 2 shown]
	s_delay_alu instid0(VALU_DEP_3) | instskip(SKIP_4) | instid1(VALU_DEP_2)
	v_cmp_lt_u32_e32 vcc_lo, 10, v7
	s_or_b32 s3, vcc_lo, s3
	s_waitcnt vmcnt(0) lgkmcnt(0)
	v_mul_f64 v[10:11], v[21:22], v[17:18]
	v_mul_f64 v[17:18], v[19:20], v[17:18]
	v_fma_f64 v[10:11], v[19:20], v[15:16], -v[10:11]
	s_delay_alu instid0(VALU_DEP_2) | instskip(NEXT) | instid1(VALU_DEP_2)
	v_fma_f64 v[15:16], v[21:22], v[15:16], v[17:18]
	v_add_f64 v[3:4], v[3:4], v[10:11]
	s_delay_alu instid0(VALU_DEP_2)
	v_add_f64 v[1:2], v[1:2], v[15:16]
	s_and_not1_b32 exec_lo, exec_lo, s3
	s_cbranch_execnz .LBB42_61
; %bb.62:
	s_or_b32 exec_lo, exec_lo, s3
	v_mov_b32_e32 v7, 0
	ds_load_b128 v[7:10], v7 offset:192
	s_waitcnt lgkmcnt(0)
	v_mul_f64 v[11:12], v[1:2], v[9:10]
	v_mul_f64 v[15:16], v[3:4], v[9:10]
	s_delay_alu instid0(VALU_DEP_2) | instskip(NEXT) | instid1(VALU_DEP_2)
	v_fma_f64 v[9:10], v[3:4], v[7:8], -v[11:12]
	v_fma_f64 v[11:12], v[1:2], v[7:8], v[15:16]
	scratch_store_b128 off, v[9:12], off offset:192
.LBB42_63:
	s_or_b32 exec_lo, exec_lo, s2
	s_waitcnt_vscnt null, 0x0
	s_barrier
	buffer_gl0_inv
	scratch_load_b128 v[1:4], v165, off
	s_mov_b32 s2, exec_lo
	s_waitcnt vmcnt(0)
	ds_store_b128 v5, v[1:4]
	s_waitcnt lgkmcnt(0)
	s_barrier
	buffer_gl0_inv
	v_cmpx_gt_u32_e32 13, v132
	s_cbranch_execz .LBB42_67
; %bb.64:
	v_dual_mov_b32 v1, 0 :: v_dual_add_nc_u32 v8, 0x2b0, v13
	v_dual_mov_b32 v2, 0 :: v_dual_add_nc_u32 v7, -1, v132
	v_or_b32_e32 v9, 8, v14
	s_mov_b32 s3, 0
	s_delay_alu instid0(VALU_DEP_2)
	v_dual_mov_b32 v4, v2 :: v_dual_mov_b32 v3, v1
	.p2align	6
.LBB42_65:                              ; =>This Inner Loop Header: Depth=1
	scratch_load_b128 v[15:18], v9, off offset:-8
	ds_load_b128 v[19:22], v8
	v_add_nc_u32_e32 v7, 1, v7
	v_add_nc_u32_e32 v8, 16, v8
	;; [unrolled: 1-line block ×3, first 2 shown]
	s_delay_alu instid0(VALU_DEP_3) | instskip(SKIP_4) | instid1(VALU_DEP_2)
	v_cmp_lt_u32_e32 vcc_lo, 11, v7
	s_or_b32 s3, vcc_lo, s3
	s_waitcnt vmcnt(0) lgkmcnt(0)
	v_mul_f64 v[10:11], v[21:22], v[17:18]
	v_mul_f64 v[17:18], v[19:20], v[17:18]
	v_fma_f64 v[10:11], v[19:20], v[15:16], -v[10:11]
	s_delay_alu instid0(VALU_DEP_2) | instskip(NEXT) | instid1(VALU_DEP_2)
	v_fma_f64 v[15:16], v[21:22], v[15:16], v[17:18]
	v_add_f64 v[3:4], v[3:4], v[10:11]
	s_delay_alu instid0(VALU_DEP_2)
	v_add_f64 v[1:2], v[1:2], v[15:16]
	s_and_not1_b32 exec_lo, exec_lo, s3
	s_cbranch_execnz .LBB42_65
; %bb.66:
	s_or_b32 exec_lo, exec_lo, s3
	v_mov_b32_e32 v7, 0
	ds_load_b128 v[7:10], v7 offset:208
	s_waitcnt lgkmcnt(0)
	v_mul_f64 v[11:12], v[1:2], v[9:10]
	v_mul_f64 v[15:16], v[3:4], v[9:10]
	s_delay_alu instid0(VALU_DEP_2) | instskip(NEXT) | instid1(VALU_DEP_2)
	v_fma_f64 v[9:10], v[3:4], v[7:8], -v[11:12]
	v_fma_f64 v[11:12], v[1:2], v[7:8], v[15:16]
	scratch_store_b128 off, v[9:12], off offset:208
.LBB42_67:
	s_or_b32 exec_lo, exec_lo, s2
	s_waitcnt_vscnt null, 0x0
	s_barrier
	buffer_gl0_inv
	scratch_load_b128 v[1:4], v163, off
	s_mov_b32 s2, exec_lo
	s_waitcnt vmcnt(0)
	ds_store_b128 v5, v[1:4]
	s_waitcnt lgkmcnt(0)
	s_barrier
	buffer_gl0_inv
	v_cmpx_gt_u32_e32 14, v132
	s_cbranch_execz .LBB42_71
; %bb.68:
	v_dual_mov_b32 v1, 0 :: v_dual_add_nc_u32 v8, 0x2b0, v13
	v_dual_mov_b32 v2, 0 :: v_dual_add_nc_u32 v7, -1, v132
	v_or_b32_e32 v9, 8, v14
	s_mov_b32 s3, 0
	s_delay_alu instid0(VALU_DEP_2)
	v_dual_mov_b32 v4, v2 :: v_dual_mov_b32 v3, v1
	.p2align	6
.LBB42_69:                              ; =>This Inner Loop Header: Depth=1
	scratch_load_b128 v[15:18], v9, off offset:-8
	ds_load_b128 v[19:22], v8
	v_add_nc_u32_e32 v7, 1, v7
	v_add_nc_u32_e32 v8, 16, v8
	v_add_nc_u32_e32 v9, 16, v9
	s_delay_alu instid0(VALU_DEP_3) | instskip(SKIP_4) | instid1(VALU_DEP_2)
	v_cmp_lt_u32_e32 vcc_lo, 12, v7
	s_or_b32 s3, vcc_lo, s3
	s_waitcnt vmcnt(0) lgkmcnt(0)
	v_mul_f64 v[10:11], v[21:22], v[17:18]
	v_mul_f64 v[17:18], v[19:20], v[17:18]
	v_fma_f64 v[10:11], v[19:20], v[15:16], -v[10:11]
	s_delay_alu instid0(VALU_DEP_2) | instskip(NEXT) | instid1(VALU_DEP_2)
	v_fma_f64 v[15:16], v[21:22], v[15:16], v[17:18]
	v_add_f64 v[3:4], v[3:4], v[10:11]
	s_delay_alu instid0(VALU_DEP_2)
	v_add_f64 v[1:2], v[1:2], v[15:16]
	s_and_not1_b32 exec_lo, exec_lo, s3
	s_cbranch_execnz .LBB42_69
; %bb.70:
	s_or_b32 exec_lo, exec_lo, s3
	v_mov_b32_e32 v7, 0
	ds_load_b128 v[7:10], v7 offset:224
	s_waitcnt lgkmcnt(0)
	v_mul_f64 v[11:12], v[1:2], v[9:10]
	v_mul_f64 v[15:16], v[3:4], v[9:10]
	s_delay_alu instid0(VALU_DEP_2) | instskip(NEXT) | instid1(VALU_DEP_2)
	v_fma_f64 v[9:10], v[3:4], v[7:8], -v[11:12]
	v_fma_f64 v[11:12], v[1:2], v[7:8], v[15:16]
	scratch_store_b128 off, v[9:12], off offset:224
.LBB42_71:
	s_or_b32 exec_lo, exec_lo, s2
	s_waitcnt_vscnt null, 0x0
	s_barrier
	buffer_gl0_inv
	scratch_load_b128 v[1:4], v161, off
	s_mov_b32 s2, exec_lo
	s_waitcnt vmcnt(0)
	ds_store_b128 v5, v[1:4]
	s_waitcnt lgkmcnt(0)
	s_barrier
	buffer_gl0_inv
	v_cmpx_gt_u32_e32 15, v132
	s_cbranch_execz .LBB42_75
; %bb.72:
	v_dual_mov_b32 v1, 0 :: v_dual_add_nc_u32 v8, 0x2b0, v13
	v_dual_mov_b32 v2, 0 :: v_dual_add_nc_u32 v7, -1, v132
	v_or_b32_e32 v9, 8, v14
	s_mov_b32 s3, 0
	s_delay_alu instid0(VALU_DEP_2)
	v_dual_mov_b32 v4, v2 :: v_dual_mov_b32 v3, v1
	.p2align	6
.LBB42_73:                              ; =>This Inner Loop Header: Depth=1
	scratch_load_b128 v[15:18], v9, off offset:-8
	ds_load_b128 v[19:22], v8
	v_add_nc_u32_e32 v7, 1, v7
	v_add_nc_u32_e32 v8, 16, v8
	;; [unrolled: 1-line block ×3, first 2 shown]
	s_delay_alu instid0(VALU_DEP_3) | instskip(SKIP_4) | instid1(VALU_DEP_2)
	v_cmp_lt_u32_e32 vcc_lo, 13, v7
	s_or_b32 s3, vcc_lo, s3
	s_waitcnt vmcnt(0) lgkmcnt(0)
	v_mul_f64 v[10:11], v[21:22], v[17:18]
	v_mul_f64 v[17:18], v[19:20], v[17:18]
	v_fma_f64 v[10:11], v[19:20], v[15:16], -v[10:11]
	s_delay_alu instid0(VALU_DEP_2) | instskip(NEXT) | instid1(VALU_DEP_2)
	v_fma_f64 v[15:16], v[21:22], v[15:16], v[17:18]
	v_add_f64 v[3:4], v[3:4], v[10:11]
	s_delay_alu instid0(VALU_DEP_2)
	v_add_f64 v[1:2], v[1:2], v[15:16]
	s_and_not1_b32 exec_lo, exec_lo, s3
	s_cbranch_execnz .LBB42_73
; %bb.74:
	s_or_b32 exec_lo, exec_lo, s3
	v_mov_b32_e32 v7, 0
	ds_load_b128 v[7:10], v7 offset:240
	s_waitcnt lgkmcnt(0)
	v_mul_f64 v[11:12], v[1:2], v[9:10]
	v_mul_f64 v[15:16], v[3:4], v[9:10]
	s_delay_alu instid0(VALU_DEP_2) | instskip(NEXT) | instid1(VALU_DEP_2)
	v_fma_f64 v[9:10], v[3:4], v[7:8], -v[11:12]
	v_fma_f64 v[11:12], v[1:2], v[7:8], v[15:16]
	scratch_store_b128 off, v[9:12], off offset:240
.LBB42_75:
	s_or_b32 exec_lo, exec_lo, s2
	s_waitcnt_vscnt null, 0x0
	s_barrier
	buffer_gl0_inv
	scratch_load_b128 v[1:4], v160, off
	s_mov_b32 s2, exec_lo
	s_waitcnt vmcnt(0)
	ds_store_b128 v5, v[1:4]
	s_waitcnt lgkmcnt(0)
	s_barrier
	buffer_gl0_inv
	v_cmpx_gt_u32_e32 16, v132
	s_cbranch_execz .LBB42_79
; %bb.76:
	v_dual_mov_b32 v1, 0 :: v_dual_add_nc_u32 v8, 0x2b0, v13
	v_dual_mov_b32 v2, 0 :: v_dual_add_nc_u32 v7, -1, v132
	v_or_b32_e32 v9, 8, v14
	s_mov_b32 s3, 0
	s_delay_alu instid0(VALU_DEP_2)
	v_dual_mov_b32 v4, v2 :: v_dual_mov_b32 v3, v1
	.p2align	6
.LBB42_77:                              ; =>This Inner Loop Header: Depth=1
	scratch_load_b128 v[15:18], v9, off offset:-8
	ds_load_b128 v[19:22], v8
	v_add_nc_u32_e32 v7, 1, v7
	v_add_nc_u32_e32 v8, 16, v8
	;; [unrolled: 1-line block ×3, first 2 shown]
	s_delay_alu instid0(VALU_DEP_3) | instskip(SKIP_4) | instid1(VALU_DEP_2)
	v_cmp_lt_u32_e32 vcc_lo, 14, v7
	s_or_b32 s3, vcc_lo, s3
	s_waitcnt vmcnt(0) lgkmcnt(0)
	v_mul_f64 v[10:11], v[21:22], v[17:18]
	v_mul_f64 v[17:18], v[19:20], v[17:18]
	v_fma_f64 v[10:11], v[19:20], v[15:16], -v[10:11]
	s_delay_alu instid0(VALU_DEP_2) | instskip(NEXT) | instid1(VALU_DEP_2)
	v_fma_f64 v[15:16], v[21:22], v[15:16], v[17:18]
	v_add_f64 v[3:4], v[3:4], v[10:11]
	s_delay_alu instid0(VALU_DEP_2)
	v_add_f64 v[1:2], v[1:2], v[15:16]
	s_and_not1_b32 exec_lo, exec_lo, s3
	s_cbranch_execnz .LBB42_77
; %bb.78:
	s_or_b32 exec_lo, exec_lo, s3
	v_mov_b32_e32 v7, 0
	ds_load_b128 v[7:10], v7 offset:256
	s_waitcnt lgkmcnt(0)
	v_mul_f64 v[11:12], v[1:2], v[9:10]
	v_mul_f64 v[15:16], v[3:4], v[9:10]
	s_delay_alu instid0(VALU_DEP_2) | instskip(NEXT) | instid1(VALU_DEP_2)
	v_fma_f64 v[9:10], v[3:4], v[7:8], -v[11:12]
	v_fma_f64 v[11:12], v[1:2], v[7:8], v[15:16]
	scratch_store_b128 off, v[9:12], off offset:256
.LBB42_79:
	s_or_b32 exec_lo, exec_lo, s2
	s_waitcnt_vscnt null, 0x0
	s_barrier
	buffer_gl0_inv
	scratch_load_b128 v[1:4], v159, off
	s_mov_b32 s2, exec_lo
	s_waitcnt vmcnt(0)
	ds_store_b128 v5, v[1:4]
	s_waitcnt lgkmcnt(0)
	s_barrier
	buffer_gl0_inv
	v_cmpx_gt_u32_e32 17, v132
	s_cbranch_execz .LBB42_83
; %bb.80:
	v_dual_mov_b32 v1, 0 :: v_dual_add_nc_u32 v8, 0x2b0, v13
	v_dual_mov_b32 v2, 0 :: v_dual_add_nc_u32 v7, -1, v132
	v_or_b32_e32 v9, 8, v14
	s_mov_b32 s3, 0
	s_delay_alu instid0(VALU_DEP_2)
	v_dual_mov_b32 v4, v2 :: v_dual_mov_b32 v3, v1
	.p2align	6
.LBB42_81:                              ; =>This Inner Loop Header: Depth=1
	scratch_load_b128 v[15:18], v9, off offset:-8
	ds_load_b128 v[19:22], v8
	v_add_nc_u32_e32 v7, 1, v7
	v_add_nc_u32_e32 v8, 16, v8
	;; [unrolled: 1-line block ×3, first 2 shown]
	s_delay_alu instid0(VALU_DEP_3) | instskip(SKIP_4) | instid1(VALU_DEP_2)
	v_cmp_lt_u32_e32 vcc_lo, 15, v7
	s_or_b32 s3, vcc_lo, s3
	s_waitcnt vmcnt(0) lgkmcnt(0)
	v_mul_f64 v[10:11], v[21:22], v[17:18]
	v_mul_f64 v[17:18], v[19:20], v[17:18]
	v_fma_f64 v[10:11], v[19:20], v[15:16], -v[10:11]
	s_delay_alu instid0(VALU_DEP_2) | instskip(NEXT) | instid1(VALU_DEP_2)
	v_fma_f64 v[15:16], v[21:22], v[15:16], v[17:18]
	v_add_f64 v[3:4], v[3:4], v[10:11]
	s_delay_alu instid0(VALU_DEP_2)
	v_add_f64 v[1:2], v[1:2], v[15:16]
	s_and_not1_b32 exec_lo, exec_lo, s3
	s_cbranch_execnz .LBB42_81
; %bb.82:
	s_or_b32 exec_lo, exec_lo, s3
	v_mov_b32_e32 v7, 0
	ds_load_b128 v[7:10], v7 offset:272
	s_waitcnt lgkmcnt(0)
	v_mul_f64 v[11:12], v[1:2], v[9:10]
	v_mul_f64 v[15:16], v[3:4], v[9:10]
	s_delay_alu instid0(VALU_DEP_2) | instskip(NEXT) | instid1(VALU_DEP_2)
	v_fma_f64 v[9:10], v[3:4], v[7:8], -v[11:12]
	v_fma_f64 v[11:12], v[1:2], v[7:8], v[15:16]
	scratch_store_b128 off, v[9:12], off offset:272
.LBB42_83:
	s_or_b32 exec_lo, exec_lo, s2
	s_waitcnt_vscnt null, 0x0
	s_barrier
	buffer_gl0_inv
	scratch_load_b128 v[1:4], v157, off
	s_mov_b32 s2, exec_lo
	s_waitcnt vmcnt(0)
	ds_store_b128 v5, v[1:4]
	s_waitcnt lgkmcnt(0)
	s_barrier
	buffer_gl0_inv
	v_cmpx_gt_u32_e32 18, v132
	s_cbranch_execz .LBB42_87
; %bb.84:
	v_dual_mov_b32 v1, 0 :: v_dual_add_nc_u32 v8, 0x2b0, v13
	v_dual_mov_b32 v2, 0 :: v_dual_add_nc_u32 v7, -1, v132
	v_or_b32_e32 v9, 8, v14
	s_mov_b32 s3, 0
	s_delay_alu instid0(VALU_DEP_2)
	v_dual_mov_b32 v4, v2 :: v_dual_mov_b32 v3, v1
	.p2align	6
.LBB42_85:                              ; =>This Inner Loop Header: Depth=1
	scratch_load_b128 v[15:18], v9, off offset:-8
	ds_load_b128 v[19:22], v8
	v_add_nc_u32_e32 v7, 1, v7
	v_add_nc_u32_e32 v8, 16, v8
	;; [unrolled: 1-line block ×3, first 2 shown]
	s_delay_alu instid0(VALU_DEP_3) | instskip(SKIP_4) | instid1(VALU_DEP_2)
	v_cmp_lt_u32_e32 vcc_lo, 16, v7
	s_or_b32 s3, vcc_lo, s3
	s_waitcnt vmcnt(0) lgkmcnt(0)
	v_mul_f64 v[10:11], v[21:22], v[17:18]
	v_mul_f64 v[17:18], v[19:20], v[17:18]
	v_fma_f64 v[10:11], v[19:20], v[15:16], -v[10:11]
	s_delay_alu instid0(VALU_DEP_2) | instskip(NEXT) | instid1(VALU_DEP_2)
	v_fma_f64 v[15:16], v[21:22], v[15:16], v[17:18]
	v_add_f64 v[3:4], v[3:4], v[10:11]
	s_delay_alu instid0(VALU_DEP_2)
	v_add_f64 v[1:2], v[1:2], v[15:16]
	s_and_not1_b32 exec_lo, exec_lo, s3
	s_cbranch_execnz .LBB42_85
; %bb.86:
	s_or_b32 exec_lo, exec_lo, s3
	v_mov_b32_e32 v7, 0
	ds_load_b128 v[7:10], v7 offset:288
	s_waitcnt lgkmcnt(0)
	v_mul_f64 v[11:12], v[1:2], v[9:10]
	v_mul_f64 v[15:16], v[3:4], v[9:10]
	s_delay_alu instid0(VALU_DEP_2) | instskip(NEXT) | instid1(VALU_DEP_2)
	v_fma_f64 v[9:10], v[3:4], v[7:8], -v[11:12]
	v_fma_f64 v[11:12], v[1:2], v[7:8], v[15:16]
	scratch_store_b128 off, v[9:12], off offset:288
.LBB42_87:
	s_or_b32 exec_lo, exec_lo, s2
	s_waitcnt_vscnt null, 0x0
	s_barrier
	buffer_gl0_inv
	scratch_load_b128 v[1:4], v155, off
	s_mov_b32 s2, exec_lo
	s_waitcnt vmcnt(0)
	ds_store_b128 v5, v[1:4]
	s_waitcnt lgkmcnt(0)
	s_barrier
	buffer_gl0_inv
	v_cmpx_gt_u32_e32 19, v132
	s_cbranch_execz .LBB42_91
; %bb.88:
	v_dual_mov_b32 v1, 0 :: v_dual_add_nc_u32 v8, 0x2b0, v13
	v_dual_mov_b32 v2, 0 :: v_dual_add_nc_u32 v7, -1, v132
	v_or_b32_e32 v9, 8, v14
	s_mov_b32 s3, 0
	s_delay_alu instid0(VALU_DEP_2)
	v_dual_mov_b32 v4, v2 :: v_dual_mov_b32 v3, v1
	.p2align	6
.LBB42_89:                              ; =>This Inner Loop Header: Depth=1
	scratch_load_b128 v[15:18], v9, off offset:-8
	ds_load_b128 v[19:22], v8
	v_add_nc_u32_e32 v7, 1, v7
	v_add_nc_u32_e32 v8, 16, v8
	;; [unrolled: 1-line block ×3, first 2 shown]
	s_delay_alu instid0(VALU_DEP_3) | instskip(SKIP_4) | instid1(VALU_DEP_2)
	v_cmp_lt_u32_e32 vcc_lo, 17, v7
	s_or_b32 s3, vcc_lo, s3
	s_waitcnt vmcnt(0) lgkmcnt(0)
	v_mul_f64 v[10:11], v[21:22], v[17:18]
	v_mul_f64 v[17:18], v[19:20], v[17:18]
	v_fma_f64 v[10:11], v[19:20], v[15:16], -v[10:11]
	s_delay_alu instid0(VALU_DEP_2) | instskip(NEXT) | instid1(VALU_DEP_2)
	v_fma_f64 v[15:16], v[21:22], v[15:16], v[17:18]
	v_add_f64 v[3:4], v[3:4], v[10:11]
	s_delay_alu instid0(VALU_DEP_2)
	v_add_f64 v[1:2], v[1:2], v[15:16]
	s_and_not1_b32 exec_lo, exec_lo, s3
	s_cbranch_execnz .LBB42_89
; %bb.90:
	s_or_b32 exec_lo, exec_lo, s3
	v_mov_b32_e32 v7, 0
	ds_load_b128 v[7:10], v7 offset:304
	s_waitcnt lgkmcnt(0)
	v_mul_f64 v[11:12], v[1:2], v[9:10]
	v_mul_f64 v[15:16], v[3:4], v[9:10]
	s_delay_alu instid0(VALU_DEP_2) | instskip(NEXT) | instid1(VALU_DEP_2)
	v_fma_f64 v[9:10], v[3:4], v[7:8], -v[11:12]
	v_fma_f64 v[11:12], v[1:2], v[7:8], v[15:16]
	scratch_store_b128 off, v[9:12], off offset:304
.LBB42_91:
	s_or_b32 exec_lo, exec_lo, s2
	s_waitcnt_vscnt null, 0x0
	s_barrier
	buffer_gl0_inv
	scratch_load_b128 v[1:4], v154, off
	s_mov_b32 s2, exec_lo
	s_waitcnt vmcnt(0)
	ds_store_b128 v5, v[1:4]
	s_waitcnt lgkmcnt(0)
	s_barrier
	buffer_gl0_inv
	v_cmpx_gt_u32_e32 20, v132
	s_cbranch_execz .LBB42_95
; %bb.92:
	v_dual_mov_b32 v1, 0 :: v_dual_add_nc_u32 v8, 0x2b0, v13
	v_dual_mov_b32 v2, 0 :: v_dual_add_nc_u32 v7, -1, v132
	v_or_b32_e32 v9, 8, v14
	s_mov_b32 s3, 0
	s_delay_alu instid0(VALU_DEP_2)
	v_dual_mov_b32 v4, v2 :: v_dual_mov_b32 v3, v1
	.p2align	6
.LBB42_93:                              ; =>This Inner Loop Header: Depth=1
	scratch_load_b128 v[15:18], v9, off offset:-8
	ds_load_b128 v[19:22], v8
	v_add_nc_u32_e32 v7, 1, v7
	v_add_nc_u32_e32 v8, 16, v8
	;; [unrolled: 1-line block ×3, first 2 shown]
	s_delay_alu instid0(VALU_DEP_3) | instskip(SKIP_4) | instid1(VALU_DEP_2)
	v_cmp_lt_u32_e32 vcc_lo, 18, v7
	s_or_b32 s3, vcc_lo, s3
	s_waitcnt vmcnt(0) lgkmcnt(0)
	v_mul_f64 v[10:11], v[21:22], v[17:18]
	v_mul_f64 v[17:18], v[19:20], v[17:18]
	v_fma_f64 v[10:11], v[19:20], v[15:16], -v[10:11]
	s_delay_alu instid0(VALU_DEP_2) | instskip(NEXT) | instid1(VALU_DEP_2)
	v_fma_f64 v[15:16], v[21:22], v[15:16], v[17:18]
	v_add_f64 v[3:4], v[3:4], v[10:11]
	s_delay_alu instid0(VALU_DEP_2)
	v_add_f64 v[1:2], v[1:2], v[15:16]
	s_and_not1_b32 exec_lo, exec_lo, s3
	s_cbranch_execnz .LBB42_93
; %bb.94:
	s_or_b32 exec_lo, exec_lo, s3
	v_mov_b32_e32 v7, 0
	ds_load_b128 v[7:10], v7 offset:320
	s_waitcnt lgkmcnt(0)
	v_mul_f64 v[11:12], v[1:2], v[9:10]
	v_mul_f64 v[15:16], v[3:4], v[9:10]
	s_delay_alu instid0(VALU_DEP_2) | instskip(NEXT) | instid1(VALU_DEP_2)
	v_fma_f64 v[9:10], v[3:4], v[7:8], -v[11:12]
	v_fma_f64 v[11:12], v[1:2], v[7:8], v[15:16]
	scratch_store_b128 off, v[9:12], off offset:320
.LBB42_95:
	s_or_b32 exec_lo, exec_lo, s2
	s_waitcnt_vscnt null, 0x0
	s_barrier
	buffer_gl0_inv
	scratch_load_b128 v[1:4], v153, off
	s_mov_b32 s2, exec_lo
	s_waitcnt vmcnt(0)
	ds_store_b128 v5, v[1:4]
	s_waitcnt lgkmcnt(0)
	s_barrier
	buffer_gl0_inv
	v_cmpx_gt_u32_e32 21, v132
	s_cbranch_execz .LBB42_99
; %bb.96:
	v_dual_mov_b32 v1, 0 :: v_dual_add_nc_u32 v8, 0x2b0, v13
	v_dual_mov_b32 v2, 0 :: v_dual_add_nc_u32 v7, -1, v132
	v_or_b32_e32 v9, 8, v14
	s_mov_b32 s3, 0
	s_delay_alu instid0(VALU_DEP_2)
	v_dual_mov_b32 v4, v2 :: v_dual_mov_b32 v3, v1
	.p2align	6
.LBB42_97:                              ; =>This Inner Loop Header: Depth=1
	scratch_load_b128 v[15:18], v9, off offset:-8
	ds_load_b128 v[19:22], v8
	v_add_nc_u32_e32 v7, 1, v7
	v_add_nc_u32_e32 v8, 16, v8
	;; [unrolled: 1-line block ×3, first 2 shown]
	s_delay_alu instid0(VALU_DEP_3) | instskip(SKIP_4) | instid1(VALU_DEP_2)
	v_cmp_lt_u32_e32 vcc_lo, 19, v7
	s_or_b32 s3, vcc_lo, s3
	s_waitcnt vmcnt(0) lgkmcnt(0)
	v_mul_f64 v[10:11], v[21:22], v[17:18]
	v_mul_f64 v[17:18], v[19:20], v[17:18]
	v_fma_f64 v[10:11], v[19:20], v[15:16], -v[10:11]
	s_delay_alu instid0(VALU_DEP_2) | instskip(NEXT) | instid1(VALU_DEP_2)
	v_fma_f64 v[15:16], v[21:22], v[15:16], v[17:18]
	v_add_f64 v[3:4], v[3:4], v[10:11]
	s_delay_alu instid0(VALU_DEP_2)
	v_add_f64 v[1:2], v[1:2], v[15:16]
	s_and_not1_b32 exec_lo, exec_lo, s3
	s_cbranch_execnz .LBB42_97
; %bb.98:
	s_or_b32 exec_lo, exec_lo, s3
	v_mov_b32_e32 v7, 0
	ds_load_b128 v[7:10], v7 offset:336
	s_waitcnt lgkmcnt(0)
	v_mul_f64 v[11:12], v[1:2], v[9:10]
	v_mul_f64 v[15:16], v[3:4], v[9:10]
	s_delay_alu instid0(VALU_DEP_2) | instskip(NEXT) | instid1(VALU_DEP_2)
	v_fma_f64 v[9:10], v[3:4], v[7:8], -v[11:12]
	v_fma_f64 v[11:12], v[1:2], v[7:8], v[15:16]
	scratch_store_b128 off, v[9:12], off offset:336
.LBB42_99:
	s_or_b32 exec_lo, exec_lo, s2
	s_waitcnt_vscnt null, 0x0
	s_barrier
	buffer_gl0_inv
	scratch_load_b128 v[1:4], v151, off
	s_mov_b32 s2, exec_lo
	s_waitcnt vmcnt(0)
	ds_store_b128 v5, v[1:4]
	s_waitcnt lgkmcnt(0)
	s_barrier
	buffer_gl0_inv
	v_cmpx_gt_u32_e32 22, v132
	s_cbranch_execz .LBB42_103
; %bb.100:
	v_dual_mov_b32 v1, 0 :: v_dual_add_nc_u32 v8, 0x2b0, v13
	v_dual_mov_b32 v2, 0 :: v_dual_add_nc_u32 v7, -1, v132
	v_or_b32_e32 v9, 8, v14
	s_mov_b32 s3, 0
	s_delay_alu instid0(VALU_DEP_2)
	v_dual_mov_b32 v4, v2 :: v_dual_mov_b32 v3, v1
	.p2align	6
.LBB42_101:                             ; =>This Inner Loop Header: Depth=1
	scratch_load_b128 v[15:18], v9, off offset:-8
	ds_load_b128 v[19:22], v8
	v_add_nc_u32_e32 v7, 1, v7
	v_add_nc_u32_e32 v8, 16, v8
	;; [unrolled: 1-line block ×3, first 2 shown]
	s_delay_alu instid0(VALU_DEP_3) | instskip(SKIP_4) | instid1(VALU_DEP_2)
	v_cmp_lt_u32_e32 vcc_lo, 20, v7
	s_or_b32 s3, vcc_lo, s3
	s_waitcnt vmcnt(0) lgkmcnt(0)
	v_mul_f64 v[10:11], v[21:22], v[17:18]
	v_mul_f64 v[17:18], v[19:20], v[17:18]
	v_fma_f64 v[10:11], v[19:20], v[15:16], -v[10:11]
	s_delay_alu instid0(VALU_DEP_2) | instskip(NEXT) | instid1(VALU_DEP_2)
	v_fma_f64 v[15:16], v[21:22], v[15:16], v[17:18]
	v_add_f64 v[3:4], v[3:4], v[10:11]
	s_delay_alu instid0(VALU_DEP_2)
	v_add_f64 v[1:2], v[1:2], v[15:16]
	s_and_not1_b32 exec_lo, exec_lo, s3
	s_cbranch_execnz .LBB42_101
; %bb.102:
	s_or_b32 exec_lo, exec_lo, s3
	v_mov_b32_e32 v7, 0
	ds_load_b128 v[7:10], v7 offset:352
	s_waitcnt lgkmcnt(0)
	v_mul_f64 v[11:12], v[1:2], v[9:10]
	v_mul_f64 v[15:16], v[3:4], v[9:10]
	s_delay_alu instid0(VALU_DEP_2) | instskip(NEXT) | instid1(VALU_DEP_2)
	v_fma_f64 v[9:10], v[3:4], v[7:8], -v[11:12]
	v_fma_f64 v[11:12], v[1:2], v[7:8], v[15:16]
	scratch_store_b128 off, v[9:12], off offset:352
.LBB42_103:
	s_or_b32 exec_lo, exec_lo, s2
	s_waitcnt_vscnt null, 0x0
	s_barrier
	buffer_gl0_inv
	scratch_load_b128 v[1:4], v149, off
	s_mov_b32 s2, exec_lo
	s_waitcnt vmcnt(0)
	ds_store_b128 v5, v[1:4]
	s_waitcnt lgkmcnt(0)
	s_barrier
	buffer_gl0_inv
	v_cmpx_gt_u32_e32 23, v132
	s_cbranch_execz .LBB42_107
; %bb.104:
	v_dual_mov_b32 v1, 0 :: v_dual_add_nc_u32 v8, 0x2b0, v13
	v_dual_mov_b32 v2, 0 :: v_dual_add_nc_u32 v7, -1, v132
	v_or_b32_e32 v9, 8, v14
	s_mov_b32 s3, 0
	s_delay_alu instid0(VALU_DEP_2)
	v_dual_mov_b32 v4, v2 :: v_dual_mov_b32 v3, v1
	.p2align	6
.LBB42_105:                             ; =>This Inner Loop Header: Depth=1
	scratch_load_b128 v[15:18], v9, off offset:-8
	ds_load_b128 v[19:22], v8
	v_add_nc_u32_e32 v7, 1, v7
	v_add_nc_u32_e32 v8, 16, v8
	;; [unrolled: 1-line block ×3, first 2 shown]
	s_delay_alu instid0(VALU_DEP_3) | instskip(SKIP_4) | instid1(VALU_DEP_2)
	v_cmp_lt_u32_e32 vcc_lo, 21, v7
	s_or_b32 s3, vcc_lo, s3
	s_waitcnt vmcnt(0) lgkmcnt(0)
	v_mul_f64 v[10:11], v[21:22], v[17:18]
	v_mul_f64 v[17:18], v[19:20], v[17:18]
	v_fma_f64 v[10:11], v[19:20], v[15:16], -v[10:11]
	s_delay_alu instid0(VALU_DEP_2) | instskip(NEXT) | instid1(VALU_DEP_2)
	v_fma_f64 v[15:16], v[21:22], v[15:16], v[17:18]
	v_add_f64 v[3:4], v[3:4], v[10:11]
	s_delay_alu instid0(VALU_DEP_2)
	v_add_f64 v[1:2], v[1:2], v[15:16]
	s_and_not1_b32 exec_lo, exec_lo, s3
	s_cbranch_execnz .LBB42_105
; %bb.106:
	s_or_b32 exec_lo, exec_lo, s3
	v_mov_b32_e32 v7, 0
	ds_load_b128 v[7:10], v7 offset:368
	s_waitcnt lgkmcnt(0)
	v_mul_f64 v[11:12], v[1:2], v[9:10]
	v_mul_f64 v[15:16], v[3:4], v[9:10]
	s_delay_alu instid0(VALU_DEP_2) | instskip(NEXT) | instid1(VALU_DEP_2)
	v_fma_f64 v[9:10], v[3:4], v[7:8], -v[11:12]
	v_fma_f64 v[11:12], v[1:2], v[7:8], v[15:16]
	scratch_store_b128 off, v[9:12], off offset:368
.LBB42_107:
	s_or_b32 exec_lo, exec_lo, s2
	s_waitcnt_vscnt null, 0x0
	s_barrier
	buffer_gl0_inv
	scratch_load_b128 v[1:4], v148, off
	s_mov_b32 s2, exec_lo
	s_waitcnt vmcnt(0)
	ds_store_b128 v5, v[1:4]
	s_waitcnt lgkmcnt(0)
	s_barrier
	buffer_gl0_inv
	v_cmpx_gt_u32_e32 24, v132
	s_cbranch_execz .LBB42_111
; %bb.108:
	v_dual_mov_b32 v1, 0 :: v_dual_add_nc_u32 v8, 0x2b0, v13
	v_dual_mov_b32 v2, 0 :: v_dual_add_nc_u32 v7, -1, v132
	v_or_b32_e32 v9, 8, v14
	s_mov_b32 s3, 0
	s_delay_alu instid0(VALU_DEP_2)
	v_dual_mov_b32 v4, v2 :: v_dual_mov_b32 v3, v1
	.p2align	6
.LBB42_109:                             ; =>This Inner Loop Header: Depth=1
	scratch_load_b128 v[15:18], v9, off offset:-8
	ds_load_b128 v[19:22], v8
	v_add_nc_u32_e32 v7, 1, v7
	v_add_nc_u32_e32 v8, 16, v8
	;; [unrolled: 1-line block ×3, first 2 shown]
	s_delay_alu instid0(VALU_DEP_3) | instskip(SKIP_4) | instid1(VALU_DEP_2)
	v_cmp_lt_u32_e32 vcc_lo, 22, v7
	s_or_b32 s3, vcc_lo, s3
	s_waitcnt vmcnt(0) lgkmcnt(0)
	v_mul_f64 v[10:11], v[21:22], v[17:18]
	v_mul_f64 v[17:18], v[19:20], v[17:18]
	v_fma_f64 v[10:11], v[19:20], v[15:16], -v[10:11]
	s_delay_alu instid0(VALU_DEP_2) | instskip(NEXT) | instid1(VALU_DEP_2)
	v_fma_f64 v[15:16], v[21:22], v[15:16], v[17:18]
	v_add_f64 v[3:4], v[3:4], v[10:11]
	s_delay_alu instid0(VALU_DEP_2)
	v_add_f64 v[1:2], v[1:2], v[15:16]
	s_and_not1_b32 exec_lo, exec_lo, s3
	s_cbranch_execnz .LBB42_109
; %bb.110:
	s_or_b32 exec_lo, exec_lo, s3
	v_mov_b32_e32 v7, 0
	ds_load_b128 v[7:10], v7 offset:384
	s_waitcnt lgkmcnt(0)
	v_mul_f64 v[11:12], v[1:2], v[9:10]
	v_mul_f64 v[15:16], v[3:4], v[9:10]
	s_delay_alu instid0(VALU_DEP_2) | instskip(NEXT) | instid1(VALU_DEP_2)
	v_fma_f64 v[9:10], v[3:4], v[7:8], -v[11:12]
	v_fma_f64 v[11:12], v[1:2], v[7:8], v[15:16]
	scratch_store_b128 off, v[9:12], off offset:384
.LBB42_111:
	s_or_b32 exec_lo, exec_lo, s2
	s_waitcnt_vscnt null, 0x0
	s_barrier
	buffer_gl0_inv
	scratch_load_b128 v[1:4], v147, off
	s_mov_b32 s2, exec_lo
	s_waitcnt vmcnt(0)
	ds_store_b128 v5, v[1:4]
	s_waitcnt lgkmcnt(0)
	s_barrier
	buffer_gl0_inv
	v_cmpx_gt_u32_e32 25, v132
	s_cbranch_execz .LBB42_115
; %bb.112:
	v_dual_mov_b32 v1, 0 :: v_dual_add_nc_u32 v8, 0x2b0, v13
	v_dual_mov_b32 v2, 0 :: v_dual_add_nc_u32 v7, -1, v132
	v_or_b32_e32 v9, 8, v14
	s_mov_b32 s3, 0
	s_delay_alu instid0(VALU_DEP_2)
	v_dual_mov_b32 v4, v2 :: v_dual_mov_b32 v3, v1
	.p2align	6
.LBB42_113:                             ; =>This Inner Loop Header: Depth=1
	scratch_load_b128 v[15:18], v9, off offset:-8
	ds_load_b128 v[19:22], v8
	v_add_nc_u32_e32 v7, 1, v7
	v_add_nc_u32_e32 v8, 16, v8
	;; [unrolled: 1-line block ×3, first 2 shown]
	s_delay_alu instid0(VALU_DEP_3) | instskip(SKIP_4) | instid1(VALU_DEP_2)
	v_cmp_lt_u32_e32 vcc_lo, 23, v7
	s_or_b32 s3, vcc_lo, s3
	s_waitcnt vmcnt(0) lgkmcnt(0)
	v_mul_f64 v[10:11], v[21:22], v[17:18]
	v_mul_f64 v[17:18], v[19:20], v[17:18]
	v_fma_f64 v[10:11], v[19:20], v[15:16], -v[10:11]
	s_delay_alu instid0(VALU_DEP_2) | instskip(NEXT) | instid1(VALU_DEP_2)
	v_fma_f64 v[15:16], v[21:22], v[15:16], v[17:18]
	v_add_f64 v[3:4], v[3:4], v[10:11]
	s_delay_alu instid0(VALU_DEP_2)
	v_add_f64 v[1:2], v[1:2], v[15:16]
	s_and_not1_b32 exec_lo, exec_lo, s3
	s_cbranch_execnz .LBB42_113
; %bb.114:
	s_or_b32 exec_lo, exec_lo, s3
	v_mov_b32_e32 v7, 0
	ds_load_b128 v[7:10], v7 offset:400
	s_waitcnt lgkmcnt(0)
	v_mul_f64 v[11:12], v[1:2], v[9:10]
	v_mul_f64 v[15:16], v[3:4], v[9:10]
	s_delay_alu instid0(VALU_DEP_2) | instskip(NEXT) | instid1(VALU_DEP_2)
	v_fma_f64 v[9:10], v[3:4], v[7:8], -v[11:12]
	v_fma_f64 v[11:12], v[1:2], v[7:8], v[15:16]
	scratch_store_b128 off, v[9:12], off offset:400
.LBB42_115:
	s_or_b32 exec_lo, exec_lo, s2
	s_waitcnt_vscnt null, 0x0
	s_barrier
	buffer_gl0_inv
	scratch_load_b128 v[1:4], v145, off
	s_mov_b32 s2, exec_lo
	s_waitcnt vmcnt(0)
	ds_store_b128 v5, v[1:4]
	s_waitcnt lgkmcnt(0)
	s_barrier
	buffer_gl0_inv
	v_cmpx_gt_u32_e32 26, v132
	s_cbranch_execz .LBB42_119
; %bb.116:
	v_dual_mov_b32 v1, 0 :: v_dual_add_nc_u32 v8, 0x2b0, v13
	v_dual_mov_b32 v2, 0 :: v_dual_add_nc_u32 v7, -1, v132
	v_or_b32_e32 v9, 8, v14
	s_mov_b32 s3, 0
	s_delay_alu instid0(VALU_DEP_2)
	v_dual_mov_b32 v4, v2 :: v_dual_mov_b32 v3, v1
	.p2align	6
.LBB42_117:                             ; =>This Inner Loop Header: Depth=1
	scratch_load_b128 v[15:18], v9, off offset:-8
	ds_load_b128 v[19:22], v8
	v_add_nc_u32_e32 v7, 1, v7
	v_add_nc_u32_e32 v8, 16, v8
	;; [unrolled: 1-line block ×3, first 2 shown]
	s_delay_alu instid0(VALU_DEP_3) | instskip(SKIP_4) | instid1(VALU_DEP_2)
	v_cmp_lt_u32_e32 vcc_lo, 24, v7
	s_or_b32 s3, vcc_lo, s3
	s_waitcnt vmcnt(0) lgkmcnt(0)
	v_mul_f64 v[10:11], v[21:22], v[17:18]
	v_mul_f64 v[17:18], v[19:20], v[17:18]
	v_fma_f64 v[10:11], v[19:20], v[15:16], -v[10:11]
	s_delay_alu instid0(VALU_DEP_2) | instskip(NEXT) | instid1(VALU_DEP_2)
	v_fma_f64 v[15:16], v[21:22], v[15:16], v[17:18]
	v_add_f64 v[3:4], v[3:4], v[10:11]
	s_delay_alu instid0(VALU_DEP_2)
	v_add_f64 v[1:2], v[1:2], v[15:16]
	s_and_not1_b32 exec_lo, exec_lo, s3
	s_cbranch_execnz .LBB42_117
; %bb.118:
	s_or_b32 exec_lo, exec_lo, s3
	v_mov_b32_e32 v7, 0
	ds_load_b128 v[7:10], v7 offset:416
	s_waitcnt lgkmcnt(0)
	v_mul_f64 v[11:12], v[1:2], v[9:10]
	v_mul_f64 v[15:16], v[3:4], v[9:10]
	s_delay_alu instid0(VALU_DEP_2) | instskip(NEXT) | instid1(VALU_DEP_2)
	v_fma_f64 v[9:10], v[3:4], v[7:8], -v[11:12]
	v_fma_f64 v[11:12], v[1:2], v[7:8], v[15:16]
	scratch_store_b128 off, v[9:12], off offset:416
.LBB42_119:
	s_or_b32 exec_lo, exec_lo, s2
	s_waitcnt_vscnt null, 0x0
	s_barrier
	buffer_gl0_inv
	scratch_load_b128 v[1:4], v143, off
	s_mov_b32 s2, exec_lo
	s_waitcnt vmcnt(0)
	ds_store_b128 v5, v[1:4]
	s_waitcnt lgkmcnt(0)
	s_barrier
	buffer_gl0_inv
	v_cmpx_gt_u32_e32 27, v132
	s_cbranch_execz .LBB42_123
; %bb.120:
	v_dual_mov_b32 v1, 0 :: v_dual_add_nc_u32 v8, 0x2b0, v13
	v_dual_mov_b32 v2, 0 :: v_dual_add_nc_u32 v7, -1, v132
	v_or_b32_e32 v9, 8, v14
	s_mov_b32 s3, 0
	s_delay_alu instid0(VALU_DEP_2)
	v_dual_mov_b32 v4, v2 :: v_dual_mov_b32 v3, v1
	.p2align	6
.LBB42_121:                             ; =>This Inner Loop Header: Depth=1
	scratch_load_b128 v[15:18], v9, off offset:-8
	ds_load_b128 v[19:22], v8
	v_add_nc_u32_e32 v7, 1, v7
	v_add_nc_u32_e32 v8, 16, v8
	;; [unrolled: 1-line block ×3, first 2 shown]
	s_delay_alu instid0(VALU_DEP_3) | instskip(SKIP_4) | instid1(VALU_DEP_2)
	v_cmp_lt_u32_e32 vcc_lo, 25, v7
	s_or_b32 s3, vcc_lo, s3
	s_waitcnt vmcnt(0) lgkmcnt(0)
	v_mul_f64 v[10:11], v[21:22], v[17:18]
	v_mul_f64 v[17:18], v[19:20], v[17:18]
	v_fma_f64 v[10:11], v[19:20], v[15:16], -v[10:11]
	s_delay_alu instid0(VALU_DEP_2) | instskip(NEXT) | instid1(VALU_DEP_2)
	v_fma_f64 v[15:16], v[21:22], v[15:16], v[17:18]
	v_add_f64 v[3:4], v[3:4], v[10:11]
	s_delay_alu instid0(VALU_DEP_2)
	v_add_f64 v[1:2], v[1:2], v[15:16]
	s_and_not1_b32 exec_lo, exec_lo, s3
	s_cbranch_execnz .LBB42_121
; %bb.122:
	s_or_b32 exec_lo, exec_lo, s3
	v_mov_b32_e32 v7, 0
	ds_load_b128 v[7:10], v7 offset:432
	s_waitcnt lgkmcnt(0)
	v_mul_f64 v[11:12], v[1:2], v[9:10]
	v_mul_f64 v[15:16], v[3:4], v[9:10]
	s_delay_alu instid0(VALU_DEP_2) | instskip(NEXT) | instid1(VALU_DEP_2)
	v_fma_f64 v[9:10], v[3:4], v[7:8], -v[11:12]
	v_fma_f64 v[11:12], v[1:2], v[7:8], v[15:16]
	scratch_store_b128 off, v[9:12], off offset:432
.LBB42_123:
	s_or_b32 exec_lo, exec_lo, s2
	s_waitcnt_vscnt null, 0x0
	s_barrier
	buffer_gl0_inv
	scratch_load_b128 v[1:4], v141, off
	s_mov_b32 s2, exec_lo
	s_waitcnt vmcnt(0)
	ds_store_b128 v5, v[1:4]
	s_waitcnt lgkmcnt(0)
	s_barrier
	buffer_gl0_inv
	v_cmpx_gt_u32_e32 28, v132
	s_cbranch_execz .LBB42_127
; %bb.124:
	v_dual_mov_b32 v1, 0 :: v_dual_add_nc_u32 v8, 0x2b0, v13
	v_dual_mov_b32 v2, 0 :: v_dual_add_nc_u32 v7, -1, v132
	v_or_b32_e32 v9, 8, v14
	s_mov_b32 s3, 0
	s_delay_alu instid0(VALU_DEP_2)
	v_dual_mov_b32 v4, v2 :: v_dual_mov_b32 v3, v1
	.p2align	6
.LBB42_125:                             ; =>This Inner Loop Header: Depth=1
	scratch_load_b128 v[15:18], v9, off offset:-8
	ds_load_b128 v[19:22], v8
	v_add_nc_u32_e32 v7, 1, v7
	v_add_nc_u32_e32 v8, 16, v8
	;; [unrolled: 1-line block ×3, first 2 shown]
	s_delay_alu instid0(VALU_DEP_3) | instskip(SKIP_4) | instid1(VALU_DEP_2)
	v_cmp_lt_u32_e32 vcc_lo, 26, v7
	s_or_b32 s3, vcc_lo, s3
	s_waitcnt vmcnt(0) lgkmcnt(0)
	v_mul_f64 v[10:11], v[21:22], v[17:18]
	v_mul_f64 v[17:18], v[19:20], v[17:18]
	v_fma_f64 v[10:11], v[19:20], v[15:16], -v[10:11]
	s_delay_alu instid0(VALU_DEP_2) | instskip(NEXT) | instid1(VALU_DEP_2)
	v_fma_f64 v[15:16], v[21:22], v[15:16], v[17:18]
	v_add_f64 v[3:4], v[3:4], v[10:11]
	s_delay_alu instid0(VALU_DEP_2)
	v_add_f64 v[1:2], v[1:2], v[15:16]
	s_and_not1_b32 exec_lo, exec_lo, s3
	s_cbranch_execnz .LBB42_125
; %bb.126:
	s_or_b32 exec_lo, exec_lo, s3
	v_mov_b32_e32 v7, 0
	ds_load_b128 v[7:10], v7 offset:448
	s_waitcnt lgkmcnt(0)
	v_mul_f64 v[11:12], v[1:2], v[9:10]
	v_mul_f64 v[15:16], v[3:4], v[9:10]
	s_delay_alu instid0(VALU_DEP_2) | instskip(NEXT) | instid1(VALU_DEP_2)
	v_fma_f64 v[9:10], v[3:4], v[7:8], -v[11:12]
	v_fma_f64 v[11:12], v[1:2], v[7:8], v[15:16]
	scratch_store_b128 off, v[9:12], off offset:448
.LBB42_127:
	s_or_b32 exec_lo, exec_lo, s2
	s_waitcnt_vscnt null, 0x0
	s_barrier
	buffer_gl0_inv
	scratch_load_b128 v[1:4], v139, off
	s_mov_b32 s2, exec_lo
	s_waitcnt vmcnt(0)
	ds_store_b128 v5, v[1:4]
	s_waitcnt lgkmcnt(0)
	s_barrier
	buffer_gl0_inv
	v_cmpx_gt_u32_e32 29, v132
	s_cbranch_execz .LBB42_131
; %bb.128:
	v_dual_mov_b32 v1, 0 :: v_dual_add_nc_u32 v8, 0x2b0, v13
	v_dual_mov_b32 v2, 0 :: v_dual_add_nc_u32 v7, -1, v132
	v_or_b32_e32 v9, 8, v14
	s_mov_b32 s3, 0
	s_delay_alu instid0(VALU_DEP_2)
	v_dual_mov_b32 v4, v2 :: v_dual_mov_b32 v3, v1
	.p2align	6
.LBB42_129:                             ; =>This Inner Loop Header: Depth=1
	scratch_load_b128 v[15:18], v9, off offset:-8
	ds_load_b128 v[19:22], v8
	v_add_nc_u32_e32 v7, 1, v7
	v_add_nc_u32_e32 v8, 16, v8
	;; [unrolled: 1-line block ×3, first 2 shown]
	s_delay_alu instid0(VALU_DEP_3) | instskip(SKIP_4) | instid1(VALU_DEP_2)
	v_cmp_lt_u32_e32 vcc_lo, 27, v7
	s_or_b32 s3, vcc_lo, s3
	s_waitcnt vmcnt(0) lgkmcnt(0)
	v_mul_f64 v[10:11], v[21:22], v[17:18]
	v_mul_f64 v[17:18], v[19:20], v[17:18]
	v_fma_f64 v[10:11], v[19:20], v[15:16], -v[10:11]
	s_delay_alu instid0(VALU_DEP_2) | instskip(NEXT) | instid1(VALU_DEP_2)
	v_fma_f64 v[15:16], v[21:22], v[15:16], v[17:18]
	v_add_f64 v[3:4], v[3:4], v[10:11]
	s_delay_alu instid0(VALU_DEP_2)
	v_add_f64 v[1:2], v[1:2], v[15:16]
	s_and_not1_b32 exec_lo, exec_lo, s3
	s_cbranch_execnz .LBB42_129
; %bb.130:
	s_or_b32 exec_lo, exec_lo, s3
	v_mov_b32_e32 v7, 0
	ds_load_b128 v[7:10], v7 offset:464
	s_waitcnt lgkmcnt(0)
	v_mul_f64 v[11:12], v[1:2], v[9:10]
	v_mul_f64 v[15:16], v[3:4], v[9:10]
	s_delay_alu instid0(VALU_DEP_2) | instskip(NEXT) | instid1(VALU_DEP_2)
	v_fma_f64 v[9:10], v[3:4], v[7:8], -v[11:12]
	v_fma_f64 v[11:12], v[1:2], v[7:8], v[15:16]
	scratch_store_b128 off, v[9:12], off offset:464
.LBB42_131:
	s_or_b32 exec_lo, exec_lo, s2
	s_waitcnt_vscnt null, 0x0
	s_barrier
	buffer_gl0_inv
	scratch_load_b128 v[1:4], v138, off
	s_mov_b32 s2, exec_lo
	s_waitcnt vmcnt(0)
	ds_store_b128 v5, v[1:4]
	s_waitcnt lgkmcnt(0)
	s_barrier
	buffer_gl0_inv
	v_cmpx_gt_u32_e32 30, v132
	s_cbranch_execz .LBB42_135
; %bb.132:
	v_dual_mov_b32 v1, 0 :: v_dual_add_nc_u32 v8, 0x2b0, v13
	v_dual_mov_b32 v2, 0 :: v_dual_add_nc_u32 v7, -1, v132
	v_or_b32_e32 v9, 8, v14
	s_mov_b32 s3, 0
	s_delay_alu instid0(VALU_DEP_2)
	v_dual_mov_b32 v4, v2 :: v_dual_mov_b32 v3, v1
	.p2align	6
.LBB42_133:                             ; =>This Inner Loop Header: Depth=1
	scratch_load_b128 v[15:18], v9, off offset:-8
	ds_load_b128 v[19:22], v8
	v_add_nc_u32_e32 v7, 1, v7
	v_add_nc_u32_e32 v8, 16, v8
	;; [unrolled: 1-line block ×3, first 2 shown]
	s_delay_alu instid0(VALU_DEP_3) | instskip(SKIP_4) | instid1(VALU_DEP_2)
	v_cmp_lt_u32_e32 vcc_lo, 28, v7
	s_or_b32 s3, vcc_lo, s3
	s_waitcnt vmcnt(0) lgkmcnt(0)
	v_mul_f64 v[10:11], v[21:22], v[17:18]
	v_mul_f64 v[17:18], v[19:20], v[17:18]
	v_fma_f64 v[10:11], v[19:20], v[15:16], -v[10:11]
	s_delay_alu instid0(VALU_DEP_2) | instskip(NEXT) | instid1(VALU_DEP_2)
	v_fma_f64 v[15:16], v[21:22], v[15:16], v[17:18]
	v_add_f64 v[3:4], v[3:4], v[10:11]
	s_delay_alu instid0(VALU_DEP_2)
	v_add_f64 v[1:2], v[1:2], v[15:16]
	s_and_not1_b32 exec_lo, exec_lo, s3
	s_cbranch_execnz .LBB42_133
; %bb.134:
	s_or_b32 exec_lo, exec_lo, s3
	v_mov_b32_e32 v7, 0
	ds_load_b128 v[7:10], v7 offset:480
	s_waitcnt lgkmcnt(0)
	v_mul_f64 v[11:12], v[1:2], v[9:10]
	v_mul_f64 v[15:16], v[3:4], v[9:10]
	s_delay_alu instid0(VALU_DEP_2) | instskip(NEXT) | instid1(VALU_DEP_2)
	v_fma_f64 v[9:10], v[3:4], v[7:8], -v[11:12]
	v_fma_f64 v[11:12], v[1:2], v[7:8], v[15:16]
	scratch_store_b128 off, v[9:12], off offset:480
.LBB42_135:
	s_or_b32 exec_lo, exec_lo, s2
	s_waitcnt_vscnt null, 0x0
	s_barrier
	buffer_gl0_inv
	scratch_load_b128 v[1:4], v137, off
	s_mov_b32 s2, exec_lo
	s_waitcnt vmcnt(0)
	ds_store_b128 v5, v[1:4]
	s_waitcnt lgkmcnt(0)
	s_barrier
	buffer_gl0_inv
	v_cmpx_gt_u32_e32 31, v132
	s_cbranch_execz .LBB42_139
; %bb.136:
	v_dual_mov_b32 v1, 0 :: v_dual_add_nc_u32 v8, 0x2b0, v13
	v_dual_mov_b32 v2, 0 :: v_dual_add_nc_u32 v7, -1, v132
	v_or_b32_e32 v9, 8, v14
	s_mov_b32 s3, 0
	s_delay_alu instid0(VALU_DEP_2)
	v_dual_mov_b32 v4, v2 :: v_dual_mov_b32 v3, v1
	.p2align	6
.LBB42_137:                             ; =>This Inner Loop Header: Depth=1
	scratch_load_b128 v[15:18], v9, off offset:-8
	ds_load_b128 v[19:22], v8
	v_add_nc_u32_e32 v7, 1, v7
	v_add_nc_u32_e32 v8, 16, v8
	v_add_nc_u32_e32 v9, 16, v9
	s_delay_alu instid0(VALU_DEP_3) | instskip(SKIP_4) | instid1(VALU_DEP_2)
	v_cmp_lt_u32_e32 vcc_lo, 29, v7
	s_or_b32 s3, vcc_lo, s3
	s_waitcnt vmcnt(0) lgkmcnt(0)
	v_mul_f64 v[10:11], v[21:22], v[17:18]
	v_mul_f64 v[17:18], v[19:20], v[17:18]
	v_fma_f64 v[10:11], v[19:20], v[15:16], -v[10:11]
	s_delay_alu instid0(VALU_DEP_2) | instskip(NEXT) | instid1(VALU_DEP_2)
	v_fma_f64 v[15:16], v[21:22], v[15:16], v[17:18]
	v_add_f64 v[3:4], v[3:4], v[10:11]
	s_delay_alu instid0(VALU_DEP_2)
	v_add_f64 v[1:2], v[1:2], v[15:16]
	s_and_not1_b32 exec_lo, exec_lo, s3
	s_cbranch_execnz .LBB42_137
; %bb.138:
	s_or_b32 exec_lo, exec_lo, s3
	v_mov_b32_e32 v7, 0
	ds_load_b128 v[7:10], v7 offset:496
	s_waitcnt lgkmcnt(0)
	v_mul_f64 v[11:12], v[1:2], v[9:10]
	v_mul_f64 v[15:16], v[3:4], v[9:10]
	s_delay_alu instid0(VALU_DEP_2) | instskip(NEXT) | instid1(VALU_DEP_2)
	v_fma_f64 v[9:10], v[3:4], v[7:8], -v[11:12]
	v_fma_f64 v[11:12], v[1:2], v[7:8], v[15:16]
	scratch_store_b128 off, v[9:12], off offset:496
.LBB42_139:
	s_or_b32 exec_lo, exec_lo, s2
	s_waitcnt_vscnt null, 0x0
	s_barrier
	buffer_gl0_inv
	scratch_load_b128 v[1:4], v168, off
	s_mov_b32 s2, exec_lo
	s_waitcnt vmcnt(0)
	ds_store_b128 v5, v[1:4]
	s_waitcnt lgkmcnt(0)
	s_barrier
	buffer_gl0_inv
	v_cmpx_gt_u32_e32 32, v132
	s_cbranch_execz .LBB42_143
; %bb.140:
	v_dual_mov_b32 v1, 0 :: v_dual_add_nc_u32 v8, 0x2b0, v13
	v_dual_mov_b32 v2, 0 :: v_dual_add_nc_u32 v7, -1, v132
	v_or_b32_e32 v9, 8, v14
	s_mov_b32 s3, 0
	s_delay_alu instid0(VALU_DEP_2)
	v_dual_mov_b32 v4, v2 :: v_dual_mov_b32 v3, v1
	.p2align	6
.LBB42_141:                             ; =>This Inner Loop Header: Depth=1
	scratch_load_b128 v[15:18], v9, off offset:-8
	ds_load_b128 v[19:22], v8
	v_add_nc_u32_e32 v7, 1, v7
	v_add_nc_u32_e32 v8, 16, v8
	;; [unrolled: 1-line block ×3, first 2 shown]
	s_delay_alu instid0(VALU_DEP_3) | instskip(SKIP_4) | instid1(VALU_DEP_2)
	v_cmp_lt_u32_e32 vcc_lo, 30, v7
	s_or_b32 s3, vcc_lo, s3
	s_waitcnt vmcnt(0) lgkmcnt(0)
	v_mul_f64 v[10:11], v[21:22], v[17:18]
	v_mul_f64 v[17:18], v[19:20], v[17:18]
	v_fma_f64 v[10:11], v[19:20], v[15:16], -v[10:11]
	s_delay_alu instid0(VALU_DEP_2) | instskip(NEXT) | instid1(VALU_DEP_2)
	v_fma_f64 v[15:16], v[21:22], v[15:16], v[17:18]
	v_add_f64 v[3:4], v[3:4], v[10:11]
	s_delay_alu instid0(VALU_DEP_2)
	v_add_f64 v[1:2], v[1:2], v[15:16]
	s_and_not1_b32 exec_lo, exec_lo, s3
	s_cbranch_execnz .LBB42_141
; %bb.142:
	s_or_b32 exec_lo, exec_lo, s3
	v_mov_b32_e32 v7, 0
	ds_load_b128 v[7:10], v7 offset:512
	s_waitcnt lgkmcnt(0)
	v_mul_f64 v[11:12], v[1:2], v[9:10]
	v_mul_f64 v[15:16], v[3:4], v[9:10]
	s_delay_alu instid0(VALU_DEP_2) | instskip(NEXT) | instid1(VALU_DEP_2)
	v_fma_f64 v[9:10], v[3:4], v[7:8], -v[11:12]
	v_fma_f64 v[11:12], v[1:2], v[7:8], v[15:16]
	scratch_store_b128 off, v[9:12], off offset:512
.LBB42_143:
	s_or_b32 exec_lo, exec_lo, s2
	s_waitcnt_vscnt null, 0x0
	s_barrier
	buffer_gl0_inv
	scratch_load_b128 v[1:4], v164, off
	s_mov_b32 s2, exec_lo
	s_waitcnt vmcnt(0)
	ds_store_b128 v5, v[1:4]
	s_waitcnt lgkmcnt(0)
	s_barrier
	buffer_gl0_inv
	v_cmpx_gt_u32_e32 33, v132
	s_cbranch_execz .LBB42_147
; %bb.144:
	v_dual_mov_b32 v1, 0 :: v_dual_add_nc_u32 v8, 0x2b0, v13
	v_dual_mov_b32 v2, 0 :: v_dual_add_nc_u32 v7, -1, v132
	v_or_b32_e32 v9, 8, v14
	s_mov_b32 s3, 0
	s_delay_alu instid0(VALU_DEP_2)
	v_dual_mov_b32 v4, v2 :: v_dual_mov_b32 v3, v1
	.p2align	6
.LBB42_145:                             ; =>This Inner Loop Header: Depth=1
	scratch_load_b128 v[15:18], v9, off offset:-8
	ds_load_b128 v[19:22], v8
	v_add_nc_u32_e32 v7, 1, v7
	v_add_nc_u32_e32 v8, 16, v8
	;; [unrolled: 1-line block ×3, first 2 shown]
	s_delay_alu instid0(VALU_DEP_3) | instskip(SKIP_4) | instid1(VALU_DEP_2)
	v_cmp_lt_u32_e32 vcc_lo, 31, v7
	s_or_b32 s3, vcc_lo, s3
	s_waitcnt vmcnt(0) lgkmcnt(0)
	v_mul_f64 v[10:11], v[21:22], v[17:18]
	v_mul_f64 v[17:18], v[19:20], v[17:18]
	v_fma_f64 v[10:11], v[19:20], v[15:16], -v[10:11]
	s_delay_alu instid0(VALU_DEP_2) | instskip(NEXT) | instid1(VALU_DEP_2)
	v_fma_f64 v[15:16], v[21:22], v[15:16], v[17:18]
	v_add_f64 v[3:4], v[3:4], v[10:11]
	s_delay_alu instid0(VALU_DEP_2)
	v_add_f64 v[1:2], v[1:2], v[15:16]
	s_and_not1_b32 exec_lo, exec_lo, s3
	s_cbranch_execnz .LBB42_145
; %bb.146:
	s_or_b32 exec_lo, exec_lo, s3
	v_mov_b32_e32 v7, 0
	ds_load_b128 v[7:10], v7 offset:528
	s_waitcnt lgkmcnt(0)
	v_mul_f64 v[11:12], v[1:2], v[9:10]
	v_mul_f64 v[15:16], v[3:4], v[9:10]
	s_delay_alu instid0(VALU_DEP_2) | instskip(NEXT) | instid1(VALU_DEP_2)
	v_fma_f64 v[9:10], v[3:4], v[7:8], -v[11:12]
	v_fma_f64 v[11:12], v[1:2], v[7:8], v[15:16]
	scratch_store_b128 off, v[9:12], off offset:528
.LBB42_147:
	s_or_b32 exec_lo, exec_lo, s2
	s_waitcnt_vscnt null, 0x0
	s_barrier
	buffer_gl0_inv
	scratch_load_b128 v[1:4], v162, off
	s_mov_b32 s2, exec_lo
	s_waitcnt vmcnt(0)
	ds_store_b128 v5, v[1:4]
	s_waitcnt lgkmcnt(0)
	s_barrier
	buffer_gl0_inv
	v_cmpx_gt_u32_e32 34, v132
	s_cbranch_execz .LBB42_151
; %bb.148:
	v_dual_mov_b32 v1, 0 :: v_dual_add_nc_u32 v8, 0x2b0, v13
	v_dual_mov_b32 v2, 0 :: v_dual_add_nc_u32 v7, -1, v132
	v_or_b32_e32 v9, 8, v14
	s_mov_b32 s3, 0
	s_delay_alu instid0(VALU_DEP_2)
	v_dual_mov_b32 v4, v2 :: v_dual_mov_b32 v3, v1
	.p2align	6
.LBB42_149:                             ; =>This Inner Loop Header: Depth=1
	scratch_load_b128 v[15:18], v9, off offset:-8
	ds_load_b128 v[19:22], v8
	v_add_nc_u32_e32 v7, 1, v7
	v_add_nc_u32_e32 v8, 16, v8
	;; [unrolled: 1-line block ×3, first 2 shown]
	s_delay_alu instid0(VALU_DEP_3) | instskip(SKIP_4) | instid1(VALU_DEP_2)
	v_cmp_lt_u32_e32 vcc_lo, 32, v7
	s_or_b32 s3, vcc_lo, s3
	s_waitcnt vmcnt(0) lgkmcnt(0)
	v_mul_f64 v[10:11], v[21:22], v[17:18]
	v_mul_f64 v[17:18], v[19:20], v[17:18]
	v_fma_f64 v[10:11], v[19:20], v[15:16], -v[10:11]
	s_delay_alu instid0(VALU_DEP_2) | instskip(NEXT) | instid1(VALU_DEP_2)
	v_fma_f64 v[15:16], v[21:22], v[15:16], v[17:18]
	v_add_f64 v[3:4], v[3:4], v[10:11]
	s_delay_alu instid0(VALU_DEP_2)
	v_add_f64 v[1:2], v[1:2], v[15:16]
	s_and_not1_b32 exec_lo, exec_lo, s3
	s_cbranch_execnz .LBB42_149
; %bb.150:
	s_or_b32 exec_lo, exec_lo, s3
	v_mov_b32_e32 v7, 0
	ds_load_b128 v[7:10], v7 offset:544
	s_waitcnt lgkmcnt(0)
	v_mul_f64 v[11:12], v[1:2], v[9:10]
	v_mul_f64 v[15:16], v[3:4], v[9:10]
	s_delay_alu instid0(VALU_DEP_2) | instskip(NEXT) | instid1(VALU_DEP_2)
	v_fma_f64 v[9:10], v[3:4], v[7:8], -v[11:12]
	v_fma_f64 v[11:12], v[1:2], v[7:8], v[15:16]
	scratch_store_b128 off, v[9:12], off offset:544
.LBB42_151:
	s_or_b32 exec_lo, exec_lo, s2
	s_waitcnt_vscnt null, 0x0
	s_barrier
	buffer_gl0_inv
	scratch_load_b128 v[1:4], v158, off
	s_mov_b32 s2, exec_lo
	s_waitcnt vmcnt(0)
	ds_store_b128 v5, v[1:4]
	s_waitcnt lgkmcnt(0)
	s_barrier
	buffer_gl0_inv
	v_cmpx_gt_u32_e32 35, v132
	s_cbranch_execz .LBB42_155
; %bb.152:
	v_dual_mov_b32 v1, 0 :: v_dual_add_nc_u32 v8, 0x2b0, v13
	v_dual_mov_b32 v2, 0 :: v_dual_add_nc_u32 v7, -1, v132
	v_or_b32_e32 v9, 8, v14
	s_mov_b32 s3, 0
	s_delay_alu instid0(VALU_DEP_2)
	v_dual_mov_b32 v4, v2 :: v_dual_mov_b32 v3, v1
	.p2align	6
.LBB42_153:                             ; =>This Inner Loop Header: Depth=1
	scratch_load_b128 v[15:18], v9, off offset:-8
	ds_load_b128 v[19:22], v8
	v_add_nc_u32_e32 v7, 1, v7
	v_add_nc_u32_e32 v8, 16, v8
	;; [unrolled: 1-line block ×3, first 2 shown]
	s_delay_alu instid0(VALU_DEP_3) | instskip(SKIP_4) | instid1(VALU_DEP_2)
	v_cmp_lt_u32_e32 vcc_lo, 33, v7
	s_or_b32 s3, vcc_lo, s3
	s_waitcnt vmcnt(0) lgkmcnt(0)
	v_mul_f64 v[10:11], v[21:22], v[17:18]
	v_mul_f64 v[17:18], v[19:20], v[17:18]
	v_fma_f64 v[10:11], v[19:20], v[15:16], -v[10:11]
	s_delay_alu instid0(VALU_DEP_2) | instskip(NEXT) | instid1(VALU_DEP_2)
	v_fma_f64 v[15:16], v[21:22], v[15:16], v[17:18]
	v_add_f64 v[3:4], v[3:4], v[10:11]
	s_delay_alu instid0(VALU_DEP_2)
	v_add_f64 v[1:2], v[1:2], v[15:16]
	s_and_not1_b32 exec_lo, exec_lo, s3
	s_cbranch_execnz .LBB42_153
; %bb.154:
	s_or_b32 exec_lo, exec_lo, s3
	v_mov_b32_e32 v7, 0
	ds_load_b128 v[7:10], v7 offset:560
	s_waitcnt lgkmcnt(0)
	v_mul_f64 v[11:12], v[1:2], v[9:10]
	v_mul_f64 v[15:16], v[3:4], v[9:10]
	s_delay_alu instid0(VALU_DEP_2) | instskip(NEXT) | instid1(VALU_DEP_2)
	v_fma_f64 v[9:10], v[3:4], v[7:8], -v[11:12]
	v_fma_f64 v[11:12], v[1:2], v[7:8], v[15:16]
	scratch_store_b128 off, v[9:12], off offset:560
.LBB42_155:
	s_or_b32 exec_lo, exec_lo, s2
	s_waitcnt_vscnt null, 0x0
	s_barrier
	buffer_gl0_inv
	scratch_load_b128 v[1:4], v156, off
	s_mov_b32 s2, exec_lo
	s_waitcnt vmcnt(0)
	ds_store_b128 v5, v[1:4]
	s_waitcnt lgkmcnt(0)
	s_barrier
	buffer_gl0_inv
	v_cmpx_gt_u32_e32 36, v132
	s_cbranch_execz .LBB42_159
; %bb.156:
	v_dual_mov_b32 v1, 0 :: v_dual_add_nc_u32 v8, 0x2b0, v13
	v_dual_mov_b32 v2, 0 :: v_dual_add_nc_u32 v7, -1, v132
	v_or_b32_e32 v9, 8, v14
	s_mov_b32 s3, 0
	s_delay_alu instid0(VALU_DEP_2)
	v_dual_mov_b32 v4, v2 :: v_dual_mov_b32 v3, v1
	.p2align	6
.LBB42_157:                             ; =>This Inner Loop Header: Depth=1
	scratch_load_b128 v[15:18], v9, off offset:-8
	ds_load_b128 v[19:22], v8
	v_add_nc_u32_e32 v7, 1, v7
	v_add_nc_u32_e32 v8, 16, v8
	v_add_nc_u32_e32 v9, 16, v9
	s_delay_alu instid0(VALU_DEP_3) | instskip(SKIP_4) | instid1(VALU_DEP_2)
	v_cmp_lt_u32_e32 vcc_lo, 34, v7
	s_or_b32 s3, vcc_lo, s3
	s_waitcnt vmcnt(0) lgkmcnt(0)
	v_mul_f64 v[10:11], v[21:22], v[17:18]
	v_mul_f64 v[17:18], v[19:20], v[17:18]
	v_fma_f64 v[10:11], v[19:20], v[15:16], -v[10:11]
	s_delay_alu instid0(VALU_DEP_2) | instskip(NEXT) | instid1(VALU_DEP_2)
	v_fma_f64 v[15:16], v[21:22], v[15:16], v[17:18]
	v_add_f64 v[3:4], v[3:4], v[10:11]
	s_delay_alu instid0(VALU_DEP_2)
	v_add_f64 v[1:2], v[1:2], v[15:16]
	s_and_not1_b32 exec_lo, exec_lo, s3
	s_cbranch_execnz .LBB42_157
; %bb.158:
	s_or_b32 exec_lo, exec_lo, s3
	v_mov_b32_e32 v7, 0
	ds_load_b128 v[7:10], v7 offset:576
	s_waitcnt lgkmcnt(0)
	v_mul_f64 v[11:12], v[1:2], v[9:10]
	v_mul_f64 v[15:16], v[3:4], v[9:10]
	s_delay_alu instid0(VALU_DEP_2) | instskip(NEXT) | instid1(VALU_DEP_2)
	v_fma_f64 v[9:10], v[3:4], v[7:8], -v[11:12]
	v_fma_f64 v[11:12], v[1:2], v[7:8], v[15:16]
	scratch_store_b128 off, v[9:12], off offset:576
.LBB42_159:
	s_or_b32 exec_lo, exec_lo, s2
	s_waitcnt_vscnt null, 0x0
	s_barrier
	buffer_gl0_inv
	scratch_load_b128 v[1:4], v152, off
	s_mov_b32 s2, exec_lo
	s_waitcnt vmcnt(0)
	ds_store_b128 v5, v[1:4]
	s_waitcnt lgkmcnt(0)
	s_barrier
	buffer_gl0_inv
	v_cmpx_gt_u32_e32 37, v132
	s_cbranch_execz .LBB42_163
; %bb.160:
	v_dual_mov_b32 v1, 0 :: v_dual_add_nc_u32 v8, 0x2b0, v13
	v_dual_mov_b32 v2, 0 :: v_dual_add_nc_u32 v7, -1, v132
	v_or_b32_e32 v9, 8, v14
	s_mov_b32 s3, 0
	s_delay_alu instid0(VALU_DEP_2)
	v_dual_mov_b32 v4, v2 :: v_dual_mov_b32 v3, v1
	.p2align	6
.LBB42_161:                             ; =>This Inner Loop Header: Depth=1
	scratch_load_b128 v[15:18], v9, off offset:-8
	ds_load_b128 v[19:22], v8
	v_add_nc_u32_e32 v7, 1, v7
	v_add_nc_u32_e32 v8, 16, v8
	;; [unrolled: 1-line block ×3, first 2 shown]
	s_delay_alu instid0(VALU_DEP_3) | instskip(SKIP_4) | instid1(VALU_DEP_2)
	v_cmp_lt_u32_e32 vcc_lo, 35, v7
	s_or_b32 s3, vcc_lo, s3
	s_waitcnt vmcnt(0) lgkmcnt(0)
	v_mul_f64 v[10:11], v[21:22], v[17:18]
	v_mul_f64 v[17:18], v[19:20], v[17:18]
	v_fma_f64 v[10:11], v[19:20], v[15:16], -v[10:11]
	s_delay_alu instid0(VALU_DEP_2) | instskip(NEXT) | instid1(VALU_DEP_2)
	v_fma_f64 v[15:16], v[21:22], v[15:16], v[17:18]
	v_add_f64 v[3:4], v[3:4], v[10:11]
	s_delay_alu instid0(VALU_DEP_2)
	v_add_f64 v[1:2], v[1:2], v[15:16]
	s_and_not1_b32 exec_lo, exec_lo, s3
	s_cbranch_execnz .LBB42_161
; %bb.162:
	s_or_b32 exec_lo, exec_lo, s3
	v_mov_b32_e32 v7, 0
	ds_load_b128 v[7:10], v7 offset:592
	s_waitcnt lgkmcnt(0)
	v_mul_f64 v[11:12], v[1:2], v[9:10]
	v_mul_f64 v[15:16], v[3:4], v[9:10]
	s_delay_alu instid0(VALU_DEP_2) | instskip(NEXT) | instid1(VALU_DEP_2)
	v_fma_f64 v[9:10], v[3:4], v[7:8], -v[11:12]
	v_fma_f64 v[11:12], v[1:2], v[7:8], v[15:16]
	scratch_store_b128 off, v[9:12], off offset:592
.LBB42_163:
	s_or_b32 exec_lo, exec_lo, s2
	s_waitcnt_vscnt null, 0x0
	s_barrier
	buffer_gl0_inv
	scratch_load_b128 v[1:4], v150, off
	s_mov_b32 s2, exec_lo
	s_waitcnt vmcnt(0)
	ds_store_b128 v5, v[1:4]
	s_waitcnt lgkmcnt(0)
	s_barrier
	buffer_gl0_inv
	v_cmpx_gt_u32_e32 38, v132
	s_cbranch_execz .LBB42_167
; %bb.164:
	v_dual_mov_b32 v1, 0 :: v_dual_add_nc_u32 v8, 0x2b0, v13
	v_dual_mov_b32 v2, 0 :: v_dual_add_nc_u32 v7, -1, v132
	v_or_b32_e32 v9, 8, v14
	s_mov_b32 s3, 0
	s_delay_alu instid0(VALU_DEP_2)
	v_dual_mov_b32 v4, v2 :: v_dual_mov_b32 v3, v1
	.p2align	6
.LBB42_165:                             ; =>This Inner Loop Header: Depth=1
	scratch_load_b128 v[15:18], v9, off offset:-8
	ds_load_b128 v[19:22], v8
	v_add_nc_u32_e32 v7, 1, v7
	v_add_nc_u32_e32 v8, 16, v8
	;; [unrolled: 1-line block ×3, first 2 shown]
	s_delay_alu instid0(VALU_DEP_3) | instskip(SKIP_4) | instid1(VALU_DEP_2)
	v_cmp_lt_u32_e32 vcc_lo, 36, v7
	s_or_b32 s3, vcc_lo, s3
	s_waitcnt vmcnt(0) lgkmcnt(0)
	v_mul_f64 v[10:11], v[21:22], v[17:18]
	v_mul_f64 v[17:18], v[19:20], v[17:18]
	v_fma_f64 v[10:11], v[19:20], v[15:16], -v[10:11]
	s_delay_alu instid0(VALU_DEP_2) | instskip(NEXT) | instid1(VALU_DEP_2)
	v_fma_f64 v[15:16], v[21:22], v[15:16], v[17:18]
	v_add_f64 v[3:4], v[3:4], v[10:11]
	s_delay_alu instid0(VALU_DEP_2)
	v_add_f64 v[1:2], v[1:2], v[15:16]
	s_and_not1_b32 exec_lo, exec_lo, s3
	s_cbranch_execnz .LBB42_165
; %bb.166:
	s_or_b32 exec_lo, exec_lo, s3
	v_mov_b32_e32 v7, 0
	ds_load_b128 v[7:10], v7 offset:608
	s_waitcnt lgkmcnt(0)
	v_mul_f64 v[11:12], v[1:2], v[9:10]
	v_mul_f64 v[15:16], v[3:4], v[9:10]
	s_delay_alu instid0(VALU_DEP_2) | instskip(NEXT) | instid1(VALU_DEP_2)
	v_fma_f64 v[9:10], v[3:4], v[7:8], -v[11:12]
	v_fma_f64 v[11:12], v[1:2], v[7:8], v[15:16]
	scratch_store_b128 off, v[9:12], off offset:608
.LBB42_167:
	s_or_b32 exec_lo, exec_lo, s2
	s_waitcnt_vscnt null, 0x0
	s_barrier
	buffer_gl0_inv
	scratch_load_b128 v[1:4], v146, off
	s_mov_b32 s2, exec_lo
	s_waitcnt vmcnt(0)
	ds_store_b128 v5, v[1:4]
	s_waitcnt lgkmcnt(0)
	s_barrier
	buffer_gl0_inv
	v_cmpx_gt_u32_e32 39, v132
	s_cbranch_execz .LBB42_171
; %bb.168:
	v_dual_mov_b32 v1, 0 :: v_dual_add_nc_u32 v8, 0x2b0, v13
	v_dual_mov_b32 v2, 0 :: v_dual_add_nc_u32 v7, -1, v132
	v_or_b32_e32 v9, 8, v14
	s_mov_b32 s3, 0
	s_delay_alu instid0(VALU_DEP_2)
	v_dual_mov_b32 v4, v2 :: v_dual_mov_b32 v3, v1
	.p2align	6
.LBB42_169:                             ; =>This Inner Loop Header: Depth=1
	scratch_load_b128 v[15:18], v9, off offset:-8
	ds_load_b128 v[19:22], v8
	v_add_nc_u32_e32 v7, 1, v7
	v_add_nc_u32_e32 v8, 16, v8
	;; [unrolled: 1-line block ×3, first 2 shown]
	s_delay_alu instid0(VALU_DEP_3) | instskip(SKIP_4) | instid1(VALU_DEP_2)
	v_cmp_lt_u32_e32 vcc_lo, 37, v7
	s_or_b32 s3, vcc_lo, s3
	s_waitcnt vmcnt(0) lgkmcnt(0)
	v_mul_f64 v[10:11], v[21:22], v[17:18]
	v_mul_f64 v[17:18], v[19:20], v[17:18]
	v_fma_f64 v[10:11], v[19:20], v[15:16], -v[10:11]
	s_delay_alu instid0(VALU_DEP_2) | instskip(NEXT) | instid1(VALU_DEP_2)
	v_fma_f64 v[15:16], v[21:22], v[15:16], v[17:18]
	v_add_f64 v[3:4], v[3:4], v[10:11]
	s_delay_alu instid0(VALU_DEP_2)
	v_add_f64 v[1:2], v[1:2], v[15:16]
	s_and_not1_b32 exec_lo, exec_lo, s3
	s_cbranch_execnz .LBB42_169
; %bb.170:
	s_or_b32 exec_lo, exec_lo, s3
	v_mov_b32_e32 v7, 0
	ds_load_b128 v[7:10], v7 offset:624
	s_waitcnt lgkmcnt(0)
	v_mul_f64 v[11:12], v[1:2], v[9:10]
	v_mul_f64 v[15:16], v[3:4], v[9:10]
	s_delay_alu instid0(VALU_DEP_2) | instskip(NEXT) | instid1(VALU_DEP_2)
	v_fma_f64 v[9:10], v[3:4], v[7:8], -v[11:12]
	v_fma_f64 v[11:12], v[1:2], v[7:8], v[15:16]
	scratch_store_b128 off, v[9:12], off offset:624
.LBB42_171:
	s_or_b32 exec_lo, exec_lo, s2
	s_waitcnt_vscnt null, 0x0
	s_barrier
	buffer_gl0_inv
	scratch_load_b128 v[1:4], v144, off
	s_mov_b32 s2, exec_lo
	s_waitcnt vmcnt(0)
	ds_store_b128 v5, v[1:4]
	s_waitcnt lgkmcnt(0)
	s_barrier
	buffer_gl0_inv
	v_cmpx_gt_u32_e32 40, v132
	s_cbranch_execz .LBB42_175
; %bb.172:
	v_dual_mov_b32 v1, 0 :: v_dual_add_nc_u32 v8, 0x2b0, v13
	v_dual_mov_b32 v2, 0 :: v_dual_add_nc_u32 v7, -1, v132
	v_or_b32_e32 v9, 8, v14
	s_mov_b32 s3, 0
	s_delay_alu instid0(VALU_DEP_2)
	v_dual_mov_b32 v4, v2 :: v_dual_mov_b32 v3, v1
	.p2align	6
.LBB42_173:                             ; =>This Inner Loop Header: Depth=1
	scratch_load_b128 v[15:18], v9, off offset:-8
	ds_load_b128 v[19:22], v8
	v_add_nc_u32_e32 v7, 1, v7
	v_add_nc_u32_e32 v8, 16, v8
	;; [unrolled: 1-line block ×3, first 2 shown]
	s_delay_alu instid0(VALU_DEP_3) | instskip(SKIP_4) | instid1(VALU_DEP_2)
	v_cmp_lt_u32_e32 vcc_lo, 38, v7
	s_or_b32 s3, vcc_lo, s3
	s_waitcnt vmcnt(0) lgkmcnt(0)
	v_mul_f64 v[10:11], v[21:22], v[17:18]
	v_mul_f64 v[17:18], v[19:20], v[17:18]
	v_fma_f64 v[10:11], v[19:20], v[15:16], -v[10:11]
	s_delay_alu instid0(VALU_DEP_2) | instskip(NEXT) | instid1(VALU_DEP_2)
	v_fma_f64 v[15:16], v[21:22], v[15:16], v[17:18]
	v_add_f64 v[3:4], v[3:4], v[10:11]
	s_delay_alu instid0(VALU_DEP_2)
	v_add_f64 v[1:2], v[1:2], v[15:16]
	s_and_not1_b32 exec_lo, exec_lo, s3
	s_cbranch_execnz .LBB42_173
; %bb.174:
	s_or_b32 exec_lo, exec_lo, s3
	v_mov_b32_e32 v7, 0
	ds_load_b128 v[7:10], v7 offset:640
	s_waitcnt lgkmcnt(0)
	v_mul_f64 v[11:12], v[1:2], v[9:10]
	v_mul_f64 v[15:16], v[3:4], v[9:10]
	s_delay_alu instid0(VALU_DEP_2) | instskip(NEXT) | instid1(VALU_DEP_2)
	v_fma_f64 v[9:10], v[3:4], v[7:8], -v[11:12]
	v_fma_f64 v[11:12], v[1:2], v[7:8], v[15:16]
	scratch_store_b128 off, v[9:12], off offset:640
.LBB42_175:
	s_or_b32 exec_lo, exec_lo, s2
	s_waitcnt_vscnt null, 0x0
	s_barrier
	buffer_gl0_inv
	scratch_load_b128 v[1:4], v142, off
	s_mov_b32 s2, exec_lo
	s_waitcnt vmcnt(0)
	ds_store_b128 v5, v[1:4]
	s_waitcnt lgkmcnt(0)
	s_barrier
	buffer_gl0_inv
	v_cmpx_gt_u32_e32 41, v132
	s_cbranch_execz .LBB42_179
; %bb.176:
	v_dual_mov_b32 v1, 0 :: v_dual_add_nc_u32 v8, 0x2b0, v13
	v_dual_mov_b32 v2, 0 :: v_dual_add_nc_u32 v7, -1, v132
	v_or_b32_e32 v9, 8, v14
	s_mov_b32 s3, 0
	s_delay_alu instid0(VALU_DEP_2)
	v_dual_mov_b32 v4, v2 :: v_dual_mov_b32 v3, v1
	.p2align	6
.LBB42_177:                             ; =>This Inner Loop Header: Depth=1
	scratch_load_b128 v[10:13], v9, off offset:-8
	ds_load_b128 v[15:18], v8
	v_add_nc_u32_e32 v7, 1, v7
	v_add_nc_u32_e32 v8, 16, v8
	;; [unrolled: 1-line block ×3, first 2 shown]
	s_delay_alu instid0(VALU_DEP_3) | instskip(SKIP_4) | instid1(VALU_DEP_2)
	v_cmp_lt_u32_e32 vcc_lo, 39, v7
	s_or_b32 s3, vcc_lo, s3
	s_waitcnt vmcnt(0) lgkmcnt(0)
	v_mul_f64 v[19:20], v[17:18], v[12:13]
	v_mul_f64 v[12:13], v[15:16], v[12:13]
	v_fma_f64 v[15:16], v[15:16], v[10:11], -v[19:20]
	s_delay_alu instid0(VALU_DEP_2) | instskip(NEXT) | instid1(VALU_DEP_2)
	v_fma_f64 v[10:11], v[17:18], v[10:11], v[12:13]
	v_add_f64 v[3:4], v[3:4], v[15:16]
	s_delay_alu instid0(VALU_DEP_2)
	v_add_f64 v[1:2], v[1:2], v[10:11]
	s_and_not1_b32 exec_lo, exec_lo, s3
	s_cbranch_execnz .LBB42_177
; %bb.178:
	s_or_b32 exec_lo, exec_lo, s3
	v_mov_b32_e32 v7, 0
	ds_load_b128 v[7:10], v7 offset:656
	s_waitcnt lgkmcnt(0)
	v_mul_f64 v[11:12], v[1:2], v[9:10]
	v_mul_f64 v[15:16], v[3:4], v[9:10]
	s_delay_alu instid0(VALU_DEP_2) | instskip(NEXT) | instid1(VALU_DEP_2)
	v_fma_f64 v[9:10], v[3:4], v[7:8], -v[11:12]
	v_fma_f64 v[11:12], v[1:2], v[7:8], v[15:16]
	scratch_store_b128 off, v[9:12], off offset:656
.LBB42_179:
	s_or_b32 exec_lo, exec_lo, s2
	s_waitcnt_vscnt null, 0x0
	s_barrier
	buffer_gl0_inv
	scratch_load_b128 v[1:4], v140, off
	s_mov_b32 s2, exec_lo
	s_waitcnt vmcnt(0)
	ds_store_b128 v5, v[1:4]
	s_waitcnt lgkmcnt(0)
	s_barrier
	buffer_gl0_inv
	v_cmpx_ne_u32_e32 42, v132
	s_cbranch_execz .LBB42_183
; %bb.180:
	v_mov_b32_e32 v1, 0
	v_mov_b32_e32 v2, 0
	v_or_b32_e32 v7, 8, v14
	s_mov_b32 s3, 0
	s_delay_alu instid0(VALU_DEP_2)
	v_dual_mov_b32 v4, v2 :: v_dual_mov_b32 v3, v1
	.p2align	6
.LBB42_181:                             ; =>This Inner Loop Header: Depth=1
	scratch_load_b128 v[8:11], v7, off offset:-8
	ds_load_b128 v[12:15], v5
	v_add_nc_u32_e32 v6, 1, v6
	v_add_nc_u32_e32 v5, 16, v5
	;; [unrolled: 1-line block ×3, first 2 shown]
	s_delay_alu instid0(VALU_DEP_3) | instskip(SKIP_4) | instid1(VALU_DEP_2)
	v_cmp_lt_u32_e32 vcc_lo, 40, v6
	s_or_b32 s3, vcc_lo, s3
	s_waitcnt vmcnt(0) lgkmcnt(0)
	v_mul_f64 v[16:17], v[14:15], v[10:11]
	v_mul_f64 v[10:11], v[12:13], v[10:11]
	v_fma_f64 v[12:13], v[12:13], v[8:9], -v[16:17]
	s_delay_alu instid0(VALU_DEP_2) | instskip(NEXT) | instid1(VALU_DEP_2)
	v_fma_f64 v[8:9], v[14:15], v[8:9], v[10:11]
	v_add_f64 v[3:4], v[3:4], v[12:13]
	s_delay_alu instid0(VALU_DEP_2)
	v_add_f64 v[1:2], v[1:2], v[8:9]
	s_and_not1_b32 exec_lo, exec_lo, s3
	s_cbranch_execnz .LBB42_181
; %bb.182:
	s_or_b32 exec_lo, exec_lo, s3
	v_mov_b32_e32 v5, 0
	ds_load_b128 v[5:8], v5 offset:672
	s_waitcnt lgkmcnt(0)
	v_mul_f64 v[9:10], v[1:2], v[7:8]
	v_mul_f64 v[7:8], v[3:4], v[7:8]
	s_delay_alu instid0(VALU_DEP_2) | instskip(NEXT) | instid1(VALU_DEP_2)
	v_fma_f64 v[3:4], v[3:4], v[5:6], -v[9:10]
	v_fma_f64 v[5:6], v[1:2], v[5:6], v[7:8]
	scratch_store_b128 off, v[3:6], off offset:672
.LBB42_183:
	s_or_b32 exec_lo, exec_lo, s2
	s_mov_b32 s3, -1
	s_waitcnt_vscnt null, 0x0
	s_barrier
	buffer_gl0_inv
.LBB42_184:
	s_and_b32 vcc_lo, exec_lo, s3
	s_cbranch_vccz .LBB42_186
; %bb.185:
	s_lshl_b64 s[2:3], s[18:19], 2
	v_mov_b32_e32 v1, 0
	s_add_u32 s2, s6, s2
	s_addc_u32 s3, s7, s3
	global_load_b32 v1, v1, s[2:3]
	s_waitcnt vmcnt(0)
	v_cmp_ne_u32_e32 vcc_lo, 0, v1
	s_cbranch_vccz .LBB42_187
.LBB42_186:
	s_endpgm
.LBB42_187:
	v_lshl_add_u32 v175, v132, 4, 0x2b0
	s_mov_b32 s2, exec_lo
	v_cmpx_eq_u32_e32 42, v132
	s_cbranch_execz .LBB42_189
; %bb.188:
	scratch_load_b128 v[1:4], v142, off
	v_mov_b32_e32 v5, 0
	s_delay_alu instid0(VALU_DEP_1)
	v_mov_b32_e32 v6, v5
	v_mov_b32_e32 v7, v5
	;; [unrolled: 1-line block ×3, first 2 shown]
	scratch_store_b128 off, v[5:8], off offset:656
	s_waitcnt vmcnt(0)
	ds_store_b128 v175, v[1:4]
.LBB42_189:
	s_or_b32 exec_lo, exec_lo, s2
	s_waitcnt lgkmcnt(0)
	s_waitcnt_vscnt null, 0x0
	s_barrier
	buffer_gl0_inv
	s_clause 0x1
	scratch_load_b128 v[2:5], off, off offset:672
	scratch_load_b128 v[6:9], off, off offset:656
	v_mov_b32_e32 v1, 0
	s_mov_b32 s2, exec_lo
	ds_load_b128 v[10:13], v1 offset:1360
	s_waitcnt vmcnt(1) lgkmcnt(0)
	v_mul_f64 v[14:15], v[12:13], v[4:5]
	v_mul_f64 v[4:5], v[10:11], v[4:5]
	s_delay_alu instid0(VALU_DEP_2) | instskip(NEXT) | instid1(VALU_DEP_2)
	v_fma_f64 v[10:11], v[10:11], v[2:3], -v[14:15]
	v_fma_f64 v[2:3], v[12:13], v[2:3], v[4:5]
	s_delay_alu instid0(VALU_DEP_2) | instskip(NEXT) | instid1(VALU_DEP_2)
	v_add_f64 v[4:5], v[10:11], 0
	v_add_f64 v[10:11], v[2:3], 0
	s_waitcnt vmcnt(0)
	s_delay_alu instid0(VALU_DEP_2) | instskip(NEXT) | instid1(VALU_DEP_2)
	v_add_f64 v[2:3], v[6:7], -v[4:5]
	v_add_f64 v[4:5], v[8:9], -v[10:11]
	scratch_store_b128 off, v[2:5], off offset:656
	v_cmpx_lt_u32_e32 40, v132
	s_cbranch_execz .LBB42_191
; %bb.190:
	scratch_load_b128 v[5:8], v144, off
	v_mov_b32_e32 v2, v1
	v_mov_b32_e32 v3, v1
	;; [unrolled: 1-line block ×3, first 2 shown]
	scratch_store_b128 off, v[1:4], off offset:640
	s_waitcnt vmcnt(0)
	ds_store_b128 v175, v[5:8]
.LBB42_191:
	s_or_b32 exec_lo, exec_lo, s2
	s_waitcnt lgkmcnt(0)
	s_waitcnt_vscnt null, 0x0
	s_barrier
	buffer_gl0_inv
	s_clause 0x2
	scratch_load_b128 v[2:5], off, off offset:656
	scratch_load_b128 v[6:9], off, off offset:672
	;; [unrolled: 1-line block ×3, first 2 shown]
	ds_load_b128 v[14:17], v1 offset:1344
	ds_load_b128 v[18:21], v1 offset:1360
	s_mov_b32 s2, exec_lo
	s_waitcnt vmcnt(2) lgkmcnt(1)
	v_mul_f64 v[22:23], v[16:17], v[4:5]
	v_mul_f64 v[4:5], v[14:15], v[4:5]
	s_waitcnt vmcnt(1) lgkmcnt(0)
	v_mul_f64 v[24:25], v[18:19], v[8:9]
	v_mul_f64 v[8:9], v[20:21], v[8:9]
	s_delay_alu instid0(VALU_DEP_4) | instskip(NEXT) | instid1(VALU_DEP_4)
	v_fma_f64 v[14:15], v[14:15], v[2:3], -v[22:23]
	v_fma_f64 v[1:2], v[16:17], v[2:3], v[4:5]
	s_delay_alu instid0(VALU_DEP_4) | instskip(NEXT) | instid1(VALU_DEP_4)
	v_fma_f64 v[3:4], v[20:21], v[6:7], v[24:25]
	v_fma_f64 v[5:6], v[18:19], v[6:7], -v[8:9]
	s_delay_alu instid0(VALU_DEP_4) | instskip(NEXT) | instid1(VALU_DEP_4)
	v_add_f64 v[7:8], v[14:15], 0
	v_add_f64 v[1:2], v[1:2], 0
	s_delay_alu instid0(VALU_DEP_2) | instskip(NEXT) | instid1(VALU_DEP_2)
	v_add_f64 v[5:6], v[7:8], v[5:6]
	v_add_f64 v[3:4], v[1:2], v[3:4]
	s_waitcnt vmcnt(0)
	s_delay_alu instid0(VALU_DEP_2) | instskip(NEXT) | instid1(VALU_DEP_2)
	v_add_f64 v[1:2], v[10:11], -v[5:6]
	v_add_f64 v[3:4], v[12:13], -v[3:4]
	scratch_store_b128 off, v[1:4], off offset:640
	v_cmpx_lt_u32_e32 39, v132
	s_cbranch_execz .LBB42_193
; %bb.192:
	scratch_load_b128 v[1:4], v146, off
	v_mov_b32_e32 v5, 0
	s_delay_alu instid0(VALU_DEP_1)
	v_mov_b32_e32 v6, v5
	v_mov_b32_e32 v7, v5
	v_mov_b32_e32 v8, v5
	scratch_store_b128 off, v[5:8], off offset:624
	s_waitcnt vmcnt(0)
	ds_store_b128 v175, v[1:4]
.LBB42_193:
	s_or_b32 exec_lo, exec_lo, s2
	s_waitcnt lgkmcnt(0)
	s_waitcnt_vscnt null, 0x0
	s_barrier
	buffer_gl0_inv
	s_clause 0x3
	scratch_load_b128 v[2:5], off, off offset:640
	scratch_load_b128 v[6:9], off, off offset:656
	;; [unrolled: 1-line block ×4, first 2 shown]
	v_mov_b32_e32 v1, 0
	ds_load_b128 v[18:21], v1 offset:1328
	ds_load_b128 v[22:25], v1 offset:1344
	s_mov_b32 s2, exec_lo
	s_waitcnt vmcnt(3) lgkmcnt(1)
	v_mul_f64 v[26:27], v[20:21], v[4:5]
	v_mul_f64 v[4:5], v[18:19], v[4:5]
	s_waitcnt vmcnt(2) lgkmcnt(0)
	v_mul_f64 v[28:29], v[22:23], v[8:9]
	v_mul_f64 v[8:9], v[24:25], v[8:9]
	s_delay_alu instid0(VALU_DEP_4) | instskip(NEXT) | instid1(VALU_DEP_4)
	v_fma_f64 v[18:19], v[18:19], v[2:3], -v[26:27]
	v_fma_f64 v[20:21], v[20:21], v[2:3], v[4:5]
	ds_load_b128 v[2:5], v1 offset:1360
	v_fma_f64 v[24:25], v[24:25], v[6:7], v[28:29]
	v_fma_f64 v[6:7], v[22:23], v[6:7], -v[8:9]
	s_waitcnt vmcnt(1) lgkmcnt(0)
	v_mul_f64 v[26:27], v[2:3], v[12:13]
	v_mul_f64 v[12:13], v[4:5], v[12:13]
	v_add_f64 v[8:9], v[18:19], 0
	v_add_f64 v[18:19], v[20:21], 0
	s_delay_alu instid0(VALU_DEP_4) | instskip(NEXT) | instid1(VALU_DEP_4)
	v_fma_f64 v[4:5], v[4:5], v[10:11], v[26:27]
	v_fma_f64 v[2:3], v[2:3], v[10:11], -v[12:13]
	s_delay_alu instid0(VALU_DEP_4) | instskip(NEXT) | instid1(VALU_DEP_4)
	v_add_f64 v[6:7], v[8:9], v[6:7]
	v_add_f64 v[8:9], v[18:19], v[24:25]
	s_delay_alu instid0(VALU_DEP_2) | instskip(NEXT) | instid1(VALU_DEP_2)
	v_add_f64 v[2:3], v[6:7], v[2:3]
	v_add_f64 v[4:5], v[8:9], v[4:5]
	s_waitcnt vmcnt(0)
	s_delay_alu instid0(VALU_DEP_2) | instskip(NEXT) | instid1(VALU_DEP_2)
	v_add_f64 v[2:3], v[14:15], -v[2:3]
	v_add_f64 v[4:5], v[16:17], -v[4:5]
	scratch_store_b128 off, v[2:5], off offset:624
	v_cmpx_lt_u32_e32 38, v132
	s_cbranch_execz .LBB42_195
; %bb.194:
	scratch_load_b128 v[5:8], v150, off
	v_mov_b32_e32 v2, v1
	v_mov_b32_e32 v3, v1
	;; [unrolled: 1-line block ×3, first 2 shown]
	scratch_store_b128 off, v[1:4], off offset:608
	s_waitcnt vmcnt(0)
	ds_store_b128 v175, v[5:8]
.LBB42_195:
	s_or_b32 exec_lo, exec_lo, s2
	s_waitcnt lgkmcnt(0)
	s_waitcnt_vscnt null, 0x0
	s_barrier
	buffer_gl0_inv
	s_clause 0x4
	scratch_load_b128 v[2:5], off, off offset:624
	scratch_load_b128 v[6:9], off, off offset:640
	;; [unrolled: 1-line block ×5, first 2 shown]
	ds_load_b128 v[22:25], v1 offset:1312
	ds_load_b128 v[26:29], v1 offset:1328
	s_mov_b32 s2, exec_lo
	s_waitcnt vmcnt(4) lgkmcnt(1)
	v_mul_f64 v[30:31], v[24:25], v[4:5]
	v_mul_f64 v[4:5], v[22:23], v[4:5]
	s_waitcnt vmcnt(3) lgkmcnt(0)
	v_mul_f64 v[32:33], v[26:27], v[8:9]
	v_mul_f64 v[8:9], v[28:29], v[8:9]
	s_delay_alu instid0(VALU_DEP_4) | instskip(NEXT) | instid1(VALU_DEP_4)
	v_fma_f64 v[30:31], v[22:23], v[2:3], -v[30:31]
	v_fma_f64 v[34:35], v[24:25], v[2:3], v[4:5]
	ds_load_b128 v[2:5], v1 offset:1344
	ds_load_b128 v[22:25], v1 offset:1360
	v_fma_f64 v[28:29], v[28:29], v[6:7], v[32:33]
	v_fma_f64 v[6:7], v[26:27], v[6:7], -v[8:9]
	s_waitcnt vmcnt(2) lgkmcnt(1)
	v_mul_f64 v[36:37], v[2:3], v[12:13]
	v_mul_f64 v[12:13], v[4:5], v[12:13]
	v_add_f64 v[8:9], v[30:31], 0
	v_add_f64 v[26:27], v[34:35], 0
	s_waitcnt vmcnt(1) lgkmcnt(0)
	v_mul_f64 v[30:31], v[22:23], v[16:17]
	v_mul_f64 v[16:17], v[24:25], v[16:17]
	v_fma_f64 v[4:5], v[4:5], v[10:11], v[36:37]
	v_fma_f64 v[1:2], v[2:3], v[10:11], -v[12:13]
	v_add_f64 v[6:7], v[8:9], v[6:7]
	v_add_f64 v[8:9], v[26:27], v[28:29]
	v_fma_f64 v[10:11], v[24:25], v[14:15], v[30:31]
	v_fma_f64 v[12:13], v[22:23], v[14:15], -v[16:17]
	s_delay_alu instid0(VALU_DEP_4) | instskip(NEXT) | instid1(VALU_DEP_4)
	v_add_f64 v[1:2], v[6:7], v[1:2]
	v_add_f64 v[3:4], v[8:9], v[4:5]
	s_delay_alu instid0(VALU_DEP_2) | instskip(NEXT) | instid1(VALU_DEP_2)
	v_add_f64 v[1:2], v[1:2], v[12:13]
	v_add_f64 v[3:4], v[3:4], v[10:11]
	s_waitcnt vmcnt(0)
	s_delay_alu instid0(VALU_DEP_2) | instskip(NEXT) | instid1(VALU_DEP_2)
	v_add_f64 v[1:2], v[18:19], -v[1:2]
	v_add_f64 v[3:4], v[20:21], -v[3:4]
	scratch_store_b128 off, v[1:4], off offset:608
	v_cmpx_lt_u32_e32 37, v132
	s_cbranch_execz .LBB42_197
; %bb.196:
	scratch_load_b128 v[1:4], v152, off
	v_mov_b32_e32 v5, 0
	s_delay_alu instid0(VALU_DEP_1)
	v_mov_b32_e32 v6, v5
	v_mov_b32_e32 v7, v5
	;; [unrolled: 1-line block ×3, first 2 shown]
	scratch_store_b128 off, v[5:8], off offset:592
	s_waitcnt vmcnt(0)
	ds_store_b128 v175, v[1:4]
.LBB42_197:
	s_or_b32 exec_lo, exec_lo, s2
	s_waitcnt lgkmcnt(0)
	s_waitcnt_vscnt null, 0x0
	s_barrier
	buffer_gl0_inv
	s_clause 0x5
	scratch_load_b128 v[2:5], off, off offset:608
	scratch_load_b128 v[6:9], off, off offset:624
	;; [unrolled: 1-line block ×6, first 2 shown]
	v_mov_b32_e32 v1, 0
	ds_load_b128 v[26:29], v1 offset:1296
	ds_load_b128 v[30:33], v1 offset:1312
	s_mov_b32 s2, exec_lo
	s_waitcnt vmcnt(5) lgkmcnt(1)
	v_mul_f64 v[34:35], v[28:29], v[4:5]
	v_mul_f64 v[4:5], v[26:27], v[4:5]
	s_waitcnt vmcnt(4) lgkmcnt(0)
	v_mul_f64 v[36:37], v[30:31], v[8:9]
	v_mul_f64 v[8:9], v[32:33], v[8:9]
	s_delay_alu instid0(VALU_DEP_4) | instskip(NEXT) | instid1(VALU_DEP_4)
	v_fma_f64 v[34:35], v[26:27], v[2:3], -v[34:35]
	v_fma_f64 v[38:39], v[28:29], v[2:3], v[4:5]
	ds_load_b128 v[2:5], v1 offset:1328
	ds_load_b128 v[26:29], v1 offset:1344
	v_fma_f64 v[32:33], v[32:33], v[6:7], v[36:37]
	v_fma_f64 v[6:7], v[30:31], v[6:7], -v[8:9]
	s_waitcnt vmcnt(3) lgkmcnt(1)
	v_mul_f64 v[40:41], v[2:3], v[12:13]
	v_mul_f64 v[12:13], v[4:5], v[12:13]
	v_add_f64 v[8:9], v[34:35], 0
	v_add_f64 v[30:31], v[38:39], 0
	s_waitcnt vmcnt(2) lgkmcnt(0)
	v_mul_f64 v[34:35], v[26:27], v[16:17]
	v_mul_f64 v[16:17], v[28:29], v[16:17]
	v_fma_f64 v[36:37], v[4:5], v[10:11], v[40:41]
	v_fma_f64 v[10:11], v[2:3], v[10:11], -v[12:13]
	ds_load_b128 v[2:5], v1 offset:1360
	v_add_f64 v[6:7], v[8:9], v[6:7]
	v_add_f64 v[8:9], v[30:31], v[32:33]
	v_fma_f64 v[28:29], v[28:29], v[14:15], v[34:35]
	v_fma_f64 v[14:15], v[26:27], v[14:15], -v[16:17]
	s_waitcnt vmcnt(1) lgkmcnt(0)
	v_mul_f64 v[12:13], v[2:3], v[20:21]
	v_mul_f64 v[20:21], v[4:5], v[20:21]
	v_add_f64 v[6:7], v[6:7], v[10:11]
	v_add_f64 v[8:9], v[8:9], v[36:37]
	s_delay_alu instid0(VALU_DEP_4) | instskip(NEXT) | instid1(VALU_DEP_4)
	v_fma_f64 v[4:5], v[4:5], v[18:19], v[12:13]
	v_fma_f64 v[2:3], v[2:3], v[18:19], -v[20:21]
	s_delay_alu instid0(VALU_DEP_4) | instskip(NEXT) | instid1(VALU_DEP_4)
	v_add_f64 v[6:7], v[6:7], v[14:15]
	v_add_f64 v[8:9], v[8:9], v[28:29]
	s_delay_alu instid0(VALU_DEP_2) | instskip(NEXT) | instid1(VALU_DEP_2)
	v_add_f64 v[2:3], v[6:7], v[2:3]
	v_add_f64 v[4:5], v[8:9], v[4:5]
	s_waitcnt vmcnt(0)
	s_delay_alu instid0(VALU_DEP_2) | instskip(NEXT) | instid1(VALU_DEP_2)
	v_add_f64 v[2:3], v[22:23], -v[2:3]
	v_add_f64 v[4:5], v[24:25], -v[4:5]
	scratch_store_b128 off, v[2:5], off offset:592
	v_cmpx_lt_u32_e32 36, v132
	s_cbranch_execz .LBB42_199
; %bb.198:
	scratch_load_b128 v[5:8], v156, off
	v_mov_b32_e32 v2, v1
	v_mov_b32_e32 v3, v1
	v_mov_b32_e32 v4, v1
	scratch_store_b128 off, v[1:4], off offset:576
	s_waitcnt vmcnt(0)
	ds_store_b128 v175, v[5:8]
.LBB42_199:
	s_or_b32 exec_lo, exec_lo, s2
	s_waitcnt lgkmcnt(0)
	s_waitcnt_vscnt null, 0x0
	s_barrier
	buffer_gl0_inv
	s_clause 0x5
	scratch_load_b128 v[2:5], off, off offset:592
	scratch_load_b128 v[6:9], off, off offset:608
	;; [unrolled: 1-line block ×6, first 2 shown]
	ds_load_b128 v[26:29], v1 offset:1280
	ds_load_b128 v[34:37], v1 offset:1296
	scratch_load_b128 v[30:33], off, off offset:576
	s_mov_b32 s2, exec_lo
	s_waitcnt vmcnt(6) lgkmcnt(1)
	v_mul_f64 v[38:39], v[28:29], v[4:5]
	v_mul_f64 v[4:5], v[26:27], v[4:5]
	s_waitcnt vmcnt(5) lgkmcnt(0)
	v_mul_f64 v[40:41], v[34:35], v[8:9]
	v_mul_f64 v[8:9], v[36:37], v[8:9]
	s_delay_alu instid0(VALU_DEP_4) | instskip(NEXT) | instid1(VALU_DEP_4)
	v_fma_f64 v[38:39], v[26:27], v[2:3], -v[38:39]
	v_fma_f64 v[42:43], v[28:29], v[2:3], v[4:5]
	ds_load_b128 v[2:5], v1 offset:1312
	ds_load_b128 v[26:29], v1 offset:1328
	v_fma_f64 v[36:37], v[36:37], v[6:7], v[40:41]
	v_fma_f64 v[6:7], v[34:35], v[6:7], -v[8:9]
	s_waitcnt vmcnt(4) lgkmcnt(1)
	v_mul_f64 v[44:45], v[2:3], v[12:13]
	v_mul_f64 v[12:13], v[4:5], v[12:13]
	v_add_f64 v[8:9], v[38:39], 0
	v_add_f64 v[34:35], v[42:43], 0
	s_waitcnt vmcnt(3) lgkmcnt(0)
	v_mul_f64 v[38:39], v[26:27], v[16:17]
	v_mul_f64 v[16:17], v[28:29], v[16:17]
	v_fma_f64 v[40:41], v[4:5], v[10:11], v[44:45]
	v_fma_f64 v[10:11], v[2:3], v[10:11], -v[12:13]
	v_add_f64 v[12:13], v[8:9], v[6:7]
	v_add_f64 v[34:35], v[34:35], v[36:37]
	ds_load_b128 v[2:5], v1 offset:1344
	ds_load_b128 v[6:9], v1 offset:1360
	v_fma_f64 v[28:29], v[28:29], v[14:15], v[38:39]
	v_fma_f64 v[14:15], v[26:27], v[14:15], -v[16:17]
	s_waitcnt vmcnt(2) lgkmcnt(1)
	v_mul_f64 v[36:37], v[2:3], v[20:21]
	v_mul_f64 v[20:21], v[4:5], v[20:21]
	s_waitcnt vmcnt(1) lgkmcnt(0)
	v_mul_f64 v[16:17], v[6:7], v[24:25]
	v_mul_f64 v[24:25], v[8:9], v[24:25]
	v_add_f64 v[10:11], v[12:13], v[10:11]
	v_add_f64 v[12:13], v[34:35], v[40:41]
	v_fma_f64 v[4:5], v[4:5], v[18:19], v[36:37]
	v_fma_f64 v[1:2], v[2:3], v[18:19], -v[20:21]
	v_fma_f64 v[8:9], v[8:9], v[22:23], v[16:17]
	v_fma_f64 v[6:7], v[6:7], v[22:23], -v[24:25]
	v_add_f64 v[10:11], v[10:11], v[14:15]
	v_add_f64 v[12:13], v[12:13], v[28:29]
	s_delay_alu instid0(VALU_DEP_2) | instskip(NEXT) | instid1(VALU_DEP_2)
	v_add_f64 v[1:2], v[10:11], v[1:2]
	v_add_f64 v[3:4], v[12:13], v[4:5]
	s_delay_alu instid0(VALU_DEP_2) | instskip(NEXT) | instid1(VALU_DEP_2)
	v_add_f64 v[1:2], v[1:2], v[6:7]
	v_add_f64 v[3:4], v[3:4], v[8:9]
	s_waitcnt vmcnt(0)
	s_delay_alu instid0(VALU_DEP_2) | instskip(NEXT) | instid1(VALU_DEP_2)
	v_add_f64 v[1:2], v[30:31], -v[1:2]
	v_add_f64 v[3:4], v[32:33], -v[3:4]
	scratch_store_b128 off, v[1:4], off offset:576
	v_cmpx_lt_u32_e32 35, v132
	s_cbranch_execz .LBB42_201
; %bb.200:
	scratch_load_b128 v[1:4], v158, off
	v_mov_b32_e32 v5, 0
	s_delay_alu instid0(VALU_DEP_1)
	v_mov_b32_e32 v6, v5
	v_mov_b32_e32 v7, v5
	v_mov_b32_e32 v8, v5
	scratch_store_b128 off, v[5:8], off offset:560
	s_waitcnt vmcnt(0)
	ds_store_b128 v175, v[1:4]
.LBB42_201:
	s_or_b32 exec_lo, exec_lo, s2
	s_waitcnt lgkmcnt(0)
	s_waitcnt_vscnt null, 0x0
	s_barrier
	buffer_gl0_inv
	s_clause 0x6
	scratch_load_b128 v[2:5], off, off offset:576
	scratch_load_b128 v[6:9], off, off offset:592
	;; [unrolled: 1-line block ×7, first 2 shown]
	v_mov_b32_e32 v1, 0
	scratch_load_b128 v[34:37], off, off offset:560
	s_mov_b32 s2, exec_lo
	ds_load_b128 v[30:33], v1 offset:1264
	ds_load_b128 v[38:41], v1 offset:1280
	s_waitcnt vmcnt(7) lgkmcnt(1)
	v_mul_f64 v[42:43], v[32:33], v[4:5]
	v_mul_f64 v[4:5], v[30:31], v[4:5]
	s_waitcnt vmcnt(6) lgkmcnt(0)
	v_mul_f64 v[44:45], v[38:39], v[8:9]
	v_mul_f64 v[8:9], v[40:41], v[8:9]
	s_delay_alu instid0(VALU_DEP_4) | instskip(NEXT) | instid1(VALU_DEP_4)
	v_fma_f64 v[42:43], v[30:31], v[2:3], -v[42:43]
	v_fma_f64 v[176:177], v[32:33], v[2:3], v[4:5]
	ds_load_b128 v[2:5], v1 offset:1296
	ds_load_b128 v[30:33], v1 offset:1312
	v_fma_f64 v[40:41], v[40:41], v[6:7], v[44:45]
	v_fma_f64 v[6:7], v[38:39], v[6:7], -v[8:9]
	s_waitcnt vmcnt(5) lgkmcnt(1)
	v_mul_f64 v[178:179], v[2:3], v[12:13]
	v_mul_f64 v[12:13], v[4:5], v[12:13]
	v_add_f64 v[8:9], v[42:43], 0
	v_add_f64 v[38:39], v[176:177], 0
	s_waitcnt vmcnt(4) lgkmcnt(0)
	v_mul_f64 v[42:43], v[30:31], v[16:17]
	v_mul_f64 v[16:17], v[32:33], v[16:17]
	v_fma_f64 v[44:45], v[4:5], v[10:11], v[178:179]
	v_fma_f64 v[10:11], v[2:3], v[10:11], -v[12:13]
	v_add_f64 v[12:13], v[8:9], v[6:7]
	v_add_f64 v[38:39], v[38:39], v[40:41]
	ds_load_b128 v[2:5], v1 offset:1328
	ds_load_b128 v[6:9], v1 offset:1344
	v_fma_f64 v[32:33], v[32:33], v[14:15], v[42:43]
	v_fma_f64 v[14:15], v[30:31], v[14:15], -v[16:17]
	s_waitcnt vmcnt(3) lgkmcnt(1)
	v_mul_f64 v[40:41], v[2:3], v[20:21]
	v_mul_f64 v[20:21], v[4:5], v[20:21]
	s_waitcnt vmcnt(2) lgkmcnt(0)
	v_mul_f64 v[16:17], v[6:7], v[24:25]
	v_mul_f64 v[24:25], v[8:9], v[24:25]
	v_add_f64 v[10:11], v[12:13], v[10:11]
	v_add_f64 v[12:13], v[38:39], v[44:45]
	v_fma_f64 v[30:31], v[4:5], v[18:19], v[40:41]
	v_fma_f64 v[18:19], v[2:3], v[18:19], -v[20:21]
	ds_load_b128 v[2:5], v1 offset:1360
	v_fma_f64 v[8:9], v[8:9], v[22:23], v[16:17]
	v_fma_f64 v[6:7], v[6:7], v[22:23], -v[24:25]
	v_add_f64 v[10:11], v[10:11], v[14:15]
	v_add_f64 v[12:13], v[12:13], v[32:33]
	s_waitcnt vmcnt(1) lgkmcnt(0)
	v_mul_f64 v[14:15], v[2:3], v[28:29]
	v_mul_f64 v[20:21], v[4:5], v[28:29]
	s_delay_alu instid0(VALU_DEP_4) | instskip(NEXT) | instid1(VALU_DEP_4)
	v_add_f64 v[10:11], v[10:11], v[18:19]
	v_add_f64 v[12:13], v[12:13], v[30:31]
	s_delay_alu instid0(VALU_DEP_4) | instskip(NEXT) | instid1(VALU_DEP_4)
	v_fma_f64 v[4:5], v[4:5], v[26:27], v[14:15]
	v_fma_f64 v[2:3], v[2:3], v[26:27], -v[20:21]
	s_delay_alu instid0(VALU_DEP_4) | instskip(NEXT) | instid1(VALU_DEP_4)
	v_add_f64 v[6:7], v[10:11], v[6:7]
	v_add_f64 v[8:9], v[12:13], v[8:9]
	s_delay_alu instid0(VALU_DEP_2) | instskip(NEXT) | instid1(VALU_DEP_2)
	v_add_f64 v[2:3], v[6:7], v[2:3]
	v_add_f64 v[4:5], v[8:9], v[4:5]
	s_waitcnt vmcnt(0)
	s_delay_alu instid0(VALU_DEP_2) | instskip(NEXT) | instid1(VALU_DEP_2)
	v_add_f64 v[2:3], v[34:35], -v[2:3]
	v_add_f64 v[4:5], v[36:37], -v[4:5]
	scratch_store_b128 off, v[2:5], off offset:560
	v_cmpx_lt_u32_e32 34, v132
	s_cbranch_execz .LBB42_203
; %bb.202:
	scratch_load_b128 v[5:8], v162, off
	v_mov_b32_e32 v2, v1
	v_mov_b32_e32 v3, v1
	v_mov_b32_e32 v4, v1
	scratch_store_b128 off, v[1:4], off offset:544
	s_waitcnt vmcnt(0)
	ds_store_b128 v175, v[5:8]
.LBB42_203:
	s_or_b32 exec_lo, exec_lo, s2
	s_waitcnt lgkmcnt(0)
	s_waitcnt_vscnt null, 0x0
	s_barrier
	buffer_gl0_inv
	s_clause 0x7
	scratch_load_b128 v[2:5], off, off offset:560
	scratch_load_b128 v[6:9], off, off offset:576
	;; [unrolled: 1-line block ×8, first 2 shown]
	ds_load_b128 v[34:37], v1 offset:1248
	ds_load_b128 v[38:41], v1 offset:1264
	scratch_load_b128 v[42:45], off, off offset:544
	s_mov_b32 s2, exec_lo
	s_waitcnt vmcnt(8) lgkmcnt(1)
	v_mul_f64 v[176:177], v[36:37], v[4:5]
	v_mul_f64 v[4:5], v[34:35], v[4:5]
	s_waitcnt vmcnt(7) lgkmcnt(0)
	v_mul_f64 v[178:179], v[38:39], v[8:9]
	v_mul_f64 v[8:9], v[40:41], v[8:9]
	s_delay_alu instid0(VALU_DEP_4) | instskip(NEXT) | instid1(VALU_DEP_4)
	v_fma_f64 v[176:177], v[34:35], v[2:3], -v[176:177]
	v_fma_f64 v[180:181], v[36:37], v[2:3], v[4:5]
	ds_load_b128 v[2:5], v1 offset:1280
	ds_load_b128 v[34:37], v1 offset:1296
	v_fma_f64 v[40:41], v[40:41], v[6:7], v[178:179]
	v_fma_f64 v[6:7], v[38:39], v[6:7], -v[8:9]
	s_waitcnt vmcnt(6) lgkmcnt(1)
	v_mul_f64 v[182:183], v[2:3], v[12:13]
	v_mul_f64 v[12:13], v[4:5], v[12:13]
	v_add_f64 v[8:9], v[176:177], 0
	v_add_f64 v[38:39], v[180:181], 0
	s_waitcnt vmcnt(5) lgkmcnt(0)
	v_mul_f64 v[176:177], v[34:35], v[16:17]
	v_mul_f64 v[16:17], v[36:37], v[16:17]
	v_fma_f64 v[178:179], v[4:5], v[10:11], v[182:183]
	v_fma_f64 v[10:11], v[2:3], v[10:11], -v[12:13]
	v_add_f64 v[12:13], v[8:9], v[6:7]
	v_add_f64 v[38:39], v[38:39], v[40:41]
	ds_load_b128 v[2:5], v1 offset:1312
	ds_load_b128 v[6:9], v1 offset:1328
	v_fma_f64 v[36:37], v[36:37], v[14:15], v[176:177]
	v_fma_f64 v[14:15], v[34:35], v[14:15], -v[16:17]
	s_waitcnt vmcnt(4) lgkmcnt(1)
	v_mul_f64 v[40:41], v[2:3], v[20:21]
	v_mul_f64 v[20:21], v[4:5], v[20:21]
	s_waitcnt vmcnt(3) lgkmcnt(0)
	v_mul_f64 v[16:17], v[6:7], v[24:25]
	v_mul_f64 v[24:25], v[8:9], v[24:25]
	v_add_f64 v[10:11], v[12:13], v[10:11]
	v_add_f64 v[12:13], v[38:39], v[178:179]
	v_fma_f64 v[34:35], v[4:5], v[18:19], v[40:41]
	v_fma_f64 v[18:19], v[2:3], v[18:19], -v[20:21]
	v_fma_f64 v[8:9], v[8:9], v[22:23], v[16:17]
	v_fma_f64 v[6:7], v[6:7], v[22:23], -v[24:25]
	v_add_f64 v[14:15], v[10:11], v[14:15]
	v_add_f64 v[20:21], v[12:13], v[36:37]
	ds_load_b128 v[2:5], v1 offset:1344
	ds_load_b128 v[10:13], v1 offset:1360
	s_waitcnt vmcnt(2) lgkmcnt(1)
	v_mul_f64 v[36:37], v[2:3], v[28:29]
	v_mul_f64 v[28:29], v[4:5], v[28:29]
	v_add_f64 v[14:15], v[14:15], v[18:19]
	v_add_f64 v[16:17], v[20:21], v[34:35]
	s_waitcnt vmcnt(1) lgkmcnt(0)
	v_mul_f64 v[18:19], v[10:11], v[32:33]
	v_mul_f64 v[20:21], v[12:13], v[32:33]
	v_fma_f64 v[4:5], v[4:5], v[26:27], v[36:37]
	v_fma_f64 v[1:2], v[2:3], v[26:27], -v[28:29]
	v_add_f64 v[6:7], v[14:15], v[6:7]
	v_add_f64 v[8:9], v[16:17], v[8:9]
	v_fma_f64 v[12:13], v[12:13], v[30:31], v[18:19]
	v_fma_f64 v[10:11], v[10:11], v[30:31], -v[20:21]
	s_delay_alu instid0(VALU_DEP_4) | instskip(NEXT) | instid1(VALU_DEP_4)
	v_add_f64 v[1:2], v[6:7], v[1:2]
	v_add_f64 v[3:4], v[8:9], v[4:5]
	s_delay_alu instid0(VALU_DEP_2) | instskip(NEXT) | instid1(VALU_DEP_2)
	v_add_f64 v[1:2], v[1:2], v[10:11]
	v_add_f64 v[3:4], v[3:4], v[12:13]
	s_waitcnt vmcnt(0)
	s_delay_alu instid0(VALU_DEP_2) | instskip(NEXT) | instid1(VALU_DEP_2)
	v_add_f64 v[1:2], v[42:43], -v[1:2]
	v_add_f64 v[3:4], v[44:45], -v[3:4]
	scratch_store_b128 off, v[1:4], off offset:544
	v_cmpx_lt_u32_e32 33, v132
	s_cbranch_execz .LBB42_205
; %bb.204:
	scratch_load_b128 v[1:4], v164, off
	v_mov_b32_e32 v5, 0
	s_delay_alu instid0(VALU_DEP_1)
	v_mov_b32_e32 v6, v5
	v_mov_b32_e32 v7, v5
	;; [unrolled: 1-line block ×3, first 2 shown]
	scratch_store_b128 off, v[5:8], off offset:528
	s_waitcnt vmcnt(0)
	ds_store_b128 v175, v[1:4]
.LBB42_205:
	s_or_b32 exec_lo, exec_lo, s2
	s_waitcnt lgkmcnt(0)
	s_waitcnt_vscnt null, 0x0
	s_barrier
	buffer_gl0_inv
	s_clause 0x7
	scratch_load_b128 v[2:5], off, off offset:544
	scratch_load_b128 v[6:9], off, off offset:560
	;; [unrolled: 1-line block ×8, first 2 shown]
	v_mov_b32_e32 v1, 0
	s_mov_b32 s2, exec_lo
	ds_load_b128 v[34:37], v1 offset:1232
	s_clause 0x1
	scratch_load_b128 v[38:41], off, off offset:672
	scratch_load_b128 v[42:45], off, off offset:528
	ds_load_b128 v[176:179], v1 offset:1248
	s_waitcnt vmcnt(9) lgkmcnt(1)
	v_mul_f64 v[180:181], v[36:37], v[4:5]
	v_mul_f64 v[4:5], v[34:35], v[4:5]
	s_waitcnt vmcnt(8) lgkmcnt(0)
	v_mul_f64 v[182:183], v[176:177], v[8:9]
	v_mul_f64 v[8:9], v[178:179], v[8:9]
	s_delay_alu instid0(VALU_DEP_4) | instskip(NEXT) | instid1(VALU_DEP_4)
	v_fma_f64 v[180:181], v[34:35], v[2:3], -v[180:181]
	v_fma_f64 v[184:185], v[36:37], v[2:3], v[4:5]
	ds_load_b128 v[2:5], v1 offset:1264
	ds_load_b128 v[34:37], v1 offset:1280
	v_fma_f64 v[178:179], v[178:179], v[6:7], v[182:183]
	v_fma_f64 v[6:7], v[176:177], v[6:7], -v[8:9]
	s_waitcnt vmcnt(7) lgkmcnt(1)
	v_mul_f64 v[186:187], v[2:3], v[12:13]
	v_mul_f64 v[12:13], v[4:5], v[12:13]
	v_add_f64 v[8:9], v[180:181], 0
	v_add_f64 v[176:177], v[184:185], 0
	s_waitcnt vmcnt(6) lgkmcnt(0)
	v_mul_f64 v[180:181], v[34:35], v[16:17]
	v_mul_f64 v[16:17], v[36:37], v[16:17]
	v_fma_f64 v[182:183], v[4:5], v[10:11], v[186:187]
	v_fma_f64 v[10:11], v[2:3], v[10:11], -v[12:13]
	v_add_f64 v[12:13], v[8:9], v[6:7]
	v_add_f64 v[176:177], v[176:177], v[178:179]
	ds_load_b128 v[2:5], v1 offset:1296
	ds_load_b128 v[6:9], v1 offset:1312
	v_fma_f64 v[36:37], v[36:37], v[14:15], v[180:181]
	v_fma_f64 v[14:15], v[34:35], v[14:15], -v[16:17]
	s_waitcnt vmcnt(5) lgkmcnt(1)
	v_mul_f64 v[178:179], v[2:3], v[20:21]
	v_mul_f64 v[20:21], v[4:5], v[20:21]
	s_waitcnt vmcnt(4) lgkmcnt(0)
	v_mul_f64 v[16:17], v[6:7], v[24:25]
	v_mul_f64 v[24:25], v[8:9], v[24:25]
	v_add_f64 v[10:11], v[12:13], v[10:11]
	v_add_f64 v[12:13], v[176:177], v[182:183]
	v_fma_f64 v[34:35], v[4:5], v[18:19], v[178:179]
	v_fma_f64 v[18:19], v[2:3], v[18:19], -v[20:21]
	v_fma_f64 v[8:9], v[8:9], v[22:23], v[16:17]
	v_fma_f64 v[6:7], v[6:7], v[22:23], -v[24:25]
	v_add_f64 v[14:15], v[10:11], v[14:15]
	v_add_f64 v[20:21], v[12:13], v[36:37]
	ds_load_b128 v[2:5], v1 offset:1328
	ds_load_b128 v[10:13], v1 offset:1344
	s_waitcnt vmcnt(3) lgkmcnt(1)
	v_mul_f64 v[36:37], v[2:3], v[28:29]
	v_mul_f64 v[28:29], v[4:5], v[28:29]
	v_add_f64 v[14:15], v[14:15], v[18:19]
	v_add_f64 v[16:17], v[20:21], v[34:35]
	s_waitcnt vmcnt(2) lgkmcnt(0)
	v_mul_f64 v[18:19], v[10:11], v[32:33]
	v_mul_f64 v[20:21], v[12:13], v[32:33]
	v_fma_f64 v[22:23], v[4:5], v[26:27], v[36:37]
	v_fma_f64 v[24:25], v[2:3], v[26:27], -v[28:29]
	ds_load_b128 v[2:5], v1 offset:1360
	v_add_f64 v[6:7], v[14:15], v[6:7]
	v_add_f64 v[8:9], v[16:17], v[8:9]
	v_fma_f64 v[12:13], v[12:13], v[30:31], v[18:19]
	v_fma_f64 v[10:11], v[10:11], v[30:31], -v[20:21]
	s_waitcnt vmcnt(1) lgkmcnt(0)
	v_mul_f64 v[14:15], v[2:3], v[40:41]
	v_mul_f64 v[16:17], v[4:5], v[40:41]
	v_add_f64 v[6:7], v[6:7], v[24:25]
	v_add_f64 v[8:9], v[8:9], v[22:23]
	s_delay_alu instid0(VALU_DEP_4) | instskip(NEXT) | instid1(VALU_DEP_4)
	v_fma_f64 v[4:5], v[4:5], v[38:39], v[14:15]
	v_fma_f64 v[2:3], v[2:3], v[38:39], -v[16:17]
	s_delay_alu instid0(VALU_DEP_4) | instskip(NEXT) | instid1(VALU_DEP_4)
	v_add_f64 v[6:7], v[6:7], v[10:11]
	v_add_f64 v[8:9], v[8:9], v[12:13]
	s_delay_alu instid0(VALU_DEP_2) | instskip(NEXT) | instid1(VALU_DEP_2)
	v_add_f64 v[2:3], v[6:7], v[2:3]
	v_add_f64 v[4:5], v[8:9], v[4:5]
	s_waitcnt vmcnt(0)
	s_delay_alu instid0(VALU_DEP_2) | instskip(NEXT) | instid1(VALU_DEP_2)
	v_add_f64 v[2:3], v[42:43], -v[2:3]
	v_add_f64 v[4:5], v[44:45], -v[4:5]
	scratch_store_b128 off, v[2:5], off offset:528
	v_cmpx_lt_u32_e32 32, v132
	s_cbranch_execz .LBB42_207
; %bb.206:
	scratch_load_b128 v[5:8], v168, off
	v_mov_b32_e32 v2, v1
	v_mov_b32_e32 v3, v1
	;; [unrolled: 1-line block ×3, first 2 shown]
	scratch_store_b128 off, v[1:4], off offset:512
	s_waitcnt vmcnt(0)
	ds_store_b128 v175, v[5:8]
.LBB42_207:
	s_or_b32 exec_lo, exec_lo, s2
	s_waitcnt lgkmcnt(0)
	s_waitcnt_vscnt null, 0x0
	s_barrier
	buffer_gl0_inv
	s_clause 0x7
	scratch_load_b128 v[2:5], off, off offset:528
	scratch_load_b128 v[6:9], off, off offset:544
	;; [unrolled: 1-line block ×8, first 2 shown]
	ds_load_b128 v[34:37], v1 offset:1216
	ds_load_b128 v[42:45], v1 offset:1232
	s_clause 0x1
	scratch_load_b128 v[38:41], off, off offset:656
	scratch_load_b128 v[176:179], off, off offset:672
	s_mov_b32 s2, exec_lo
	s_waitcnt vmcnt(9) lgkmcnt(1)
	v_mul_f64 v[180:181], v[36:37], v[4:5]
	v_mul_f64 v[4:5], v[34:35], v[4:5]
	s_waitcnt vmcnt(8) lgkmcnt(0)
	v_mul_f64 v[182:183], v[42:43], v[8:9]
	v_mul_f64 v[8:9], v[44:45], v[8:9]
	s_delay_alu instid0(VALU_DEP_4) | instskip(NEXT) | instid1(VALU_DEP_4)
	v_fma_f64 v[34:35], v[34:35], v[2:3], -v[180:181]
	v_fma_f64 v[36:37], v[36:37], v[2:3], v[4:5]
	ds_load_b128 v[2:5], v1 offset:1248
	v_fma_f64 v[44:45], v[44:45], v[6:7], v[182:183]
	v_fma_f64 v[42:43], v[42:43], v[6:7], -v[8:9]
	ds_load_b128 v[6:9], v1 offset:1264
	s_waitcnt vmcnt(7) lgkmcnt(1)
	v_mul_f64 v[180:181], v[2:3], v[12:13]
	v_mul_f64 v[12:13], v[4:5], v[12:13]
	s_waitcnt vmcnt(6) lgkmcnt(0)
	v_mul_f64 v[182:183], v[6:7], v[16:17]
	v_mul_f64 v[16:17], v[8:9], v[16:17]
	v_add_f64 v[34:35], v[34:35], 0
	v_add_f64 v[36:37], v[36:37], 0
	v_fma_f64 v[180:181], v[4:5], v[10:11], v[180:181]
	v_fma_f64 v[184:185], v[2:3], v[10:11], -v[12:13]
	ds_load_b128 v[2:5], v1 offset:1280
	scratch_load_b128 v[10:13], off, off offset:512
	v_add_f64 v[34:35], v[34:35], v[42:43]
	v_add_f64 v[36:37], v[36:37], v[44:45]
	v_fma_f64 v[44:45], v[8:9], v[14:15], v[182:183]
	v_fma_f64 v[14:15], v[6:7], v[14:15], -v[16:17]
	ds_load_b128 v[6:9], v1 offset:1296
	s_waitcnt vmcnt(6) lgkmcnt(1)
	v_mul_f64 v[42:43], v[2:3], v[20:21]
	v_mul_f64 v[20:21], v[4:5], v[20:21]
	v_add_f64 v[16:17], v[34:35], v[184:185]
	v_add_f64 v[34:35], v[36:37], v[180:181]
	s_waitcnt vmcnt(5) lgkmcnt(0)
	v_mul_f64 v[36:37], v[6:7], v[24:25]
	v_mul_f64 v[24:25], v[8:9], v[24:25]
	v_fma_f64 v[42:43], v[4:5], v[18:19], v[42:43]
	v_fma_f64 v[18:19], v[2:3], v[18:19], -v[20:21]
	ds_load_b128 v[2:5], v1 offset:1312
	v_add_f64 v[14:15], v[16:17], v[14:15]
	v_add_f64 v[16:17], v[34:35], v[44:45]
	v_fma_f64 v[34:35], v[8:9], v[22:23], v[36:37]
	v_fma_f64 v[22:23], v[6:7], v[22:23], -v[24:25]
	ds_load_b128 v[6:9], v1 offset:1328
	s_waitcnt vmcnt(4) lgkmcnt(1)
	v_mul_f64 v[20:21], v[2:3], v[28:29]
	v_mul_f64 v[28:29], v[4:5], v[28:29]
	s_waitcnt vmcnt(3) lgkmcnt(0)
	v_mul_f64 v[24:25], v[8:9], v[32:33]
	v_add_f64 v[14:15], v[14:15], v[18:19]
	v_add_f64 v[16:17], v[16:17], v[42:43]
	v_mul_f64 v[18:19], v[6:7], v[32:33]
	v_fma_f64 v[20:21], v[4:5], v[26:27], v[20:21]
	v_fma_f64 v[26:27], v[2:3], v[26:27], -v[28:29]
	ds_load_b128 v[2:5], v1 offset:1344
	v_fma_f64 v[24:25], v[6:7], v[30:31], -v[24:25]
	v_add_f64 v[14:15], v[14:15], v[22:23]
	v_add_f64 v[16:17], v[16:17], v[34:35]
	v_fma_f64 v[18:19], v[8:9], v[30:31], v[18:19]
	ds_load_b128 v[6:9], v1 offset:1360
	s_waitcnt vmcnt(2) lgkmcnt(1)
	v_mul_f64 v[22:23], v[2:3], v[40:41]
	v_mul_f64 v[28:29], v[4:5], v[40:41]
	v_add_f64 v[14:15], v[14:15], v[26:27]
	v_add_f64 v[16:17], v[16:17], v[20:21]
	s_waitcnt vmcnt(1) lgkmcnt(0)
	v_mul_f64 v[20:21], v[6:7], v[178:179]
	v_mul_f64 v[26:27], v[8:9], v[178:179]
	v_fma_f64 v[4:5], v[4:5], v[38:39], v[22:23]
	v_fma_f64 v[1:2], v[2:3], v[38:39], -v[28:29]
	v_add_f64 v[14:15], v[14:15], v[24:25]
	v_add_f64 v[16:17], v[16:17], v[18:19]
	v_fma_f64 v[8:9], v[8:9], v[176:177], v[20:21]
	v_fma_f64 v[6:7], v[6:7], v[176:177], -v[26:27]
	s_delay_alu instid0(VALU_DEP_4) | instskip(NEXT) | instid1(VALU_DEP_4)
	v_add_f64 v[1:2], v[14:15], v[1:2]
	v_add_f64 v[3:4], v[16:17], v[4:5]
	s_delay_alu instid0(VALU_DEP_2) | instskip(NEXT) | instid1(VALU_DEP_2)
	v_add_f64 v[1:2], v[1:2], v[6:7]
	v_add_f64 v[3:4], v[3:4], v[8:9]
	s_waitcnt vmcnt(0)
	s_delay_alu instid0(VALU_DEP_2) | instskip(NEXT) | instid1(VALU_DEP_2)
	v_add_f64 v[1:2], v[10:11], -v[1:2]
	v_add_f64 v[3:4], v[12:13], -v[3:4]
	scratch_store_b128 off, v[1:4], off offset:512
	v_cmpx_lt_u32_e32 31, v132
	s_cbranch_execz .LBB42_209
; %bb.208:
	scratch_load_b128 v[1:4], v137, off
	v_mov_b32_e32 v5, 0
	s_delay_alu instid0(VALU_DEP_1)
	v_mov_b32_e32 v6, v5
	v_mov_b32_e32 v7, v5
	;; [unrolled: 1-line block ×3, first 2 shown]
	scratch_store_b128 off, v[5:8], off offset:496
	s_waitcnt vmcnt(0)
	ds_store_b128 v175, v[1:4]
.LBB42_209:
	s_or_b32 exec_lo, exec_lo, s2
	s_waitcnt lgkmcnt(0)
	s_waitcnt_vscnt null, 0x0
	s_barrier
	buffer_gl0_inv
	s_clause 0x7
	scratch_load_b128 v[2:5], off, off offset:512
	scratch_load_b128 v[6:9], off, off offset:528
	;; [unrolled: 1-line block ×8, first 2 shown]
	v_mov_b32_e32 v1, 0
	s_clause 0x1
	scratch_load_b128 v[38:41], off, off offset:640
	scratch_load_b128 v[176:179], off, off offset:656
	s_mov_b32 s2, exec_lo
	ds_load_b128 v[34:37], v1 offset:1200
	ds_load_b128 v[42:45], v1 offset:1216
	s_waitcnt vmcnt(9) lgkmcnt(1)
	v_mul_f64 v[180:181], v[36:37], v[4:5]
	v_mul_f64 v[4:5], v[34:35], v[4:5]
	s_waitcnt vmcnt(8) lgkmcnt(0)
	v_mul_f64 v[182:183], v[42:43], v[8:9]
	v_mul_f64 v[8:9], v[44:45], v[8:9]
	s_delay_alu instid0(VALU_DEP_4) | instskip(NEXT) | instid1(VALU_DEP_4)
	v_fma_f64 v[180:181], v[34:35], v[2:3], -v[180:181]
	v_fma_f64 v[184:185], v[36:37], v[2:3], v[4:5]
	ds_load_b128 v[2:5], v1 offset:1232
	scratch_load_b128 v[34:37], off, off offset:672
	v_fma_f64 v[44:45], v[44:45], v[6:7], v[182:183]
	v_fma_f64 v[42:43], v[42:43], v[6:7], -v[8:9]
	ds_load_b128 v[6:9], v1 offset:1248
	s_waitcnt vmcnt(8) lgkmcnt(1)
	v_mul_f64 v[186:187], v[2:3], v[12:13]
	v_mul_f64 v[12:13], v[4:5], v[12:13]
	v_add_f64 v[180:181], v[180:181], 0
	v_add_f64 v[182:183], v[184:185], 0
	s_waitcnt vmcnt(7) lgkmcnt(0)
	v_mul_f64 v[184:185], v[6:7], v[16:17]
	v_mul_f64 v[16:17], v[8:9], v[16:17]
	v_fma_f64 v[186:187], v[4:5], v[10:11], v[186:187]
	v_fma_f64 v[10:11], v[2:3], v[10:11], -v[12:13]
	ds_load_b128 v[2:5], v1 offset:1264
	v_add_f64 v[12:13], v[180:181], v[42:43]
	v_add_f64 v[42:43], v[182:183], v[44:45]
	v_fma_f64 v[180:181], v[8:9], v[14:15], v[184:185]
	v_fma_f64 v[14:15], v[6:7], v[14:15], -v[16:17]
	ds_load_b128 v[6:9], v1 offset:1280
	s_waitcnt vmcnt(6) lgkmcnt(1)
	v_mul_f64 v[44:45], v[2:3], v[20:21]
	v_mul_f64 v[20:21], v[4:5], v[20:21]
	s_waitcnt vmcnt(5) lgkmcnt(0)
	v_mul_f64 v[182:183], v[6:7], v[24:25]
	v_mul_f64 v[24:25], v[8:9], v[24:25]
	v_add_f64 v[16:17], v[12:13], v[10:11]
	v_add_f64 v[42:43], v[42:43], v[186:187]
	scratch_load_b128 v[10:13], off, off offset:496
	v_fma_f64 v[44:45], v[4:5], v[18:19], v[44:45]
	v_fma_f64 v[18:19], v[2:3], v[18:19], -v[20:21]
	ds_load_b128 v[2:5], v1 offset:1296
	v_add_f64 v[14:15], v[16:17], v[14:15]
	v_add_f64 v[16:17], v[42:43], v[180:181]
	v_fma_f64 v[42:43], v[8:9], v[22:23], v[182:183]
	v_fma_f64 v[22:23], v[6:7], v[22:23], -v[24:25]
	ds_load_b128 v[6:9], v1 offset:1312
	s_waitcnt vmcnt(5) lgkmcnt(1)
	v_mul_f64 v[20:21], v[2:3], v[28:29]
	v_mul_f64 v[28:29], v[4:5], v[28:29]
	s_waitcnt vmcnt(4) lgkmcnt(0)
	v_mul_f64 v[24:25], v[8:9], v[32:33]
	v_add_f64 v[14:15], v[14:15], v[18:19]
	v_add_f64 v[16:17], v[16:17], v[44:45]
	v_mul_f64 v[18:19], v[6:7], v[32:33]
	v_fma_f64 v[20:21], v[4:5], v[26:27], v[20:21]
	v_fma_f64 v[26:27], v[2:3], v[26:27], -v[28:29]
	ds_load_b128 v[2:5], v1 offset:1328
	v_fma_f64 v[24:25], v[6:7], v[30:31], -v[24:25]
	v_add_f64 v[14:15], v[14:15], v[22:23]
	v_add_f64 v[16:17], v[16:17], v[42:43]
	v_fma_f64 v[18:19], v[8:9], v[30:31], v[18:19]
	ds_load_b128 v[6:9], v1 offset:1344
	s_waitcnt vmcnt(3) lgkmcnt(1)
	v_mul_f64 v[22:23], v[2:3], v[40:41]
	v_mul_f64 v[28:29], v[4:5], v[40:41]
	v_add_f64 v[14:15], v[14:15], v[26:27]
	v_add_f64 v[16:17], v[16:17], v[20:21]
	s_waitcnt vmcnt(2) lgkmcnt(0)
	v_mul_f64 v[20:21], v[6:7], v[178:179]
	v_mul_f64 v[26:27], v[8:9], v[178:179]
	v_fma_f64 v[22:23], v[4:5], v[38:39], v[22:23]
	v_fma_f64 v[28:29], v[2:3], v[38:39], -v[28:29]
	ds_load_b128 v[2:5], v1 offset:1360
	v_add_f64 v[14:15], v[14:15], v[24:25]
	v_add_f64 v[16:17], v[16:17], v[18:19]
	v_fma_f64 v[8:9], v[8:9], v[176:177], v[20:21]
	v_fma_f64 v[6:7], v[6:7], v[176:177], -v[26:27]
	s_waitcnt vmcnt(1) lgkmcnt(0)
	v_mul_f64 v[18:19], v[2:3], v[36:37]
	v_mul_f64 v[24:25], v[4:5], v[36:37]
	v_add_f64 v[14:15], v[14:15], v[28:29]
	v_add_f64 v[16:17], v[16:17], v[22:23]
	s_delay_alu instid0(VALU_DEP_4) | instskip(NEXT) | instid1(VALU_DEP_4)
	v_fma_f64 v[4:5], v[4:5], v[34:35], v[18:19]
	v_fma_f64 v[2:3], v[2:3], v[34:35], -v[24:25]
	s_delay_alu instid0(VALU_DEP_4) | instskip(NEXT) | instid1(VALU_DEP_4)
	v_add_f64 v[6:7], v[14:15], v[6:7]
	v_add_f64 v[8:9], v[16:17], v[8:9]
	s_delay_alu instid0(VALU_DEP_2) | instskip(NEXT) | instid1(VALU_DEP_2)
	v_add_f64 v[2:3], v[6:7], v[2:3]
	v_add_f64 v[4:5], v[8:9], v[4:5]
	s_waitcnt vmcnt(0)
	s_delay_alu instid0(VALU_DEP_2) | instskip(NEXT) | instid1(VALU_DEP_2)
	v_add_f64 v[2:3], v[10:11], -v[2:3]
	v_add_f64 v[4:5], v[12:13], -v[4:5]
	scratch_store_b128 off, v[2:5], off offset:496
	v_cmpx_lt_u32_e32 30, v132
	s_cbranch_execz .LBB42_211
; %bb.210:
	scratch_load_b128 v[5:8], v138, off
	v_mov_b32_e32 v2, v1
	v_mov_b32_e32 v3, v1
	;; [unrolled: 1-line block ×3, first 2 shown]
	scratch_store_b128 off, v[1:4], off offset:480
	s_waitcnt vmcnt(0)
	ds_store_b128 v175, v[5:8]
.LBB42_211:
	s_or_b32 exec_lo, exec_lo, s2
	s_waitcnt lgkmcnt(0)
	s_waitcnt_vscnt null, 0x0
	s_barrier
	buffer_gl0_inv
	s_clause 0x7
	scratch_load_b128 v[2:5], off, off offset:496
	scratch_load_b128 v[6:9], off, off offset:512
	;; [unrolled: 1-line block ×8, first 2 shown]
	ds_load_b128 v[34:37], v1 offset:1184
	ds_load_b128 v[42:45], v1 offset:1200
	s_clause 0x1
	scratch_load_b128 v[38:41], off, off offset:624
	scratch_load_b128 v[176:179], off, off offset:640
	s_mov_b32 s2, exec_lo
	s_waitcnt vmcnt(9) lgkmcnt(1)
	v_mul_f64 v[180:181], v[36:37], v[4:5]
	v_mul_f64 v[4:5], v[34:35], v[4:5]
	s_waitcnt vmcnt(8) lgkmcnt(0)
	v_mul_f64 v[182:183], v[42:43], v[8:9]
	v_mul_f64 v[8:9], v[44:45], v[8:9]
	s_delay_alu instid0(VALU_DEP_4) | instskip(NEXT) | instid1(VALU_DEP_4)
	v_fma_f64 v[180:181], v[34:35], v[2:3], -v[180:181]
	v_fma_f64 v[184:185], v[36:37], v[2:3], v[4:5]
	scratch_load_b128 v[34:37], off, off offset:656
	ds_load_b128 v[2:5], v1 offset:1216
	v_fma_f64 v[182:183], v[44:45], v[6:7], v[182:183]
	v_fma_f64 v[188:189], v[42:43], v[6:7], -v[8:9]
	ds_load_b128 v[6:9], v1 offset:1232
	scratch_load_b128 v[42:45], off, off offset:672
	s_waitcnt vmcnt(9) lgkmcnt(1)
	v_mul_f64 v[186:187], v[2:3], v[12:13]
	v_mul_f64 v[12:13], v[4:5], v[12:13]
	s_waitcnt vmcnt(8) lgkmcnt(0)
	v_mul_f64 v[190:191], v[6:7], v[16:17]
	v_mul_f64 v[16:17], v[8:9], v[16:17]
	v_add_f64 v[180:181], v[180:181], 0
	v_add_f64 v[184:185], v[184:185], 0
	v_fma_f64 v[186:187], v[4:5], v[10:11], v[186:187]
	v_fma_f64 v[10:11], v[2:3], v[10:11], -v[12:13]
	ds_load_b128 v[2:5], v1 offset:1248
	v_add_f64 v[12:13], v[180:181], v[188:189]
	v_add_f64 v[180:181], v[184:185], v[182:183]
	v_fma_f64 v[184:185], v[8:9], v[14:15], v[190:191]
	v_fma_f64 v[14:15], v[6:7], v[14:15], -v[16:17]
	ds_load_b128 v[6:9], v1 offset:1264
	s_waitcnt vmcnt(7) lgkmcnt(1)
	v_mul_f64 v[182:183], v[2:3], v[20:21]
	v_mul_f64 v[20:21], v[4:5], v[20:21]
	s_waitcnt vmcnt(6) lgkmcnt(0)
	v_mul_f64 v[16:17], v[6:7], v[24:25]
	v_mul_f64 v[24:25], v[8:9], v[24:25]
	v_add_f64 v[10:11], v[12:13], v[10:11]
	v_add_f64 v[12:13], v[180:181], v[186:187]
	v_fma_f64 v[180:181], v[4:5], v[18:19], v[182:183]
	v_fma_f64 v[18:19], v[2:3], v[18:19], -v[20:21]
	ds_load_b128 v[2:5], v1 offset:1280
	v_fma_f64 v[16:17], v[8:9], v[22:23], v[16:17]
	v_fma_f64 v[22:23], v[6:7], v[22:23], -v[24:25]
	ds_load_b128 v[6:9], v1 offset:1296
	s_waitcnt vmcnt(5) lgkmcnt(1)
	v_mul_f64 v[182:183], v[2:3], v[28:29]
	v_mul_f64 v[28:29], v[4:5], v[28:29]
	v_add_f64 v[14:15], v[10:11], v[14:15]
	v_add_f64 v[20:21], v[12:13], v[184:185]
	scratch_load_b128 v[10:13], off, off offset:480
	s_waitcnt vmcnt(5) lgkmcnt(0)
	v_mul_f64 v[24:25], v[8:9], v[32:33]
	v_add_f64 v[14:15], v[14:15], v[18:19]
	v_add_f64 v[18:19], v[20:21], v[180:181]
	v_mul_f64 v[20:21], v[6:7], v[32:33]
	v_fma_f64 v[32:33], v[4:5], v[26:27], v[182:183]
	v_fma_f64 v[26:27], v[2:3], v[26:27], -v[28:29]
	ds_load_b128 v[2:5], v1 offset:1312
	v_fma_f64 v[24:25], v[6:7], v[30:31], -v[24:25]
	v_add_f64 v[14:15], v[14:15], v[22:23]
	v_add_f64 v[16:17], v[18:19], v[16:17]
	v_fma_f64 v[20:21], v[8:9], v[30:31], v[20:21]
	ds_load_b128 v[6:9], v1 offset:1328
	s_waitcnt vmcnt(4) lgkmcnt(1)
	v_mul_f64 v[18:19], v[2:3], v[40:41]
	v_mul_f64 v[22:23], v[4:5], v[40:41]
	s_waitcnt vmcnt(3) lgkmcnt(0)
	v_mul_f64 v[28:29], v[8:9], v[178:179]
	v_add_f64 v[14:15], v[14:15], v[26:27]
	v_add_f64 v[16:17], v[16:17], v[32:33]
	v_mul_f64 v[26:27], v[6:7], v[178:179]
	v_fma_f64 v[18:19], v[4:5], v[38:39], v[18:19]
	v_fma_f64 v[22:23], v[2:3], v[38:39], -v[22:23]
	ds_load_b128 v[2:5], v1 offset:1344
	v_fma_f64 v[28:29], v[6:7], v[176:177], -v[28:29]
	v_add_f64 v[14:15], v[14:15], v[24:25]
	v_add_f64 v[16:17], v[16:17], v[20:21]
	v_fma_f64 v[26:27], v[8:9], v[176:177], v[26:27]
	ds_load_b128 v[6:9], v1 offset:1360
	s_waitcnt vmcnt(2) lgkmcnt(1)
	v_mul_f64 v[20:21], v[2:3], v[36:37]
	v_mul_f64 v[24:25], v[4:5], v[36:37]
	v_add_f64 v[14:15], v[14:15], v[22:23]
	v_add_f64 v[16:17], v[16:17], v[18:19]
	s_waitcnt vmcnt(1) lgkmcnt(0)
	v_mul_f64 v[18:19], v[6:7], v[44:45]
	v_mul_f64 v[22:23], v[8:9], v[44:45]
	v_fma_f64 v[4:5], v[4:5], v[34:35], v[20:21]
	v_fma_f64 v[1:2], v[2:3], v[34:35], -v[24:25]
	v_add_f64 v[14:15], v[14:15], v[28:29]
	v_add_f64 v[16:17], v[16:17], v[26:27]
	v_fma_f64 v[8:9], v[8:9], v[42:43], v[18:19]
	v_fma_f64 v[6:7], v[6:7], v[42:43], -v[22:23]
	s_delay_alu instid0(VALU_DEP_4) | instskip(NEXT) | instid1(VALU_DEP_4)
	v_add_f64 v[1:2], v[14:15], v[1:2]
	v_add_f64 v[3:4], v[16:17], v[4:5]
	s_delay_alu instid0(VALU_DEP_2) | instskip(NEXT) | instid1(VALU_DEP_2)
	v_add_f64 v[1:2], v[1:2], v[6:7]
	v_add_f64 v[3:4], v[3:4], v[8:9]
	s_waitcnt vmcnt(0)
	s_delay_alu instid0(VALU_DEP_2) | instskip(NEXT) | instid1(VALU_DEP_2)
	v_add_f64 v[1:2], v[10:11], -v[1:2]
	v_add_f64 v[3:4], v[12:13], -v[3:4]
	scratch_store_b128 off, v[1:4], off offset:480
	v_cmpx_lt_u32_e32 29, v132
	s_cbranch_execz .LBB42_213
; %bb.212:
	scratch_load_b128 v[1:4], v139, off
	v_mov_b32_e32 v5, 0
	s_delay_alu instid0(VALU_DEP_1)
	v_mov_b32_e32 v6, v5
	v_mov_b32_e32 v7, v5
	;; [unrolled: 1-line block ×3, first 2 shown]
	scratch_store_b128 off, v[5:8], off offset:464
	s_waitcnt vmcnt(0)
	ds_store_b128 v175, v[1:4]
.LBB42_213:
	s_or_b32 exec_lo, exec_lo, s2
	s_waitcnt lgkmcnt(0)
	s_waitcnt_vscnt null, 0x0
	s_barrier
	buffer_gl0_inv
	s_clause 0x7
	scratch_load_b128 v[2:5], off, off offset:480
	scratch_load_b128 v[6:9], off, off offset:496
	;; [unrolled: 1-line block ×8, first 2 shown]
	v_mov_b32_e32 v1, 0
	s_mov_b32 s2, exec_lo
	ds_load_b128 v[34:37], v1 offset:1168
	s_clause 0x1
	scratch_load_b128 v[38:41], off, off offset:608
	scratch_load_b128 v[42:45], off, off offset:464
	ds_load_b128 v[176:179], v1 offset:1184
	scratch_load_b128 v[180:183], off, off offset:624
	s_waitcnt vmcnt(10) lgkmcnt(1)
	v_mul_f64 v[184:185], v[36:37], v[4:5]
	v_mul_f64 v[4:5], v[34:35], v[4:5]
	s_delay_alu instid0(VALU_DEP_2) | instskip(NEXT) | instid1(VALU_DEP_2)
	v_fma_f64 v[190:191], v[34:35], v[2:3], -v[184:185]
	v_fma_f64 v[192:193], v[36:37], v[2:3], v[4:5]
	scratch_load_b128 v[34:37], off, off offset:640
	ds_load_b128 v[2:5], v1 offset:1200
	s_waitcnt vmcnt(10) lgkmcnt(1)
	v_mul_f64 v[188:189], v[176:177], v[8:9]
	v_mul_f64 v[8:9], v[178:179], v[8:9]
	ds_load_b128 v[184:187], v1 offset:1216
	s_waitcnt vmcnt(9) lgkmcnt(1)
	v_mul_f64 v[194:195], v[2:3], v[12:13]
	v_mul_f64 v[12:13], v[4:5], v[12:13]
	v_fma_f64 v[178:179], v[178:179], v[6:7], v[188:189]
	v_fma_f64 v[176:177], v[176:177], v[6:7], -v[8:9]
	v_add_f64 v[188:189], v[190:191], 0
	v_add_f64 v[190:191], v[192:193], 0
	scratch_load_b128 v[6:9], off, off offset:656
	v_fma_f64 v[194:195], v[4:5], v[10:11], v[194:195]
	v_fma_f64 v[196:197], v[2:3], v[10:11], -v[12:13]
	scratch_load_b128 v[10:13], off, off offset:672
	ds_load_b128 v[2:5], v1 offset:1232
	s_waitcnt vmcnt(10) lgkmcnt(1)
	v_mul_f64 v[192:193], v[184:185], v[16:17]
	v_mul_f64 v[16:17], v[186:187], v[16:17]
	v_add_f64 v[188:189], v[188:189], v[176:177]
	v_add_f64 v[190:191], v[190:191], v[178:179]
	s_waitcnt vmcnt(9) lgkmcnt(0)
	v_mul_f64 v[198:199], v[2:3], v[20:21]
	v_mul_f64 v[20:21], v[4:5], v[20:21]
	ds_load_b128 v[176:179], v1 offset:1248
	v_fma_f64 v[186:187], v[186:187], v[14:15], v[192:193]
	v_fma_f64 v[14:15], v[184:185], v[14:15], -v[16:17]
	v_add_f64 v[16:17], v[188:189], v[196:197]
	v_add_f64 v[184:185], v[190:191], v[194:195]
	s_waitcnt vmcnt(8) lgkmcnt(0)
	v_mul_f64 v[188:189], v[176:177], v[24:25]
	v_mul_f64 v[24:25], v[178:179], v[24:25]
	v_fma_f64 v[190:191], v[4:5], v[18:19], v[198:199]
	v_fma_f64 v[18:19], v[2:3], v[18:19], -v[20:21]
	v_add_f64 v[20:21], v[16:17], v[14:15]
	v_add_f64 v[184:185], v[184:185], v[186:187]
	ds_load_b128 v[2:5], v1 offset:1264
	ds_load_b128 v[14:17], v1 offset:1280
	v_fma_f64 v[178:179], v[178:179], v[22:23], v[188:189]
	v_fma_f64 v[22:23], v[176:177], v[22:23], -v[24:25]
	s_waitcnt vmcnt(7) lgkmcnt(1)
	v_mul_f64 v[186:187], v[2:3], v[28:29]
	v_mul_f64 v[28:29], v[4:5], v[28:29]
	s_waitcnt vmcnt(6) lgkmcnt(0)
	v_mul_f64 v[24:25], v[14:15], v[32:33]
	v_mul_f64 v[32:33], v[16:17], v[32:33]
	v_add_f64 v[18:19], v[20:21], v[18:19]
	v_add_f64 v[20:21], v[184:185], v[190:191]
	v_fma_f64 v[176:177], v[4:5], v[26:27], v[186:187]
	v_fma_f64 v[26:27], v[2:3], v[26:27], -v[28:29]
	v_fma_f64 v[16:17], v[16:17], v[30:31], v[24:25]
	v_fma_f64 v[14:15], v[14:15], v[30:31], -v[32:33]
	v_add_f64 v[22:23], v[18:19], v[22:23]
	v_add_f64 v[28:29], v[20:21], v[178:179]
	ds_load_b128 v[2:5], v1 offset:1296
	ds_load_b128 v[18:21], v1 offset:1312
	s_waitcnt vmcnt(5) lgkmcnt(1)
	v_mul_f64 v[178:179], v[2:3], v[40:41]
	v_mul_f64 v[40:41], v[4:5], v[40:41]
	v_add_f64 v[22:23], v[22:23], v[26:27]
	v_add_f64 v[24:25], v[28:29], v[176:177]
	s_waitcnt vmcnt(3) lgkmcnt(0)
	v_mul_f64 v[26:27], v[18:19], v[182:183]
	v_mul_f64 v[28:29], v[20:21], v[182:183]
	v_fma_f64 v[30:31], v[4:5], v[38:39], v[178:179]
	v_fma_f64 v[32:33], v[2:3], v[38:39], -v[40:41]
	v_add_f64 v[22:23], v[22:23], v[14:15]
	v_add_f64 v[24:25], v[24:25], v[16:17]
	ds_load_b128 v[2:5], v1 offset:1328
	ds_load_b128 v[14:17], v1 offset:1344
	v_fma_f64 v[20:21], v[20:21], v[180:181], v[26:27]
	v_fma_f64 v[18:19], v[18:19], v[180:181], -v[28:29]
	s_waitcnt vmcnt(2) lgkmcnt(1)
	v_mul_f64 v[38:39], v[2:3], v[36:37]
	v_mul_f64 v[36:37], v[4:5], v[36:37]
	v_add_f64 v[22:23], v[22:23], v[32:33]
	v_add_f64 v[24:25], v[24:25], v[30:31]
	s_waitcnt vmcnt(1) lgkmcnt(0)
	v_mul_f64 v[26:27], v[14:15], v[8:9]
	v_mul_f64 v[8:9], v[16:17], v[8:9]
	v_fma_f64 v[28:29], v[4:5], v[34:35], v[38:39]
	v_fma_f64 v[30:31], v[2:3], v[34:35], -v[36:37]
	ds_load_b128 v[2:5], v1 offset:1360
	v_add_f64 v[18:19], v[22:23], v[18:19]
	v_add_f64 v[20:21], v[24:25], v[20:21]
	s_waitcnt vmcnt(0) lgkmcnt(0)
	v_mul_f64 v[22:23], v[2:3], v[12:13]
	v_mul_f64 v[12:13], v[4:5], v[12:13]
	v_fma_f64 v[16:17], v[16:17], v[6:7], v[26:27]
	v_fma_f64 v[6:7], v[14:15], v[6:7], -v[8:9]
	v_add_f64 v[8:9], v[18:19], v[30:31]
	v_add_f64 v[14:15], v[20:21], v[28:29]
	v_fma_f64 v[4:5], v[4:5], v[10:11], v[22:23]
	v_fma_f64 v[2:3], v[2:3], v[10:11], -v[12:13]
	s_delay_alu instid0(VALU_DEP_4) | instskip(NEXT) | instid1(VALU_DEP_4)
	v_add_f64 v[6:7], v[8:9], v[6:7]
	v_add_f64 v[8:9], v[14:15], v[16:17]
	s_delay_alu instid0(VALU_DEP_2) | instskip(NEXT) | instid1(VALU_DEP_2)
	v_add_f64 v[2:3], v[6:7], v[2:3]
	v_add_f64 v[4:5], v[8:9], v[4:5]
	s_delay_alu instid0(VALU_DEP_2) | instskip(NEXT) | instid1(VALU_DEP_2)
	v_add_f64 v[2:3], v[42:43], -v[2:3]
	v_add_f64 v[4:5], v[44:45], -v[4:5]
	scratch_store_b128 off, v[2:5], off offset:464
	v_cmpx_lt_u32_e32 28, v132
	s_cbranch_execz .LBB42_215
; %bb.214:
	scratch_load_b128 v[5:8], v141, off
	v_mov_b32_e32 v2, v1
	v_mov_b32_e32 v3, v1
	;; [unrolled: 1-line block ×3, first 2 shown]
	scratch_store_b128 off, v[1:4], off offset:448
	s_waitcnt vmcnt(0)
	ds_store_b128 v175, v[5:8]
.LBB42_215:
	s_or_b32 exec_lo, exec_lo, s2
	s_waitcnt lgkmcnt(0)
	s_waitcnt_vscnt null, 0x0
	s_barrier
	buffer_gl0_inv
	s_clause 0x8
	scratch_load_b128 v[2:5], off, off offset:464
	scratch_load_b128 v[6:9], off, off offset:480
	;; [unrolled: 1-line block ×9, first 2 shown]
	ds_load_b128 v[38:41], v1 offset:1152
	ds_load_b128 v[42:45], v1 offset:1168
	s_clause 0x1
	scratch_load_b128 v[176:179], off, off offset:448
	scratch_load_b128 v[180:183], off, off offset:608
	s_mov_b32 s2, exec_lo
	s_waitcnt vmcnt(10) lgkmcnt(1)
	v_mul_f64 v[184:185], v[40:41], v[4:5]
	v_mul_f64 v[4:5], v[38:39], v[4:5]
	s_waitcnt vmcnt(9) lgkmcnt(0)
	v_mul_f64 v[188:189], v[42:43], v[8:9]
	v_mul_f64 v[8:9], v[44:45], v[8:9]
	s_delay_alu instid0(VALU_DEP_4) | instskip(NEXT) | instid1(VALU_DEP_4)
	v_fma_f64 v[190:191], v[38:39], v[2:3], -v[184:185]
	v_fma_f64 v[192:193], v[40:41], v[2:3], v[4:5]
	ds_load_b128 v[2:5], v1 offset:1184
	ds_load_b128 v[184:187], v1 offset:1200
	scratch_load_b128 v[38:41], off, off offset:624
	v_fma_f64 v[44:45], v[44:45], v[6:7], v[188:189]
	v_fma_f64 v[42:43], v[42:43], v[6:7], -v[8:9]
	scratch_load_b128 v[6:9], off, off offset:640
	s_waitcnt vmcnt(10) lgkmcnt(1)
	v_mul_f64 v[194:195], v[2:3], v[12:13]
	v_mul_f64 v[12:13], v[4:5], v[12:13]
	v_add_f64 v[188:189], v[190:191], 0
	v_add_f64 v[190:191], v[192:193], 0
	s_waitcnt vmcnt(9) lgkmcnt(0)
	v_mul_f64 v[192:193], v[184:185], v[16:17]
	v_mul_f64 v[16:17], v[186:187], v[16:17]
	v_fma_f64 v[194:195], v[4:5], v[10:11], v[194:195]
	v_fma_f64 v[196:197], v[2:3], v[10:11], -v[12:13]
	ds_load_b128 v[2:5], v1 offset:1216
	scratch_load_b128 v[10:13], off, off offset:656
	v_add_f64 v[188:189], v[188:189], v[42:43]
	v_add_f64 v[190:191], v[190:191], v[44:45]
	ds_load_b128 v[42:45], v1 offset:1232
	v_fma_f64 v[186:187], v[186:187], v[14:15], v[192:193]
	v_fma_f64 v[184:185], v[184:185], v[14:15], -v[16:17]
	scratch_load_b128 v[14:17], off, off offset:672
	s_waitcnt vmcnt(10) lgkmcnt(1)
	v_mul_f64 v[198:199], v[2:3], v[20:21]
	v_mul_f64 v[20:21], v[4:5], v[20:21]
	s_waitcnt vmcnt(9) lgkmcnt(0)
	v_mul_f64 v[192:193], v[42:43], v[24:25]
	v_mul_f64 v[24:25], v[44:45], v[24:25]
	v_add_f64 v[188:189], v[188:189], v[196:197]
	v_add_f64 v[190:191], v[190:191], v[194:195]
	v_fma_f64 v[194:195], v[4:5], v[18:19], v[198:199]
	v_fma_f64 v[196:197], v[2:3], v[18:19], -v[20:21]
	ds_load_b128 v[2:5], v1 offset:1248
	ds_load_b128 v[18:21], v1 offset:1264
	v_fma_f64 v[44:45], v[44:45], v[22:23], v[192:193]
	v_fma_f64 v[22:23], v[42:43], v[22:23], -v[24:25]
	v_add_f64 v[184:185], v[188:189], v[184:185]
	v_add_f64 v[186:187], v[190:191], v[186:187]
	s_waitcnt vmcnt(8) lgkmcnt(1)
	v_mul_f64 v[188:189], v[2:3], v[28:29]
	v_mul_f64 v[28:29], v[4:5], v[28:29]
	s_delay_alu instid0(VALU_DEP_4) | instskip(NEXT) | instid1(VALU_DEP_4)
	v_add_f64 v[24:25], v[184:185], v[196:197]
	v_add_f64 v[42:43], v[186:187], v[194:195]
	s_waitcnt vmcnt(7) lgkmcnt(0)
	v_mul_f64 v[184:185], v[18:19], v[32:33]
	v_mul_f64 v[32:33], v[20:21], v[32:33]
	v_fma_f64 v[186:187], v[4:5], v[26:27], v[188:189]
	v_fma_f64 v[26:27], v[2:3], v[26:27], -v[28:29]
	v_add_f64 v[28:29], v[24:25], v[22:23]
	v_add_f64 v[42:43], v[42:43], v[44:45]
	ds_load_b128 v[2:5], v1 offset:1280
	ds_load_b128 v[22:25], v1 offset:1296
	v_fma_f64 v[20:21], v[20:21], v[30:31], v[184:185]
	v_fma_f64 v[18:19], v[18:19], v[30:31], -v[32:33]
	s_waitcnt vmcnt(6) lgkmcnt(1)
	v_mul_f64 v[44:45], v[2:3], v[36:37]
	v_mul_f64 v[36:37], v[4:5], v[36:37]
	s_waitcnt vmcnt(4) lgkmcnt(0)
	v_mul_f64 v[30:31], v[22:23], v[182:183]
	v_mul_f64 v[32:33], v[24:25], v[182:183]
	v_add_f64 v[26:27], v[28:29], v[26:27]
	v_add_f64 v[28:29], v[42:43], v[186:187]
	v_fma_f64 v[42:43], v[4:5], v[34:35], v[44:45]
	v_fma_f64 v[34:35], v[2:3], v[34:35], -v[36:37]
	v_fma_f64 v[24:25], v[24:25], v[180:181], v[30:31]
	v_fma_f64 v[22:23], v[22:23], v[180:181], -v[32:33]
	v_add_f64 v[26:27], v[26:27], v[18:19]
	v_add_f64 v[28:29], v[28:29], v[20:21]
	ds_load_b128 v[2:5], v1 offset:1312
	ds_load_b128 v[18:21], v1 offset:1328
	s_waitcnt vmcnt(3) lgkmcnt(1)
	v_mul_f64 v[36:37], v[2:3], v[40:41]
	v_mul_f64 v[40:41], v[4:5], v[40:41]
	s_waitcnt vmcnt(2) lgkmcnt(0)
	v_mul_f64 v[30:31], v[18:19], v[8:9]
	v_mul_f64 v[8:9], v[20:21], v[8:9]
	v_add_f64 v[26:27], v[26:27], v[34:35]
	v_add_f64 v[28:29], v[28:29], v[42:43]
	v_fma_f64 v[32:33], v[4:5], v[38:39], v[36:37]
	v_fma_f64 v[34:35], v[2:3], v[38:39], -v[40:41]
	v_fma_f64 v[20:21], v[20:21], v[6:7], v[30:31]
	v_fma_f64 v[6:7], v[18:19], v[6:7], -v[8:9]
	v_add_f64 v[26:27], v[26:27], v[22:23]
	v_add_f64 v[28:29], v[28:29], v[24:25]
	ds_load_b128 v[2:5], v1 offset:1344
	ds_load_b128 v[22:25], v1 offset:1360
	s_waitcnt vmcnt(1) lgkmcnt(1)
	v_mul_f64 v[36:37], v[2:3], v[12:13]
	v_mul_f64 v[12:13], v[4:5], v[12:13]
	v_add_f64 v[8:9], v[26:27], v[34:35]
	v_add_f64 v[18:19], v[28:29], v[32:33]
	s_waitcnt vmcnt(0) lgkmcnt(0)
	v_mul_f64 v[26:27], v[22:23], v[16:17]
	v_mul_f64 v[16:17], v[24:25], v[16:17]
	v_fma_f64 v[4:5], v[4:5], v[10:11], v[36:37]
	v_fma_f64 v[1:2], v[2:3], v[10:11], -v[12:13]
	v_add_f64 v[6:7], v[8:9], v[6:7]
	v_add_f64 v[8:9], v[18:19], v[20:21]
	v_fma_f64 v[10:11], v[24:25], v[14:15], v[26:27]
	v_fma_f64 v[12:13], v[22:23], v[14:15], -v[16:17]
	s_delay_alu instid0(VALU_DEP_4) | instskip(NEXT) | instid1(VALU_DEP_4)
	v_add_f64 v[1:2], v[6:7], v[1:2]
	v_add_f64 v[3:4], v[8:9], v[4:5]
	s_delay_alu instid0(VALU_DEP_2) | instskip(NEXT) | instid1(VALU_DEP_2)
	v_add_f64 v[1:2], v[1:2], v[12:13]
	v_add_f64 v[3:4], v[3:4], v[10:11]
	s_delay_alu instid0(VALU_DEP_2) | instskip(NEXT) | instid1(VALU_DEP_2)
	v_add_f64 v[1:2], v[176:177], -v[1:2]
	v_add_f64 v[3:4], v[178:179], -v[3:4]
	scratch_store_b128 off, v[1:4], off offset:448
	v_cmpx_lt_u32_e32 27, v132
	s_cbranch_execz .LBB42_217
; %bb.216:
	scratch_load_b128 v[1:4], v143, off
	v_mov_b32_e32 v5, 0
	s_delay_alu instid0(VALU_DEP_1)
	v_mov_b32_e32 v6, v5
	v_mov_b32_e32 v7, v5
	;; [unrolled: 1-line block ×3, first 2 shown]
	scratch_store_b128 off, v[5:8], off offset:432
	s_waitcnt vmcnt(0)
	ds_store_b128 v175, v[1:4]
.LBB42_217:
	s_or_b32 exec_lo, exec_lo, s2
	s_waitcnt lgkmcnt(0)
	s_waitcnt_vscnt null, 0x0
	s_barrier
	buffer_gl0_inv
	s_clause 0x7
	scratch_load_b128 v[2:5], off, off offset:448
	scratch_load_b128 v[6:9], off, off offset:464
	;; [unrolled: 1-line block ×8, first 2 shown]
	v_mov_b32_e32 v1, 0
	s_mov_b32 s2, exec_lo
	ds_load_b128 v[34:37], v1 offset:1136
	s_clause 0x1
	scratch_load_b128 v[38:41], off, off offset:576
	scratch_load_b128 v[42:45], off, off offset:432
	ds_load_b128 v[176:179], v1 offset:1152
	scratch_load_b128 v[180:183], off, off offset:592
	s_waitcnt vmcnt(10) lgkmcnt(1)
	v_mul_f64 v[184:185], v[36:37], v[4:5]
	v_mul_f64 v[4:5], v[34:35], v[4:5]
	s_delay_alu instid0(VALU_DEP_2) | instskip(NEXT) | instid1(VALU_DEP_2)
	v_fma_f64 v[190:191], v[34:35], v[2:3], -v[184:185]
	v_fma_f64 v[192:193], v[36:37], v[2:3], v[4:5]
	scratch_load_b128 v[34:37], off, off offset:608
	ds_load_b128 v[2:5], v1 offset:1168
	s_waitcnt vmcnt(10) lgkmcnt(1)
	v_mul_f64 v[188:189], v[176:177], v[8:9]
	v_mul_f64 v[8:9], v[178:179], v[8:9]
	ds_load_b128 v[184:187], v1 offset:1184
	s_waitcnt vmcnt(9) lgkmcnt(1)
	v_mul_f64 v[194:195], v[2:3], v[12:13]
	v_mul_f64 v[12:13], v[4:5], v[12:13]
	v_fma_f64 v[178:179], v[178:179], v[6:7], v[188:189]
	v_fma_f64 v[176:177], v[176:177], v[6:7], -v[8:9]
	v_add_f64 v[188:189], v[190:191], 0
	v_add_f64 v[190:191], v[192:193], 0
	scratch_load_b128 v[6:9], off, off offset:624
	v_fma_f64 v[194:195], v[4:5], v[10:11], v[194:195]
	v_fma_f64 v[196:197], v[2:3], v[10:11], -v[12:13]
	scratch_load_b128 v[10:13], off, off offset:640
	ds_load_b128 v[2:5], v1 offset:1200
	s_waitcnt vmcnt(10) lgkmcnt(1)
	v_mul_f64 v[192:193], v[184:185], v[16:17]
	v_mul_f64 v[16:17], v[186:187], v[16:17]
	v_add_f64 v[188:189], v[188:189], v[176:177]
	v_add_f64 v[190:191], v[190:191], v[178:179]
	s_waitcnt vmcnt(9) lgkmcnt(0)
	v_mul_f64 v[198:199], v[2:3], v[20:21]
	v_mul_f64 v[20:21], v[4:5], v[20:21]
	ds_load_b128 v[176:179], v1 offset:1216
	v_fma_f64 v[186:187], v[186:187], v[14:15], v[192:193]
	v_fma_f64 v[184:185], v[184:185], v[14:15], -v[16:17]
	scratch_load_b128 v[14:17], off, off offset:656
	v_add_f64 v[188:189], v[188:189], v[196:197]
	v_add_f64 v[190:191], v[190:191], v[194:195]
	v_fma_f64 v[194:195], v[4:5], v[18:19], v[198:199]
	v_fma_f64 v[196:197], v[2:3], v[18:19], -v[20:21]
	scratch_load_b128 v[18:21], off, off offset:672
	ds_load_b128 v[2:5], v1 offset:1232
	s_waitcnt vmcnt(10) lgkmcnt(1)
	v_mul_f64 v[192:193], v[176:177], v[24:25]
	v_mul_f64 v[24:25], v[178:179], v[24:25]
	s_waitcnt vmcnt(9) lgkmcnt(0)
	v_mul_f64 v[198:199], v[2:3], v[28:29]
	v_mul_f64 v[28:29], v[4:5], v[28:29]
	v_add_f64 v[188:189], v[188:189], v[184:185]
	v_add_f64 v[190:191], v[190:191], v[186:187]
	ds_load_b128 v[184:187], v1 offset:1248
	v_fma_f64 v[178:179], v[178:179], v[22:23], v[192:193]
	v_fma_f64 v[22:23], v[176:177], v[22:23], -v[24:25]
	v_add_f64 v[24:25], v[188:189], v[196:197]
	v_add_f64 v[176:177], v[190:191], v[194:195]
	s_waitcnt vmcnt(8) lgkmcnt(0)
	v_mul_f64 v[188:189], v[184:185], v[32:33]
	v_mul_f64 v[32:33], v[186:187], v[32:33]
	v_fma_f64 v[190:191], v[4:5], v[26:27], v[198:199]
	v_fma_f64 v[26:27], v[2:3], v[26:27], -v[28:29]
	v_add_f64 v[28:29], v[24:25], v[22:23]
	v_add_f64 v[176:177], v[176:177], v[178:179]
	ds_load_b128 v[2:5], v1 offset:1264
	ds_load_b128 v[22:25], v1 offset:1280
	v_fma_f64 v[186:187], v[186:187], v[30:31], v[188:189]
	v_fma_f64 v[30:31], v[184:185], v[30:31], -v[32:33]
	s_waitcnt vmcnt(7) lgkmcnt(1)
	v_mul_f64 v[178:179], v[2:3], v[40:41]
	v_mul_f64 v[40:41], v[4:5], v[40:41]
	s_waitcnt vmcnt(5) lgkmcnt(0)
	v_mul_f64 v[32:33], v[22:23], v[182:183]
	v_add_f64 v[26:27], v[28:29], v[26:27]
	v_add_f64 v[28:29], v[176:177], v[190:191]
	v_mul_f64 v[176:177], v[24:25], v[182:183]
	v_fma_f64 v[178:179], v[4:5], v[38:39], v[178:179]
	v_fma_f64 v[38:39], v[2:3], v[38:39], -v[40:41]
	v_fma_f64 v[24:25], v[24:25], v[180:181], v[32:33]
	v_add_f64 v[30:31], v[26:27], v[30:31]
	v_add_f64 v[40:41], v[28:29], v[186:187]
	ds_load_b128 v[2:5], v1 offset:1296
	ds_load_b128 v[26:29], v1 offset:1312
	v_fma_f64 v[22:23], v[22:23], v[180:181], -v[176:177]
	s_waitcnt vmcnt(4) lgkmcnt(1)
	v_mul_f64 v[182:183], v[2:3], v[36:37]
	v_mul_f64 v[36:37], v[4:5], v[36:37]
	v_add_f64 v[30:31], v[30:31], v[38:39]
	v_add_f64 v[32:33], v[40:41], v[178:179]
	s_waitcnt vmcnt(3) lgkmcnt(0)
	v_mul_f64 v[38:39], v[26:27], v[8:9]
	v_mul_f64 v[8:9], v[28:29], v[8:9]
	v_fma_f64 v[40:41], v[4:5], v[34:35], v[182:183]
	v_fma_f64 v[34:35], v[2:3], v[34:35], -v[36:37]
	v_add_f64 v[30:31], v[30:31], v[22:23]
	v_add_f64 v[32:33], v[32:33], v[24:25]
	ds_load_b128 v[2:5], v1 offset:1328
	ds_load_b128 v[22:25], v1 offset:1344
	v_fma_f64 v[28:29], v[28:29], v[6:7], v[38:39]
	v_fma_f64 v[6:7], v[26:27], v[6:7], -v[8:9]
	s_waitcnt vmcnt(2) lgkmcnt(1)
	v_mul_f64 v[36:37], v[2:3], v[12:13]
	v_mul_f64 v[12:13], v[4:5], v[12:13]
	v_add_f64 v[8:9], v[30:31], v[34:35]
	v_add_f64 v[26:27], v[32:33], v[40:41]
	s_waitcnt vmcnt(1) lgkmcnt(0)
	v_mul_f64 v[30:31], v[22:23], v[16:17]
	v_mul_f64 v[16:17], v[24:25], v[16:17]
	v_fma_f64 v[32:33], v[4:5], v[10:11], v[36:37]
	v_fma_f64 v[10:11], v[2:3], v[10:11], -v[12:13]
	ds_load_b128 v[2:5], v1 offset:1360
	v_add_f64 v[6:7], v[8:9], v[6:7]
	v_add_f64 v[8:9], v[26:27], v[28:29]
	v_fma_f64 v[24:25], v[24:25], v[14:15], v[30:31]
	v_fma_f64 v[14:15], v[22:23], v[14:15], -v[16:17]
	s_waitcnt vmcnt(0) lgkmcnt(0)
	v_mul_f64 v[12:13], v[2:3], v[20:21]
	v_mul_f64 v[20:21], v[4:5], v[20:21]
	v_add_f64 v[6:7], v[6:7], v[10:11]
	v_add_f64 v[8:9], v[8:9], v[32:33]
	s_delay_alu instid0(VALU_DEP_4) | instskip(NEXT) | instid1(VALU_DEP_4)
	v_fma_f64 v[4:5], v[4:5], v[18:19], v[12:13]
	v_fma_f64 v[2:3], v[2:3], v[18:19], -v[20:21]
	s_delay_alu instid0(VALU_DEP_4) | instskip(NEXT) | instid1(VALU_DEP_4)
	v_add_f64 v[6:7], v[6:7], v[14:15]
	v_add_f64 v[8:9], v[8:9], v[24:25]
	s_delay_alu instid0(VALU_DEP_2) | instskip(NEXT) | instid1(VALU_DEP_2)
	v_add_f64 v[2:3], v[6:7], v[2:3]
	v_add_f64 v[4:5], v[8:9], v[4:5]
	s_delay_alu instid0(VALU_DEP_2) | instskip(NEXT) | instid1(VALU_DEP_2)
	v_add_f64 v[2:3], v[42:43], -v[2:3]
	v_add_f64 v[4:5], v[44:45], -v[4:5]
	scratch_store_b128 off, v[2:5], off offset:432
	v_cmpx_lt_u32_e32 26, v132
	s_cbranch_execz .LBB42_219
; %bb.218:
	scratch_load_b128 v[5:8], v145, off
	v_mov_b32_e32 v2, v1
	v_mov_b32_e32 v3, v1
	v_mov_b32_e32 v4, v1
	scratch_store_b128 off, v[1:4], off offset:416
	s_waitcnt vmcnt(0)
	ds_store_b128 v175, v[5:8]
.LBB42_219:
	s_or_b32 exec_lo, exec_lo, s2
	s_waitcnt lgkmcnt(0)
	s_waitcnt_vscnt null, 0x0
	s_barrier
	buffer_gl0_inv
	s_clause 0x8
	scratch_load_b128 v[2:5], off, off offset:432
	scratch_load_b128 v[6:9], off, off offset:448
	;; [unrolled: 1-line block ×9, first 2 shown]
	ds_load_b128 v[38:41], v1 offset:1120
	ds_load_b128 v[42:45], v1 offset:1136
	s_clause 0x1
	scratch_load_b128 v[176:179], off, off offset:416
	scratch_load_b128 v[180:183], off, off offset:576
	s_mov_b32 s2, exec_lo
	s_waitcnt vmcnt(10) lgkmcnt(1)
	v_mul_f64 v[184:185], v[40:41], v[4:5]
	v_mul_f64 v[4:5], v[38:39], v[4:5]
	s_waitcnt vmcnt(9) lgkmcnt(0)
	v_mul_f64 v[188:189], v[42:43], v[8:9]
	v_mul_f64 v[8:9], v[44:45], v[8:9]
	s_delay_alu instid0(VALU_DEP_4) | instskip(NEXT) | instid1(VALU_DEP_4)
	v_fma_f64 v[190:191], v[38:39], v[2:3], -v[184:185]
	v_fma_f64 v[192:193], v[40:41], v[2:3], v[4:5]
	ds_load_b128 v[2:5], v1 offset:1152
	ds_load_b128 v[184:187], v1 offset:1168
	scratch_load_b128 v[38:41], off, off offset:592
	v_fma_f64 v[44:45], v[44:45], v[6:7], v[188:189]
	v_fma_f64 v[42:43], v[42:43], v[6:7], -v[8:9]
	scratch_load_b128 v[6:9], off, off offset:608
	s_waitcnt vmcnt(10) lgkmcnt(1)
	v_mul_f64 v[194:195], v[2:3], v[12:13]
	v_mul_f64 v[12:13], v[4:5], v[12:13]
	v_add_f64 v[188:189], v[190:191], 0
	v_add_f64 v[190:191], v[192:193], 0
	s_waitcnt vmcnt(9) lgkmcnt(0)
	v_mul_f64 v[192:193], v[184:185], v[16:17]
	v_mul_f64 v[16:17], v[186:187], v[16:17]
	v_fma_f64 v[194:195], v[4:5], v[10:11], v[194:195]
	v_fma_f64 v[196:197], v[2:3], v[10:11], -v[12:13]
	ds_load_b128 v[2:5], v1 offset:1184
	scratch_load_b128 v[10:13], off, off offset:624
	v_add_f64 v[188:189], v[188:189], v[42:43]
	v_add_f64 v[190:191], v[190:191], v[44:45]
	ds_load_b128 v[42:45], v1 offset:1200
	v_fma_f64 v[186:187], v[186:187], v[14:15], v[192:193]
	v_fma_f64 v[184:185], v[184:185], v[14:15], -v[16:17]
	scratch_load_b128 v[14:17], off, off offset:640
	s_waitcnt vmcnt(10) lgkmcnt(1)
	v_mul_f64 v[198:199], v[2:3], v[20:21]
	v_mul_f64 v[20:21], v[4:5], v[20:21]
	s_waitcnt vmcnt(9) lgkmcnt(0)
	v_mul_f64 v[192:193], v[42:43], v[24:25]
	v_mul_f64 v[24:25], v[44:45], v[24:25]
	v_add_f64 v[188:189], v[188:189], v[196:197]
	v_add_f64 v[190:191], v[190:191], v[194:195]
	v_fma_f64 v[194:195], v[4:5], v[18:19], v[198:199]
	v_fma_f64 v[196:197], v[2:3], v[18:19], -v[20:21]
	ds_load_b128 v[2:5], v1 offset:1216
	scratch_load_b128 v[18:21], off, off offset:656
	v_fma_f64 v[44:45], v[44:45], v[22:23], v[192:193]
	v_fma_f64 v[42:43], v[42:43], v[22:23], -v[24:25]
	scratch_load_b128 v[22:25], off, off offset:672
	v_add_f64 v[188:189], v[188:189], v[184:185]
	v_add_f64 v[190:191], v[190:191], v[186:187]
	ds_load_b128 v[184:187], v1 offset:1232
	s_waitcnt vmcnt(10) lgkmcnt(1)
	v_mul_f64 v[198:199], v[2:3], v[28:29]
	v_mul_f64 v[28:29], v[4:5], v[28:29]
	s_waitcnt vmcnt(9) lgkmcnt(0)
	v_mul_f64 v[192:193], v[184:185], v[32:33]
	v_mul_f64 v[32:33], v[186:187], v[32:33]
	v_add_f64 v[188:189], v[188:189], v[196:197]
	v_add_f64 v[190:191], v[190:191], v[194:195]
	v_fma_f64 v[194:195], v[4:5], v[26:27], v[198:199]
	v_fma_f64 v[196:197], v[2:3], v[26:27], -v[28:29]
	ds_load_b128 v[2:5], v1 offset:1248
	ds_load_b128 v[26:29], v1 offset:1264
	v_fma_f64 v[186:187], v[186:187], v[30:31], v[192:193]
	v_fma_f64 v[30:31], v[184:185], v[30:31], -v[32:33]
	v_add_f64 v[42:43], v[188:189], v[42:43]
	v_add_f64 v[44:45], v[190:191], v[44:45]
	s_waitcnt vmcnt(8) lgkmcnt(1)
	v_mul_f64 v[188:189], v[2:3], v[36:37]
	v_mul_f64 v[36:37], v[4:5], v[36:37]
	s_delay_alu instid0(VALU_DEP_4) | instskip(NEXT) | instid1(VALU_DEP_4)
	v_add_f64 v[32:33], v[42:43], v[196:197]
	v_add_f64 v[42:43], v[44:45], v[194:195]
	s_waitcnt vmcnt(6) lgkmcnt(0)
	v_mul_f64 v[44:45], v[26:27], v[182:183]
	v_mul_f64 v[182:183], v[28:29], v[182:183]
	v_fma_f64 v[184:185], v[4:5], v[34:35], v[188:189]
	v_fma_f64 v[34:35], v[2:3], v[34:35], -v[36:37]
	v_add_f64 v[36:37], v[32:33], v[30:31]
	v_add_f64 v[42:43], v[42:43], v[186:187]
	ds_load_b128 v[2:5], v1 offset:1280
	ds_load_b128 v[30:33], v1 offset:1296
	v_fma_f64 v[28:29], v[28:29], v[180:181], v[44:45]
	v_fma_f64 v[26:27], v[26:27], v[180:181], -v[182:183]
	s_waitcnt vmcnt(5) lgkmcnt(1)
	v_mul_f64 v[186:187], v[2:3], v[40:41]
	v_mul_f64 v[40:41], v[4:5], v[40:41]
	v_add_f64 v[34:35], v[36:37], v[34:35]
	v_add_f64 v[36:37], v[42:43], v[184:185]
	s_waitcnt vmcnt(4) lgkmcnt(0)
	v_mul_f64 v[42:43], v[30:31], v[8:9]
	v_mul_f64 v[8:9], v[32:33], v[8:9]
	v_fma_f64 v[44:45], v[4:5], v[38:39], v[186:187]
	v_fma_f64 v[38:39], v[2:3], v[38:39], -v[40:41]
	v_add_f64 v[34:35], v[34:35], v[26:27]
	v_add_f64 v[36:37], v[36:37], v[28:29]
	ds_load_b128 v[2:5], v1 offset:1312
	ds_load_b128 v[26:29], v1 offset:1328
	v_fma_f64 v[32:33], v[32:33], v[6:7], v[42:43]
	v_fma_f64 v[6:7], v[30:31], v[6:7], -v[8:9]
	s_waitcnt vmcnt(3) lgkmcnt(1)
	v_mul_f64 v[40:41], v[2:3], v[12:13]
	v_mul_f64 v[12:13], v[4:5], v[12:13]
	;; [unrolled: 16-line block ×3, first 2 shown]
	s_waitcnt vmcnt(0) lgkmcnt(0)
	v_mul_f64 v[16:17], v[6:7], v[24:25]
	v_mul_f64 v[24:25], v[8:9], v[24:25]
	v_add_f64 v[10:11], v[12:13], v[10:11]
	v_add_f64 v[12:13], v[30:31], v[36:37]
	v_fma_f64 v[4:5], v[4:5], v[18:19], v[32:33]
	v_fma_f64 v[1:2], v[2:3], v[18:19], -v[20:21]
	v_fma_f64 v[8:9], v[8:9], v[22:23], v[16:17]
	v_fma_f64 v[6:7], v[6:7], v[22:23], -v[24:25]
	v_add_f64 v[10:11], v[10:11], v[14:15]
	v_add_f64 v[12:13], v[12:13], v[28:29]
	s_delay_alu instid0(VALU_DEP_2) | instskip(NEXT) | instid1(VALU_DEP_2)
	v_add_f64 v[1:2], v[10:11], v[1:2]
	v_add_f64 v[3:4], v[12:13], v[4:5]
	s_delay_alu instid0(VALU_DEP_2) | instskip(NEXT) | instid1(VALU_DEP_2)
	;; [unrolled: 3-line block ×3, first 2 shown]
	v_add_f64 v[1:2], v[176:177], -v[1:2]
	v_add_f64 v[3:4], v[178:179], -v[3:4]
	scratch_store_b128 off, v[1:4], off offset:416
	v_cmpx_lt_u32_e32 25, v132
	s_cbranch_execz .LBB42_221
; %bb.220:
	scratch_load_b128 v[1:4], v147, off
	v_mov_b32_e32 v5, 0
	s_delay_alu instid0(VALU_DEP_1)
	v_mov_b32_e32 v6, v5
	v_mov_b32_e32 v7, v5
	;; [unrolled: 1-line block ×3, first 2 shown]
	scratch_store_b128 off, v[5:8], off offset:400
	s_waitcnt vmcnt(0)
	ds_store_b128 v175, v[1:4]
.LBB42_221:
	s_or_b32 exec_lo, exec_lo, s2
	s_waitcnt lgkmcnt(0)
	s_waitcnt_vscnt null, 0x0
	s_barrier
	buffer_gl0_inv
	s_clause 0x7
	scratch_load_b128 v[2:5], off, off offset:416
	scratch_load_b128 v[6:9], off, off offset:432
	;; [unrolled: 1-line block ×8, first 2 shown]
	v_mov_b32_e32 v1, 0
	s_mov_b32 s2, exec_lo
	ds_load_b128 v[34:37], v1 offset:1104
	s_clause 0x1
	scratch_load_b128 v[38:41], off, off offset:544
	scratch_load_b128 v[42:45], off, off offset:400
	ds_load_b128 v[176:179], v1 offset:1120
	scratch_load_b128 v[180:183], off, off offset:560
	s_waitcnt vmcnt(10) lgkmcnt(1)
	v_mul_f64 v[184:185], v[36:37], v[4:5]
	v_mul_f64 v[4:5], v[34:35], v[4:5]
	s_delay_alu instid0(VALU_DEP_2) | instskip(NEXT) | instid1(VALU_DEP_2)
	v_fma_f64 v[190:191], v[34:35], v[2:3], -v[184:185]
	v_fma_f64 v[192:193], v[36:37], v[2:3], v[4:5]
	scratch_load_b128 v[34:37], off, off offset:576
	ds_load_b128 v[2:5], v1 offset:1136
	s_waitcnt vmcnt(10) lgkmcnt(1)
	v_mul_f64 v[188:189], v[176:177], v[8:9]
	v_mul_f64 v[8:9], v[178:179], v[8:9]
	ds_load_b128 v[184:187], v1 offset:1152
	s_waitcnt vmcnt(9) lgkmcnt(1)
	v_mul_f64 v[194:195], v[2:3], v[12:13]
	v_mul_f64 v[12:13], v[4:5], v[12:13]
	v_fma_f64 v[178:179], v[178:179], v[6:7], v[188:189]
	v_fma_f64 v[176:177], v[176:177], v[6:7], -v[8:9]
	v_add_f64 v[188:189], v[190:191], 0
	v_add_f64 v[190:191], v[192:193], 0
	scratch_load_b128 v[6:9], off, off offset:592
	v_fma_f64 v[194:195], v[4:5], v[10:11], v[194:195]
	v_fma_f64 v[196:197], v[2:3], v[10:11], -v[12:13]
	scratch_load_b128 v[10:13], off, off offset:608
	ds_load_b128 v[2:5], v1 offset:1168
	s_waitcnt vmcnt(10) lgkmcnt(1)
	v_mul_f64 v[192:193], v[184:185], v[16:17]
	v_mul_f64 v[16:17], v[186:187], v[16:17]
	v_add_f64 v[188:189], v[188:189], v[176:177]
	v_add_f64 v[190:191], v[190:191], v[178:179]
	s_waitcnt vmcnt(9) lgkmcnt(0)
	v_mul_f64 v[198:199], v[2:3], v[20:21]
	v_mul_f64 v[20:21], v[4:5], v[20:21]
	ds_load_b128 v[176:179], v1 offset:1184
	v_fma_f64 v[186:187], v[186:187], v[14:15], v[192:193]
	v_fma_f64 v[184:185], v[184:185], v[14:15], -v[16:17]
	scratch_load_b128 v[14:17], off, off offset:624
	v_add_f64 v[188:189], v[188:189], v[196:197]
	v_add_f64 v[190:191], v[190:191], v[194:195]
	v_fma_f64 v[194:195], v[4:5], v[18:19], v[198:199]
	v_fma_f64 v[196:197], v[2:3], v[18:19], -v[20:21]
	scratch_load_b128 v[18:21], off, off offset:640
	ds_load_b128 v[2:5], v1 offset:1200
	s_waitcnt vmcnt(10) lgkmcnt(1)
	v_mul_f64 v[192:193], v[176:177], v[24:25]
	v_mul_f64 v[24:25], v[178:179], v[24:25]
	s_waitcnt vmcnt(9) lgkmcnt(0)
	v_mul_f64 v[198:199], v[2:3], v[28:29]
	v_mul_f64 v[28:29], v[4:5], v[28:29]
	v_add_f64 v[188:189], v[188:189], v[184:185]
	v_add_f64 v[190:191], v[190:191], v[186:187]
	ds_load_b128 v[184:187], v1 offset:1216
	v_fma_f64 v[178:179], v[178:179], v[22:23], v[192:193]
	v_fma_f64 v[176:177], v[176:177], v[22:23], -v[24:25]
	scratch_load_b128 v[22:25], off, off offset:656
	v_add_f64 v[188:189], v[188:189], v[196:197]
	v_add_f64 v[190:191], v[190:191], v[194:195]
	v_fma_f64 v[194:195], v[4:5], v[26:27], v[198:199]
	v_fma_f64 v[196:197], v[2:3], v[26:27], -v[28:29]
	scratch_load_b128 v[26:29], off, off offset:672
	ds_load_b128 v[2:5], v1 offset:1232
	s_waitcnt vmcnt(10) lgkmcnt(1)
	v_mul_f64 v[192:193], v[184:185], v[32:33]
	v_mul_f64 v[32:33], v[186:187], v[32:33]
	s_waitcnt vmcnt(9) lgkmcnt(0)
	v_mul_f64 v[198:199], v[2:3], v[40:41]
	v_mul_f64 v[40:41], v[4:5], v[40:41]
	v_add_f64 v[188:189], v[188:189], v[176:177]
	v_add_f64 v[190:191], v[190:191], v[178:179]
	ds_load_b128 v[176:179], v1 offset:1248
	v_fma_f64 v[186:187], v[186:187], v[30:31], v[192:193]
	v_fma_f64 v[30:31], v[184:185], v[30:31], -v[32:33]
	v_add_f64 v[32:33], v[188:189], v[196:197]
	v_add_f64 v[184:185], v[190:191], v[194:195]
	s_waitcnt vmcnt(7) lgkmcnt(0)
	v_mul_f64 v[188:189], v[176:177], v[182:183]
	v_mul_f64 v[182:183], v[178:179], v[182:183]
	v_fma_f64 v[190:191], v[4:5], v[38:39], v[198:199]
	v_fma_f64 v[38:39], v[2:3], v[38:39], -v[40:41]
	v_add_f64 v[40:41], v[32:33], v[30:31]
	v_add_f64 v[184:185], v[184:185], v[186:187]
	ds_load_b128 v[2:5], v1 offset:1264
	ds_load_b128 v[30:33], v1 offset:1280
	v_fma_f64 v[178:179], v[178:179], v[180:181], v[188:189]
	v_fma_f64 v[176:177], v[176:177], v[180:181], -v[182:183]
	s_waitcnt vmcnt(6) lgkmcnt(1)
	v_mul_f64 v[186:187], v[2:3], v[36:37]
	v_mul_f64 v[36:37], v[4:5], v[36:37]
	v_add_f64 v[38:39], v[40:41], v[38:39]
	v_add_f64 v[40:41], v[184:185], v[190:191]
	s_waitcnt vmcnt(5) lgkmcnt(0)
	v_mul_f64 v[180:181], v[30:31], v[8:9]
	v_mul_f64 v[8:9], v[32:33], v[8:9]
	v_fma_f64 v[182:183], v[4:5], v[34:35], v[186:187]
	v_fma_f64 v[184:185], v[2:3], v[34:35], -v[36:37]
	ds_load_b128 v[2:5], v1 offset:1296
	ds_load_b128 v[34:37], v1 offset:1312
	v_add_f64 v[38:39], v[38:39], v[176:177]
	v_add_f64 v[40:41], v[40:41], v[178:179]
	s_waitcnt vmcnt(4) lgkmcnt(1)
	v_mul_f64 v[176:177], v[2:3], v[12:13]
	v_mul_f64 v[12:13], v[4:5], v[12:13]
	v_fma_f64 v[32:33], v[32:33], v[6:7], v[180:181]
	v_fma_f64 v[6:7], v[30:31], v[6:7], -v[8:9]
	v_add_f64 v[8:9], v[38:39], v[184:185]
	v_add_f64 v[30:31], v[40:41], v[182:183]
	s_waitcnt vmcnt(3) lgkmcnt(0)
	v_mul_f64 v[38:39], v[34:35], v[16:17]
	v_mul_f64 v[16:17], v[36:37], v[16:17]
	v_fma_f64 v[40:41], v[4:5], v[10:11], v[176:177]
	v_fma_f64 v[10:11], v[2:3], v[10:11], -v[12:13]
	v_add_f64 v[12:13], v[8:9], v[6:7]
	v_add_f64 v[30:31], v[30:31], v[32:33]
	ds_load_b128 v[2:5], v1 offset:1328
	ds_load_b128 v[6:9], v1 offset:1344
	v_fma_f64 v[36:37], v[36:37], v[14:15], v[38:39]
	v_fma_f64 v[14:15], v[34:35], v[14:15], -v[16:17]
	s_waitcnt vmcnt(2) lgkmcnt(1)
	v_mul_f64 v[32:33], v[2:3], v[20:21]
	v_mul_f64 v[20:21], v[4:5], v[20:21]
	s_waitcnt vmcnt(1) lgkmcnt(0)
	v_mul_f64 v[16:17], v[6:7], v[24:25]
	v_mul_f64 v[24:25], v[8:9], v[24:25]
	v_add_f64 v[10:11], v[12:13], v[10:11]
	v_add_f64 v[12:13], v[30:31], v[40:41]
	v_fma_f64 v[30:31], v[4:5], v[18:19], v[32:33]
	v_fma_f64 v[18:19], v[2:3], v[18:19], -v[20:21]
	ds_load_b128 v[2:5], v1 offset:1360
	v_fma_f64 v[8:9], v[8:9], v[22:23], v[16:17]
	v_fma_f64 v[6:7], v[6:7], v[22:23], -v[24:25]
	v_add_f64 v[10:11], v[10:11], v[14:15]
	v_add_f64 v[12:13], v[12:13], v[36:37]
	s_waitcnt vmcnt(0) lgkmcnt(0)
	v_mul_f64 v[14:15], v[2:3], v[28:29]
	v_mul_f64 v[20:21], v[4:5], v[28:29]
	s_delay_alu instid0(VALU_DEP_4) | instskip(NEXT) | instid1(VALU_DEP_4)
	v_add_f64 v[10:11], v[10:11], v[18:19]
	v_add_f64 v[12:13], v[12:13], v[30:31]
	s_delay_alu instid0(VALU_DEP_4) | instskip(NEXT) | instid1(VALU_DEP_4)
	v_fma_f64 v[4:5], v[4:5], v[26:27], v[14:15]
	v_fma_f64 v[2:3], v[2:3], v[26:27], -v[20:21]
	s_delay_alu instid0(VALU_DEP_4) | instskip(NEXT) | instid1(VALU_DEP_4)
	v_add_f64 v[6:7], v[10:11], v[6:7]
	v_add_f64 v[8:9], v[12:13], v[8:9]
	s_delay_alu instid0(VALU_DEP_2) | instskip(NEXT) | instid1(VALU_DEP_2)
	v_add_f64 v[2:3], v[6:7], v[2:3]
	v_add_f64 v[4:5], v[8:9], v[4:5]
	s_delay_alu instid0(VALU_DEP_2) | instskip(NEXT) | instid1(VALU_DEP_2)
	v_add_f64 v[2:3], v[42:43], -v[2:3]
	v_add_f64 v[4:5], v[44:45], -v[4:5]
	scratch_store_b128 off, v[2:5], off offset:400
	v_cmpx_lt_u32_e32 24, v132
	s_cbranch_execz .LBB42_223
; %bb.222:
	scratch_load_b128 v[5:8], v148, off
	v_mov_b32_e32 v2, v1
	v_mov_b32_e32 v3, v1
	v_mov_b32_e32 v4, v1
	scratch_store_b128 off, v[1:4], off offset:384
	s_waitcnt vmcnt(0)
	ds_store_b128 v175, v[5:8]
.LBB42_223:
	s_or_b32 exec_lo, exec_lo, s2
	s_waitcnt lgkmcnt(0)
	s_waitcnt_vscnt null, 0x0
	s_barrier
	buffer_gl0_inv
	s_clause 0x8
	scratch_load_b128 v[2:5], off, off offset:400
	scratch_load_b128 v[6:9], off, off offset:416
	scratch_load_b128 v[10:13], off, off offset:432
	scratch_load_b128 v[14:17], off, off offset:448
	scratch_load_b128 v[18:21], off, off offset:464
	scratch_load_b128 v[22:25], off, off offset:480
	scratch_load_b128 v[26:29], off, off offset:496
	scratch_load_b128 v[30:33], off, off offset:512
	scratch_load_b128 v[34:37], off, off offset:528
	ds_load_b128 v[38:41], v1 offset:1088
	ds_load_b128 v[42:45], v1 offset:1104
	s_clause 0x1
	scratch_load_b128 v[176:179], off, off offset:384
	scratch_load_b128 v[180:183], off, off offset:544
	s_mov_b32 s2, exec_lo
	s_waitcnt vmcnt(10) lgkmcnt(1)
	v_mul_f64 v[184:185], v[40:41], v[4:5]
	v_mul_f64 v[4:5], v[38:39], v[4:5]
	s_waitcnt vmcnt(9) lgkmcnt(0)
	v_mul_f64 v[188:189], v[42:43], v[8:9]
	v_mul_f64 v[8:9], v[44:45], v[8:9]
	s_delay_alu instid0(VALU_DEP_4) | instskip(NEXT) | instid1(VALU_DEP_4)
	v_fma_f64 v[190:191], v[38:39], v[2:3], -v[184:185]
	v_fma_f64 v[192:193], v[40:41], v[2:3], v[4:5]
	ds_load_b128 v[2:5], v1 offset:1120
	ds_load_b128 v[184:187], v1 offset:1136
	scratch_load_b128 v[38:41], off, off offset:560
	v_fma_f64 v[44:45], v[44:45], v[6:7], v[188:189]
	v_fma_f64 v[42:43], v[42:43], v[6:7], -v[8:9]
	scratch_load_b128 v[6:9], off, off offset:576
	s_waitcnt vmcnt(10) lgkmcnt(1)
	v_mul_f64 v[194:195], v[2:3], v[12:13]
	v_mul_f64 v[12:13], v[4:5], v[12:13]
	v_add_f64 v[188:189], v[190:191], 0
	v_add_f64 v[190:191], v[192:193], 0
	s_waitcnt vmcnt(9) lgkmcnt(0)
	v_mul_f64 v[192:193], v[184:185], v[16:17]
	v_mul_f64 v[16:17], v[186:187], v[16:17]
	v_fma_f64 v[194:195], v[4:5], v[10:11], v[194:195]
	v_fma_f64 v[196:197], v[2:3], v[10:11], -v[12:13]
	ds_load_b128 v[2:5], v1 offset:1152
	scratch_load_b128 v[10:13], off, off offset:592
	v_add_f64 v[188:189], v[188:189], v[42:43]
	v_add_f64 v[190:191], v[190:191], v[44:45]
	ds_load_b128 v[42:45], v1 offset:1168
	v_fma_f64 v[186:187], v[186:187], v[14:15], v[192:193]
	v_fma_f64 v[184:185], v[184:185], v[14:15], -v[16:17]
	scratch_load_b128 v[14:17], off, off offset:608
	s_waitcnt vmcnt(10) lgkmcnt(1)
	v_mul_f64 v[198:199], v[2:3], v[20:21]
	v_mul_f64 v[20:21], v[4:5], v[20:21]
	s_waitcnt vmcnt(9) lgkmcnt(0)
	v_mul_f64 v[192:193], v[42:43], v[24:25]
	v_mul_f64 v[24:25], v[44:45], v[24:25]
	v_add_f64 v[188:189], v[188:189], v[196:197]
	v_add_f64 v[190:191], v[190:191], v[194:195]
	v_fma_f64 v[194:195], v[4:5], v[18:19], v[198:199]
	v_fma_f64 v[196:197], v[2:3], v[18:19], -v[20:21]
	ds_load_b128 v[2:5], v1 offset:1184
	scratch_load_b128 v[18:21], off, off offset:624
	v_fma_f64 v[44:45], v[44:45], v[22:23], v[192:193]
	v_fma_f64 v[42:43], v[42:43], v[22:23], -v[24:25]
	scratch_load_b128 v[22:25], off, off offset:640
	v_add_f64 v[188:189], v[188:189], v[184:185]
	v_add_f64 v[190:191], v[190:191], v[186:187]
	ds_load_b128 v[184:187], v1 offset:1200
	s_waitcnt vmcnt(10) lgkmcnt(1)
	v_mul_f64 v[198:199], v[2:3], v[28:29]
	v_mul_f64 v[28:29], v[4:5], v[28:29]
	s_waitcnt vmcnt(9) lgkmcnt(0)
	v_mul_f64 v[192:193], v[184:185], v[32:33]
	v_mul_f64 v[32:33], v[186:187], v[32:33]
	v_add_f64 v[188:189], v[188:189], v[196:197]
	v_add_f64 v[190:191], v[190:191], v[194:195]
	v_fma_f64 v[194:195], v[4:5], v[26:27], v[198:199]
	v_fma_f64 v[196:197], v[2:3], v[26:27], -v[28:29]
	ds_load_b128 v[2:5], v1 offset:1216
	scratch_load_b128 v[26:29], off, off offset:656
	v_fma_f64 v[186:187], v[186:187], v[30:31], v[192:193]
	v_fma_f64 v[184:185], v[184:185], v[30:31], -v[32:33]
	scratch_load_b128 v[30:33], off, off offset:672
	v_add_f64 v[188:189], v[188:189], v[42:43]
	v_add_f64 v[190:191], v[190:191], v[44:45]
	ds_load_b128 v[42:45], v1 offset:1232
	s_waitcnt vmcnt(10) lgkmcnt(1)
	v_mul_f64 v[198:199], v[2:3], v[36:37]
	v_mul_f64 v[36:37], v[4:5], v[36:37]
	s_waitcnt vmcnt(8) lgkmcnt(0)
	v_mul_f64 v[192:193], v[42:43], v[182:183]
	v_mul_f64 v[182:183], v[44:45], v[182:183]
	v_add_f64 v[188:189], v[188:189], v[196:197]
	v_add_f64 v[190:191], v[190:191], v[194:195]
	v_fma_f64 v[194:195], v[4:5], v[34:35], v[198:199]
	v_fma_f64 v[196:197], v[2:3], v[34:35], -v[36:37]
	ds_load_b128 v[2:5], v1 offset:1248
	ds_load_b128 v[34:37], v1 offset:1264
	v_fma_f64 v[44:45], v[44:45], v[180:181], v[192:193]
	v_fma_f64 v[42:43], v[42:43], v[180:181], -v[182:183]
	v_add_f64 v[184:185], v[188:189], v[184:185]
	v_add_f64 v[186:187], v[190:191], v[186:187]
	s_waitcnt vmcnt(7) lgkmcnt(1)
	v_mul_f64 v[188:189], v[2:3], v[40:41]
	v_mul_f64 v[40:41], v[4:5], v[40:41]
	s_delay_alu instid0(VALU_DEP_4) | instskip(NEXT) | instid1(VALU_DEP_4)
	v_add_f64 v[180:181], v[184:185], v[196:197]
	v_add_f64 v[182:183], v[186:187], v[194:195]
	s_waitcnt vmcnt(6) lgkmcnt(0)
	v_mul_f64 v[184:185], v[34:35], v[8:9]
	v_mul_f64 v[8:9], v[36:37], v[8:9]
	v_fma_f64 v[186:187], v[4:5], v[38:39], v[188:189]
	v_fma_f64 v[188:189], v[2:3], v[38:39], -v[40:41]
	ds_load_b128 v[2:5], v1 offset:1280
	ds_load_b128 v[38:41], v1 offset:1296
	v_add_f64 v[42:43], v[180:181], v[42:43]
	v_add_f64 v[44:45], v[182:183], v[44:45]
	v_fma_f64 v[36:37], v[36:37], v[6:7], v[184:185]
	s_waitcnt vmcnt(5) lgkmcnt(1)
	v_mul_f64 v[180:181], v[2:3], v[12:13]
	v_mul_f64 v[12:13], v[4:5], v[12:13]
	v_fma_f64 v[6:7], v[34:35], v[6:7], -v[8:9]
	v_add_f64 v[8:9], v[42:43], v[188:189]
	v_add_f64 v[34:35], v[44:45], v[186:187]
	s_waitcnt vmcnt(4) lgkmcnt(0)
	v_mul_f64 v[42:43], v[38:39], v[16:17]
	v_mul_f64 v[16:17], v[40:41], v[16:17]
	v_fma_f64 v[44:45], v[4:5], v[10:11], v[180:181]
	v_fma_f64 v[10:11], v[2:3], v[10:11], -v[12:13]
	v_add_f64 v[12:13], v[8:9], v[6:7]
	v_add_f64 v[34:35], v[34:35], v[36:37]
	ds_load_b128 v[2:5], v1 offset:1312
	ds_load_b128 v[6:9], v1 offset:1328
	v_fma_f64 v[40:41], v[40:41], v[14:15], v[42:43]
	v_fma_f64 v[14:15], v[38:39], v[14:15], -v[16:17]
	s_waitcnt vmcnt(3) lgkmcnt(1)
	v_mul_f64 v[36:37], v[2:3], v[20:21]
	v_mul_f64 v[20:21], v[4:5], v[20:21]
	s_waitcnt vmcnt(2) lgkmcnt(0)
	v_mul_f64 v[16:17], v[6:7], v[24:25]
	v_mul_f64 v[24:25], v[8:9], v[24:25]
	v_add_f64 v[10:11], v[12:13], v[10:11]
	v_add_f64 v[12:13], v[34:35], v[44:45]
	v_fma_f64 v[34:35], v[4:5], v[18:19], v[36:37]
	v_fma_f64 v[18:19], v[2:3], v[18:19], -v[20:21]
	v_fma_f64 v[8:9], v[8:9], v[22:23], v[16:17]
	v_fma_f64 v[6:7], v[6:7], v[22:23], -v[24:25]
	v_add_f64 v[14:15], v[10:11], v[14:15]
	v_add_f64 v[20:21], v[12:13], v[40:41]
	ds_load_b128 v[2:5], v1 offset:1344
	ds_load_b128 v[10:13], v1 offset:1360
	s_waitcnt vmcnt(1) lgkmcnt(1)
	v_mul_f64 v[36:37], v[2:3], v[28:29]
	v_mul_f64 v[28:29], v[4:5], v[28:29]
	v_add_f64 v[14:15], v[14:15], v[18:19]
	v_add_f64 v[16:17], v[20:21], v[34:35]
	s_waitcnt vmcnt(0) lgkmcnt(0)
	v_mul_f64 v[18:19], v[10:11], v[32:33]
	v_mul_f64 v[20:21], v[12:13], v[32:33]
	v_fma_f64 v[4:5], v[4:5], v[26:27], v[36:37]
	v_fma_f64 v[1:2], v[2:3], v[26:27], -v[28:29]
	v_add_f64 v[6:7], v[14:15], v[6:7]
	v_add_f64 v[8:9], v[16:17], v[8:9]
	v_fma_f64 v[12:13], v[12:13], v[30:31], v[18:19]
	v_fma_f64 v[10:11], v[10:11], v[30:31], -v[20:21]
	s_delay_alu instid0(VALU_DEP_4) | instskip(NEXT) | instid1(VALU_DEP_4)
	v_add_f64 v[1:2], v[6:7], v[1:2]
	v_add_f64 v[3:4], v[8:9], v[4:5]
	s_delay_alu instid0(VALU_DEP_2) | instskip(NEXT) | instid1(VALU_DEP_2)
	v_add_f64 v[1:2], v[1:2], v[10:11]
	v_add_f64 v[3:4], v[3:4], v[12:13]
	s_delay_alu instid0(VALU_DEP_2) | instskip(NEXT) | instid1(VALU_DEP_2)
	v_add_f64 v[1:2], v[176:177], -v[1:2]
	v_add_f64 v[3:4], v[178:179], -v[3:4]
	scratch_store_b128 off, v[1:4], off offset:384
	v_cmpx_lt_u32_e32 23, v132
	s_cbranch_execz .LBB42_225
; %bb.224:
	scratch_load_b128 v[1:4], v149, off
	v_mov_b32_e32 v5, 0
	s_delay_alu instid0(VALU_DEP_1)
	v_mov_b32_e32 v6, v5
	v_mov_b32_e32 v7, v5
	;; [unrolled: 1-line block ×3, first 2 shown]
	scratch_store_b128 off, v[5:8], off offset:368
	s_waitcnt vmcnt(0)
	ds_store_b128 v175, v[1:4]
.LBB42_225:
	s_or_b32 exec_lo, exec_lo, s2
	s_waitcnt lgkmcnt(0)
	s_waitcnt_vscnt null, 0x0
	s_barrier
	buffer_gl0_inv
	s_clause 0x7
	scratch_load_b128 v[2:5], off, off offset:384
	scratch_load_b128 v[6:9], off, off offset:400
	;; [unrolled: 1-line block ×8, first 2 shown]
	v_mov_b32_e32 v1, 0
	s_mov_b32 s2, exec_lo
	ds_load_b128 v[34:37], v1 offset:1072
	s_clause 0x1
	scratch_load_b128 v[38:41], off, off offset:512
	scratch_load_b128 v[42:45], off, off offset:368
	ds_load_b128 v[176:179], v1 offset:1088
	scratch_load_b128 v[180:183], off, off offset:528
	s_waitcnt vmcnt(10) lgkmcnt(1)
	v_mul_f64 v[184:185], v[36:37], v[4:5]
	v_mul_f64 v[4:5], v[34:35], v[4:5]
	s_delay_alu instid0(VALU_DEP_2) | instskip(NEXT) | instid1(VALU_DEP_2)
	v_fma_f64 v[190:191], v[34:35], v[2:3], -v[184:185]
	v_fma_f64 v[192:193], v[36:37], v[2:3], v[4:5]
	scratch_load_b128 v[34:37], off, off offset:544
	ds_load_b128 v[2:5], v1 offset:1104
	s_waitcnt vmcnt(10) lgkmcnt(1)
	v_mul_f64 v[188:189], v[176:177], v[8:9]
	v_mul_f64 v[8:9], v[178:179], v[8:9]
	ds_load_b128 v[184:187], v1 offset:1120
	s_waitcnt vmcnt(9) lgkmcnt(1)
	v_mul_f64 v[194:195], v[2:3], v[12:13]
	v_mul_f64 v[12:13], v[4:5], v[12:13]
	v_fma_f64 v[178:179], v[178:179], v[6:7], v[188:189]
	v_fma_f64 v[176:177], v[176:177], v[6:7], -v[8:9]
	v_add_f64 v[188:189], v[190:191], 0
	v_add_f64 v[190:191], v[192:193], 0
	scratch_load_b128 v[6:9], off, off offset:560
	v_fma_f64 v[194:195], v[4:5], v[10:11], v[194:195]
	v_fma_f64 v[196:197], v[2:3], v[10:11], -v[12:13]
	scratch_load_b128 v[10:13], off, off offset:576
	ds_load_b128 v[2:5], v1 offset:1136
	s_waitcnt vmcnt(10) lgkmcnt(1)
	v_mul_f64 v[192:193], v[184:185], v[16:17]
	v_mul_f64 v[16:17], v[186:187], v[16:17]
	v_add_f64 v[188:189], v[188:189], v[176:177]
	v_add_f64 v[190:191], v[190:191], v[178:179]
	s_waitcnt vmcnt(9) lgkmcnt(0)
	v_mul_f64 v[198:199], v[2:3], v[20:21]
	v_mul_f64 v[20:21], v[4:5], v[20:21]
	ds_load_b128 v[176:179], v1 offset:1152
	v_fma_f64 v[186:187], v[186:187], v[14:15], v[192:193]
	v_fma_f64 v[184:185], v[184:185], v[14:15], -v[16:17]
	scratch_load_b128 v[14:17], off, off offset:592
	v_add_f64 v[188:189], v[188:189], v[196:197]
	v_add_f64 v[190:191], v[190:191], v[194:195]
	v_fma_f64 v[194:195], v[4:5], v[18:19], v[198:199]
	v_fma_f64 v[196:197], v[2:3], v[18:19], -v[20:21]
	scratch_load_b128 v[18:21], off, off offset:608
	ds_load_b128 v[2:5], v1 offset:1168
	s_waitcnt vmcnt(10) lgkmcnt(1)
	v_mul_f64 v[192:193], v[176:177], v[24:25]
	v_mul_f64 v[24:25], v[178:179], v[24:25]
	s_waitcnt vmcnt(9) lgkmcnt(0)
	v_mul_f64 v[198:199], v[2:3], v[28:29]
	v_mul_f64 v[28:29], v[4:5], v[28:29]
	v_add_f64 v[188:189], v[188:189], v[184:185]
	v_add_f64 v[190:191], v[190:191], v[186:187]
	ds_load_b128 v[184:187], v1 offset:1184
	v_fma_f64 v[178:179], v[178:179], v[22:23], v[192:193]
	v_fma_f64 v[176:177], v[176:177], v[22:23], -v[24:25]
	scratch_load_b128 v[22:25], off, off offset:624
	v_add_f64 v[188:189], v[188:189], v[196:197]
	v_add_f64 v[190:191], v[190:191], v[194:195]
	v_fma_f64 v[194:195], v[4:5], v[26:27], v[198:199]
	v_fma_f64 v[196:197], v[2:3], v[26:27], -v[28:29]
	scratch_load_b128 v[26:29], off, off offset:640
	ds_load_b128 v[2:5], v1 offset:1200
	s_waitcnt vmcnt(10) lgkmcnt(1)
	v_mul_f64 v[192:193], v[184:185], v[32:33]
	v_mul_f64 v[32:33], v[186:187], v[32:33]
	s_waitcnt vmcnt(9) lgkmcnt(0)
	v_mul_f64 v[198:199], v[2:3], v[40:41]
	v_mul_f64 v[40:41], v[4:5], v[40:41]
	v_add_f64 v[188:189], v[188:189], v[176:177]
	v_add_f64 v[190:191], v[190:191], v[178:179]
	ds_load_b128 v[176:179], v1 offset:1216
	v_fma_f64 v[186:187], v[186:187], v[30:31], v[192:193]
	v_fma_f64 v[184:185], v[184:185], v[30:31], -v[32:33]
	scratch_load_b128 v[30:33], off, off offset:656
	v_add_f64 v[188:189], v[188:189], v[196:197]
	v_add_f64 v[190:191], v[190:191], v[194:195]
	v_fma_f64 v[196:197], v[4:5], v[38:39], v[198:199]
	v_fma_f64 v[198:199], v[2:3], v[38:39], -v[40:41]
	scratch_load_b128 v[38:41], off, off offset:672
	ds_load_b128 v[2:5], v1 offset:1232
	s_waitcnt vmcnt(9) lgkmcnt(1)
	v_mul_f64 v[192:193], v[176:177], v[182:183]
	v_mul_f64 v[194:195], v[178:179], v[182:183]
	v_add_f64 v[188:189], v[188:189], v[184:185]
	v_add_f64 v[186:187], v[190:191], v[186:187]
	ds_load_b128 v[182:185], v1 offset:1248
	v_fma_f64 v[178:179], v[178:179], v[180:181], v[192:193]
	v_fma_f64 v[176:177], v[176:177], v[180:181], -v[194:195]
	s_waitcnt vmcnt(8) lgkmcnt(1)
	v_mul_f64 v[190:191], v[2:3], v[36:37]
	v_mul_f64 v[36:37], v[4:5], v[36:37]
	v_add_f64 v[180:181], v[188:189], v[198:199]
	v_add_f64 v[186:187], v[186:187], v[196:197]
	s_delay_alu instid0(VALU_DEP_4) | instskip(NEXT) | instid1(VALU_DEP_4)
	v_fma_f64 v[190:191], v[4:5], v[34:35], v[190:191]
	v_fma_f64 v[192:193], v[2:3], v[34:35], -v[36:37]
	ds_load_b128 v[2:5], v1 offset:1264
	ds_load_b128 v[34:37], v1 offset:1280
	s_waitcnt vmcnt(7) lgkmcnt(2)
	v_mul_f64 v[188:189], v[182:183], v[8:9]
	v_mul_f64 v[8:9], v[184:185], v[8:9]
	v_add_f64 v[176:177], v[180:181], v[176:177]
	v_add_f64 v[178:179], v[186:187], v[178:179]
	s_waitcnt vmcnt(6) lgkmcnt(1)
	v_mul_f64 v[180:181], v[2:3], v[12:13]
	v_mul_f64 v[12:13], v[4:5], v[12:13]
	v_fma_f64 v[184:185], v[184:185], v[6:7], v[188:189]
	v_fma_f64 v[6:7], v[182:183], v[6:7], -v[8:9]
	v_add_f64 v[8:9], v[176:177], v[192:193]
	v_add_f64 v[176:177], v[178:179], v[190:191]
	s_waitcnt vmcnt(5) lgkmcnt(0)
	v_mul_f64 v[178:179], v[34:35], v[16:17]
	v_mul_f64 v[16:17], v[36:37], v[16:17]
	v_fma_f64 v[180:181], v[4:5], v[10:11], v[180:181]
	v_fma_f64 v[10:11], v[2:3], v[10:11], -v[12:13]
	v_add_f64 v[12:13], v[8:9], v[6:7]
	v_add_f64 v[176:177], v[176:177], v[184:185]
	ds_load_b128 v[2:5], v1 offset:1296
	ds_load_b128 v[6:9], v1 offset:1312
	v_fma_f64 v[36:37], v[36:37], v[14:15], v[178:179]
	v_fma_f64 v[14:15], v[34:35], v[14:15], -v[16:17]
	s_waitcnt vmcnt(4) lgkmcnt(1)
	v_mul_f64 v[182:183], v[2:3], v[20:21]
	v_mul_f64 v[20:21], v[4:5], v[20:21]
	s_waitcnt vmcnt(3) lgkmcnt(0)
	v_mul_f64 v[16:17], v[6:7], v[24:25]
	v_mul_f64 v[24:25], v[8:9], v[24:25]
	v_add_f64 v[10:11], v[12:13], v[10:11]
	v_add_f64 v[12:13], v[176:177], v[180:181]
	v_fma_f64 v[34:35], v[4:5], v[18:19], v[182:183]
	v_fma_f64 v[18:19], v[2:3], v[18:19], -v[20:21]
	v_fma_f64 v[8:9], v[8:9], v[22:23], v[16:17]
	v_fma_f64 v[6:7], v[6:7], v[22:23], -v[24:25]
	v_add_f64 v[14:15], v[10:11], v[14:15]
	v_add_f64 v[20:21], v[12:13], v[36:37]
	ds_load_b128 v[2:5], v1 offset:1328
	ds_load_b128 v[10:13], v1 offset:1344
	s_waitcnt vmcnt(2) lgkmcnt(1)
	v_mul_f64 v[36:37], v[2:3], v[28:29]
	v_mul_f64 v[28:29], v[4:5], v[28:29]
	v_add_f64 v[14:15], v[14:15], v[18:19]
	v_add_f64 v[16:17], v[20:21], v[34:35]
	s_waitcnt vmcnt(1) lgkmcnt(0)
	v_mul_f64 v[18:19], v[10:11], v[32:33]
	v_mul_f64 v[20:21], v[12:13], v[32:33]
	v_fma_f64 v[22:23], v[4:5], v[26:27], v[36:37]
	v_fma_f64 v[24:25], v[2:3], v[26:27], -v[28:29]
	ds_load_b128 v[2:5], v1 offset:1360
	v_add_f64 v[6:7], v[14:15], v[6:7]
	v_add_f64 v[8:9], v[16:17], v[8:9]
	v_fma_f64 v[12:13], v[12:13], v[30:31], v[18:19]
	v_fma_f64 v[10:11], v[10:11], v[30:31], -v[20:21]
	s_waitcnt vmcnt(0) lgkmcnt(0)
	v_mul_f64 v[14:15], v[2:3], v[40:41]
	v_mul_f64 v[16:17], v[4:5], v[40:41]
	v_add_f64 v[6:7], v[6:7], v[24:25]
	v_add_f64 v[8:9], v[8:9], v[22:23]
	s_delay_alu instid0(VALU_DEP_4) | instskip(NEXT) | instid1(VALU_DEP_4)
	v_fma_f64 v[4:5], v[4:5], v[38:39], v[14:15]
	v_fma_f64 v[2:3], v[2:3], v[38:39], -v[16:17]
	s_delay_alu instid0(VALU_DEP_4) | instskip(NEXT) | instid1(VALU_DEP_4)
	v_add_f64 v[6:7], v[6:7], v[10:11]
	v_add_f64 v[8:9], v[8:9], v[12:13]
	s_delay_alu instid0(VALU_DEP_2) | instskip(NEXT) | instid1(VALU_DEP_2)
	v_add_f64 v[2:3], v[6:7], v[2:3]
	v_add_f64 v[4:5], v[8:9], v[4:5]
	s_delay_alu instid0(VALU_DEP_2) | instskip(NEXT) | instid1(VALU_DEP_2)
	v_add_f64 v[2:3], v[42:43], -v[2:3]
	v_add_f64 v[4:5], v[44:45], -v[4:5]
	scratch_store_b128 off, v[2:5], off offset:368
	v_cmpx_lt_u32_e32 22, v132
	s_cbranch_execz .LBB42_227
; %bb.226:
	scratch_load_b128 v[5:8], v151, off
	v_mov_b32_e32 v2, v1
	v_mov_b32_e32 v3, v1
	;; [unrolled: 1-line block ×3, first 2 shown]
	scratch_store_b128 off, v[1:4], off offset:352
	s_waitcnt vmcnt(0)
	ds_store_b128 v175, v[5:8]
.LBB42_227:
	s_or_b32 exec_lo, exec_lo, s2
	s_waitcnt lgkmcnt(0)
	s_waitcnt_vscnt null, 0x0
	s_barrier
	buffer_gl0_inv
	s_clause 0x8
	scratch_load_b128 v[2:5], off, off offset:368
	scratch_load_b128 v[6:9], off, off offset:384
	;; [unrolled: 1-line block ×9, first 2 shown]
	ds_load_b128 v[38:41], v1 offset:1056
	ds_load_b128 v[42:45], v1 offset:1072
	s_clause 0x1
	scratch_load_b128 v[176:179], off, off offset:352
	scratch_load_b128 v[180:183], off, off offset:512
	s_mov_b32 s2, exec_lo
	s_waitcnt vmcnt(10) lgkmcnt(1)
	v_mul_f64 v[184:185], v[40:41], v[4:5]
	v_mul_f64 v[4:5], v[38:39], v[4:5]
	s_waitcnt vmcnt(9) lgkmcnt(0)
	v_mul_f64 v[188:189], v[42:43], v[8:9]
	v_mul_f64 v[8:9], v[44:45], v[8:9]
	s_delay_alu instid0(VALU_DEP_4) | instskip(NEXT) | instid1(VALU_DEP_4)
	v_fma_f64 v[190:191], v[38:39], v[2:3], -v[184:185]
	v_fma_f64 v[192:193], v[40:41], v[2:3], v[4:5]
	ds_load_b128 v[2:5], v1 offset:1088
	ds_load_b128 v[184:187], v1 offset:1104
	scratch_load_b128 v[38:41], off, off offset:528
	v_fma_f64 v[44:45], v[44:45], v[6:7], v[188:189]
	v_fma_f64 v[42:43], v[42:43], v[6:7], -v[8:9]
	scratch_load_b128 v[6:9], off, off offset:544
	s_waitcnt vmcnt(10) lgkmcnt(1)
	v_mul_f64 v[194:195], v[2:3], v[12:13]
	v_mul_f64 v[12:13], v[4:5], v[12:13]
	v_add_f64 v[188:189], v[190:191], 0
	v_add_f64 v[190:191], v[192:193], 0
	s_waitcnt vmcnt(9) lgkmcnt(0)
	v_mul_f64 v[192:193], v[184:185], v[16:17]
	v_mul_f64 v[16:17], v[186:187], v[16:17]
	v_fma_f64 v[194:195], v[4:5], v[10:11], v[194:195]
	v_fma_f64 v[196:197], v[2:3], v[10:11], -v[12:13]
	ds_load_b128 v[2:5], v1 offset:1120
	scratch_load_b128 v[10:13], off, off offset:560
	v_add_f64 v[188:189], v[188:189], v[42:43]
	v_add_f64 v[190:191], v[190:191], v[44:45]
	ds_load_b128 v[42:45], v1 offset:1136
	v_fma_f64 v[186:187], v[186:187], v[14:15], v[192:193]
	v_fma_f64 v[184:185], v[184:185], v[14:15], -v[16:17]
	scratch_load_b128 v[14:17], off, off offset:576
	s_waitcnt vmcnt(10) lgkmcnt(1)
	v_mul_f64 v[198:199], v[2:3], v[20:21]
	v_mul_f64 v[20:21], v[4:5], v[20:21]
	s_waitcnt vmcnt(9) lgkmcnt(0)
	v_mul_f64 v[192:193], v[42:43], v[24:25]
	v_mul_f64 v[24:25], v[44:45], v[24:25]
	v_add_f64 v[188:189], v[188:189], v[196:197]
	v_add_f64 v[190:191], v[190:191], v[194:195]
	v_fma_f64 v[194:195], v[4:5], v[18:19], v[198:199]
	v_fma_f64 v[196:197], v[2:3], v[18:19], -v[20:21]
	ds_load_b128 v[2:5], v1 offset:1152
	scratch_load_b128 v[18:21], off, off offset:592
	v_fma_f64 v[44:45], v[44:45], v[22:23], v[192:193]
	v_fma_f64 v[42:43], v[42:43], v[22:23], -v[24:25]
	scratch_load_b128 v[22:25], off, off offset:608
	v_add_f64 v[188:189], v[188:189], v[184:185]
	v_add_f64 v[190:191], v[190:191], v[186:187]
	ds_load_b128 v[184:187], v1 offset:1168
	s_waitcnt vmcnt(10) lgkmcnt(1)
	v_mul_f64 v[198:199], v[2:3], v[28:29]
	v_mul_f64 v[28:29], v[4:5], v[28:29]
	s_waitcnt vmcnt(9) lgkmcnt(0)
	v_mul_f64 v[192:193], v[184:185], v[32:33]
	v_mul_f64 v[32:33], v[186:187], v[32:33]
	v_add_f64 v[188:189], v[188:189], v[196:197]
	v_add_f64 v[190:191], v[190:191], v[194:195]
	v_fma_f64 v[194:195], v[4:5], v[26:27], v[198:199]
	v_fma_f64 v[196:197], v[2:3], v[26:27], -v[28:29]
	ds_load_b128 v[2:5], v1 offset:1184
	scratch_load_b128 v[26:29], off, off offset:624
	v_fma_f64 v[186:187], v[186:187], v[30:31], v[192:193]
	v_fma_f64 v[184:185], v[184:185], v[30:31], -v[32:33]
	scratch_load_b128 v[30:33], off, off offset:640
	v_add_f64 v[188:189], v[188:189], v[42:43]
	v_add_f64 v[190:191], v[190:191], v[44:45]
	ds_load_b128 v[42:45], v1 offset:1200
	s_waitcnt vmcnt(10) lgkmcnt(1)
	v_mul_f64 v[198:199], v[2:3], v[36:37]
	v_mul_f64 v[36:37], v[4:5], v[36:37]
	s_waitcnt vmcnt(8) lgkmcnt(0)
	v_mul_f64 v[192:193], v[42:43], v[182:183]
	v_add_f64 v[188:189], v[188:189], v[196:197]
	v_add_f64 v[190:191], v[190:191], v[194:195]
	v_mul_f64 v[194:195], v[44:45], v[182:183]
	v_fma_f64 v[196:197], v[4:5], v[34:35], v[198:199]
	v_fma_f64 v[198:199], v[2:3], v[34:35], -v[36:37]
	ds_load_b128 v[2:5], v1 offset:1216
	scratch_load_b128 v[34:37], off, off offset:656
	v_fma_f64 v[44:45], v[44:45], v[180:181], v[192:193]
	v_add_f64 v[188:189], v[188:189], v[184:185]
	v_add_f64 v[186:187], v[190:191], v[186:187]
	ds_load_b128 v[182:185], v1 offset:1232
	v_fma_f64 v[180:181], v[42:43], v[180:181], -v[194:195]
	s_waitcnt vmcnt(8) lgkmcnt(1)
	v_mul_f64 v[190:191], v[2:3], v[40:41]
	v_mul_f64 v[200:201], v[4:5], v[40:41]
	scratch_load_b128 v[40:43], off, off offset:672
	s_waitcnt vmcnt(8) lgkmcnt(0)
	v_mul_f64 v[192:193], v[182:183], v[8:9]
	v_mul_f64 v[8:9], v[184:185], v[8:9]
	v_add_f64 v[188:189], v[188:189], v[198:199]
	v_add_f64 v[186:187], v[186:187], v[196:197]
	v_fma_f64 v[190:191], v[4:5], v[38:39], v[190:191]
	v_fma_f64 v[38:39], v[2:3], v[38:39], -v[200:201]
	v_fma_f64 v[184:185], v[184:185], v[6:7], v[192:193]
	v_fma_f64 v[6:7], v[182:183], v[6:7], -v[8:9]
	v_add_f64 v[180:181], v[188:189], v[180:181]
	v_add_f64 v[44:45], v[186:187], v[44:45]
	ds_load_b128 v[2:5], v1 offset:1248
	ds_load_b128 v[186:189], v1 offset:1264
	s_waitcnt vmcnt(7) lgkmcnt(1)
	v_mul_f64 v[194:195], v[2:3], v[12:13]
	v_mul_f64 v[12:13], v[4:5], v[12:13]
	v_add_f64 v[8:9], v[180:181], v[38:39]
	v_add_f64 v[38:39], v[44:45], v[190:191]
	s_waitcnt vmcnt(6) lgkmcnt(0)
	v_mul_f64 v[44:45], v[186:187], v[16:17]
	v_mul_f64 v[16:17], v[188:189], v[16:17]
	v_fma_f64 v[180:181], v[4:5], v[10:11], v[194:195]
	v_fma_f64 v[10:11], v[2:3], v[10:11], -v[12:13]
	v_add_f64 v[12:13], v[8:9], v[6:7]
	v_add_f64 v[38:39], v[38:39], v[184:185]
	ds_load_b128 v[2:5], v1 offset:1280
	ds_load_b128 v[6:9], v1 offset:1296
	v_fma_f64 v[44:45], v[188:189], v[14:15], v[44:45]
	v_fma_f64 v[14:15], v[186:187], v[14:15], -v[16:17]
	s_waitcnt vmcnt(5) lgkmcnt(1)
	v_mul_f64 v[182:183], v[2:3], v[20:21]
	v_mul_f64 v[20:21], v[4:5], v[20:21]
	s_waitcnt vmcnt(4) lgkmcnt(0)
	v_mul_f64 v[16:17], v[6:7], v[24:25]
	v_mul_f64 v[24:25], v[8:9], v[24:25]
	v_add_f64 v[10:11], v[12:13], v[10:11]
	v_add_f64 v[12:13], v[38:39], v[180:181]
	v_fma_f64 v[38:39], v[4:5], v[18:19], v[182:183]
	v_fma_f64 v[18:19], v[2:3], v[18:19], -v[20:21]
	v_fma_f64 v[8:9], v[8:9], v[22:23], v[16:17]
	v_fma_f64 v[6:7], v[6:7], v[22:23], -v[24:25]
	v_add_f64 v[14:15], v[10:11], v[14:15]
	v_add_f64 v[20:21], v[12:13], v[44:45]
	ds_load_b128 v[2:5], v1 offset:1312
	ds_load_b128 v[10:13], v1 offset:1328
	s_waitcnt vmcnt(3) lgkmcnt(1)
	v_mul_f64 v[44:45], v[2:3], v[28:29]
	v_mul_f64 v[28:29], v[4:5], v[28:29]
	v_add_f64 v[14:15], v[14:15], v[18:19]
	v_add_f64 v[16:17], v[20:21], v[38:39]
	s_waitcnt vmcnt(2) lgkmcnt(0)
	v_mul_f64 v[18:19], v[10:11], v[32:33]
	v_mul_f64 v[20:21], v[12:13], v[32:33]
	v_fma_f64 v[22:23], v[4:5], v[26:27], v[44:45]
	v_fma_f64 v[24:25], v[2:3], v[26:27], -v[28:29]
	v_add_f64 v[14:15], v[14:15], v[6:7]
	v_add_f64 v[16:17], v[16:17], v[8:9]
	ds_load_b128 v[2:5], v1 offset:1344
	ds_load_b128 v[6:9], v1 offset:1360
	v_fma_f64 v[12:13], v[12:13], v[30:31], v[18:19]
	v_fma_f64 v[10:11], v[10:11], v[30:31], -v[20:21]
	s_waitcnt vmcnt(1) lgkmcnt(1)
	v_mul_f64 v[26:27], v[2:3], v[36:37]
	v_mul_f64 v[28:29], v[4:5], v[36:37]
	s_waitcnt vmcnt(0) lgkmcnt(0)
	v_mul_f64 v[18:19], v[6:7], v[42:43]
	v_add_f64 v[14:15], v[14:15], v[24:25]
	v_add_f64 v[16:17], v[16:17], v[22:23]
	v_mul_f64 v[20:21], v[8:9], v[42:43]
	v_fma_f64 v[4:5], v[4:5], v[34:35], v[26:27]
	v_fma_f64 v[1:2], v[2:3], v[34:35], -v[28:29]
	v_fma_f64 v[8:9], v[8:9], v[40:41], v[18:19]
	v_add_f64 v[10:11], v[14:15], v[10:11]
	v_add_f64 v[12:13], v[16:17], v[12:13]
	v_fma_f64 v[6:7], v[6:7], v[40:41], -v[20:21]
	s_delay_alu instid0(VALU_DEP_3) | instskip(NEXT) | instid1(VALU_DEP_3)
	v_add_f64 v[1:2], v[10:11], v[1:2]
	v_add_f64 v[3:4], v[12:13], v[4:5]
	s_delay_alu instid0(VALU_DEP_2) | instskip(NEXT) | instid1(VALU_DEP_2)
	v_add_f64 v[1:2], v[1:2], v[6:7]
	v_add_f64 v[3:4], v[3:4], v[8:9]
	s_delay_alu instid0(VALU_DEP_2) | instskip(NEXT) | instid1(VALU_DEP_2)
	v_add_f64 v[1:2], v[176:177], -v[1:2]
	v_add_f64 v[3:4], v[178:179], -v[3:4]
	scratch_store_b128 off, v[1:4], off offset:352
	v_cmpx_lt_u32_e32 21, v132
	s_cbranch_execz .LBB42_229
; %bb.228:
	scratch_load_b128 v[1:4], v153, off
	v_mov_b32_e32 v5, 0
	s_delay_alu instid0(VALU_DEP_1)
	v_mov_b32_e32 v6, v5
	v_mov_b32_e32 v7, v5
	;; [unrolled: 1-line block ×3, first 2 shown]
	scratch_store_b128 off, v[5:8], off offset:336
	s_waitcnt vmcnt(0)
	ds_store_b128 v175, v[1:4]
.LBB42_229:
	s_or_b32 exec_lo, exec_lo, s2
	s_waitcnt lgkmcnt(0)
	s_waitcnt_vscnt null, 0x0
	s_barrier
	buffer_gl0_inv
	s_clause 0x7
	scratch_load_b128 v[2:5], off, off offset:352
	scratch_load_b128 v[6:9], off, off offset:368
	;; [unrolled: 1-line block ×8, first 2 shown]
	v_mov_b32_e32 v1, 0
	s_mov_b32 s2, exec_lo
	ds_load_b128 v[34:37], v1 offset:1040
	s_clause 0x1
	scratch_load_b128 v[38:41], off, off offset:480
	scratch_load_b128 v[42:45], off, off offset:336
	ds_load_b128 v[176:179], v1 offset:1056
	scratch_load_b128 v[180:183], off, off offset:496
	s_waitcnt vmcnt(10) lgkmcnt(1)
	v_mul_f64 v[184:185], v[36:37], v[4:5]
	v_mul_f64 v[4:5], v[34:35], v[4:5]
	s_delay_alu instid0(VALU_DEP_2) | instskip(NEXT) | instid1(VALU_DEP_2)
	v_fma_f64 v[190:191], v[34:35], v[2:3], -v[184:185]
	v_fma_f64 v[192:193], v[36:37], v[2:3], v[4:5]
	scratch_load_b128 v[34:37], off, off offset:512
	ds_load_b128 v[2:5], v1 offset:1072
	s_waitcnt vmcnt(10) lgkmcnt(1)
	v_mul_f64 v[188:189], v[176:177], v[8:9]
	v_mul_f64 v[8:9], v[178:179], v[8:9]
	ds_load_b128 v[184:187], v1 offset:1088
	s_waitcnt vmcnt(9) lgkmcnt(1)
	v_mul_f64 v[194:195], v[2:3], v[12:13]
	v_mul_f64 v[12:13], v[4:5], v[12:13]
	v_fma_f64 v[178:179], v[178:179], v[6:7], v[188:189]
	v_fma_f64 v[176:177], v[176:177], v[6:7], -v[8:9]
	v_add_f64 v[188:189], v[190:191], 0
	v_add_f64 v[190:191], v[192:193], 0
	scratch_load_b128 v[6:9], off, off offset:528
	v_fma_f64 v[194:195], v[4:5], v[10:11], v[194:195]
	v_fma_f64 v[196:197], v[2:3], v[10:11], -v[12:13]
	scratch_load_b128 v[10:13], off, off offset:544
	ds_load_b128 v[2:5], v1 offset:1104
	s_waitcnt vmcnt(10) lgkmcnt(1)
	v_mul_f64 v[192:193], v[184:185], v[16:17]
	v_mul_f64 v[16:17], v[186:187], v[16:17]
	v_add_f64 v[188:189], v[188:189], v[176:177]
	v_add_f64 v[190:191], v[190:191], v[178:179]
	s_waitcnt vmcnt(9) lgkmcnt(0)
	v_mul_f64 v[198:199], v[2:3], v[20:21]
	v_mul_f64 v[20:21], v[4:5], v[20:21]
	ds_load_b128 v[176:179], v1 offset:1120
	v_fma_f64 v[186:187], v[186:187], v[14:15], v[192:193]
	v_fma_f64 v[184:185], v[184:185], v[14:15], -v[16:17]
	scratch_load_b128 v[14:17], off, off offset:560
	v_add_f64 v[188:189], v[188:189], v[196:197]
	v_add_f64 v[190:191], v[190:191], v[194:195]
	v_fma_f64 v[194:195], v[4:5], v[18:19], v[198:199]
	v_fma_f64 v[196:197], v[2:3], v[18:19], -v[20:21]
	scratch_load_b128 v[18:21], off, off offset:576
	ds_load_b128 v[2:5], v1 offset:1136
	s_waitcnt vmcnt(10) lgkmcnt(1)
	v_mul_f64 v[192:193], v[176:177], v[24:25]
	v_mul_f64 v[24:25], v[178:179], v[24:25]
	s_waitcnt vmcnt(9) lgkmcnt(0)
	v_mul_f64 v[198:199], v[2:3], v[28:29]
	v_mul_f64 v[28:29], v[4:5], v[28:29]
	v_add_f64 v[188:189], v[188:189], v[184:185]
	v_add_f64 v[190:191], v[190:191], v[186:187]
	ds_load_b128 v[184:187], v1 offset:1152
	v_fma_f64 v[178:179], v[178:179], v[22:23], v[192:193]
	v_fma_f64 v[176:177], v[176:177], v[22:23], -v[24:25]
	scratch_load_b128 v[22:25], off, off offset:592
	v_add_f64 v[188:189], v[188:189], v[196:197]
	v_add_f64 v[190:191], v[190:191], v[194:195]
	v_fma_f64 v[194:195], v[4:5], v[26:27], v[198:199]
	v_fma_f64 v[196:197], v[2:3], v[26:27], -v[28:29]
	scratch_load_b128 v[26:29], off, off offset:608
	ds_load_b128 v[2:5], v1 offset:1168
	s_waitcnt vmcnt(10) lgkmcnt(1)
	v_mul_f64 v[192:193], v[184:185], v[32:33]
	v_mul_f64 v[32:33], v[186:187], v[32:33]
	s_waitcnt vmcnt(9) lgkmcnt(0)
	v_mul_f64 v[198:199], v[2:3], v[40:41]
	v_mul_f64 v[40:41], v[4:5], v[40:41]
	v_add_f64 v[188:189], v[188:189], v[176:177]
	v_add_f64 v[190:191], v[190:191], v[178:179]
	ds_load_b128 v[176:179], v1 offset:1184
	v_fma_f64 v[186:187], v[186:187], v[30:31], v[192:193]
	v_fma_f64 v[184:185], v[184:185], v[30:31], -v[32:33]
	scratch_load_b128 v[30:33], off, off offset:624
	v_add_f64 v[188:189], v[188:189], v[196:197]
	v_add_f64 v[190:191], v[190:191], v[194:195]
	v_fma_f64 v[196:197], v[4:5], v[38:39], v[198:199]
	v_fma_f64 v[198:199], v[2:3], v[38:39], -v[40:41]
	scratch_load_b128 v[38:41], off, off offset:640
	ds_load_b128 v[2:5], v1 offset:1200
	s_waitcnt vmcnt(9) lgkmcnt(1)
	v_mul_f64 v[192:193], v[176:177], v[182:183]
	v_mul_f64 v[194:195], v[178:179], v[182:183]
	v_add_f64 v[188:189], v[188:189], v[184:185]
	v_add_f64 v[186:187], v[190:191], v[186:187]
	ds_load_b128 v[182:185], v1 offset:1216
	v_fma_f64 v[192:193], v[178:179], v[180:181], v[192:193]
	v_fma_f64 v[180:181], v[176:177], v[180:181], -v[194:195]
	scratch_load_b128 v[176:179], off, off offset:656
	s_waitcnt vmcnt(9) lgkmcnt(1)
	v_mul_f64 v[190:191], v[2:3], v[36:37]
	v_mul_f64 v[36:37], v[4:5], v[36:37]
	v_add_f64 v[188:189], v[188:189], v[198:199]
	v_add_f64 v[186:187], v[186:187], v[196:197]
	s_delay_alu instid0(VALU_DEP_4) | instskip(NEXT) | instid1(VALU_DEP_4)
	v_fma_f64 v[190:191], v[4:5], v[34:35], v[190:191]
	v_fma_f64 v[196:197], v[2:3], v[34:35], -v[36:37]
	scratch_load_b128 v[34:37], off, off offset:672
	ds_load_b128 v[2:5], v1 offset:1232
	s_waitcnt vmcnt(9) lgkmcnt(1)
	v_mul_f64 v[194:195], v[182:183], v[8:9]
	v_mul_f64 v[8:9], v[184:185], v[8:9]
	s_waitcnt vmcnt(8) lgkmcnt(0)
	v_mul_f64 v[198:199], v[2:3], v[12:13]
	v_mul_f64 v[12:13], v[4:5], v[12:13]
	v_add_f64 v[180:181], v[188:189], v[180:181]
	v_add_f64 v[192:193], v[186:187], v[192:193]
	ds_load_b128 v[186:189], v1 offset:1248
	v_fma_f64 v[184:185], v[184:185], v[6:7], v[194:195]
	v_fma_f64 v[6:7], v[182:183], v[6:7], -v[8:9]
	v_add_f64 v[8:9], v[180:181], v[196:197]
	v_add_f64 v[180:181], v[192:193], v[190:191]
	s_waitcnt vmcnt(7) lgkmcnt(0)
	v_mul_f64 v[182:183], v[186:187], v[16:17]
	v_mul_f64 v[16:17], v[188:189], v[16:17]
	v_fma_f64 v[190:191], v[4:5], v[10:11], v[198:199]
	v_fma_f64 v[10:11], v[2:3], v[10:11], -v[12:13]
	v_add_f64 v[12:13], v[8:9], v[6:7]
	v_add_f64 v[180:181], v[180:181], v[184:185]
	ds_load_b128 v[2:5], v1 offset:1264
	ds_load_b128 v[6:9], v1 offset:1280
	v_fma_f64 v[182:183], v[188:189], v[14:15], v[182:183]
	v_fma_f64 v[14:15], v[186:187], v[14:15], -v[16:17]
	s_waitcnt vmcnt(6) lgkmcnt(1)
	v_mul_f64 v[184:185], v[2:3], v[20:21]
	v_mul_f64 v[20:21], v[4:5], v[20:21]
	s_waitcnt vmcnt(5) lgkmcnt(0)
	v_mul_f64 v[16:17], v[6:7], v[24:25]
	v_mul_f64 v[24:25], v[8:9], v[24:25]
	v_add_f64 v[10:11], v[12:13], v[10:11]
	v_add_f64 v[12:13], v[180:181], v[190:191]
	v_fma_f64 v[180:181], v[4:5], v[18:19], v[184:185]
	v_fma_f64 v[18:19], v[2:3], v[18:19], -v[20:21]
	v_fma_f64 v[8:9], v[8:9], v[22:23], v[16:17]
	v_fma_f64 v[6:7], v[6:7], v[22:23], -v[24:25]
	v_add_f64 v[14:15], v[10:11], v[14:15]
	v_add_f64 v[20:21], v[12:13], v[182:183]
	ds_load_b128 v[2:5], v1 offset:1296
	ds_load_b128 v[10:13], v1 offset:1312
	s_waitcnt vmcnt(4) lgkmcnt(1)
	v_mul_f64 v[182:183], v[2:3], v[28:29]
	v_mul_f64 v[28:29], v[4:5], v[28:29]
	v_add_f64 v[14:15], v[14:15], v[18:19]
	v_add_f64 v[16:17], v[20:21], v[180:181]
	s_waitcnt vmcnt(3) lgkmcnt(0)
	v_mul_f64 v[18:19], v[10:11], v[32:33]
	v_mul_f64 v[20:21], v[12:13], v[32:33]
	v_fma_f64 v[22:23], v[4:5], v[26:27], v[182:183]
	v_fma_f64 v[24:25], v[2:3], v[26:27], -v[28:29]
	v_add_f64 v[14:15], v[14:15], v[6:7]
	v_add_f64 v[16:17], v[16:17], v[8:9]
	ds_load_b128 v[2:5], v1 offset:1328
	ds_load_b128 v[6:9], v1 offset:1344
	v_fma_f64 v[12:13], v[12:13], v[30:31], v[18:19]
	v_fma_f64 v[10:11], v[10:11], v[30:31], -v[20:21]
	s_waitcnt vmcnt(2) lgkmcnt(1)
	v_mul_f64 v[26:27], v[2:3], v[40:41]
	v_mul_f64 v[28:29], v[4:5], v[40:41]
	s_waitcnt vmcnt(1) lgkmcnt(0)
	v_mul_f64 v[18:19], v[6:7], v[178:179]
	v_mul_f64 v[20:21], v[8:9], v[178:179]
	v_add_f64 v[14:15], v[14:15], v[24:25]
	v_add_f64 v[16:17], v[16:17], v[22:23]
	v_fma_f64 v[22:23], v[4:5], v[38:39], v[26:27]
	v_fma_f64 v[24:25], v[2:3], v[38:39], -v[28:29]
	ds_load_b128 v[2:5], v1 offset:1360
	v_fma_f64 v[8:9], v[8:9], v[176:177], v[18:19]
	v_fma_f64 v[6:7], v[6:7], v[176:177], -v[20:21]
	v_add_f64 v[10:11], v[14:15], v[10:11]
	v_add_f64 v[12:13], v[16:17], v[12:13]
	s_waitcnt vmcnt(0) lgkmcnt(0)
	v_mul_f64 v[14:15], v[2:3], v[36:37]
	v_mul_f64 v[16:17], v[4:5], v[36:37]
	s_delay_alu instid0(VALU_DEP_4) | instskip(NEXT) | instid1(VALU_DEP_4)
	v_add_f64 v[10:11], v[10:11], v[24:25]
	v_add_f64 v[12:13], v[12:13], v[22:23]
	s_delay_alu instid0(VALU_DEP_4) | instskip(NEXT) | instid1(VALU_DEP_4)
	v_fma_f64 v[4:5], v[4:5], v[34:35], v[14:15]
	v_fma_f64 v[2:3], v[2:3], v[34:35], -v[16:17]
	s_delay_alu instid0(VALU_DEP_4) | instskip(NEXT) | instid1(VALU_DEP_4)
	v_add_f64 v[6:7], v[10:11], v[6:7]
	v_add_f64 v[8:9], v[12:13], v[8:9]
	s_delay_alu instid0(VALU_DEP_2) | instskip(NEXT) | instid1(VALU_DEP_2)
	v_add_f64 v[2:3], v[6:7], v[2:3]
	v_add_f64 v[4:5], v[8:9], v[4:5]
	s_delay_alu instid0(VALU_DEP_2) | instskip(NEXT) | instid1(VALU_DEP_2)
	v_add_f64 v[2:3], v[42:43], -v[2:3]
	v_add_f64 v[4:5], v[44:45], -v[4:5]
	scratch_store_b128 off, v[2:5], off offset:336
	v_cmpx_lt_u32_e32 20, v132
	s_cbranch_execz .LBB42_231
; %bb.230:
	scratch_load_b128 v[5:8], v154, off
	v_mov_b32_e32 v2, v1
	v_mov_b32_e32 v3, v1
	;; [unrolled: 1-line block ×3, first 2 shown]
	scratch_store_b128 off, v[1:4], off offset:320
	s_waitcnt vmcnt(0)
	ds_store_b128 v175, v[5:8]
.LBB42_231:
	s_or_b32 exec_lo, exec_lo, s2
	s_waitcnt lgkmcnt(0)
	s_waitcnt_vscnt null, 0x0
	s_barrier
	buffer_gl0_inv
	s_clause 0x8
	scratch_load_b128 v[2:5], off, off offset:336
	scratch_load_b128 v[6:9], off, off offset:352
	;; [unrolled: 1-line block ×9, first 2 shown]
	ds_load_b128 v[38:41], v1 offset:1024
	ds_load_b128 v[42:45], v1 offset:1040
	s_clause 0x1
	scratch_load_b128 v[176:179], off, off offset:320
	scratch_load_b128 v[180:183], off, off offset:480
	s_mov_b32 s2, exec_lo
	s_waitcnt vmcnt(10) lgkmcnt(1)
	v_mul_f64 v[184:185], v[40:41], v[4:5]
	v_mul_f64 v[4:5], v[38:39], v[4:5]
	s_waitcnt vmcnt(9) lgkmcnt(0)
	v_mul_f64 v[188:189], v[42:43], v[8:9]
	v_mul_f64 v[8:9], v[44:45], v[8:9]
	s_delay_alu instid0(VALU_DEP_4) | instskip(NEXT) | instid1(VALU_DEP_4)
	v_fma_f64 v[190:191], v[38:39], v[2:3], -v[184:185]
	v_fma_f64 v[192:193], v[40:41], v[2:3], v[4:5]
	ds_load_b128 v[2:5], v1 offset:1056
	ds_load_b128 v[184:187], v1 offset:1072
	scratch_load_b128 v[38:41], off, off offset:496
	v_fma_f64 v[44:45], v[44:45], v[6:7], v[188:189]
	v_fma_f64 v[42:43], v[42:43], v[6:7], -v[8:9]
	scratch_load_b128 v[6:9], off, off offset:512
	s_waitcnt vmcnt(10) lgkmcnt(1)
	v_mul_f64 v[194:195], v[2:3], v[12:13]
	v_mul_f64 v[12:13], v[4:5], v[12:13]
	v_add_f64 v[188:189], v[190:191], 0
	v_add_f64 v[190:191], v[192:193], 0
	s_waitcnt vmcnt(9) lgkmcnt(0)
	v_mul_f64 v[192:193], v[184:185], v[16:17]
	v_mul_f64 v[16:17], v[186:187], v[16:17]
	v_fma_f64 v[194:195], v[4:5], v[10:11], v[194:195]
	v_fma_f64 v[196:197], v[2:3], v[10:11], -v[12:13]
	ds_load_b128 v[2:5], v1 offset:1088
	scratch_load_b128 v[10:13], off, off offset:528
	v_add_f64 v[188:189], v[188:189], v[42:43]
	v_add_f64 v[190:191], v[190:191], v[44:45]
	ds_load_b128 v[42:45], v1 offset:1104
	v_fma_f64 v[186:187], v[186:187], v[14:15], v[192:193]
	v_fma_f64 v[184:185], v[184:185], v[14:15], -v[16:17]
	scratch_load_b128 v[14:17], off, off offset:544
	s_waitcnt vmcnt(10) lgkmcnt(1)
	v_mul_f64 v[198:199], v[2:3], v[20:21]
	v_mul_f64 v[20:21], v[4:5], v[20:21]
	s_waitcnt vmcnt(9) lgkmcnt(0)
	v_mul_f64 v[192:193], v[42:43], v[24:25]
	v_mul_f64 v[24:25], v[44:45], v[24:25]
	v_add_f64 v[188:189], v[188:189], v[196:197]
	v_add_f64 v[190:191], v[190:191], v[194:195]
	v_fma_f64 v[194:195], v[4:5], v[18:19], v[198:199]
	v_fma_f64 v[196:197], v[2:3], v[18:19], -v[20:21]
	ds_load_b128 v[2:5], v1 offset:1120
	scratch_load_b128 v[18:21], off, off offset:560
	v_fma_f64 v[44:45], v[44:45], v[22:23], v[192:193]
	v_fma_f64 v[42:43], v[42:43], v[22:23], -v[24:25]
	scratch_load_b128 v[22:25], off, off offset:576
	v_add_f64 v[188:189], v[188:189], v[184:185]
	v_add_f64 v[190:191], v[190:191], v[186:187]
	ds_load_b128 v[184:187], v1 offset:1136
	s_waitcnt vmcnt(10) lgkmcnt(1)
	v_mul_f64 v[198:199], v[2:3], v[28:29]
	v_mul_f64 v[28:29], v[4:5], v[28:29]
	s_waitcnt vmcnt(9) lgkmcnt(0)
	v_mul_f64 v[192:193], v[184:185], v[32:33]
	v_mul_f64 v[32:33], v[186:187], v[32:33]
	v_add_f64 v[188:189], v[188:189], v[196:197]
	v_add_f64 v[190:191], v[190:191], v[194:195]
	v_fma_f64 v[194:195], v[4:5], v[26:27], v[198:199]
	v_fma_f64 v[196:197], v[2:3], v[26:27], -v[28:29]
	ds_load_b128 v[2:5], v1 offset:1152
	scratch_load_b128 v[26:29], off, off offset:592
	v_fma_f64 v[186:187], v[186:187], v[30:31], v[192:193]
	v_fma_f64 v[184:185], v[184:185], v[30:31], -v[32:33]
	scratch_load_b128 v[30:33], off, off offset:608
	v_add_f64 v[188:189], v[188:189], v[42:43]
	v_add_f64 v[190:191], v[190:191], v[44:45]
	ds_load_b128 v[42:45], v1 offset:1168
	s_waitcnt vmcnt(10) lgkmcnt(1)
	v_mul_f64 v[198:199], v[2:3], v[36:37]
	v_mul_f64 v[36:37], v[4:5], v[36:37]
	s_waitcnt vmcnt(8) lgkmcnt(0)
	v_mul_f64 v[192:193], v[42:43], v[182:183]
	v_add_f64 v[188:189], v[188:189], v[196:197]
	v_add_f64 v[190:191], v[190:191], v[194:195]
	v_mul_f64 v[194:195], v[44:45], v[182:183]
	v_fma_f64 v[196:197], v[4:5], v[34:35], v[198:199]
	v_fma_f64 v[198:199], v[2:3], v[34:35], -v[36:37]
	ds_load_b128 v[2:5], v1 offset:1184
	scratch_load_b128 v[34:37], off, off offset:624
	v_fma_f64 v[44:45], v[44:45], v[180:181], v[192:193]
	v_add_f64 v[188:189], v[188:189], v[184:185]
	v_add_f64 v[186:187], v[190:191], v[186:187]
	ds_load_b128 v[182:185], v1 offset:1200
	v_fma_f64 v[180:181], v[42:43], v[180:181], -v[194:195]
	s_waitcnt vmcnt(8) lgkmcnt(1)
	v_mul_f64 v[190:191], v[2:3], v[40:41]
	v_mul_f64 v[200:201], v[4:5], v[40:41]
	scratch_load_b128 v[40:43], off, off offset:640
	s_waitcnt vmcnt(8) lgkmcnt(0)
	v_mul_f64 v[194:195], v[182:183], v[8:9]
	v_mul_f64 v[8:9], v[184:185], v[8:9]
	v_add_f64 v[188:189], v[188:189], v[198:199]
	v_add_f64 v[186:187], v[186:187], v[196:197]
	v_fma_f64 v[196:197], v[4:5], v[38:39], v[190:191]
	v_fma_f64 v[38:39], v[2:3], v[38:39], -v[200:201]
	ds_load_b128 v[2:5], v1 offset:1216
	ds_load_b128 v[190:193], v1 offset:1232
	v_fma_f64 v[184:185], v[184:185], v[6:7], v[194:195]
	v_fma_f64 v[182:183], v[182:183], v[6:7], -v[8:9]
	scratch_load_b128 v[6:9], off, off offset:672
	v_add_f64 v[180:181], v[188:189], v[180:181]
	v_add_f64 v[44:45], v[186:187], v[44:45]
	scratch_load_b128 v[186:189], off, off offset:656
	s_waitcnt vmcnt(9) lgkmcnt(1)
	v_mul_f64 v[198:199], v[2:3], v[12:13]
	v_mul_f64 v[12:13], v[4:5], v[12:13]
	v_add_f64 v[38:39], v[180:181], v[38:39]
	v_add_f64 v[44:45], v[44:45], v[196:197]
	s_waitcnt vmcnt(8) lgkmcnt(0)
	v_mul_f64 v[180:181], v[190:191], v[16:17]
	v_mul_f64 v[16:17], v[192:193], v[16:17]
	v_fma_f64 v[194:195], v[4:5], v[10:11], v[198:199]
	v_fma_f64 v[196:197], v[2:3], v[10:11], -v[12:13]
	ds_load_b128 v[2:5], v1 offset:1248
	ds_load_b128 v[10:13], v1 offset:1264
	v_add_f64 v[38:39], v[38:39], v[182:183]
	v_add_f64 v[44:45], v[44:45], v[184:185]
	s_waitcnt vmcnt(7) lgkmcnt(1)
	v_mul_f64 v[182:183], v[2:3], v[20:21]
	v_mul_f64 v[20:21], v[4:5], v[20:21]
	v_fma_f64 v[180:181], v[192:193], v[14:15], v[180:181]
	v_fma_f64 v[14:15], v[190:191], v[14:15], -v[16:17]
	v_add_f64 v[16:17], v[38:39], v[196:197]
	v_add_f64 v[38:39], v[44:45], v[194:195]
	s_waitcnt vmcnt(6) lgkmcnt(0)
	v_mul_f64 v[44:45], v[10:11], v[24:25]
	v_mul_f64 v[24:25], v[12:13], v[24:25]
	v_fma_f64 v[182:183], v[4:5], v[18:19], v[182:183]
	v_fma_f64 v[18:19], v[2:3], v[18:19], -v[20:21]
	v_add_f64 v[20:21], v[16:17], v[14:15]
	v_add_f64 v[38:39], v[38:39], v[180:181]
	ds_load_b128 v[2:5], v1 offset:1280
	ds_load_b128 v[14:17], v1 offset:1296
	v_fma_f64 v[12:13], v[12:13], v[22:23], v[44:45]
	v_fma_f64 v[10:11], v[10:11], v[22:23], -v[24:25]
	s_waitcnt vmcnt(5) lgkmcnt(1)
	v_mul_f64 v[180:181], v[2:3], v[28:29]
	v_mul_f64 v[28:29], v[4:5], v[28:29]
	s_waitcnt vmcnt(4) lgkmcnt(0)
	v_mul_f64 v[22:23], v[14:15], v[32:33]
	v_mul_f64 v[24:25], v[16:17], v[32:33]
	v_add_f64 v[18:19], v[20:21], v[18:19]
	v_add_f64 v[20:21], v[38:39], v[182:183]
	v_fma_f64 v[32:33], v[4:5], v[26:27], v[180:181]
	v_fma_f64 v[26:27], v[2:3], v[26:27], -v[28:29]
	v_fma_f64 v[16:17], v[16:17], v[30:31], v[22:23]
	v_fma_f64 v[14:15], v[14:15], v[30:31], -v[24:25]
	v_add_f64 v[18:19], v[18:19], v[10:11]
	v_add_f64 v[20:21], v[20:21], v[12:13]
	ds_load_b128 v[2:5], v1 offset:1312
	ds_load_b128 v[10:13], v1 offset:1328
	s_waitcnt vmcnt(3) lgkmcnt(1)
	v_mul_f64 v[28:29], v[2:3], v[36:37]
	v_mul_f64 v[36:37], v[4:5], v[36:37]
	s_waitcnt vmcnt(2) lgkmcnt(0)
	v_mul_f64 v[22:23], v[10:11], v[42:43]
	v_add_f64 v[18:19], v[18:19], v[26:27]
	v_add_f64 v[20:21], v[20:21], v[32:33]
	v_mul_f64 v[24:25], v[12:13], v[42:43]
	v_fma_f64 v[26:27], v[4:5], v[34:35], v[28:29]
	v_fma_f64 v[28:29], v[2:3], v[34:35], -v[36:37]
	v_fma_f64 v[12:13], v[12:13], v[40:41], v[22:23]
	v_add_f64 v[18:19], v[18:19], v[14:15]
	v_add_f64 v[20:21], v[20:21], v[16:17]
	ds_load_b128 v[2:5], v1 offset:1344
	ds_load_b128 v[14:17], v1 offset:1360
	v_fma_f64 v[10:11], v[10:11], v[40:41], -v[24:25]
	s_waitcnt vmcnt(0) lgkmcnt(1)
	v_mul_f64 v[30:31], v[2:3], v[188:189]
	v_mul_f64 v[32:33], v[4:5], v[188:189]
	s_waitcnt lgkmcnt(0)
	v_mul_f64 v[22:23], v[14:15], v[8:9]
	v_mul_f64 v[8:9], v[16:17], v[8:9]
	v_add_f64 v[18:19], v[18:19], v[28:29]
	v_add_f64 v[20:21], v[20:21], v[26:27]
	v_fma_f64 v[4:5], v[4:5], v[186:187], v[30:31]
	v_fma_f64 v[1:2], v[2:3], v[186:187], -v[32:33]
	v_fma_f64 v[16:17], v[16:17], v[6:7], v[22:23]
	v_fma_f64 v[6:7], v[14:15], v[6:7], -v[8:9]
	v_add_f64 v[10:11], v[18:19], v[10:11]
	v_add_f64 v[12:13], v[20:21], v[12:13]
	s_delay_alu instid0(VALU_DEP_2) | instskip(NEXT) | instid1(VALU_DEP_2)
	v_add_f64 v[1:2], v[10:11], v[1:2]
	v_add_f64 v[3:4], v[12:13], v[4:5]
	s_delay_alu instid0(VALU_DEP_2) | instskip(NEXT) | instid1(VALU_DEP_2)
	;; [unrolled: 3-line block ×3, first 2 shown]
	v_add_f64 v[1:2], v[176:177], -v[1:2]
	v_add_f64 v[3:4], v[178:179], -v[3:4]
	scratch_store_b128 off, v[1:4], off offset:320
	v_cmpx_lt_u32_e32 19, v132
	s_cbranch_execz .LBB42_233
; %bb.232:
	scratch_load_b128 v[1:4], v155, off
	v_mov_b32_e32 v5, 0
	s_delay_alu instid0(VALU_DEP_1)
	v_mov_b32_e32 v6, v5
	v_mov_b32_e32 v7, v5
	;; [unrolled: 1-line block ×3, first 2 shown]
	scratch_store_b128 off, v[5:8], off offset:304
	s_waitcnt vmcnt(0)
	ds_store_b128 v175, v[1:4]
.LBB42_233:
	s_or_b32 exec_lo, exec_lo, s2
	s_waitcnt lgkmcnt(0)
	s_waitcnt_vscnt null, 0x0
	s_barrier
	buffer_gl0_inv
	s_clause 0x7
	scratch_load_b128 v[2:5], off, off offset:320
	scratch_load_b128 v[6:9], off, off offset:336
	scratch_load_b128 v[10:13], off, off offset:352
	scratch_load_b128 v[14:17], off, off offset:368
	scratch_load_b128 v[18:21], off, off offset:384
	scratch_load_b128 v[22:25], off, off offset:400
	scratch_load_b128 v[26:29], off, off offset:416
	scratch_load_b128 v[30:33], off, off offset:432
	v_mov_b32_e32 v1, 0
	s_mov_b32 s2, exec_lo
	ds_load_b128 v[34:37], v1 offset:1008
	s_clause 0x1
	scratch_load_b128 v[38:41], off, off offset:448
	scratch_load_b128 v[42:45], off, off offset:304
	ds_load_b128 v[176:179], v1 offset:1024
	scratch_load_b128 v[180:183], off, off offset:464
	s_waitcnt vmcnt(10) lgkmcnt(1)
	v_mul_f64 v[184:185], v[36:37], v[4:5]
	v_mul_f64 v[4:5], v[34:35], v[4:5]
	s_delay_alu instid0(VALU_DEP_2) | instskip(NEXT) | instid1(VALU_DEP_2)
	v_fma_f64 v[190:191], v[34:35], v[2:3], -v[184:185]
	v_fma_f64 v[192:193], v[36:37], v[2:3], v[4:5]
	scratch_load_b128 v[34:37], off, off offset:480
	ds_load_b128 v[2:5], v1 offset:1040
	s_waitcnt vmcnt(10) lgkmcnt(1)
	v_mul_f64 v[188:189], v[176:177], v[8:9]
	v_mul_f64 v[8:9], v[178:179], v[8:9]
	ds_load_b128 v[184:187], v1 offset:1056
	s_waitcnt vmcnt(9) lgkmcnt(1)
	v_mul_f64 v[194:195], v[2:3], v[12:13]
	v_mul_f64 v[12:13], v[4:5], v[12:13]
	v_fma_f64 v[178:179], v[178:179], v[6:7], v[188:189]
	v_fma_f64 v[176:177], v[176:177], v[6:7], -v[8:9]
	v_add_f64 v[188:189], v[190:191], 0
	v_add_f64 v[190:191], v[192:193], 0
	scratch_load_b128 v[6:9], off, off offset:496
	v_fma_f64 v[194:195], v[4:5], v[10:11], v[194:195]
	v_fma_f64 v[196:197], v[2:3], v[10:11], -v[12:13]
	scratch_load_b128 v[10:13], off, off offset:512
	ds_load_b128 v[2:5], v1 offset:1072
	s_waitcnt vmcnt(10) lgkmcnt(1)
	v_mul_f64 v[192:193], v[184:185], v[16:17]
	v_mul_f64 v[16:17], v[186:187], v[16:17]
	v_add_f64 v[188:189], v[188:189], v[176:177]
	v_add_f64 v[190:191], v[190:191], v[178:179]
	s_waitcnt vmcnt(9) lgkmcnt(0)
	v_mul_f64 v[198:199], v[2:3], v[20:21]
	v_mul_f64 v[20:21], v[4:5], v[20:21]
	ds_load_b128 v[176:179], v1 offset:1088
	v_fma_f64 v[186:187], v[186:187], v[14:15], v[192:193]
	v_fma_f64 v[184:185], v[184:185], v[14:15], -v[16:17]
	scratch_load_b128 v[14:17], off, off offset:528
	v_add_f64 v[188:189], v[188:189], v[196:197]
	v_add_f64 v[190:191], v[190:191], v[194:195]
	v_fma_f64 v[194:195], v[4:5], v[18:19], v[198:199]
	v_fma_f64 v[196:197], v[2:3], v[18:19], -v[20:21]
	scratch_load_b128 v[18:21], off, off offset:544
	ds_load_b128 v[2:5], v1 offset:1104
	s_waitcnt vmcnt(10) lgkmcnt(1)
	v_mul_f64 v[192:193], v[176:177], v[24:25]
	v_mul_f64 v[24:25], v[178:179], v[24:25]
	s_waitcnt vmcnt(9) lgkmcnt(0)
	v_mul_f64 v[198:199], v[2:3], v[28:29]
	v_mul_f64 v[28:29], v[4:5], v[28:29]
	v_add_f64 v[188:189], v[188:189], v[184:185]
	v_add_f64 v[190:191], v[190:191], v[186:187]
	ds_load_b128 v[184:187], v1 offset:1120
	v_fma_f64 v[178:179], v[178:179], v[22:23], v[192:193]
	v_fma_f64 v[176:177], v[176:177], v[22:23], -v[24:25]
	scratch_load_b128 v[22:25], off, off offset:560
	v_add_f64 v[188:189], v[188:189], v[196:197]
	v_add_f64 v[190:191], v[190:191], v[194:195]
	v_fma_f64 v[194:195], v[4:5], v[26:27], v[198:199]
	v_fma_f64 v[196:197], v[2:3], v[26:27], -v[28:29]
	scratch_load_b128 v[26:29], off, off offset:576
	ds_load_b128 v[2:5], v1 offset:1136
	s_waitcnt vmcnt(10) lgkmcnt(1)
	v_mul_f64 v[192:193], v[184:185], v[32:33]
	v_mul_f64 v[32:33], v[186:187], v[32:33]
	s_waitcnt vmcnt(9) lgkmcnt(0)
	v_mul_f64 v[198:199], v[2:3], v[40:41]
	v_mul_f64 v[40:41], v[4:5], v[40:41]
	v_add_f64 v[188:189], v[188:189], v[176:177]
	v_add_f64 v[190:191], v[190:191], v[178:179]
	ds_load_b128 v[176:179], v1 offset:1152
	v_fma_f64 v[186:187], v[186:187], v[30:31], v[192:193]
	v_fma_f64 v[184:185], v[184:185], v[30:31], -v[32:33]
	scratch_load_b128 v[30:33], off, off offset:592
	v_add_f64 v[188:189], v[188:189], v[196:197]
	v_add_f64 v[190:191], v[190:191], v[194:195]
	v_fma_f64 v[196:197], v[4:5], v[38:39], v[198:199]
	v_fma_f64 v[198:199], v[2:3], v[38:39], -v[40:41]
	scratch_load_b128 v[38:41], off, off offset:608
	ds_load_b128 v[2:5], v1 offset:1168
	s_waitcnt vmcnt(9) lgkmcnt(1)
	v_mul_f64 v[192:193], v[176:177], v[182:183]
	v_mul_f64 v[194:195], v[178:179], v[182:183]
	v_add_f64 v[188:189], v[188:189], v[184:185]
	v_add_f64 v[186:187], v[190:191], v[186:187]
	ds_load_b128 v[182:185], v1 offset:1184
	v_fma_f64 v[192:193], v[178:179], v[180:181], v[192:193]
	v_fma_f64 v[180:181], v[176:177], v[180:181], -v[194:195]
	scratch_load_b128 v[176:179], off, off offset:624
	s_waitcnt vmcnt(9) lgkmcnt(1)
	v_mul_f64 v[190:191], v[2:3], v[36:37]
	v_mul_f64 v[36:37], v[4:5], v[36:37]
	v_add_f64 v[188:189], v[188:189], v[198:199]
	v_add_f64 v[186:187], v[186:187], v[196:197]
	s_delay_alu instid0(VALU_DEP_4) | instskip(NEXT) | instid1(VALU_DEP_4)
	v_fma_f64 v[190:191], v[4:5], v[34:35], v[190:191]
	v_fma_f64 v[196:197], v[2:3], v[34:35], -v[36:37]
	scratch_load_b128 v[34:37], off, off offset:640
	ds_load_b128 v[2:5], v1 offset:1200
	s_waitcnt vmcnt(9) lgkmcnt(1)
	v_mul_f64 v[194:195], v[182:183], v[8:9]
	v_mul_f64 v[8:9], v[184:185], v[8:9]
	s_waitcnt vmcnt(8) lgkmcnt(0)
	v_mul_f64 v[198:199], v[2:3], v[12:13]
	v_mul_f64 v[12:13], v[4:5], v[12:13]
	v_add_f64 v[180:181], v[188:189], v[180:181]
	v_add_f64 v[192:193], v[186:187], v[192:193]
	ds_load_b128 v[186:189], v1 offset:1216
	v_fma_f64 v[184:185], v[184:185], v[6:7], v[194:195]
	v_fma_f64 v[182:183], v[182:183], v[6:7], -v[8:9]
	scratch_load_b128 v[6:9], off, off offset:656
	v_fma_f64 v[194:195], v[4:5], v[10:11], v[198:199]
	v_add_f64 v[180:181], v[180:181], v[196:197]
	v_add_f64 v[190:191], v[192:193], v[190:191]
	v_fma_f64 v[196:197], v[2:3], v[10:11], -v[12:13]
	scratch_load_b128 v[10:13], off, off offset:672
	ds_load_b128 v[2:5], v1 offset:1232
	s_waitcnt vmcnt(9) lgkmcnt(1)
	v_mul_f64 v[192:193], v[186:187], v[16:17]
	v_mul_f64 v[16:17], v[188:189], v[16:17]
	v_add_f64 v[198:199], v[180:181], v[182:183]
	v_add_f64 v[184:185], v[190:191], v[184:185]
	s_waitcnt vmcnt(8) lgkmcnt(0)
	v_mul_f64 v[190:191], v[2:3], v[20:21]
	v_mul_f64 v[20:21], v[4:5], v[20:21]
	ds_load_b128 v[180:183], v1 offset:1248
	v_fma_f64 v[188:189], v[188:189], v[14:15], v[192:193]
	v_fma_f64 v[14:15], v[186:187], v[14:15], -v[16:17]
	s_waitcnt vmcnt(7) lgkmcnt(0)
	v_mul_f64 v[186:187], v[180:181], v[24:25]
	v_mul_f64 v[24:25], v[182:183], v[24:25]
	v_add_f64 v[16:17], v[198:199], v[196:197]
	v_add_f64 v[184:185], v[184:185], v[194:195]
	v_fma_f64 v[190:191], v[4:5], v[18:19], v[190:191]
	v_fma_f64 v[18:19], v[2:3], v[18:19], -v[20:21]
	v_fma_f64 v[182:183], v[182:183], v[22:23], v[186:187]
	v_fma_f64 v[22:23], v[180:181], v[22:23], -v[24:25]
	v_add_f64 v[20:21], v[16:17], v[14:15]
	v_add_f64 v[184:185], v[184:185], v[188:189]
	ds_load_b128 v[2:5], v1 offset:1264
	ds_load_b128 v[14:17], v1 offset:1280
	s_waitcnt vmcnt(6) lgkmcnt(1)
	v_mul_f64 v[188:189], v[2:3], v[28:29]
	v_mul_f64 v[28:29], v[4:5], v[28:29]
	s_waitcnt vmcnt(5) lgkmcnt(0)
	v_mul_f64 v[24:25], v[14:15], v[32:33]
	v_mul_f64 v[32:33], v[16:17], v[32:33]
	v_add_f64 v[18:19], v[20:21], v[18:19]
	v_add_f64 v[20:21], v[184:185], v[190:191]
	v_fma_f64 v[180:181], v[4:5], v[26:27], v[188:189]
	v_fma_f64 v[26:27], v[2:3], v[26:27], -v[28:29]
	v_fma_f64 v[16:17], v[16:17], v[30:31], v[24:25]
	v_fma_f64 v[14:15], v[14:15], v[30:31], -v[32:33]
	v_add_f64 v[22:23], v[18:19], v[22:23]
	v_add_f64 v[28:29], v[20:21], v[182:183]
	ds_load_b128 v[2:5], v1 offset:1296
	ds_load_b128 v[18:21], v1 offset:1312
	s_waitcnt vmcnt(4) lgkmcnt(1)
	v_mul_f64 v[182:183], v[2:3], v[40:41]
	v_mul_f64 v[40:41], v[4:5], v[40:41]
	v_add_f64 v[22:23], v[22:23], v[26:27]
	v_add_f64 v[24:25], v[28:29], v[180:181]
	s_waitcnt vmcnt(3) lgkmcnt(0)
	v_mul_f64 v[26:27], v[18:19], v[178:179]
	v_mul_f64 v[28:29], v[20:21], v[178:179]
	v_fma_f64 v[30:31], v[4:5], v[38:39], v[182:183]
	v_fma_f64 v[32:33], v[2:3], v[38:39], -v[40:41]
	v_add_f64 v[22:23], v[22:23], v[14:15]
	v_add_f64 v[24:25], v[24:25], v[16:17]
	ds_load_b128 v[2:5], v1 offset:1328
	ds_load_b128 v[14:17], v1 offset:1344
	v_fma_f64 v[20:21], v[20:21], v[176:177], v[26:27]
	v_fma_f64 v[18:19], v[18:19], v[176:177], -v[28:29]
	s_waitcnt vmcnt(2) lgkmcnt(1)
	v_mul_f64 v[38:39], v[2:3], v[36:37]
	v_mul_f64 v[36:37], v[4:5], v[36:37]
	s_waitcnt vmcnt(1) lgkmcnt(0)
	v_mul_f64 v[26:27], v[14:15], v[8:9]
	v_mul_f64 v[8:9], v[16:17], v[8:9]
	v_add_f64 v[22:23], v[22:23], v[32:33]
	v_add_f64 v[24:25], v[24:25], v[30:31]
	v_fma_f64 v[28:29], v[4:5], v[34:35], v[38:39]
	v_fma_f64 v[30:31], v[2:3], v[34:35], -v[36:37]
	ds_load_b128 v[2:5], v1 offset:1360
	v_fma_f64 v[16:17], v[16:17], v[6:7], v[26:27]
	v_fma_f64 v[6:7], v[14:15], v[6:7], -v[8:9]
	v_add_f64 v[18:19], v[22:23], v[18:19]
	v_add_f64 v[20:21], v[24:25], v[20:21]
	s_waitcnt vmcnt(0) lgkmcnt(0)
	v_mul_f64 v[22:23], v[2:3], v[12:13]
	v_mul_f64 v[12:13], v[4:5], v[12:13]
	s_delay_alu instid0(VALU_DEP_4) | instskip(NEXT) | instid1(VALU_DEP_4)
	v_add_f64 v[8:9], v[18:19], v[30:31]
	v_add_f64 v[14:15], v[20:21], v[28:29]
	s_delay_alu instid0(VALU_DEP_4) | instskip(NEXT) | instid1(VALU_DEP_4)
	v_fma_f64 v[4:5], v[4:5], v[10:11], v[22:23]
	v_fma_f64 v[2:3], v[2:3], v[10:11], -v[12:13]
	s_delay_alu instid0(VALU_DEP_4) | instskip(NEXT) | instid1(VALU_DEP_4)
	v_add_f64 v[6:7], v[8:9], v[6:7]
	v_add_f64 v[8:9], v[14:15], v[16:17]
	s_delay_alu instid0(VALU_DEP_2) | instskip(NEXT) | instid1(VALU_DEP_2)
	v_add_f64 v[2:3], v[6:7], v[2:3]
	v_add_f64 v[4:5], v[8:9], v[4:5]
	s_delay_alu instid0(VALU_DEP_2) | instskip(NEXT) | instid1(VALU_DEP_2)
	v_add_f64 v[2:3], v[42:43], -v[2:3]
	v_add_f64 v[4:5], v[44:45], -v[4:5]
	scratch_store_b128 off, v[2:5], off offset:304
	v_cmpx_lt_u32_e32 18, v132
	s_cbranch_execz .LBB42_235
; %bb.234:
	scratch_load_b128 v[5:8], v157, off
	v_mov_b32_e32 v2, v1
	v_mov_b32_e32 v3, v1
	;; [unrolled: 1-line block ×3, first 2 shown]
	scratch_store_b128 off, v[1:4], off offset:288
	s_waitcnt vmcnt(0)
	ds_store_b128 v175, v[5:8]
.LBB42_235:
	s_or_b32 exec_lo, exec_lo, s2
	s_waitcnt lgkmcnt(0)
	s_waitcnt_vscnt null, 0x0
	s_barrier
	buffer_gl0_inv
	s_clause 0x8
	scratch_load_b128 v[2:5], off, off offset:304
	scratch_load_b128 v[6:9], off, off offset:320
	;; [unrolled: 1-line block ×9, first 2 shown]
	ds_load_b128 v[38:41], v1 offset:992
	ds_load_b128 v[42:45], v1 offset:1008
	s_clause 0x1
	scratch_load_b128 v[176:179], off, off offset:288
	scratch_load_b128 v[180:183], off, off offset:448
	s_mov_b32 s2, exec_lo
	s_waitcnt vmcnt(10) lgkmcnt(1)
	v_mul_f64 v[184:185], v[40:41], v[4:5]
	v_mul_f64 v[4:5], v[38:39], v[4:5]
	s_waitcnt vmcnt(9) lgkmcnt(0)
	v_mul_f64 v[188:189], v[42:43], v[8:9]
	v_mul_f64 v[8:9], v[44:45], v[8:9]
	s_delay_alu instid0(VALU_DEP_4) | instskip(NEXT) | instid1(VALU_DEP_4)
	v_fma_f64 v[190:191], v[38:39], v[2:3], -v[184:185]
	v_fma_f64 v[192:193], v[40:41], v[2:3], v[4:5]
	ds_load_b128 v[2:5], v1 offset:1024
	ds_load_b128 v[184:187], v1 offset:1040
	scratch_load_b128 v[38:41], off, off offset:464
	v_fma_f64 v[44:45], v[44:45], v[6:7], v[188:189]
	v_fma_f64 v[42:43], v[42:43], v[6:7], -v[8:9]
	scratch_load_b128 v[6:9], off, off offset:480
	s_waitcnt vmcnt(10) lgkmcnt(1)
	v_mul_f64 v[194:195], v[2:3], v[12:13]
	v_mul_f64 v[12:13], v[4:5], v[12:13]
	v_add_f64 v[188:189], v[190:191], 0
	v_add_f64 v[190:191], v[192:193], 0
	s_waitcnt vmcnt(9) lgkmcnt(0)
	v_mul_f64 v[192:193], v[184:185], v[16:17]
	v_mul_f64 v[16:17], v[186:187], v[16:17]
	v_fma_f64 v[194:195], v[4:5], v[10:11], v[194:195]
	v_fma_f64 v[196:197], v[2:3], v[10:11], -v[12:13]
	ds_load_b128 v[2:5], v1 offset:1056
	scratch_load_b128 v[10:13], off, off offset:496
	v_add_f64 v[188:189], v[188:189], v[42:43]
	v_add_f64 v[190:191], v[190:191], v[44:45]
	ds_load_b128 v[42:45], v1 offset:1072
	v_fma_f64 v[186:187], v[186:187], v[14:15], v[192:193]
	v_fma_f64 v[184:185], v[184:185], v[14:15], -v[16:17]
	scratch_load_b128 v[14:17], off, off offset:512
	s_waitcnt vmcnt(10) lgkmcnt(1)
	v_mul_f64 v[198:199], v[2:3], v[20:21]
	v_mul_f64 v[20:21], v[4:5], v[20:21]
	s_waitcnt vmcnt(9) lgkmcnt(0)
	v_mul_f64 v[192:193], v[42:43], v[24:25]
	v_mul_f64 v[24:25], v[44:45], v[24:25]
	v_add_f64 v[188:189], v[188:189], v[196:197]
	v_add_f64 v[190:191], v[190:191], v[194:195]
	v_fma_f64 v[194:195], v[4:5], v[18:19], v[198:199]
	v_fma_f64 v[196:197], v[2:3], v[18:19], -v[20:21]
	ds_load_b128 v[2:5], v1 offset:1088
	scratch_load_b128 v[18:21], off, off offset:528
	v_fma_f64 v[44:45], v[44:45], v[22:23], v[192:193]
	v_fma_f64 v[42:43], v[42:43], v[22:23], -v[24:25]
	scratch_load_b128 v[22:25], off, off offset:544
	v_add_f64 v[188:189], v[188:189], v[184:185]
	v_add_f64 v[190:191], v[190:191], v[186:187]
	ds_load_b128 v[184:187], v1 offset:1104
	s_waitcnt vmcnt(10) lgkmcnt(1)
	v_mul_f64 v[198:199], v[2:3], v[28:29]
	v_mul_f64 v[28:29], v[4:5], v[28:29]
	s_waitcnt vmcnt(9) lgkmcnt(0)
	v_mul_f64 v[192:193], v[184:185], v[32:33]
	v_mul_f64 v[32:33], v[186:187], v[32:33]
	v_add_f64 v[188:189], v[188:189], v[196:197]
	v_add_f64 v[190:191], v[190:191], v[194:195]
	v_fma_f64 v[194:195], v[4:5], v[26:27], v[198:199]
	v_fma_f64 v[196:197], v[2:3], v[26:27], -v[28:29]
	ds_load_b128 v[2:5], v1 offset:1120
	scratch_load_b128 v[26:29], off, off offset:560
	v_fma_f64 v[186:187], v[186:187], v[30:31], v[192:193]
	v_fma_f64 v[184:185], v[184:185], v[30:31], -v[32:33]
	scratch_load_b128 v[30:33], off, off offset:576
	v_add_f64 v[188:189], v[188:189], v[42:43]
	v_add_f64 v[190:191], v[190:191], v[44:45]
	ds_load_b128 v[42:45], v1 offset:1136
	s_waitcnt vmcnt(10) lgkmcnt(1)
	v_mul_f64 v[198:199], v[2:3], v[36:37]
	v_mul_f64 v[36:37], v[4:5], v[36:37]
	s_waitcnt vmcnt(8) lgkmcnt(0)
	v_mul_f64 v[192:193], v[42:43], v[182:183]
	v_add_f64 v[188:189], v[188:189], v[196:197]
	v_add_f64 v[190:191], v[190:191], v[194:195]
	v_mul_f64 v[194:195], v[44:45], v[182:183]
	v_fma_f64 v[196:197], v[4:5], v[34:35], v[198:199]
	v_fma_f64 v[198:199], v[2:3], v[34:35], -v[36:37]
	ds_load_b128 v[2:5], v1 offset:1152
	scratch_load_b128 v[34:37], off, off offset:592
	v_fma_f64 v[44:45], v[44:45], v[180:181], v[192:193]
	v_add_f64 v[188:189], v[188:189], v[184:185]
	v_add_f64 v[186:187], v[190:191], v[186:187]
	ds_load_b128 v[182:185], v1 offset:1168
	v_fma_f64 v[180:181], v[42:43], v[180:181], -v[194:195]
	s_waitcnt vmcnt(8) lgkmcnt(1)
	v_mul_f64 v[190:191], v[2:3], v[40:41]
	v_mul_f64 v[200:201], v[4:5], v[40:41]
	scratch_load_b128 v[40:43], off, off offset:608
	s_waitcnt vmcnt(8) lgkmcnt(0)
	v_mul_f64 v[194:195], v[182:183], v[8:9]
	v_mul_f64 v[8:9], v[184:185], v[8:9]
	v_add_f64 v[188:189], v[188:189], v[198:199]
	v_add_f64 v[186:187], v[186:187], v[196:197]
	v_fma_f64 v[196:197], v[4:5], v[38:39], v[190:191]
	v_fma_f64 v[38:39], v[2:3], v[38:39], -v[200:201]
	ds_load_b128 v[2:5], v1 offset:1184
	ds_load_b128 v[190:193], v1 offset:1200
	v_fma_f64 v[184:185], v[184:185], v[6:7], v[194:195]
	v_fma_f64 v[182:183], v[182:183], v[6:7], -v[8:9]
	scratch_load_b128 v[6:9], off, off offset:640
	v_add_f64 v[180:181], v[188:189], v[180:181]
	v_add_f64 v[44:45], v[186:187], v[44:45]
	scratch_load_b128 v[186:189], off, off offset:624
	s_waitcnt vmcnt(9) lgkmcnt(1)
	v_mul_f64 v[198:199], v[2:3], v[12:13]
	v_mul_f64 v[12:13], v[4:5], v[12:13]
	s_waitcnt vmcnt(8) lgkmcnt(0)
	v_mul_f64 v[194:195], v[190:191], v[16:17]
	v_mul_f64 v[16:17], v[192:193], v[16:17]
	v_add_f64 v[38:39], v[180:181], v[38:39]
	v_add_f64 v[44:45], v[44:45], v[196:197]
	v_fma_f64 v[196:197], v[4:5], v[10:11], v[198:199]
	v_fma_f64 v[198:199], v[2:3], v[10:11], -v[12:13]
	ds_load_b128 v[2:5], v1 offset:1216
	scratch_load_b128 v[10:13], off, off offset:656
	v_fma_f64 v[192:193], v[192:193], v[14:15], v[194:195]
	v_fma_f64 v[190:191], v[190:191], v[14:15], -v[16:17]
	scratch_load_b128 v[14:17], off, off offset:672
	v_add_f64 v[38:39], v[38:39], v[182:183]
	v_add_f64 v[44:45], v[44:45], v[184:185]
	ds_load_b128 v[180:183], v1 offset:1232
	s_waitcnt vmcnt(9) lgkmcnt(1)
	v_mul_f64 v[184:185], v[2:3], v[20:21]
	v_mul_f64 v[20:21], v[4:5], v[20:21]
	s_waitcnt vmcnt(8) lgkmcnt(0)
	v_mul_f64 v[194:195], v[180:181], v[24:25]
	v_mul_f64 v[24:25], v[182:183], v[24:25]
	v_add_f64 v[38:39], v[38:39], v[198:199]
	v_add_f64 v[44:45], v[44:45], v[196:197]
	v_fma_f64 v[184:185], v[4:5], v[18:19], v[184:185]
	v_fma_f64 v[196:197], v[2:3], v[18:19], -v[20:21]
	ds_load_b128 v[2:5], v1 offset:1248
	ds_load_b128 v[18:21], v1 offset:1264
	v_fma_f64 v[182:183], v[182:183], v[22:23], v[194:195]
	v_fma_f64 v[22:23], v[180:181], v[22:23], -v[24:25]
	v_add_f64 v[38:39], v[38:39], v[190:191]
	v_add_f64 v[44:45], v[44:45], v[192:193]
	s_waitcnt vmcnt(7) lgkmcnt(1)
	v_mul_f64 v[190:191], v[2:3], v[28:29]
	v_mul_f64 v[28:29], v[4:5], v[28:29]
	s_delay_alu instid0(VALU_DEP_4) | instskip(NEXT) | instid1(VALU_DEP_4)
	v_add_f64 v[24:25], v[38:39], v[196:197]
	v_add_f64 v[38:39], v[44:45], v[184:185]
	s_waitcnt vmcnt(6) lgkmcnt(0)
	v_mul_f64 v[44:45], v[18:19], v[32:33]
	v_mul_f64 v[32:33], v[20:21], v[32:33]
	v_fma_f64 v[180:181], v[4:5], v[26:27], v[190:191]
	v_fma_f64 v[26:27], v[2:3], v[26:27], -v[28:29]
	v_add_f64 v[28:29], v[24:25], v[22:23]
	v_add_f64 v[38:39], v[38:39], v[182:183]
	ds_load_b128 v[2:5], v1 offset:1280
	ds_load_b128 v[22:25], v1 offset:1296
	v_fma_f64 v[20:21], v[20:21], v[30:31], v[44:45]
	v_fma_f64 v[18:19], v[18:19], v[30:31], -v[32:33]
	s_waitcnt vmcnt(5) lgkmcnt(1)
	v_mul_f64 v[182:183], v[2:3], v[36:37]
	v_mul_f64 v[36:37], v[4:5], v[36:37]
	s_waitcnt vmcnt(4) lgkmcnt(0)
	v_mul_f64 v[30:31], v[22:23], v[42:43]
	v_add_f64 v[26:27], v[28:29], v[26:27]
	v_add_f64 v[28:29], v[38:39], v[180:181]
	v_mul_f64 v[32:33], v[24:25], v[42:43]
	v_fma_f64 v[38:39], v[4:5], v[34:35], v[182:183]
	v_fma_f64 v[34:35], v[2:3], v[34:35], -v[36:37]
	v_fma_f64 v[24:25], v[24:25], v[40:41], v[30:31]
	v_add_f64 v[26:27], v[26:27], v[18:19]
	v_add_f64 v[28:29], v[28:29], v[20:21]
	ds_load_b128 v[2:5], v1 offset:1312
	ds_load_b128 v[18:21], v1 offset:1328
	v_fma_f64 v[22:23], v[22:23], v[40:41], -v[32:33]
	s_waitcnt vmcnt(2) lgkmcnt(1)
	v_mul_f64 v[36:37], v[2:3], v[188:189]
	v_mul_f64 v[42:43], v[4:5], v[188:189]
	s_waitcnt lgkmcnt(0)
	v_mul_f64 v[30:31], v[18:19], v[8:9]
	v_mul_f64 v[8:9], v[20:21], v[8:9]
	v_add_f64 v[26:27], v[26:27], v[34:35]
	v_add_f64 v[28:29], v[28:29], v[38:39]
	v_fma_f64 v[32:33], v[4:5], v[186:187], v[36:37]
	v_fma_f64 v[34:35], v[2:3], v[186:187], -v[42:43]
	v_fma_f64 v[20:21], v[20:21], v[6:7], v[30:31]
	v_fma_f64 v[6:7], v[18:19], v[6:7], -v[8:9]
	v_add_f64 v[26:27], v[26:27], v[22:23]
	v_add_f64 v[28:29], v[28:29], v[24:25]
	ds_load_b128 v[2:5], v1 offset:1344
	ds_load_b128 v[22:25], v1 offset:1360
	s_waitcnt vmcnt(1) lgkmcnt(1)
	v_mul_f64 v[36:37], v[2:3], v[12:13]
	v_mul_f64 v[12:13], v[4:5], v[12:13]
	v_add_f64 v[8:9], v[26:27], v[34:35]
	v_add_f64 v[18:19], v[28:29], v[32:33]
	s_waitcnt vmcnt(0) lgkmcnt(0)
	v_mul_f64 v[26:27], v[22:23], v[16:17]
	v_mul_f64 v[16:17], v[24:25], v[16:17]
	v_fma_f64 v[4:5], v[4:5], v[10:11], v[36:37]
	v_fma_f64 v[1:2], v[2:3], v[10:11], -v[12:13]
	v_add_f64 v[6:7], v[8:9], v[6:7]
	v_add_f64 v[8:9], v[18:19], v[20:21]
	v_fma_f64 v[10:11], v[24:25], v[14:15], v[26:27]
	v_fma_f64 v[12:13], v[22:23], v[14:15], -v[16:17]
	s_delay_alu instid0(VALU_DEP_4) | instskip(NEXT) | instid1(VALU_DEP_4)
	v_add_f64 v[1:2], v[6:7], v[1:2]
	v_add_f64 v[3:4], v[8:9], v[4:5]
	s_delay_alu instid0(VALU_DEP_2) | instskip(NEXT) | instid1(VALU_DEP_2)
	v_add_f64 v[1:2], v[1:2], v[12:13]
	v_add_f64 v[3:4], v[3:4], v[10:11]
	s_delay_alu instid0(VALU_DEP_2) | instskip(NEXT) | instid1(VALU_DEP_2)
	v_add_f64 v[1:2], v[176:177], -v[1:2]
	v_add_f64 v[3:4], v[178:179], -v[3:4]
	scratch_store_b128 off, v[1:4], off offset:288
	v_cmpx_lt_u32_e32 17, v132
	s_cbranch_execz .LBB42_237
; %bb.236:
	scratch_load_b128 v[1:4], v159, off
	v_mov_b32_e32 v5, 0
	s_delay_alu instid0(VALU_DEP_1)
	v_mov_b32_e32 v6, v5
	v_mov_b32_e32 v7, v5
	;; [unrolled: 1-line block ×3, first 2 shown]
	scratch_store_b128 off, v[5:8], off offset:272
	s_waitcnt vmcnt(0)
	ds_store_b128 v175, v[1:4]
.LBB42_237:
	s_or_b32 exec_lo, exec_lo, s2
	s_waitcnt lgkmcnt(0)
	s_waitcnt_vscnt null, 0x0
	s_barrier
	buffer_gl0_inv
	s_clause 0x7
	scratch_load_b128 v[2:5], off, off offset:288
	scratch_load_b128 v[6:9], off, off offset:304
	;; [unrolled: 1-line block ×8, first 2 shown]
	v_mov_b32_e32 v1, 0
	s_mov_b32 s2, exec_lo
	ds_load_b128 v[34:37], v1 offset:976
	s_clause 0x1
	scratch_load_b128 v[38:41], off, off offset:416
	scratch_load_b128 v[42:45], off, off offset:272
	ds_load_b128 v[176:179], v1 offset:992
	scratch_load_b128 v[180:183], off, off offset:432
	s_waitcnt vmcnt(10) lgkmcnt(1)
	v_mul_f64 v[184:185], v[36:37], v[4:5]
	v_mul_f64 v[4:5], v[34:35], v[4:5]
	s_delay_alu instid0(VALU_DEP_2) | instskip(NEXT) | instid1(VALU_DEP_2)
	v_fma_f64 v[190:191], v[34:35], v[2:3], -v[184:185]
	v_fma_f64 v[192:193], v[36:37], v[2:3], v[4:5]
	scratch_load_b128 v[34:37], off, off offset:448
	ds_load_b128 v[2:5], v1 offset:1008
	s_waitcnt vmcnt(10) lgkmcnt(1)
	v_mul_f64 v[188:189], v[176:177], v[8:9]
	v_mul_f64 v[8:9], v[178:179], v[8:9]
	ds_load_b128 v[184:187], v1 offset:1024
	s_waitcnt vmcnt(9) lgkmcnt(1)
	v_mul_f64 v[194:195], v[2:3], v[12:13]
	v_mul_f64 v[12:13], v[4:5], v[12:13]
	v_fma_f64 v[178:179], v[178:179], v[6:7], v[188:189]
	v_fma_f64 v[176:177], v[176:177], v[6:7], -v[8:9]
	v_add_f64 v[188:189], v[190:191], 0
	v_add_f64 v[190:191], v[192:193], 0
	scratch_load_b128 v[6:9], off, off offset:464
	v_fma_f64 v[194:195], v[4:5], v[10:11], v[194:195]
	v_fma_f64 v[196:197], v[2:3], v[10:11], -v[12:13]
	scratch_load_b128 v[10:13], off, off offset:480
	ds_load_b128 v[2:5], v1 offset:1040
	s_waitcnt vmcnt(10) lgkmcnt(1)
	v_mul_f64 v[192:193], v[184:185], v[16:17]
	v_mul_f64 v[16:17], v[186:187], v[16:17]
	v_add_f64 v[188:189], v[188:189], v[176:177]
	v_add_f64 v[190:191], v[190:191], v[178:179]
	s_waitcnt vmcnt(9) lgkmcnt(0)
	v_mul_f64 v[198:199], v[2:3], v[20:21]
	v_mul_f64 v[20:21], v[4:5], v[20:21]
	ds_load_b128 v[176:179], v1 offset:1056
	v_fma_f64 v[186:187], v[186:187], v[14:15], v[192:193]
	v_fma_f64 v[184:185], v[184:185], v[14:15], -v[16:17]
	scratch_load_b128 v[14:17], off, off offset:496
	v_add_f64 v[188:189], v[188:189], v[196:197]
	v_add_f64 v[190:191], v[190:191], v[194:195]
	v_fma_f64 v[194:195], v[4:5], v[18:19], v[198:199]
	v_fma_f64 v[196:197], v[2:3], v[18:19], -v[20:21]
	scratch_load_b128 v[18:21], off, off offset:512
	ds_load_b128 v[2:5], v1 offset:1072
	s_waitcnt vmcnt(10) lgkmcnt(1)
	v_mul_f64 v[192:193], v[176:177], v[24:25]
	v_mul_f64 v[24:25], v[178:179], v[24:25]
	s_waitcnt vmcnt(9) lgkmcnt(0)
	v_mul_f64 v[198:199], v[2:3], v[28:29]
	v_mul_f64 v[28:29], v[4:5], v[28:29]
	v_add_f64 v[188:189], v[188:189], v[184:185]
	v_add_f64 v[190:191], v[190:191], v[186:187]
	ds_load_b128 v[184:187], v1 offset:1088
	v_fma_f64 v[178:179], v[178:179], v[22:23], v[192:193]
	v_fma_f64 v[176:177], v[176:177], v[22:23], -v[24:25]
	scratch_load_b128 v[22:25], off, off offset:528
	v_add_f64 v[188:189], v[188:189], v[196:197]
	v_add_f64 v[190:191], v[190:191], v[194:195]
	v_fma_f64 v[194:195], v[4:5], v[26:27], v[198:199]
	v_fma_f64 v[196:197], v[2:3], v[26:27], -v[28:29]
	scratch_load_b128 v[26:29], off, off offset:544
	ds_load_b128 v[2:5], v1 offset:1104
	s_waitcnt vmcnt(10) lgkmcnt(1)
	v_mul_f64 v[192:193], v[184:185], v[32:33]
	v_mul_f64 v[32:33], v[186:187], v[32:33]
	s_waitcnt vmcnt(9) lgkmcnt(0)
	v_mul_f64 v[198:199], v[2:3], v[40:41]
	v_mul_f64 v[40:41], v[4:5], v[40:41]
	v_add_f64 v[188:189], v[188:189], v[176:177]
	v_add_f64 v[190:191], v[190:191], v[178:179]
	ds_load_b128 v[176:179], v1 offset:1120
	v_fma_f64 v[186:187], v[186:187], v[30:31], v[192:193]
	v_fma_f64 v[184:185], v[184:185], v[30:31], -v[32:33]
	scratch_load_b128 v[30:33], off, off offset:560
	v_add_f64 v[188:189], v[188:189], v[196:197]
	v_add_f64 v[190:191], v[190:191], v[194:195]
	v_fma_f64 v[196:197], v[4:5], v[38:39], v[198:199]
	v_fma_f64 v[198:199], v[2:3], v[38:39], -v[40:41]
	scratch_load_b128 v[38:41], off, off offset:576
	ds_load_b128 v[2:5], v1 offset:1136
	s_waitcnt vmcnt(9) lgkmcnt(1)
	v_mul_f64 v[192:193], v[176:177], v[182:183]
	v_mul_f64 v[194:195], v[178:179], v[182:183]
	v_add_f64 v[188:189], v[188:189], v[184:185]
	v_add_f64 v[186:187], v[190:191], v[186:187]
	ds_load_b128 v[182:185], v1 offset:1152
	v_fma_f64 v[192:193], v[178:179], v[180:181], v[192:193]
	v_fma_f64 v[180:181], v[176:177], v[180:181], -v[194:195]
	scratch_load_b128 v[176:179], off, off offset:592
	s_waitcnt vmcnt(9) lgkmcnt(1)
	v_mul_f64 v[190:191], v[2:3], v[36:37]
	v_mul_f64 v[36:37], v[4:5], v[36:37]
	v_add_f64 v[188:189], v[188:189], v[198:199]
	v_add_f64 v[186:187], v[186:187], v[196:197]
	s_delay_alu instid0(VALU_DEP_4) | instskip(NEXT) | instid1(VALU_DEP_4)
	v_fma_f64 v[190:191], v[4:5], v[34:35], v[190:191]
	v_fma_f64 v[196:197], v[2:3], v[34:35], -v[36:37]
	scratch_load_b128 v[34:37], off, off offset:608
	ds_load_b128 v[2:5], v1 offset:1168
	s_waitcnt vmcnt(9) lgkmcnt(1)
	v_mul_f64 v[194:195], v[182:183], v[8:9]
	v_mul_f64 v[8:9], v[184:185], v[8:9]
	s_waitcnt vmcnt(8) lgkmcnt(0)
	v_mul_f64 v[198:199], v[2:3], v[12:13]
	v_mul_f64 v[12:13], v[4:5], v[12:13]
	v_add_f64 v[180:181], v[188:189], v[180:181]
	v_add_f64 v[192:193], v[186:187], v[192:193]
	ds_load_b128 v[186:189], v1 offset:1184
	v_fma_f64 v[184:185], v[184:185], v[6:7], v[194:195]
	v_fma_f64 v[182:183], v[182:183], v[6:7], -v[8:9]
	scratch_load_b128 v[6:9], off, off offset:624
	v_fma_f64 v[194:195], v[4:5], v[10:11], v[198:199]
	v_add_f64 v[180:181], v[180:181], v[196:197]
	v_add_f64 v[190:191], v[192:193], v[190:191]
	v_fma_f64 v[196:197], v[2:3], v[10:11], -v[12:13]
	scratch_load_b128 v[10:13], off, off offset:640
	ds_load_b128 v[2:5], v1 offset:1200
	s_waitcnt vmcnt(9) lgkmcnt(1)
	v_mul_f64 v[192:193], v[186:187], v[16:17]
	v_mul_f64 v[16:17], v[188:189], v[16:17]
	v_add_f64 v[198:199], v[180:181], v[182:183]
	v_add_f64 v[184:185], v[190:191], v[184:185]
	s_waitcnt vmcnt(8) lgkmcnt(0)
	v_mul_f64 v[190:191], v[2:3], v[20:21]
	v_mul_f64 v[20:21], v[4:5], v[20:21]
	ds_load_b128 v[180:183], v1 offset:1216
	v_fma_f64 v[188:189], v[188:189], v[14:15], v[192:193]
	v_fma_f64 v[186:187], v[186:187], v[14:15], -v[16:17]
	scratch_load_b128 v[14:17], off, off offset:656
	v_add_f64 v[192:193], v[198:199], v[196:197]
	v_add_f64 v[184:185], v[184:185], v[194:195]
	v_fma_f64 v[190:191], v[4:5], v[18:19], v[190:191]
	v_fma_f64 v[196:197], v[2:3], v[18:19], -v[20:21]
	scratch_load_b128 v[18:21], off, off offset:672
	ds_load_b128 v[2:5], v1 offset:1232
	s_waitcnt vmcnt(9) lgkmcnt(1)
	v_mul_f64 v[194:195], v[180:181], v[24:25]
	v_mul_f64 v[24:25], v[182:183], v[24:25]
	s_waitcnt vmcnt(8) lgkmcnt(0)
	v_mul_f64 v[198:199], v[2:3], v[28:29]
	v_mul_f64 v[28:29], v[4:5], v[28:29]
	v_add_f64 v[192:193], v[192:193], v[186:187]
	v_add_f64 v[188:189], v[184:185], v[188:189]
	ds_load_b128 v[184:187], v1 offset:1248
	v_fma_f64 v[182:183], v[182:183], v[22:23], v[194:195]
	v_fma_f64 v[22:23], v[180:181], v[22:23], -v[24:25]
	v_add_f64 v[24:25], v[192:193], v[196:197]
	v_add_f64 v[180:181], v[188:189], v[190:191]
	s_waitcnt vmcnt(7) lgkmcnt(0)
	v_mul_f64 v[188:189], v[184:185], v[32:33]
	v_mul_f64 v[32:33], v[186:187], v[32:33]
	v_fma_f64 v[190:191], v[4:5], v[26:27], v[198:199]
	v_fma_f64 v[26:27], v[2:3], v[26:27], -v[28:29]
	v_add_f64 v[28:29], v[24:25], v[22:23]
	v_add_f64 v[180:181], v[180:181], v[182:183]
	ds_load_b128 v[2:5], v1 offset:1264
	ds_load_b128 v[22:25], v1 offset:1280
	v_fma_f64 v[186:187], v[186:187], v[30:31], v[188:189]
	v_fma_f64 v[30:31], v[184:185], v[30:31], -v[32:33]
	s_waitcnt vmcnt(6) lgkmcnt(1)
	v_mul_f64 v[182:183], v[2:3], v[40:41]
	v_mul_f64 v[40:41], v[4:5], v[40:41]
	s_waitcnt vmcnt(5) lgkmcnt(0)
	v_mul_f64 v[32:33], v[22:23], v[178:179]
	v_mul_f64 v[178:179], v[24:25], v[178:179]
	v_add_f64 v[26:27], v[28:29], v[26:27]
	v_add_f64 v[28:29], v[180:181], v[190:191]
	v_fma_f64 v[180:181], v[4:5], v[38:39], v[182:183]
	v_fma_f64 v[38:39], v[2:3], v[38:39], -v[40:41]
	v_fma_f64 v[24:25], v[24:25], v[176:177], v[32:33]
	v_fma_f64 v[22:23], v[22:23], v[176:177], -v[178:179]
	v_add_f64 v[30:31], v[26:27], v[30:31]
	v_add_f64 v[40:41], v[28:29], v[186:187]
	ds_load_b128 v[2:5], v1 offset:1296
	ds_load_b128 v[26:29], v1 offset:1312
	s_waitcnt vmcnt(4) lgkmcnt(1)
	v_mul_f64 v[182:183], v[2:3], v[36:37]
	v_mul_f64 v[36:37], v[4:5], v[36:37]
	v_add_f64 v[30:31], v[30:31], v[38:39]
	v_add_f64 v[32:33], v[40:41], v[180:181]
	s_waitcnt vmcnt(3) lgkmcnt(0)
	v_mul_f64 v[38:39], v[26:27], v[8:9]
	v_mul_f64 v[8:9], v[28:29], v[8:9]
	v_fma_f64 v[40:41], v[4:5], v[34:35], v[182:183]
	v_fma_f64 v[34:35], v[2:3], v[34:35], -v[36:37]
	v_add_f64 v[30:31], v[30:31], v[22:23]
	v_add_f64 v[32:33], v[32:33], v[24:25]
	ds_load_b128 v[2:5], v1 offset:1328
	ds_load_b128 v[22:25], v1 offset:1344
	v_fma_f64 v[28:29], v[28:29], v[6:7], v[38:39]
	v_fma_f64 v[6:7], v[26:27], v[6:7], -v[8:9]
	s_waitcnt vmcnt(2) lgkmcnt(1)
	v_mul_f64 v[36:37], v[2:3], v[12:13]
	v_mul_f64 v[12:13], v[4:5], v[12:13]
	v_add_f64 v[8:9], v[30:31], v[34:35]
	v_add_f64 v[26:27], v[32:33], v[40:41]
	s_waitcnt vmcnt(1) lgkmcnt(0)
	v_mul_f64 v[30:31], v[22:23], v[16:17]
	v_mul_f64 v[16:17], v[24:25], v[16:17]
	v_fma_f64 v[32:33], v[4:5], v[10:11], v[36:37]
	v_fma_f64 v[10:11], v[2:3], v[10:11], -v[12:13]
	ds_load_b128 v[2:5], v1 offset:1360
	v_add_f64 v[6:7], v[8:9], v[6:7]
	v_add_f64 v[8:9], v[26:27], v[28:29]
	v_fma_f64 v[24:25], v[24:25], v[14:15], v[30:31]
	v_fma_f64 v[14:15], v[22:23], v[14:15], -v[16:17]
	s_waitcnt vmcnt(0) lgkmcnt(0)
	v_mul_f64 v[12:13], v[2:3], v[20:21]
	v_mul_f64 v[20:21], v[4:5], v[20:21]
	v_add_f64 v[6:7], v[6:7], v[10:11]
	v_add_f64 v[8:9], v[8:9], v[32:33]
	s_delay_alu instid0(VALU_DEP_4) | instskip(NEXT) | instid1(VALU_DEP_4)
	v_fma_f64 v[4:5], v[4:5], v[18:19], v[12:13]
	v_fma_f64 v[2:3], v[2:3], v[18:19], -v[20:21]
	s_delay_alu instid0(VALU_DEP_4) | instskip(NEXT) | instid1(VALU_DEP_4)
	v_add_f64 v[6:7], v[6:7], v[14:15]
	v_add_f64 v[8:9], v[8:9], v[24:25]
	s_delay_alu instid0(VALU_DEP_2) | instskip(NEXT) | instid1(VALU_DEP_2)
	v_add_f64 v[2:3], v[6:7], v[2:3]
	v_add_f64 v[4:5], v[8:9], v[4:5]
	s_delay_alu instid0(VALU_DEP_2) | instskip(NEXT) | instid1(VALU_DEP_2)
	v_add_f64 v[2:3], v[42:43], -v[2:3]
	v_add_f64 v[4:5], v[44:45], -v[4:5]
	scratch_store_b128 off, v[2:5], off offset:272
	v_cmpx_lt_u32_e32 16, v132
	s_cbranch_execz .LBB42_239
; %bb.238:
	scratch_load_b128 v[5:8], v160, off
	v_mov_b32_e32 v2, v1
	v_mov_b32_e32 v3, v1
	;; [unrolled: 1-line block ×3, first 2 shown]
	scratch_store_b128 off, v[1:4], off offset:256
	s_waitcnt vmcnt(0)
	ds_store_b128 v175, v[5:8]
.LBB42_239:
	s_or_b32 exec_lo, exec_lo, s2
	s_waitcnt lgkmcnt(0)
	s_waitcnt_vscnt null, 0x0
	s_barrier
	buffer_gl0_inv
	s_clause 0x8
	scratch_load_b128 v[2:5], off, off offset:272
	scratch_load_b128 v[6:9], off, off offset:288
	;; [unrolled: 1-line block ×9, first 2 shown]
	ds_load_b128 v[38:41], v1 offset:960
	ds_load_b128 v[42:45], v1 offset:976
	s_clause 0x1
	scratch_load_b128 v[176:179], off, off offset:256
	scratch_load_b128 v[180:183], off, off offset:416
	s_mov_b32 s2, exec_lo
	s_waitcnt vmcnt(10) lgkmcnt(1)
	v_mul_f64 v[184:185], v[40:41], v[4:5]
	v_mul_f64 v[4:5], v[38:39], v[4:5]
	s_waitcnt vmcnt(9) lgkmcnt(0)
	v_mul_f64 v[188:189], v[42:43], v[8:9]
	v_mul_f64 v[8:9], v[44:45], v[8:9]
	s_delay_alu instid0(VALU_DEP_4) | instskip(NEXT) | instid1(VALU_DEP_4)
	v_fma_f64 v[190:191], v[38:39], v[2:3], -v[184:185]
	v_fma_f64 v[192:193], v[40:41], v[2:3], v[4:5]
	ds_load_b128 v[2:5], v1 offset:992
	ds_load_b128 v[184:187], v1 offset:1008
	scratch_load_b128 v[38:41], off, off offset:432
	v_fma_f64 v[44:45], v[44:45], v[6:7], v[188:189]
	v_fma_f64 v[42:43], v[42:43], v[6:7], -v[8:9]
	scratch_load_b128 v[6:9], off, off offset:448
	s_waitcnt vmcnt(10) lgkmcnt(1)
	v_mul_f64 v[194:195], v[2:3], v[12:13]
	v_mul_f64 v[12:13], v[4:5], v[12:13]
	v_add_f64 v[188:189], v[190:191], 0
	v_add_f64 v[190:191], v[192:193], 0
	s_waitcnt vmcnt(9) lgkmcnt(0)
	v_mul_f64 v[192:193], v[184:185], v[16:17]
	v_mul_f64 v[16:17], v[186:187], v[16:17]
	v_fma_f64 v[194:195], v[4:5], v[10:11], v[194:195]
	v_fma_f64 v[196:197], v[2:3], v[10:11], -v[12:13]
	ds_load_b128 v[2:5], v1 offset:1024
	scratch_load_b128 v[10:13], off, off offset:464
	v_add_f64 v[188:189], v[188:189], v[42:43]
	v_add_f64 v[190:191], v[190:191], v[44:45]
	ds_load_b128 v[42:45], v1 offset:1040
	v_fma_f64 v[186:187], v[186:187], v[14:15], v[192:193]
	v_fma_f64 v[184:185], v[184:185], v[14:15], -v[16:17]
	scratch_load_b128 v[14:17], off, off offset:480
	s_waitcnt vmcnt(10) lgkmcnt(1)
	v_mul_f64 v[198:199], v[2:3], v[20:21]
	v_mul_f64 v[20:21], v[4:5], v[20:21]
	s_waitcnt vmcnt(9) lgkmcnt(0)
	v_mul_f64 v[192:193], v[42:43], v[24:25]
	v_mul_f64 v[24:25], v[44:45], v[24:25]
	v_add_f64 v[188:189], v[188:189], v[196:197]
	v_add_f64 v[190:191], v[190:191], v[194:195]
	v_fma_f64 v[194:195], v[4:5], v[18:19], v[198:199]
	v_fma_f64 v[196:197], v[2:3], v[18:19], -v[20:21]
	ds_load_b128 v[2:5], v1 offset:1056
	scratch_load_b128 v[18:21], off, off offset:496
	v_fma_f64 v[44:45], v[44:45], v[22:23], v[192:193]
	v_fma_f64 v[42:43], v[42:43], v[22:23], -v[24:25]
	scratch_load_b128 v[22:25], off, off offset:512
	v_add_f64 v[188:189], v[188:189], v[184:185]
	v_add_f64 v[190:191], v[190:191], v[186:187]
	ds_load_b128 v[184:187], v1 offset:1072
	s_waitcnt vmcnt(10) lgkmcnt(1)
	v_mul_f64 v[198:199], v[2:3], v[28:29]
	v_mul_f64 v[28:29], v[4:5], v[28:29]
	s_waitcnt vmcnt(9) lgkmcnt(0)
	v_mul_f64 v[192:193], v[184:185], v[32:33]
	v_mul_f64 v[32:33], v[186:187], v[32:33]
	v_add_f64 v[188:189], v[188:189], v[196:197]
	v_add_f64 v[190:191], v[190:191], v[194:195]
	v_fma_f64 v[194:195], v[4:5], v[26:27], v[198:199]
	v_fma_f64 v[196:197], v[2:3], v[26:27], -v[28:29]
	ds_load_b128 v[2:5], v1 offset:1088
	scratch_load_b128 v[26:29], off, off offset:528
	v_fma_f64 v[186:187], v[186:187], v[30:31], v[192:193]
	v_fma_f64 v[184:185], v[184:185], v[30:31], -v[32:33]
	scratch_load_b128 v[30:33], off, off offset:544
	v_add_f64 v[188:189], v[188:189], v[42:43]
	v_add_f64 v[190:191], v[190:191], v[44:45]
	ds_load_b128 v[42:45], v1 offset:1104
	s_waitcnt vmcnt(10) lgkmcnt(1)
	v_mul_f64 v[198:199], v[2:3], v[36:37]
	v_mul_f64 v[36:37], v[4:5], v[36:37]
	s_waitcnt vmcnt(8) lgkmcnt(0)
	v_mul_f64 v[192:193], v[42:43], v[182:183]
	v_add_f64 v[188:189], v[188:189], v[196:197]
	v_add_f64 v[190:191], v[190:191], v[194:195]
	v_mul_f64 v[194:195], v[44:45], v[182:183]
	v_fma_f64 v[196:197], v[4:5], v[34:35], v[198:199]
	v_fma_f64 v[198:199], v[2:3], v[34:35], -v[36:37]
	ds_load_b128 v[2:5], v1 offset:1120
	scratch_load_b128 v[34:37], off, off offset:560
	v_fma_f64 v[44:45], v[44:45], v[180:181], v[192:193]
	v_add_f64 v[188:189], v[188:189], v[184:185]
	v_add_f64 v[186:187], v[190:191], v[186:187]
	ds_load_b128 v[182:185], v1 offset:1136
	v_fma_f64 v[180:181], v[42:43], v[180:181], -v[194:195]
	s_waitcnt vmcnt(8) lgkmcnt(1)
	v_mul_f64 v[190:191], v[2:3], v[40:41]
	v_mul_f64 v[200:201], v[4:5], v[40:41]
	scratch_load_b128 v[40:43], off, off offset:576
	s_waitcnt vmcnt(8) lgkmcnt(0)
	v_mul_f64 v[194:195], v[182:183], v[8:9]
	v_mul_f64 v[8:9], v[184:185], v[8:9]
	v_add_f64 v[188:189], v[188:189], v[198:199]
	v_add_f64 v[186:187], v[186:187], v[196:197]
	v_fma_f64 v[196:197], v[4:5], v[38:39], v[190:191]
	v_fma_f64 v[38:39], v[2:3], v[38:39], -v[200:201]
	ds_load_b128 v[2:5], v1 offset:1152
	ds_load_b128 v[190:193], v1 offset:1168
	v_fma_f64 v[184:185], v[184:185], v[6:7], v[194:195]
	v_fma_f64 v[182:183], v[182:183], v[6:7], -v[8:9]
	scratch_load_b128 v[6:9], off, off offset:608
	v_add_f64 v[180:181], v[188:189], v[180:181]
	v_add_f64 v[44:45], v[186:187], v[44:45]
	scratch_load_b128 v[186:189], off, off offset:592
	s_waitcnt vmcnt(9) lgkmcnt(1)
	v_mul_f64 v[198:199], v[2:3], v[12:13]
	v_mul_f64 v[12:13], v[4:5], v[12:13]
	s_waitcnt vmcnt(8) lgkmcnt(0)
	v_mul_f64 v[194:195], v[190:191], v[16:17]
	v_mul_f64 v[16:17], v[192:193], v[16:17]
	v_add_f64 v[38:39], v[180:181], v[38:39]
	v_add_f64 v[44:45], v[44:45], v[196:197]
	v_fma_f64 v[196:197], v[4:5], v[10:11], v[198:199]
	v_fma_f64 v[198:199], v[2:3], v[10:11], -v[12:13]
	ds_load_b128 v[2:5], v1 offset:1184
	scratch_load_b128 v[10:13], off, off offset:624
	v_fma_f64 v[192:193], v[192:193], v[14:15], v[194:195]
	v_fma_f64 v[190:191], v[190:191], v[14:15], -v[16:17]
	scratch_load_b128 v[14:17], off, off offset:640
	v_add_f64 v[38:39], v[38:39], v[182:183]
	v_add_f64 v[44:45], v[44:45], v[184:185]
	ds_load_b128 v[180:183], v1 offset:1200
	s_waitcnt vmcnt(9) lgkmcnt(1)
	v_mul_f64 v[184:185], v[2:3], v[20:21]
	v_mul_f64 v[20:21], v[4:5], v[20:21]
	s_waitcnt vmcnt(8) lgkmcnt(0)
	v_mul_f64 v[194:195], v[180:181], v[24:25]
	v_mul_f64 v[24:25], v[182:183], v[24:25]
	v_add_f64 v[38:39], v[38:39], v[198:199]
	v_add_f64 v[44:45], v[44:45], v[196:197]
	v_fma_f64 v[184:185], v[4:5], v[18:19], v[184:185]
	v_fma_f64 v[196:197], v[2:3], v[18:19], -v[20:21]
	ds_load_b128 v[2:5], v1 offset:1216
	scratch_load_b128 v[18:21], off, off offset:656
	v_fma_f64 v[182:183], v[182:183], v[22:23], v[194:195]
	v_fma_f64 v[180:181], v[180:181], v[22:23], -v[24:25]
	scratch_load_b128 v[22:25], off, off offset:672
	v_add_f64 v[38:39], v[38:39], v[190:191]
	v_add_f64 v[44:45], v[44:45], v[192:193]
	ds_load_b128 v[190:193], v1 offset:1232
	s_waitcnt vmcnt(9) lgkmcnt(1)
	v_mul_f64 v[198:199], v[2:3], v[28:29]
	v_mul_f64 v[28:29], v[4:5], v[28:29]
	v_add_f64 v[38:39], v[38:39], v[196:197]
	v_add_f64 v[44:45], v[44:45], v[184:185]
	s_waitcnt vmcnt(8) lgkmcnt(0)
	v_mul_f64 v[184:185], v[190:191], v[32:33]
	v_mul_f64 v[32:33], v[192:193], v[32:33]
	v_fma_f64 v[194:195], v[4:5], v[26:27], v[198:199]
	v_fma_f64 v[196:197], v[2:3], v[26:27], -v[28:29]
	ds_load_b128 v[2:5], v1 offset:1248
	ds_load_b128 v[26:29], v1 offset:1264
	v_add_f64 v[38:39], v[38:39], v[180:181]
	v_add_f64 v[44:45], v[44:45], v[182:183]
	s_waitcnt vmcnt(7) lgkmcnt(1)
	v_mul_f64 v[180:181], v[2:3], v[36:37]
	v_mul_f64 v[36:37], v[4:5], v[36:37]
	v_fma_f64 v[182:183], v[192:193], v[30:31], v[184:185]
	v_fma_f64 v[30:31], v[190:191], v[30:31], -v[32:33]
	v_add_f64 v[32:33], v[38:39], v[196:197]
	v_add_f64 v[38:39], v[44:45], v[194:195]
	s_waitcnt vmcnt(6) lgkmcnt(0)
	v_mul_f64 v[44:45], v[26:27], v[42:43]
	v_mul_f64 v[42:43], v[28:29], v[42:43]
	v_fma_f64 v[180:181], v[4:5], v[34:35], v[180:181]
	v_fma_f64 v[34:35], v[2:3], v[34:35], -v[36:37]
	v_add_f64 v[36:37], v[32:33], v[30:31]
	v_add_f64 v[38:39], v[38:39], v[182:183]
	ds_load_b128 v[2:5], v1 offset:1280
	ds_load_b128 v[30:33], v1 offset:1296
	v_fma_f64 v[28:29], v[28:29], v[40:41], v[44:45]
	v_fma_f64 v[26:27], v[26:27], v[40:41], -v[42:43]
	s_waitcnt vmcnt(4) lgkmcnt(1)
	v_mul_f64 v[182:183], v[2:3], v[188:189]
	v_mul_f64 v[184:185], v[4:5], v[188:189]
	v_add_f64 v[34:35], v[36:37], v[34:35]
	v_add_f64 v[36:37], v[38:39], v[180:181]
	s_waitcnt lgkmcnt(0)
	v_mul_f64 v[38:39], v[30:31], v[8:9]
	v_mul_f64 v[8:9], v[32:33], v[8:9]
	v_fma_f64 v[40:41], v[4:5], v[186:187], v[182:183]
	v_fma_f64 v[42:43], v[2:3], v[186:187], -v[184:185]
	v_add_f64 v[34:35], v[34:35], v[26:27]
	v_add_f64 v[36:37], v[36:37], v[28:29]
	ds_load_b128 v[2:5], v1 offset:1312
	ds_load_b128 v[26:29], v1 offset:1328
	v_fma_f64 v[32:33], v[32:33], v[6:7], v[38:39]
	v_fma_f64 v[6:7], v[30:31], v[6:7], -v[8:9]
	s_waitcnt vmcnt(3) lgkmcnt(1)
	v_mul_f64 v[44:45], v[2:3], v[12:13]
	v_mul_f64 v[12:13], v[4:5], v[12:13]
	v_add_f64 v[8:9], v[34:35], v[42:43]
	v_add_f64 v[30:31], v[36:37], v[40:41]
	s_waitcnt vmcnt(2) lgkmcnt(0)
	v_mul_f64 v[34:35], v[26:27], v[16:17]
	v_mul_f64 v[16:17], v[28:29], v[16:17]
	v_fma_f64 v[36:37], v[4:5], v[10:11], v[44:45]
	v_fma_f64 v[10:11], v[2:3], v[10:11], -v[12:13]
	v_add_f64 v[12:13], v[8:9], v[6:7]
	v_add_f64 v[30:31], v[30:31], v[32:33]
	ds_load_b128 v[2:5], v1 offset:1344
	ds_load_b128 v[6:9], v1 offset:1360
	v_fma_f64 v[28:29], v[28:29], v[14:15], v[34:35]
	v_fma_f64 v[14:15], v[26:27], v[14:15], -v[16:17]
	s_waitcnt vmcnt(1) lgkmcnt(1)
	v_mul_f64 v[32:33], v[2:3], v[20:21]
	v_mul_f64 v[20:21], v[4:5], v[20:21]
	s_waitcnt vmcnt(0) lgkmcnt(0)
	v_mul_f64 v[16:17], v[6:7], v[24:25]
	v_mul_f64 v[24:25], v[8:9], v[24:25]
	v_add_f64 v[10:11], v[12:13], v[10:11]
	v_add_f64 v[12:13], v[30:31], v[36:37]
	v_fma_f64 v[4:5], v[4:5], v[18:19], v[32:33]
	v_fma_f64 v[1:2], v[2:3], v[18:19], -v[20:21]
	v_fma_f64 v[8:9], v[8:9], v[22:23], v[16:17]
	v_fma_f64 v[6:7], v[6:7], v[22:23], -v[24:25]
	v_add_f64 v[10:11], v[10:11], v[14:15]
	v_add_f64 v[12:13], v[12:13], v[28:29]
	s_delay_alu instid0(VALU_DEP_2) | instskip(NEXT) | instid1(VALU_DEP_2)
	v_add_f64 v[1:2], v[10:11], v[1:2]
	v_add_f64 v[3:4], v[12:13], v[4:5]
	s_delay_alu instid0(VALU_DEP_2) | instskip(NEXT) | instid1(VALU_DEP_2)
	;; [unrolled: 3-line block ×3, first 2 shown]
	v_add_f64 v[1:2], v[176:177], -v[1:2]
	v_add_f64 v[3:4], v[178:179], -v[3:4]
	scratch_store_b128 off, v[1:4], off offset:256
	v_cmpx_lt_u32_e32 15, v132
	s_cbranch_execz .LBB42_241
; %bb.240:
	scratch_load_b128 v[1:4], v161, off
	v_mov_b32_e32 v5, 0
	s_delay_alu instid0(VALU_DEP_1)
	v_mov_b32_e32 v6, v5
	v_mov_b32_e32 v7, v5
	v_mov_b32_e32 v8, v5
	scratch_store_b128 off, v[5:8], off offset:240
	s_waitcnt vmcnt(0)
	ds_store_b128 v175, v[1:4]
.LBB42_241:
	s_or_b32 exec_lo, exec_lo, s2
	s_waitcnt lgkmcnt(0)
	s_waitcnt_vscnt null, 0x0
	s_barrier
	buffer_gl0_inv
	s_clause 0x7
	scratch_load_b128 v[2:5], off, off offset:256
	scratch_load_b128 v[6:9], off, off offset:272
	;; [unrolled: 1-line block ×8, first 2 shown]
	v_mov_b32_e32 v1, 0
	s_mov_b32 s2, exec_lo
	ds_load_b128 v[38:41], v1 offset:944
	s_clause 0x1
	scratch_load_b128 v[34:37], off, off offset:384
	scratch_load_b128 v[42:45], off, off offset:240
	ds_load_b128 v[176:179], v1 offset:960
	scratch_load_b128 v[180:183], off, off offset:400
	s_waitcnt vmcnt(10) lgkmcnt(1)
	v_mul_f64 v[184:185], v[40:41], v[4:5]
	v_mul_f64 v[4:5], v[38:39], v[4:5]
	s_delay_alu instid0(VALU_DEP_2) | instskip(NEXT) | instid1(VALU_DEP_2)
	v_fma_f64 v[190:191], v[38:39], v[2:3], -v[184:185]
	v_fma_f64 v[192:193], v[40:41], v[2:3], v[4:5]
	scratch_load_b128 v[38:41], off, off offset:416
	ds_load_b128 v[2:5], v1 offset:976
	s_waitcnt vmcnt(10) lgkmcnt(1)
	v_mul_f64 v[188:189], v[176:177], v[8:9]
	v_mul_f64 v[8:9], v[178:179], v[8:9]
	ds_load_b128 v[184:187], v1 offset:992
	s_waitcnt vmcnt(9) lgkmcnt(1)
	v_mul_f64 v[194:195], v[2:3], v[12:13]
	v_mul_f64 v[12:13], v[4:5], v[12:13]
	v_fma_f64 v[178:179], v[178:179], v[6:7], v[188:189]
	v_fma_f64 v[176:177], v[176:177], v[6:7], -v[8:9]
	v_add_f64 v[188:189], v[190:191], 0
	v_add_f64 v[190:191], v[192:193], 0
	scratch_load_b128 v[6:9], off, off offset:432
	v_fma_f64 v[194:195], v[4:5], v[10:11], v[194:195]
	v_fma_f64 v[196:197], v[2:3], v[10:11], -v[12:13]
	scratch_load_b128 v[10:13], off, off offset:448
	ds_load_b128 v[2:5], v1 offset:1008
	s_waitcnt vmcnt(10) lgkmcnt(1)
	v_mul_f64 v[192:193], v[184:185], v[16:17]
	v_mul_f64 v[16:17], v[186:187], v[16:17]
	v_add_f64 v[188:189], v[188:189], v[176:177]
	v_add_f64 v[190:191], v[190:191], v[178:179]
	s_waitcnt vmcnt(9) lgkmcnt(0)
	v_mul_f64 v[198:199], v[2:3], v[20:21]
	v_mul_f64 v[20:21], v[4:5], v[20:21]
	ds_load_b128 v[176:179], v1 offset:1024
	v_fma_f64 v[186:187], v[186:187], v[14:15], v[192:193]
	v_fma_f64 v[184:185], v[184:185], v[14:15], -v[16:17]
	scratch_load_b128 v[14:17], off, off offset:464
	v_add_f64 v[188:189], v[188:189], v[196:197]
	v_add_f64 v[190:191], v[190:191], v[194:195]
	v_fma_f64 v[194:195], v[4:5], v[18:19], v[198:199]
	v_fma_f64 v[196:197], v[2:3], v[18:19], -v[20:21]
	scratch_load_b128 v[18:21], off, off offset:480
	ds_load_b128 v[2:5], v1 offset:1040
	s_waitcnt vmcnt(10) lgkmcnt(1)
	v_mul_f64 v[192:193], v[176:177], v[24:25]
	v_mul_f64 v[24:25], v[178:179], v[24:25]
	s_waitcnt vmcnt(9) lgkmcnt(0)
	v_mul_f64 v[198:199], v[2:3], v[28:29]
	v_mul_f64 v[28:29], v[4:5], v[28:29]
	v_add_f64 v[188:189], v[188:189], v[184:185]
	v_add_f64 v[190:191], v[190:191], v[186:187]
	ds_load_b128 v[184:187], v1 offset:1056
	v_fma_f64 v[178:179], v[178:179], v[22:23], v[192:193]
	v_fma_f64 v[176:177], v[176:177], v[22:23], -v[24:25]
	scratch_load_b128 v[22:25], off, off offset:496
	v_add_f64 v[188:189], v[188:189], v[196:197]
	v_add_f64 v[190:191], v[190:191], v[194:195]
	v_fma_f64 v[194:195], v[4:5], v[26:27], v[198:199]
	v_fma_f64 v[196:197], v[2:3], v[26:27], -v[28:29]
	scratch_load_b128 v[26:29], off, off offset:512
	ds_load_b128 v[2:5], v1 offset:1072
	s_waitcnt vmcnt(10) lgkmcnt(1)
	v_mul_f64 v[192:193], v[184:185], v[32:33]
	v_mul_f64 v[32:33], v[186:187], v[32:33]
	s_waitcnt vmcnt(9) lgkmcnt(0)
	v_mul_f64 v[198:199], v[2:3], v[36:37]
	v_mul_f64 v[36:37], v[4:5], v[36:37]
	v_add_f64 v[188:189], v[188:189], v[176:177]
	v_add_f64 v[190:191], v[190:191], v[178:179]
	ds_load_b128 v[176:179], v1 offset:1088
	v_fma_f64 v[186:187], v[186:187], v[30:31], v[192:193]
	v_fma_f64 v[184:185], v[184:185], v[30:31], -v[32:33]
	scratch_load_b128 v[30:33], off, off offset:528
	v_add_f64 v[188:189], v[188:189], v[196:197]
	v_add_f64 v[190:191], v[190:191], v[194:195]
	v_fma_f64 v[196:197], v[4:5], v[34:35], v[198:199]
	v_fma_f64 v[198:199], v[2:3], v[34:35], -v[36:37]
	scratch_load_b128 v[34:37], off, off offset:544
	ds_load_b128 v[2:5], v1 offset:1104
	s_waitcnt vmcnt(9) lgkmcnt(1)
	v_mul_f64 v[192:193], v[176:177], v[182:183]
	v_mul_f64 v[194:195], v[178:179], v[182:183]
	v_add_f64 v[188:189], v[188:189], v[184:185]
	v_add_f64 v[186:187], v[190:191], v[186:187]
	ds_load_b128 v[182:185], v1 offset:1120
	v_fma_f64 v[192:193], v[178:179], v[180:181], v[192:193]
	v_fma_f64 v[180:181], v[176:177], v[180:181], -v[194:195]
	scratch_load_b128 v[176:179], off, off offset:560
	s_waitcnt vmcnt(9) lgkmcnt(1)
	v_mul_f64 v[190:191], v[2:3], v[40:41]
	v_mul_f64 v[40:41], v[4:5], v[40:41]
	v_add_f64 v[188:189], v[188:189], v[198:199]
	v_add_f64 v[186:187], v[186:187], v[196:197]
	s_delay_alu instid0(VALU_DEP_4) | instskip(NEXT) | instid1(VALU_DEP_4)
	v_fma_f64 v[190:191], v[4:5], v[38:39], v[190:191]
	v_fma_f64 v[196:197], v[2:3], v[38:39], -v[40:41]
	scratch_load_b128 v[38:41], off, off offset:576
	ds_load_b128 v[2:5], v1 offset:1136
	s_waitcnt vmcnt(9) lgkmcnt(1)
	v_mul_f64 v[194:195], v[182:183], v[8:9]
	v_mul_f64 v[8:9], v[184:185], v[8:9]
	s_waitcnt vmcnt(8) lgkmcnt(0)
	v_mul_f64 v[198:199], v[2:3], v[12:13]
	v_mul_f64 v[12:13], v[4:5], v[12:13]
	v_add_f64 v[180:181], v[188:189], v[180:181]
	v_add_f64 v[192:193], v[186:187], v[192:193]
	ds_load_b128 v[186:189], v1 offset:1152
	v_fma_f64 v[184:185], v[184:185], v[6:7], v[194:195]
	v_fma_f64 v[182:183], v[182:183], v[6:7], -v[8:9]
	scratch_load_b128 v[6:9], off, off offset:592
	v_fma_f64 v[194:195], v[4:5], v[10:11], v[198:199]
	v_add_f64 v[180:181], v[180:181], v[196:197]
	v_add_f64 v[190:191], v[192:193], v[190:191]
	v_fma_f64 v[196:197], v[2:3], v[10:11], -v[12:13]
	scratch_load_b128 v[10:13], off, off offset:608
	ds_load_b128 v[2:5], v1 offset:1168
	s_waitcnt vmcnt(9) lgkmcnt(1)
	v_mul_f64 v[192:193], v[186:187], v[16:17]
	v_mul_f64 v[16:17], v[188:189], v[16:17]
	v_add_f64 v[198:199], v[180:181], v[182:183]
	v_add_f64 v[184:185], v[190:191], v[184:185]
	s_waitcnt vmcnt(8) lgkmcnt(0)
	v_mul_f64 v[190:191], v[2:3], v[20:21]
	v_mul_f64 v[20:21], v[4:5], v[20:21]
	ds_load_b128 v[180:183], v1 offset:1184
	v_fma_f64 v[188:189], v[188:189], v[14:15], v[192:193]
	v_fma_f64 v[186:187], v[186:187], v[14:15], -v[16:17]
	scratch_load_b128 v[14:17], off, off offset:624
	v_add_f64 v[192:193], v[198:199], v[196:197]
	v_add_f64 v[184:185], v[184:185], v[194:195]
	v_fma_f64 v[190:191], v[4:5], v[18:19], v[190:191]
	v_fma_f64 v[196:197], v[2:3], v[18:19], -v[20:21]
	scratch_load_b128 v[18:21], off, off offset:640
	ds_load_b128 v[2:5], v1 offset:1200
	s_waitcnt vmcnt(9) lgkmcnt(1)
	v_mul_f64 v[194:195], v[180:181], v[24:25]
	v_mul_f64 v[24:25], v[182:183], v[24:25]
	s_waitcnt vmcnt(8) lgkmcnt(0)
	v_mul_f64 v[198:199], v[2:3], v[28:29]
	v_mul_f64 v[28:29], v[4:5], v[28:29]
	v_add_f64 v[192:193], v[192:193], v[186:187]
	v_add_f64 v[188:189], v[184:185], v[188:189]
	ds_load_b128 v[184:187], v1 offset:1216
	v_fma_f64 v[182:183], v[182:183], v[22:23], v[194:195]
	v_fma_f64 v[180:181], v[180:181], v[22:23], -v[24:25]
	scratch_load_b128 v[22:25], off, off offset:656
	v_fma_f64 v[194:195], v[4:5], v[26:27], v[198:199]
	v_add_f64 v[192:193], v[192:193], v[196:197]
	v_add_f64 v[188:189], v[188:189], v[190:191]
	v_fma_f64 v[196:197], v[2:3], v[26:27], -v[28:29]
	scratch_load_b128 v[26:29], off, off offset:672
	ds_load_b128 v[2:5], v1 offset:1232
	s_waitcnt vmcnt(9) lgkmcnt(1)
	v_mul_f64 v[190:191], v[184:185], v[32:33]
	v_mul_f64 v[32:33], v[186:187], v[32:33]
	s_waitcnt vmcnt(8) lgkmcnt(0)
	v_mul_f64 v[198:199], v[2:3], v[36:37]
	v_mul_f64 v[36:37], v[4:5], v[36:37]
	v_add_f64 v[192:193], v[192:193], v[180:181]
	v_add_f64 v[188:189], v[188:189], v[182:183]
	ds_load_b128 v[180:183], v1 offset:1248
	v_fma_f64 v[186:187], v[186:187], v[30:31], v[190:191]
	v_fma_f64 v[30:31], v[184:185], v[30:31], -v[32:33]
	v_fma_f64 v[190:191], v[4:5], v[34:35], v[198:199]
	v_fma_f64 v[34:35], v[2:3], v[34:35], -v[36:37]
	v_add_f64 v[32:33], v[192:193], v[196:197]
	v_add_f64 v[184:185], v[188:189], v[194:195]
	s_waitcnt vmcnt(7) lgkmcnt(0)
	v_mul_f64 v[188:189], v[180:181], v[178:179]
	v_mul_f64 v[178:179], v[182:183], v[178:179]
	s_delay_alu instid0(VALU_DEP_4) | instskip(NEXT) | instid1(VALU_DEP_4)
	v_add_f64 v[36:37], v[32:33], v[30:31]
	v_add_f64 v[184:185], v[184:185], v[186:187]
	ds_load_b128 v[2:5], v1 offset:1264
	ds_load_b128 v[30:33], v1 offset:1280
	v_fma_f64 v[182:183], v[182:183], v[176:177], v[188:189]
	v_fma_f64 v[176:177], v[180:181], v[176:177], -v[178:179]
	s_waitcnt vmcnt(6) lgkmcnt(1)
	v_mul_f64 v[186:187], v[2:3], v[40:41]
	v_mul_f64 v[40:41], v[4:5], v[40:41]
	s_waitcnt vmcnt(5) lgkmcnt(0)
	v_mul_f64 v[178:179], v[30:31], v[8:9]
	v_mul_f64 v[8:9], v[32:33], v[8:9]
	v_add_f64 v[34:35], v[36:37], v[34:35]
	v_add_f64 v[36:37], v[184:185], v[190:191]
	v_fma_f64 v[180:181], v[4:5], v[38:39], v[186:187]
	v_fma_f64 v[38:39], v[2:3], v[38:39], -v[40:41]
	v_fma_f64 v[32:33], v[32:33], v[6:7], v[178:179]
	v_fma_f64 v[6:7], v[30:31], v[6:7], -v[8:9]
	v_add_f64 v[40:41], v[34:35], v[176:177]
	v_add_f64 v[176:177], v[36:37], v[182:183]
	ds_load_b128 v[2:5], v1 offset:1296
	ds_load_b128 v[34:37], v1 offset:1312
	s_waitcnt vmcnt(4) lgkmcnt(1)
	v_mul_f64 v[182:183], v[2:3], v[12:13]
	v_mul_f64 v[12:13], v[4:5], v[12:13]
	v_add_f64 v[8:9], v[40:41], v[38:39]
	v_add_f64 v[30:31], v[176:177], v[180:181]
	s_waitcnt vmcnt(3) lgkmcnt(0)
	v_mul_f64 v[38:39], v[34:35], v[16:17]
	v_mul_f64 v[16:17], v[36:37], v[16:17]
	v_fma_f64 v[40:41], v[4:5], v[10:11], v[182:183]
	v_fma_f64 v[10:11], v[2:3], v[10:11], -v[12:13]
	v_add_f64 v[12:13], v[8:9], v[6:7]
	v_add_f64 v[30:31], v[30:31], v[32:33]
	ds_load_b128 v[2:5], v1 offset:1328
	ds_load_b128 v[6:9], v1 offset:1344
	v_fma_f64 v[36:37], v[36:37], v[14:15], v[38:39]
	v_fma_f64 v[14:15], v[34:35], v[14:15], -v[16:17]
	s_waitcnt vmcnt(2) lgkmcnt(1)
	v_mul_f64 v[32:33], v[2:3], v[20:21]
	v_mul_f64 v[20:21], v[4:5], v[20:21]
	s_waitcnt vmcnt(1) lgkmcnt(0)
	v_mul_f64 v[16:17], v[6:7], v[24:25]
	v_mul_f64 v[24:25], v[8:9], v[24:25]
	v_add_f64 v[10:11], v[12:13], v[10:11]
	v_add_f64 v[12:13], v[30:31], v[40:41]
	v_fma_f64 v[30:31], v[4:5], v[18:19], v[32:33]
	v_fma_f64 v[18:19], v[2:3], v[18:19], -v[20:21]
	ds_load_b128 v[2:5], v1 offset:1360
	v_fma_f64 v[8:9], v[8:9], v[22:23], v[16:17]
	v_fma_f64 v[6:7], v[6:7], v[22:23], -v[24:25]
	v_add_f64 v[10:11], v[10:11], v[14:15]
	v_add_f64 v[12:13], v[12:13], v[36:37]
	s_waitcnt vmcnt(0) lgkmcnt(0)
	v_mul_f64 v[14:15], v[2:3], v[28:29]
	v_mul_f64 v[20:21], v[4:5], v[28:29]
	s_delay_alu instid0(VALU_DEP_4) | instskip(NEXT) | instid1(VALU_DEP_4)
	v_add_f64 v[10:11], v[10:11], v[18:19]
	v_add_f64 v[12:13], v[12:13], v[30:31]
	s_delay_alu instid0(VALU_DEP_4) | instskip(NEXT) | instid1(VALU_DEP_4)
	v_fma_f64 v[4:5], v[4:5], v[26:27], v[14:15]
	v_fma_f64 v[2:3], v[2:3], v[26:27], -v[20:21]
	s_delay_alu instid0(VALU_DEP_4) | instskip(NEXT) | instid1(VALU_DEP_4)
	v_add_f64 v[6:7], v[10:11], v[6:7]
	v_add_f64 v[8:9], v[12:13], v[8:9]
	s_delay_alu instid0(VALU_DEP_2) | instskip(NEXT) | instid1(VALU_DEP_2)
	v_add_f64 v[2:3], v[6:7], v[2:3]
	v_add_f64 v[4:5], v[8:9], v[4:5]
	s_delay_alu instid0(VALU_DEP_2) | instskip(NEXT) | instid1(VALU_DEP_2)
	v_add_f64 v[2:3], v[42:43], -v[2:3]
	v_add_f64 v[4:5], v[44:45], -v[4:5]
	scratch_store_b128 off, v[2:5], off offset:240
	v_cmpx_lt_u32_e32 14, v132
	s_cbranch_execz .LBB42_243
; %bb.242:
	scratch_load_b128 v[5:8], v163, off
	v_mov_b32_e32 v2, v1
	v_mov_b32_e32 v3, v1
	;; [unrolled: 1-line block ×3, first 2 shown]
	scratch_store_b128 off, v[1:4], off offset:224
	s_waitcnt vmcnt(0)
	ds_store_b128 v175, v[5:8]
.LBB42_243:
	s_or_b32 exec_lo, exec_lo, s2
	s_waitcnt lgkmcnt(0)
	s_waitcnt_vscnt null, 0x0
	s_barrier
	buffer_gl0_inv
	s_clause 0x8
	scratch_load_b128 v[2:5], off, off offset:240
	scratch_load_b128 v[6:9], off, off offset:256
	;; [unrolled: 1-line block ×9, first 2 shown]
	ds_load_b128 v[42:45], v1 offset:928
	ds_load_b128 v[38:41], v1 offset:944
	s_clause 0x1
	scratch_load_b128 v[176:179], off, off offset:224
	scratch_load_b128 v[180:183], off, off offset:384
	s_mov_b32 s2, exec_lo
	s_waitcnt vmcnt(10) lgkmcnt(1)
	v_mul_f64 v[184:185], v[44:45], v[4:5]
	v_mul_f64 v[4:5], v[42:43], v[4:5]
	s_waitcnt vmcnt(9) lgkmcnt(0)
	v_mul_f64 v[188:189], v[38:39], v[8:9]
	v_mul_f64 v[8:9], v[40:41], v[8:9]
	s_delay_alu instid0(VALU_DEP_4) | instskip(NEXT) | instid1(VALU_DEP_4)
	v_fma_f64 v[190:191], v[42:43], v[2:3], -v[184:185]
	v_fma_f64 v[192:193], v[44:45], v[2:3], v[4:5]
	ds_load_b128 v[2:5], v1 offset:960
	ds_load_b128 v[184:187], v1 offset:976
	scratch_load_b128 v[42:45], off, off offset:400
	v_fma_f64 v[40:41], v[40:41], v[6:7], v[188:189]
	v_fma_f64 v[38:39], v[38:39], v[6:7], -v[8:9]
	scratch_load_b128 v[6:9], off, off offset:416
	s_waitcnt vmcnt(10) lgkmcnt(1)
	v_mul_f64 v[194:195], v[2:3], v[12:13]
	v_mul_f64 v[12:13], v[4:5], v[12:13]
	v_add_f64 v[188:189], v[190:191], 0
	v_add_f64 v[190:191], v[192:193], 0
	s_waitcnt vmcnt(9) lgkmcnt(0)
	v_mul_f64 v[192:193], v[184:185], v[16:17]
	v_mul_f64 v[16:17], v[186:187], v[16:17]
	v_fma_f64 v[194:195], v[4:5], v[10:11], v[194:195]
	v_fma_f64 v[196:197], v[2:3], v[10:11], -v[12:13]
	ds_load_b128 v[2:5], v1 offset:992
	scratch_load_b128 v[10:13], off, off offset:432
	v_add_f64 v[188:189], v[188:189], v[38:39]
	v_add_f64 v[190:191], v[190:191], v[40:41]
	ds_load_b128 v[38:41], v1 offset:1008
	v_fma_f64 v[186:187], v[186:187], v[14:15], v[192:193]
	v_fma_f64 v[184:185], v[184:185], v[14:15], -v[16:17]
	scratch_load_b128 v[14:17], off, off offset:448
	s_waitcnt vmcnt(10) lgkmcnt(1)
	v_mul_f64 v[198:199], v[2:3], v[20:21]
	v_mul_f64 v[20:21], v[4:5], v[20:21]
	s_waitcnt vmcnt(9) lgkmcnt(0)
	v_mul_f64 v[192:193], v[38:39], v[24:25]
	v_mul_f64 v[24:25], v[40:41], v[24:25]
	v_add_f64 v[188:189], v[188:189], v[196:197]
	v_add_f64 v[190:191], v[190:191], v[194:195]
	v_fma_f64 v[194:195], v[4:5], v[18:19], v[198:199]
	v_fma_f64 v[196:197], v[2:3], v[18:19], -v[20:21]
	ds_load_b128 v[2:5], v1 offset:1024
	scratch_load_b128 v[18:21], off, off offset:464
	v_fma_f64 v[40:41], v[40:41], v[22:23], v[192:193]
	v_fma_f64 v[38:39], v[38:39], v[22:23], -v[24:25]
	scratch_load_b128 v[22:25], off, off offset:480
	v_add_f64 v[188:189], v[188:189], v[184:185]
	v_add_f64 v[190:191], v[190:191], v[186:187]
	ds_load_b128 v[184:187], v1 offset:1040
	s_waitcnt vmcnt(10) lgkmcnt(1)
	v_mul_f64 v[198:199], v[2:3], v[28:29]
	v_mul_f64 v[28:29], v[4:5], v[28:29]
	s_waitcnt vmcnt(9) lgkmcnt(0)
	v_mul_f64 v[192:193], v[184:185], v[32:33]
	v_mul_f64 v[32:33], v[186:187], v[32:33]
	v_add_f64 v[188:189], v[188:189], v[196:197]
	v_add_f64 v[190:191], v[190:191], v[194:195]
	v_fma_f64 v[194:195], v[4:5], v[26:27], v[198:199]
	v_fma_f64 v[196:197], v[2:3], v[26:27], -v[28:29]
	ds_load_b128 v[2:5], v1 offset:1056
	scratch_load_b128 v[26:29], off, off offset:496
	v_fma_f64 v[186:187], v[186:187], v[30:31], v[192:193]
	v_fma_f64 v[184:185], v[184:185], v[30:31], -v[32:33]
	scratch_load_b128 v[30:33], off, off offset:512
	v_add_f64 v[188:189], v[188:189], v[38:39]
	v_add_f64 v[190:191], v[190:191], v[40:41]
	ds_load_b128 v[38:41], v1 offset:1072
	s_waitcnt vmcnt(10) lgkmcnt(1)
	v_mul_f64 v[198:199], v[2:3], v[36:37]
	v_mul_f64 v[36:37], v[4:5], v[36:37]
	s_waitcnt vmcnt(8) lgkmcnt(0)
	v_mul_f64 v[192:193], v[38:39], v[182:183]
	v_add_f64 v[188:189], v[188:189], v[196:197]
	v_add_f64 v[190:191], v[190:191], v[194:195]
	v_mul_f64 v[194:195], v[40:41], v[182:183]
	v_fma_f64 v[196:197], v[4:5], v[34:35], v[198:199]
	v_fma_f64 v[198:199], v[2:3], v[34:35], -v[36:37]
	ds_load_b128 v[2:5], v1 offset:1088
	scratch_load_b128 v[34:37], off, off offset:528
	v_fma_f64 v[192:193], v[40:41], v[180:181], v[192:193]
	v_add_f64 v[188:189], v[188:189], v[184:185]
	v_add_f64 v[186:187], v[190:191], v[186:187]
	ds_load_b128 v[182:185], v1 offset:1104
	v_fma_f64 v[180:181], v[38:39], v[180:181], -v[194:195]
	scratch_load_b128 v[38:41], off, off offset:544
	s_waitcnt vmcnt(9) lgkmcnt(1)
	v_mul_f64 v[190:191], v[2:3], v[44:45]
	v_mul_f64 v[44:45], v[4:5], v[44:45]
	s_waitcnt vmcnt(8) lgkmcnt(0)
	v_mul_f64 v[194:195], v[182:183], v[8:9]
	v_mul_f64 v[8:9], v[184:185], v[8:9]
	v_add_f64 v[188:189], v[188:189], v[198:199]
	v_add_f64 v[186:187], v[186:187], v[196:197]
	v_fma_f64 v[190:191], v[4:5], v[42:43], v[190:191]
	v_fma_f64 v[196:197], v[2:3], v[42:43], -v[44:45]
	ds_load_b128 v[2:5], v1 offset:1120
	scratch_load_b128 v[42:45], off, off offset:560
	v_fma_f64 v[184:185], v[184:185], v[6:7], v[194:195]
	v_fma_f64 v[182:183], v[182:183], v[6:7], -v[8:9]
	scratch_load_b128 v[6:9], off, off offset:576
	v_add_f64 v[180:181], v[188:189], v[180:181]
	v_add_f64 v[192:193], v[186:187], v[192:193]
	ds_load_b128 v[186:189], v1 offset:1136
	s_waitcnt vmcnt(9) lgkmcnt(1)
	v_mul_f64 v[198:199], v[2:3], v[12:13]
	v_mul_f64 v[12:13], v[4:5], v[12:13]
	v_add_f64 v[180:181], v[180:181], v[196:197]
	v_add_f64 v[190:191], v[192:193], v[190:191]
	s_waitcnt vmcnt(8) lgkmcnt(0)
	v_mul_f64 v[192:193], v[186:187], v[16:17]
	v_mul_f64 v[16:17], v[188:189], v[16:17]
	v_fma_f64 v[194:195], v[4:5], v[10:11], v[198:199]
	v_fma_f64 v[196:197], v[2:3], v[10:11], -v[12:13]
	ds_load_b128 v[2:5], v1 offset:1152
	scratch_load_b128 v[10:13], off, off offset:592
	v_add_f64 v[198:199], v[180:181], v[182:183]
	v_add_f64 v[184:185], v[190:191], v[184:185]
	ds_load_b128 v[180:183], v1 offset:1168
	s_waitcnt vmcnt(8) lgkmcnt(1)
	v_mul_f64 v[190:191], v[2:3], v[20:21]
	v_mul_f64 v[20:21], v[4:5], v[20:21]
	v_fma_f64 v[188:189], v[188:189], v[14:15], v[192:193]
	v_fma_f64 v[186:187], v[186:187], v[14:15], -v[16:17]
	scratch_load_b128 v[14:17], off, off offset:608
	v_add_f64 v[192:193], v[198:199], v[196:197]
	v_add_f64 v[184:185], v[184:185], v[194:195]
	s_waitcnt vmcnt(8) lgkmcnt(0)
	v_mul_f64 v[194:195], v[180:181], v[24:25]
	v_mul_f64 v[24:25], v[182:183], v[24:25]
	v_fma_f64 v[190:191], v[4:5], v[18:19], v[190:191]
	v_fma_f64 v[196:197], v[2:3], v[18:19], -v[20:21]
	ds_load_b128 v[2:5], v1 offset:1184
	scratch_load_b128 v[18:21], off, off offset:624
	v_add_f64 v[192:193], v[192:193], v[186:187]
	v_add_f64 v[188:189], v[184:185], v[188:189]
	ds_load_b128 v[184:187], v1 offset:1200
	s_waitcnt vmcnt(8) lgkmcnt(1)
	v_mul_f64 v[198:199], v[2:3], v[28:29]
	v_mul_f64 v[28:29], v[4:5], v[28:29]
	v_fma_f64 v[182:183], v[182:183], v[22:23], v[194:195]
	v_fma_f64 v[180:181], v[180:181], v[22:23], -v[24:25]
	scratch_load_b128 v[22:25], off, off offset:640
	;; [unrolled: 18-line block ×3, first 2 shown]
	v_add_f64 v[190:191], v[192:193], v[196:197]
	v_add_f64 v[188:189], v[188:189], v[194:195]
	s_waitcnt vmcnt(8) lgkmcnt(0)
	v_mul_f64 v[192:193], v[180:181], v[40:41]
	v_mul_f64 v[40:41], v[182:183], v[40:41]
	v_fma_f64 v[194:195], v[4:5], v[34:35], v[198:199]
	v_fma_f64 v[196:197], v[2:3], v[34:35], -v[36:37]
	ds_load_b128 v[2:5], v1 offset:1248
	ds_load_b128 v[34:37], v1 offset:1264
	v_add_f64 v[184:185], v[190:191], v[184:185]
	v_add_f64 v[186:187], v[188:189], v[186:187]
	s_waitcnt vmcnt(7) lgkmcnt(1)
	v_mul_f64 v[188:189], v[2:3], v[44:45]
	v_mul_f64 v[44:45], v[4:5], v[44:45]
	v_fma_f64 v[182:183], v[182:183], v[38:39], v[192:193]
	v_fma_f64 v[38:39], v[180:181], v[38:39], -v[40:41]
	v_add_f64 v[40:41], v[184:185], v[196:197]
	v_add_f64 v[180:181], v[186:187], v[194:195]
	s_waitcnt vmcnt(6) lgkmcnt(0)
	v_mul_f64 v[184:185], v[34:35], v[8:9]
	v_mul_f64 v[8:9], v[36:37], v[8:9]
	v_fma_f64 v[186:187], v[4:5], v[42:43], v[188:189]
	v_fma_f64 v[42:43], v[2:3], v[42:43], -v[44:45]
	v_add_f64 v[44:45], v[40:41], v[38:39]
	v_add_f64 v[180:181], v[180:181], v[182:183]
	ds_load_b128 v[2:5], v1 offset:1280
	ds_load_b128 v[38:41], v1 offset:1296
	v_fma_f64 v[36:37], v[36:37], v[6:7], v[184:185]
	v_fma_f64 v[6:7], v[34:35], v[6:7], -v[8:9]
	s_waitcnt vmcnt(5) lgkmcnt(1)
	v_mul_f64 v[182:183], v[2:3], v[12:13]
	v_mul_f64 v[12:13], v[4:5], v[12:13]
	v_add_f64 v[8:9], v[44:45], v[42:43]
	v_add_f64 v[34:35], v[180:181], v[186:187]
	s_waitcnt vmcnt(4) lgkmcnt(0)
	v_mul_f64 v[42:43], v[38:39], v[16:17]
	v_mul_f64 v[16:17], v[40:41], v[16:17]
	v_fma_f64 v[44:45], v[4:5], v[10:11], v[182:183]
	v_fma_f64 v[10:11], v[2:3], v[10:11], -v[12:13]
	v_add_f64 v[12:13], v[8:9], v[6:7]
	v_add_f64 v[34:35], v[34:35], v[36:37]
	ds_load_b128 v[2:5], v1 offset:1312
	ds_load_b128 v[6:9], v1 offset:1328
	v_fma_f64 v[40:41], v[40:41], v[14:15], v[42:43]
	v_fma_f64 v[14:15], v[38:39], v[14:15], -v[16:17]
	s_waitcnt vmcnt(3) lgkmcnt(1)
	v_mul_f64 v[36:37], v[2:3], v[20:21]
	v_mul_f64 v[20:21], v[4:5], v[20:21]
	s_waitcnt vmcnt(2) lgkmcnt(0)
	v_mul_f64 v[16:17], v[6:7], v[24:25]
	v_mul_f64 v[24:25], v[8:9], v[24:25]
	v_add_f64 v[10:11], v[12:13], v[10:11]
	v_add_f64 v[12:13], v[34:35], v[44:45]
	v_fma_f64 v[34:35], v[4:5], v[18:19], v[36:37]
	v_fma_f64 v[18:19], v[2:3], v[18:19], -v[20:21]
	v_fma_f64 v[8:9], v[8:9], v[22:23], v[16:17]
	v_fma_f64 v[6:7], v[6:7], v[22:23], -v[24:25]
	v_add_f64 v[14:15], v[10:11], v[14:15]
	v_add_f64 v[20:21], v[12:13], v[40:41]
	ds_load_b128 v[2:5], v1 offset:1344
	ds_load_b128 v[10:13], v1 offset:1360
	s_waitcnt vmcnt(1) lgkmcnt(1)
	v_mul_f64 v[36:37], v[2:3], v[28:29]
	v_mul_f64 v[28:29], v[4:5], v[28:29]
	v_add_f64 v[14:15], v[14:15], v[18:19]
	v_add_f64 v[16:17], v[20:21], v[34:35]
	s_waitcnt vmcnt(0) lgkmcnt(0)
	v_mul_f64 v[18:19], v[10:11], v[32:33]
	v_mul_f64 v[20:21], v[12:13], v[32:33]
	v_fma_f64 v[4:5], v[4:5], v[26:27], v[36:37]
	v_fma_f64 v[1:2], v[2:3], v[26:27], -v[28:29]
	v_add_f64 v[6:7], v[14:15], v[6:7]
	v_add_f64 v[8:9], v[16:17], v[8:9]
	v_fma_f64 v[12:13], v[12:13], v[30:31], v[18:19]
	v_fma_f64 v[10:11], v[10:11], v[30:31], -v[20:21]
	s_delay_alu instid0(VALU_DEP_4) | instskip(NEXT) | instid1(VALU_DEP_4)
	v_add_f64 v[1:2], v[6:7], v[1:2]
	v_add_f64 v[3:4], v[8:9], v[4:5]
	s_delay_alu instid0(VALU_DEP_2) | instskip(NEXT) | instid1(VALU_DEP_2)
	v_add_f64 v[1:2], v[1:2], v[10:11]
	v_add_f64 v[3:4], v[3:4], v[12:13]
	s_delay_alu instid0(VALU_DEP_2) | instskip(NEXT) | instid1(VALU_DEP_2)
	v_add_f64 v[1:2], v[176:177], -v[1:2]
	v_add_f64 v[3:4], v[178:179], -v[3:4]
	scratch_store_b128 off, v[1:4], off offset:224
	v_cmpx_lt_u32_e32 13, v132
	s_cbranch_execz .LBB42_245
; %bb.244:
	scratch_load_b128 v[1:4], v165, off
	v_mov_b32_e32 v5, 0
	s_delay_alu instid0(VALU_DEP_1)
	v_mov_b32_e32 v6, v5
	v_mov_b32_e32 v7, v5
	;; [unrolled: 1-line block ×3, first 2 shown]
	scratch_store_b128 off, v[5:8], off offset:208
	s_waitcnt vmcnt(0)
	ds_store_b128 v175, v[1:4]
.LBB42_245:
	s_or_b32 exec_lo, exec_lo, s2
	s_waitcnt lgkmcnt(0)
	s_waitcnt_vscnt null, 0x0
	s_barrier
	buffer_gl0_inv
	s_clause 0x7
	scratch_load_b128 v[2:5], off, off offset:224
	scratch_load_b128 v[6:9], off, off offset:240
	;; [unrolled: 1-line block ×8, first 2 shown]
	v_mov_b32_e32 v1, 0
	s_mov_b32 s2, exec_lo
	ds_load_b128 v[38:41], v1 offset:912
	s_clause 0x1
	scratch_load_b128 v[34:37], off, off offset:352
	scratch_load_b128 v[42:45], off, off offset:208
	ds_load_b128 v[176:179], v1 offset:928
	scratch_load_b128 v[180:183], off, off offset:368
	s_waitcnt vmcnt(10) lgkmcnt(1)
	v_mul_f64 v[184:185], v[40:41], v[4:5]
	v_mul_f64 v[4:5], v[38:39], v[4:5]
	s_delay_alu instid0(VALU_DEP_2) | instskip(NEXT) | instid1(VALU_DEP_2)
	v_fma_f64 v[190:191], v[38:39], v[2:3], -v[184:185]
	v_fma_f64 v[192:193], v[40:41], v[2:3], v[4:5]
	scratch_load_b128 v[38:41], off, off offset:384
	ds_load_b128 v[2:5], v1 offset:944
	s_waitcnt vmcnt(10) lgkmcnt(1)
	v_mul_f64 v[188:189], v[176:177], v[8:9]
	v_mul_f64 v[8:9], v[178:179], v[8:9]
	ds_load_b128 v[184:187], v1 offset:960
	s_waitcnt vmcnt(9) lgkmcnt(1)
	v_mul_f64 v[194:195], v[2:3], v[12:13]
	v_mul_f64 v[12:13], v[4:5], v[12:13]
	v_fma_f64 v[178:179], v[178:179], v[6:7], v[188:189]
	v_fma_f64 v[176:177], v[176:177], v[6:7], -v[8:9]
	v_add_f64 v[188:189], v[190:191], 0
	v_add_f64 v[190:191], v[192:193], 0
	scratch_load_b128 v[6:9], off, off offset:400
	v_fma_f64 v[194:195], v[4:5], v[10:11], v[194:195]
	v_fma_f64 v[196:197], v[2:3], v[10:11], -v[12:13]
	scratch_load_b128 v[10:13], off, off offset:416
	ds_load_b128 v[2:5], v1 offset:976
	s_waitcnt vmcnt(10) lgkmcnt(1)
	v_mul_f64 v[192:193], v[184:185], v[16:17]
	v_mul_f64 v[16:17], v[186:187], v[16:17]
	v_add_f64 v[188:189], v[188:189], v[176:177]
	v_add_f64 v[190:191], v[190:191], v[178:179]
	s_waitcnt vmcnt(9) lgkmcnt(0)
	v_mul_f64 v[198:199], v[2:3], v[20:21]
	v_mul_f64 v[20:21], v[4:5], v[20:21]
	ds_load_b128 v[176:179], v1 offset:992
	v_fma_f64 v[186:187], v[186:187], v[14:15], v[192:193]
	v_fma_f64 v[184:185], v[184:185], v[14:15], -v[16:17]
	scratch_load_b128 v[14:17], off, off offset:432
	v_add_f64 v[188:189], v[188:189], v[196:197]
	v_add_f64 v[190:191], v[190:191], v[194:195]
	v_fma_f64 v[194:195], v[4:5], v[18:19], v[198:199]
	v_fma_f64 v[196:197], v[2:3], v[18:19], -v[20:21]
	scratch_load_b128 v[18:21], off, off offset:448
	ds_load_b128 v[2:5], v1 offset:1008
	s_waitcnt vmcnt(10) lgkmcnt(1)
	v_mul_f64 v[192:193], v[176:177], v[24:25]
	v_mul_f64 v[24:25], v[178:179], v[24:25]
	s_waitcnt vmcnt(9) lgkmcnt(0)
	v_mul_f64 v[198:199], v[2:3], v[28:29]
	v_mul_f64 v[28:29], v[4:5], v[28:29]
	v_add_f64 v[188:189], v[188:189], v[184:185]
	v_add_f64 v[190:191], v[190:191], v[186:187]
	ds_load_b128 v[184:187], v1 offset:1024
	v_fma_f64 v[178:179], v[178:179], v[22:23], v[192:193]
	v_fma_f64 v[176:177], v[176:177], v[22:23], -v[24:25]
	scratch_load_b128 v[22:25], off, off offset:464
	v_add_f64 v[188:189], v[188:189], v[196:197]
	v_add_f64 v[190:191], v[190:191], v[194:195]
	v_fma_f64 v[194:195], v[4:5], v[26:27], v[198:199]
	v_fma_f64 v[196:197], v[2:3], v[26:27], -v[28:29]
	scratch_load_b128 v[26:29], off, off offset:480
	ds_load_b128 v[2:5], v1 offset:1040
	s_waitcnt vmcnt(10) lgkmcnt(1)
	v_mul_f64 v[192:193], v[184:185], v[32:33]
	v_mul_f64 v[32:33], v[186:187], v[32:33]
	s_waitcnt vmcnt(9) lgkmcnt(0)
	v_mul_f64 v[198:199], v[2:3], v[36:37]
	v_mul_f64 v[36:37], v[4:5], v[36:37]
	v_add_f64 v[188:189], v[188:189], v[176:177]
	v_add_f64 v[190:191], v[190:191], v[178:179]
	ds_load_b128 v[176:179], v1 offset:1056
	v_fma_f64 v[186:187], v[186:187], v[30:31], v[192:193]
	v_fma_f64 v[184:185], v[184:185], v[30:31], -v[32:33]
	scratch_load_b128 v[30:33], off, off offset:496
	v_add_f64 v[188:189], v[188:189], v[196:197]
	v_add_f64 v[190:191], v[190:191], v[194:195]
	v_fma_f64 v[196:197], v[4:5], v[34:35], v[198:199]
	v_fma_f64 v[198:199], v[2:3], v[34:35], -v[36:37]
	scratch_load_b128 v[34:37], off, off offset:512
	ds_load_b128 v[2:5], v1 offset:1072
	s_waitcnt vmcnt(9) lgkmcnt(1)
	v_mul_f64 v[192:193], v[176:177], v[182:183]
	v_mul_f64 v[194:195], v[178:179], v[182:183]
	v_add_f64 v[188:189], v[188:189], v[184:185]
	v_add_f64 v[186:187], v[190:191], v[186:187]
	ds_load_b128 v[182:185], v1 offset:1088
	v_fma_f64 v[192:193], v[178:179], v[180:181], v[192:193]
	v_fma_f64 v[180:181], v[176:177], v[180:181], -v[194:195]
	scratch_load_b128 v[176:179], off, off offset:528
	s_waitcnt vmcnt(9) lgkmcnt(1)
	v_mul_f64 v[190:191], v[2:3], v[40:41]
	v_mul_f64 v[40:41], v[4:5], v[40:41]
	v_add_f64 v[188:189], v[188:189], v[198:199]
	v_add_f64 v[186:187], v[186:187], v[196:197]
	s_delay_alu instid0(VALU_DEP_4) | instskip(NEXT) | instid1(VALU_DEP_4)
	v_fma_f64 v[190:191], v[4:5], v[38:39], v[190:191]
	v_fma_f64 v[196:197], v[2:3], v[38:39], -v[40:41]
	scratch_load_b128 v[38:41], off, off offset:544
	ds_load_b128 v[2:5], v1 offset:1104
	s_waitcnt vmcnt(9) lgkmcnt(1)
	v_mul_f64 v[194:195], v[182:183], v[8:9]
	v_mul_f64 v[8:9], v[184:185], v[8:9]
	s_waitcnt vmcnt(8) lgkmcnt(0)
	v_mul_f64 v[198:199], v[2:3], v[12:13]
	v_mul_f64 v[12:13], v[4:5], v[12:13]
	v_add_f64 v[180:181], v[188:189], v[180:181]
	v_add_f64 v[192:193], v[186:187], v[192:193]
	ds_load_b128 v[186:189], v1 offset:1120
	v_fma_f64 v[184:185], v[184:185], v[6:7], v[194:195]
	v_fma_f64 v[182:183], v[182:183], v[6:7], -v[8:9]
	scratch_load_b128 v[6:9], off, off offset:560
	v_fma_f64 v[194:195], v[4:5], v[10:11], v[198:199]
	v_add_f64 v[180:181], v[180:181], v[196:197]
	v_add_f64 v[190:191], v[192:193], v[190:191]
	v_fma_f64 v[196:197], v[2:3], v[10:11], -v[12:13]
	scratch_load_b128 v[10:13], off, off offset:576
	ds_load_b128 v[2:5], v1 offset:1136
	s_waitcnt vmcnt(9) lgkmcnt(1)
	v_mul_f64 v[192:193], v[186:187], v[16:17]
	v_mul_f64 v[16:17], v[188:189], v[16:17]
	v_add_f64 v[198:199], v[180:181], v[182:183]
	v_add_f64 v[184:185], v[190:191], v[184:185]
	s_waitcnt vmcnt(8) lgkmcnt(0)
	v_mul_f64 v[190:191], v[2:3], v[20:21]
	v_mul_f64 v[20:21], v[4:5], v[20:21]
	ds_load_b128 v[180:183], v1 offset:1152
	v_fma_f64 v[188:189], v[188:189], v[14:15], v[192:193]
	v_fma_f64 v[186:187], v[186:187], v[14:15], -v[16:17]
	scratch_load_b128 v[14:17], off, off offset:592
	v_add_f64 v[192:193], v[198:199], v[196:197]
	v_add_f64 v[184:185], v[184:185], v[194:195]
	v_fma_f64 v[190:191], v[4:5], v[18:19], v[190:191]
	v_fma_f64 v[196:197], v[2:3], v[18:19], -v[20:21]
	scratch_load_b128 v[18:21], off, off offset:608
	ds_load_b128 v[2:5], v1 offset:1168
	s_waitcnt vmcnt(9) lgkmcnt(1)
	v_mul_f64 v[194:195], v[180:181], v[24:25]
	v_mul_f64 v[24:25], v[182:183], v[24:25]
	s_waitcnt vmcnt(8) lgkmcnt(0)
	v_mul_f64 v[198:199], v[2:3], v[28:29]
	v_mul_f64 v[28:29], v[4:5], v[28:29]
	v_add_f64 v[192:193], v[192:193], v[186:187]
	v_add_f64 v[188:189], v[184:185], v[188:189]
	ds_load_b128 v[184:187], v1 offset:1184
	v_fma_f64 v[182:183], v[182:183], v[22:23], v[194:195]
	v_fma_f64 v[180:181], v[180:181], v[22:23], -v[24:25]
	scratch_load_b128 v[22:25], off, off offset:624
	v_fma_f64 v[194:195], v[4:5], v[26:27], v[198:199]
	v_add_f64 v[192:193], v[192:193], v[196:197]
	v_add_f64 v[188:189], v[188:189], v[190:191]
	v_fma_f64 v[196:197], v[2:3], v[26:27], -v[28:29]
	scratch_load_b128 v[26:29], off, off offset:640
	ds_load_b128 v[2:5], v1 offset:1200
	s_waitcnt vmcnt(9) lgkmcnt(1)
	v_mul_f64 v[190:191], v[184:185], v[32:33]
	v_mul_f64 v[32:33], v[186:187], v[32:33]
	s_waitcnt vmcnt(8) lgkmcnt(0)
	v_mul_f64 v[198:199], v[2:3], v[36:37]
	v_mul_f64 v[36:37], v[4:5], v[36:37]
	v_add_f64 v[192:193], v[192:193], v[180:181]
	v_add_f64 v[188:189], v[188:189], v[182:183]
	ds_load_b128 v[180:183], v1 offset:1216
	v_fma_f64 v[186:187], v[186:187], v[30:31], v[190:191]
	v_fma_f64 v[184:185], v[184:185], v[30:31], -v[32:33]
	scratch_load_b128 v[30:33], off, off offset:656
	v_add_f64 v[190:191], v[192:193], v[196:197]
	v_add_f64 v[188:189], v[188:189], v[194:195]
	v_fma_f64 v[194:195], v[4:5], v[34:35], v[198:199]
	v_fma_f64 v[196:197], v[2:3], v[34:35], -v[36:37]
	scratch_load_b128 v[34:37], off, off offset:672
	ds_load_b128 v[2:5], v1 offset:1232
	s_waitcnt vmcnt(9) lgkmcnt(1)
	v_mul_f64 v[192:193], v[180:181], v[178:179]
	v_mul_f64 v[178:179], v[182:183], v[178:179]
	s_waitcnt vmcnt(8) lgkmcnt(0)
	v_mul_f64 v[198:199], v[2:3], v[40:41]
	v_mul_f64 v[40:41], v[4:5], v[40:41]
	v_add_f64 v[190:191], v[190:191], v[184:185]
	v_add_f64 v[188:189], v[188:189], v[186:187]
	ds_load_b128 v[184:187], v1 offset:1248
	v_fma_f64 v[182:183], v[182:183], v[176:177], v[192:193]
	v_fma_f64 v[176:177], v[180:181], v[176:177], -v[178:179]
	v_fma_f64 v[192:193], v[2:3], v[38:39], -v[40:41]
	v_add_f64 v[178:179], v[190:191], v[196:197]
	v_add_f64 v[180:181], v[188:189], v[194:195]
	s_waitcnt vmcnt(7) lgkmcnt(0)
	v_mul_f64 v[188:189], v[184:185], v[8:9]
	v_mul_f64 v[8:9], v[186:187], v[8:9]
	v_fma_f64 v[190:191], v[4:5], v[38:39], v[198:199]
	ds_load_b128 v[2:5], v1 offset:1264
	ds_load_b128 v[38:41], v1 offset:1280
	v_add_f64 v[176:177], v[178:179], v[176:177]
	v_add_f64 v[178:179], v[180:181], v[182:183]
	s_waitcnt vmcnt(6) lgkmcnt(1)
	v_mul_f64 v[180:181], v[2:3], v[12:13]
	v_mul_f64 v[12:13], v[4:5], v[12:13]
	v_fma_f64 v[182:183], v[186:187], v[6:7], v[188:189]
	v_fma_f64 v[6:7], v[184:185], v[6:7], -v[8:9]
	v_add_f64 v[8:9], v[176:177], v[192:193]
	v_add_f64 v[176:177], v[178:179], v[190:191]
	s_waitcnt vmcnt(5) lgkmcnt(0)
	v_mul_f64 v[178:179], v[38:39], v[16:17]
	v_mul_f64 v[16:17], v[40:41], v[16:17]
	v_fma_f64 v[180:181], v[4:5], v[10:11], v[180:181]
	v_fma_f64 v[10:11], v[2:3], v[10:11], -v[12:13]
	v_add_f64 v[12:13], v[8:9], v[6:7]
	v_add_f64 v[176:177], v[176:177], v[182:183]
	ds_load_b128 v[2:5], v1 offset:1296
	ds_load_b128 v[6:9], v1 offset:1312
	v_fma_f64 v[40:41], v[40:41], v[14:15], v[178:179]
	v_fma_f64 v[14:15], v[38:39], v[14:15], -v[16:17]
	s_waitcnt vmcnt(4) lgkmcnt(1)
	v_mul_f64 v[182:183], v[2:3], v[20:21]
	v_mul_f64 v[20:21], v[4:5], v[20:21]
	s_waitcnt vmcnt(3) lgkmcnt(0)
	v_mul_f64 v[16:17], v[6:7], v[24:25]
	v_mul_f64 v[24:25], v[8:9], v[24:25]
	v_add_f64 v[10:11], v[12:13], v[10:11]
	v_add_f64 v[12:13], v[176:177], v[180:181]
	v_fma_f64 v[38:39], v[4:5], v[18:19], v[182:183]
	v_fma_f64 v[18:19], v[2:3], v[18:19], -v[20:21]
	v_fma_f64 v[8:9], v[8:9], v[22:23], v[16:17]
	v_fma_f64 v[6:7], v[6:7], v[22:23], -v[24:25]
	v_add_f64 v[14:15], v[10:11], v[14:15]
	v_add_f64 v[20:21], v[12:13], v[40:41]
	ds_load_b128 v[2:5], v1 offset:1328
	ds_load_b128 v[10:13], v1 offset:1344
	s_waitcnt vmcnt(2) lgkmcnt(1)
	v_mul_f64 v[40:41], v[2:3], v[28:29]
	v_mul_f64 v[28:29], v[4:5], v[28:29]
	v_add_f64 v[14:15], v[14:15], v[18:19]
	v_add_f64 v[16:17], v[20:21], v[38:39]
	s_waitcnt vmcnt(1) lgkmcnt(0)
	v_mul_f64 v[18:19], v[10:11], v[32:33]
	v_mul_f64 v[20:21], v[12:13], v[32:33]
	v_fma_f64 v[22:23], v[4:5], v[26:27], v[40:41]
	v_fma_f64 v[24:25], v[2:3], v[26:27], -v[28:29]
	ds_load_b128 v[2:5], v1 offset:1360
	v_add_f64 v[6:7], v[14:15], v[6:7]
	v_add_f64 v[8:9], v[16:17], v[8:9]
	v_fma_f64 v[12:13], v[12:13], v[30:31], v[18:19]
	v_fma_f64 v[10:11], v[10:11], v[30:31], -v[20:21]
	s_waitcnt vmcnt(0) lgkmcnt(0)
	v_mul_f64 v[14:15], v[2:3], v[36:37]
	v_mul_f64 v[16:17], v[4:5], v[36:37]
	v_add_f64 v[6:7], v[6:7], v[24:25]
	v_add_f64 v[8:9], v[8:9], v[22:23]
	s_delay_alu instid0(VALU_DEP_4) | instskip(NEXT) | instid1(VALU_DEP_4)
	v_fma_f64 v[4:5], v[4:5], v[34:35], v[14:15]
	v_fma_f64 v[2:3], v[2:3], v[34:35], -v[16:17]
	s_delay_alu instid0(VALU_DEP_4) | instskip(NEXT) | instid1(VALU_DEP_4)
	v_add_f64 v[6:7], v[6:7], v[10:11]
	v_add_f64 v[8:9], v[8:9], v[12:13]
	s_delay_alu instid0(VALU_DEP_2) | instskip(NEXT) | instid1(VALU_DEP_2)
	v_add_f64 v[2:3], v[6:7], v[2:3]
	v_add_f64 v[4:5], v[8:9], v[4:5]
	s_delay_alu instid0(VALU_DEP_2) | instskip(NEXT) | instid1(VALU_DEP_2)
	v_add_f64 v[2:3], v[42:43], -v[2:3]
	v_add_f64 v[4:5], v[44:45], -v[4:5]
	scratch_store_b128 off, v[2:5], off offset:208
	v_cmpx_lt_u32_e32 12, v132
	s_cbranch_execz .LBB42_247
; %bb.246:
	scratch_load_b128 v[5:8], v166, off
	v_mov_b32_e32 v2, v1
	v_mov_b32_e32 v3, v1
	;; [unrolled: 1-line block ×3, first 2 shown]
	scratch_store_b128 off, v[1:4], off offset:192
	s_waitcnt vmcnt(0)
	ds_store_b128 v175, v[5:8]
.LBB42_247:
	s_or_b32 exec_lo, exec_lo, s2
	s_waitcnt lgkmcnt(0)
	s_waitcnt_vscnt null, 0x0
	s_barrier
	buffer_gl0_inv
	s_clause 0x8
	scratch_load_b128 v[2:5], off, off offset:208
	scratch_load_b128 v[6:9], off, off offset:224
	;; [unrolled: 1-line block ×9, first 2 shown]
	ds_load_b128 v[42:45], v1 offset:896
	ds_load_b128 v[38:41], v1 offset:912
	s_clause 0x1
	scratch_load_b128 v[176:179], off, off offset:192
	scratch_load_b128 v[180:183], off, off offset:352
	s_mov_b32 s2, exec_lo
	s_waitcnt vmcnt(10) lgkmcnt(1)
	v_mul_f64 v[184:185], v[44:45], v[4:5]
	v_mul_f64 v[4:5], v[42:43], v[4:5]
	s_waitcnt vmcnt(9) lgkmcnt(0)
	v_mul_f64 v[188:189], v[38:39], v[8:9]
	v_mul_f64 v[8:9], v[40:41], v[8:9]
	s_delay_alu instid0(VALU_DEP_4) | instskip(NEXT) | instid1(VALU_DEP_4)
	v_fma_f64 v[190:191], v[42:43], v[2:3], -v[184:185]
	v_fma_f64 v[192:193], v[44:45], v[2:3], v[4:5]
	ds_load_b128 v[2:5], v1 offset:928
	ds_load_b128 v[184:187], v1 offset:944
	scratch_load_b128 v[42:45], off, off offset:368
	v_fma_f64 v[40:41], v[40:41], v[6:7], v[188:189]
	v_fma_f64 v[38:39], v[38:39], v[6:7], -v[8:9]
	scratch_load_b128 v[6:9], off, off offset:384
	s_waitcnt vmcnt(10) lgkmcnt(1)
	v_mul_f64 v[194:195], v[2:3], v[12:13]
	v_mul_f64 v[12:13], v[4:5], v[12:13]
	v_add_f64 v[188:189], v[190:191], 0
	v_add_f64 v[190:191], v[192:193], 0
	s_waitcnt vmcnt(9) lgkmcnt(0)
	v_mul_f64 v[192:193], v[184:185], v[16:17]
	v_mul_f64 v[16:17], v[186:187], v[16:17]
	v_fma_f64 v[194:195], v[4:5], v[10:11], v[194:195]
	v_fma_f64 v[196:197], v[2:3], v[10:11], -v[12:13]
	ds_load_b128 v[2:5], v1 offset:960
	scratch_load_b128 v[10:13], off, off offset:400
	v_add_f64 v[188:189], v[188:189], v[38:39]
	v_add_f64 v[190:191], v[190:191], v[40:41]
	ds_load_b128 v[38:41], v1 offset:976
	v_fma_f64 v[186:187], v[186:187], v[14:15], v[192:193]
	v_fma_f64 v[184:185], v[184:185], v[14:15], -v[16:17]
	scratch_load_b128 v[14:17], off, off offset:416
	s_waitcnt vmcnt(10) lgkmcnt(1)
	v_mul_f64 v[198:199], v[2:3], v[20:21]
	v_mul_f64 v[20:21], v[4:5], v[20:21]
	s_waitcnt vmcnt(9) lgkmcnt(0)
	v_mul_f64 v[192:193], v[38:39], v[24:25]
	v_mul_f64 v[24:25], v[40:41], v[24:25]
	v_add_f64 v[188:189], v[188:189], v[196:197]
	v_add_f64 v[190:191], v[190:191], v[194:195]
	v_fma_f64 v[194:195], v[4:5], v[18:19], v[198:199]
	v_fma_f64 v[196:197], v[2:3], v[18:19], -v[20:21]
	ds_load_b128 v[2:5], v1 offset:992
	scratch_load_b128 v[18:21], off, off offset:432
	v_fma_f64 v[40:41], v[40:41], v[22:23], v[192:193]
	v_fma_f64 v[38:39], v[38:39], v[22:23], -v[24:25]
	scratch_load_b128 v[22:25], off, off offset:448
	v_add_f64 v[188:189], v[188:189], v[184:185]
	v_add_f64 v[190:191], v[190:191], v[186:187]
	ds_load_b128 v[184:187], v1 offset:1008
	s_waitcnt vmcnt(10) lgkmcnt(1)
	v_mul_f64 v[198:199], v[2:3], v[28:29]
	v_mul_f64 v[28:29], v[4:5], v[28:29]
	s_waitcnt vmcnt(9) lgkmcnt(0)
	v_mul_f64 v[192:193], v[184:185], v[32:33]
	v_mul_f64 v[32:33], v[186:187], v[32:33]
	v_add_f64 v[188:189], v[188:189], v[196:197]
	v_add_f64 v[190:191], v[190:191], v[194:195]
	v_fma_f64 v[194:195], v[4:5], v[26:27], v[198:199]
	v_fma_f64 v[196:197], v[2:3], v[26:27], -v[28:29]
	ds_load_b128 v[2:5], v1 offset:1024
	scratch_load_b128 v[26:29], off, off offset:464
	v_fma_f64 v[186:187], v[186:187], v[30:31], v[192:193]
	v_fma_f64 v[184:185], v[184:185], v[30:31], -v[32:33]
	scratch_load_b128 v[30:33], off, off offset:480
	v_add_f64 v[188:189], v[188:189], v[38:39]
	v_add_f64 v[190:191], v[190:191], v[40:41]
	ds_load_b128 v[38:41], v1 offset:1040
	s_waitcnt vmcnt(10) lgkmcnt(1)
	v_mul_f64 v[198:199], v[2:3], v[36:37]
	v_mul_f64 v[36:37], v[4:5], v[36:37]
	s_waitcnt vmcnt(8) lgkmcnt(0)
	v_mul_f64 v[192:193], v[38:39], v[182:183]
	v_add_f64 v[188:189], v[188:189], v[196:197]
	v_add_f64 v[190:191], v[190:191], v[194:195]
	v_mul_f64 v[194:195], v[40:41], v[182:183]
	v_fma_f64 v[196:197], v[4:5], v[34:35], v[198:199]
	v_fma_f64 v[198:199], v[2:3], v[34:35], -v[36:37]
	ds_load_b128 v[2:5], v1 offset:1056
	scratch_load_b128 v[34:37], off, off offset:496
	v_fma_f64 v[192:193], v[40:41], v[180:181], v[192:193]
	v_add_f64 v[188:189], v[188:189], v[184:185]
	v_add_f64 v[186:187], v[190:191], v[186:187]
	ds_load_b128 v[182:185], v1 offset:1072
	v_fma_f64 v[180:181], v[38:39], v[180:181], -v[194:195]
	scratch_load_b128 v[38:41], off, off offset:512
	s_waitcnt vmcnt(9) lgkmcnt(1)
	v_mul_f64 v[190:191], v[2:3], v[44:45]
	v_mul_f64 v[44:45], v[4:5], v[44:45]
	s_waitcnt vmcnt(8) lgkmcnt(0)
	v_mul_f64 v[194:195], v[182:183], v[8:9]
	v_mul_f64 v[8:9], v[184:185], v[8:9]
	v_add_f64 v[188:189], v[188:189], v[198:199]
	v_add_f64 v[186:187], v[186:187], v[196:197]
	v_fma_f64 v[190:191], v[4:5], v[42:43], v[190:191]
	v_fma_f64 v[196:197], v[2:3], v[42:43], -v[44:45]
	ds_load_b128 v[2:5], v1 offset:1088
	scratch_load_b128 v[42:45], off, off offset:528
	v_fma_f64 v[184:185], v[184:185], v[6:7], v[194:195]
	v_fma_f64 v[182:183], v[182:183], v[6:7], -v[8:9]
	scratch_load_b128 v[6:9], off, off offset:544
	v_add_f64 v[180:181], v[188:189], v[180:181]
	v_add_f64 v[192:193], v[186:187], v[192:193]
	ds_load_b128 v[186:189], v1 offset:1104
	s_waitcnt vmcnt(9) lgkmcnt(1)
	v_mul_f64 v[198:199], v[2:3], v[12:13]
	v_mul_f64 v[12:13], v[4:5], v[12:13]
	v_add_f64 v[180:181], v[180:181], v[196:197]
	v_add_f64 v[190:191], v[192:193], v[190:191]
	s_waitcnt vmcnt(8) lgkmcnt(0)
	v_mul_f64 v[192:193], v[186:187], v[16:17]
	v_mul_f64 v[16:17], v[188:189], v[16:17]
	v_fma_f64 v[194:195], v[4:5], v[10:11], v[198:199]
	v_fma_f64 v[196:197], v[2:3], v[10:11], -v[12:13]
	ds_load_b128 v[2:5], v1 offset:1120
	scratch_load_b128 v[10:13], off, off offset:560
	v_add_f64 v[198:199], v[180:181], v[182:183]
	v_add_f64 v[184:185], v[190:191], v[184:185]
	ds_load_b128 v[180:183], v1 offset:1136
	s_waitcnt vmcnt(8) lgkmcnt(1)
	v_mul_f64 v[190:191], v[2:3], v[20:21]
	v_mul_f64 v[20:21], v[4:5], v[20:21]
	v_fma_f64 v[188:189], v[188:189], v[14:15], v[192:193]
	v_fma_f64 v[186:187], v[186:187], v[14:15], -v[16:17]
	scratch_load_b128 v[14:17], off, off offset:576
	v_add_f64 v[192:193], v[198:199], v[196:197]
	v_add_f64 v[184:185], v[184:185], v[194:195]
	s_waitcnt vmcnt(8) lgkmcnt(0)
	v_mul_f64 v[194:195], v[180:181], v[24:25]
	v_mul_f64 v[24:25], v[182:183], v[24:25]
	v_fma_f64 v[190:191], v[4:5], v[18:19], v[190:191]
	v_fma_f64 v[196:197], v[2:3], v[18:19], -v[20:21]
	ds_load_b128 v[2:5], v1 offset:1152
	scratch_load_b128 v[18:21], off, off offset:592
	v_add_f64 v[192:193], v[192:193], v[186:187]
	v_add_f64 v[188:189], v[184:185], v[188:189]
	ds_load_b128 v[184:187], v1 offset:1168
	s_waitcnt vmcnt(8) lgkmcnt(1)
	v_mul_f64 v[198:199], v[2:3], v[28:29]
	v_mul_f64 v[28:29], v[4:5], v[28:29]
	v_fma_f64 v[182:183], v[182:183], v[22:23], v[194:195]
	v_fma_f64 v[180:181], v[180:181], v[22:23], -v[24:25]
	scratch_load_b128 v[22:25], off, off offset:608
	;; [unrolled: 18-line block ×4, first 2 shown]
	s_waitcnt vmcnt(8) lgkmcnt(0)
	v_mul_f64 v[192:193], v[184:185], v[8:9]
	v_mul_f64 v[8:9], v[186:187], v[8:9]
	v_add_f64 v[190:191], v[190:191], v[196:197]
	v_add_f64 v[188:189], v[188:189], v[194:195]
	v_fma_f64 v[194:195], v[4:5], v[42:43], v[198:199]
	v_fma_f64 v[196:197], v[2:3], v[42:43], -v[44:45]
	ds_load_b128 v[2:5], v1 offset:1248
	ds_load_b128 v[42:45], v1 offset:1264
	v_fma_f64 v[186:187], v[186:187], v[6:7], v[192:193]
	v_fma_f64 v[6:7], v[184:185], v[6:7], -v[8:9]
	v_add_f64 v[180:181], v[190:191], v[180:181]
	v_add_f64 v[182:183], v[188:189], v[182:183]
	s_waitcnt vmcnt(7) lgkmcnt(1)
	v_mul_f64 v[188:189], v[2:3], v[12:13]
	v_mul_f64 v[12:13], v[4:5], v[12:13]
	s_delay_alu instid0(VALU_DEP_4) | instskip(NEXT) | instid1(VALU_DEP_4)
	v_add_f64 v[8:9], v[180:181], v[196:197]
	v_add_f64 v[180:181], v[182:183], v[194:195]
	s_waitcnt vmcnt(6) lgkmcnt(0)
	v_mul_f64 v[182:183], v[42:43], v[16:17]
	v_mul_f64 v[16:17], v[44:45], v[16:17]
	v_fma_f64 v[184:185], v[4:5], v[10:11], v[188:189]
	v_fma_f64 v[10:11], v[2:3], v[10:11], -v[12:13]
	v_add_f64 v[12:13], v[8:9], v[6:7]
	v_add_f64 v[180:181], v[180:181], v[186:187]
	ds_load_b128 v[2:5], v1 offset:1280
	ds_load_b128 v[6:9], v1 offset:1296
	v_fma_f64 v[44:45], v[44:45], v[14:15], v[182:183]
	v_fma_f64 v[14:15], v[42:43], v[14:15], -v[16:17]
	s_waitcnt vmcnt(5) lgkmcnt(1)
	v_mul_f64 v[186:187], v[2:3], v[20:21]
	v_mul_f64 v[20:21], v[4:5], v[20:21]
	s_waitcnt vmcnt(4) lgkmcnt(0)
	v_mul_f64 v[16:17], v[6:7], v[24:25]
	v_mul_f64 v[24:25], v[8:9], v[24:25]
	v_add_f64 v[10:11], v[12:13], v[10:11]
	v_add_f64 v[12:13], v[180:181], v[184:185]
	v_fma_f64 v[42:43], v[4:5], v[18:19], v[186:187]
	v_fma_f64 v[18:19], v[2:3], v[18:19], -v[20:21]
	v_fma_f64 v[8:9], v[8:9], v[22:23], v[16:17]
	v_fma_f64 v[6:7], v[6:7], v[22:23], -v[24:25]
	v_add_f64 v[14:15], v[10:11], v[14:15]
	v_add_f64 v[20:21], v[12:13], v[44:45]
	ds_load_b128 v[2:5], v1 offset:1312
	ds_load_b128 v[10:13], v1 offset:1328
	s_waitcnt vmcnt(3) lgkmcnt(1)
	v_mul_f64 v[44:45], v[2:3], v[28:29]
	v_mul_f64 v[28:29], v[4:5], v[28:29]
	v_add_f64 v[14:15], v[14:15], v[18:19]
	v_add_f64 v[16:17], v[20:21], v[42:43]
	s_waitcnt vmcnt(2) lgkmcnt(0)
	v_mul_f64 v[18:19], v[10:11], v[32:33]
	v_mul_f64 v[20:21], v[12:13], v[32:33]
	v_fma_f64 v[22:23], v[4:5], v[26:27], v[44:45]
	v_fma_f64 v[24:25], v[2:3], v[26:27], -v[28:29]
	v_add_f64 v[14:15], v[14:15], v[6:7]
	v_add_f64 v[16:17], v[16:17], v[8:9]
	ds_load_b128 v[2:5], v1 offset:1344
	ds_load_b128 v[6:9], v1 offset:1360
	v_fma_f64 v[12:13], v[12:13], v[30:31], v[18:19]
	v_fma_f64 v[10:11], v[10:11], v[30:31], -v[20:21]
	s_waitcnt vmcnt(1) lgkmcnt(1)
	v_mul_f64 v[26:27], v[2:3], v[36:37]
	v_mul_f64 v[28:29], v[4:5], v[36:37]
	s_waitcnt vmcnt(0) lgkmcnt(0)
	v_mul_f64 v[18:19], v[6:7], v[40:41]
	v_mul_f64 v[20:21], v[8:9], v[40:41]
	v_add_f64 v[14:15], v[14:15], v[24:25]
	v_add_f64 v[16:17], v[16:17], v[22:23]
	v_fma_f64 v[4:5], v[4:5], v[34:35], v[26:27]
	v_fma_f64 v[1:2], v[2:3], v[34:35], -v[28:29]
	v_fma_f64 v[8:9], v[8:9], v[38:39], v[18:19]
	v_fma_f64 v[6:7], v[6:7], v[38:39], -v[20:21]
	v_add_f64 v[10:11], v[14:15], v[10:11]
	v_add_f64 v[12:13], v[16:17], v[12:13]
	s_delay_alu instid0(VALU_DEP_2) | instskip(NEXT) | instid1(VALU_DEP_2)
	v_add_f64 v[1:2], v[10:11], v[1:2]
	v_add_f64 v[3:4], v[12:13], v[4:5]
	s_delay_alu instid0(VALU_DEP_2) | instskip(NEXT) | instid1(VALU_DEP_2)
	;; [unrolled: 3-line block ×3, first 2 shown]
	v_add_f64 v[1:2], v[176:177], -v[1:2]
	v_add_f64 v[3:4], v[178:179], -v[3:4]
	scratch_store_b128 off, v[1:4], off offset:192
	v_cmpx_lt_u32_e32 11, v132
	s_cbranch_execz .LBB42_249
; %bb.248:
	scratch_load_b128 v[1:4], v167, off
	v_mov_b32_e32 v5, 0
	s_delay_alu instid0(VALU_DEP_1)
	v_mov_b32_e32 v6, v5
	v_mov_b32_e32 v7, v5
	;; [unrolled: 1-line block ×3, first 2 shown]
	scratch_store_b128 off, v[5:8], off offset:176
	s_waitcnt vmcnt(0)
	ds_store_b128 v175, v[1:4]
.LBB42_249:
	s_or_b32 exec_lo, exec_lo, s2
	s_waitcnt lgkmcnt(0)
	s_waitcnt_vscnt null, 0x0
	s_barrier
	buffer_gl0_inv
	s_clause 0x7
	scratch_load_b128 v[2:5], off, off offset:192
	scratch_load_b128 v[6:9], off, off offset:208
	scratch_load_b128 v[10:13], off, off offset:224
	scratch_load_b128 v[14:17], off, off offset:240
	scratch_load_b128 v[18:21], off, off offset:256
	scratch_load_b128 v[22:25], off, off offset:272
	scratch_load_b128 v[26:29], off, off offset:288
	scratch_load_b128 v[30:33], off, off offset:304
	v_mov_b32_e32 v1, 0
	s_mov_b32 s2, exec_lo
	ds_load_b128 v[38:41], v1 offset:880
	s_clause 0x1
	scratch_load_b128 v[34:37], off, off offset:320
	scratch_load_b128 v[42:45], off, off offset:176
	ds_load_b128 v[176:179], v1 offset:896
	scratch_load_b128 v[180:183], off, off offset:336
	s_waitcnt vmcnt(10) lgkmcnt(1)
	v_mul_f64 v[184:185], v[40:41], v[4:5]
	v_mul_f64 v[4:5], v[38:39], v[4:5]
	s_delay_alu instid0(VALU_DEP_2) | instskip(NEXT) | instid1(VALU_DEP_2)
	v_fma_f64 v[190:191], v[38:39], v[2:3], -v[184:185]
	v_fma_f64 v[192:193], v[40:41], v[2:3], v[4:5]
	scratch_load_b128 v[38:41], off, off offset:352
	ds_load_b128 v[2:5], v1 offset:912
	s_waitcnt vmcnt(10) lgkmcnt(1)
	v_mul_f64 v[188:189], v[176:177], v[8:9]
	v_mul_f64 v[8:9], v[178:179], v[8:9]
	ds_load_b128 v[184:187], v1 offset:928
	s_waitcnt vmcnt(9) lgkmcnt(1)
	v_mul_f64 v[194:195], v[2:3], v[12:13]
	v_mul_f64 v[12:13], v[4:5], v[12:13]
	v_fma_f64 v[178:179], v[178:179], v[6:7], v[188:189]
	v_fma_f64 v[176:177], v[176:177], v[6:7], -v[8:9]
	v_add_f64 v[188:189], v[190:191], 0
	v_add_f64 v[190:191], v[192:193], 0
	scratch_load_b128 v[6:9], off, off offset:368
	v_fma_f64 v[194:195], v[4:5], v[10:11], v[194:195]
	v_fma_f64 v[196:197], v[2:3], v[10:11], -v[12:13]
	scratch_load_b128 v[10:13], off, off offset:384
	ds_load_b128 v[2:5], v1 offset:944
	s_waitcnt vmcnt(10) lgkmcnt(1)
	v_mul_f64 v[192:193], v[184:185], v[16:17]
	v_mul_f64 v[16:17], v[186:187], v[16:17]
	v_add_f64 v[188:189], v[188:189], v[176:177]
	v_add_f64 v[190:191], v[190:191], v[178:179]
	s_waitcnt vmcnt(9) lgkmcnt(0)
	v_mul_f64 v[198:199], v[2:3], v[20:21]
	v_mul_f64 v[20:21], v[4:5], v[20:21]
	ds_load_b128 v[176:179], v1 offset:960
	v_fma_f64 v[186:187], v[186:187], v[14:15], v[192:193]
	v_fma_f64 v[184:185], v[184:185], v[14:15], -v[16:17]
	scratch_load_b128 v[14:17], off, off offset:400
	v_add_f64 v[188:189], v[188:189], v[196:197]
	v_add_f64 v[190:191], v[190:191], v[194:195]
	v_fma_f64 v[194:195], v[4:5], v[18:19], v[198:199]
	v_fma_f64 v[196:197], v[2:3], v[18:19], -v[20:21]
	scratch_load_b128 v[18:21], off, off offset:416
	ds_load_b128 v[2:5], v1 offset:976
	s_waitcnt vmcnt(10) lgkmcnt(1)
	v_mul_f64 v[192:193], v[176:177], v[24:25]
	v_mul_f64 v[24:25], v[178:179], v[24:25]
	s_waitcnt vmcnt(9) lgkmcnt(0)
	v_mul_f64 v[198:199], v[2:3], v[28:29]
	v_mul_f64 v[28:29], v[4:5], v[28:29]
	v_add_f64 v[188:189], v[188:189], v[184:185]
	v_add_f64 v[190:191], v[190:191], v[186:187]
	ds_load_b128 v[184:187], v1 offset:992
	v_fma_f64 v[178:179], v[178:179], v[22:23], v[192:193]
	v_fma_f64 v[176:177], v[176:177], v[22:23], -v[24:25]
	scratch_load_b128 v[22:25], off, off offset:432
	v_add_f64 v[188:189], v[188:189], v[196:197]
	v_add_f64 v[190:191], v[190:191], v[194:195]
	v_fma_f64 v[194:195], v[4:5], v[26:27], v[198:199]
	v_fma_f64 v[196:197], v[2:3], v[26:27], -v[28:29]
	scratch_load_b128 v[26:29], off, off offset:448
	ds_load_b128 v[2:5], v1 offset:1008
	s_waitcnt vmcnt(10) lgkmcnt(1)
	v_mul_f64 v[192:193], v[184:185], v[32:33]
	v_mul_f64 v[32:33], v[186:187], v[32:33]
	s_waitcnt vmcnt(9) lgkmcnt(0)
	v_mul_f64 v[198:199], v[2:3], v[36:37]
	v_mul_f64 v[36:37], v[4:5], v[36:37]
	v_add_f64 v[188:189], v[188:189], v[176:177]
	v_add_f64 v[190:191], v[190:191], v[178:179]
	ds_load_b128 v[176:179], v1 offset:1024
	v_fma_f64 v[186:187], v[186:187], v[30:31], v[192:193]
	v_fma_f64 v[184:185], v[184:185], v[30:31], -v[32:33]
	scratch_load_b128 v[30:33], off, off offset:464
	v_add_f64 v[188:189], v[188:189], v[196:197]
	v_add_f64 v[190:191], v[190:191], v[194:195]
	v_fma_f64 v[196:197], v[4:5], v[34:35], v[198:199]
	v_fma_f64 v[198:199], v[2:3], v[34:35], -v[36:37]
	scratch_load_b128 v[34:37], off, off offset:480
	ds_load_b128 v[2:5], v1 offset:1040
	s_waitcnt vmcnt(9) lgkmcnt(1)
	v_mul_f64 v[192:193], v[176:177], v[182:183]
	v_mul_f64 v[194:195], v[178:179], v[182:183]
	v_add_f64 v[188:189], v[188:189], v[184:185]
	v_add_f64 v[186:187], v[190:191], v[186:187]
	ds_load_b128 v[182:185], v1 offset:1056
	v_fma_f64 v[192:193], v[178:179], v[180:181], v[192:193]
	v_fma_f64 v[180:181], v[176:177], v[180:181], -v[194:195]
	scratch_load_b128 v[176:179], off, off offset:496
	s_waitcnt vmcnt(9) lgkmcnt(1)
	v_mul_f64 v[190:191], v[2:3], v[40:41]
	v_mul_f64 v[40:41], v[4:5], v[40:41]
	v_add_f64 v[188:189], v[188:189], v[198:199]
	v_add_f64 v[186:187], v[186:187], v[196:197]
	s_delay_alu instid0(VALU_DEP_4) | instskip(NEXT) | instid1(VALU_DEP_4)
	v_fma_f64 v[190:191], v[4:5], v[38:39], v[190:191]
	v_fma_f64 v[196:197], v[2:3], v[38:39], -v[40:41]
	scratch_load_b128 v[38:41], off, off offset:512
	ds_load_b128 v[2:5], v1 offset:1072
	s_waitcnt vmcnt(9) lgkmcnt(1)
	v_mul_f64 v[194:195], v[182:183], v[8:9]
	v_mul_f64 v[8:9], v[184:185], v[8:9]
	s_waitcnt vmcnt(8) lgkmcnt(0)
	v_mul_f64 v[198:199], v[2:3], v[12:13]
	v_mul_f64 v[12:13], v[4:5], v[12:13]
	v_add_f64 v[180:181], v[188:189], v[180:181]
	v_add_f64 v[192:193], v[186:187], v[192:193]
	ds_load_b128 v[186:189], v1 offset:1088
	v_fma_f64 v[184:185], v[184:185], v[6:7], v[194:195]
	v_fma_f64 v[182:183], v[182:183], v[6:7], -v[8:9]
	scratch_load_b128 v[6:9], off, off offset:528
	v_fma_f64 v[194:195], v[4:5], v[10:11], v[198:199]
	v_add_f64 v[180:181], v[180:181], v[196:197]
	v_add_f64 v[190:191], v[192:193], v[190:191]
	v_fma_f64 v[196:197], v[2:3], v[10:11], -v[12:13]
	scratch_load_b128 v[10:13], off, off offset:544
	ds_load_b128 v[2:5], v1 offset:1104
	s_waitcnt vmcnt(9) lgkmcnt(1)
	v_mul_f64 v[192:193], v[186:187], v[16:17]
	v_mul_f64 v[16:17], v[188:189], v[16:17]
	v_add_f64 v[198:199], v[180:181], v[182:183]
	v_add_f64 v[184:185], v[190:191], v[184:185]
	s_waitcnt vmcnt(8) lgkmcnt(0)
	v_mul_f64 v[190:191], v[2:3], v[20:21]
	v_mul_f64 v[20:21], v[4:5], v[20:21]
	ds_load_b128 v[180:183], v1 offset:1120
	v_fma_f64 v[188:189], v[188:189], v[14:15], v[192:193]
	v_fma_f64 v[186:187], v[186:187], v[14:15], -v[16:17]
	scratch_load_b128 v[14:17], off, off offset:560
	v_add_f64 v[192:193], v[198:199], v[196:197]
	v_add_f64 v[184:185], v[184:185], v[194:195]
	v_fma_f64 v[190:191], v[4:5], v[18:19], v[190:191]
	v_fma_f64 v[196:197], v[2:3], v[18:19], -v[20:21]
	scratch_load_b128 v[18:21], off, off offset:576
	ds_load_b128 v[2:5], v1 offset:1136
	s_waitcnt vmcnt(9) lgkmcnt(1)
	v_mul_f64 v[194:195], v[180:181], v[24:25]
	v_mul_f64 v[24:25], v[182:183], v[24:25]
	s_waitcnt vmcnt(8) lgkmcnt(0)
	v_mul_f64 v[198:199], v[2:3], v[28:29]
	v_mul_f64 v[28:29], v[4:5], v[28:29]
	v_add_f64 v[192:193], v[192:193], v[186:187]
	v_add_f64 v[188:189], v[184:185], v[188:189]
	ds_load_b128 v[184:187], v1 offset:1152
	v_fma_f64 v[182:183], v[182:183], v[22:23], v[194:195]
	v_fma_f64 v[180:181], v[180:181], v[22:23], -v[24:25]
	scratch_load_b128 v[22:25], off, off offset:592
	v_fma_f64 v[194:195], v[4:5], v[26:27], v[198:199]
	v_add_f64 v[192:193], v[192:193], v[196:197]
	v_add_f64 v[188:189], v[188:189], v[190:191]
	v_fma_f64 v[196:197], v[2:3], v[26:27], -v[28:29]
	scratch_load_b128 v[26:29], off, off offset:608
	ds_load_b128 v[2:5], v1 offset:1168
	s_waitcnt vmcnt(9) lgkmcnt(1)
	v_mul_f64 v[190:191], v[184:185], v[32:33]
	v_mul_f64 v[32:33], v[186:187], v[32:33]
	s_waitcnt vmcnt(8) lgkmcnt(0)
	v_mul_f64 v[198:199], v[2:3], v[36:37]
	v_mul_f64 v[36:37], v[4:5], v[36:37]
	v_add_f64 v[192:193], v[192:193], v[180:181]
	v_add_f64 v[188:189], v[188:189], v[182:183]
	ds_load_b128 v[180:183], v1 offset:1184
	v_fma_f64 v[186:187], v[186:187], v[30:31], v[190:191]
	v_fma_f64 v[184:185], v[184:185], v[30:31], -v[32:33]
	scratch_load_b128 v[30:33], off, off offset:624
	v_add_f64 v[190:191], v[192:193], v[196:197]
	v_add_f64 v[188:189], v[188:189], v[194:195]
	v_fma_f64 v[194:195], v[4:5], v[34:35], v[198:199]
	v_fma_f64 v[196:197], v[2:3], v[34:35], -v[36:37]
	scratch_load_b128 v[34:37], off, off offset:640
	ds_load_b128 v[2:5], v1 offset:1200
	s_waitcnt vmcnt(9) lgkmcnt(1)
	v_mul_f64 v[192:193], v[180:181], v[178:179]
	v_mul_f64 v[178:179], v[182:183], v[178:179]
	s_waitcnt vmcnt(8) lgkmcnt(0)
	v_mul_f64 v[198:199], v[2:3], v[40:41]
	v_mul_f64 v[40:41], v[4:5], v[40:41]
	v_add_f64 v[190:191], v[190:191], v[184:185]
	v_add_f64 v[188:189], v[188:189], v[186:187]
	ds_load_b128 v[184:187], v1 offset:1216
	v_fma_f64 v[182:183], v[182:183], v[176:177], v[192:193]
	v_fma_f64 v[180:181], v[180:181], v[176:177], -v[178:179]
	scratch_load_b128 v[176:179], off, off offset:656
	v_add_f64 v[190:191], v[190:191], v[196:197]
	v_add_f64 v[188:189], v[188:189], v[194:195]
	v_fma_f64 v[194:195], v[4:5], v[38:39], v[198:199]
	v_fma_f64 v[196:197], v[2:3], v[38:39], -v[40:41]
	scratch_load_b128 v[38:41], off, off offset:672
	ds_load_b128 v[2:5], v1 offset:1232
	s_waitcnt vmcnt(9) lgkmcnt(1)
	v_mul_f64 v[192:193], v[184:185], v[8:9]
	v_mul_f64 v[8:9], v[186:187], v[8:9]
	s_waitcnt vmcnt(8) lgkmcnt(0)
	v_mul_f64 v[198:199], v[2:3], v[12:13]
	v_mul_f64 v[12:13], v[4:5], v[12:13]
	v_add_f64 v[190:191], v[190:191], v[180:181]
	v_add_f64 v[188:189], v[188:189], v[182:183]
	ds_load_b128 v[180:183], v1 offset:1248
	v_fma_f64 v[186:187], v[186:187], v[6:7], v[192:193]
	v_fma_f64 v[6:7], v[184:185], v[6:7], -v[8:9]
	v_add_f64 v[8:9], v[190:191], v[196:197]
	v_add_f64 v[184:185], v[188:189], v[194:195]
	s_waitcnt vmcnt(7) lgkmcnt(0)
	v_mul_f64 v[188:189], v[180:181], v[16:17]
	v_mul_f64 v[16:17], v[182:183], v[16:17]
	v_fma_f64 v[190:191], v[4:5], v[10:11], v[198:199]
	v_fma_f64 v[10:11], v[2:3], v[10:11], -v[12:13]
	v_add_f64 v[12:13], v[8:9], v[6:7]
	v_add_f64 v[184:185], v[184:185], v[186:187]
	ds_load_b128 v[2:5], v1 offset:1264
	ds_load_b128 v[6:9], v1 offset:1280
	v_fma_f64 v[182:183], v[182:183], v[14:15], v[188:189]
	v_fma_f64 v[14:15], v[180:181], v[14:15], -v[16:17]
	s_waitcnt vmcnt(6) lgkmcnt(1)
	v_mul_f64 v[186:187], v[2:3], v[20:21]
	v_mul_f64 v[20:21], v[4:5], v[20:21]
	s_waitcnt vmcnt(5) lgkmcnt(0)
	v_mul_f64 v[16:17], v[6:7], v[24:25]
	v_mul_f64 v[24:25], v[8:9], v[24:25]
	v_add_f64 v[10:11], v[12:13], v[10:11]
	v_add_f64 v[12:13], v[184:185], v[190:191]
	v_fma_f64 v[180:181], v[4:5], v[18:19], v[186:187]
	v_fma_f64 v[18:19], v[2:3], v[18:19], -v[20:21]
	v_fma_f64 v[8:9], v[8:9], v[22:23], v[16:17]
	v_fma_f64 v[6:7], v[6:7], v[22:23], -v[24:25]
	v_add_f64 v[14:15], v[10:11], v[14:15]
	v_add_f64 v[20:21], v[12:13], v[182:183]
	ds_load_b128 v[2:5], v1 offset:1296
	ds_load_b128 v[10:13], v1 offset:1312
	s_waitcnt vmcnt(4) lgkmcnt(1)
	v_mul_f64 v[182:183], v[2:3], v[28:29]
	v_mul_f64 v[28:29], v[4:5], v[28:29]
	v_add_f64 v[14:15], v[14:15], v[18:19]
	v_add_f64 v[16:17], v[20:21], v[180:181]
	s_waitcnt vmcnt(3) lgkmcnt(0)
	v_mul_f64 v[18:19], v[10:11], v[32:33]
	v_mul_f64 v[20:21], v[12:13], v[32:33]
	v_fma_f64 v[22:23], v[4:5], v[26:27], v[182:183]
	v_fma_f64 v[24:25], v[2:3], v[26:27], -v[28:29]
	v_add_f64 v[14:15], v[14:15], v[6:7]
	v_add_f64 v[16:17], v[16:17], v[8:9]
	ds_load_b128 v[2:5], v1 offset:1328
	ds_load_b128 v[6:9], v1 offset:1344
	v_fma_f64 v[12:13], v[12:13], v[30:31], v[18:19]
	v_fma_f64 v[10:11], v[10:11], v[30:31], -v[20:21]
	s_waitcnt vmcnt(2) lgkmcnt(1)
	v_mul_f64 v[26:27], v[2:3], v[36:37]
	v_mul_f64 v[28:29], v[4:5], v[36:37]
	s_waitcnt vmcnt(1) lgkmcnt(0)
	v_mul_f64 v[18:19], v[6:7], v[178:179]
	v_mul_f64 v[20:21], v[8:9], v[178:179]
	v_add_f64 v[14:15], v[14:15], v[24:25]
	v_add_f64 v[16:17], v[16:17], v[22:23]
	v_fma_f64 v[22:23], v[4:5], v[34:35], v[26:27]
	v_fma_f64 v[24:25], v[2:3], v[34:35], -v[28:29]
	ds_load_b128 v[2:5], v1 offset:1360
	v_fma_f64 v[8:9], v[8:9], v[176:177], v[18:19]
	v_fma_f64 v[6:7], v[6:7], v[176:177], -v[20:21]
	v_add_f64 v[10:11], v[14:15], v[10:11]
	v_add_f64 v[12:13], v[16:17], v[12:13]
	s_waitcnt vmcnt(0) lgkmcnt(0)
	v_mul_f64 v[14:15], v[2:3], v[40:41]
	v_mul_f64 v[16:17], v[4:5], v[40:41]
	s_delay_alu instid0(VALU_DEP_4) | instskip(NEXT) | instid1(VALU_DEP_4)
	v_add_f64 v[10:11], v[10:11], v[24:25]
	v_add_f64 v[12:13], v[12:13], v[22:23]
	s_delay_alu instid0(VALU_DEP_4) | instskip(NEXT) | instid1(VALU_DEP_4)
	v_fma_f64 v[4:5], v[4:5], v[38:39], v[14:15]
	v_fma_f64 v[2:3], v[2:3], v[38:39], -v[16:17]
	s_delay_alu instid0(VALU_DEP_4) | instskip(NEXT) | instid1(VALU_DEP_4)
	v_add_f64 v[6:7], v[10:11], v[6:7]
	v_add_f64 v[8:9], v[12:13], v[8:9]
	s_delay_alu instid0(VALU_DEP_2) | instskip(NEXT) | instid1(VALU_DEP_2)
	v_add_f64 v[2:3], v[6:7], v[2:3]
	v_add_f64 v[4:5], v[8:9], v[4:5]
	s_delay_alu instid0(VALU_DEP_2) | instskip(NEXT) | instid1(VALU_DEP_2)
	v_add_f64 v[2:3], v[42:43], -v[2:3]
	v_add_f64 v[4:5], v[44:45], -v[4:5]
	scratch_store_b128 off, v[2:5], off offset:176
	v_cmpx_lt_u32_e32 10, v132
	s_cbranch_execz .LBB42_251
; %bb.250:
	scratch_load_b128 v[5:8], v169, off
	v_mov_b32_e32 v2, v1
	v_mov_b32_e32 v3, v1
	;; [unrolled: 1-line block ×3, first 2 shown]
	scratch_store_b128 off, v[1:4], off offset:160
	s_waitcnt vmcnt(0)
	ds_store_b128 v175, v[5:8]
.LBB42_251:
	s_or_b32 exec_lo, exec_lo, s2
	s_waitcnt lgkmcnt(0)
	s_waitcnt_vscnt null, 0x0
	s_barrier
	buffer_gl0_inv
	s_clause 0x8
	scratch_load_b128 v[2:5], off, off offset:176
	scratch_load_b128 v[6:9], off, off offset:192
	;; [unrolled: 1-line block ×9, first 2 shown]
	ds_load_b128 v[42:45], v1 offset:864
	ds_load_b128 v[38:41], v1 offset:880
	s_clause 0x1
	scratch_load_b128 v[176:179], off, off offset:160
	scratch_load_b128 v[180:183], off, off offset:320
	s_mov_b32 s2, exec_lo
	s_waitcnt vmcnt(10) lgkmcnt(1)
	v_mul_f64 v[184:185], v[44:45], v[4:5]
	v_mul_f64 v[4:5], v[42:43], v[4:5]
	s_waitcnt vmcnt(9) lgkmcnt(0)
	v_mul_f64 v[188:189], v[38:39], v[8:9]
	v_mul_f64 v[8:9], v[40:41], v[8:9]
	s_delay_alu instid0(VALU_DEP_4) | instskip(NEXT) | instid1(VALU_DEP_4)
	v_fma_f64 v[190:191], v[42:43], v[2:3], -v[184:185]
	v_fma_f64 v[192:193], v[44:45], v[2:3], v[4:5]
	ds_load_b128 v[2:5], v1 offset:896
	ds_load_b128 v[184:187], v1 offset:912
	scratch_load_b128 v[42:45], off, off offset:336
	v_fma_f64 v[40:41], v[40:41], v[6:7], v[188:189]
	v_fma_f64 v[38:39], v[38:39], v[6:7], -v[8:9]
	scratch_load_b128 v[6:9], off, off offset:352
	s_waitcnt vmcnt(10) lgkmcnt(1)
	v_mul_f64 v[194:195], v[2:3], v[12:13]
	v_mul_f64 v[12:13], v[4:5], v[12:13]
	v_add_f64 v[188:189], v[190:191], 0
	v_add_f64 v[190:191], v[192:193], 0
	s_waitcnt vmcnt(9) lgkmcnt(0)
	v_mul_f64 v[192:193], v[184:185], v[16:17]
	v_mul_f64 v[16:17], v[186:187], v[16:17]
	v_fma_f64 v[194:195], v[4:5], v[10:11], v[194:195]
	v_fma_f64 v[196:197], v[2:3], v[10:11], -v[12:13]
	ds_load_b128 v[2:5], v1 offset:928
	scratch_load_b128 v[10:13], off, off offset:368
	v_add_f64 v[188:189], v[188:189], v[38:39]
	v_add_f64 v[190:191], v[190:191], v[40:41]
	ds_load_b128 v[38:41], v1 offset:944
	v_fma_f64 v[186:187], v[186:187], v[14:15], v[192:193]
	v_fma_f64 v[184:185], v[184:185], v[14:15], -v[16:17]
	scratch_load_b128 v[14:17], off, off offset:384
	s_waitcnt vmcnt(10) lgkmcnt(1)
	v_mul_f64 v[198:199], v[2:3], v[20:21]
	v_mul_f64 v[20:21], v[4:5], v[20:21]
	s_waitcnt vmcnt(9) lgkmcnt(0)
	v_mul_f64 v[192:193], v[38:39], v[24:25]
	v_mul_f64 v[24:25], v[40:41], v[24:25]
	v_add_f64 v[188:189], v[188:189], v[196:197]
	v_add_f64 v[190:191], v[190:191], v[194:195]
	v_fma_f64 v[194:195], v[4:5], v[18:19], v[198:199]
	v_fma_f64 v[196:197], v[2:3], v[18:19], -v[20:21]
	ds_load_b128 v[2:5], v1 offset:960
	scratch_load_b128 v[18:21], off, off offset:400
	v_fma_f64 v[40:41], v[40:41], v[22:23], v[192:193]
	v_fma_f64 v[38:39], v[38:39], v[22:23], -v[24:25]
	scratch_load_b128 v[22:25], off, off offset:416
	v_add_f64 v[188:189], v[188:189], v[184:185]
	v_add_f64 v[190:191], v[190:191], v[186:187]
	ds_load_b128 v[184:187], v1 offset:976
	s_waitcnt vmcnt(10) lgkmcnt(1)
	v_mul_f64 v[198:199], v[2:3], v[28:29]
	v_mul_f64 v[28:29], v[4:5], v[28:29]
	s_waitcnt vmcnt(9) lgkmcnt(0)
	v_mul_f64 v[192:193], v[184:185], v[32:33]
	v_mul_f64 v[32:33], v[186:187], v[32:33]
	v_add_f64 v[188:189], v[188:189], v[196:197]
	v_add_f64 v[190:191], v[190:191], v[194:195]
	v_fma_f64 v[194:195], v[4:5], v[26:27], v[198:199]
	v_fma_f64 v[196:197], v[2:3], v[26:27], -v[28:29]
	ds_load_b128 v[2:5], v1 offset:992
	scratch_load_b128 v[26:29], off, off offset:432
	v_fma_f64 v[186:187], v[186:187], v[30:31], v[192:193]
	v_fma_f64 v[184:185], v[184:185], v[30:31], -v[32:33]
	scratch_load_b128 v[30:33], off, off offset:448
	v_add_f64 v[188:189], v[188:189], v[38:39]
	v_add_f64 v[190:191], v[190:191], v[40:41]
	ds_load_b128 v[38:41], v1 offset:1008
	s_waitcnt vmcnt(10) lgkmcnt(1)
	v_mul_f64 v[198:199], v[2:3], v[36:37]
	v_mul_f64 v[36:37], v[4:5], v[36:37]
	s_waitcnt vmcnt(8) lgkmcnt(0)
	v_mul_f64 v[192:193], v[38:39], v[182:183]
	v_add_f64 v[188:189], v[188:189], v[196:197]
	v_add_f64 v[190:191], v[190:191], v[194:195]
	v_mul_f64 v[194:195], v[40:41], v[182:183]
	v_fma_f64 v[196:197], v[4:5], v[34:35], v[198:199]
	v_fma_f64 v[198:199], v[2:3], v[34:35], -v[36:37]
	ds_load_b128 v[2:5], v1 offset:1024
	scratch_load_b128 v[34:37], off, off offset:464
	v_fma_f64 v[192:193], v[40:41], v[180:181], v[192:193]
	v_add_f64 v[188:189], v[188:189], v[184:185]
	v_add_f64 v[186:187], v[190:191], v[186:187]
	ds_load_b128 v[182:185], v1 offset:1040
	v_fma_f64 v[180:181], v[38:39], v[180:181], -v[194:195]
	scratch_load_b128 v[38:41], off, off offset:480
	s_waitcnt vmcnt(9) lgkmcnt(1)
	v_mul_f64 v[190:191], v[2:3], v[44:45]
	v_mul_f64 v[44:45], v[4:5], v[44:45]
	s_waitcnt vmcnt(8) lgkmcnt(0)
	v_mul_f64 v[194:195], v[182:183], v[8:9]
	v_mul_f64 v[8:9], v[184:185], v[8:9]
	v_add_f64 v[188:189], v[188:189], v[198:199]
	v_add_f64 v[186:187], v[186:187], v[196:197]
	v_fma_f64 v[190:191], v[4:5], v[42:43], v[190:191]
	v_fma_f64 v[196:197], v[2:3], v[42:43], -v[44:45]
	ds_load_b128 v[2:5], v1 offset:1056
	scratch_load_b128 v[42:45], off, off offset:496
	v_fma_f64 v[184:185], v[184:185], v[6:7], v[194:195]
	v_fma_f64 v[182:183], v[182:183], v[6:7], -v[8:9]
	scratch_load_b128 v[6:9], off, off offset:512
	v_add_f64 v[180:181], v[188:189], v[180:181]
	v_add_f64 v[192:193], v[186:187], v[192:193]
	ds_load_b128 v[186:189], v1 offset:1072
	s_waitcnt vmcnt(9) lgkmcnt(1)
	v_mul_f64 v[198:199], v[2:3], v[12:13]
	v_mul_f64 v[12:13], v[4:5], v[12:13]
	v_add_f64 v[180:181], v[180:181], v[196:197]
	v_add_f64 v[190:191], v[192:193], v[190:191]
	s_waitcnt vmcnt(8) lgkmcnt(0)
	v_mul_f64 v[192:193], v[186:187], v[16:17]
	v_mul_f64 v[16:17], v[188:189], v[16:17]
	v_fma_f64 v[194:195], v[4:5], v[10:11], v[198:199]
	v_fma_f64 v[196:197], v[2:3], v[10:11], -v[12:13]
	ds_load_b128 v[2:5], v1 offset:1088
	scratch_load_b128 v[10:13], off, off offset:528
	v_add_f64 v[198:199], v[180:181], v[182:183]
	v_add_f64 v[184:185], v[190:191], v[184:185]
	ds_load_b128 v[180:183], v1 offset:1104
	s_waitcnt vmcnt(8) lgkmcnt(1)
	v_mul_f64 v[190:191], v[2:3], v[20:21]
	v_mul_f64 v[20:21], v[4:5], v[20:21]
	v_fma_f64 v[188:189], v[188:189], v[14:15], v[192:193]
	v_fma_f64 v[186:187], v[186:187], v[14:15], -v[16:17]
	scratch_load_b128 v[14:17], off, off offset:544
	v_add_f64 v[192:193], v[198:199], v[196:197]
	v_add_f64 v[184:185], v[184:185], v[194:195]
	s_waitcnt vmcnt(8) lgkmcnt(0)
	v_mul_f64 v[194:195], v[180:181], v[24:25]
	v_mul_f64 v[24:25], v[182:183], v[24:25]
	v_fma_f64 v[190:191], v[4:5], v[18:19], v[190:191]
	v_fma_f64 v[196:197], v[2:3], v[18:19], -v[20:21]
	ds_load_b128 v[2:5], v1 offset:1120
	scratch_load_b128 v[18:21], off, off offset:560
	v_add_f64 v[192:193], v[192:193], v[186:187]
	v_add_f64 v[188:189], v[184:185], v[188:189]
	ds_load_b128 v[184:187], v1 offset:1136
	s_waitcnt vmcnt(8) lgkmcnt(1)
	v_mul_f64 v[198:199], v[2:3], v[28:29]
	v_mul_f64 v[28:29], v[4:5], v[28:29]
	v_fma_f64 v[182:183], v[182:183], v[22:23], v[194:195]
	v_fma_f64 v[180:181], v[180:181], v[22:23], -v[24:25]
	scratch_load_b128 v[22:25], off, off offset:576
	;; [unrolled: 18-line block ×4, first 2 shown]
	s_waitcnt vmcnt(8) lgkmcnt(0)
	v_mul_f64 v[192:193], v[184:185], v[8:9]
	v_mul_f64 v[8:9], v[186:187], v[8:9]
	v_add_f64 v[190:191], v[190:191], v[196:197]
	v_add_f64 v[188:189], v[188:189], v[194:195]
	v_fma_f64 v[194:195], v[4:5], v[42:43], v[198:199]
	v_fma_f64 v[196:197], v[2:3], v[42:43], -v[44:45]
	ds_load_b128 v[2:5], v1 offset:1216
	scratch_load_b128 v[42:45], off, off offset:656
	v_fma_f64 v[186:187], v[186:187], v[6:7], v[192:193]
	v_fma_f64 v[184:185], v[184:185], v[6:7], -v[8:9]
	scratch_load_b128 v[6:9], off, off offset:672
	v_add_f64 v[190:191], v[190:191], v[180:181]
	v_add_f64 v[188:189], v[188:189], v[182:183]
	ds_load_b128 v[180:183], v1 offset:1232
	s_waitcnt vmcnt(9) lgkmcnt(1)
	v_mul_f64 v[198:199], v[2:3], v[12:13]
	v_mul_f64 v[12:13], v[4:5], v[12:13]
	s_waitcnt vmcnt(8) lgkmcnt(0)
	v_mul_f64 v[192:193], v[180:181], v[16:17]
	v_mul_f64 v[16:17], v[182:183], v[16:17]
	v_add_f64 v[190:191], v[190:191], v[196:197]
	v_add_f64 v[188:189], v[188:189], v[194:195]
	v_fma_f64 v[194:195], v[4:5], v[10:11], v[198:199]
	v_fma_f64 v[196:197], v[2:3], v[10:11], -v[12:13]
	ds_load_b128 v[2:5], v1 offset:1248
	ds_load_b128 v[10:13], v1 offset:1264
	v_fma_f64 v[182:183], v[182:183], v[14:15], v[192:193]
	v_fma_f64 v[14:15], v[180:181], v[14:15], -v[16:17]
	v_add_f64 v[184:185], v[190:191], v[184:185]
	v_add_f64 v[186:187], v[188:189], v[186:187]
	s_waitcnt vmcnt(7) lgkmcnt(1)
	v_mul_f64 v[188:189], v[2:3], v[20:21]
	v_mul_f64 v[20:21], v[4:5], v[20:21]
	s_delay_alu instid0(VALU_DEP_4) | instskip(NEXT) | instid1(VALU_DEP_4)
	v_add_f64 v[16:17], v[184:185], v[196:197]
	v_add_f64 v[180:181], v[186:187], v[194:195]
	s_waitcnt vmcnt(6) lgkmcnt(0)
	v_mul_f64 v[184:185], v[10:11], v[24:25]
	v_mul_f64 v[24:25], v[12:13], v[24:25]
	v_fma_f64 v[186:187], v[4:5], v[18:19], v[188:189]
	v_fma_f64 v[18:19], v[2:3], v[18:19], -v[20:21]
	v_add_f64 v[20:21], v[16:17], v[14:15]
	v_add_f64 v[180:181], v[180:181], v[182:183]
	ds_load_b128 v[2:5], v1 offset:1280
	ds_load_b128 v[14:17], v1 offset:1296
	v_fma_f64 v[12:13], v[12:13], v[22:23], v[184:185]
	v_fma_f64 v[10:11], v[10:11], v[22:23], -v[24:25]
	s_waitcnt vmcnt(5) lgkmcnt(1)
	v_mul_f64 v[182:183], v[2:3], v[28:29]
	v_mul_f64 v[28:29], v[4:5], v[28:29]
	s_waitcnt vmcnt(4) lgkmcnt(0)
	v_mul_f64 v[22:23], v[14:15], v[32:33]
	v_mul_f64 v[24:25], v[16:17], v[32:33]
	v_add_f64 v[18:19], v[20:21], v[18:19]
	v_add_f64 v[20:21], v[180:181], v[186:187]
	v_fma_f64 v[32:33], v[4:5], v[26:27], v[182:183]
	v_fma_f64 v[26:27], v[2:3], v[26:27], -v[28:29]
	v_fma_f64 v[16:17], v[16:17], v[30:31], v[22:23]
	v_fma_f64 v[14:15], v[14:15], v[30:31], -v[24:25]
	v_add_f64 v[18:19], v[18:19], v[10:11]
	v_add_f64 v[20:21], v[20:21], v[12:13]
	ds_load_b128 v[2:5], v1 offset:1312
	ds_load_b128 v[10:13], v1 offset:1328
	s_waitcnt vmcnt(3) lgkmcnt(1)
	v_mul_f64 v[28:29], v[2:3], v[36:37]
	v_mul_f64 v[36:37], v[4:5], v[36:37]
	s_waitcnt vmcnt(2) lgkmcnt(0)
	v_mul_f64 v[22:23], v[10:11], v[40:41]
	v_mul_f64 v[24:25], v[12:13], v[40:41]
	v_add_f64 v[18:19], v[18:19], v[26:27]
	v_add_f64 v[20:21], v[20:21], v[32:33]
	v_fma_f64 v[26:27], v[4:5], v[34:35], v[28:29]
	v_fma_f64 v[28:29], v[2:3], v[34:35], -v[36:37]
	v_fma_f64 v[12:13], v[12:13], v[38:39], v[22:23]
	v_fma_f64 v[10:11], v[10:11], v[38:39], -v[24:25]
	v_add_f64 v[18:19], v[18:19], v[14:15]
	v_add_f64 v[20:21], v[20:21], v[16:17]
	ds_load_b128 v[2:5], v1 offset:1344
	ds_load_b128 v[14:17], v1 offset:1360
	s_waitcnt vmcnt(1) lgkmcnt(1)
	v_mul_f64 v[30:31], v[2:3], v[44:45]
	v_mul_f64 v[32:33], v[4:5], v[44:45]
	s_waitcnt vmcnt(0) lgkmcnt(0)
	v_mul_f64 v[22:23], v[14:15], v[8:9]
	v_mul_f64 v[8:9], v[16:17], v[8:9]
	v_add_f64 v[18:19], v[18:19], v[28:29]
	v_add_f64 v[20:21], v[20:21], v[26:27]
	v_fma_f64 v[4:5], v[4:5], v[42:43], v[30:31]
	v_fma_f64 v[1:2], v[2:3], v[42:43], -v[32:33]
	v_fma_f64 v[16:17], v[16:17], v[6:7], v[22:23]
	v_fma_f64 v[6:7], v[14:15], v[6:7], -v[8:9]
	v_add_f64 v[10:11], v[18:19], v[10:11]
	v_add_f64 v[12:13], v[20:21], v[12:13]
	s_delay_alu instid0(VALU_DEP_2) | instskip(NEXT) | instid1(VALU_DEP_2)
	v_add_f64 v[1:2], v[10:11], v[1:2]
	v_add_f64 v[3:4], v[12:13], v[4:5]
	s_delay_alu instid0(VALU_DEP_2) | instskip(NEXT) | instid1(VALU_DEP_2)
	;; [unrolled: 3-line block ×3, first 2 shown]
	v_add_f64 v[1:2], v[176:177], -v[1:2]
	v_add_f64 v[3:4], v[178:179], -v[3:4]
	scratch_store_b128 off, v[1:4], off offset:160
	v_cmpx_lt_u32_e32 9, v132
	s_cbranch_execz .LBB42_253
; %bb.252:
	scratch_load_b128 v[1:4], v170, off
	v_mov_b32_e32 v5, 0
	s_delay_alu instid0(VALU_DEP_1)
	v_mov_b32_e32 v6, v5
	v_mov_b32_e32 v7, v5
	;; [unrolled: 1-line block ×3, first 2 shown]
	scratch_store_b128 off, v[5:8], off offset:144
	s_waitcnt vmcnt(0)
	ds_store_b128 v175, v[1:4]
.LBB42_253:
	s_or_b32 exec_lo, exec_lo, s2
	s_waitcnt lgkmcnt(0)
	s_waitcnt_vscnt null, 0x0
	s_barrier
	buffer_gl0_inv
	s_clause 0x7
	scratch_load_b128 v[2:5], off, off offset:160
	scratch_load_b128 v[6:9], off, off offset:176
	;; [unrolled: 1-line block ×8, first 2 shown]
	v_mov_b32_e32 v1, 0
	s_mov_b32 s2, exec_lo
	ds_load_b128 v[38:41], v1 offset:848
	s_clause 0x1
	scratch_load_b128 v[34:37], off, off offset:288
	scratch_load_b128 v[42:45], off, off offset:144
	ds_load_b128 v[176:179], v1 offset:864
	scratch_load_b128 v[180:183], off, off offset:304
	s_waitcnt vmcnt(10) lgkmcnt(1)
	v_mul_f64 v[184:185], v[40:41], v[4:5]
	v_mul_f64 v[4:5], v[38:39], v[4:5]
	s_delay_alu instid0(VALU_DEP_2) | instskip(NEXT) | instid1(VALU_DEP_2)
	v_fma_f64 v[190:191], v[38:39], v[2:3], -v[184:185]
	v_fma_f64 v[192:193], v[40:41], v[2:3], v[4:5]
	scratch_load_b128 v[38:41], off, off offset:320
	ds_load_b128 v[2:5], v1 offset:880
	s_waitcnt vmcnt(10) lgkmcnt(1)
	v_mul_f64 v[188:189], v[176:177], v[8:9]
	v_mul_f64 v[8:9], v[178:179], v[8:9]
	ds_load_b128 v[184:187], v1 offset:896
	s_waitcnt vmcnt(9) lgkmcnt(1)
	v_mul_f64 v[194:195], v[2:3], v[12:13]
	v_mul_f64 v[12:13], v[4:5], v[12:13]
	v_fma_f64 v[178:179], v[178:179], v[6:7], v[188:189]
	v_fma_f64 v[176:177], v[176:177], v[6:7], -v[8:9]
	v_add_f64 v[188:189], v[190:191], 0
	v_add_f64 v[190:191], v[192:193], 0
	scratch_load_b128 v[6:9], off, off offset:336
	v_fma_f64 v[194:195], v[4:5], v[10:11], v[194:195]
	v_fma_f64 v[196:197], v[2:3], v[10:11], -v[12:13]
	scratch_load_b128 v[10:13], off, off offset:352
	ds_load_b128 v[2:5], v1 offset:912
	s_waitcnt vmcnt(10) lgkmcnt(1)
	v_mul_f64 v[192:193], v[184:185], v[16:17]
	v_mul_f64 v[16:17], v[186:187], v[16:17]
	v_add_f64 v[188:189], v[188:189], v[176:177]
	v_add_f64 v[190:191], v[190:191], v[178:179]
	s_waitcnt vmcnt(9) lgkmcnt(0)
	v_mul_f64 v[198:199], v[2:3], v[20:21]
	v_mul_f64 v[20:21], v[4:5], v[20:21]
	ds_load_b128 v[176:179], v1 offset:928
	v_fma_f64 v[186:187], v[186:187], v[14:15], v[192:193]
	v_fma_f64 v[184:185], v[184:185], v[14:15], -v[16:17]
	scratch_load_b128 v[14:17], off, off offset:368
	v_add_f64 v[188:189], v[188:189], v[196:197]
	v_add_f64 v[190:191], v[190:191], v[194:195]
	v_fma_f64 v[194:195], v[4:5], v[18:19], v[198:199]
	v_fma_f64 v[196:197], v[2:3], v[18:19], -v[20:21]
	scratch_load_b128 v[18:21], off, off offset:384
	ds_load_b128 v[2:5], v1 offset:944
	s_waitcnt vmcnt(10) lgkmcnt(1)
	v_mul_f64 v[192:193], v[176:177], v[24:25]
	v_mul_f64 v[24:25], v[178:179], v[24:25]
	s_waitcnt vmcnt(9) lgkmcnt(0)
	v_mul_f64 v[198:199], v[2:3], v[28:29]
	v_mul_f64 v[28:29], v[4:5], v[28:29]
	v_add_f64 v[188:189], v[188:189], v[184:185]
	v_add_f64 v[190:191], v[190:191], v[186:187]
	ds_load_b128 v[184:187], v1 offset:960
	v_fma_f64 v[178:179], v[178:179], v[22:23], v[192:193]
	v_fma_f64 v[176:177], v[176:177], v[22:23], -v[24:25]
	scratch_load_b128 v[22:25], off, off offset:400
	v_add_f64 v[188:189], v[188:189], v[196:197]
	v_add_f64 v[190:191], v[190:191], v[194:195]
	v_fma_f64 v[194:195], v[4:5], v[26:27], v[198:199]
	v_fma_f64 v[196:197], v[2:3], v[26:27], -v[28:29]
	scratch_load_b128 v[26:29], off, off offset:416
	ds_load_b128 v[2:5], v1 offset:976
	s_waitcnt vmcnt(10) lgkmcnt(1)
	v_mul_f64 v[192:193], v[184:185], v[32:33]
	v_mul_f64 v[32:33], v[186:187], v[32:33]
	s_waitcnt vmcnt(9) lgkmcnt(0)
	v_mul_f64 v[198:199], v[2:3], v[36:37]
	v_mul_f64 v[36:37], v[4:5], v[36:37]
	v_add_f64 v[188:189], v[188:189], v[176:177]
	v_add_f64 v[190:191], v[190:191], v[178:179]
	ds_load_b128 v[176:179], v1 offset:992
	v_fma_f64 v[186:187], v[186:187], v[30:31], v[192:193]
	v_fma_f64 v[184:185], v[184:185], v[30:31], -v[32:33]
	scratch_load_b128 v[30:33], off, off offset:432
	v_add_f64 v[188:189], v[188:189], v[196:197]
	v_add_f64 v[190:191], v[190:191], v[194:195]
	v_fma_f64 v[196:197], v[4:5], v[34:35], v[198:199]
	v_fma_f64 v[198:199], v[2:3], v[34:35], -v[36:37]
	scratch_load_b128 v[34:37], off, off offset:448
	ds_load_b128 v[2:5], v1 offset:1008
	s_waitcnt vmcnt(9) lgkmcnt(1)
	v_mul_f64 v[192:193], v[176:177], v[182:183]
	v_mul_f64 v[194:195], v[178:179], v[182:183]
	v_add_f64 v[188:189], v[188:189], v[184:185]
	v_add_f64 v[186:187], v[190:191], v[186:187]
	ds_load_b128 v[182:185], v1 offset:1024
	v_fma_f64 v[192:193], v[178:179], v[180:181], v[192:193]
	v_fma_f64 v[180:181], v[176:177], v[180:181], -v[194:195]
	scratch_load_b128 v[176:179], off, off offset:464
	s_waitcnt vmcnt(9) lgkmcnt(1)
	v_mul_f64 v[190:191], v[2:3], v[40:41]
	v_mul_f64 v[40:41], v[4:5], v[40:41]
	v_add_f64 v[188:189], v[188:189], v[198:199]
	v_add_f64 v[186:187], v[186:187], v[196:197]
	s_delay_alu instid0(VALU_DEP_4) | instskip(NEXT) | instid1(VALU_DEP_4)
	v_fma_f64 v[190:191], v[4:5], v[38:39], v[190:191]
	v_fma_f64 v[196:197], v[2:3], v[38:39], -v[40:41]
	scratch_load_b128 v[38:41], off, off offset:480
	ds_load_b128 v[2:5], v1 offset:1040
	s_waitcnt vmcnt(9) lgkmcnt(1)
	v_mul_f64 v[194:195], v[182:183], v[8:9]
	v_mul_f64 v[8:9], v[184:185], v[8:9]
	s_waitcnt vmcnt(8) lgkmcnt(0)
	v_mul_f64 v[198:199], v[2:3], v[12:13]
	v_mul_f64 v[12:13], v[4:5], v[12:13]
	v_add_f64 v[180:181], v[188:189], v[180:181]
	v_add_f64 v[192:193], v[186:187], v[192:193]
	ds_load_b128 v[186:189], v1 offset:1056
	v_fma_f64 v[184:185], v[184:185], v[6:7], v[194:195]
	v_fma_f64 v[182:183], v[182:183], v[6:7], -v[8:9]
	scratch_load_b128 v[6:9], off, off offset:496
	v_fma_f64 v[194:195], v[4:5], v[10:11], v[198:199]
	v_add_f64 v[180:181], v[180:181], v[196:197]
	v_add_f64 v[190:191], v[192:193], v[190:191]
	v_fma_f64 v[196:197], v[2:3], v[10:11], -v[12:13]
	scratch_load_b128 v[10:13], off, off offset:512
	ds_load_b128 v[2:5], v1 offset:1072
	s_waitcnt vmcnt(9) lgkmcnt(1)
	v_mul_f64 v[192:193], v[186:187], v[16:17]
	v_mul_f64 v[16:17], v[188:189], v[16:17]
	v_add_f64 v[198:199], v[180:181], v[182:183]
	v_add_f64 v[184:185], v[190:191], v[184:185]
	s_waitcnt vmcnt(8) lgkmcnt(0)
	v_mul_f64 v[190:191], v[2:3], v[20:21]
	v_mul_f64 v[20:21], v[4:5], v[20:21]
	ds_load_b128 v[180:183], v1 offset:1088
	v_fma_f64 v[188:189], v[188:189], v[14:15], v[192:193]
	v_fma_f64 v[186:187], v[186:187], v[14:15], -v[16:17]
	scratch_load_b128 v[14:17], off, off offset:528
	v_add_f64 v[192:193], v[198:199], v[196:197]
	v_add_f64 v[184:185], v[184:185], v[194:195]
	v_fma_f64 v[190:191], v[4:5], v[18:19], v[190:191]
	v_fma_f64 v[196:197], v[2:3], v[18:19], -v[20:21]
	scratch_load_b128 v[18:21], off, off offset:544
	ds_load_b128 v[2:5], v1 offset:1104
	s_waitcnt vmcnt(9) lgkmcnt(1)
	v_mul_f64 v[194:195], v[180:181], v[24:25]
	v_mul_f64 v[24:25], v[182:183], v[24:25]
	s_waitcnt vmcnt(8) lgkmcnt(0)
	v_mul_f64 v[198:199], v[2:3], v[28:29]
	v_mul_f64 v[28:29], v[4:5], v[28:29]
	v_add_f64 v[192:193], v[192:193], v[186:187]
	v_add_f64 v[188:189], v[184:185], v[188:189]
	ds_load_b128 v[184:187], v1 offset:1120
	v_fma_f64 v[182:183], v[182:183], v[22:23], v[194:195]
	v_fma_f64 v[180:181], v[180:181], v[22:23], -v[24:25]
	scratch_load_b128 v[22:25], off, off offset:560
	v_fma_f64 v[194:195], v[4:5], v[26:27], v[198:199]
	v_add_f64 v[192:193], v[192:193], v[196:197]
	v_add_f64 v[188:189], v[188:189], v[190:191]
	v_fma_f64 v[196:197], v[2:3], v[26:27], -v[28:29]
	scratch_load_b128 v[26:29], off, off offset:576
	ds_load_b128 v[2:5], v1 offset:1136
	s_waitcnt vmcnt(9) lgkmcnt(1)
	v_mul_f64 v[190:191], v[184:185], v[32:33]
	v_mul_f64 v[32:33], v[186:187], v[32:33]
	s_waitcnt vmcnt(8) lgkmcnt(0)
	v_mul_f64 v[198:199], v[2:3], v[36:37]
	v_mul_f64 v[36:37], v[4:5], v[36:37]
	v_add_f64 v[192:193], v[192:193], v[180:181]
	v_add_f64 v[188:189], v[188:189], v[182:183]
	ds_load_b128 v[180:183], v1 offset:1152
	v_fma_f64 v[186:187], v[186:187], v[30:31], v[190:191]
	v_fma_f64 v[184:185], v[184:185], v[30:31], -v[32:33]
	scratch_load_b128 v[30:33], off, off offset:592
	v_add_f64 v[190:191], v[192:193], v[196:197]
	v_add_f64 v[188:189], v[188:189], v[194:195]
	v_fma_f64 v[194:195], v[4:5], v[34:35], v[198:199]
	v_fma_f64 v[196:197], v[2:3], v[34:35], -v[36:37]
	scratch_load_b128 v[34:37], off, off offset:608
	ds_load_b128 v[2:5], v1 offset:1168
	s_waitcnt vmcnt(9) lgkmcnt(1)
	v_mul_f64 v[192:193], v[180:181], v[178:179]
	v_mul_f64 v[178:179], v[182:183], v[178:179]
	s_waitcnt vmcnt(8) lgkmcnt(0)
	v_mul_f64 v[198:199], v[2:3], v[40:41]
	v_mul_f64 v[40:41], v[4:5], v[40:41]
	v_add_f64 v[190:191], v[190:191], v[184:185]
	v_add_f64 v[188:189], v[188:189], v[186:187]
	ds_load_b128 v[184:187], v1 offset:1184
	v_fma_f64 v[182:183], v[182:183], v[176:177], v[192:193]
	v_fma_f64 v[180:181], v[180:181], v[176:177], -v[178:179]
	scratch_load_b128 v[176:179], off, off offset:624
	v_add_f64 v[190:191], v[190:191], v[196:197]
	v_add_f64 v[188:189], v[188:189], v[194:195]
	v_fma_f64 v[194:195], v[4:5], v[38:39], v[198:199]
	v_fma_f64 v[196:197], v[2:3], v[38:39], -v[40:41]
	scratch_load_b128 v[38:41], off, off offset:640
	ds_load_b128 v[2:5], v1 offset:1200
	s_waitcnt vmcnt(9) lgkmcnt(1)
	v_mul_f64 v[192:193], v[184:185], v[8:9]
	v_mul_f64 v[8:9], v[186:187], v[8:9]
	s_waitcnt vmcnt(8) lgkmcnt(0)
	v_mul_f64 v[198:199], v[2:3], v[12:13]
	v_mul_f64 v[12:13], v[4:5], v[12:13]
	v_add_f64 v[190:191], v[190:191], v[180:181]
	v_add_f64 v[188:189], v[188:189], v[182:183]
	ds_load_b128 v[180:183], v1 offset:1216
	v_fma_f64 v[186:187], v[186:187], v[6:7], v[192:193]
	v_fma_f64 v[184:185], v[184:185], v[6:7], -v[8:9]
	scratch_load_b128 v[6:9], off, off offset:656
	v_add_f64 v[190:191], v[190:191], v[196:197]
	v_add_f64 v[188:189], v[188:189], v[194:195]
	v_fma_f64 v[194:195], v[4:5], v[10:11], v[198:199]
	v_fma_f64 v[196:197], v[2:3], v[10:11], -v[12:13]
	scratch_load_b128 v[10:13], off, off offset:672
	ds_load_b128 v[2:5], v1 offset:1232
	s_waitcnt vmcnt(9) lgkmcnt(1)
	v_mul_f64 v[192:193], v[180:181], v[16:17]
	v_mul_f64 v[16:17], v[182:183], v[16:17]
	s_waitcnt vmcnt(8) lgkmcnt(0)
	v_mul_f64 v[198:199], v[2:3], v[20:21]
	v_mul_f64 v[20:21], v[4:5], v[20:21]
	v_add_f64 v[190:191], v[190:191], v[184:185]
	v_add_f64 v[188:189], v[188:189], v[186:187]
	ds_load_b128 v[184:187], v1 offset:1248
	v_fma_f64 v[182:183], v[182:183], v[14:15], v[192:193]
	v_fma_f64 v[14:15], v[180:181], v[14:15], -v[16:17]
	v_add_f64 v[16:17], v[190:191], v[196:197]
	v_add_f64 v[180:181], v[188:189], v[194:195]
	s_waitcnt vmcnt(7) lgkmcnt(0)
	v_mul_f64 v[188:189], v[184:185], v[24:25]
	v_mul_f64 v[24:25], v[186:187], v[24:25]
	v_fma_f64 v[190:191], v[4:5], v[18:19], v[198:199]
	v_fma_f64 v[18:19], v[2:3], v[18:19], -v[20:21]
	v_add_f64 v[20:21], v[16:17], v[14:15]
	v_add_f64 v[180:181], v[180:181], v[182:183]
	ds_load_b128 v[2:5], v1 offset:1264
	ds_load_b128 v[14:17], v1 offset:1280
	v_fma_f64 v[186:187], v[186:187], v[22:23], v[188:189]
	v_fma_f64 v[22:23], v[184:185], v[22:23], -v[24:25]
	s_waitcnt vmcnt(6) lgkmcnt(1)
	v_mul_f64 v[182:183], v[2:3], v[28:29]
	v_mul_f64 v[28:29], v[4:5], v[28:29]
	s_waitcnt vmcnt(5) lgkmcnt(0)
	v_mul_f64 v[24:25], v[14:15], v[32:33]
	v_mul_f64 v[32:33], v[16:17], v[32:33]
	v_add_f64 v[18:19], v[20:21], v[18:19]
	v_add_f64 v[20:21], v[180:181], v[190:191]
	v_fma_f64 v[180:181], v[4:5], v[26:27], v[182:183]
	v_fma_f64 v[26:27], v[2:3], v[26:27], -v[28:29]
	v_fma_f64 v[16:17], v[16:17], v[30:31], v[24:25]
	v_fma_f64 v[14:15], v[14:15], v[30:31], -v[32:33]
	v_add_f64 v[22:23], v[18:19], v[22:23]
	v_add_f64 v[28:29], v[20:21], v[186:187]
	ds_load_b128 v[2:5], v1 offset:1296
	ds_load_b128 v[18:21], v1 offset:1312
	s_waitcnt vmcnt(4) lgkmcnt(1)
	v_mul_f64 v[182:183], v[2:3], v[36:37]
	v_mul_f64 v[36:37], v[4:5], v[36:37]
	v_add_f64 v[22:23], v[22:23], v[26:27]
	v_add_f64 v[24:25], v[28:29], v[180:181]
	s_waitcnt vmcnt(3) lgkmcnt(0)
	v_mul_f64 v[26:27], v[18:19], v[178:179]
	v_mul_f64 v[28:29], v[20:21], v[178:179]
	v_fma_f64 v[30:31], v[4:5], v[34:35], v[182:183]
	v_fma_f64 v[32:33], v[2:3], v[34:35], -v[36:37]
	v_add_f64 v[22:23], v[22:23], v[14:15]
	v_add_f64 v[24:25], v[24:25], v[16:17]
	ds_load_b128 v[2:5], v1 offset:1328
	ds_load_b128 v[14:17], v1 offset:1344
	v_fma_f64 v[20:21], v[20:21], v[176:177], v[26:27]
	v_fma_f64 v[18:19], v[18:19], v[176:177], -v[28:29]
	s_waitcnt vmcnt(2) lgkmcnt(1)
	v_mul_f64 v[34:35], v[2:3], v[40:41]
	v_mul_f64 v[36:37], v[4:5], v[40:41]
	s_waitcnt vmcnt(1) lgkmcnt(0)
	v_mul_f64 v[26:27], v[14:15], v[8:9]
	v_mul_f64 v[8:9], v[16:17], v[8:9]
	v_add_f64 v[22:23], v[22:23], v[32:33]
	v_add_f64 v[24:25], v[24:25], v[30:31]
	v_fma_f64 v[28:29], v[4:5], v[38:39], v[34:35]
	v_fma_f64 v[30:31], v[2:3], v[38:39], -v[36:37]
	ds_load_b128 v[2:5], v1 offset:1360
	v_fma_f64 v[16:17], v[16:17], v[6:7], v[26:27]
	v_fma_f64 v[6:7], v[14:15], v[6:7], -v[8:9]
	v_add_f64 v[18:19], v[22:23], v[18:19]
	v_add_f64 v[20:21], v[24:25], v[20:21]
	s_waitcnt vmcnt(0) lgkmcnt(0)
	v_mul_f64 v[22:23], v[2:3], v[12:13]
	v_mul_f64 v[12:13], v[4:5], v[12:13]
	s_delay_alu instid0(VALU_DEP_4) | instskip(NEXT) | instid1(VALU_DEP_4)
	v_add_f64 v[8:9], v[18:19], v[30:31]
	v_add_f64 v[14:15], v[20:21], v[28:29]
	s_delay_alu instid0(VALU_DEP_4) | instskip(NEXT) | instid1(VALU_DEP_4)
	v_fma_f64 v[4:5], v[4:5], v[10:11], v[22:23]
	v_fma_f64 v[2:3], v[2:3], v[10:11], -v[12:13]
	s_delay_alu instid0(VALU_DEP_4) | instskip(NEXT) | instid1(VALU_DEP_4)
	v_add_f64 v[6:7], v[8:9], v[6:7]
	v_add_f64 v[8:9], v[14:15], v[16:17]
	s_delay_alu instid0(VALU_DEP_2) | instskip(NEXT) | instid1(VALU_DEP_2)
	v_add_f64 v[2:3], v[6:7], v[2:3]
	v_add_f64 v[4:5], v[8:9], v[4:5]
	s_delay_alu instid0(VALU_DEP_2) | instskip(NEXT) | instid1(VALU_DEP_2)
	v_add_f64 v[2:3], v[42:43], -v[2:3]
	v_add_f64 v[4:5], v[44:45], -v[4:5]
	scratch_store_b128 off, v[2:5], off offset:144
	v_cmpx_lt_u32_e32 8, v132
	s_cbranch_execz .LBB42_255
; %bb.254:
	scratch_load_b128 v[5:8], v171, off
	v_mov_b32_e32 v2, v1
	v_mov_b32_e32 v3, v1
	;; [unrolled: 1-line block ×3, first 2 shown]
	scratch_store_b128 off, v[1:4], off offset:128
	s_waitcnt vmcnt(0)
	ds_store_b128 v175, v[5:8]
.LBB42_255:
	s_or_b32 exec_lo, exec_lo, s2
	s_waitcnt lgkmcnt(0)
	s_waitcnt_vscnt null, 0x0
	s_barrier
	buffer_gl0_inv
	s_clause 0x8
	scratch_load_b128 v[2:5], off, off offset:144
	scratch_load_b128 v[6:9], off, off offset:160
	;; [unrolled: 1-line block ×9, first 2 shown]
	ds_load_b128 v[42:45], v1 offset:832
	ds_load_b128 v[38:41], v1 offset:848
	s_clause 0x1
	scratch_load_b128 v[176:179], off, off offset:128
	scratch_load_b128 v[180:183], off, off offset:288
	s_mov_b32 s2, exec_lo
	s_waitcnt vmcnt(10) lgkmcnt(1)
	v_mul_f64 v[184:185], v[44:45], v[4:5]
	v_mul_f64 v[4:5], v[42:43], v[4:5]
	s_waitcnt vmcnt(9) lgkmcnt(0)
	v_mul_f64 v[188:189], v[38:39], v[8:9]
	v_mul_f64 v[8:9], v[40:41], v[8:9]
	s_delay_alu instid0(VALU_DEP_4) | instskip(NEXT) | instid1(VALU_DEP_4)
	v_fma_f64 v[190:191], v[42:43], v[2:3], -v[184:185]
	v_fma_f64 v[192:193], v[44:45], v[2:3], v[4:5]
	ds_load_b128 v[2:5], v1 offset:864
	ds_load_b128 v[184:187], v1 offset:880
	scratch_load_b128 v[42:45], off, off offset:304
	v_fma_f64 v[40:41], v[40:41], v[6:7], v[188:189]
	v_fma_f64 v[38:39], v[38:39], v[6:7], -v[8:9]
	scratch_load_b128 v[6:9], off, off offset:320
	s_waitcnt vmcnt(10) lgkmcnt(1)
	v_mul_f64 v[194:195], v[2:3], v[12:13]
	v_mul_f64 v[12:13], v[4:5], v[12:13]
	v_add_f64 v[188:189], v[190:191], 0
	v_add_f64 v[190:191], v[192:193], 0
	s_waitcnt vmcnt(9) lgkmcnt(0)
	v_mul_f64 v[192:193], v[184:185], v[16:17]
	v_mul_f64 v[16:17], v[186:187], v[16:17]
	v_fma_f64 v[194:195], v[4:5], v[10:11], v[194:195]
	v_fma_f64 v[196:197], v[2:3], v[10:11], -v[12:13]
	ds_load_b128 v[2:5], v1 offset:896
	scratch_load_b128 v[10:13], off, off offset:336
	v_add_f64 v[188:189], v[188:189], v[38:39]
	v_add_f64 v[190:191], v[190:191], v[40:41]
	ds_load_b128 v[38:41], v1 offset:912
	v_fma_f64 v[186:187], v[186:187], v[14:15], v[192:193]
	v_fma_f64 v[184:185], v[184:185], v[14:15], -v[16:17]
	scratch_load_b128 v[14:17], off, off offset:352
	s_waitcnt vmcnt(10) lgkmcnt(1)
	v_mul_f64 v[198:199], v[2:3], v[20:21]
	v_mul_f64 v[20:21], v[4:5], v[20:21]
	s_waitcnt vmcnt(9) lgkmcnt(0)
	v_mul_f64 v[192:193], v[38:39], v[24:25]
	v_mul_f64 v[24:25], v[40:41], v[24:25]
	v_add_f64 v[188:189], v[188:189], v[196:197]
	v_add_f64 v[190:191], v[190:191], v[194:195]
	v_fma_f64 v[194:195], v[4:5], v[18:19], v[198:199]
	v_fma_f64 v[196:197], v[2:3], v[18:19], -v[20:21]
	ds_load_b128 v[2:5], v1 offset:928
	scratch_load_b128 v[18:21], off, off offset:368
	v_fma_f64 v[40:41], v[40:41], v[22:23], v[192:193]
	v_fma_f64 v[38:39], v[38:39], v[22:23], -v[24:25]
	scratch_load_b128 v[22:25], off, off offset:384
	v_add_f64 v[188:189], v[188:189], v[184:185]
	v_add_f64 v[190:191], v[190:191], v[186:187]
	ds_load_b128 v[184:187], v1 offset:944
	s_waitcnt vmcnt(10) lgkmcnt(1)
	v_mul_f64 v[198:199], v[2:3], v[28:29]
	v_mul_f64 v[28:29], v[4:5], v[28:29]
	s_waitcnt vmcnt(9) lgkmcnt(0)
	v_mul_f64 v[192:193], v[184:185], v[32:33]
	v_mul_f64 v[32:33], v[186:187], v[32:33]
	v_add_f64 v[188:189], v[188:189], v[196:197]
	v_add_f64 v[190:191], v[190:191], v[194:195]
	v_fma_f64 v[194:195], v[4:5], v[26:27], v[198:199]
	v_fma_f64 v[196:197], v[2:3], v[26:27], -v[28:29]
	ds_load_b128 v[2:5], v1 offset:960
	scratch_load_b128 v[26:29], off, off offset:400
	v_fma_f64 v[186:187], v[186:187], v[30:31], v[192:193]
	v_fma_f64 v[184:185], v[184:185], v[30:31], -v[32:33]
	scratch_load_b128 v[30:33], off, off offset:416
	v_add_f64 v[188:189], v[188:189], v[38:39]
	v_add_f64 v[190:191], v[190:191], v[40:41]
	ds_load_b128 v[38:41], v1 offset:976
	s_waitcnt vmcnt(10) lgkmcnt(1)
	v_mul_f64 v[198:199], v[2:3], v[36:37]
	v_mul_f64 v[36:37], v[4:5], v[36:37]
	s_waitcnt vmcnt(8) lgkmcnt(0)
	v_mul_f64 v[192:193], v[38:39], v[182:183]
	v_add_f64 v[188:189], v[188:189], v[196:197]
	v_add_f64 v[190:191], v[190:191], v[194:195]
	v_mul_f64 v[194:195], v[40:41], v[182:183]
	v_fma_f64 v[196:197], v[4:5], v[34:35], v[198:199]
	v_fma_f64 v[198:199], v[2:3], v[34:35], -v[36:37]
	ds_load_b128 v[2:5], v1 offset:992
	scratch_load_b128 v[34:37], off, off offset:432
	v_fma_f64 v[192:193], v[40:41], v[180:181], v[192:193]
	v_add_f64 v[188:189], v[188:189], v[184:185]
	v_add_f64 v[186:187], v[190:191], v[186:187]
	ds_load_b128 v[182:185], v1 offset:1008
	v_fma_f64 v[180:181], v[38:39], v[180:181], -v[194:195]
	scratch_load_b128 v[38:41], off, off offset:448
	s_waitcnt vmcnt(9) lgkmcnt(1)
	v_mul_f64 v[190:191], v[2:3], v[44:45]
	v_mul_f64 v[44:45], v[4:5], v[44:45]
	s_waitcnt vmcnt(8) lgkmcnt(0)
	v_mul_f64 v[194:195], v[182:183], v[8:9]
	v_mul_f64 v[8:9], v[184:185], v[8:9]
	v_add_f64 v[188:189], v[188:189], v[198:199]
	v_add_f64 v[186:187], v[186:187], v[196:197]
	v_fma_f64 v[190:191], v[4:5], v[42:43], v[190:191]
	v_fma_f64 v[196:197], v[2:3], v[42:43], -v[44:45]
	ds_load_b128 v[2:5], v1 offset:1024
	scratch_load_b128 v[42:45], off, off offset:464
	v_fma_f64 v[184:185], v[184:185], v[6:7], v[194:195]
	v_fma_f64 v[182:183], v[182:183], v[6:7], -v[8:9]
	scratch_load_b128 v[6:9], off, off offset:480
	v_add_f64 v[180:181], v[188:189], v[180:181]
	v_add_f64 v[192:193], v[186:187], v[192:193]
	ds_load_b128 v[186:189], v1 offset:1040
	s_waitcnt vmcnt(9) lgkmcnt(1)
	v_mul_f64 v[198:199], v[2:3], v[12:13]
	v_mul_f64 v[12:13], v[4:5], v[12:13]
	v_add_f64 v[180:181], v[180:181], v[196:197]
	v_add_f64 v[190:191], v[192:193], v[190:191]
	s_waitcnt vmcnt(8) lgkmcnt(0)
	v_mul_f64 v[192:193], v[186:187], v[16:17]
	v_mul_f64 v[16:17], v[188:189], v[16:17]
	v_fma_f64 v[194:195], v[4:5], v[10:11], v[198:199]
	v_fma_f64 v[196:197], v[2:3], v[10:11], -v[12:13]
	ds_load_b128 v[2:5], v1 offset:1056
	scratch_load_b128 v[10:13], off, off offset:496
	v_add_f64 v[198:199], v[180:181], v[182:183]
	v_add_f64 v[184:185], v[190:191], v[184:185]
	ds_load_b128 v[180:183], v1 offset:1072
	s_waitcnt vmcnt(8) lgkmcnt(1)
	v_mul_f64 v[190:191], v[2:3], v[20:21]
	v_mul_f64 v[20:21], v[4:5], v[20:21]
	v_fma_f64 v[188:189], v[188:189], v[14:15], v[192:193]
	v_fma_f64 v[186:187], v[186:187], v[14:15], -v[16:17]
	scratch_load_b128 v[14:17], off, off offset:512
	v_add_f64 v[192:193], v[198:199], v[196:197]
	v_add_f64 v[184:185], v[184:185], v[194:195]
	s_waitcnt vmcnt(8) lgkmcnt(0)
	v_mul_f64 v[194:195], v[180:181], v[24:25]
	v_mul_f64 v[24:25], v[182:183], v[24:25]
	v_fma_f64 v[190:191], v[4:5], v[18:19], v[190:191]
	v_fma_f64 v[196:197], v[2:3], v[18:19], -v[20:21]
	ds_load_b128 v[2:5], v1 offset:1088
	scratch_load_b128 v[18:21], off, off offset:528
	v_add_f64 v[192:193], v[192:193], v[186:187]
	v_add_f64 v[188:189], v[184:185], v[188:189]
	ds_load_b128 v[184:187], v1 offset:1104
	s_waitcnt vmcnt(8) lgkmcnt(1)
	v_mul_f64 v[198:199], v[2:3], v[28:29]
	v_mul_f64 v[28:29], v[4:5], v[28:29]
	v_fma_f64 v[182:183], v[182:183], v[22:23], v[194:195]
	v_fma_f64 v[180:181], v[180:181], v[22:23], -v[24:25]
	scratch_load_b128 v[22:25], off, off offset:544
	;; [unrolled: 18-line block ×4, first 2 shown]
	s_waitcnt vmcnt(8) lgkmcnt(0)
	v_mul_f64 v[192:193], v[184:185], v[8:9]
	v_mul_f64 v[8:9], v[186:187], v[8:9]
	v_add_f64 v[190:191], v[190:191], v[196:197]
	v_add_f64 v[188:189], v[188:189], v[194:195]
	v_fma_f64 v[194:195], v[4:5], v[42:43], v[198:199]
	v_fma_f64 v[196:197], v[2:3], v[42:43], -v[44:45]
	ds_load_b128 v[2:5], v1 offset:1184
	scratch_load_b128 v[42:45], off, off offset:624
	v_fma_f64 v[186:187], v[186:187], v[6:7], v[192:193]
	v_fma_f64 v[184:185], v[184:185], v[6:7], -v[8:9]
	scratch_load_b128 v[6:9], off, off offset:640
	v_add_f64 v[190:191], v[190:191], v[180:181]
	v_add_f64 v[188:189], v[188:189], v[182:183]
	ds_load_b128 v[180:183], v1 offset:1200
	s_waitcnt vmcnt(9) lgkmcnt(1)
	v_mul_f64 v[198:199], v[2:3], v[12:13]
	v_mul_f64 v[12:13], v[4:5], v[12:13]
	s_waitcnt vmcnt(8) lgkmcnt(0)
	v_mul_f64 v[192:193], v[180:181], v[16:17]
	v_mul_f64 v[16:17], v[182:183], v[16:17]
	v_add_f64 v[190:191], v[190:191], v[196:197]
	v_add_f64 v[188:189], v[188:189], v[194:195]
	v_fma_f64 v[194:195], v[4:5], v[10:11], v[198:199]
	v_fma_f64 v[196:197], v[2:3], v[10:11], -v[12:13]
	ds_load_b128 v[2:5], v1 offset:1216
	scratch_load_b128 v[10:13], off, off offset:656
	v_fma_f64 v[182:183], v[182:183], v[14:15], v[192:193]
	v_fma_f64 v[180:181], v[180:181], v[14:15], -v[16:17]
	scratch_load_b128 v[14:17], off, off offset:672
	v_add_f64 v[190:191], v[190:191], v[184:185]
	v_add_f64 v[188:189], v[188:189], v[186:187]
	ds_load_b128 v[184:187], v1 offset:1232
	s_waitcnt vmcnt(9) lgkmcnt(1)
	v_mul_f64 v[198:199], v[2:3], v[20:21]
	v_mul_f64 v[20:21], v[4:5], v[20:21]
	s_waitcnt vmcnt(8) lgkmcnt(0)
	v_mul_f64 v[192:193], v[184:185], v[24:25]
	v_mul_f64 v[24:25], v[186:187], v[24:25]
	v_add_f64 v[190:191], v[190:191], v[196:197]
	v_add_f64 v[188:189], v[188:189], v[194:195]
	v_fma_f64 v[194:195], v[4:5], v[18:19], v[198:199]
	v_fma_f64 v[196:197], v[2:3], v[18:19], -v[20:21]
	ds_load_b128 v[2:5], v1 offset:1248
	ds_load_b128 v[18:21], v1 offset:1264
	v_fma_f64 v[186:187], v[186:187], v[22:23], v[192:193]
	v_fma_f64 v[22:23], v[184:185], v[22:23], -v[24:25]
	v_add_f64 v[180:181], v[190:191], v[180:181]
	v_add_f64 v[182:183], v[188:189], v[182:183]
	s_waitcnt vmcnt(7) lgkmcnt(1)
	v_mul_f64 v[188:189], v[2:3], v[28:29]
	v_mul_f64 v[28:29], v[4:5], v[28:29]
	s_delay_alu instid0(VALU_DEP_4) | instskip(NEXT) | instid1(VALU_DEP_4)
	v_add_f64 v[24:25], v[180:181], v[196:197]
	v_add_f64 v[180:181], v[182:183], v[194:195]
	s_waitcnt vmcnt(6) lgkmcnt(0)
	v_mul_f64 v[182:183], v[18:19], v[32:33]
	v_mul_f64 v[32:33], v[20:21], v[32:33]
	v_fma_f64 v[184:185], v[4:5], v[26:27], v[188:189]
	v_fma_f64 v[26:27], v[2:3], v[26:27], -v[28:29]
	v_add_f64 v[28:29], v[24:25], v[22:23]
	v_add_f64 v[180:181], v[180:181], v[186:187]
	ds_load_b128 v[2:5], v1 offset:1280
	ds_load_b128 v[22:25], v1 offset:1296
	v_fma_f64 v[20:21], v[20:21], v[30:31], v[182:183]
	v_fma_f64 v[18:19], v[18:19], v[30:31], -v[32:33]
	s_waitcnt vmcnt(5) lgkmcnt(1)
	v_mul_f64 v[186:187], v[2:3], v[36:37]
	v_mul_f64 v[36:37], v[4:5], v[36:37]
	s_waitcnt vmcnt(4) lgkmcnt(0)
	v_mul_f64 v[30:31], v[22:23], v[40:41]
	v_mul_f64 v[32:33], v[24:25], v[40:41]
	v_add_f64 v[26:27], v[28:29], v[26:27]
	v_add_f64 v[28:29], v[180:181], v[184:185]
	v_fma_f64 v[40:41], v[4:5], v[34:35], v[186:187]
	v_fma_f64 v[34:35], v[2:3], v[34:35], -v[36:37]
	v_fma_f64 v[24:25], v[24:25], v[38:39], v[30:31]
	v_fma_f64 v[22:23], v[22:23], v[38:39], -v[32:33]
	v_add_f64 v[26:27], v[26:27], v[18:19]
	v_add_f64 v[28:29], v[28:29], v[20:21]
	ds_load_b128 v[2:5], v1 offset:1312
	ds_load_b128 v[18:21], v1 offset:1328
	s_waitcnt vmcnt(3) lgkmcnt(1)
	v_mul_f64 v[36:37], v[2:3], v[44:45]
	v_mul_f64 v[44:45], v[4:5], v[44:45]
	s_waitcnt vmcnt(2) lgkmcnt(0)
	v_mul_f64 v[30:31], v[18:19], v[8:9]
	v_mul_f64 v[8:9], v[20:21], v[8:9]
	v_add_f64 v[26:27], v[26:27], v[34:35]
	v_add_f64 v[28:29], v[28:29], v[40:41]
	v_fma_f64 v[32:33], v[4:5], v[42:43], v[36:37]
	v_fma_f64 v[34:35], v[2:3], v[42:43], -v[44:45]
	v_fma_f64 v[20:21], v[20:21], v[6:7], v[30:31]
	v_fma_f64 v[6:7], v[18:19], v[6:7], -v[8:9]
	v_add_f64 v[26:27], v[26:27], v[22:23]
	v_add_f64 v[28:29], v[28:29], v[24:25]
	ds_load_b128 v[2:5], v1 offset:1344
	ds_load_b128 v[22:25], v1 offset:1360
	s_waitcnt vmcnt(1) lgkmcnt(1)
	v_mul_f64 v[36:37], v[2:3], v[12:13]
	v_mul_f64 v[12:13], v[4:5], v[12:13]
	v_add_f64 v[8:9], v[26:27], v[34:35]
	v_add_f64 v[18:19], v[28:29], v[32:33]
	s_waitcnt vmcnt(0) lgkmcnt(0)
	v_mul_f64 v[26:27], v[22:23], v[16:17]
	v_mul_f64 v[16:17], v[24:25], v[16:17]
	v_fma_f64 v[4:5], v[4:5], v[10:11], v[36:37]
	v_fma_f64 v[1:2], v[2:3], v[10:11], -v[12:13]
	v_add_f64 v[6:7], v[8:9], v[6:7]
	v_add_f64 v[8:9], v[18:19], v[20:21]
	v_fma_f64 v[10:11], v[24:25], v[14:15], v[26:27]
	v_fma_f64 v[12:13], v[22:23], v[14:15], -v[16:17]
	s_delay_alu instid0(VALU_DEP_4) | instskip(NEXT) | instid1(VALU_DEP_4)
	v_add_f64 v[1:2], v[6:7], v[1:2]
	v_add_f64 v[3:4], v[8:9], v[4:5]
	s_delay_alu instid0(VALU_DEP_2) | instskip(NEXT) | instid1(VALU_DEP_2)
	v_add_f64 v[1:2], v[1:2], v[12:13]
	v_add_f64 v[3:4], v[3:4], v[10:11]
	s_delay_alu instid0(VALU_DEP_2) | instskip(NEXT) | instid1(VALU_DEP_2)
	v_add_f64 v[1:2], v[176:177], -v[1:2]
	v_add_f64 v[3:4], v[178:179], -v[3:4]
	scratch_store_b128 off, v[1:4], off offset:128
	v_cmpx_lt_u32_e32 7, v132
	s_cbranch_execz .LBB42_257
; %bb.256:
	scratch_load_b128 v[1:4], v172, off
	v_mov_b32_e32 v5, 0
	s_delay_alu instid0(VALU_DEP_1)
	v_mov_b32_e32 v6, v5
	v_mov_b32_e32 v7, v5
	;; [unrolled: 1-line block ×3, first 2 shown]
	scratch_store_b128 off, v[5:8], off offset:112
	s_waitcnt vmcnt(0)
	ds_store_b128 v175, v[1:4]
.LBB42_257:
	s_or_b32 exec_lo, exec_lo, s2
	s_waitcnt lgkmcnt(0)
	s_waitcnt_vscnt null, 0x0
	s_barrier
	buffer_gl0_inv
	s_clause 0x7
	scratch_load_b128 v[2:5], off, off offset:128
	scratch_load_b128 v[6:9], off, off offset:144
	;; [unrolled: 1-line block ×8, first 2 shown]
	v_mov_b32_e32 v1, 0
	s_mov_b32 s2, exec_lo
	ds_load_b128 v[38:41], v1 offset:816
	s_clause 0x1
	scratch_load_b128 v[34:37], off, off offset:256
	scratch_load_b128 v[42:45], off, off offset:112
	ds_load_b128 v[176:179], v1 offset:832
	scratch_load_b128 v[180:183], off, off offset:272
	s_waitcnt vmcnt(10) lgkmcnt(1)
	v_mul_f64 v[184:185], v[40:41], v[4:5]
	v_mul_f64 v[4:5], v[38:39], v[4:5]
	s_delay_alu instid0(VALU_DEP_2) | instskip(NEXT) | instid1(VALU_DEP_2)
	v_fma_f64 v[190:191], v[38:39], v[2:3], -v[184:185]
	v_fma_f64 v[192:193], v[40:41], v[2:3], v[4:5]
	scratch_load_b128 v[38:41], off, off offset:288
	ds_load_b128 v[2:5], v1 offset:848
	s_waitcnt vmcnt(10) lgkmcnt(1)
	v_mul_f64 v[188:189], v[176:177], v[8:9]
	v_mul_f64 v[8:9], v[178:179], v[8:9]
	ds_load_b128 v[184:187], v1 offset:864
	s_waitcnt vmcnt(9) lgkmcnt(1)
	v_mul_f64 v[194:195], v[2:3], v[12:13]
	v_mul_f64 v[12:13], v[4:5], v[12:13]
	v_fma_f64 v[178:179], v[178:179], v[6:7], v[188:189]
	v_fma_f64 v[176:177], v[176:177], v[6:7], -v[8:9]
	v_add_f64 v[188:189], v[190:191], 0
	v_add_f64 v[190:191], v[192:193], 0
	scratch_load_b128 v[6:9], off, off offset:304
	v_fma_f64 v[194:195], v[4:5], v[10:11], v[194:195]
	v_fma_f64 v[196:197], v[2:3], v[10:11], -v[12:13]
	scratch_load_b128 v[10:13], off, off offset:320
	ds_load_b128 v[2:5], v1 offset:880
	s_waitcnt vmcnt(10) lgkmcnt(1)
	v_mul_f64 v[192:193], v[184:185], v[16:17]
	v_mul_f64 v[16:17], v[186:187], v[16:17]
	v_add_f64 v[188:189], v[188:189], v[176:177]
	v_add_f64 v[190:191], v[190:191], v[178:179]
	s_waitcnt vmcnt(9) lgkmcnt(0)
	v_mul_f64 v[198:199], v[2:3], v[20:21]
	v_mul_f64 v[20:21], v[4:5], v[20:21]
	ds_load_b128 v[176:179], v1 offset:896
	v_fma_f64 v[186:187], v[186:187], v[14:15], v[192:193]
	v_fma_f64 v[184:185], v[184:185], v[14:15], -v[16:17]
	scratch_load_b128 v[14:17], off, off offset:336
	v_add_f64 v[188:189], v[188:189], v[196:197]
	v_add_f64 v[190:191], v[190:191], v[194:195]
	v_fma_f64 v[194:195], v[4:5], v[18:19], v[198:199]
	v_fma_f64 v[196:197], v[2:3], v[18:19], -v[20:21]
	scratch_load_b128 v[18:21], off, off offset:352
	ds_load_b128 v[2:5], v1 offset:912
	s_waitcnt vmcnt(10) lgkmcnt(1)
	v_mul_f64 v[192:193], v[176:177], v[24:25]
	v_mul_f64 v[24:25], v[178:179], v[24:25]
	s_waitcnt vmcnt(9) lgkmcnt(0)
	v_mul_f64 v[198:199], v[2:3], v[28:29]
	v_mul_f64 v[28:29], v[4:5], v[28:29]
	v_add_f64 v[188:189], v[188:189], v[184:185]
	v_add_f64 v[190:191], v[190:191], v[186:187]
	ds_load_b128 v[184:187], v1 offset:928
	v_fma_f64 v[178:179], v[178:179], v[22:23], v[192:193]
	v_fma_f64 v[176:177], v[176:177], v[22:23], -v[24:25]
	scratch_load_b128 v[22:25], off, off offset:368
	v_add_f64 v[188:189], v[188:189], v[196:197]
	v_add_f64 v[190:191], v[190:191], v[194:195]
	v_fma_f64 v[194:195], v[4:5], v[26:27], v[198:199]
	v_fma_f64 v[196:197], v[2:3], v[26:27], -v[28:29]
	scratch_load_b128 v[26:29], off, off offset:384
	ds_load_b128 v[2:5], v1 offset:944
	s_waitcnt vmcnt(10) lgkmcnt(1)
	v_mul_f64 v[192:193], v[184:185], v[32:33]
	v_mul_f64 v[32:33], v[186:187], v[32:33]
	s_waitcnt vmcnt(9) lgkmcnt(0)
	v_mul_f64 v[198:199], v[2:3], v[36:37]
	v_mul_f64 v[36:37], v[4:5], v[36:37]
	v_add_f64 v[188:189], v[188:189], v[176:177]
	v_add_f64 v[190:191], v[190:191], v[178:179]
	ds_load_b128 v[176:179], v1 offset:960
	v_fma_f64 v[186:187], v[186:187], v[30:31], v[192:193]
	v_fma_f64 v[184:185], v[184:185], v[30:31], -v[32:33]
	scratch_load_b128 v[30:33], off, off offset:400
	v_add_f64 v[188:189], v[188:189], v[196:197]
	v_add_f64 v[190:191], v[190:191], v[194:195]
	v_fma_f64 v[196:197], v[4:5], v[34:35], v[198:199]
	v_fma_f64 v[198:199], v[2:3], v[34:35], -v[36:37]
	scratch_load_b128 v[34:37], off, off offset:416
	ds_load_b128 v[2:5], v1 offset:976
	s_waitcnt vmcnt(9) lgkmcnt(1)
	v_mul_f64 v[192:193], v[176:177], v[182:183]
	v_mul_f64 v[194:195], v[178:179], v[182:183]
	v_add_f64 v[188:189], v[188:189], v[184:185]
	v_add_f64 v[186:187], v[190:191], v[186:187]
	ds_load_b128 v[182:185], v1 offset:992
	v_fma_f64 v[192:193], v[178:179], v[180:181], v[192:193]
	v_fma_f64 v[180:181], v[176:177], v[180:181], -v[194:195]
	scratch_load_b128 v[176:179], off, off offset:432
	s_waitcnt vmcnt(9) lgkmcnt(1)
	v_mul_f64 v[190:191], v[2:3], v[40:41]
	v_mul_f64 v[40:41], v[4:5], v[40:41]
	v_add_f64 v[188:189], v[188:189], v[198:199]
	v_add_f64 v[186:187], v[186:187], v[196:197]
	s_delay_alu instid0(VALU_DEP_4) | instskip(NEXT) | instid1(VALU_DEP_4)
	v_fma_f64 v[190:191], v[4:5], v[38:39], v[190:191]
	v_fma_f64 v[196:197], v[2:3], v[38:39], -v[40:41]
	scratch_load_b128 v[38:41], off, off offset:448
	ds_load_b128 v[2:5], v1 offset:1008
	s_waitcnt vmcnt(9) lgkmcnt(1)
	v_mul_f64 v[194:195], v[182:183], v[8:9]
	v_mul_f64 v[8:9], v[184:185], v[8:9]
	s_waitcnt vmcnt(8) lgkmcnt(0)
	v_mul_f64 v[198:199], v[2:3], v[12:13]
	v_mul_f64 v[12:13], v[4:5], v[12:13]
	v_add_f64 v[180:181], v[188:189], v[180:181]
	v_add_f64 v[192:193], v[186:187], v[192:193]
	ds_load_b128 v[186:189], v1 offset:1024
	v_fma_f64 v[184:185], v[184:185], v[6:7], v[194:195]
	v_fma_f64 v[182:183], v[182:183], v[6:7], -v[8:9]
	scratch_load_b128 v[6:9], off, off offset:464
	v_fma_f64 v[194:195], v[4:5], v[10:11], v[198:199]
	v_add_f64 v[180:181], v[180:181], v[196:197]
	v_add_f64 v[190:191], v[192:193], v[190:191]
	v_fma_f64 v[196:197], v[2:3], v[10:11], -v[12:13]
	scratch_load_b128 v[10:13], off, off offset:480
	ds_load_b128 v[2:5], v1 offset:1040
	s_waitcnt vmcnt(9) lgkmcnt(1)
	v_mul_f64 v[192:193], v[186:187], v[16:17]
	v_mul_f64 v[16:17], v[188:189], v[16:17]
	v_add_f64 v[198:199], v[180:181], v[182:183]
	v_add_f64 v[184:185], v[190:191], v[184:185]
	s_waitcnt vmcnt(8) lgkmcnt(0)
	v_mul_f64 v[190:191], v[2:3], v[20:21]
	v_mul_f64 v[20:21], v[4:5], v[20:21]
	ds_load_b128 v[180:183], v1 offset:1056
	v_fma_f64 v[188:189], v[188:189], v[14:15], v[192:193]
	v_fma_f64 v[186:187], v[186:187], v[14:15], -v[16:17]
	scratch_load_b128 v[14:17], off, off offset:496
	v_add_f64 v[192:193], v[198:199], v[196:197]
	v_add_f64 v[184:185], v[184:185], v[194:195]
	v_fma_f64 v[190:191], v[4:5], v[18:19], v[190:191]
	v_fma_f64 v[196:197], v[2:3], v[18:19], -v[20:21]
	scratch_load_b128 v[18:21], off, off offset:512
	ds_load_b128 v[2:5], v1 offset:1072
	s_waitcnt vmcnt(9) lgkmcnt(1)
	v_mul_f64 v[194:195], v[180:181], v[24:25]
	v_mul_f64 v[24:25], v[182:183], v[24:25]
	s_waitcnt vmcnt(8) lgkmcnt(0)
	v_mul_f64 v[198:199], v[2:3], v[28:29]
	v_mul_f64 v[28:29], v[4:5], v[28:29]
	v_add_f64 v[192:193], v[192:193], v[186:187]
	v_add_f64 v[188:189], v[184:185], v[188:189]
	ds_load_b128 v[184:187], v1 offset:1088
	v_fma_f64 v[182:183], v[182:183], v[22:23], v[194:195]
	v_fma_f64 v[180:181], v[180:181], v[22:23], -v[24:25]
	scratch_load_b128 v[22:25], off, off offset:528
	v_fma_f64 v[194:195], v[4:5], v[26:27], v[198:199]
	v_add_f64 v[192:193], v[192:193], v[196:197]
	v_add_f64 v[188:189], v[188:189], v[190:191]
	v_fma_f64 v[196:197], v[2:3], v[26:27], -v[28:29]
	scratch_load_b128 v[26:29], off, off offset:544
	ds_load_b128 v[2:5], v1 offset:1104
	s_waitcnt vmcnt(9) lgkmcnt(1)
	v_mul_f64 v[190:191], v[184:185], v[32:33]
	v_mul_f64 v[32:33], v[186:187], v[32:33]
	s_waitcnt vmcnt(8) lgkmcnt(0)
	v_mul_f64 v[198:199], v[2:3], v[36:37]
	v_mul_f64 v[36:37], v[4:5], v[36:37]
	v_add_f64 v[192:193], v[192:193], v[180:181]
	v_add_f64 v[188:189], v[188:189], v[182:183]
	ds_load_b128 v[180:183], v1 offset:1120
	v_fma_f64 v[186:187], v[186:187], v[30:31], v[190:191]
	v_fma_f64 v[184:185], v[184:185], v[30:31], -v[32:33]
	scratch_load_b128 v[30:33], off, off offset:560
	v_add_f64 v[190:191], v[192:193], v[196:197]
	v_add_f64 v[188:189], v[188:189], v[194:195]
	v_fma_f64 v[194:195], v[4:5], v[34:35], v[198:199]
	v_fma_f64 v[196:197], v[2:3], v[34:35], -v[36:37]
	scratch_load_b128 v[34:37], off, off offset:576
	ds_load_b128 v[2:5], v1 offset:1136
	s_waitcnt vmcnt(9) lgkmcnt(1)
	v_mul_f64 v[192:193], v[180:181], v[178:179]
	v_mul_f64 v[178:179], v[182:183], v[178:179]
	s_waitcnt vmcnt(8) lgkmcnt(0)
	v_mul_f64 v[198:199], v[2:3], v[40:41]
	v_mul_f64 v[40:41], v[4:5], v[40:41]
	v_add_f64 v[190:191], v[190:191], v[184:185]
	v_add_f64 v[188:189], v[188:189], v[186:187]
	ds_load_b128 v[184:187], v1 offset:1152
	v_fma_f64 v[182:183], v[182:183], v[176:177], v[192:193]
	v_fma_f64 v[180:181], v[180:181], v[176:177], -v[178:179]
	scratch_load_b128 v[176:179], off, off offset:592
	v_add_f64 v[190:191], v[190:191], v[196:197]
	v_add_f64 v[188:189], v[188:189], v[194:195]
	v_fma_f64 v[194:195], v[4:5], v[38:39], v[198:199]
	;; [unrolled: 18-line block ×4, first 2 shown]
	v_fma_f64 v[196:197], v[2:3], v[18:19], -v[20:21]
	scratch_load_b128 v[18:21], off, off offset:672
	ds_load_b128 v[2:5], v1 offset:1232
	s_waitcnt vmcnt(9) lgkmcnt(1)
	v_mul_f64 v[192:193], v[184:185], v[24:25]
	v_mul_f64 v[24:25], v[186:187], v[24:25]
	s_waitcnt vmcnt(8) lgkmcnt(0)
	v_mul_f64 v[198:199], v[2:3], v[28:29]
	v_mul_f64 v[28:29], v[4:5], v[28:29]
	v_add_f64 v[190:191], v[190:191], v[180:181]
	v_add_f64 v[188:189], v[188:189], v[182:183]
	ds_load_b128 v[180:183], v1 offset:1248
	v_fma_f64 v[186:187], v[186:187], v[22:23], v[192:193]
	v_fma_f64 v[22:23], v[184:185], v[22:23], -v[24:25]
	v_add_f64 v[24:25], v[190:191], v[196:197]
	v_add_f64 v[184:185], v[188:189], v[194:195]
	s_waitcnt vmcnt(7) lgkmcnt(0)
	v_mul_f64 v[188:189], v[180:181], v[32:33]
	v_mul_f64 v[32:33], v[182:183], v[32:33]
	v_fma_f64 v[190:191], v[4:5], v[26:27], v[198:199]
	v_fma_f64 v[26:27], v[2:3], v[26:27], -v[28:29]
	v_add_f64 v[28:29], v[24:25], v[22:23]
	v_add_f64 v[184:185], v[184:185], v[186:187]
	ds_load_b128 v[2:5], v1 offset:1264
	ds_load_b128 v[22:25], v1 offset:1280
	v_fma_f64 v[182:183], v[182:183], v[30:31], v[188:189]
	v_fma_f64 v[30:31], v[180:181], v[30:31], -v[32:33]
	s_waitcnt vmcnt(6) lgkmcnt(1)
	v_mul_f64 v[186:187], v[2:3], v[36:37]
	v_mul_f64 v[36:37], v[4:5], v[36:37]
	s_waitcnt vmcnt(5) lgkmcnt(0)
	v_mul_f64 v[32:33], v[22:23], v[178:179]
	v_mul_f64 v[178:179], v[24:25], v[178:179]
	v_add_f64 v[26:27], v[28:29], v[26:27]
	v_add_f64 v[28:29], v[184:185], v[190:191]
	v_fma_f64 v[180:181], v[4:5], v[34:35], v[186:187]
	v_fma_f64 v[34:35], v[2:3], v[34:35], -v[36:37]
	v_fma_f64 v[24:25], v[24:25], v[176:177], v[32:33]
	v_fma_f64 v[22:23], v[22:23], v[176:177], -v[178:179]
	v_add_f64 v[30:31], v[26:27], v[30:31]
	v_add_f64 v[36:37], v[28:29], v[182:183]
	ds_load_b128 v[2:5], v1 offset:1296
	ds_load_b128 v[26:29], v1 offset:1312
	s_waitcnt vmcnt(4) lgkmcnt(1)
	v_mul_f64 v[182:183], v[2:3], v[40:41]
	v_mul_f64 v[40:41], v[4:5], v[40:41]
	v_add_f64 v[30:31], v[30:31], v[34:35]
	v_add_f64 v[32:33], v[36:37], v[180:181]
	s_waitcnt vmcnt(3) lgkmcnt(0)
	v_mul_f64 v[34:35], v[26:27], v[8:9]
	v_mul_f64 v[8:9], v[28:29], v[8:9]
	v_fma_f64 v[36:37], v[4:5], v[38:39], v[182:183]
	v_fma_f64 v[38:39], v[2:3], v[38:39], -v[40:41]
	v_add_f64 v[30:31], v[30:31], v[22:23]
	v_add_f64 v[32:33], v[32:33], v[24:25]
	ds_load_b128 v[2:5], v1 offset:1328
	ds_load_b128 v[22:25], v1 offset:1344
	v_fma_f64 v[28:29], v[28:29], v[6:7], v[34:35]
	v_fma_f64 v[6:7], v[26:27], v[6:7], -v[8:9]
	s_waitcnt vmcnt(2) lgkmcnt(1)
	v_mul_f64 v[40:41], v[2:3], v[12:13]
	v_mul_f64 v[12:13], v[4:5], v[12:13]
	v_add_f64 v[8:9], v[30:31], v[38:39]
	v_add_f64 v[26:27], v[32:33], v[36:37]
	s_waitcnt vmcnt(1) lgkmcnt(0)
	v_mul_f64 v[30:31], v[22:23], v[16:17]
	v_mul_f64 v[16:17], v[24:25], v[16:17]
	v_fma_f64 v[32:33], v[4:5], v[10:11], v[40:41]
	v_fma_f64 v[10:11], v[2:3], v[10:11], -v[12:13]
	ds_load_b128 v[2:5], v1 offset:1360
	v_add_f64 v[6:7], v[8:9], v[6:7]
	v_add_f64 v[8:9], v[26:27], v[28:29]
	v_fma_f64 v[24:25], v[24:25], v[14:15], v[30:31]
	v_fma_f64 v[14:15], v[22:23], v[14:15], -v[16:17]
	s_waitcnt vmcnt(0) lgkmcnt(0)
	v_mul_f64 v[12:13], v[2:3], v[20:21]
	v_mul_f64 v[20:21], v[4:5], v[20:21]
	v_add_f64 v[6:7], v[6:7], v[10:11]
	v_add_f64 v[8:9], v[8:9], v[32:33]
	s_delay_alu instid0(VALU_DEP_4) | instskip(NEXT) | instid1(VALU_DEP_4)
	v_fma_f64 v[4:5], v[4:5], v[18:19], v[12:13]
	v_fma_f64 v[2:3], v[2:3], v[18:19], -v[20:21]
	s_delay_alu instid0(VALU_DEP_4) | instskip(NEXT) | instid1(VALU_DEP_4)
	v_add_f64 v[6:7], v[6:7], v[14:15]
	v_add_f64 v[8:9], v[8:9], v[24:25]
	s_delay_alu instid0(VALU_DEP_2) | instskip(NEXT) | instid1(VALU_DEP_2)
	v_add_f64 v[2:3], v[6:7], v[2:3]
	v_add_f64 v[4:5], v[8:9], v[4:5]
	s_delay_alu instid0(VALU_DEP_2) | instskip(NEXT) | instid1(VALU_DEP_2)
	v_add_f64 v[2:3], v[42:43], -v[2:3]
	v_add_f64 v[4:5], v[44:45], -v[4:5]
	scratch_store_b128 off, v[2:5], off offset:112
	v_cmpx_lt_u32_e32 6, v132
	s_cbranch_execz .LBB42_259
; %bb.258:
	scratch_load_b128 v[5:8], v173, off
	v_mov_b32_e32 v2, v1
	v_mov_b32_e32 v3, v1
	;; [unrolled: 1-line block ×3, first 2 shown]
	scratch_store_b128 off, v[1:4], off offset:96
	s_waitcnt vmcnt(0)
	ds_store_b128 v175, v[5:8]
.LBB42_259:
	s_or_b32 exec_lo, exec_lo, s2
	s_waitcnt lgkmcnt(0)
	s_waitcnt_vscnt null, 0x0
	s_barrier
	buffer_gl0_inv
	s_clause 0x8
	scratch_load_b128 v[2:5], off, off offset:112
	scratch_load_b128 v[6:9], off, off offset:128
	;; [unrolled: 1-line block ×9, first 2 shown]
	ds_load_b128 v[42:45], v1 offset:800
	ds_load_b128 v[38:41], v1 offset:816
	s_clause 0x1
	scratch_load_b128 v[176:179], off, off offset:96
	scratch_load_b128 v[180:183], off, off offset:256
	s_mov_b32 s2, exec_lo
	s_waitcnt vmcnt(10) lgkmcnt(1)
	v_mul_f64 v[184:185], v[44:45], v[4:5]
	v_mul_f64 v[4:5], v[42:43], v[4:5]
	s_waitcnt vmcnt(9) lgkmcnt(0)
	v_mul_f64 v[188:189], v[38:39], v[8:9]
	v_mul_f64 v[8:9], v[40:41], v[8:9]
	s_delay_alu instid0(VALU_DEP_4) | instskip(NEXT) | instid1(VALU_DEP_4)
	v_fma_f64 v[190:191], v[42:43], v[2:3], -v[184:185]
	v_fma_f64 v[192:193], v[44:45], v[2:3], v[4:5]
	ds_load_b128 v[2:5], v1 offset:832
	ds_load_b128 v[184:187], v1 offset:848
	scratch_load_b128 v[42:45], off, off offset:272
	v_fma_f64 v[40:41], v[40:41], v[6:7], v[188:189]
	v_fma_f64 v[38:39], v[38:39], v[6:7], -v[8:9]
	scratch_load_b128 v[6:9], off, off offset:288
	s_waitcnt vmcnt(10) lgkmcnt(1)
	v_mul_f64 v[194:195], v[2:3], v[12:13]
	v_mul_f64 v[12:13], v[4:5], v[12:13]
	v_add_f64 v[188:189], v[190:191], 0
	v_add_f64 v[190:191], v[192:193], 0
	s_waitcnt vmcnt(9) lgkmcnt(0)
	v_mul_f64 v[192:193], v[184:185], v[16:17]
	v_mul_f64 v[16:17], v[186:187], v[16:17]
	v_fma_f64 v[194:195], v[4:5], v[10:11], v[194:195]
	v_fma_f64 v[196:197], v[2:3], v[10:11], -v[12:13]
	ds_load_b128 v[2:5], v1 offset:864
	scratch_load_b128 v[10:13], off, off offset:304
	v_add_f64 v[188:189], v[188:189], v[38:39]
	v_add_f64 v[190:191], v[190:191], v[40:41]
	ds_load_b128 v[38:41], v1 offset:880
	v_fma_f64 v[186:187], v[186:187], v[14:15], v[192:193]
	v_fma_f64 v[184:185], v[184:185], v[14:15], -v[16:17]
	scratch_load_b128 v[14:17], off, off offset:320
	s_waitcnt vmcnt(10) lgkmcnt(1)
	v_mul_f64 v[198:199], v[2:3], v[20:21]
	v_mul_f64 v[20:21], v[4:5], v[20:21]
	s_waitcnt vmcnt(9) lgkmcnt(0)
	v_mul_f64 v[192:193], v[38:39], v[24:25]
	v_mul_f64 v[24:25], v[40:41], v[24:25]
	v_add_f64 v[188:189], v[188:189], v[196:197]
	v_add_f64 v[190:191], v[190:191], v[194:195]
	v_fma_f64 v[194:195], v[4:5], v[18:19], v[198:199]
	v_fma_f64 v[196:197], v[2:3], v[18:19], -v[20:21]
	ds_load_b128 v[2:5], v1 offset:896
	scratch_load_b128 v[18:21], off, off offset:336
	v_fma_f64 v[40:41], v[40:41], v[22:23], v[192:193]
	v_fma_f64 v[38:39], v[38:39], v[22:23], -v[24:25]
	scratch_load_b128 v[22:25], off, off offset:352
	v_add_f64 v[188:189], v[188:189], v[184:185]
	v_add_f64 v[190:191], v[190:191], v[186:187]
	ds_load_b128 v[184:187], v1 offset:912
	s_waitcnt vmcnt(10) lgkmcnt(1)
	v_mul_f64 v[198:199], v[2:3], v[28:29]
	v_mul_f64 v[28:29], v[4:5], v[28:29]
	s_waitcnt vmcnt(9) lgkmcnt(0)
	v_mul_f64 v[192:193], v[184:185], v[32:33]
	v_mul_f64 v[32:33], v[186:187], v[32:33]
	v_add_f64 v[188:189], v[188:189], v[196:197]
	v_add_f64 v[190:191], v[190:191], v[194:195]
	v_fma_f64 v[194:195], v[4:5], v[26:27], v[198:199]
	v_fma_f64 v[196:197], v[2:3], v[26:27], -v[28:29]
	ds_load_b128 v[2:5], v1 offset:928
	scratch_load_b128 v[26:29], off, off offset:368
	v_fma_f64 v[186:187], v[186:187], v[30:31], v[192:193]
	v_fma_f64 v[184:185], v[184:185], v[30:31], -v[32:33]
	scratch_load_b128 v[30:33], off, off offset:384
	v_add_f64 v[188:189], v[188:189], v[38:39]
	v_add_f64 v[190:191], v[190:191], v[40:41]
	ds_load_b128 v[38:41], v1 offset:944
	s_waitcnt vmcnt(10) lgkmcnt(1)
	v_mul_f64 v[198:199], v[2:3], v[36:37]
	v_mul_f64 v[36:37], v[4:5], v[36:37]
	s_waitcnt vmcnt(8) lgkmcnt(0)
	v_mul_f64 v[192:193], v[38:39], v[182:183]
	v_add_f64 v[188:189], v[188:189], v[196:197]
	v_add_f64 v[190:191], v[190:191], v[194:195]
	v_mul_f64 v[194:195], v[40:41], v[182:183]
	v_fma_f64 v[196:197], v[4:5], v[34:35], v[198:199]
	v_fma_f64 v[198:199], v[2:3], v[34:35], -v[36:37]
	ds_load_b128 v[2:5], v1 offset:960
	scratch_load_b128 v[34:37], off, off offset:400
	v_fma_f64 v[192:193], v[40:41], v[180:181], v[192:193]
	v_add_f64 v[188:189], v[188:189], v[184:185]
	v_add_f64 v[186:187], v[190:191], v[186:187]
	ds_load_b128 v[182:185], v1 offset:976
	v_fma_f64 v[180:181], v[38:39], v[180:181], -v[194:195]
	scratch_load_b128 v[38:41], off, off offset:416
	s_waitcnt vmcnt(9) lgkmcnt(1)
	v_mul_f64 v[190:191], v[2:3], v[44:45]
	v_mul_f64 v[44:45], v[4:5], v[44:45]
	s_waitcnt vmcnt(8) lgkmcnt(0)
	v_mul_f64 v[194:195], v[182:183], v[8:9]
	v_mul_f64 v[8:9], v[184:185], v[8:9]
	v_add_f64 v[188:189], v[188:189], v[198:199]
	v_add_f64 v[186:187], v[186:187], v[196:197]
	v_fma_f64 v[190:191], v[4:5], v[42:43], v[190:191]
	v_fma_f64 v[196:197], v[2:3], v[42:43], -v[44:45]
	ds_load_b128 v[2:5], v1 offset:992
	scratch_load_b128 v[42:45], off, off offset:432
	v_fma_f64 v[184:185], v[184:185], v[6:7], v[194:195]
	v_fma_f64 v[182:183], v[182:183], v[6:7], -v[8:9]
	scratch_load_b128 v[6:9], off, off offset:448
	v_add_f64 v[180:181], v[188:189], v[180:181]
	v_add_f64 v[192:193], v[186:187], v[192:193]
	ds_load_b128 v[186:189], v1 offset:1008
	s_waitcnt vmcnt(9) lgkmcnt(1)
	v_mul_f64 v[198:199], v[2:3], v[12:13]
	v_mul_f64 v[12:13], v[4:5], v[12:13]
	v_add_f64 v[180:181], v[180:181], v[196:197]
	v_add_f64 v[190:191], v[192:193], v[190:191]
	s_waitcnt vmcnt(8) lgkmcnt(0)
	v_mul_f64 v[192:193], v[186:187], v[16:17]
	v_mul_f64 v[16:17], v[188:189], v[16:17]
	v_fma_f64 v[194:195], v[4:5], v[10:11], v[198:199]
	v_fma_f64 v[196:197], v[2:3], v[10:11], -v[12:13]
	ds_load_b128 v[2:5], v1 offset:1024
	scratch_load_b128 v[10:13], off, off offset:464
	v_add_f64 v[198:199], v[180:181], v[182:183]
	v_add_f64 v[184:185], v[190:191], v[184:185]
	ds_load_b128 v[180:183], v1 offset:1040
	s_waitcnt vmcnt(8) lgkmcnt(1)
	v_mul_f64 v[190:191], v[2:3], v[20:21]
	v_mul_f64 v[20:21], v[4:5], v[20:21]
	v_fma_f64 v[188:189], v[188:189], v[14:15], v[192:193]
	v_fma_f64 v[186:187], v[186:187], v[14:15], -v[16:17]
	scratch_load_b128 v[14:17], off, off offset:480
	v_add_f64 v[192:193], v[198:199], v[196:197]
	v_add_f64 v[184:185], v[184:185], v[194:195]
	s_waitcnt vmcnt(8) lgkmcnt(0)
	v_mul_f64 v[194:195], v[180:181], v[24:25]
	v_mul_f64 v[24:25], v[182:183], v[24:25]
	v_fma_f64 v[190:191], v[4:5], v[18:19], v[190:191]
	v_fma_f64 v[196:197], v[2:3], v[18:19], -v[20:21]
	ds_load_b128 v[2:5], v1 offset:1056
	scratch_load_b128 v[18:21], off, off offset:496
	v_add_f64 v[192:193], v[192:193], v[186:187]
	v_add_f64 v[188:189], v[184:185], v[188:189]
	ds_load_b128 v[184:187], v1 offset:1072
	s_waitcnt vmcnt(8) lgkmcnt(1)
	v_mul_f64 v[198:199], v[2:3], v[28:29]
	v_mul_f64 v[28:29], v[4:5], v[28:29]
	v_fma_f64 v[182:183], v[182:183], v[22:23], v[194:195]
	v_fma_f64 v[180:181], v[180:181], v[22:23], -v[24:25]
	scratch_load_b128 v[22:25], off, off offset:512
	;; [unrolled: 18-line block ×4, first 2 shown]
	s_waitcnt vmcnt(8) lgkmcnt(0)
	v_mul_f64 v[192:193], v[184:185], v[8:9]
	v_mul_f64 v[8:9], v[186:187], v[8:9]
	v_add_f64 v[190:191], v[190:191], v[196:197]
	v_add_f64 v[188:189], v[188:189], v[194:195]
	v_fma_f64 v[194:195], v[4:5], v[42:43], v[198:199]
	v_fma_f64 v[196:197], v[2:3], v[42:43], -v[44:45]
	ds_load_b128 v[2:5], v1 offset:1152
	scratch_load_b128 v[42:45], off, off offset:592
	v_fma_f64 v[186:187], v[186:187], v[6:7], v[192:193]
	v_fma_f64 v[184:185], v[184:185], v[6:7], -v[8:9]
	scratch_load_b128 v[6:9], off, off offset:608
	v_add_f64 v[190:191], v[190:191], v[180:181]
	v_add_f64 v[188:189], v[188:189], v[182:183]
	ds_load_b128 v[180:183], v1 offset:1168
	s_waitcnt vmcnt(9) lgkmcnt(1)
	v_mul_f64 v[198:199], v[2:3], v[12:13]
	v_mul_f64 v[12:13], v[4:5], v[12:13]
	s_waitcnt vmcnt(8) lgkmcnt(0)
	v_mul_f64 v[192:193], v[180:181], v[16:17]
	v_mul_f64 v[16:17], v[182:183], v[16:17]
	v_add_f64 v[190:191], v[190:191], v[196:197]
	v_add_f64 v[188:189], v[188:189], v[194:195]
	v_fma_f64 v[194:195], v[4:5], v[10:11], v[198:199]
	v_fma_f64 v[196:197], v[2:3], v[10:11], -v[12:13]
	ds_load_b128 v[2:5], v1 offset:1184
	scratch_load_b128 v[10:13], off, off offset:624
	v_fma_f64 v[182:183], v[182:183], v[14:15], v[192:193]
	v_fma_f64 v[180:181], v[180:181], v[14:15], -v[16:17]
	scratch_load_b128 v[14:17], off, off offset:640
	v_add_f64 v[190:191], v[190:191], v[184:185]
	v_add_f64 v[188:189], v[188:189], v[186:187]
	ds_load_b128 v[184:187], v1 offset:1200
	s_waitcnt vmcnt(9) lgkmcnt(1)
	v_mul_f64 v[198:199], v[2:3], v[20:21]
	v_mul_f64 v[20:21], v[4:5], v[20:21]
	;; [unrolled: 18-line block ×3, first 2 shown]
	s_waitcnt vmcnt(8) lgkmcnt(0)
	v_mul_f64 v[192:193], v[180:181], v[32:33]
	v_mul_f64 v[32:33], v[182:183], v[32:33]
	v_add_f64 v[190:191], v[190:191], v[196:197]
	v_add_f64 v[188:189], v[188:189], v[194:195]
	v_fma_f64 v[194:195], v[4:5], v[26:27], v[198:199]
	v_fma_f64 v[196:197], v[2:3], v[26:27], -v[28:29]
	ds_load_b128 v[2:5], v1 offset:1248
	ds_load_b128 v[26:29], v1 offset:1264
	v_fma_f64 v[182:183], v[182:183], v[30:31], v[192:193]
	v_fma_f64 v[30:31], v[180:181], v[30:31], -v[32:33]
	v_add_f64 v[184:185], v[190:191], v[184:185]
	v_add_f64 v[186:187], v[188:189], v[186:187]
	s_waitcnt vmcnt(7) lgkmcnt(1)
	v_mul_f64 v[188:189], v[2:3], v[36:37]
	v_mul_f64 v[36:37], v[4:5], v[36:37]
	s_delay_alu instid0(VALU_DEP_4) | instskip(NEXT) | instid1(VALU_DEP_4)
	v_add_f64 v[32:33], v[184:185], v[196:197]
	v_add_f64 v[180:181], v[186:187], v[194:195]
	s_waitcnt vmcnt(6) lgkmcnt(0)
	v_mul_f64 v[184:185], v[26:27], v[40:41]
	v_mul_f64 v[40:41], v[28:29], v[40:41]
	v_fma_f64 v[186:187], v[4:5], v[34:35], v[188:189]
	v_fma_f64 v[34:35], v[2:3], v[34:35], -v[36:37]
	v_add_f64 v[36:37], v[32:33], v[30:31]
	v_add_f64 v[180:181], v[180:181], v[182:183]
	ds_load_b128 v[2:5], v1 offset:1280
	ds_load_b128 v[30:33], v1 offset:1296
	v_fma_f64 v[28:29], v[28:29], v[38:39], v[184:185]
	v_fma_f64 v[26:27], v[26:27], v[38:39], -v[40:41]
	s_waitcnt vmcnt(5) lgkmcnt(1)
	v_mul_f64 v[182:183], v[2:3], v[44:45]
	v_mul_f64 v[44:45], v[4:5], v[44:45]
	s_waitcnt vmcnt(4) lgkmcnt(0)
	v_mul_f64 v[38:39], v[30:31], v[8:9]
	v_mul_f64 v[8:9], v[32:33], v[8:9]
	v_add_f64 v[34:35], v[36:37], v[34:35]
	v_add_f64 v[36:37], v[180:181], v[186:187]
	v_fma_f64 v[40:41], v[4:5], v[42:43], v[182:183]
	v_fma_f64 v[42:43], v[2:3], v[42:43], -v[44:45]
	v_fma_f64 v[32:33], v[32:33], v[6:7], v[38:39]
	v_fma_f64 v[6:7], v[30:31], v[6:7], -v[8:9]
	v_add_f64 v[34:35], v[34:35], v[26:27]
	v_add_f64 v[36:37], v[36:37], v[28:29]
	ds_load_b128 v[2:5], v1 offset:1312
	ds_load_b128 v[26:29], v1 offset:1328
	s_waitcnt vmcnt(3) lgkmcnt(1)
	v_mul_f64 v[44:45], v[2:3], v[12:13]
	v_mul_f64 v[12:13], v[4:5], v[12:13]
	v_add_f64 v[8:9], v[34:35], v[42:43]
	v_add_f64 v[30:31], v[36:37], v[40:41]
	s_waitcnt vmcnt(2) lgkmcnt(0)
	v_mul_f64 v[34:35], v[26:27], v[16:17]
	v_mul_f64 v[16:17], v[28:29], v[16:17]
	v_fma_f64 v[36:37], v[4:5], v[10:11], v[44:45]
	v_fma_f64 v[10:11], v[2:3], v[10:11], -v[12:13]
	v_add_f64 v[12:13], v[8:9], v[6:7]
	v_add_f64 v[30:31], v[30:31], v[32:33]
	ds_load_b128 v[2:5], v1 offset:1344
	ds_load_b128 v[6:9], v1 offset:1360
	v_fma_f64 v[28:29], v[28:29], v[14:15], v[34:35]
	v_fma_f64 v[14:15], v[26:27], v[14:15], -v[16:17]
	s_waitcnt vmcnt(1) lgkmcnt(1)
	v_mul_f64 v[32:33], v[2:3], v[20:21]
	v_mul_f64 v[20:21], v[4:5], v[20:21]
	s_waitcnt vmcnt(0) lgkmcnt(0)
	v_mul_f64 v[16:17], v[6:7], v[24:25]
	v_mul_f64 v[24:25], v[8:9], v[24:25]
	v_add_f64 v[10:11], v[12:13], v[10:11]
	v_add_f64 v[12:13], v[30:31], v[36:37]
	v_fma_f64 v[4:5], v[4:5], v[18:19], v[32:33]
	v_fma_f64 v[1:2], v[2:3], v[18:19], -v[20:21]
	v_fma_f64 v[8:9], v[8:9], v[22:23], v[16:17]
	v_fma_f64 v[6:7], v[6:7], v[22:23], -v[24:25]
	v_add_f64 v[10:11], v[10:11], v[14:15]
	v_add_f64 v[12:13], v[12:13], v[28:29]
	s_delay_alu instid0(VALU_DEP_2) | instskip(NEXT) | instid1(VALU_DEP_2)
	v_add_f64 v[1:2], v[10:11], v[1:2]
	v_add_f64 v[3:4], v[12:13], v[4:5]
	s_delay_alu instid0(VALU_DEP_2) | instskip(NEXT) | instid1(VALU_DEP_2)
	;; [unrolled: 3-line block ×3, first 2 shown]
	v_add_f64 v[1:2], v[176:177], -v[1:2]
	v_add_f64 v[3:4], v[178:179], -v[3:4]
	scratch_store_b128 off, v[1:4], off offset:96
	v_cmpx_lt_u32_e32 5, v132
	s_cbranch_execz .LBB42_261
; %bb.260:
	scratch_load_b128 v[1:4], v174, off
	v_mov_b32_e32 v5, 0
	s_delay_alu instid0(VALU_DEP_1)
	v_mov_b32_e32 v6, v5
	v_mov_b32_e32 v7, v5
	;; [unrolled: 1-line block ×3, first 2 shown]
	scratch_store_b128 off, v[5:8], off offset:80
	s_waitcnt vmcnt(0)
	ds_store_b128 v175, v[1:4]
.LBB42_261:
	s_or_b32 exec_lo, exec_lo, s2
	s_waitcnt lgkmcnt(0)
	s_waitcnt_vscnt null, 0x0
	s_barrier
	buffer_gl0_inv
	s_clause 0x7
	scratch_load_b128 v[2:5], off, off offset:96
	scratch_load_b128 v[6:9], off, off offset:112
	scratch_load_b128 v[10:13], off, off offset:128
	scratch_load_b128 v[14:17], off, off offset:144
	scratch_load_b128 v[18:21], off, off offset:160
	scratch_load_b128 v[22:25], off, off offset:176
	scratch_load_b128 v[26:29], off, off offset:192
	scratch_load_b128 v[30:33], off, off offset:208
	v_mov_b32_e32 v1, 0
	s_mov_b32 s2, exec_lo
	ds_load_b128 v[38:41], v1 offset:784
	s_clause 0x1
	scratch_load_b128 v[34:37], off, off offset:224
	scratch_load_b128 v[42:45], off, off offset:80
	ds_load_b128 v[176:179], v1 offset:800
	scratch_load_b128 v[180:183], off, off offset:240
	s_waitcnt vmcnt(10) lgkmcnt(1)
	v_mul_f64 v[184:185], v[40:41], v[4:5]
	v_mul_f64 v[4:5], v[38:39], v[4:5]
	s_delay_alu instid0(VALU_DEP_2) | instskip(NEXT) | instid1(VALU_DEP_2)
	v_fma_f64 v[190:191], v[38:39], v[2:3], -v[184:185]
	v_fma_f64 v[192:193], v[40:41], v[2:3], v[4:5]
	scratch_load_b128 v[38:41], off, off offset:256
	ds_load_b128 v[2:5], v1 offset:816
	s_waitcnt vmcnt(10) lgkmcnt(1)
	v_mul_f64 v[188:189], v[176:177], v[8:9]
	v_mul_f64 v[8:9], v[178:179], v[8:9]
	ds_load_b128 v[184:187], v1 offset:832
	s_waitcnt vmcnt(9) lgkmcnt(1)
	v_mul_f64 v[194:195], v[2:3], v[12:13]
	v_mul_f64 v[12:13], v[4:5], v[12:13]
	v_fma_f64 v[178:179], v[178:179], v[6:7], v[188:189]
	v_fma_f64 v[176:177], v[176:177], v[6:7], -v[8:9]
	v_add_f64 v[188:189], v[190:191], 0
	v_add_f64 v[190:191], v[192:193], 0
	scratch_load_b128 v[6:9], off, off offset:272
	v_fma_f64 v[194:195], v[4:5], v[10:11], v[194:195]
	v_fma_f64 v[196:197], v[2:3], v[10:11], -v[12:13]
	scratch_load_b128 v[10:13], off, off offset:288
	ds_load_b128 v[2:5], v1 offset:848
	s_waitcnt vmcnt(10) lgkmcnt(1)
	v_mul_f64 v[192:193], v[184:185], v[16:17]
	v_mul_f64 v[16:17], v[186:187], v[16:17]
	v_add_f64 v[188:189], v[188:189], v[176:177]
	v_add_f64 v[190:191], v[190:191], v[178:179]
	s_waitcnt vmcnt(9) lgkmcnt(0)
	v_mul_f64 v[198:199], v[2:3], v[20:21]
	v_mul_f64 v[20:21], v[4:5], v[20:21]
	ds_load_b128 v[176:179], v1 offset:864
	v_fma_f64 v[186:187], v[186:187], v[14:15], v[192:193]
	v_fma_f64 v[184:185], v[184:185], v[14:15], -v[16:17]
	scratch_load_b128 v[14:17], off, off offset:304
	v_add_f64 v[188:189], v[188:189], v[196:197]
	v_add_f64 v[190:191], v[190:191], v[194:195]
	v_fma_f64 v[194:195], v[4:5], v[18:19], v[198:199]
	v_fma_f64 v[196:197], v[2:3], v[18:19], -v[20:21]
	scratch_load_b128 v[18:21], off, off offset:320
	ds_load_b128 v[2:5], v1 offset:880
	s_waitcnt vmcnt(10) lgkmcnt(1)
	v_mul_f64 v[192:193], v[176:177], v[24:25]
	v_mul_f64 v[24:25], v[178:179], v[24:25]
	s_waitcnt vmcnt(9) lgkmcnt(0)
	v_mul_f64 v[198:199], v[2:3], v[28:29]
	v_mul_f64 v[28:29], v[4:5], v[28:29]
	v_add_f64 v[188:189], v[188:189], v[184:185]
	v_add_f64 v[190:191], v[190:191], v[186:187]
	ds_load_b128 v[184:187], v1 offset:896
	v_fma_f64 v[178:179], v[178:179], v[22:23], v[192:193]
	v_fma_f64 v[176:177], v[176:177], v[22:23], -v[24:25]
	scratch_load_b128 v[22:25], off, off offset:336
	v_add_f64 v[188:189], v[188:189], v[196:197]
	v_add_f64 v[190:191], v[190:191], v[194:195]
	v_fma_f64 v[194:195], v[4:5], v[26:27], v[198:199]
	v_fma_f64 v[196:197], v[2:3], v[26:27], -v[28:29]
	scratch_load_b128 v[26:29], off, off offset:352
	ds_load_b128 v[2:5], v1 offset:912
	s_waitcnt vmcnt(10) lgkmcnt(1)
	v_mul_f64 v[192:193], v[184:185], v[32:33]
	v_mul_f64 v[32:33], v[186:187], v[32:33]
	s_waitcnt vmcnt(9) lgkmcnt(0)
	v_mul_f64 v[198:199], v[2:3], v[36:37]
	v_mul_f64 v[36:37], v[4:5], v[36:37]
	v_add_f64 v[188:189], v[188:189], v[176:177]
	v_add_f64 v[190:191], v[190:191], v[178:179]
	ds_load_b128 v[176:179], v1 offset:928
	v_fma_f64 v[186:187], v[186:187], v[30:31], v[192:193]
	v_fma_f64 v[184:185], v[184:185], v[30:31], -v[32:33]
	scratch_load_b128 v[30:33], off, off offset:368
	v_add_f64 v[188:189], v[188:189], v[196:197]
	v_add_f64 v[190:191], v[190:191], v[194:195]
	v_fma_f64 v[196:197], v[4:5], v[34:35], v[198:199]
	v_fma_f64 v[198:199], v[2:3], v[34:35], -v[36:37]
	scratch_load_b128 v[34:37], off, off offset:384
	ds_load_b128 v[2:5], v1 offset:944
	s_waitcnt vmcnt(9) lgkmcnt(1)
	v_mul_f64 v[192:193], v[176:177], v[182:183]
	v_mul_f64 v[194:195], v[178:179], v[182:183]
	v_add_f64 v[188:189], v[188:189], v[184:185]
	v_add_f64 v[186:187], v[190:191], v[186:187]
	ds_load_b128 v[182:185], v1 offset:960
	v_fma_f64 v[192:193], v[178:179], v[180:181], v[192:193]
	v_fma_f64 v[180:181], v[176:177], v[180:181], -v[194:195]
	scratch_load_b128 v[176:179], off, off offset:400
	s_waitcnt vmcnt(9) lgkmcnt(1)
	v_mul_f64 v[190:191], v[2:3], v[40:41]
	v_mul_f64 v[40:41], v[4:5], v[40:41]
	v_add_f64 v[188:189], v[188:189], v[198:199]
	v_add_f64 v[186:187], v[186:187], v[196:197]
	s_delay_alu instid0(VALU_DEP_4) | instskip(NEXT) | instid1(VALU_DEP_4)
	v_fma_f64 v[190:191], v[4:5], v[38:39], v[190:191]
	v_fma_f64 v[196:197], v[2:3], v[38:39], -v[40:41]
	scratch_load_b128 v[38:41], off, off offset:416
	ds_load_b128 v[2:5], v1 offset:976
	s_waitcnt vmcnt(9) lgkmcnt(1)
	v_mul_f64 v[194:195], v[182:183], v[8:9]
	v_mul_f64 v[8:9], v[184:185], v[8:9]
	s_waitcnt vmcnt(8) lgkmcnt(0)
	v_mul_f64 v[198:199], v[2:3], v[12:13]
	v_mul_f64 v[12:13], v[4:5], v[12:13]
	v_add_f64 v[180:181], v[188:189], v[180:181]
	v_add_f64 v[192:193], v[186:187], v[192:193]
	ds_load_b128 v[186:189], v1 offset:992
	v_fma_f64 v[184:185], v[184:185], v[6:7], v[194:195]
	v_fma_f64 v[182:183], v[182:183], v[6:7], -v[8:9]
	scratch_load_b128 v[6:9], off, off offset:432
	v_fma_f64 v[194:195], v[4:5], v[10:11], v[198:199]
	v_add_f64 v[180:181], v[180:181], v[196:197]
	v_add_f64 v[190:191], v[192:193], v[190:191]
	v_fma_f64 v[196:197], v[2:3], v[10:11], -v[12:13]
	scratch_load_b128 v[10:13], off, off offset:448
	ds_load_b128 v[2:5], v1 offset:1008
	s_waitcnt vmcnt(9) lgkmcnt(1)
	v_mul_f64 v[192:193], v[186:187], v[16:17]
	v_mul_f64 v[16:17], v[188:189], v[16:17]
	v_add_f64 v[198:199], v[180:181], v[182:183]
	v_add_f64 v[184:185], v[190:191], v[184:185]
	s_waitcnt vmcnt(8) lgkmcnt(0)
	v_mul_f64 v[190:191], v[2:3], v[20:21]
	v_mul_f64 v[20:21], v[4:5], v[20:21]
	ds_load_b128 v[180:183], v1 offset:1024
	v_fma_f64 v[188:189], v[188:189], v[14:15], v[192:193]
	v_fma_f64 v[186:187], v[186:187], v[14:15], -v[16:17]
	scratch_load_b128 v[14:17], off, off offset:464
	v_add_f64 v[192:193], v[198:199], v[196:197]
	v_add_f64 v[184:185], v[184:185], v[194:195]
	v_fma_f64 v[190:191], v[4:5], v[18:19], v[190:191]
	v_fma_f64 v[196:197], v[2:3], v[18:19], -v[20:21]
	scratch_load_b128 v[18:21], off, off offset:480
	ds_load_b128 v[2:5], v1 offset:1040
	s_waitcnt vmcnt(9) lgkmcnt(1)
	v_mul_f64 v[194:195], v[180:181], v[24:25]
	v_mul_f64 v[24:25], v[182:183], v[24:25]
	s_waitcnt vmcnt(8) lgkmcnt(0)
	v_mul_f64 v[198:199], v[2:3], v[28:29]
	v_mul_f64 v[28:29], v[4:5], v[28:29]
	v_add_f64 v[192:193], v[192:193], v[186:187]
	v_add_f64 v[188:189], v[184:185], v[188:189]
	ds_load_b128 v[184:187], v1 offset:1056
	v_fma_f64 v[182:183], v[182:183], v[22:23], v[194:195]
	v_fma_f64 v[180:181], v[180:181], v[22:23], -v[24:25]
	scratch_load_b128 v[22:25], off, off offset:496
	v_fma_f64 v[194:195], v[4:5], v[26:27], v[198:199]
	v_add_f64 v[192:193], v[192:193], v[196:197]
	v_add_f64 v[188:189], v[188:189], v[190:191]
	v_fma_f64 v[196:197], v[2:3], v[26:27], -v[28:29]
	scratch_load_b128 v[26:29], off, off offset:512
	ds_load_b128 v[2:5], v1 offset:1072
	s_waitcnt vmcnt(9) lgkmcnt(1)
	v_mul_f64 v[190:191], v[184:185], v[32:33]
	v_mul_f64 v[32:33], v[186:187], v[32:33]
	s_waitcnt vmcnt(8) lgkmcnt(0)
	v_mul_f64 v[198:199], v[2:3], v[36:37]
	v_mul_f64 v[36:37], v[4:5], v[36:37]
	v_add_f64 v[192:193], v[192:193], v[180:181]
	v_add_f64 v[188:189], v[188:189], v[182:183]
	ds_load_b128 v[180:183], v1 offset:1088
	v_fma_f64 v[186:187], v[186:187], v[30:31], v[190:191]
	v_fma_f64 v[184:185], v[184:185], v[30:31], -v[32:33]
	scratch_load_b128 v[30:33], off, off offset:528
	v_add_f64 v[190:191], v[192:193], v[196:197]
	v_add_f64 v[188:189], v[188:189], v[194:195]
	v_fma_f64 v[194:195], v[4:5], v[34:35], v[198:199]
	v_fma_f64 v[196:197], v[2:3], v[34:35], -v[36:37]
	scratch_load_b128 v[34:37], off, off offset:544
	ds_load_b128 v[2:5], v1 offset:1104
	s_waitcnt vmcnt(9) lgkmcnt(1)
	v_mul_f64 v[192:193], v[180:181], v[178:179]
	v_mul_f64 v[178:179], v[182:183], v[178:179]
	s_waitcnt vmcnt(8) lgkmcnt(0)
	v_mul_f64 v[198:199], v[2:3], v[40:41]
	v_mul_f64 v[40:41], v[4:5], v[40:41]
	v_add_f64 v[190:191], v[190:191], v[184:185]
	v_add_f64 v[188:189], v[188:189], v[186:187]
	ds_load_b128 v[184:187], v1 offset:1120
	v_fma_f64 v[182:183], v[182:183], v[176:177], v[192:193]
	v_fma_f64 v[180:181], v[180:181], v[176:177], -v[178:179]
	scratch_load_b128 v[176:179], off, off offset:560
	v_add_f64 v[190:191], v[190:191], v[196:197]
	v_add_f64 v[188:189], v[188:189], v[194:195]
	v_fma_f64 v[194:195], v[4:5], v[38:39], v[198:199]
	v_fma_f64 v[196:197], v[2:3], v[38:39], -v[40:41]
	scratch_load_b128 v[38:41], off, off offset:576
	ds_load_b128 v[2:5], v1 offset:1136
	s_waitcnt vmcnt(9) lgkmcnt(1)
	v_mul_f64 v[192:193], v[184:185], v[8:9]
	v_mul_f64 v[8:9], v[186:187], v[8:9]
	s_waitcnt vmcnt(8) lgkmcnt(0)
	v_mul_f64 v[198:199], v[2:3], v[12:13]
	v_mul_f64 v[12:13], v[4:5], v[12:13]
	v_add_f64 v[190:191], v[190:191], v[180:181]
	v_add_f64 v[188:189], v[188:189], v[182:183]
	ds_load_b128 v[180:183], v1 offset:1152
	v_fma_f64 v[186:187], v[186:187], v[6:7], v[192:193]
	v_fma_f64 v[184:185], v[184:185], v[6:7], -v[8:9]
	scratch_load_b128 v[6:9], off, off offset:592
	v_add_f64 v[190:191], v[190:191], v[196:197]
	v_add_f64 v[188:189], v[188:189], v[194:195]
	v_fma_f64 v[194:195], v[4:5], v[10:11], v[198:199]
	v_fma_f64 v[196:197], v[2:3], v[10:11], -v[12:13]
	scratch_load_b128 v[10:13], off, off offset:608
	ds_load_b128 v[2:5], v1 offset:1168
	s_waitcnt vmcnt(9) lgkmcnt(1)
	v_mul_f64 v[192:193], v[180:181], v[16:17]
	v_mul_f64 v[16:17], v[182:183], v[16:17]
	s_waitcnt vmcnt(8) lgkmcnt(0)
	v_mul_f64 v[198:199], v[2:3], v[20:21]
	v_mul_f64 v[20:21], v[4:5], v[20:21]
	v_add_f64 v[190:191], v[190:191], v[184:185]
	v_add_f64 v[188:189], v[188:189], v[186:187]
	ds_load_b128 v[184:187], v1 offset:1184
	v_fma_f64 v[182:183], v[182:183], v[14:15], v[192:193]
	v_fma_f64 v[180:181], v[180:181], v[14:15], -v[16:17]
	scratch_load_b128 v[14:17], off, off offset:624
	v_add_f64 v[190:191], v[190:191], v[196:197]
	v_add_f64 v[188:189], v[188:189], v[194:195]
	v_fma_f64 v[194:195], v[4:5], v[18:19], v[198:199]
	v_fma_f64 v[196:197], v[2:3], v[18:19], -v[20:21]
	scratch_load_b128 v[18:21], off, off offset:640
	ds_load_b128 v[2:5], v1 offset:1200
	s_waitcnt vmcnt(9) lgkmcnt(1)
	v_mul_f64 v[192:193], v[184:185], v[24:25]
	v_mul_f64 v[24:25], v[186:187], v[24:25]
	s_waitcnt vmcnt(8) lgkmcnt(0)
	v_mul_f64 v[198:199], v[2:3], v[28:29]
	v_mul_f64 v[28:29], v[4:5], v[28:29]
	v_add_f64 v[190:191], v[190:191], v[180:181]
	v_add_f64 v[188:189], v[188:189], v[182:183]
	ds_load_b128 v[180:183], v1 offset:1216
	v_fma_f64 v[186:187], v[186:187], v[22:23], v[192:193]
	v_fma_f64 v[184:185], v[184:185], v[22:23], -v[24:25]
	scratch_load_b128 v[22:25], off, off offset:656
	v_add_f64 v[190:191], v[190:191], v[196:197]
	v_add_f64 v[188:189], v[188:189], v[194:195]
	v_fma_f64 v[194:195], v[4:5], v[26:27], v[198:199]
	v_fma_f64 v[196:197], v[2:3], v[26:27], -v[28:29]
	scratch_load_b128 v[26:29], off, off offset:672
	ds_load_b128 v[2:5], v1 offset:1232
	s_waitcnt vmcnt(9) lgkmcnt(1)
	v_mul_f64 v[192:193], v[180:181], v[32:33]
	v_mul_f64 v[32:33], v[182:183], v[32:33]
	s_waitcnt vmcnt(8) lgkmcnt(0)
	v_mul_f64 v[198:199], v[2:3], v[36:37]
	v_mul_f64 v[36:37], v[4:5], v[36:37]
	v_add_f64 v[190:191], v[190:191], v[184:185]
	v_add_f64 v[188:189], v[188:189], v[186:187]
	ds_load_b128 v[184:187], v1 offset:1248
	v_fma_f64 v[182:183], v[182:183], v[30:31], v[192:193]
	v_fma_f64 v[30:31], v[180:181], v[30:31], -v[32:33]
	v_add_f64 v[32:33], v[190:191], v[196:197]
	v_add_f64 v[180:181], v[188:189], v[194:195]
	s_waitcnt vmcnt(7) lgkmcnt(0)
	v_mul_f64 v[188:189], v[184:185], v[178:179]
	v_mul_f64 v[178:179], v[186:187], v[178:179]
	v_fma_f64 v[190:191], v[4:5], v[34:35], v[198:199]
	v_fma_f64 v[34:35], v[2:3], v[34:35], -v[36:37]
	v_add_f64 v[36:37], v[32:33], v[30:31]
	v_add_f64 v[180:181], v[180:181], v[182:183]
	ds_load_b128 v[2:5], v1 offset:1264
	ds_load_b128 v[30:33], v1 offset:1280
	v_fma_f64 v[186:187], v[186:187], v[176:177], v[188:189]
	v_fma_f64 v[176:177], v[184:185], v[176:177], -v[178:179]
	s_waitcnt vmcnt(6) lgkmcnt(1)
	v_mul_f64 v[182:183], v[2:3], v[40:41]
	v_mul_f64 v[40:41], v[4:5], v[40:41]
	s_waitcnt vmcnt(5) lgkmcnt(0)
	v_mul_f64 v[178:179], v[30:31], v[8:9]
	v_mul_f64 v[8:9], v[32:33], v[8:9]
	v_add_f64 v[34:35], v[36:37], v[34:35]
	v_add_f64 v[36:37], v[180:181], v[190:191]
	v_fma_f64 v[180:181], v[4:5], v[38:39], v[182:183]
	v_fma_f64 v[38:39], v[2:3], v[38:39], -v[40:41]
	v_fma_f64 v[32:33], v[32:33], v[6:7], v[178:179]
	v_fma_f64 v[6:7], v[30:31], v[6:7], -v[8:9]
	v_add_f64 v[40:41], v[34:35], v[176:177]
	v_add_f64 v[176:177], v[36:37], v[186:187]
	ds_load_b128 v[2:5], v1 offset:1296
	ds_load_b128 v[34:37], v1 offset:1312
	s_waitcnt vmcnt(4) lgkmcnt(1)
	v_mul_f64 v[182:183], v[2:3], v[12:13]
	v_mul_f64 v[12:13], v[4:5], v[12:13]
	v_add_f64 v[8:9], v[40:41], v[38:39]
	v_add_f64 v[30:31], v[176:177], v[180:181]
	s_waitcnt vmcnt(3) lgkmcnt(0)
	v_mul_f64 v[38:39], v[34:35], v[16:17]
	v_mul_f64 v[16:17], v[36:37], v[16:17]
	v_fma_f64 v[40:41], v[4:5], v[10:11], v[182:183]
	v_fma_f64 v[10:11], v[2:3], v[10:11], -v[12:13]
	v_add_f64 v[12:13], v[8:9], v[6:7]
	v_add_f64 v[30:31], v[30:31], v[32:33]
	ds_load_b128 v[2:5], v1 offset:1328
	ds_load_b128 v[6:9], v1 offset:1344
	v_fma_f64 v[36:37], v[36:37], v[14:15], v[38:39]
	v_fma_f64 v[14:15], v[34:35], v[14:15], -v[16:17]
	s_waitcnt vmcnt(2) lgkmcnt(1)
	v_mul_f64 v[32:33], v[2:3], v[20:21]
	v_mul_f64 v[20:21], v[4:5], v[20:21]
	s_waitcnt vmcnt(1) lgkmcnt(0)
	v_mul_f64 v[16:17], v[6:7], v[24:25]
	v_mul_f64 v[24:25], v[8:9], v[24:25]
	v_add_f64 v[10:11], v[12:13], v[10:11]
	v_add_f64 v[12:13], v[30:31], v[40:41]
	v_fma_f64 v[30:31], v[4:5], v[18:19], v[32:33]
	v_fma_f64 v[18:19], v[2:3], v[18:19], -v[20:21]
	ds_load_b128 v[2:5], v1 offset:1360
	v_fma_f64 v[8:9], v[8:9], v[22:23], v[16:17]
	v_fma_f64 v[6:7], v[6:7], v[22:23], -v[24:25]
	v_add_f64 v[10:11], v[10:11], v[14:15]
	v_add_f64 v[12:13], v[12:13], v[36:37]
	s_waitcnt vmcnt(0) lgkmcnt(0)
	v_mul_f64 v[14:15], v[2:3], v[28:29]
	v_mul_f64 v[20:21], v[4:5], v[28:29]
	s_delay_alu instid0(VALU_DEP_4) | instskip(NEXT) | instid1(VALU_DEP_4)
	v_add_f64 v[10:11], v[10:11], v[18:19]
	v_add_f64 v[12:13], v[12:13], v[30:31]
	s_delay_alu instid0(VALU_DEP_4) | instskip(NEXT) | instid1(VALU_DEP_4)
	v_fma_f64 v[4:5], v[4:5], v[26:27], v[14:15]
	v_fma_f64 v[2:3], v[2:3], v[26:27], -v[20:21]
	s_delay_alu instid0(VALU_DEP_4) | instskip(NEXT) | instid1(VALU_DEP_4)
	v_add_f64 v[6:7], v[10:11], v[6:7]
	v_add_f64 v[8:9], v[12:13], v[8:9]
	s_delay_alu instid0(VALU_DEP_2) | instskip(NEXT) | instid1(VALU_DEP_2)
	v_add_f64 v[2:3], v[6:7], v[2:3]
	v_add_f64 v[4:5], v[8:9], v[4:5]
	s_delay_alu instid0(VALU_DEP_2) | instskip(NEXT) | instid1(VALU_DEP_2)
	v_add_f64 v[2:3], v[42:43], -v[2:3]
	v_add_f64 v[4:5], v[44:45], -v[4:5]
	scratch_store_b128 off, v[2:5], off offset:80
	v_cmpx_lt_u32_e32 4, v132
	s_cbranch_execz .LBB42_263
; %bb.262:
	scratch_load_b128 v[5:8], v133, off
	v_mov_b32_e32 v2, v1
	v_mov_b32_e32 v3, v1
	;; [unrolled: 1-line block ×3, first 2 shown]
	scratch_store_b128 off, v[1:4], off offset:64
	s_waitcnt vmcnt(0)
	ds_store_b128 v175, v[5:8]
.LBB42_263:
	s_or_b32 exec_lo, exec_lo, s2
	s_waitcnt lgkmcnt(0)
	s_waitcnt_vscnt null, 0x0
	s_barrier
	buffer_gl0_inv
	s_clause 0x8
	scratch_load_b128 v[2:5], off, off offset:80
	scratch_load_b128 v[6:9], off, off offset:96
	;; [unrolled: 1-line block ×9, first 2 shown]
	ds_load_b128 v[42:45], v1 offset:768
	ds_load_b128 v[38:41], v1 offset:784
	s_clause 0x1
	scratch_load_b128 v[176:179], off, off offset:64
	scratch_load_b128 v[180:183], off, off offset:224
	s_mov_b32 s2, exec_lo
	s_waitcnt vmcnt(10) lgkmcnt(1)
	v_mul_f64 v[184:185], v[44:45], v[4:5]
	v_mul_f64 v[4:5], v[42:43], v[4:5]
	s_waitcnt vmcnt(9) lgkmcnt(0)
	v_mul_f64 v[188:189], v[38:39], v[8:9]
	v_mul_f64 v[8:9], v[40:41], v[8:9]
	s_delay_alu instid0(VALU_DEP_4) | instskip(NEXT) | instid1(VALU_DEP_4)
	v_fma_f64 v[190:191], v[42:43], v[2:3], -v[184:185]
	v_fma_f64 v[192:193], v[44:45], v[2:3], v[4:5]
	ds_load_b128 v[2:5], v1 offset:800
	ds_load_b128 v[184:187], v1 offset:816
	scratch_load_b128 v[42:45], off, off offset:240
	v_fma_f64 v[40:41], v[40:41], v[6:7], v[188:189]
	v_fma_f64 v[38:39], v[38:39], v[6:7], -v[8:9]
	scratch_load_b128 v[6:9], off, off offset:256
	s_waitcnt vmcnt(10) lgkmcnt(1)
	v_mul_f64 v[194:195], v[2:3], v[12:13]
	v_mul_f64 v[12:13], v[4:5], v[12:13]
	v_add_f64 v[188:189], v[190:191], 0
	v_add_f64 v[190:191], v[192:193], 0
	s_waitcnt vmcnt(9) lgkmcnt(0)
	v_mul_f64 v[192:193], v[184:185], v[16:17]
	v_mul_f64 v[16:17], v[186:187], v[16:17]
	v_fma_f64 v[194:195], v[4:5], v[10:11], v[194:195]
	v_fma_f64 v[196:197], v[2:3], v[10:11], -v[12:13]
	ds_load_b128 v[2:5], v1 offset:832
	scratch_load_b128 v[10:13], off, off offset:272
	v_add_f64 v[188:189], v[188:189], v[38:39]
	v_add_f64 v[190:191], v[190:191], v[40:41]
	ds_load_b128 v[38:41], v1 offset:848
	v_fma_f64 v[186:187], v[186:187], v[14:15], v[192:193]
	v_fma_f64 v[184:185], v[184:185], v[14:15], -v[16:17]
	scratch_load_b128 v[14:17], off, off offset:288
	s_waitcnt vmcnt(10) lgkmcnt(1)
	v_mul_f64 v[198:199], v[2:3], v[20:21]
	v_mul_f64 v[20:21], v[4:5], v[20:21]
	s_waitcnt vmcnt(9) lgkmcnt(0)
	v_mul_f64 v[192:193], v[38:39], v[24:25]
	v_mul_f64 v[24:25], v[40:41], v[24:25]
	v_add_f64 v[188:189], v[188:189], v[196:197]
	v_add_f64 v[190:191], v[190:191], v[194:195]
	v_fma_f64 v[194:195], v[4:5], v[18:19], v[198:199]
	v_fma_f64 v[196:197], v[2:3], v[18:19], -v[20:21]
	ds_load_b128 v[2:5], v1 offset:864
	scratch_load_b128 v[18:21], off, off offset:304
	v_fma_f64 v[40:41], v[40:41], v[22:23], v[192:193]
	v_fma_f64 v[38:39], v[38:39], v[22:23], -v[24:25]
	scratch_load_b128 v[22:25], off, off offset:320
	v_add_f64 v[188:189], v[188:189], v[184:185]
	v_add_f64 v[190:191], v[190:191], v[186:187]
	ds_load_b128 v[184:187], v1 offset:880
	s_waitcnt vmcnt(10) lgkmcnt(1)
	v_mul_f64 v[198:199], v[2:3], v[28:29]
	v_mul_f64 v[28:29], v[4:5], v[28:29]
	s_waitcnt vmcnt(9) lgkmcnt(0)
	v_mul_f64 v[192:193], v[184:185], v[32:33]
	v_mul_f64 v[32:33], v[186:187], v[32:33]
	v_add_f64 v[188:189], v[188:189], v[196:197]
	v_add_f64 v[190:191], v[190:191], v[194:195]
	v_fma_f64 v[194:195], v[4:5], v[26:27], v[198:199]
	v_fma_f64 v[196:197], v[2:3], v[26:27], -v[28:29]
	ds_load_b128 v[2:5], v1 offset:896
	scratch_load_b128 v[26:29], off, off offset:336
	v_fma_f64 v[186:187], v[186:187], v[30:31], v[192:193]
	v_fma_f64 v[184:185], v[184:185], v[30:31], -v[32:33]
	scratch_load_b128 v[30:33], off, off offset:352
	v_add_f64 v[188:189], v[188:189], v[38:39]
	v_add_f64 v[190:191], v[190:191], v[40:41]
	ds_load_b128 v[38:41], v1 offset:912
	s_waitcnt vmcnt(10) lgkmcnt(1)
	v_mul_f64 v[198:199], v[2:3], v[36:37]
	v_mul_f64 v[36:37], v[4:5], v[36:37]
	s_waitcnt vmcnt(8) lgkmcnt(0)
	v_mul_f64 v[192:193], v[38:39], v[182:183]
	v_add_f64 v[188:189], v[188:189], v[196:197]
	v_add_f64 v[190:191], v[190:191], v[194:195]
	v_mul_f64 v[194:195], v[40:41], v[182:183]
	v_fma_f64 v[196:197], v[4:5], v[34:35], v[198:199]
	v_fma_f64 v[198:199], v[2:3], v[34:35], -v[36:37]
	ds_load_b128 v[2:5], v1 offset:928
	scratch_load_b128 v[34:37], off, off offset:368
	v_fma_f64 v[192:193], v[40:41], v[180:181], v[192:193]
	v_add_f64 v[188:189], v[188:189], v[184:185]
	v_add_f64 v[186:187], v[190:191], v[186:187]
	ds_load_b128 v[182:185], v1 offset:944
	v_fma_f64 v[180:181], v[38:39], v[180:181], -v[194:195]
	scratch_load_b128 v[38:41], off, off offset:384
	s_waitcnt vmcnt(9) lgkmcnt(1)
	v_mul_f64 v[190:191], v[2:3], v[44:45]
	v_mul_f64 v[44:45], v[4:5], v[44:45]
	s_waitcnt vmcnt(8) lgkmcnt(0)
	v_mul_f64 v[194:195], v[182:183], v[8:9]
	v_mul_f64 v[8:9], v[184:185], v[8:9]
	v_add_f64 v[188:189], v[188:189], v[198:199]
	v_add_f64 v[186:187], v[186:187], v[196:197]
	v_fma_f64 v[190:191], v[4:5], v[42:43], v[190:191]
	v_fma_f64 v[196:197], v[2:3], v[42:43], -v[44:45]
	ds_load_b128 v[2:5], v1 offset:960
	scratch_load_b128 v[42:45], off, off offset:400
	v_fma_f64 v[184:185], v[184:185], v[6:7], v[194:195]
	v_fma_f64 v[182:183], v[182:183], v[6:7], -v[8:9]
	scratch_load_b128 v[6:9], off, off offset:416
	v_add_f64 v[180:181], v[188:189], v[180:181]
	v_add_f64 v[192:193], v[186:187], v[192:193]
	ds_load_b128 v[186:189], v1 offset:976
	s_waitcnt vmcnt(9) lgkmcnt(1)
	v_mul_f64 v[198:199], v[2:3], v[12:13]
	v_mul_f64 v[12:13], v[4:5], v[12:13]
	v_add_f64 v[180:181], v[180:181], v[196:197]
	v_add_f64 v[190:191], v[192:193], v[190:191]
	s_waitcnt vmcnt(8) lgkmcnt(0)
	v_mul_f64 v[192:193], v[186:187], v[16:17]
	v_mul_f64 v[16:17], v[188:189], v[16:17]
	v_fma_f64 v[194:195], v[4:5], v[10:11], v[198:199]
	v_fma_f64 v[196:197], v[2:3], v[10:11], -v[12:13]
	ds_load_b128 v[2:5], v1 offset:992
	scratch_load_b128 v[10:13], off, off offset:432
	v_add_f64 v[198:199], v[180:181], v[182:183]
	v_add_f64 v[184:185], v[190:191], v[184:185]
	ds_load_b128 v[180:183], v1 offset:1008
	s_waitcnt vmcnt(8) lgkmcnt(1)
	v_mul_f64 v[190:191], v[2:3], v[20:21]
	v_mul_f64 v[20:21], v[4:5], v[20:21]
	v_fma_f64 v[188:189], v[188:189], v[14:15], v[192:193]
	v_fma_f64 v[186:187], v[186:187], v[14:15], -v[16:17]
	scratch_load_b128 v[14:17], off, off offset:448
	v_add_f64 v[192:193], v[198:199], v[196:197]
	v_add_f64 v[184:185], v[184:185], v[194:195]
	s_waitcnt vmcnt(8) lgkmcnt(0)
	v_mul_f64 v[194:195], v[180:181], v[24:25]
	v_mul_f64 v[24:25], v[182:183], v[24:25]
	v_fma_f64 v[190:191], v[4:5], v[18:19], v[190:191]
	v_fma_f64 v[196:197], v[2:3], v[18:19], -v[20:21]
	ds_load_b128 v[2:5], v1 offset:1024
	scratch_load_b128 v[18:21], off, off offset:464
	v_add_f64 v[192:193], v[192:193], v[186:187]
	v_add_f64 v[188:189], v[184:185], v[188:189]
	ds_load_b128 v[184:187], v1 offset:1040
	s_waitcnt vmcnt(8) lgkmcnt(1)
	v_mul_f64 v[198:199], v[2:3], v[28:29]
	v_mul_f64 v[28:29], v[4:5], v[28:29]
	v_fma_f64 v[182:183], v[182:183], v[22:23], v[194:195]
	v_fma_f64 v[180:181], v[180:181], v[22:23], -v[24:25]
	scratch_load_b128 v[22:25], off, off offset:480
	;; [unrolled: 18-line block ×4, first 2 shown]
	s_waitcnt vmcnt(8) lgkmcnt(0)
	v_mul_f64 v[192:193], v[184:185], v[8:9]
	v_mul_f64 v[8:9], v[186:187], v[8:9]
	v_add_f64 v[190:191], v[190:191], v[196:197]
	v_add_f64 v[188:189], v[188:189], v[194:195]
	v_fma_f64 v[194:195], v[4:5], v[42:43], v[198:199]
	v_fma_f64 v[196:197], v[2:3], v[42:43], -v[44:45]
	ds_load_b128 v[2:5], v1 offset:1120
	scratch_load_b128 v[42:45], off, off offset:560
	v_fma_f64 v[186:187], v[186:187], v[6:7], v[192:193]
	v_fma_f64 v[184:185], v[184:185], v[6:7], -v[8:9]
	scratch_load_b128 v[6:9], off, off offset:576
	v_add_f64 v[190:191], v[190:191], v[180:181]
	v_add_f64 v[188:189], v[188:189], v[182:183]
	ds_load_b128 v[180:183], v1 offset:1136
	s_waitcnt vmcnt(9) lgkmcnt(1)
	v_mul_f64 v[198:199], v[2:3], v[12:13]
	v_mul_f64 v[12:13], v[4:5], v[12:13]
	s_waitcnt vmcnt(8) lgkmcnt(0)
	v_mul_f64 v[192:193], v[180:181], v[16:17]
	v_mul_f64 v[16:17], v[182:183], v[16:17]
	v_add_f64 v[190:191], v[190:191], v[196:197]
	v_add_f64 v[188:189], v[188:189], v[194:195]
	v_fma_f64 v[194:195], v[4:5], v[10:11], v[198:199]
	v_fma_f64 v[196:197], v[2:3], v[10:11], -v[12:13]
	ds_load_b128 v[2:5], v1 offset:1152
	scratch_load_b128 v[10:13], off, off offset:592
	v_fma_f64 v[182:183], v[182:183], v[14:15], v[192:193]
	v_fma_f64 v[180:181], v[180:181], v[14:15], -v[16:17]
	scratch_load_b128 v[14:17], off, off offset:608
	v_add_f64 v[190:191], v[190:191], v[184:185]
	v_add_f64 v[188:189], v[188:189], v[186:187]
	ds_load_b128 v[184:187], v1 offset:1168
	s_waitcnt vmcnt(9) lgkmcnt(1)
	v_mul_f64 v[198:199], v[2:3], v[20:21]
	v_mul_f64 v[20:21], v[4:5], v[20:21]
	s_waitcnt vmcnt(8) lgkmcnt(0)
	v_mul_f64 v[192:193], v[184:185], v[24:25]
	v_mul_f64 v[24:25], v[186:187], v[24:25]
	v_add_f64 v[190:191], v[190:191], v[196:197]
	v_add_f64 v[188:189], v[188:189], v[194:195]
	v_fma_f64 v[194:195], v[4:5], v[18:19], v[198:199]
	v_fma_f64 v[196:197], v[2:3], v[18:19], -v[20:21]
	ds_load_b128 v[2:5], v1 offset:1184
	scratch_load_b128 v[18:21], off, off offset:624
	v_fma_f64 v[186:187], v[186:187], v[22:23], v[192:193]
	v_fma_f64 v[184:185], v[184:185], v[22:23], -v[24:25]
	scratch_load_b128 v[22:25], off, off offset:640
	v_add_f64 v[190:191], v[190:191], v[180:181]
	v_add_f64 v[188:189], v[188:189], v[182:183]
	ds_load_b128 v[180:183], v1 offset:1200
	s_waitcnt vmcnt(9) lgkmcnt(1)
	v_mul_f64 v[198:199], v[2:3], v[28:29]
	v_mul_f64 v[28:29], v[4:5], v[28:29]
	s_waitcnt vmcnt(8) lgkmcnt(0)
	v_mul_f64 v[192:193], v[180:181], v[32:33]
	v_mul_f64 v[32:33], v[182:183], v[32:33]
	v_add_f64 v[190:191], v[190:191], v[196:197]
	v_add_f64 v[188:189], v[188:189], v[194:195]
	v_fma_f64 v[194:195], v[4:5], v[26:27], v[198:199]
	v_fma_f64 v[196:197], v[2:3], v[26:27], -v[28:29]
	ds_load_b128 v[2:5], v1 offset:1216
	scratch_load_b128 v[26:29], off, off offset:656
	v_fma_f64 v[182:183], v[182:183], v[30:31], v[192:193]
	v_fma_f64 v[180:181], v[180:181], v[30:31], -v[32:33]
	scratch_load_b128 v[30:33], off, off offset:672
	v_add_f64 v[190:191], v[190:191], v[184:185]
	v_add_f64 v[188:189], v[188:189], v[186:187]
	ds_load_b128 v[184:187], v1 offset:1232
	s_waitcnt vmcnt(9) lgkmcnt(1)
	v_mul_f64 v[198:199], v[2:3], v[36:37]
	v_mul_f64 v[36:37], v[4:5], v[36:37]
	s_waitcnt vmcnt(8) lgkmcnt(0)
	v_mul_f64 v[192:193], v[184:185], v[40:41]
	v_mul_f64 v[40:41], v[186:187], v[40:41]
	v_add_f64 v[190:191], v[190:191], v[196:197]
	v_add_f64 v[188:189], v[188:189], v[194:195]
	v_fma_f64 v[194:195], v[4:5], v[34:35], v[198:199]
	v_fma_f64 v[196:197], v[2:3], v[34:35], -v[36:37]
	ds_load_b128 v[2:5], v1 offset:1248
	ds_load_b128 v[34:37], v1 offset:1264
	v_fma_f64 v[186:187], v[186:187], v[38:39], v[192:193]
	v_fma_f64 v[38:39], v[184:185], v[38:39], -v[40:41]
	v_add_f64 v[180:181], v[190:191], v[180:181]
	v_add_f64 v[182:183], v[188:189], v[182:183]
	s_waitcnt vmcnt(7) lgkmcnt(1)
	v_mul_f64 v[188:189], v[2:3], v[44:45]
	v_mul_f64 v[44:45], v[4:5], v[44:45]
	s_delay_alu instid0(VALU_DEP_4) | instskip(NEXT) | instid1(VALU_DEP_4)
	v_add_f64 v[40:41], v[180:181], v[196:197]
	v_add_f64 v[180:181], v[182:183], v[194:195]
	s_waitcnt vmcnt(6) lgkmcnt(0)
	v_mul_f64 v[182:183], v[34:35], v[8:9]
	v_mul_f64 v[8:9], v[36:37], v[8:9]
	v_fma_f64 v[184:185], v[4:5], v[42:43], v[188:189]
	v_fma_f64 v[42:43], v[2:3], v[42:43], -v[44:45]
	v_add_f64 v[44:45], v[40:41], v[38:39]
	v_add_f64 v[180:181], v[180:181], v[186:187]
	ds_load_b128 v[2:5], v1 offset:1280
	ds_load_b128 v[38:41], v1 offset:1296
	v_fma_f64 v[36:37], v[36:37], v[6:7], v[182:183]
	v_fma_f64 v[6:7], v[34:35], v[6:7], -v[8:9]
	s_waitcnt vmcnt(5) lgkmcnt(1)
	v_mul_f64 v[186:187], v[2:3], v[12:13]
	v_mul_f64 v[12:13], v[4:5], v[12:13]
	v_add_f64 v[8:9], v[44:45], v[42:43]
	v_add_f64 v[34:35], v[180:181], v[184:185]
	s_waitcnt vmcnt(4) lgkmcnt(0)
	v_mul_f64 v[42:43], v[38:39], v[16:17]
	v_mul_f64 v[16:17], v[40:41], v[16:17]
	v_fma_f64 v[44:45], v[4:5], v[10:11], v[186:187]
	v_fma_f64 v[10:11], v[2:3], v[10:11], -v[12:13]
	v_add_f64 v[12:13], v[8:9], v[6:7]
	v_add_f64 v[34:35], v[34:35], v[36:37]
	ds_load_b128 v[2:5], v1 offset:1312
	ds_load_b128 v[6:9], v1 offset:1328
	v_fma_f64 v[40:41], v[40:41], v[14:15], v[42:43]
	v_fma_f64 v[14:15], v[38:39], v[14:15], -v[16:17]
	s_waitcnt vmcnt(3) lgkmcnt(1)
	v_mul_f64 v[36:37], v[2:3], v[20:21]
	v_mul_f64 v[20:21], v[4:5], v[20:21]
	s_waitcnt vmcnt(2) lgkmcnt(0)
	v_mul_f64 v[16:17], v[6:7], v[24:25]
	v_mul_f64 v[24:25], v[8:9], v[24:25]
	v_add_f64 v[10:11], v[12:13], v[10:11]
	v_add_f64 v[12:13], v[34:35], v[44:45]
	v_fma_f64 v[34:35], v[4:5], v[18:19], v[36:37]
	v_fma_f64 v[18:19], v[2:3], v[18:19], -v[20:21]
	v_fma_f64 v[8:9], v[8:9], v[22:23], v[16:17]
	v_fma_f64 v[6:7], v[6:7], v[22:23], -v[24:25]
	v_add_f64 v[14:15], v[10:11], v[14:15]
	v_add_f64 v[20:21], v[12:13], v[40:41]
	ds_load_b128 v[2:5], v1 offset:1344
	ds_load_b128 v[10:13], v1 offset:1360
	s_waitcnt vmcnt(1) lgkmcnt(1)
	v_mul_f64 v[36:37], v[2:3], v[28:29]
	v_mul_f64 v[28:29], v[4:5], v[28:29]
	v_add_f64 v[14:15], v[14:15], v[18:19]
	v_add_f64 v[16:17], v[20:21], v[34:35]
	s_waitcnt vmcnt(0) lgkmcnt(0)
	v_mul_f64 v[18:19], v[10:11], v[32:33]
	v_mul_f64 v[20:21], v[12:13], v[32:33]
	v_fma_f64 v[4:5], v[4:5], v[26:27], v[36:37]
	v_fma_f64 v[1:2], v[2:3], v[26:27], -v[28:29]
	v_add_f64 v[6:7], v[14:15], v[6:7]
	v_add_f64 v[8:9], v[16:17], v[8:9]
	v_fma_f64 v[12:13], v[12:13], v[30:31], v[18:19]
	v_fma_f64 v[10:11], v[10:11], v[30:31], -v[20:21]
	s_delay_alu instid0(VALU_DEP_4) | instskip(NEXT) | instid1(VALU_DEP_4)
	v_add_f64 v[1:2], v[6:7], v[1:2]
	v_add_f64 v[3:4], v[8:9], v[4:5]
	s_delay_alu instid0(VALU_DEP_2) | instskip(NEXT) | instid1(VALU_DEP_2)
	v_add_f64 v[1:2], v[1:2], v[10:11]
	v_add_f64 v[3:4], v[3:4], v[12:13]
	s_delay_alu instid0(VALU_DEP_2) | instskip(NEXT) | instid1(VALU_DEP_2)
	v_add_f64 v[1:2], v[176:177], -v[1:2]
	v_add_f64 v[3:4], v[178:179], -v[3:4]
	scratch_store_b128 off, v[1:4], off offset:64
	v_cmpx_lt_u32_e32 3, v132
	s_cbranch_execz .LBB42_265
; %bb.264:
	scratch_load_b128 v[1:4], v134, off
	v_mov_b32_e32 v5, 0
	s_delay_alu instid0(VALU_DEP_1)
	v_mov_b32_e32 v6, v5
	v_mov_b32_e32 v7, v5
	;; [unrolled: 1-line block ×3, first 2 shown]
	scratch_store_b128 off, v[5:8], off offset:48
	s_waitcnt vmcnt(0)
	ds_store_b128 v175, v[1:4]
.LBB42_265:
	s_or_b32 exec_lo, exec_lo, s2
	s_waitcnt lgkmcnt(0)
	s_waitcnt_vscnt null, 0x0
	s_barrier
	buffer_gl0_inv
	s_clause 0x7
	scratch_load_b128 v[2:5], off, off offset:64
	scratch_load_b128 v[6:9], off, off offset:80
	;; [unrolled: 1-line block ×8, first 2 shown]
	v_mov_b32_e32 v1, 0
	s_mov_b32 s2, exec_lo
	ds_load_b128 v[38:41], v1 offset:752
	s_clause 0x1
	scratch_load_b128 v[34:37], off, off offset:192
	scratch_load_b128 v[42:45], off, off offset:48
	ds_load_b128 v[176:179], v1 offset:768
	scratch_load_b128 v[180:183], off, off offset:208
	s_waitcnt vmcnt(10) lgkmcnt(1)
	v_mul_f64 v[184:185], v[40:41], v[4:5]
	v_mul_f64 v[4:5], v[38:39], v[4:5]
	s_delay_alu instid0(VALU_DEP_2) | instskip(NEXT) | instid1(VALU_DEP_2)
	v_fma_f64 v[190:191], v[38:39], v[2:3], -v[184:185]
	v_fma_f64 v[192:193], v[40:41], v[2:3], v[4:5]
	scratch_load_b128 v[38:41], off, off offset:224
	ds_load_b128 v[2:5], v1 offset:784
	s_waitcnt vmcnt(10) lgkmcnt(1)
	v_mul_f64 v[188:189], v[176:177], v[8:9]
	v_mul_f64 v[8:9], v[178:179], v[8:9]
	ds_load_b128 v[184:187], v1 offset:800
	s_waitcnt vmcnt(9) lgkmcnt(1)
	v_mul_f64 v[194:195], v[2:3], v[12:13]
	v_mul_f64 v[12:13], v[4:5], v[12:13]
	v_fma_f64 v[178:179], v[178:179], v[6:7], v[188:189]
	v_fma_f64 v[176:177], v[176:177], v[6:7], -v[8:9]
	v_add_f64 v[188:189], v[190:191], 0
	v_add_f64 v[190:191], v[192:193], 0
	scratch_load_b128 v[6:9], off, off offset:240
	v_fma_f64 v[194:195], v[4:5], v[10:11], v[194:195]
	v_fma_f64 v[196:197], v[2:3], v[10:11], -v[12:13]
	scratch_load_b128 v[10:13], off, off offset:256
	ds_load_b128 v[2:5], v1 offset:816
	s_waitcnt vmcnt(10) lgkmcnt(1)
	v_mul_f64 v[192:193], v[184:185], v[16:17]
	v_mul_f64 v[16:17], v[186:187], v[16:17]
	v_add_f64 v[188:189], v[188:189], v[176:177]
	v_add_f64 v[190:191], v[190:191], v[178:179]
	s_waitcnt vmcnt(9) lgkmcnt(0)
	v_mul_f64 v[198:199], v[2:3], v[20:21]
	v_mul_f64 v[20:21], v[4:5], v[20:21]
	ds_load_b128 v[176:179], v1 offset:832
	v_fma_f64 v[186:187], v[186:187], v[14:15], v[192:193]
	v_fma_f64 v[184:185], v[184:185], v[14:15], -v[16:17]
	scratch_load_b128 v[14:17], off, off offset:272
	v_add_f64 v[188:189], v[188:189], v[196:197]
	v_add_f64 v[190:191], v[190:191], v[194:195]
	v_fma_f64 v[194:195], v[4:5], v[18:19], v[198:199]
	v_fma_f64 v[196:197], v[2:3], v[18:19], -v[20:21]
	scratch_load_b128 v[18:21], off, off offset:288
	ds_load_b128 v[2:5], v1 offset:848
	s_waitcnt vmcnt(10) lgkmcnt(1)
	v_mul_f64 v[192:193], v[176:177], v[24:25]
	v_mul_f64 v[24:25], v[178:179], v[24:25]
	s_waitcnt vmcnt(9) lgkmcnt(0)
	v_mul_f64 v[198:199], v[2:3], v[28:29]
	v_mul_f64 v[28:29], v[4:5], v[28:29]
	v_add_f64 v[188:189], v[188:189], v[184:185]
	v_add_f64 v[190:191], v[190:191], v[186:187]
	ds_load_b128 v[184:187], v1 offset:864
	v_fma_f64 v[178:179], v[178:179], v[22:23], v[192:193]
	v_fma_f64 v[176:177], v[176:177], v[22:23], -v[24:25]
	scratch_load_b128 v[22:25], off, off offset:304
	v_add_f64 v[188:189], v[188:189], v[196:197]
	v_add_f64 v[190:191], v[190:191], v[194:195]
	v_fma_f64 v[194:195], v[4:5], v[26:27], v[198:199]
	v_fma_f64 v[196:197], v[2:3], v[26:27], -v[28:29]
	scratch_load_b128 v[26:29], off, off offset:320
	ds_load_b128 v[2:5], v1 offset:880
	s_waitcnt vmcnt(10) lgkmcnt(1)
	v_mul_f64 v[192:193], v[184:185], v[32:33]
	v_mul_f64 v[32:33], v[186:187], v[32:33]
	s_waitcnt vmcnt(9) lgkmcnt(0)
	v_mul_f64 v[198:199], v[2:3], v[36:37]
	v_mul_f64 v[36:37], v[4:5], v[36:37]
	v_add_f64 v[188:189], v[188:189], v[176:177]
	v_add_f64 v[190:191], v[190:191], v[178:179]
	ds_load_b128 v[176:179], v1 offset:896
	v_fma_f64 v[186:187], v[186:187], v[30:31], v[192:193]
	v_fma_f64 v[184:185], v[184:185], v[30:31], -v[32:33]
	scratch_load_b128 v[30:33], off, off offset:336
	v_add_f64 v[188:189], v[188:189], v[196:197]
	v_add_f64 v[190:191], v[190:191], v[194:195]
	v_fma_f64 v[196:197], v[4:5], v[34:35], v[198:199]
	v_fma_f64 v[198:199], v[2:3], v[34:35], -v[36:37]
	scratch_load_b128 v[34:37], off, off offset:352
	ds_load_b128 v[2:5], v1 offset:912
	s_waitcnt vmcnt(9) lgkmcnt(1)
	v_mul_f64 v[192:193], v[176:177], v[182:183]
	v_mul_f64 v[194:195], v[178:179], v[182:183]
	v_add_f64 v[188:189], v[188:189], v[184:185]
	v_add_f64 v[186:187], v[190:191], v[186:187]
	ds_load_b128 v[182:185], v1 offset:928
	v_fma_f64 v[192:193], v[178:179], v[180:181], v[192:193]
	v_fma_f64 v[180:181], v[176:177], v[180:181], -v[194:195]
	scratch_load_b128 v[176:179], off, off offset:368
	s_waitcnt vmcnt(9) lgkmcnt(1)
	v_mul_f64 v[190:191], v[2:3], v[40:41]
	v_mul_f64 v[40:41], v[4:5], v[40:41]
	v_add_f64 v[188:189], v[188:189], v[198:199]
	v_add_f64 v[186:187], v[186:187], v[196:197]
	s_delay_alu instid0(VALU_DEP_4) | instskip(NEXT) | instid1(VALU_DEP_4)
	v_fma_f64 v[190:191], v[4:5], v[38:39], v[190:191]
	v_fma_f64 v[196:197], v[2:3], v[38:39], -v[40:41]
	scratch_load_b128 v[38:41], off, off offset:384
	ds_load_b128 v[2:5], v1 offset:944
	s_waitcnt vmcnt(9) lgkmcnt(1)
	v_mul_f64 v[194:195], v[182:183], v[8:9]
	v_mul_f64 v[8:9], v[184:185], v[8:9]
	s_waitcnt vmcnt(8) lgkmcnt(0)
	v_mul_f64 v[198:199], v[2:3], v[12:13]
	v_mul_f64 v[12:13], v[4:5], v[12:13]
	v_add_f64 v[180:181], v[188:189], v[180:181]
	v_add_f64 v[192:193], v[186:187], v[192:193]
	ds_load_b128 v[186:189], v1 offset:960
	v_fma_f64 v[184:185], v[184:185], v[6:7], v[194:195]
	v_fma_f64 v[182:183], v[182:183], v[6:7], -v[8:9]
	scratch_load_b128 v[6:9], off, off offset:400
	v_fma_f64 v[194:195], v[4:5], v[10:11], v[198:199]
	v_add_f64 v[180:181], v[180:181], v[196:197]
	v_add_f64 v[190:191], v[192:193], v[190:191]
	v_fma_f64 v[196:197], v[2:3], v[10:11], -v[12:13]
	scratch_load_b128 v[10:13], off, off offset:416
	ds_load_b128 v[2:5], v1 offset:976
	s_waitcnt vmcnt(9) lgkmcnt(1)
	v_mul_f64 v[192:193], v[186:187], v[16:17]
	v_mul_f64 v[16:17], v[188:189], v[16:17]
	v_add_f64 v[198:199], v[180:181], v[182:183]
	v_add_f64 v[184:185], v[190:191], v[184:185]
	s_waitcnt vmcnt(8) lgkmcnt(0)
	v_mul_f64 v[190:191], v[2:3], v[20:21]
	v_mul_f64 v[20:21], v[4:5], v[20:21]
	ds_load_b128 v[180:183], v1 offset:992
	v_fma_f64 v[188:189], v[188:189], v[14:15], v[192:193]
	v_fma_f64 v[186:187], v[186:187], v[14:15], -v[16:17]
	scratch_load_b128 v[14:17], off, off offset:432
	v_add_f64 v[192:193], v[198:199], v[196:197]
	v_add_f64 v[184:185], v[184:185], v[194:195]
	v_fma_f64 v[190:191], v[4:5], v[18:19], v[190:191]
	v_fma_f64 v[196:197], v[2:3], v[18:19], -v[20:21]
	scratch_load_b128 v[18:21], off, off offset:448
	ds_load_b128 v[2:5], v1 offset:1008
	s_waitcnt vmcnt(9) lgkmcnt(1)
	v_mul_f64 v[194:195], v[180:181], v[24:25]
	v_mul_f64 v[24:25], v[182:183], v[24:25]
	s_waitcnt vmcnt(8) lgkmcnt(0)
	v_mul_f64 v[198:199], v[2:3], v[28:29]
	v_mul_f64 v[28:29], v[4:5], v[28:29]
	v_add_f64 v[192:193], v[192:193], v[186:187]
	v_add_f64 v[188:189], v[184:185], v[188:189]
	ds_load_b128 v[184:187], v1 offset:1024
	v_fma_f64 v[182:183], v[182:183], v[22:23], v[194:195]
	v_fma_f64 v[180:181], v[180:181], v[22:23], -v[24:25]
	scratch_load_b128 v[22:25], off, off offset:464
	v_fma_f64 v[194:195], v[4:5], v[26:27], v[198:199]
	v_add_f64 v[192:193], v[192:193], v[196:197]
	v_add_f64 v[188:189], v[188:189], v[190:191]
	v_fma_f64 v[196:197], v[2:3], v[26:27], -v[28:29]
	scratch_load_b128 v[26:29], off, off offset:480
	ds_load_b128 v[2:5], v1 offset:1040
	s_waitcnt vmcnt(9) lgkmcnt(1)
	v_mul_f64 v[190:191], v[184:185], v[32:33]
	v_mul_f64 v[32:33], v[186:187], v[32:33]
	s_waitcnt vmcnt(8) lgkmcnt(0)
	v_mul_f64 v[198:199], v[2:3], v[36:37]
	v_mul_f64 v[36:37], v[4:5], v[36:37]
	v_add_f64 v[192:193], v[192:193], v[180:181]
	v_add_f64 v[188:189], v[188:189], v[182:183]
	ds_load_b128 v[180:183], v1 offset:1056
	v_fma_f64 v[186:187], v[186:187], v[30:31], v[190:191]
	v_fma_f64 v[184:185], v[184:185], v[30:31], -v[32:33]
	scratch_load_b128 v[30:33], off, off offset:496
	v_add_f64 v[190:191], v[192:193], v[196:197]
	v_add_f64 v[188:189], v[188:189], v[194:195]
	v_fma_f64 v[194:195], v[4:5], v[34:35], v[198:199]
	v_fma_f64 v[196:197], v[2:3], v[34:35], -v[36:37]
	scratch_load_b128 v[34:37], off, off offset:512
	ds_load_b128 v[2:5], v1 offset:1072
	s_waitcnt vmcnt(9) lgkmcnt(1)
	v_mul_f64 v[192:193], v[180:181], v[178:179]
	v_mul_f64 v[178:179], v[182:183], v[178:179]
	s_waitcnt vmcnt(8) lgkmcnt(0)
	v_mul_f64 v[198:199], v[2:3], v[40:41]
	v_mul_f64 v[40:41], v[4:5], v[40:41]
	v_add_f64 v[190:191], v[190:191], v[184:185]
	v_add_f64 v[188:189], v[188:189], v[186:187]
	ds_load_b128 v[184:187], v1 offset:1088
	v_fma_f64 v[182:183], v[182:183], v[176:177], v[192:193]
	v_fma_f64 v[180:181], v[180:181], v[176:177], -v[178:179]
	scratch_load_b128 v[176:179], off, off offset:528
	v_add_f64 v[190:191], v[190:191], v[196:197]
	v_add_f64 v[188:189], v[188:189], v[194:195]
	v_fma_f64 v[194:195], v[4:5], v[38:39], v[198:199]
	;; [unrolled: 18-line block ×6, first 2 shown]
	v_fma_f64 v[198:199], v[2:3], v[34:35], -v[36:37]
	scratch_load_b128 v[34:37], off, off offset:672
	ds_load_b128 v[2:5], v1 offset:1232
	s_waitcnt vmcnt(9) lgkmcnt(1)
	v_mul_f64 v[192:193], v[184:185], v[178:179]
	v_mul_f64 v[194:195], v[186:187], v[178:179]
	v_add_f64 v[190:191], v[190:191], v[180:181]
	v_add_f64 v[182:183], v[188:189], v[182:183]
	s_waitcnt vmcnt(8) lgkmcnt(0)
	v_mul_f64 v[188:189], v[2:3], v[40:41]
	v_mul_f64 v[40:41], v[4:5], v[40:41]
	ds_load_b128 v[178:181], v1 offset:1248
	v_fma_f64 v[186:187], v[186:187], v[176:177], v[192:193]
	v_fma_f64 v[176:177], v[184:185], v[176:177], -v[194:195]
	v_add_f64 v[184:185], v[190:191], v[198:199]
	v_add_f64 v[182:183], v[182:183], v[196:197]
	s_waitcnt vmcnt(7) lgkmcnt(0)
	v_mul_f64 v[190:191], v[178:179], v[8:9]
	v_mul_f64 v[8:9], v[180:181], v[8:9]
	v_fma_f64 v[188:189], v[4:5], v[38:39], v[188:189]
	v_fma_f64 v[192:193], v[2:3], v[38:39], -v[40:41]
	ds_load_b128 v[2:5], v1 offset:1264
	ds_load_b128 v[38:41], v1 offset:1280
	v_add_f64 v[176:177], v[184:185], v[176:177]
	v_add_f64 v[182:183], v[182:183], v[186:187]
	s_waitcnt vmcnt(6) lgkmcnt(1)
	v_mul_f64 v[184:185], v[2:3], v[12:13]
	v_mul_f64 v[12:13], v[4:5], v[12:13]
	v_fma_f64 v[180:181], v[180:181], v[6:7], v[190:191]
	v_fma_f64 v[6:7], v[178:179], v[6:7], -v[8:9]
	s_waitcnt vmcnt(5) lgkmcnt(0)
	v_mul_f64 v[178:179], v[38:39], v[16:17]
	v_mul_f64 v[16:17], v[40:41], v[16:17]
	v_add_f64 v[8:9], v[176:177], v[192:193]
	v_add_f64 v[176:177], v[182:183], v[188:189]
	v_fma_f64 v[182:183], v[4:5], v[10:11], v[184:185]
	v_fma_f64 v[10:11], v[2:3], v[10:11], -v[12:13]
	v_fma_f64 v[40:41], v[40:41], v[14:15], v[178:179]
	v_fma_f64 v[14:15], v[38:39], v[14:15], -v[16:17]
	v_add_f64 v[12:13], v[8:9], v[6:7]
	v_add_f64 v[176:177], v[176:177], v[180:181]
	ds_load_b128 v[2:5], v1 offset:1296
	ds_load_b128 v[6:9], v1 offset:1312
	s_waitcnt vmcnt(4) lgkmcnt(1)
	v_mul_f64 v[180:181], v[2:3], v[20:21]
	v_mul_f64 v[20:21], v[4:5], v[20:21]
	s_waitcnt vmcnt(3) lgkmcnt(0)
	v_mul_f64 v[16:17], v[6:7], v[24:25]
	v_mul_f64 v[24:25], v[8:9], v[24:25]
	v_add_f64 v[10:11], v[12:13], v[10:11]
	v_add_f64 v[12:13], v[176:177], v[182:183]
	v_fma_f64 v[38:39], v[4:5], v[18:19], v[180:181]
	v_fma_f64 v[18:19], v[2:3], v[18:19], -v[20:21]
	v_fma_f64 v[8:9], v[8:9], v[22:23], v[16:17]
	v_fma_f64 v[6:7], v[6:7], v[22:23], -v[24:25]
	v_add_f64 v[14:15], v[10:11], v[14:15]
	v_add_f64 v[20:21], v[12:13], v[40:41]
	ds_load_b128 v[2:5], v1 offset:1328
	ds_load_b128 v[10:13], v1 offset:1344
	s_waitcnt vmcnt(2) lgkmcnt(1)
	v_mul_f64 v[40:41], v[2:3], v[28:29]
	v_mul_f64 v[28:29], v[4:5], v[28:29]
	v_add_f64 v[14:15], v[14:15], v[18:19]
	v_add_f64 v[16:17], v[20:21], v[38:39]
	s_waitcnt vmcnt(1) lgkmcnt(0)
	v_mul_f64 v[18:19], v[10:11], v[32:33]
	v_mul_f64 v[20:21], v[12:13], v[32:33]
	v_fma_f64 v[22:23], v[4:5], v[26:27], v[40:41]
	v_fma_f64 v[24:25], v[2:3], v[26:27], -v[28:29]
	ds_load_b128 v[2:5], v1 offset:1360
	v_add_f64 v[6:7], v[14:15], v[6:7]
	v_add_f64 v[8:9], v[16:17], v[8:9]
	v_fma_f64 v[12:13], v[12:13], v[30:31], v[18:19]
	v_fma_f64 v[10:11], v[10:11], v[30:31], -v[20:21]
	s_waitcnt vmcnt(0) lgkmcnt(0)
	v_mul_f64 v[14:15], v[2:3], v[36:37]
	v_mul_f64 v[16:17], v[4:5], v[36:37]
	v_add_f64 v[6:7], v[6:7], v[24:25]
	v_add_f64 v[8:9], v[8:9], v[22:23]
	s_delay_alu instid0(VALU_DEP_4) | instskip(NEXT) | instid1(VALU_DEP_4)
	v_fma_f64 v[4:5], v[4:5], v[34:35], v[14:15]
	v_fma_f64 v[2:3], v[2:3], v[34:35], -v[16:17]
	s_delay_alu instid0(VALU_DEP_4) | instskip(NEXT) | instid1(VALU_DEP_4)
	v_add_f64 v[6:7], v[6:7], v[10:11]
	v_add_f64 v[8:9], v[8:9], v[12:13]
	s_delay_alu instid0(VALU_DEP_2) | instskip(NEXT) | instid1(VALU_DEP_2)
	v_add_f64 v[2:3], v[6:7], v[2:3]
	v_add_f64 v[4:5], v[8:9], v[4:5]
	s_delay_alu instid0(VALU_DEP_2) | instskip(NEXT) | instid1(VALU_DEP_2)
	v_add_f64 v[2:3], v[42:43], -v[2:3]
	v_add_f64 v[4:5], v[44:45], -v[4:5]
	scratch_store_b128 off, v[2:5], off offset:48
	v_cmpx_lt_u32_e32 2, v132
	s_cbranch_execz .LBB42_267
; %bb.266:
	scratch_load_b128 v[5:8], v135, off
	v_mov_b32_e32 v2, v1
	v_mov_b32_e32 v3, v1
	;; [unrolled: 1-line block ×3, first 2 shown]
	scratch_store_b128 off, v[1:4], off offset:32
	s_waitcnt vmcnt(0)
	ds_store_b128 v175, v[5:8]
.LBB42_267:
	s_or_b32 exec_lo, exec_lo, s2
	s_waitcnt lgkmcnt(0)
	s_waitcnt_vscnt null, 0x0
	s_barrier
	buffer_gl0_inv
	s_clause 0x8
	scratch_load_b128 v[2:5], off, off offset:48
	scratch_load_b128 v[6:9], off, off offset:64
	;; [unrolled: 1-line block ×9, first 2 shown]
	ds_load_b128 v[42:45], v1 offset:736
	ds_load_b128 v[38:41], v1 offset:752
	s_clause 0x1
	scratch_load_b128 v[176:179], off, off offset:32
	scratch_load_b128 v[180:183], off, off offset:192
	s_mov_b32 s2, exec_lo
	s_waitcnt vmcnt(10) lgkmcnt(1)
	v_mul_f64 v[184:185], v[44:45], v[4:5]
	v_mul_f64 v[4:5], v[42:43], v[4:5]
	s_waitcnt vmcnt(9) lgkmcnt(0)
	v_mul_f64 v[188:189], v[38:39], v[8:9]
	v_mul_f64 v[8:9], v[40:41], v[8:9]
	s_delay_alu instid0(VALU_DEP_4) | instskip(NEXT) | instid1(VALU_DEP_4)
	v_fma_f64 v[190:191], v[42:43], v[2:3], -v[184:185]
	v_fma_f64 v[192:193], v[44:45], v[2:3], v[4:5]
	ds_load_b128 v[2:5], v1 offset:768
	ds_load_b128 v[184:187], v1 offset:784
	scratch_load_b128 v[42:45], off, off offset:208
	v_fma_f64 v[40:41], v[40:41], v[6:7], v[188:189]
	v_fma_f64 v[38:39], v[38:39], v[6:7], -v[8:9]
	scratch_load_b128 v[6:9], off, off offset:224
	s_waitcnt vmcnt(10) lgkmcnt(1)
	v_mul_f64 v[194:195], v[2:3], v[12:13]
	v_mul_f64 v[12:13], v[4:5], v[12:13]
	v_add_f64 v[188:189], v[190:191], 0
	v_add_f64 v[190:191], v[192:193], 0
	s_waitcnt vmcnt(9) lgkmcnt(0)
	v_mul_f64 v[192:193], v[184:185], v[16:17]
	v_mul_f64 v[16:17], v[186:187], v[16:17]
	v_fma_f64 v[194:195], v[4:5], v[10:11], v[194:195]
	v_fma_f64 v[196:197], v[2:3], v[10:11], -v[12:13]
	ds_load_b128 v[2:5], v1 offset:800
	scratch_load_b128 v[10:13], off, off offset:240
	v_add_f64 v[188:189], v[188:189], v[38:39]
	v_add_f64 v[190:191], v[190:191], v[40:41]
	ds_load_b128 v[38:41], v1 offset:816
	v_fma_f64 v[186:187], v[186:187], v[14:15], v[192:193]
	v_fma_f64 v[184:185], v[184:185], v[14:15], -v[16:17]
	scratch_load_b128 v[14:17], off, off offset:256
	s_waitcnt vmcnt(10) lgkmcnt(1)
	v_mul_f64 v[198:199], v[2:3], v[20:21]
	v_mul_f64 v[20:21], v[4:5], v[20:21]
	s_waitcnt vmcnt(9) lgkmcnt(0)
	v_mul_f64 v[192:193], v[38:39], v[24:25]
	v_mul_f64 v[24:25], v[40:41], v[24:25]
	v_add_f64 v[188:189], v[188:189], v[196:197]
	v_add_f64 v[190:191], v[190:191], v[194:195]
	v_fma_f64 v[194:195], v[4:5], v[18:19], v[198:199]
	v_fma_f64 v[196:197], v[2:3], v[18:19], -v[20:21]
	ds_load_b128 v[2:5], v1 offset:832
	scratch_load_b128 v[18:21], off, off offset:272
	v_fma_f64 v[40:41], v[40:41], v[22:23], v[192:193]
	v_fma_f64 v[38:39], v[38:39], v[22:23], -v[24:25]
	scratch_load_b128 v[22:25], off, off offset:288
	v_add_f64 v[188:189], v[188:189], v[184:185]
	v_add_f64 v[190:191], v[190:191], v[186:187]
	ds_load_b128 v[184:187], v1 offset:848
	s_waitcnt vmcnt(10) lgkmcnt(1)
	v_mul_f64 v[198:199], v[2:3], v[28:29]
	v_mul_f64 v[28:29], v[4:5], v[28:29]
	s_waitcnt vmcnt(9) lgkmcnt(0)
	v_mul_f64 v[192:193], v[184:185], v[32:33]
	v_mul_f64 v[32:33], v[186:187], v[32:33]
	v_add_f64 v[188:189], v[188:189], v[196:197]
	v_add_f64 v[190:191], v[190:191], v[194:195]
	v_fma_f64 v[194:195], v[4:5], v[26:27], v[198:199]
	v_fma_f64 v[196:197], v[2:3], v[26:27], -v[28:29]
	ds_load_b128 v[2:5], v1 offset:864
	scratch_load_b128 v[26:29], off, off offset:304
	v_fma_f64 v[186:187], v[186:187], v[30:31], v[192:193]
	v_fma_f64 v[184:185], v[184:185], v[30:31], -v[32:33]
	scratch_load_b128 v[30:33], off, off offset:320
	v_add_f64 v[188:189], v[188:189], v[38:39]
	v_add_f64 v[190:191], v[190:191], v[40:41]
	ds_load_b128 v[38:41], v1 offset:880
	s_waitcnt vmcnt(10) lgkmcnt(1)
	v_mul_f64 v[198:199], v[2:3], v[36:37]
	v_mul_f64 v[36:37], v[4:5], v[36:37]
	s_waitcnt vmcnt(8) lgkmcnt(0)
	v_mul_f64 v[192:193], v[38:39], v[182:183]
	v_add_f64 v[188:189], v[188:189], v[196:197]
	v_add_f64 v[190:191], v[190:191], v[194:195]
	v_mul_f64 v[194:195], v[40:41], v[182:183]
	v_fma_f64 v[196:197], v[4:5], v[34:35], v[198:199]
	v_fma_f64 v[198:199], v[2:3], v[34:35], -v[36:37]
	ds_load_b128 v[2:5], v1 offset:896
	scratch_load_b128 v[34:37], off, off offset:336
	v_fma_f64 v[192:193], v[40:41], v[180:181], v[192:193]
	v_add_f64 v[188:189], v[188:189], v[184:185]
	v_add_f64 v[186:187], v[190:191], v[186:187]
	ds_load_b128 v[182:185], v1 offset:912
	v_fma_f64 v[180:181], v[38:39], v[180:181], -v[194:195]
	scratch_load_b128 v[38:41], off, off offset:352
	s_waitcnt vmcnt(9) lgkmcnt(1)
	v_mul_f64 v[190:191], v[2:3], v[44:45]
	v_mul_f64 v[44:45], v[4:5], v[44:45]
	s_waitcnt vmcnt(8) lgkmcnt(0)
	v_mul_f64 v[194:195], v[182:183], v[8:9]
	v_mul_f64 v[8:9], v[184:185], v[8:9]
	v_add_f64 v[188:189], v[188:189], v[198:199]
	v_add_f64 v[186:187], v[186:187], v[196:197]
	v_fma_f64 v[190:191], v[4:5], v[42:43], v[190:191]
	v_fma_f64 v[196:197], v[2:3], v[42:43], -v[44:45]
	ds_load_b128 v[2:5], v1 offset:928
	scratch_load_b128 v[42:45], off, off offset:368
	v_fma_f64 v[184:185], v[184:185], v[6:7], v[194:195]
	v_fma_f64 v[182:183], v[182:183], v[6:7], -v[8:9]
	scratch_load_b128 v[6:9], off, off offset:384
	v_add_f64 v[180:181], v[188:189], v[180:181]
	v_add_f64 v[192:193], v[186:187], v[192:193]
	ds_load_b128 v[186:189], v1 offset:944
	s_waitcnt vmcnt(9) lgkmcnt(1)
	v_mul_f64 v[198:199], v[2:3], v[12:13]
	v_mul_f64 v[12:13], v[4:5], v[12:13]
	v_add_f64 v[180:181], v[180:181], v[196:197]
	v_add_f64 v[190:191], v[192:193], v[190:191]
	s_waitcnt vmcnt(8) lgkmcnt(0)
	v_mul_f64 v[192:193], v[186:187], v[16:17]
	v_mul_f64 v[16:17], v[188:189], v[16:17]
	v_fma_f64 v[194:195], v[4:5], v[10:11], v[198:199]
	v_fma_f64 v[196:197], v[2:3], v[10:11], -v[12:13]
	ds_load_b128 v[2:5], v1 offset:960
	scratch_load_b128 v[10:13], off, off offset:400
	v_add_f64 v[198:199], v[180:181], v[182:183]
	v_add_f64 v[184:185], v[190:191], v[184:185]
	ds_load_b128 v[180:183], v1 offset:976
	s_waitcnt vmcnt(8) lgkmcnt(1)
	v_mul_f64 v[190:191], v[2:3], v[20:21]
	v_mul_f64 v[20:21], v[4:5], v[20:21]
	v_fma_f64 v[188:189], v[188:189], v[14:15], v[192:193]
	v_fma_f64 v[186:187], v[186:187], v[14:15], -v[16:17]
	scratch_load_b128 v[14:17], off, off offset:416
	v_add_f64 v[192:193], v[198:199], v[196:197]
	v_add_f64 v[184:185], v[184:185], v[194:195]
	s_waitcnt vmcnt(8) lgkmcnt(0)
	v_mul_f64 v[194:195], v[180:181], v[24:25]
	v_mul_f64 v[24:25], v[182:183], v[24:25]
	v_fma_f64 v[190:191], v[4:5], v[18:19], v[190:191]
	v_fma_f64 v[196:197], v[2:3], v[18:19], -v[20:21]
	ds_load_b128 v[2:5], v1 offset:992
	scratch_load_b128 v[18:21], off, off offset:432
	v_add_f64 v[192:193], v[192:193], v[186:187]
	v_add_f64 v[188:189], v[184:185], v[188:189]
	ds_load_b128 v[184:187], v1 offset:1008
	s_waitcnt vmcnt(8) lgkmcnt(1)
	v_mul_f64 v[198:199], v[2:3], v[28:29]
	v_mul_f64 v[28:29], v[4:5], v[28:29]
	v_fma_f64 v[182:183], v[182:183], v[22:23], v[194:195]
	v_fma_f64 v[180:181], v[180:181], v[22:23], -v[24:25]
	scratch_load_b128 v[22:25], off, off offset:448
	;; [unrolled: 18-line block ×4, first 2 shown]
	s_waitcnt vmcnt(8) lgkmcnt(0)
	v_mul_f64 v[192:193], v[184:185], v[8:9]
	v_mul_f64 v[8:9], v[186:187], v[8:9]
	v_add_f64 v[190:191], v[190:191], v[196:197]
	v_add_f64 v[188:189], v[188:189], v[194:195]
	v_fma_f64 v[194:195], v[4:5], v[42:43], v[198:199]
	v_fma_f64 v[196:197], v[2:3], v[42:43], -v[44:45]
	ds_load_b128 v[2:5], v1 offset:1088
	scratch_load_b128 v[42:45], off, off offset:528
	v_fma_f64 v[186:187], v[186:187], v[6:7], v[192:193]
	v_fma_f64 v[184:185], v[184:185], v[6:7], -v[8:9]
	scratch_load_b128 v[6:9], off, off offset:544
	v_add_f64 v[190:191], v[190:191], v[180:181]
	v_add_f64 v[188:189], v[188:189], v[182:183]
	ds_load_b128 v[180:183], v1 offset:1104
	s_waitcnt vmcnt(9) lgkmcnt(1)
	v_mul_f64 v[198:199], v[2:3], v[12:13]
	v_mul_f64 v[12:13], v[4:5], v[12:13]
	s_waitcnt vmcnt(8) lgkmcnt(0)
	v_mul_f64 v[192:193], v[180:181], v[16:17]
	v_mul_f64 v[16:17], v[182:183], v[16:17]
	v_add_f64 v[190:191], v[190:191], v[196:197]
	v_add_f64 v[188:189], v[188:189], v[194:195]
	v_fma_f64 v[194:195], v[4:5], v[10:11], v[198:199]
	v_fma_f64 v[196:197], v[2:3], v[10:11], -v[12:13]
	ds_load_b128 v[2:5], v1 offset:1120
	scratch_load_b128 v[10:13], off, off offset:560
	v_fma_f64 v[182:183], v[182:183], v[14:15], v[192:193]
	v_fma_f64 v[180:181], v[180:181], v[14:15], -v[16:17]
	scratch_load_b128 v[14:17], off, off offset:576
	v_add_f64 v[190:191], v[190:191], v[184:185]
	v_add_f64 v[188:189], v[188:189], v[186:187]
	ds_load_b128 v[184:187], v1 offset:1136
	s_waitcnt vmcnt(9) lgkmcnt(1)
	v_mul_f64 v[198:199], v[2:3], v[20:21]
	v_mul_f64 v[20:21], v[4:5], v[20:21]
	;; [unrolled: 18-line block ×5, first 2 shown]
	s_waitcnt vmcnt(8) lgkmcnt(0)
	v_mul_f64 v[192:193], v[180:181], v[8:9]
	v_mul_f64 v[8:9], v[182:183], v[8:9]
	v_add_f64 v[190:191], v[190:191], v[196:197]
	v_add_f64 v[188:189], v[188:189], v[194:195]
	v_fma_f64 v[194:195], v[4:5], v[42:43], v[198:199]
	v_fma_f64 v[196:197], v[2:3], v[42:43], -v[44:45]
	ds_load_b128 v[2:5], v1 offset:1248
	ds_load_b128 v[42:45], v1 offset:1264
	v_fma_f64 v[182:183], v[182:183], v[6:7], v[192:193]
	v_fma_f64 v[6:7], v[180:181], v[6:7], -v[8:9]
	v_add_f64 v[184:185], v[190:191], v[184:185]
	v_add_f64 v[186:187], v[188:189], v[186:187]
	s_waitcnt vmcnt(7) lgkmcnt(1)
	v_mul_f64 v[188:189], v[2:3], v[12:13]
	v_mul_f64 v[12:13], v[4:5], v[12:13]
	s_delay_alu instid0(VALU_DEP_4) | instskip(NEXT) | instid1(VALU_DEP_4)
	v_add_f64 v[8:9], v[184:185], v[196:197]
	v_add_f64 v[180:181], v[186:187], v[194:195]
	s_waitcnt vmcnt(6) lgkmcnt(0)
	v_mul_f64 v[184:185], v[42:43], v[16:17]
	v_mul_f64 v[16:17], v[44:45], v[16:17]
	v_fma_f64 v[186:187], v[4:5], v[10:11], v[188:189]
	v_fma_f64 v[10:11], v[2:3], v[10:11], -v[12:13]
	v_add_f64 v[12:13], v[8:9], v[6:7]
	v_add_f64 v[180:181], v[180:181], v[182:183]
	ds_load_b128 v[2:5], v1 offset:1280
	ds_load_b128 v[6:9], v1 offset:1296
	v_fma_f64 v[44:45], v[44:45], v[14:15], v[184:185]
	v_fma_f64 v[14:15], v[42:43], v[14:15], -v[16:17]
	s_waitcnt vmcnt(5) lgkmcnt(1)
	v_mul_f64 v[182:183], v[2:3], v[20:21]
	v_mul_f64 v[20:21], v[4:5], v[20:21]
	s_waitcnt vmcnt(4) lgkmcnt(0)
	v_mul_f64 v[16:17], v[6:7], v[24:25]
	v_mul_f64 v[24:25], v[8:9], v[24:25]
	v_add_f64 v[10:11], v[12:13], v[10:11]
	v_add_f64 v[12:13], v[180:181], v[186:187]
	v_fma_f64 v[42:43], v[4:5], v[18:19], v[182:183]
	v_fma_f64 v[18:19], v[2:3], v[18:19], -v[20:21]
	v_fma_f64 v[8:9], v[8:9], v[22:23], v[16:17]
	v_fma_f64 v[6:7], v[6:7], v[22:23], -v[24:25]
	v_add_f64 v[14:15], v[10:11], v[14:15]
	v_add_f64 v[20:21], v[12:13], v[44:45]
	ds_load_b128 v[2:5], v1 offset:1312
	ds_load_b128 v[10:13], v1 offset:1328
	s_waitcnt vmcnt(3) lgkmcnt(1)
	v_mul_f64 v[44:45], v[2:3], v[28:29]
	v_mul_f64 v[28:29], v[4:5], v[28:29]
	v_add_f64 v[14:15], v[14:15], v[18:19]
	v_add_f64 v[16:17], v[20:21], v[42:43]
	s_waitcnt vmcnt(2) lgkmcnt(0)
	v_mul_f64 v[18:19], v[10:11], v[32:33]
	v_mul_f64 v[20:21], v[12:13], v[32:33]
	v_fma_f64 v[22:23], v[4:5], v[26:27], v[44:45]
	v_fma_f64 v[24:25], v[2:3], v[26:27], -v[28:29]
	v_add_f64 v[14:15], v[14:15], v[6:7]
	v_add_f64 v[16:17], v[16:17], v[8:9]
	ds_load_b128 v[2:5], v1 offset:1344
	ds_load_b128 v[6:9], v1 offset:1360
	v_fma_f64 v[12:13], v[12:13], v[30:31], v[18:19]
	v_fma_f64 v[10:11], v[10:11], v[30:31], -v[20:21]
	s_waitcnt vmcnt(1) lgkmcnt(1)
	v_mul_f64 v[26:27], v[2:3], v[36:37]
	v_mul_f64 v[28:29], v[4:5], v[36:37]
	s_waitcnt vmcnt(0) lgkmcnt(0)
	v_mul_f64 v[18:19], v[6:7], v[40:41]
	v_mul_f64 v[20:21], v[8:9], v[40:41]
	v_add_f64 v[14:15], v[14:15], v[24:25]
	v_add_f64 v[16:17], v[16:17], v[22:23]
	v_fma_f64 v[4:5], v[4:5], v[34:35], v[26:27]
	v_fma_f64 v[1:2], v[2:3], v[34:35], -v[28:29]
	v_fma_f64 v[8:9], v[8:9], v[38:39], v[18:19]
	v_fma_f64 v[6:7], v[6:7], v[38:39], -v[20:21]
	v_add_f64 v[10:11], v[14:15], v[10:11]
	v_add_f64 v[12:13], v[16:17], v[12:13]
	s_delay_alu instid0(VALU_DEP_2) | instskip(NEXT) | instid1(VALU_DEP_2)
	v_add_f64 v[1:2], v[10:11], v[1:2]
	v_add_f64 v[3:4], v[12:13], v[4:5]
	s_delay_alu instid0(VALU_DEP_2) | instskip(NEXT) | instid1(VALU_DEP_2)
	v_add_f64 v[1:2], v[1:2], v[6:7]
	v_add_f64 v[3:4], v[3:4], v[8:9]
	s_delay_alu instid0(VALU_DEP_2) | instskip(NEXT) | instid1(VALU_DEP_2)
	v_add_f64 v[1:2], v[176:177], -v[1:2]
	v_add_f64 v[3:4], v[178:179], -v[3:4]
	scratch_store_b128 off, v[1:4], off offset:32
	v_cmpx_lt_u32_e32 1, v132
	s_cbranch_execz .LBB42_269
; %bb.268:
	scratch_load_b128 v[1:4], v136, off
	v_mov_b32_e32 v5, 0
	s_delay_alu instid0(VALU_DEP_1)
	v_mov_b32_e32 v6, v5
	v_mov_b32_e32 v7, v5
	;; [unrolled: 1-line block ×3, first 2 shown]
	scratch_store_b128 off, v[5:8], off offset:16
	s_waitcnt vmcnt(0)
	ds_store_b128 v175, v[1:4]
.LBB42_269:
	s_or_b32 exec_lo, exec_lo, s2
	s_waitcnt lgkmcnt(0)
	s_waitcnt_vscnt null, 0x0
	s_barrier
	buffer_gl0_inv
	s_clause 0x7
	scratch_load_b128 v[2:5], off, off offset:32
	scratch_load_b128 v[6:9], off, off offset:48
	;; [unrolled: 1-line block ×8, first 2 shown]
	v_mov_b32_e32 v1, 0
	s_mov_b32 s2, exec_lo
	ds_load_b128 v[38:41], v1 offset:720
	s_clause 0x1
	scratch_load_b128 v[34:37], off, off offset:160
	scratch_load_b128 v[42:45], off, off offset:16
	ds_load_b128 v[176:179], v1 offset:736
	scratch_load_b128 v[180:183], off, off offset:176
	s_waitcnt vmcnt(10) lgkmcnt(1)
	v_mul_f64 v[184:185], v[40:41], v[4:5]
	v_mul_f64 v[4:5], v[38:39], v[4:5]
	s_delay_alu instid0(VALU_DEP_2) | instskip(NEXT) | instid1(VALU_DEP_2)
	v_fma_f64 v[190:191], v[38:39], v[2:3], -v[184:185]
	v_fma_f64 v[192:193], v[40:41], v[2:3], v[4:5]
	scratch_load_b128 v[38:41], off, off offset:192
	ds_load_b128 v[2:5], v1 offset:752
	s_waitcnt vmcnt(10) lgkmcnt(1)
	v_mul_f64 v[188:189], v[176:177], v[8:9]
	v_mul_f64 v[8:9], v[178:179], v[8:9]
	ds_load_b128 v[184:187], v1 offset:768
	s_waitcnt vmcnt(9) lgkmcnt(1)
	v_mul_f64 v[194:195], v[2:3], v[12:13]
	v_mul_f64 v[12:13], v[4:5], v[12:13]
	v_fma_f64 v[178:179], v[178:179], v[6:7], v[188:189]
	v_fma_f64 v[176:177], v[176:177], v[6:7], -v[8:9]
	v_add_f64 v[188:189], v[190:191], 0
	v_add_f64 v[190:191], v[192:193], 0
	scratch_load_b128 v[6:9], off, off offset:208
	v_fma_f64 v[194:195], v[4:5], v[10:11], v[194:195]
	v_fma_f64 v[196:197], v[2:3], v[10:11], -v[12:13]
	scratch_load_b128 v[10:13], off, off offset:224
	ds_load_b128 v[2:5], v1 offset:784
	s_waitcnt vmcnt(10) lgkmcnt(1)
	v_mul_f64 v[192:193], v[184:185], v[16:17]
	v_mul_f64 v[16:17], v[186:187], v[16:17]
	v_add_f64 v[188:189], v[188:189], v[176:177]
	v_add_f64 v[190:191], v[190:191], v[178:179]
	s_waitcnt vmcnt(9) lgkmcnt(0)
	v_mul_f64 v[198:199], v[2:3], v[20:21]
	v_mul_f64 v[20:21], v[4:5], v[20:21]
	ds_load_b128 v[176:179], v1 offset:800
	v_fma_f64 v[186:187], v[186:187], v[14:15], v[192:193]
	v_fma_f64 v[184:185], v[184:185], v[14:15], -v[16:17]
	scratch_load_b128 v[14:17], off, off offset:240
	v_add_f64 v[188:189], v[188:189], v[196:197]
	v_add_f64 v[190:191], v[190:191], v[194:195]
	v_fma_f64 v[194:195], v[4:5], v[18:19], v[198:199]
	v_fma_f64 v[196:197], v[2:3], v[18:19], -v[20:21]
	scratch_load_b128 v[18:21], off, off offset:256
	ds_load_b128 v[2:5], v1 offset:816
	s_waitcnt vmcnt(10) lgkmcnt(1)
	v_mul_f64 v[192:193], v[176:177], v[24:25]
	v_mul_f64 v[24:25], v[178:179], v[24:25]
	s_waitcnt vmcnt(9) lgkmcnt(0)
	v_mul_f64 v[198:199], v[2:3], v[28:29]
	v_mul_f64 v[28:29], v[4:5], v[28:29]
	v_add_f64 v[188:189], v[188:189], v[184:185]
	v_add_f64 v[190:191], v[190:191], v[186:187]
	ds_load_b128 v[184:187], v1 offset:832
	v_fma_f64 v[178:179], v[178:179], v[22:23], v[192:193]
	v_fma_f64 v[176:177], v[176:177], v[22:23], -v[24:25]
	scratch_load_b128 v[22:25], off, off offset:272
	v_add_f64 v[188:189], v[188:189], v[196:197]
	v_add_f64 v[190:191], v[190:191], v[194:195]
	v_fma_f64 v[194:195], v[4:5], v[26:27], v[198:199]
	v_fma_f64 v[196:197], v[2:3], v[26:27], -v[28:29]
	scratch_load_b128 v[26:29], off, off offset:288
	ds_load_b128 v[2:5], v1 offset:848
	s_waitcnt vmcnt(10) lgkmcnt(1)
	v_mul_f64 v[192:193], v[184:185], v[32:33]
	v_mul_f64 v[32:33], v[186:187], v[32:33]
	s_waitcnt vmcnt(9) lgkmcnt(0)
	v_mul_f64 v[198:199], v[2:3], v[36:37]
	v_mul_f64 v[36:37], v[4:5], v[36:37]
	v_add_f64 v[188:189], v[188:189], v[176:177]
	v_add_f64 v[190:191], v[190:191], v[178:179]
	ds_load_b128 v[176:179], v1 offset:864
	v_fma_f64 v[186:187], v[186:187], v[30:31], v[192:193]
	v_fma_f64 v[184:185], v[184:185], v[30:31], -v[32:33]
	scratch_load_b128 v[30:33], off, off offset:304
	v_add_f64 v[188:189], v[188:189], v[196:197]
	v_add_f64 v[190:191], v[190:191], v[194:195]
	v_fma_f64 v[196:197], v[4:5], v[34:35], v[198:199]
	v_fma_f64 v[198:199], v[2:3], v[34:35], -v[36:37]
	scratch_load_b128 v[34:37], off, off offset:320
	ds_load_b128 v[2:5], v1 offset:880
	s_waitcnt vmcnt(9) lgkmcnt(1)
	v_mul_f64 v[192:193], v[176:177], v[182:183]
	v_mul_f64 v[194:195], v[178:179], v[182:183]
	v_add_f64 v[188:189], v[188:189], v[184:185]
	v_add_f64 v[186:187], v[190:191], v[186:187]
	ds_load_b128 v[182:185], v1 offset:896
	v_fma_f64 v[192:193], v[178:179], v[180:181], v[192:193]
	v_fma_f64 v[180:181], v[176:177], v[180:181], -v[194:195]
	scratch_load_b128 v[176:179], off, off offset:336
	s_waitcnt vmcnt(9) lgkmcnt(1)
	v_mul_f64 v[190:191], v[2:3], v[40:41]
	v_mul_f64 v[40:41], v[4:5], v[40:41]
	v_add_f64 v[188:189], v[188:189], v[198:199]
	v_add_f64 v[186:187], v[186:187], v[196:197]
	s_delay_alu instid0(VALU_DEP_4) | instskip(NEXT) | instid1(VALU_DEP_4)
	v_fma_f64 v[190:191], v[4:5], v[38:39], v[190:191]
	v_fma_f64 v[196:197], v[2:3], v[38:39], -v[40:41]
	scratch_load_b128 v[38:41], off, off offset:352
	ds_load_b128 v[2:5], v1 offset:912
	s_waitcnt vmcnt(9) lgkmcnt(1)
	v_mul_f64 v[194:195], v[182:183], v[8:9]
	v_mul_f64 v[8:9], v[184:185], v[8:9]
	s_waitcnt vmcnt(8) lgkmcnt(0)
	v_mul_f64 v[198:199], v[2:3], v[12:13]
	v_mul_f64 v[12:13], v[4:5], v[12:13]
	v_add_f64 v[180:181], v[188:189], v[180:181]
	v_add_f64 v[192:193], v[186:187], v[192:193]
	ds_load_b128 v[186:189], v1 offset:928
	v_fma_f64 v[184:185], v[184:185], v[6:7], v[194:195]
	v_fma_f64 v[182:183], v[182:183], v[6:7], -v[8:9]
	scratch_load_b128 v[6:9], off, off offset:368
	v_fma_f64 v[194:195], v[4:5], v[10:11], v[198:199]
	v_add_f64 v[180:181], v[180:181], v[196:197]
	v_add_f64 v[190:191], v[192:193], v[190:191]
	v_fma_f64 v[196:197], v[2:3], v[10:11], -v[12:13]
	scratch_load_b128 v[10:13], off, off offset:384
	ds_load_b128 v[2:5], v1 offset:944
	s_waitcnt vmcnt(9) lgkmcnt(1)
	v_mul_f64 v[192:193], v[186:187], v[16:17]
	v_mul_f64 v[16:17], v[188:189], v[16:17]
	v_add_f64 v[198:199], v[180:181], v[182:183]
	v_add_f64 v[184:185], v[190:191], v[184:185]
	s_waitcnt vmcnt(8) lgkmcnt(0)
	v_mul_f64 v[190:191], v[2:3], v[20:21]
	v_mul_f64 v[20:21], v[4:5], v[20:21]
	ds_load_b128 v[180:183], v1 offset:960
	v_fma_f64 v[188:189], v[188:189], v[14:15], v[192:193]
	v_fma_f64 v[186:187], v[186:187], v[14:15], -v[16:17]
	scratch_load_b128 v[14:17], off, off offset:400
	v_add_f64 v[192:193], v[198:199], v[196:197]
	v_add_f64 v[184:185], v[184:185], v[194:195]
	v_fma_f64 v[190:191], v[4:5], v[18:19], v[190:191]
	v_fma_f64 v[196:197], v[2:3], v[18:19], -v[20:21]
	scratch_load_b128 v[18:21], off, off offset:416
	ds_load_b128 v[2:5], v1 offset:976
	s_waitcnt vmcnt(9) lgkmcnt(1)
	v_mul_f64 v[194:195], v[180:181], v[24:25]
	v_mul_f64 v[24:25], v[182:183], v[24:25]
	s_waitcnt vmcnt(8) lgkmcnt(0)
	v_mul_f64 v[198:199], v[2:3], v[28:29]
	v_mul_f64 v[28:29], v[4:5], v[28:29]
	v_add_f64 v[192:193], v[192:193], v[186:187]
	v_add_f64 v[188:189], v[184:185], v[188:189]
	ds_load_b128 v[184:187], v1 offset:992
	v_fma_f64 v[182:183], v[182:183], v[22:23], v[194:195]
	v_fma_f64 v[180:181], v[180:181], v[22:23], -v[24:25]
	scratch_load_b128 v[22:25], off, off offset:432
	v_fma_f64 v[194:195], v[4:5], v[26:27], v[198:199]
	v_add_f64 v[192:193], v[192:193], v[196:197]
	v_add_f64 v[188:189], v[188:189], v[190:191]
	v_fma_f64 v[196:197], v[2:3], v[26:27], -v[28:29]
	scratch_load_b128 v[26:29], off, off offset:448
	ds_load_b128 v[2:5], v1 offset:1008
	s_waitcnt vmcnt(9) lgkmcnt(1)
	v_mul_f64 v[190:191], v[184:185], v[32:33]
	v_mul_f64 v[32:33], v[186:187], v[32:33]
	s_waitcnt vmcnt(8) lgkmcnt(0)
	v_mul_f64 v[198:199], v[2:3], v[36:37]
	v_mul_f64 v[36:37], v[4:5], v[36:37]
	v_add_f64 v[192:193], v[192:193], v[180:181]
	v_add_f64 v[188:189], v[188:189], v[182:183]
	ds_load_b128 v[180:183], v1 offset:1024
	v_fma_f64 v[186:187], v[186:187], v[30:31], v[190:191]
	v_fma_f64 v[184:185], v[184:185], v[30:31], -v[32:33]
	scratch_load_b128 v[30:33], off, off offset:464
	v_add_f64 v[190:191], v[192:193], v[196:197]
	v_add_f64 v[188:189], v[188:189], v[194:195]
	v_fma_f64 v[194:195], v[4:5], v[34:35], v[198:199]
	v_fma_f64 v[196:197], v[2:3], v[34:35], -v[36:37]
	scratch_load_b128 v[34:37], off, off offset:480
	ds_load_b128 v[2:5], v1 offset:1040
	s_waitcnt vmcnt(9) lgkmcnt(1)
	v_mul_f64 v[192:193], v[180:181], v[178:179]
	v_mul_f64 v[178:179], v[182:183], v[178:179]
	s_waitcnt vmcnt(8) lgkmcnt(0)
	v_mul_f64 v[198:199], v[2:3], v[40:41]
	v_mul_f64 v[40:41], v[4:5], v[40:41]
	v_add_f64 v[190:191], v[190:191], v[184:185]
	v_add_f64 v[188:189], v[188:189], v[186:187]
	ds_load_b128 v[184:187], v1 offset:1056
	v_fma_f64 v[182:183], v[182:183], v[176:177], v[192:193]
	v_fma_f64 v[180:181], v[180:181], v[176:177], -v[178:179]
	scratch_load_b128 v[176:179], off, off offset:496
	v_add_f64 v[190:191], v[190:191], v[196:197]
	v_add_f64 v[188:189], v[188:189], v[194:195]
	v_fma_f64 v[194:195], v[4:5], v[38:39], v[198:199]
	v_fma_f64 v[196:197], v[2:3], v[38:39], -v[40:41]
	scratch_load_b128 v[38:41], off, off offset:512
	ds_load_b128 v[2:5], v1 offset:1072
	s_waitcnt vmcnt(9) lgkmcnt(1)
	v_mul_f64 v[192:193], v[184:185], v[8:9]
	v_mul_f64 v[8:9], v[186:187], v[8:9]
	s_waitcnt vmcnt(8) lgkmcnt(0)
	v_mul_f64 v[198:199], v[2:3], v[12:13]
	v_mul_f64 v[12:13], v[4:5], v[12:13]
	v_add_f64 v[190:191], v[190:191], v[180:181]
	v_add_f64 v[188:189], v[188:189], v[182:183]
	ds_load_b128 v[180:183], v1 offset:1088
	v_fma_f64 v[186:187], v[186:187], v[6:7], v[192:193]
	v_fma_f64 v[184:185], v[184:185], v[6:7], -v[8:9]
	scratch_load_b128 v[6:9], off, off offset:528
	v_add_f64 v[190:191], v[190:191], v[196:197]
	v_add_f64 v[188:189], v[188:189], v[194:195]
	v_fma_f64 v[194:195], v[4:5], v[10:11], v[198:199]
	v_fma_f64 v[196:197], v[2:3], v[10:11], -v[12:13]
	scratch_load_b128 v[10:13], off, off offset:544
	ds_load_b128 v[2:5], v1 offset:1104
	s_waitcnt vmcnt(9) lgkmcnt(1)
	v_mul_f64 v[192:193], v[180:181], v[16:17]
	v_mul_f64 v[16:17], v[182:183], v[16:17]
	s_waitcnt vmcnt(8) lgkmcnt(0)
	v_mul_f64 v[198:199], v[2:3], v[20:21]
	v_mul_f64 v[20:21], v[4:5], v[20:21]
	v_add_f64 v[190:191], v[190:191], v[184:185]
	v_add_f64 v[188:189], v[188:189], v[186:187]
	ds_load_b128 v[184:187], v1 offset:1120
	v_fma_f64 v[182:183], v[182:183], v[14:15], v[192:193]
	v_fma_f64 v[180:181], v[180:181], v[14:15], -v[16:17]
	scratch_load_b128 v[14:17], off, off offset:560
	v_add_f64 v[190:191], v[190:191], v[196:197]
	v_add_f64 v[188:189], v[188:189], v[194:195]
	v_fma_f64 v[194:195], v[4:5], v[18:19], v[198:199]
	v_fma_f64 v[196:197], v[2:3], v[18:19], -v[20:21]
	scratch_load_b128 v[18:21], off, off offset:576
	ds_load_b128 v[2:5], v1 offset:1136
	s_waitcnt vmcnt(9) lgkmcnt(1)
	v_mul_f64 v[192:193], v[184:185], v[24:25]
	v_mul_f64 v[24:25], v[186:187], v[24:25]
	s_waitcnt vmcnt(8) lgkmcnt(0)
	v_mul_f64 v[198:199], v[2:3], v[28:29]
	v_mul_f64 v[28:29], v[4:5], v[28:29]
	v_add_f64 v[190:191], v[190:191], v[180:181]
	v_add_f64 v[188:189], v[188:189], v[182:183]
	ds_load_b128 v[180:183], v1 offset:1152
	v_fma_f64 v[186:187], v[186:187], v[22:23], v[192:193]
	v_fma_f64 v[184:185], v[184:185], v[22:23], -v[24:25]
	scratch_load_b128 v[22:25], off, off offset:592
	v_add_f64 v[190:191], v[190:191], v[196:197]
	v_add_f64 v[188:189], v[188:189], v[194:195]
	v_fma_f64 v[194:195], v[4:5], v[26:27], v[198:199]
	v_fma_f64 v[196:197], v[2:3], v[26:27], -v[28:29]
	scratch_load_b128 v[26:29], off, off offset:608
	ds_load_b128 v[2:5], v1 offset:1168
	s_waitcnt vmcnt(9) lgkmcnt(1)
	v_mul_f64 v[192:193], v[180:181], v[32:33]
	v_mul_f64 v[32:33], v[182:183], v[32:33]
	s_waitcnt vmcnt(8) lgkmcnt(0)
	v_mul_f64 v[198:199], v[2:3], v[36:37]
	v_mul_f64 v[36:37], v[4:5], v[36:37]
	v_add_f64 v[190:191], v[190:191], v[184:185]
	v_add_f64 v[188:189], v[188:189], v[186:187]
	ds_load_b128 v[184:187], v1 offset:1184
	v_fma_f64 v[182:183], v[182:183], v[30:31], v[192:193]
	v_fma_f64 v[180:181], v[180:181], v[30:31], -v[32:33]
	scratch_load_b128 v[30:33], off, off offset:624
	v_add_f64 v[190:191], v[190:191], v[196:197]
	v_add_f64 v[188:189], v[188:189], v[194:195]
	v_fma_f64 v[196:197], v[4:5], v[34:35], v[198:199]
	v_fma_f64 v[198:199], v[2:3], v[34:35], -v[36:37]
	scratch_load_b128 v[34:37], off, off offset:640
	ds_load_b128 v[2:5], v1 offset:1200
	s_waitcnt vmcnt(9) lgkmcnt(1)
	v_mul_f64 v[192:193], v[184:185], v[178:179]
	v_mul_f64 v[194:195], v[186:187], v[178:179]
	v_add_f64 v[190:191], v[190:191], v[180:181]
	v_add_f64 v[182:183], v[188:189], v[182:183]
	s_waitcnt vmcnt(8) lgkmcnt(0)
	v_mul_f64 v[188:189], v[2:3], v[40:41]
	v_mul_f64 v[40:41], v[4:5], v[40:41]
	ds_load_b128 v[178:181], v1 offset:1216
	v_fma_f64 v[186:187], v[186:187], v[176:177], v[192:193]
	v_fma_f64 v[176:177], v[184:185], v[176:177], -v[194:195]
	v_add_f64 v[190:191], v[190:191], v[198:199]
	v_add_f64 v[192:193], v[182:183], v[196:197]
	scratch_load_b128 v[182:185], off, off offset:656
	v_fma_f64 v[196:197], v[4:5], v[38:39], v[188:189]
	v_fma_f64 v[198:199], v[2:3], v[38:39], -v[40:41]
	scratch_load_b128 v[38:41], off, off offset:672
	ds_load_b128 v[2:5], v1 offset:1232
	s_waitcnt vmcnt(9) lgkmcnt(1)
	v_mul_f64 v[194:195], v[178:179], v[8:9]
	v_mul_f64 v[8:9], v[180:181], v[8:9]
	v_add_f64 v[176:177], v[190:191], v[176:177]
	v_add_f64 v[190:191], v[192:193], v[186:187]
	s_waitcnt vmcnt(8) lgkmcnt(0)
	v_mul_f64 v[192:193], v[2:3], v[12:13]
	v_mul_f64 v[12:13], v[4:5], v[12:13]
	ds_load_b128 v[186:189], v1 offset:1248
	v_fma_f64 v[180:181], v[180:181], v[6:7], v[194:195]
	v_fma_f64 v[6:7], v[178:179], v[6:7], -v[8:9]
	s_waitcnt vmcnt(7) lgkmcnt(0)
	v_mul_f64 v[178:179], v[186:187], v[16:17]
	v_mul_f64 v[16:17], v[188:189], v[16:17]
	v_add_f64 v[8:9], v[176:177], v[198:199]
	v_add_f64 v[176:177], v[190:191], v[196:197]
	v_fma_f64 v[190:191], v[4:5], v[10:11], v[192:193]
	v_fma_f64 v[10:11], v[2:3], v[10:11], -v[12:13]
	v_fma_f64 v[178:179], v[188:189], v[14:15], v[178:179]
	v_fma_f64 v[14:15], v[186:187], v[14:15], -v[16:17]
	v_add_f64 v[12:13], v[8:9], v[6:7]
	v_add_f64 v[176:177], v[176:177], v[180:181]
	ds_load_b128 v[2:5], v1 offset:1264
	ds_load_b128 v[6:9], v1 offset:1280
	s_waitcnt vmcnt(6) lgkmcnt(1)
	v_mul_f64 v[180:181], v[2:3], v[20:21]
	v_mul_f64 v[20:21], v[4:5], v[20:21]
	s_waitcnt vmcnt(5) lgkmcnt(0)
	v_mul_f64 v[16:17], v[6:7], v[24:25]
	v_mul_f64 v[24:25], v[8:9], v[24:25]
	v_add_f64 v[10:11], v[12:13], v[10:11]
	v_add_f64 v[12:13], v[176:177], v[190:191]
	v_fma_f64 v[176:177], v[4:5], v[18:19], v[180:181]
	v_fma_f64 v[18:19], v[2:3], v[18:19], -v[20:21]
	v_fma_f64 v[8:9], v[8:9], v[22:23], v[16:17]
	v_fma_f64 v[6:7], v[6:7], v[22:23], -v[24:25]
	v_add_f64 v[14:15], v[10:11], v[14:15]
	v_add_f64 v[20:21], v[12:13], v[178:179]
	ds_load_b128 v[2:5], v1 offset:1296
	ds_load_b128 v[10:13], v1 offset:1312
	s_waitcnt vmcnt(4) lgkmcnt(1)
	v_mul_f64 v[178:179], v[2:3], v[28:29]
	v_mul_f64 v[28:29], v[4:5], v[28:29]
	v_add_f64 v[14:15], v[14:15], v[18:19]
	v_add_f64 v[16:17], v[20:21], v[176:177]
	s_waitcnt vmcnt(3) lgkmcnt(0)
	v_mul_f64 v[18:19], v[10:11], v[32:33]
	v_mul_f64 v[20:21], v[12:13], v[32:33]
	v_fma_f64 v[22:23], v[4:5], v[26:27], v[178:179]
	v_fma_f64 v[24:25], v[2:3], v[26:27], -v[28:29]
	v_add_f64 v[14:15], v[14:15], v[6:7]
	v_add_f64 v[16:17], v[16:17], v[8:9]
	ds_load_b128 v[2:5], v1 offset:1328
	ds_load_b128 v[6:9], v1 offset:1344
	v_fma_f64 v[12:13], v[12:13], v[30:31], v[18:19]
	v_fma_f64 v[10:11], v[10:11], v[30:31], -v[20:21]
	s_waitcnt vmcnt(2) lgkmcnt(1)
	v_mul_f64 v[26:27], v[2:3], v[36:37]
	v_mul_f64 v[28:29], v[4:5], v[36:37]
	v_add_f64 v[14:15], v[14:15], v[24:25]
	v_add_f64 v[16:17], v[16:17], v[22:23]
	s_waitcnt vmcnt(1) lgkmcnt(0)
	v_mul_f64 v[18:19], v[6:7], v[184:185]
	v_mul_f64 v[20:21], v[8:9], v[184:185]
	v_fma_f64 v[22:23], v[4:5], v[34:35], v[26:27]
	v_fma_f64 v[24:25], v[2:3], v[34:35], -v[28:29]
	ds_load_b128 v[2:5], v1 offset:1360
	v_add_f64 v[10:11], v[14:15], v[10:11]
	v_add_f64 v[12:13], v[16:17], v[12:13]
	s_waitcnt vmcnt(0) lgkmcnt(0)
	v_mul_f64 v[14:15], v[2:3], v[40:41]
	v_mul_f64 v[16:17], v[4:5], v[40:41]
	v_fma_f64 v[8:9], v[8:9], v[182:183], v[18:19]
	v_fma_f64 v[6:7], v[6:7], v[182:183], -v[20:21]
	v_add_f64 v[10:11], v[10:11], v[24:25]
	v_add_f64 v[12:13], v[12:13], v[22:23]
	v_fma_f64 v[4:5], v[4:5], v[38:39], v[14:15]
	v_fma_f64 v[2:3], v[2:3], v[38:39], -v[16:17]
	s_delay_alu instid0(VALU_DEP_4) | instskip(NEXT) | instid1(VALU_DEP_4)
	v_add_f64 v[6:7], v[10:11], v[6:7]
	v_add_f64 v[8:9], v[12:13], v[8:9]
	s_delay_alu instid0(VALU_DEP_2) | instskip(NEXT) | instid1(VALU_DEP_2)
	v_add_f64 v[2:3], v[6:7], v[2:3]
	v_add_f64 v[4:5], v[8:9], v[4:5]
	s_delay_alu instid0(VALU_DEP_2) | instskip(NEXT) | instid1(VALU_DEP_2)
	v_add_f64 v[2:3], v[42:43], -v[2:3]
	v_add_f64 v[4:5], v[44:45], -v[4:5]
	scratch_store_b128 off, v[2:5], off offset:16
	v_cmpx_ne_u32_e32 0, v132
	s_cbranch_execz .LBB42_271
; %bb.270:
	scratch_load_b128 v[5:8], off, off
	v_mov_b32_e32 v2, v1
	v_mov_b32_e32 v3, v1
	;; [unrolled: 1-line block ×3, first 2 shown]
	scratch_store_b128 off, v[1:4], off
	s_waitcnt vmcnt(0)
	ds_store_b128 v175, v[5:8]
.LBB42_271:
	s_or_b32 exec_lo, exec_lo, s2
	s_waitcnt lgkmcnt(0)
	s_waitcnt_vscnt null, 0x0
	s_barrier
	buffer_gl0_inv
	s_clause 0x8
	scratch_load_b128 v[2:5], off, off offset:16
	scratch_load_b128 v[6:9], off, off offset:32
	;; [unrolled: 1-line block ×9, first 2 shown]
	ds_load_b128 v[42:45], v1 offset:704
	ds_load_b128 v[38:41], v1 offset:720
	s_clause 0x1
	scratch_load_b128 v[175:178], off, off
	scratch_load_b128 v[179:182], off, off offset:160
	s_and_b32 vcc_lo, exec_lo, s20
	s_waitcnt vmcnt(10) lgkmcnt(1)
	v_mul_f64 v[183:184], v[44:45], v[4:5]
	v_mul_f64 v[4:5], v[42:43], v[4:5]
	s_waitcnt vmcnt(9) lgkmcnt(0)
	v_mul_f64 v[187:188], v[38:39], v[8:9]
	v_mul_f64 v[8:9], v[40:41], v[8:9]
	s_delay_alu instid0(VALU_DEP_4) | instskip(NEXT) | instid1(VALU_DEP_4)
	v_fma_f64 v[189:190], v[42:43], v[2:3], -v[183:184]
	v_fma_f64 v[191:192], v[44:45], v[2:3], v[4:5]
	ds_load_b128 v[2:5], v1 offset:736
	ds_load_b128 v[183:186], v1 offset:752
	scratch_load_b128 v[42:45], off, off offset:176
	v_fma_f64 v[40:41], v[40:41], v[6:7], v[187:188]
	v_fma_f64 v[38:39], v[38:39], v[6:7], -v[8:9]
	scratch_load_b128 v[6:9], off, off offset:192
	s_waitcnt vmcnt(10) lgkmcnt(1)
	v_mul_f64 v[193:194], v[2:3], v[12:13]
	v_mul_f64 v[12:13], v[4:5], v[12:13]
	v_add_f64 v[187:188], v[189:190], 0
	v_add_f64 v[189:190], v[191:192], 0
	s_waitcnt vmcnt(9) lgkmcnt(0)
	v_mul_f64 v[191:192], v[183:184], v[16:17]
	v_mul_f64 v[16:17], v[185:186], v[16:17]
	v_fma_f64 v[193:194], v[4:5], v[10:11], v[193:194]
	v_fma_f64 v[195:196], v[2:3], v[10:11], -v[12:13]
	ds_load_b128 v[2:5], v1 offset:768
	scratch_load_b128 v[10:13], off, off offset:208
	v_add_f64 v[187:188], v[187:188], v[38:39]
	v_add_f64 v[189:190], v[189:190], v[40:41]
	ds_load_b128 v[38:41], v1 offset:784
	v_fma_f64 v[185:186], v[185:186], v[14:15], v[191:192]
	v_fma_f64 v[183:184], v[183:184], v[14:15], -v[16:17]
	scratch_load_b128 v[14:17], off, off offset:224
	s_waitcnt vmcnt(10) lgkmcnt(1)
	v_mul_f64 v[197:198], v[2:3], v[20:21]
	v_mul_f64 v[20:21], v[4:5], v[20:21]
	s_waitcnt vmcnt(9) lgkmcnt(0)
	v_mul_f64 v[191:192], v[38:39], v[24:25]
	v_mul_f64 v[24:25], v[40:41], v[24:25]
	v_add_f64 v[187:188], v[187:188], v[195:196]
	v_add_f64 v[189:190], v[189:190], v[193:194]
	v_fma_f64 v[193:194], v[4:5], v[18:19], v[197:198]
	v_fma_f64 v[195:196], v[2:3], v[18:19], -v[20:21]
	ds_load_b128 v[2:5], v1 offset:800
	scratch_load_b128 v[18:21], off, off offset:240
	v_fma_f64 v[40:41], v[40:41], v[22:23], v[191:192]
	v_fma_f64 v[38:39], v[38:39], v[22:23], -v[24:25]
	scratch_load_b128 v[22:25], off, off offset:256
	v_add_f64 v[187:188], v[187:188], v[183:184]
	v_add_f64 v[189:190], v[189:190], v[185:186]
	ds_load_b128 v[183:186], v1 offset:816
	s_waitcnt vmcnt(10) lgkmcnt(1)
	v_mul_f64 v[197:198], v[2:3], v[28:29]
	v_mul_f64 v[28:29], v[4:5], v[28:29]
	s_waitcnt vmcnt(9) lgkmcnt(0)
	v_mul_f64 v[191:192], v[183:184], v[32:33]
	v_mul_f64 v[32:33], v[185:186], v[32:33]
	v_add_f64 v[187:188], v[187:188], v[195:196]
	v_add_f64 v[189:190], v[189:190], v[193:194]
	v_fma_f64 v[193:194], v[4:5], v[26:27], v[197:198]
	v_fma_f64 v[195:196], v[2:3], v[26:27], -v[28:29]
	ds_load_b128 v[2:5], v1 offset:832
	scratch_load_b128 v[26:29], off, off offset:272
	v_fma_f64 v[185:186], v[185:186], v[30:31], v[191:192]
	v_fma_f64 v[183:184], v[183:184], v[30:31], -v[32:33]
	scratch_load_b128 v[30:33], off, off offset:288
	v_add_f64 v[187:188], v[187:188], v[38:39]
	v_add_f64 v[189:190], v[189:190], v[40:41]
	ds_load_b128 v[38:41], v1 offset:848
	s_waitcnt vmcnt(10) lgkmcnt(1)
	v_mul_f64 v[197:198], v[2:3], v[36:37]
	v_mul_f64 v[36:37], v[4:5], v[36:37]
	s_waitcnt vmcnt(8) lgkmcnt(0)
	v_mul_f64 v[191:192], v[38:39], v[181:182]
	v_add_f64 v[187:188], v[187:188], v[195:196]
	v_add_f64 v[189:190], v[189:190], v[193:194]
	v_mul_f64 v[193:194], v[40:41], v[181:182]
	v_fma_f64 v[195:196], v[4:5], v[34:35], v[197:198]
	v_fma_f64 v[197:198], v[2:3], v[34:35], -v[36:37]
	ds_load_b128 v[2:5], v1 offset:864
	scratch_load_b128 v[34:37], off, off offset:304
	v_fma_f64 v[191:192], v[40:41], v[179:180], v[191:192]
	v_add_f64 v[187:188], v[187:188], v[183:184]
	v_add_f64 v[185:186], v[189:190], v[185:186]
	ds_load_b128 v[181:184], v1 offset:880
	v_fma_f64 v[179:180], v[38:39], v[179:180], -v[193:194]
	scratch_load_b128 v[38:41], off, off offset:320
	s_waitcnt vmcnt(9) lgkmcnt(1)
	v_mul_f64 v[189:190], v[2:3], v[44:45]
	v_mul_f64 v[44:45], v[4:5], v[44:45]
	s_waitcnt vmcnt(8) lgkmcnt(0)
	v_mul_f64 v[193:194], v[181:182], v[8:9]
	v_mul_f64 v[8:9], v[183:184], v[8:9]
	v_add_f64 v[187:188], v[187:188], v[197:198]
	v_add_f64 v[185:186], v[185:186], v[195:196]
	v_fma_f64 v[189:190], v[4:5], v[42:43], v[189:190]
	v_fma_f64 v[195:196], v[2:3], v[42:43], -v[44:45]
	ds_load_b128 v[2:5], v1 offset:896
	scratch_load_b128 v[42:45], off, off offset:336
	v_fma_f64 v[183:184], v[183:184], v[6:7], v[193:194]
	v_fma_f64 v[181:182], v[181:182], v[6:7], -v[8:9]
	scratch_load_b128 v[6:9], off, off offset:352
	v_add_f64 v[179:180], v[187:188], v[179:180]
	v_add_f64 v[191:192], v[185:186], v[191:192]
	ds_load_b128 v[185:188], v1 offset:912
	s_waitcnt vmcnt(9) lgkmcnt(1)
	v_mul_f64 v[197:198], v[2:3], v[12:13]
	v_mul_f64 v[12:13], v[4:5], v[12:13]
	v_add_f64 v[179:180], v[179:180], v[195:196]
	v_add_f64 v[189:190], v[191:192], v[189:190]
	s_waitcnt vmcnt(8) lgkmcnt(0)
	v_mul_f64 v[191:192], v[185:186], v[16:17]
	v_mul_f64 v[16:17], v[187:188], v[16:17]
	v_fma_f64 v[193:194], v[4:5], v[10:11], v[197:198]
	v_fma_f64 v[195:196], v[2:3], v[10:11], -v[12:13]
	ds_load_b128 v[2:5], v1 offset:928
	scratch_load_b128 v[10:13], off, off offset:368
	v_add_f64 v[197:198], v[179:180], v[181:182]
	v_add_f64 v[183:184], v[189:190], v[183:184]
	ds_load_b128 v[179:182], v1 offset:944
	s_waitcnt vmcnt(8) lgkmcnt(1)
	v_mul_f64 v[189:190], v[2:3], v[20:21]
	v_mul_f64 v[20:21], v[4:5], v[20:21]
	v_fma_f64 v[187:188], v[187:188], v[14:15], v[191:192]
	v_fma_f64 v[185:186], v[185:186], v[14:15], -v[16:17]
	scratch_load_b128 v[14:17], off, off offset:384
	v_add_f64 v[191:192], v[197:198], v[195:196]
	v_add_f64 v[183:184], v[183:184], v[193:194]
	s_waitcnt vmcnt(8) lgkmcnt(0)
	v_mul_f64 v[193:194], v[179:180], v[24:25]
	v_mul_f64 v[24:25], v[181:182], v[24:25]
	v_fma_f64 v[189:190], v[4:5], v[18:19], v[189:190]
	v_fma_f64 v[195:196], v[2:3], v[18:19], -v[20:21]
	ds_load_b128 v[2:5], v1 offset:960
	scratch_load_b128 v[18:21], off, off offset:400
	v_add_f64 v[191:192], v[191:192], v[185:186]
	v_add_f64 v[187:188], v[183:184], v[187:188]
	ds_load_b128 v[183:186], v1 offset:976
	s_waitcnt vmcnt(8) lgkmcnt(1)
	v_mul_f64 v[197:198], v[2:3], v[28:29]
	v_mul_f64 v[28:29], v[4:5], v[28:29]
	v_fma_f64 v[181:182], v[181:182], v[22:23], v[193:194]
	v_fma_f64 v[179:180], v[179:180], v[22:23], -v[24:25]
	scratch_load_b128 v[22:25], off, off offset:416
	;; [unrolled: 18-line block ×4, first 2 shown]
	s_waitcnt vmcnt(8) lgkmcnt(0)
	v_mul_f64 v[191:192], v[183:184], v[8:9]
	v_mul_f64 v[8:9], v[185:186], v[8:9]
	v_add_f64 v[189:190], v[189:190], v[195:196]
	v_add_f64 v[187:188], v[187:188], v[193:194]
	v_fma_f64 v[193:194], v[4:5], v[42:43], v[197:198]
	v_fma_f64 v[195:196], v[2:3], v[42:43], -v[44:45]
	ds_load_b128 v[2:5], v1 offset:1056
	scratch_load_b128 v[42:45], off, off offset:496
	v_fma_f64 v[185:186], v[185:186], v[6:7], v[191:192]
	v_fma_f64 v[183:184], v[183:184], v[6:7], -v[8:9]
	scratch_load_b128 v[6:9], off, off offset:512
	v_add_f64 v[189:190], v[189:190], v[179:180]
	v_add_f64 v[187:188], v[187:188], v[181:182]
	ds_load_b128 v[179:182], v1 offset:1072
	s_waitcnt vmcnt(9) lgkmcnt(1)
	v_mul_f64 v[197:198], v[2:3], v[12:13]
	v_mul_f64 v[12:13], v[4:5], v[12:13]
	s_waitcnt vmcnt(8) lgkmcnt(0)
	v_mul_f64 v[191:192], v[179:180], v[16:17]
	v_mul_f64 v[16:17], v[181:182], v[16:17]
	v_add_f64 v[189:190], v[189:190], v[195:196]
	v_add_f64 v[187:188], v[187:188], v[193:194]
	v_fma_f64 v[193:194], v[4:5], v[10:11], v[197:198]
	v_fma_f64 v[195:196], v[2:3], v[10:11], -v[12:13]
	ds_load_b128 v[2:5], v1 offset:1088
	scratch_load_b128 v[10:13], off, off offset:528
	v_fma_f64 v[181:182], v[181:182], v[14:15], v[191:192]
	v_fma_f64 v[179:180], v[179:180], v[14:15], -v[16:17]
	scratch_load_b128 v[14:17], off, off offset:544
	v_add_f64 v[189:190], v[189:190], v[183:184]
	v_add_f64 v[187:188], v[187:188], v[185:186]
	ds_load_b128 v[183:186], v1 offset:1104
	s_waitcnt vmcnt(9) lgkmcnt(1)
	v_mul_f64 v[197:198], v[2:3], v[20:21]
	v_mul_f64 v[20:21], v[4:5], v[20:21]
	;; [unrolled: 18-line block ×6, first 2 shown]
	s_waitcnt vmcnt(8) lgkmcnt(0)
	v_mul_f64 v[191:192], v[183:184], v[16:17]
	v_mul_f64 v[16:17], v[185:186], v[16:17]
	v_add_f64 v[189:190], v[189:190], v[195:196]
	v_add_f64 v[187:188], v[187:188], v[193:194]
	v_fma_f64 v[193:194], v[4:5], v[10:11], v[197:198]
	v_fma_f64 v[195:196], v[2:3], v[10:11], -v[12:13]
	ds_load_b128 v[2:5], v1 offset:1248
	ds_load_b128 v[10:13], v1 offset:1264
	v_fma_f64 v[185:186], v[185:186], v[14:15], v[191:192]
	v_fma_f64 v[14:15], v[183:184], v[14:15], -v[16:17]
	v_add_f64 v[179:180], v[189:190], v[179:180]
	v_add_f64 v[181:182], v[187:188], v[181:182]
	s_waitcnt vmcnt(7) lgkmcnt(1)
	v_mul_f64 v[187:188], v[2:3], v[20:21]
	v_mul_f64 v[20:21], v[4:5], v[20:21]
	s_delay_alu instid0(VALU_DEP_4) | instskip(NEXT) | instid1(VALU_DEP_4)
	v_add_f64 v[16:17], v[179:180], v[195:196]
	v_add_f64 v[179:180], v[181:182], v[193:194]
	s_waitcnt vmcnt(6) lgkmcnt(0)
	v_mul_f64 v[181:182], v[10:11], v[24:25]
	v_mul_f64 v[24:25], v[12:13], v[24:25]
	v_fma_f64 v[183:184], v[4:5], v[18:19], v[187:188]
	v_fma_f64 v[18:19], v[2:3], v[18:19], -v[20:21]
	v_add_f64 v[20:21], v[16:17], v[14:15]
	v_add_f64 v[179:180], v[179:180], v[185:186]
	ds_load_b128 v[2:5], v1 offset:1280
	ds_load_b128 v[14:17], v1 offset:1296
	v_fma_f64 v[12:13], v[12:13], v[22:23], v[181:182]
	v_fma_f64 v[10:11], v[10:11], v[22:23], -v[24:25]
	s_waitcnt vmcnt(5) lgkmcnt(1)
	v_mul_f64 v[185:186], v[2:3], v[28:29]
	v_mul_f64 v[28:29], v[4:5], v[28:29]
	s_waitcnt vmcnt(4) lgkmcnt(0)
	v_mul_f64 v[22:23], v[14:15], v[32:33]
	v_mul_f64 v[24:25], v[16:17], v[32:33]
	v_add_f64 v[18:19], v[20:21], v[18:19]
	v_add_f64 v[20:21], v[179:180], v[183:184]
	v_fma_f64 v[32:33], v[4:5], v[26:27], v[185:186]
	v_fma_f64 v[26:27], v[2:3], v[26:27], -v[28:29]
	v_fma_f64 v[16:17], v[16:17], v[30:31], v[22:23]
	v_fma_f64 v[14:15], v[14:15], v[30:31], -v[24:25]
	v_add_f64 v[18:19], v[18:19], v[10:11]
	v_add_f64 v[20:21], v[20:21], v[12:13]
	ds_load_b128 v[2:5], v1 offset:1312
	ds_load_b128 v[10:13], v1 offset:1328
	s_waitcnt vmcnt(3) lgkmcnt(1)
	v_mul_f64 v[28:29], v[2:3], v[36:37]
	v_mul_f64 v[36:37], v[4:5], v[36:37]
	s_waitcnt vmcnt(2) lgkmcnt(0)
	v_mul_f64 v[22:23], v[10:11], v[40:41]
	v_mul_f64 v[24:25], v[12:13], v[40:41]
	v_add_f64 v[18:19], v[18:19], v[26:27]
	v_add_f64 v[20:21], v[20:21], v[32:33]
	v_fma_f64 v[26:27], v[4:5], v[34:35], v[28:29]
	v_fma_f64 v[28:29], v[2:3], v[34:35], -v[36:37]
	v_fma_f64 v[12:13], v[12:13], v[38:39], v[22:23]
	v_fma_f64 v[10:11], v[10:11], v[38:39], -v[24:25]
	v_add_f64 v[18:19], v[18:19], v[14:15]
	v_add_f64 v[20:21], v[20:21], v[16:17]
	ds_load_b128 v[2:5], v1 offset:1344
	ds_load_b128 v[14:17], v1 offset:1360
	s_waitcnt vmcnt(1) lgkmcnt(1)
	v_mul_f64 v[30:31], v[2:3], v[44:45]
	v_mul_f64 v[32:33], v[4:5], v[44:45]
	s_waitcnt vmcnt(0) lgkmcnt(0)
	v_mul_f64 v[22:23], v[14:15], v[8:9]
	v_mul_f64 v[8:9], v[16:17], v[8:9]
	v_add_f64 v[18:19], v[18:19], v[28:29]
	v_add_f64 v[20:21], v[20:21], v[26:27]
	v_fma_f64 v[4:5], v[4:5], v[42:43], v[30:31]
	v_fma_f64 v[1:2], v[2:3], v[42:43], -v[32:33]
	v_fma_f64 v[16:17], v[16:17], v[6:7], v[22:23]
	v_fma_f64 v[6:7], v[14:15], v[6:7], -v[8:9]
	v_add_f64 v[10:11], v[18:19], v[10:11]
	v_add_f64 v[12:13], v[20:21], v[12:13]
	s_delay_alu instid0(VALU_DEP_2) | instskip(NEXT) | instid1(VALU_DEP_2)
	v_add_f64 v[1:2], v[10:11], v[1:2]
	v_add_f64 v[3:4], v[12:13], v[4:5]
	s_delay_alu instid0(VALU_DEP_2) | instskip(NEXT) | instid1(VALU_DEP_2)
	;; [unrolled: 3-line block ×3, first 2 shown]
	v_add_f64 v[1:2], v[175:176], -v[1:2]
	v_add_f64 v[3:4], v[177:178], -v[3:4]
	scratch_store_b128 off, v[1:4], off
	s_cbranch_vccz .LBB42_357
; %bb.272:
	v_dual_mov_b32 v1, s16 :: v_dual_mov_b32 v2, s17
	s_load_b64 s[0:1], s[0:1], 0x4
	flat_load_b32 v1, v[1:2] offset:164
	v_bfe_u32 v2, v0, 10, 10
	v_bfe_u32 v0, v0, 20, 10
	s_waitcnt lgkmcnt(0)
	s_lshr_b32 s0, s0, 16
	s_delay_alu instid0(VALU_DEP_2) | instskip(SKIP_1) | instid1(SALU_CYCLE_1)
	v_mul_u32_u24_e32 v2, s1, v2
	s_mul_i32 s0, s0, s1
	v_mul_u32_u24_e32 v3, s0, v132
	s_mov_b32 s0, exec_lo
	s_delay_alu instid0(VALU_DEP_1) | instskip(NEXT) | instid1(VALU_DEP_1)
	v_add3_u32 v0, v3, v2, v0
	v_lshl_add_u32 v0, v0, 4, 0x568
	s_waitcnt vmcnt(0)
	v_cmpx_ne_u32_e32 42, v1
	s_cbranch_execz .LBB42_274
; %bb.273:
	v_lshl_add_u32 v9, v1, 4, 0
	s_clause 0x1
	scratch_load_b128 v[1:4], v142, off
	scratch_load_b128 v[5:8], v9, off offset:-16
	s_waitcnt vmcnt(1)
	ds_store_2addr_b64 v0, v[1:2], v[3:4] offset1:1
	s_waitcnt vmcnt(0)
	s_clause 0x1
	scratch_store_b128 v142, v[5:8], off
	scratch_store_b128 v9, v[1:4], off offset:-16
.LBB42_274:
	s_or_b32 exec_lo, exec_lo, s0
	v_dual_mov_b32 v1, s16 :: v_dual_mov_b32 v2, s17
	s_mov_b32 s0, exec_lo
	flat_load_b32 v1, v[1:2] offset:160
	s_waitcnt vmcnt(0) lgkmcnt(0)
	v_cmpx_ne_u32_e32 41, v1
	s_cbranch_execz .LBB42_276
; %bb.275:
	v_lshl_add_u32 v9, v1, 4, 0
	s_clause 0x1
	scratch_load_b128 v[1:4], v144, off
	scratch_load_b128 v[5:8], v9, off offset:-16
	s_waitcnt vmcnt(1)
	ds_store_2addr_b64 v0, v[1:2], v[3:4] offset1:1
	s_waitcnt vmcnt(0)
	s_clause 0x1
	scratch_store_b128 v144, v[5:8], off
	scratch_store_b128 v9, v[1:4], off offset:-16
.LBB42_276:
	s_or_b32 exec_lo, exec_lo, s0
	v_dual_mov_b32 v1, s16 :: v_dual_mov_b32 v2, s17
	s_mov_b32 s0, exec_lo
	flat_load_b32 v1, v[1:2] offset:156
	s_waitcnt vmcnt(0) lgkmcnt(0)
	;; [unrolled: 19-line block ×40, first 2 shown]
	v_cmpx_ne_u32_e32 2, v1
	s_cbranch_execz .LBB42_354
; %bb.353:
	v_lshl_add_u32 v9, v1, 4, 0
	s_clause 0x1
	scratch_load_b128 v[1:4], v136, off
	scratch_load_b128 v[5:8], v9, off offset:-16
	s_waitcnt vmcnt(1)
	ds_store_2addr_b64 v0, v[1:2], v[3:4] offset1:1
	s_waitcnt vmcnt(0)
	s_clause 0x1
	scratch_store_b128 v136, v[5:8], off
	scratch_store_b128 v9, v[1:4], off offset:-16
.LBB42_354:
	s_or_b32 exec_lo, exec_lo, s0
	v_dual_mov_b32 v1, s16 :: v_dual_mov_b32 v2, s17
	s_mov_b32 s0, exec_lo
	flat_load_b32 v1, v[1:2]
	s_waitcnt vmcnt(0) lgkmcnt(0)
	v_cmpx_ne_u32_e32 1, v1
	s_cbranch_execz .LBB42_356
; %bb.355:
	v_lshl_add_u32 v9, v1, 4, 0
	scratch_load_b128 v[1:4], off, off
	scratch_load_b128 v[5:8], v9, off offset:-16
	s_waitcnt vmcnt(1)
	ds_store_2addr_b64 v0, v[1:2], v[3:4] offset1:1
	s_waitcnt vmcnt(0)
	scratch_store_b128 off, v[5:8], off
	scratch_store_b128 v9, v[1:4], off offset:-16
.LBB42_356:
	s_or_b32 exec_lo, exec_lo, s0
.LBB42_357:
	scratch_load_b128 v[0:3], off, off
	s_clause 0x19
	scratch_load_b128 v[4:7], v136, off
	scratch_load_b128 v[8:11], v135, off
	;; [unrolled: 1-line block ×26, first 2 shown]
	s_waitcnt vmcnt(26)
	global_store_b128 v[46:47], v[0:3], off
	s_clause 0x1
	scratch_load_b128 v[0:3], v143, off
	scratch_load_b128 v[44:47], v141, off
	s_waitcnt vmcnt(27)
	global_store_b128 v[48:49], v[4:7], off
	s_clause 0x1
	scratch_load_b128 v[4:7], v139, off
	scratch_load_b128 v[229:232], v138, off
	;; [unrolled: 5-line block ×8, first 2 shown]
	s_waitcnt vmcnt(34)
	global_store_b128 v[62:63], v[32:35], off
	s_waitcnt vmcnt(33)
	global_store_b128 v[64:65], v[36:39], off
	;; [unrolled: 2-line block ×35, first 2 shown]
	s_endpgm
	.section	.rodata,"a",@progbits
	.p2align	6, 0x0
	.amdhsa_kernel _ZN9rocsolver6v33100L18getri_kernel_smallILi43E19rocblas_complex_numIdEPS3_EEvT1_iilPiilS6_bb
		.amdhsa_group_segment_fixed_size 2408
		.amdhsa_private_segment_fixed_size 704
		.amdhsa_kernarg_size 60
		.amdhsa_user_sgpr_count 15
		.amdhsa_user_sgpr_dispatch_ptr 1
		.amdhsa_user_sgpr_queue_ptr 0
		.amdhsa_user_sgpr_kernarg_segment_ptr 1
		.amdhsa_user_sgpr_dispatch_id 0
		.amdhsa_user_sgpr_private_segment_size 0
		.amdhsa_wavefront_size32 1
		.amdhsa_uses_dynamic_stack 0
		.amdhsa_enable_private_segment 1
		.amdhsa_system_sgpr_workgroup_id_x 1
		.amdhsa_system_sgpr_workgroup_id_y 0
		.amdhsa_system_sgpr_workgroup_id_z 0
		.amdhsa_system_sgpr_workgroup_info 0
		.amdhsa_system_vgpr_workitem_id 2
		.amdhsa_next_free_vgpr 235
		.amdhsa_next_free_sgpr 49
		.amdhsa_reserve_vcc 1
		.amdhsa_float_round_mode_32 0
		.amdhsa_float_round_mode_16_64 0
		.amdhsa_float_denorm_mode_32 3
		.amdhsa_float_denorm_mode_16_64 3
		.amdhsa_dx10_clamp 1
		.amdhsa_ieee_mode 1
		.amdhsa_fp16_overflow 0
		.amdhsa_workgroup_processor_mode 1
		.amdhsa_memory_ordered 1
		.amdhsa_forward_progress 0
		.amdhsa_shared_vgpr_count 0
		.amdhsa_exception_fp_ieee_invalid_op 0
		.amdhsa_exception_fp_denorm_src 0
		.amdhsa_exception_fp_ieee_div_zero 0
		.amdhsa_exception_fp_ieee_overflow 0
		.amdhsa_exception_fp_ieee_underflow 0
		.amdhsa_exception_fp_ieee_inexact 0
		.amdhsa_exception_int_div_zero 0
	.end_amdhsa_kernel
	.section	.text._ZN9rocsolver6v33100L18getri_kernel_smallILi43E19rocblas_complex_numIdEPS3_EEvT1_iilPiilS6_bb,"axG",@progbits,_ZN9rocsolver6v33100L18getri_kernel_smallILi43E19rocblas_complex_numIdEPS3_EEvT1_iilPiilS6_bb,comdat
.Lfunc_end42:
	.size	_ZN9rocsolver6v33100L18getri_kernel_smallILi43E19rocblas_complex_numIdEPS3_EEvT1_iilPiilS6_bb, .Lfunc_end42-_ZN9rocsolver6v33100L18getri_kernel_smallILi43E19rocblas_complex_numIdEPS3_EEvT1_iilPiilS6_bb
                                        ; -- End function
	.section	.AMDGPU.csdata,"",@progbits
; Kernel info:
; codeLenInByte = 88164
; NumSgprs: 51
; NumVgprs: 235
; ScratchSize: 704
; MemoryBound: 0
; FloatMode: 240
; IeeeMode: 1
; LDSByteSize: 2408 bytes/workgroup (compile time only)
; SGPRBlocks: 6
; VGPRBlocks: 29
; NumSGPRsForWavesPerEU: 51
; NumVGPRsForWavesPerEU: 235
; Occupancy: 6
; WaveLimiterHint : 1
; COMPUTE_PGM_RSRC2:SCRATCH_EN: 1
; COMPUTE_PGM_RSRC2:USER_SGPR: 15
; COMPUTE_PGM_RSRC2:TRAP_HANDLER: 0
; COMPUTE_PGM_RSRC2:TGID_X_EN: 1
; COMPUTE_PGM_RSRC2:TGID_Y_EN: 0
; COMPUTE_PGM_RSRC2:TGID_Z_EN: 0
; COMPUTE_PGM_RSRC2:TIDIG_COMP_CNT: 2
	.section	.text._ZN9rocsolver6v33100L18getri_kernel_smallILi44E19rocblas_complex_numIdEPS3_EEvT1_iilPiilS6_bb,"axG",@progbits,_ZN9rocsolver6v33100L18getri_kernel_smallILi44E19rocblas_complex_numIdEPS3_EEvT1_iilPiilS6_bb,comdat
	.globl	_ZN9rocsolver6v33100L18getri_kernel_smallILi44E19rocblas_complex_numIdEPS3_EEvT1_iilPiilS6_bb ; -- Begin function _ZN9rocsolver6v33100L18getri_kernel_smallILi44E19rocblas_complex_numIdEPS3_EEvT1_iilPiilS6_bb
	.p2align	8
	.type	_ZN9rocsolver6v33100L18getri_kernel_smallILi44E19rocblas_complex_numIdEPS3_EEvT1_iilPiilS6_bb,@function
_ZN9rocsolver6v33100L18getri_kernel_smallILi44E19rocblas_complex_numIdEPS3_EEvT1_iilPiilS6_bb: ; @_ZN9rocsolver6v33100L18getri_kernel_smallILi44E19rocblas_complex_numIdEPS3_EEvT1_iilPiilS6_bb
; %bb.0:
	v_and_b32_e32 v134, 0x3ff, v0
	s_mov_b32 s4, exec_lo
	s_delay_alu instid0(VALU_DEP_1)
	v_cmpx_gt_u32_e32 44, v134
	s_cbranch_execz .LBB43_190
; %bb.1:
	s_mov_b32 s18, s15
	s_clause 0x2
	s_load_b32 s21, s[2:3], 0x38
	s_load_b128 s[12:15], s[2:3], 0x10
	s_load_b128 s[4:7], s[2:3], 0x28
                                        ; implicit-def: $sgpr16_sgpr17
	s_waitcnt lgkmcnt(0)
	s_bitcmp1_b32 s21, 8
	s_cselect_b32 s20, -1, 0
	s_bfe_u32 s8, s21, 0x10008
	s_ashr_i32 s19, s18, 31
	s_cmp_eq_u32 s8, 0
	s_cbranch_scc1 .LBB43_3
; %bb.2:
	s_load_b32 s8, s[2:3], 0x20
	s_mul_i32 s5, s18, s5
	s_mul_hi_u32 s9, s18, s4
	s_mul_i32 s10, s19, s4
	s_add_i32 s5, s9, s5
	s_mul_i32 s4, s18, s4
	s_add_i32 s5, s5, s10
	s_delay_alu instid0(SALU_CYCLE_1)
	s_lshl_b64 s[4:5], s[4:5], 2
	s_waitcnt lgkmcnt(0)
	s_ashr_i32 s9, s8, 31
	s_add_u32 s10, s14, s4
	s_addc_u32 s11, s15, s5
	s_lshl_b64 s[4:5], s[8:9], 2
	s_delay_alu instid0(SALU_CYCLE_1)
	s_add_u32 s16, s10, s4
	s_addc_u32 s17, s11, s5
.LBB43_3:
	s_load_b128 s[8:11], s[2:3], 0x0
	s_mul_i32 s2, s18, s13
	s_mul_hi_u32 s3, s18, s12
	s_mul_i32 s4, s19, s12
	s_add_i32 s3, s3, s2
	s_mul_i32 s2, s18, s12
	s_add_i32 s3, s3, s4
	v_lshlrev_b32_e32 v13, 4, v134
	s_lshl_b64 s[2:3], s[2:3], 4
	s_movk_i32 s12, 0xd0
	s_movk_i32 s13, 0xe0
	;; [unrolled: 1-line block ×11, first 2 shown]
	s_waitcnt lgkmcnt(0)
	v_add3_u32 v5, s11, s11, v134
	s_ashr_i32 s5, s10, 31
	s_mov_b32 s4, s10
	s_add_u32 s8, s8, s2
	s_addc_u32 s9, s9, s3
	v_add_nc_u32_e32 v7, s11, v5
	s_lshl_b64 s[2:3], s[4:5], 4
	v_ashrrev_i32_e32 v6, 31, v5
	s_add_u32 s2, s8, s2
	s_addc_u32 s3, s9, s3
	v_add_nc_u32_e32 v9, s11, v7
	v_add_co_u32 v46, s8, s2, v13
	v_ashrrev_i32_e32 v8, 31, v7
	s_mov_b32 s4, s11
	s_delay_alu instid0(VALU_DEP_3) | instskip(SKIP_3) | instid1(VALU_DEP_3)
	v_add_nc_u32_e32 v14, s11, v9
	s_ashr_i32 s5, s11, 31
	v_add_co_ci_u32_e64 v47, null, s3, 0, s8
	v_lshlrev_b64 v[11:12], 4, v[5:6]
	v_add_nc_u32_e32 v18, s11, v14
	s_lshl_b64 s[4:5], s[4:5], 4
	v_ashrrev_i32_e32 v10, 31, v9
	v_add_co_u32 v48, vcc_lo, v46, s4
	s_delay_alu instid0(VALU_DEP_3) | instskip(SKIP_3) | instid1(VALU_DEP_4)
	v_add_nc_u32_e32 v22, s11, v18
	v_lshlrev_b64 v[16:17], 4, v[7:8]
	v_ashrrev_i32_e32 v15, 31, v14
	v_add_co_ci_u32_e32 v49, vcc_lo, s5, v47, vcc_lo
	v_add_nc_u32_e32 v26, s11, v22
	v_add_co_u32 v50, vcc_lo, s2, v11
	v_lshlrev_b64 v[20:21], 4, v[9:10]
	v_ashrrev_i32_e32 v19, 31, v18
	s_delay_alu instid0(VALU_DEP_4)
	v_add_nc_u32_e32 v30, s11, v26
	v_add_co_ci_u32_e32 v51, vcc_lo, s3, v12, vcc_lo
	v_add_co_u32 v52, vcc_lo, s2, v16
	v_lshlrev_b64 v[24:25], 4, v[14:15]
	v_ashrrev_i32_e32 v23, 31, v22
	v_add_nc_u32_e32 v34, s11, v30
	v_add_co_ci_u32_e32 v53, vcc_lo, s3, v17, vcc_lo
	v_add_co_u32 v54, vcc_lo, s2, v20
	v_lshlrev_b64 v[28:29], 4, v[18:19]
	v_ashrrev_i32_e32 v27, 31, v26
	v_add_co_ci_u32_e32 v55, vcc_lo, s3, v21, vcc_lo
	v_add_co_u32 v56, vcc_lo, s2, v24
	v_lshlrev_b64 v[32:33], 4, v[22:23]
	v_add_nc_u32_e32 v42, s11, v34
	v_ashrrev_i32_e32 v31, 31, v30
	v_add_co_ci_u32_e32 v57, vcc_lo, s3, v25, vcc_lo
	v_add_co_u32 v58, vcc_lo, s2, v28
	v_lshlrev_b64 v[36:37], 4, v[26:27]
	v_ashrrev_i32_e32 v35, 31, v34
	v_add_co_ci_u32_e32 v59, vcc_lo, s3, v29, vcc_lo
	v_add_nc_u32_e32 v44, s11, v42
	v_add_co_u32 v60, vcc_lo, s2, v32
	v_lshlrev_b64 v[38:39], 4, v[30:31]
	v_ashrrev_i32_e32 v43, 31, v42
	v_add_co_ci_u32_e32 v61, vcc_lo, s3, v33, vcc_lo
	v_add_co_u32 v64, vcc_lo, s2, v36
	v_lshlrev_b64 v[66:67], 4, v[34:35]
	v_ashrrev_i32_e32 v45, 31, v44
	v_add_co_ci_u32_e32 v65, vcc_lo, s3, v37, vcc_lo
	v_add_co_u32 v62, vcc_lo, s2, v38
	v_lshlrev_b64 v[68:69], 4, v[42:43]
	v_add_co_ci_u32_e32 v63, vcc_lo, s3, v39, vcc_lo
	v_add_co_u32 v66, vcc_lo, s2, v66
	v_lshlrev_b64 v[70:71], 4, v[44:45]
	v_add_co_ci_u32_e32 v67, vcc_lo, s3, v67, vcc_lo
	v_add_co_u32 v68, vcc_lo, s2, v68
	v_add_co_ci_u32_e32 v69, vcc_lo, s3, v69, vcc_lo
	s_clause 0x1
	global_load_b128 v[1:4], v13, s[2:3]
	global_load_b128 v[5:8], v[48:49], off
	v_add_co_u32 v70, vcc_lo, s2, v70
	s_clause 0x3
	global_load_b128 v[9:12], v[50:51], off
	global_load_b128 v[14:17], v[52:53], off
	;; [unrolled: 1-line block ×4, first 2 shown]
	v_add_co_ci_u32_e32 v71, vcc_lo, s3, v71, vcc_lo
	s_clause 0x3
	global_load_b128 v[26:29], v[58:59], off
	global_load_b128 v[30:33], v[60:61], off
	global_load_b128 v[34:37], v[64:65], off
	global_load_b128 v[38:41], v[62:63], off
	v_add_nc_u32_e32 v74, s11, v44
	s_clause 0x2
	global_load_b128 v[42:45], v[66:67], off
	global_load_b128 v[135:138], v[68:69], off
	;; [unrolled: 1-line block ×3, first 2 shown]
	s_movk_i32 s4, 0x70
	s_movk_i32 s5, 0x80
	v_ashrrev_i32_e32 v75, 31, v74
	s_movk_i32 s8, 0x90
	s_movk_i32 s9, 0xa0
	;; [unrolled: 1-line block ×4, first 2 shown]
	v_lshlrev_b64 v[72:73], 4, v[74:75]
	v_add_nc_u32_e32 v74, s11, v74
	s_movk_i32 s30, 0x190
	s_movk_i32 s31, 0x1a0
	;; [unrolled: 1-line block ×4, first 2 shown]
	v_add_nc_u32_e32 v76, s11, v74
	v_ashrrev_i32_e32 v75, 31, v74
	v_add_co_u32 v72, vcc_lo, s2, v72
	v_add_co_ci_u32_e32 v73, vcc_lo, s3, v73, vcc_lo
	s_delay_alu instid0(VALU_DEP_4)
	v_add_nc_u32_e32 v78, s11, v76
	v_ashrrev_i32_e32 v77, 31, v76
	v_lshlrev_b64 v[74:75], 4, v[74:75]
	global_load_b128 v[143:146], v[72:73], off
	s_movk_i32 s35, 0x1d0
	v_add_nc_u32_e32 v80, s11, v78
	v_ashrrev_i32_e32 v79, 31, v78
	v_lshlrev_b64 v[76:77], 4, v[76:77]
	v_add_co_u32 v74, vcc_lo, s2, v74
	s_delay_alu instid0(VALU_DEP_4) | instskip(SKIP_3) | instid1(VALU_DEP_4)
	v_add_nc_u32_e32 v82, s11, v80
	v_ashrrev_i32_e32 v81, 31, v80
	v_lshlrev_b64 v[78:79], 4, v[78:79]
	v_add_co_ci_u32_e32 v75, vcc_lo, s3, v75, vcc_lo
	v_add_nc_u32_e32 v84, s11, v82
	v_ashrrev_i32_e32 v83, 31, v82
	v_add_co_u32 v76, vcc_lo, s2, v76
	global_load_b128 v[147:150], v[74:75], off
	v_add_nc_u32_e32 v86, s11, v84
	v_lshlrev_b64 v[80:81], 4, v[80:81]
	v_ashrrev_i32_e32 v85, 31, v84
	v_add_co_ci_u32_e32 v77, vcc_lo, s3, v77, vcc_lo
	s_delay_alu instid0(VALU_DEP_4) | instskip(SKIP_3) | instid1(VALU_DEP_4)
	v_add_nc_u32_e32 v88, s11, v86
	v_add_co_u32 v78, vcc_lo, s2, v78
	v_lshlrev_b64 v[82:83], 4, v[82:83]
	v_ashrrev_i32_e32 v87, 31, v86
	v_add_nc_u32_e32 v90, s11, v88
	v_add_co_ci_u32_e32 v79, vcc_lo, s3, v79, vcc_lo
	v_add_co_u32 v80, vcc_lo, s2, v80
	s_delay_alu instid0(VALU_DEP_3) | instskip(SKIP_3) | instid1(VALU_DEP_4)
	v_add_nc_u32_e32 v92, s11, v90
	v_lshlrev_b64 v[84:85], 4, v[84:85]
	v_ashrrev_i32_e32 v89, 31, v88
	v_add_co_ci_u32_e32 v81, vcc_lo, s3, v81, vcc_lo
	v_add_nc_u32_e32 v94, s11, v92
	v_add_co_u32 v82, vcc_lo, s2, v82
	v_lshlrev_b64 v[86:87], 4, v[86:87]
	v_ashrrev_i32_e32 v91, 31, v90
	s_delay_alu instid0(VALU_DEP_4) | instskip(SKIP_2) | instid1(VALU_DEP_3)
	v_add_nc_u32_e32 v96, s11, v94
	v_add_co_ci_u32_e32 v83, vcc_lo, s3, v83, vcc_lo
	v_add_co_u32 v84, vcc_lo, s2, v84
	v_add_nc_u32_e32 v98, s11, v96
	v_lshlrev_b64 v[88:89], 4, v[88:89]
	v_ashrrev_i32_e32 v93, 31, v92
	v_add_co_ci_u32_e32 v85, vcc_lo, s3, v85, vcc_lo
	s_delay_alu instid0(VALU_DEP_4) | instskip(SKIP_3) | instid1(VALU_DEP_4)
	v_add_nc_u32_e32 v100, s11, v98
	v_add_co_u32 v86, vcc_lo, s2, v86
	v_lshlrev_b64 v[90:91], 4, v[90:91]
	v_ashrrev_i32_e32 v95, 31, v94
	v_add_nc_u32_e32 v102, s11, v100
	v_add_co_ci_u32_e32 v87, vcc_lo, s3, v87, vcc_lo
	v_add_co_u32 v88, vcc_lo, s2, v88
	s_delay_alu instid0(VALU_DEP_3) | instskip(SKIP_3) | instid1(VALU_DEP_4)
	v_add_nc_u32_e32 v104, s11, v102
	v_lshlrev_b64 v[92:93], 4, v[92:93]
	v_ashrrev_i32_e32 v97, 31, v96
	v_add_co_ci_u32_e32 v89, vcc_lo, s3, v89, vcc_lo
	v_add_nc_u32_e32 v106, s11, v104
	v_add_co_u32 v90, vcc_lo, s2, v90
	v_lshlrev_b64 v[94:95], 4, v[94:95]
	v_ashrrev_i32_e32 v99, 31, v98
	s_delay_alu instid0(VALU_DEP_4) | instskip(SKIP_2) | instid1(VALU_DEP_3)
	v_add_nc_u32_e32 v108, s11, v106
	v_add_co_ci_u32_e32 v91, vcc_lo, s3, v91, vcc_lo
	v_add_co_u32 v92, vcc_lo, s2, v92
	v_add_nc_u32_e32 v110, s11, v108
	v_lshlrev_b64 v[96:97], 4, v[96:97]
	v_ashrrev_i32_e32 v101, 31, v100
	v_add_co_ci_u32_e32 v93, vcc_lo, s3, v93, vcc_lo
	s_delay_alu instid0(VALU_DEP_4) | instskip(SKIP_3) | instid1(VALU_DEP_4)
	v_add_nc_u32_e32 v112, s11, v110
	v_add_co_u32 v94, vcc_lo, s2, v94
	v_lshlrev_b64 v[98:99], 4, v[98:99]
	v_ashrrev_i32_e32 v103, 31, v102
	v_add_nc_u32_e32 v114, s11, v112
	v_add_co_ci_u32_e32 v95, vcc_lo, s3, v95, vcc_lo
	v_add_co_u32 v96, vcc_lo, s2, v96
	s_delay_alu instid0(VALU_DEP_3) | instskip(SKIP_3) | instid1(VALU_DEP_4)
	v_add_nc_u32_e32 v116, s11, v114
	v_lshlrev_b64 v[100:101], 4, v[100:101]
	v_ashrrev_i32_e32 v105, 31, v104
	v_add_co_ci_u32_e32 v97, vcc_lo, s3, v97, vcc_lo
	v_add_nc_u32_e32 v118, s11, v116
	v_add_co_u32 v98, vcc_lo, s2, v98
	v_lshlrev_b64 v[102:103], 4, v[102:103]
	v_add_co_ci_u32_e32 v99, vcc_lo, s3, v99, vcc_lo
	s_delay_alu instid0(VALU_DEP_4) | instskip(SKIP_3) | instid1(VALU_DEP_4)
	v_add_nc_u32_e32 v120, s11, v118
	v_add_co_u32 v100, vcc_lo, s2, v100
	v_lshlrev_b64 v[104:105], 4, v[104:105]
	v_ashrrev_i32_e32 v107, 31, v106
	v_add_nc_u32_e32 v122, s11, v120
	v_add_co_ci_u32_e32 v101, vcc_lo, s3, v101, vcc_lo
	v_add_co_u32 v102, vcc_lo, s2, v102
	s_delay_alu instid0(VALU_DEP_3) | instskip(SKIP_3) | instid1(VALU_DEP_4)
	v_add_nc_u32_e32 v124, s11, v122
	v_ashrrev_i32_e32 v109, 31, v108
	v_add_co_ci_u32_e32 v103, vcc_lo, s3, v103, vcc_lo
	v_lshlrev_b64 v[163:164], 4, v[106:107]
	v_add_nc_u32_e32 v126, s11, v124
	v_add_co_u32 v106, vcc_lo, s2, v104
	v_ashrrev_i32_e32 v111, 31, v110
	v_add_co_ci_u32_e32 v107, vcc_lo, s3, v105, vcc_lo
	s_delay_alu instid0(VALU_DEP_4)
	v_add_nc_u32_e32 v128, s11, v126
	v_lshlrev_b64 v[165:166], 4, v[108:109]
	v_ashrrev_i32_e32 v113, 31, v112
	v_ashrrev_i32_e32 v115, 31, v114
	;; [unrolled: 1-line block ×3, first 2 shown]
	v_add_nc_u32_e32 v130, s11, v128
	v_ashrrev_i32_e32 v119, 31, v118
	v_ashrrev_i32_e32 v121, 31, v120
	;; [unrolled: 1-line block ×4, first 2 shown]
	v_add_nc_u32_e32 v131, s11, v130
	v_ashrrev_i32_e32 v127, 31, v126
	v_ashrrev_i32_e32 v129, 31, v128
	s_clause 0x3
	global_load_b128 v[151:154], v[76:77], off
	global_load_b128 v[155:158], v[78:79], off
	;; [unrolled: 1-line block ×4, first 2 shown]
	v_ashrrev_i32_e32 v132, 31, v131
	s_clause 0x7
	global_load_b128 v[182:185], v[84:85], off
	global_load_b128 v[186:189], v[86:87], off
	;; [unrolled: 1-line block ×8, first 2 shown]
	v_lshlrev_b64 v[131:132], 4, v[131:132]
	s_clause 0x1
	global_load_b128 v[214:217], v[100:101], off
	global_load_b128 v[218:221], v[102:103], off
	s_movk_i32 s11, 0xc0
	s_movk_i32 s36, 0x1e0
	;; [unrolled: 1-line block ×4, first 2 shown]
	v_add_co_u32 v104, vcc_lo, s2, v131
	v_add_co_ci_u32_e32 v105, vcc_lo, s3, v132, vcc_lo
	v_add_co_u32 v108, vcc_lo, s2, v163
	v_lshlrev_b64 v[131:132], 4, v[110:111]
	v_add_co_ci_u32_e32 v109, vcc_lo, s3, v164, vcc_lo
	v_add_co_u32 v110, vcc_lo, s2, v165
	v_add_co_ci_u32_e32 v111, vcc_lo, s3, v166, vcc_lo
	v_lshlrev_b64 v[163:164], 4, v[112:113]
	v_add_co_u32 v112, vcc_lo, s2, v131
	v_add_co_ci_u32_e32 v113, vcc_lo, s3, v132, vcc_lo
	v_lshlrev_b64 v[131:132], 4, v[114:115]
	s_delay_alu instid0(VALU_DEP_4) | instskip(SKIP_2) | instid1(VALU_DEP_4)
	v_add_co_u32 v114, vcc_lo, s2, v163
	v_add_co_ci_u32_e32 v115, vcc_lo, s3, v164, vcc_lo
	v_lshlrev_b64 v[163:164], 4, v[116:117]
	v_add_co_u32 v116, vcc_lo, s2, v131
	v_add_co_ci_u32_e32 v117, vcc_lo, s3, v132, vcc_lo
	v_lshlrev_b64 v[131:132], 4, v[118:119]
	s_delay_alu instid0(VALU_DEP_4) | instskip(SKIP_2) | instid1(VALU_DEP_4)
	;; [unrolled: 7-line block ×3, first 2 shown]
	v_add_co_u32 v122, vcc_lo, s2, v163
	v_add_co_ci_u32_e32 v123, vcc_lo, s3, v164, vcc_lo
	v_lshlrev_b64 v[163:164], 4, v[124:125]
	v_add_co_u32 v124, vcc_lo, s2, v131
	v_add_co_ci_u32_e32 v125, vcc_lo, s3, v132, vcc_lo
	v_lshlrev_b64 v[132:133], 4, v[126:127]
	s_delay_alu instid0(VALU_DEP_4)
	v_add_co_u32 v126, vcc_lo, s2, v163
	v_ashrrev_i32_e32 v131, 31, v130
	v_add_co_ci_u32_e32 v127, vcc_lo, s3, v164, vcc_lo
	v_lshlrev_b64 v[163:164], 4, v[128:129]
	v_add_co_u32 v128, vcc_lo, s2, v132
	v_add_co_ci_u32_e32 v129, vcc_lo, s3, v133, vcc_lo
	v_lshlrev_b64 v[132:133], 4, v[130:131]
	s_delay_alu instid0(VALU_DEP_4)
	v_add_co_u32 v130, vcc_lo, s2, v163
	v_add_co_ci_u32_e32 v131, vcc_lo, s3, v164, vcc_lo
	global_load_b128 v[222:225], v[104:105], off
	v_add_co_u32 v132, vcc_lo, s2, v132
	s_waitcnt vmcnt(29)
	scratch_store_b128 off, v[1:4], off
	s_waitcnt vmcnt(28)
	scratch_store_b128 off, v[5:8], off offset:16
	s_clause 0x1
	global_load_b128 v[1:4], v[106:107], off
	global_load_b128 v[5:8], v[108:109], off
	s_waitcnt vmcnt(29)
	scratch_store_b128 off, v[9:12], off offset:32
	s_waitcnt vmcnt(28)
	scratch_store_b128 off, v[14:17], off offset:48
	v_add_co_ci_u32_e32 v133, vcc_lo, s3, v133, vcc_lo
	s_clause 0x1
	global_load_b128 v[9:12], v[110:111], off
	global_load_b128 v[14:17], v[112:113], off
	s_waitcnt vmcnt(29)
	scratch_store_b128 off, v[18:21], off offset:64
	s_waitcnt vmcnt(28)
	scratch_store_b128 off, v[22:25], off offset:80
	s_clause 0x1
	global_load_b128 v[18:21], v[114:115], off
	global_load_b128 v[22:25], v[116:117], off
	s_waitcnt vmcnt(29)
	scratch_store_b128 off, v[26:29], off offset:96
	s_waitcnt vmcnt(28)
	scratch_store_b128 off, v[30:33], off offset:112
	;; [unrolled: 7-line block ×4, first 2 shown]
	s_clause 0x3
	global_load_b128 v[42:45], v[126:127], off
	global_load_b128 v[226:229], v[128:129], off
	;; [unrolled: 1-line block ×4, first 2 shown]
	s_movk_i32 s2, 0x50
	s_movk_i32 s3, 0x60
	;; [unrolled: 1-line block ×13, first 2 shown]
	s_waitcnt vmcnt(31)
	scratch_store_b128 off, v[139:142], off offset:192
	v_add_nc_u32_e64 v136, 0, 16
	v_add_nc_u32_e64 v135, 0, 32
	;; [unrolled: 1-line block ×6, first 2 shown]
	s_waitcnt vmcnt(30)
	scratch_store_b128 off, v[143:146], off offset:208
	v_add_nc_u32_e64 v173, s4, 0
	v_add_nc_u32_e64 v172, s5, 0
	;; [unrolled: 1-line block ×15, first 2 shown]
	s_waitcnt vmcnt(29)
	scratch_store_b128 off, v[147:150], off offset:224
	v_add_nc_u32_e64 v150, s31, 0
	v_add_nc_u32_e64 v149, s33, 0
	;; [unrolled: 1-line block ×10, first 2 shown]
	s_mov_b32 s3, -1
	s_bitcmp0_b32 s21, 0
	s_waitcnt vmcnt(28)
	scratch_store_b128 off, v[151:154], off offset:240
	s_waitcnt vmcnt(27)
	scratch_store_b128 off, v[155:158], off offset:256
	;; [unrolled: 2-line block ×3, first 2 shown]
	v_add_nc_u32_e64 v162, s23, 0
	v_add_nc_u32_e64 v161, s24, 0
	;; [unrolled: 1-line block ×12, first 2 shown]
	s_waitcnt vmcnt(25)
	scratch_store_b128 off, v[178:181], off offset:288
	s_waitcnt vmcnt(24)
	scratch_store_b128 off, v[182:185], off offset:304
	;; [unrolled: 2-line block ×24, first 2 shown]
	s_waitcnt vmcnt(0)
	s_clause 0x1
	scratch_store_b128 off, v[234:237], off offset:672
	scratch_store_b128 off, v[222:225], off offset:688
	s_cbranch_scc1 .LBB43_188
; %bb.4:
	v_cmp_eq_u32_e64 s2, 0, v134
	s_delay_alu instid0(VALU_DEP_1)
	s_and_saveexec_b32 s3, s2
	s_cbranch_execz .LBB43_6
; %bb.5:
	v_mov_b32_e32 v1, 0
	ds_store_b32 v1, v1 offset:1408
.LBB43_6:
	s_or_b32 exec_lo, exec_lo, s3
	s_waitcnt lgkmcnt(0)
	s_waitcnt_vscnt null, 0x0
	s_barrier
	buffer_gl0_inv
	scratch_load_b128 v[1:4], v13, off
	s_waitcnt vmcnt(0)
	v_cmp_eq_f64_e32 vcc_lo, 0, v[1:2]
	v_cmp_eq_f64_e64 s3, 0, v[3:4]
	s_delay_alu instid0(VALU_DEP_1) | instskip(NEXT) | instid1(SALU_CYCLE_1)
	s_and_b32 s3, vcc_lo, s3
	s_and_saveexec_b32 s4, s3
	s_cbranch_execz .LBB43_10
; %bb.7:
	v_mov_b32_e32 v1, 0
	s_mov_b32 s5, 0
	ds_load_b32 v2, v1 offset:1408
	s_waitcnt lgkmcnt(0)
	v_readfirstlane_b32 s3, v2
	v_add_nc_u32_e32 v2, 1, v134
	s_delay_alu instid0(VALU_DEP_2) | instskip(NEXT) | instid1(VALU_DEP_1)
	s_cmp_eq_u32 s3, 0
	v_cmp_gt_i32_e32 vcc_lo, s3, v2
	s_cselect_b32 s8, -1, 0
	s_delay_alu instid0(SALU_CYCLE_1) | instskip(NEXT) | instid1(SALU_CYCLE_1)
	s_or_b32 s8, s8, vcc_lo
	s_and_b32 exec_lo, exec_lo, s8
	s_cbranch_execz .LBB43_10
; %bb.8:
	v_mov_b32_e32 v3, s3
.LBB43_9:                               ; =>This Inner Loop Header: Depth=1
	ds_cmpstore_rtn_b32 v3, v1, v2, v3 offset:1408
	s_waitcnt lgkmcnt(0)
	v_cmp_ne_u32_e32 vcc_lo, 0, v3
	v_cmp_le_i32_e64 s3, v3, v2
	s_delay_alu instid0(VALU_DEP_1) | instskip(NEXT) | instid1(SALU_CYCLE_1)
	s_and_b32 s3, vcc_lo, s3
	s_and_b32 s3, exec_lo, s3
	s_delay_alu instid0(SALU_CYCLE_1) | instskip(NEXT) | instid1(SALU_CYCLE_1)
	s_or_b32 s5, s3, s5
	s_and_not1_b32 exec_lo, exec_lo, s5
	s_cbranch_execnz .LBB43_9
.LBB43_10:
	s_or_b32 exec_lo, exec_lo, s4
	v_mov_b32_e32 v1, 0
	s_barrier
	buffer_gl0_inv
	ds_load_b32 v2, v1 offset:1408
	s_and_saveexec_b32 s3, s2
	s_cbranch_execz .LBB43_12
; %bb.11:
	s_lshl_b64 s[4:5], s[18:19], 2
	s_delay_alu instid0(SALU_CYCLE_1)
	s_add_u32 s4, s6, s4
	s_addc_u32 s5, s7, s5
	s_waitcnt lgkmcnt(0)
	global_store_b32 v1, v2, s[4:5]
.LBB43_12:
	s_or_b32 exec_lo, exec_lo, s3
	s_waitcnt lgkmcnt(0)
	v_cmp_ne_u32_e32 vcc_lo, 0, v2
	s_mov_b32 s3, 0
	s_cbranch_vccnz .LBB43_188
; %bb.13:
	v_add_nc_u32_e32 v14, 0, v13
                                        ; implicit-def: $vgpr9_vgpr10
	scratch_load_b128 v[1:4], v14, off
	s_waitcnt vmcnt(0)
	v_mov_b32_e32 v5, v1
	v_cmp_gt_f64_e32 vcc_lo, 0, v[1:2]
	v_xor_b32_e32 v6, 0x80000000, v2
	v_xor_b32_e32 v7, 0x80000000, v4
	s_delay_alu instid0(VALU_DEP_2) | instskip(SKIP_1) | instid1(VALU_DEP_3)
	v_cndmask_b32_e32 v6, v2, v6, vcc_lo
	v_cmp_gt_f64_e32 vcc_lo, 0, v[3:4]
	v_dual_cndmask_b32 v8, v4, v7 :: v_dual_mov_b32 v7, v3
	s_delay_alu instid0(VALU_DEP_1) | instskip(SKIP_1) | instid1(SALU_CYCLE_1)
	v_cmp_ngt_f64_e32 vcc_lo, v[5:6], v[7:8]
                                        ; implicit-def: $vgpr5_vgpr6
	s_and_saveexec_b32 s3, vcc_lo
	s_xor_b32 s3, exec_lo, s3
	s_cbranch_execz .LBB43_15
; %bb.14:
	v_div_scale_f64 v[5:6], null, v[3:4], v[3:4], v[1:2]
	v_div_scale_f64 v[11:12], vcc_lo, v[1:2], v[3:4], v[1:2]
	s_delay_alu instid0(VALU_DEP_2) | instskip(SKIP_2) | instid1(VALU_DEP_1)
	v_rcp_f64_e32 v[7:8], v[5:6]
	s_waitcnt_depctr 0xfff
	v_fma_f64 v[9:10], -v[5:6], v[7:8], 1.0
	v_fma_f64 v[7:8], v[7:8], v[9:10], v[7:8]
	s_delay_alu instid0(VALU_DEP_1) | instskip(NEXT) | instid1(VALU_DEP_1)
	v_fma_f64 v[9:10], -v[5:6], v[7:8], 1.0
	v_fma_f64 v[7:8], v[7:8], v[9:10], v[7:8]
	s_delay_alu instid0(VALU_DEP_1) | instskip(NEXT) | instid1(VALU_DEP_1)
	v_mul_f64 v[9:10], v[11:12], v[7:8]
	v_fma_f64 v[5:6], -v[5:6], v[9:10], v[11:12]
	s_delay_alu instid0(VALU_DEP_1) | instskip(NEXT) | instid1(VALU_DEP_1)
	v_div_fmas_f64 v[5:6], v[5:6], v[7:8], v[9:10]
	v_div_fixup_f64 v[5:6], v[5:6], v[3:4], v[1:2]
	s_delay_alu instid0(VALU_DEP_1) | instskip(NEXT) | instid1(VALU_DEP_1)
	v_fma_f64 v[1:2], v[1:2], v[5:6], v[3:4]
	v_div_scale_f64 v[3:4], null, v[1:2], v[1:2], 1.0
	v_div_scale_f64 v[11:12], vcc_lo, 1.0, v[1:2], 1.0
	s_delay_alu instid0(VALU_DEP_2) | instskip(SKIP_2) | instid1(VALU_DEP_1)
	v_rcp_f64_e32 v[7:8], v[3:4]
	s_waitcnt_depctr 0xfff
	v_fma_f64 v[9:10], -v[3:4], v[7:8], 1.0
	v_fma_f64 v[7:8], v[7:8], v[9:10], v[7:8]
	s_delay_alu instid0(VALU_DEP_1) | instskip(NEXT) | instid1(VALU_DEP_1)
	v_fma_f64 v[9:10], -v[3:4], v[7:8], 1.0
	v_fma_f64 v[7:8], v[7:8], v[9:10], v[7:8]
	s_delay_alu instid0(VALU_DEP_1) | instskip(NEXT) | instid1(VALU_DEP_1)
	v_mul_f64 v[9:10], v[11:12], v[7:8]
	v_fma_f64 v[3:4], -v[3:4], v[9:10], v[11:12]
	s_delay_alu instid0(VALU_DEP_1) | instskip(NEXT) | instid1(VALU_DEP_1)
	v_div_fmas_f64 v[3:4], v[3:4], v[7:8], v[9:10]
	v_div_fixup_f64 v[7:8], v[3:4], v[1:2], 1.0
                                        ; implicit-def: $vgpr1_vgpr2
	s_delay_alu instid0(VALU_DEP_1) | instskip(SKIP_1) | instid1(VALU_DEP_2)
	v_mul_f64 v[5:6], v[5:6], v[7:8]
	v_xor_b32_e32 v8, 0x80000000, v8
	v_xor_b32_e32 v10, 0x80000000, v6
	s_delay_alu instid0(VALU_DEP_3)
	v_mov_b32_e32 v9, v5
.LBB43_15:
	s_and_not1_saveexec_b32 s3, s3
	s_cbranch_execz .LBB43_17
; %bb.16:
	v_div_scale_f64 v[5:6], null, v[1:2], v[1:2], v[3:4]
	v_div_scale_f64 v[11:12], vcc_lo, v[3:4], v[1:2], v[3:4]
	s_delay_alu instid0(VALU_DEP_2) | instskip(SKIP_2) | instid1(VALU_DEP_1)
	v_rcp_f64_e32 v[7:8], v[5:6]
	s_waitcnt_depctr 0xfff
	v_fma_f64 v[9:10], -v[5:6], v[7:8], 1.0
	v_fma_f64 v[7:8], v[7:8], v[9:10], v[7:8]
	s_delay_alu instid0(VALU_DEP_1) | instskip(NEXT) | instid1(VALU_DEP_1)
	v_fma_f64 v[9:10], -v[5:6], v[7:8], 1.0
	v_fma_f64 v[7:8], v[7:8], v[9:10], v[7:8]
	s_delay_alu instid0(VALU_DEP_1) | instskip(NEXT) | instid1(VALU_DEP_1)
	v_mul_f64 v[9:10], v[11:12], v[7:8]
	v_fma_f64 v[5:6], -v[5:6], v[9:10], v[11:12]
	s_delay_alu instid0(VALU_DEP_1) | instskip(NEXT) | instid1(VALU_DEP_1)
	v_div_fmas_f64 v[5:6], v[5:6], v[7:8], v[9:10]
	v_div_fixup_f64 v[7:8], v[5:6], v[1:2], v[3:4]
	s_delay_alu instid0(VALU_DEP_1) | instskip(NEXT) | instid1(VALU_DEP_1)
	v_fma_f64 v[1:2], v[3:4], v[7:8], v[1:2]
	v_div_scale_f64 v[3:4], null, v[1:2], v[1:2], 1.0
	s_delay_alu instid0(VALU_DEP_1) | instskip(SKIP_2) | instid1(VALU_DEP_1)
	v_rcp_f64_e32 v[5:6], v[3:4]
	s_waitcnt_depctr 0xfff
	v_fma_f64 v[9:10], -v[3:4], v[5:6], 1.0
	v_fma_f64 v[5:6], v[5:6], v[9:10], v[5:6]
	s_delay_alu instid0(VALU_DEP_1) | instskip(NEXT) | instid1(VALU_DEP_1)
	v_fma_f64 v[9:10], -v[3:4], v[5:6], 1.0
	v_fma_f64 v[5:6], v[5:6], v[9:10], v[5:6]
	v_div_scale_f64 v[9:10], vcc_lo, 1.0, v[1:2], 1.0
	s_delay_alu instid0(VALU_DEP_1) | instskip(NEXT) | instid1(VALU_DEP_1)
	v_mul_f64 v[11:12], v[9:10], v[5:6]
	v_fma_f64 v[3:4], -v[3:4], v[11:12], v[9:10]
	s_delay_alu instid0(VALU_DEP_1) | instskip(NEXT) | instid1(VALU_DEP_1)
	v_div_fmas_f64 v[3:4], v[3:4], v[5:6], v[11:12]
	v_div_fixup_f64 v[5:6], v[3:4], v[1:2], 1.0
	s_delay_alu instid0(VALU_DEP_1)
	v_mul_f64 v[7:8], v[7:8], -v[5:6]
	v_xor_b32_e32 v10, 0x80000000, v6
	v_mov_b32_e32 v9, v5
.LBB43_17:
	s_or_b32 exec_lo, exec_lo, s3
	scratch_store_b128 v14, v[5:8], off
	scratch_load_b128 v[1:4], v136, off
	v_xor_b32_e32 v12, 0x80000000, v8
	v_mov_b32_e32 v11, v7
	v_add_nc_u32_e32 v5, 0x2c0, v13
	ds_store_b128 v13, v[9:12]
	s_waitcnt vmcnt(0)
	ds_store_b128 v13, v[1:4] offset:704
	s_waitcnt lgkmcnt(0)
	s_waitcnt_vscnt null, 0x0
	s_barrier
	buffer_gl0_inv
	s_and_saveexec_b32 s3, s2
	s_cbranch_execz .LBB43_19
; %bb.18:
	scratch_load_b128 v[1:4], v14, off
	ds_load_b128 v[6:9], v5
	v_mov_b32_e32 v10, 0
	ds_load_b128 v[15:18], v10 offset:16
	s_waitcnt vmcnt(0) lgkmcnt(1)
	v_mul_f64 v[10:11], v[6:7], v[3:4]
	v_mul_f64 v[3:4], v[8:9], v[3:4]
	s_delay_alu instid0(VALU_DEP_2) | instskip(NEXT) | instid1(VALU_DEP_2)
	v_fma_f64 v[8:9], v[8:9], v[1:2], v[10:11]
	v_fma_f64 v[1:2], v[6:7], v[1:2], -v[3:4]
	s_delay_alu instid0(VALU_DEP_2) | instskip(NEXT) | instid1(VALU_DEP_2)
	v_add_f64 v[3:4], v[8:9], 0
	v_add_f64 v[1:2], v[1:2], 0
	s_waitcnt lgkmcnt(0)
	s_delay_alu instid0(VALU_DEP_2) | instskip(NEXT) | instid1(VALU_DEP_2)
	v_mul_f64 v[6:7], v[3:4], v[17:18]
	v_mul_f64 v[8:9], v[1:2], v[17:18]
	s_delay_alu instid0(VALU_DEP_2) | instskip(NEXT) | instid1(VALU_DEP_2)
	v_fma_f64 v[1:2], v[1:2], v[15:16], -v[6:7]
	v_fma_f64 v[3:4], v[3:4], v[15:16], v[8:9]
	scratch_store_b128 off, v[1:4], off offset:16
.LBB43_19:
	s_or_b32 exec_lo, exec_lo, s3
	s_waitcnt_vscnt null, 0x0
	s_barrier
	buffer_gl0_inv
	scratch_load_b128 v[1:4], v135, off
	s_mov_b32 s3, exec_lo
	s_waitcnt vmcnt(0)
	ds_store_b128 v5, v[1:4]
	s_waitcnt lgkmcnt(0)
	s_barrier
	buffer_gl0_inv
	v_cmpx_gt_u32_e32 2, v134
	s_cbranch_execz .LBB43_23
; %bb.20:
	scratch_load_b128 v[1:4], v14, off
	ds_load_b128 v[6:9], v5
	s_waitcnt vmcnt(0) lgkmcnt(0)
	v_mul_f64 v[10:11], v[8:9], v[3:4]
	v_mul_f64 v[3:4], v[6:7], v[3:4]
	s_delay_alu instid0(VALU_DEP_2) | instskip(NEXT) | instid1(VALU_DEP_2)
	v_fma_f64 v[6:7], v[6:7], v[1:2], -v[10:11]
	v_fma_f64 v[3:4], v[8:9], v[1:2], v[3:4]
	s_delay_alu instid0(VALU_DEP_2) | instskip(NEXT) | instid1(VALU_DEP_2)
	v_add_f64 v[1:2], v[6:7], 0
	v_add_f64 v[3:4], v[3:4], 0
	s_and_saveexec_b32 s4, s2
	s_cbranch_execz .LBB43_22
; %bb.21:
	scratch_load_b128 v[6:9], off, off offset:16
	v_mov_b32_e32 v10, 0
	ds_load_b128 v[15:18], v10 offset:720
	s_waitcnt vmcnt(0) lgkmcnt(0)
	v_mul_f64 v[10:11], v[15:16], v[8:9]
	v_mul_f64 v[8:9], v[17:18], v[8:9]
	s_delay_alu instid0(VALU_DEP_2) | instskip(NEXT) | instid1(VALU_DEP_2)
	v_fma_f64 v[10:11], v[17:18], v[6:7], v[10:11]
	v_fma_f64 v[6:7], v[15:16], v[6:7], -v[8:9]
	s_delay_alu instid0(VALU_DEP_2) | instskip(NEXT) | instid1(VALU_DEP_2)
	v_add_f64 v[3:4], v[3:4], v[10:11]
	v_add_f64 v[1:2], v[1:2], v[6:7]
.LBB43_22:
	s_or_b32 exec_lo, exec_lo, s4
	v_mov_b32_e32 v6, 0
	ds_load_b128 v[6:9], v6 offset:32
	s_waitcnt lgkmcnt(0)
	v_mul_f64 v[10:11], v[3:4], v[8:9]
	v_mul_f64 v[8:9], v[1:2], v[8:9]
	s_delay_alu instid0(VALU_DEP_2) | instskip(NEXT) | instid1(VALU_DEP_2)
	v_fma_f64 v[1:2], v[1:2], v[6:7], -v[10:11]
	v_fma_f64 v[3:4], v[3:4], v[6:7], v[8:9]
	scratch_store_b128 off, v[1:4], off offset:32
.LBB43_23:
	s_or_b32 exec_lo, exec_lo, s3
	s_waitcnt_vscnt null, 0x0
	s_barrier
	buffer_gl0_inv
	scratch_load_b128 v[1:4], v177, off
	v_add_nc_u32_e32 v6, -1, v134
	s_mov_b32 s2, exec_lo
	s_waitcnt vmcnt(0)
	ds_store_b128 v5, v[1:4]
	s_waitcnt lgkmcnt(0)
	s_barrier
	buffer_gl0_inv
	v_cmpx_gt_u32_e32 3, v134
	s_cbranch_execz .LBB43_27
; %bb.24:
	v_dual_mov_b32 v1, 0 :: v_dual_add_nc_u32 v8, 0x2c0, v13
	v_dual_mov_b32 v2, 0 :: v_dual_add_nc_u32 v7, -1, v134
	v_or_b32_e32 v9, 8, v14
	s_mov_b32 s3, 0
	s_delay_alu instid0(VALU_DEP_2)
	v_dual_mov_b32 v4, v2 :: v_dual_mov_b32 v3, v1
	.p2align	6
.LBB43_25:                              ; =>This Inner Loop Header: Depth=1
	scratch_load_b128 v[15:18], v9, off offset:-8
	ds_load_b128 v[19:22], v8
	v_add_nc_u32_e32 v7, 1, v7
	v_add_nc_u32_e32 v8, 16, v8
	;; [unrolled: 1-line block ×3, first 2 shown]
	s_delay_alu instid0(VALU_DEP_3) | instskip(SKIP_4) | instid1(VALU_DEP_2)
	v_cmp_lt_u32_e32 vcc_lo, 1, v7
	s_or_b32 s3, vcc_lo, s3
	s_waitcnt vmcnt(0) lgkmcnt(0)
	v_mul_f64 v[10:11], v[21:22], v[17:18]
	v_mul_f64 v[17:18], v[19:20], v[17:18]
	v_fma_f64 v[10:11], v[19:20], v[15:16], -v[10:11]
	s_delay_alu instid0(VALU_DEP_2) | instskip(NEXT) | instid1(VALU_DEP_2)
	v_fma_f64 v[15:16], v[21:22], v[15:16], v[17:18]
	v_add_f64 v[3:4], v[3:4], v[10:11]
	s_delay_alu instid0(VALU_DEP_2)
	v_add_f64 v[1:2], v[1:2], v[15:16]
	s_and_not1_b32 exec_lo, exec_lo, s3
	s_cbranch_execnz .LBB43_25
; %bb.26:
	s_or_b32 exec_lo, exec_lo, s3
	v_mov_b32_e32 v7, 0
	ds_load_b128 v[7:10], v7 offset:48
	s_waitcnt lgkmcnt(0)
	v_mul_f64 v[11:12], v[1:2], v[9:10]
	v_mul_f64 v[15:16], v[3:4], v[9:10]
	s_delay_alu instid0(VALU_DEP_2) | instskip(NEXT) | instid1(VALU_DEP_2)
	v_fma_f64 v[9:10], v[3:4], v[7:8], -v[11:12]
	v_fma_f64 v[11:12], v[1:2], v[7:8], v[15:16]
	scratch_store_b128 off, v[9:12], off offset:48
.LBB43_27:
	s_or_b32 exec_lo, exec_lo, s2
	s_waitcnt_vscnt null, 0x0
	s_barrier
	buffer_gl0_inv
	scratch_load_b128 v[1:4], v176, off
	s_mov_b32 s2, exec_lo
	s_waitcnt vmcnt(0)
	ds_store_b128 v5, v[1:4]
	s_waitcnt lgkmcnt(0)
	s_barrier
	buffer_gl0_inv
	v_cmpx_gt_u32_e32 4, v134
	s_cbranch_execz .LBB43_31
; %bb.28:
	v_dual_mov_b32 v1, 0 :: v_dual_add_nc_u32 v8, 0x2c0, v13
	v_dual_mov_b32 v2, 0 :: v_dual_add_nc_u32 v7, -1, v134
	v_or_b32_e32 v9, 8, v14
	s_mov_b32 s3, 0
	s_delay_alu instid0(VALU_DEP_2)
	v_dual_mov_b32 v4, v2 :: v_dual_mov_b32 v3, v1
	.p2align	6
.LBB43_29:                              ; =>This Inner Loop Header: Depth=1
	scratch_load_b128 v[15:18], v9, off offset:-8
	ds_load_b128 v[19:22], v8
	v_add_nc_u32_e32 v7, 1, v7
	v_add_nc_u32_e32 v8, 16, v8
	;; [unrolled: 1-line block ×3, first 2 shown]
	s_delay_alu instid0(VALU_DEP_3) | instskip(SKIP_4) | instid1(VALU_DEP_2)
	v_cmp_lt_u32_e32 vcc_lo, 2, v7
	s_or_b32 s3, vcc_lo, s3
	s_waitcnt vmcnt(0) lgkmcnt(0)
	v_mul_f64 v[10:11], v[21:22], v[17:18]
	v_mul_f64 v[17:18], v[19:20], v[17:18]
	v_fma_f64 v[10:11], v[19:20], v[15:16], -v[10:11]
	s_delay_alu instid0(VALU_DEP_2) | instskip(NEXT) | instid1(VALU_DEP_2)
	v_fma_f64 v[15:16], v[21:22], v[15:16], v[17:18]
	v_add_f64 v[3:4], v[3:4], v[10:11]
	s_delay_alu instid0(VALU_DEP_2)
	v_add_f64 v[1:2], v[1:2], v[15:16]
	s_and_not1_b32 exec_lo, exec_lo, s3
	s_cbranch_execnz .LBB43_29
; %bb.30:
	s_or_b32 exec_lo, exec_lo, s3
	v_mov_b32_e32 v7, 0
	ds_load_b128 v[7:10], v7 offset:64
	s_waitcnt lgkmcnt(0)
	v_mul_f64 v[11:12], v[1:2], v[9:10]
	v_mul_f64 v[15:16], v[3:4], v[9:10]
	s_delay_alu instid0(VALU_DEP_2) | instskip(NEXT) | instid1(VALU_DEP_2)
	v_fma_f64 v[9:10], v[3:4], v[7:8], -v[11:12]
	v_fma_f64 v[11:12], v[1:2], v[7:8], v[15:16]
	scratch_store_b128 off, v[9:12], off offset:64
.LBB43_31:
	s_or_b32 exec_lo, exec_lo, s2
	s_waitcnt_vscnt null, 0x0
	s_barrier
	buffer_gl0_inv
	scratch_load_b128 v[1:4], v175, off
	s_mov_b32 s2, exec_lo
	s_waitcnt vmcnt(0)
	ds_store_b128 v5, v[1:4]
	s_waitcnt lgkmcnt(0)
	s_barrier
	buffer_gl0_inv
	v_cmpx_gt_u32_e32 5, v134
	s_cbranch_execz .LBB43_35
; %bb.32:
	v_dual_mov_b32 v1, 0 :: v_dual_add_nc_u32 v8, 0x2c0, v13
	v_dual_mov_b32 v2, 0 :: v_dual_add_nc_u32 v7, -1, v134
	v_or_b32_e32 v9, 8, v14
	s_mov_b32 s3, 0
	s_delay_alu instid0(VALU_DEP_2)
	v_dual_mov_b32 v4, v2 :: v_dual_mov_b32 v3, v1
	.p2align	6
.LBB43_33:                              ; =>This Inner Loop Header: Depth=1
	scratch_load_b128 v[15:18], v9, off offset:-8
	ds_load_b128 v[19:22], v8
	v_add_nc_u32_e32 v7, 1, v7
	v_add_nc_u32_e32 v8, 16, v8
	;; [unrolled: 1-line block ×3, first 2 shown]
	s_delay_alu instid0(VALU_DEP_3) | instskip(SKIP_4) | instid1(VALU_DEP_2)
	v_cmp_lt_u32_e32 vcc_lo, 3, v7
	s_or_b32 s3, vcc_lo, s3
	s_waitcnt vmcnt(0) lgkmcnt(0)
	v_mul_f64 v[10:11], v[21:22], v[17:18]
	v_mul_f64 v[17:18], v[19:20], v[17:18]
	v_fma_f64 v[10:11], v[19:20], v[15:16], -v[10:11]
	s_delay_alu instid0(VALU_DEP_2) | instskip(NEXT) | instid1(VALU_DEP_2)
	v_fma_f64 v[15:16], v[21:22], v[15:16], v[17:18]
	v_add_f64 v[3:4], v[3:4], v[10:11]
	s_delay_alu instid0(VALU_DEP_2)
	v_add_f64 v[1:2], v[1:2], v[15:16]
	s_and_not1_b32 exec_lo, exec_lo, s3
	s_cbranch_execnz .LBB43_33
; %bb.34:
	s_or_b32 exec_lo, exec_lo, s3
	v_mov_b32_e32 v7, 0
	ds_load_b128 v[7:10], v7 offset:80
	s_waitcnt lgkmcnt(0)
	v_mul_f64 v[11:12], v[1:2], v[9:10]
	v_mul_f64 v[15:16], v[3:4], v[9:10]
	s_delay_alu instid0(VALU_DEP_2) | instskip(NEXT) | instid1(VALU_DEP_2)
	v_fma_f64 v[9:10], v[3:4], v[7:8], -v[11:12]
	v_fma_f64 v[11:12], v[1:2], v[7:8], v[15:16]
	scratch_store_b128 off, v[9:12], off offset:80
.LBB43_35:
	s_or_b32 exec_lo, exec_lo, s2
	s_waitcnt_vscnt null, 0x0
	s_barrier
	buffer_gl0_inv
	scratch_load_b128 v[1:4], v174, off
	s_mov_b32 s2, exec_lo
	s_waitcnt vmcnt(0)
	ds_store_b128 v5, v[1:4]
	s_waitcnt lgkmcnt(0)
	s_barrier
	buffer_gl0_inv
	v_cmpx_gt_u32_e32 6, v134
	s_cbranch_execz .LBB43_39
; %bb.36:
	v_dual_mov_b32 v1, 0 :: v_dual_add_nc_u32 v8, 0x2c0, v13
	v_dual_mov_b32 v2, 0 :: v_dual_add_nc_u32 v7, -1, v134
	v_or_b32_e32 v9, 8, v14
	s_mov_b32 s3, 0
	s_delay_alu instid0(VALU_DEP_2)
	v_dual_mov_b32 v4, v2 :: v_dual_mov_b32 v3, v1
	.p2align	6
.LBB43_37:                              ; =>This Inner Loop Header: Depth=1
	scratch_load_b128 v[15:18], v9, off offset:-8
	ds_load_b128 v[19:22], v8
	v_add_nc_u32_e32 v7, 1, v7
	v_add_nc_u32_e32 v8, 16, v8
	;; [unrolled: 1-line block ×3, first 2 shown]
	s_delay_alu instid0(VALU_DEP_3) | instskip(SKIP_4) | instid1(VALU_DEP_2)
	v_cmp_lt_u32_e32 vcc_lo, 4, v7
	s_or_b32 s3, vcc_lo, s3
	s_waitcnt vmcnt(0) lgkmcnt(0)
	v_mul_f64 v[10:11], v[21:22], v[17:18]
	v_mul_f64 v[17:18], v[19:20], v[17:18]
	v_fma_f64 v[10:11], v[19:20], v[15:16], -v[10:11]
	s_delay_alu instid0(VALU_DEP_2) | instskip(NEXT) | instid1(VALU_DEP_2)
	v_fma_f64 v[15:16], v[21:22], v[15:16], v[17:18]
	v_add_f64 v[3:4], v[3:4], v[10:11]
	s_delay_alu instid0(VALU_DEP_2)
	v_add_f64 v[1:2], v[1:2], v[15:16]
	s_and_not1_b32 exec_lo, exec_lo, s3
	s_cbranch_execnz .LBB43_37
; %bb.38:
	s_or_b32 exec_lo, exec_lo, s3
	v_mov_b32_e32 v7, 0
	ds_load_b128 v[7:10], v7 offset:96
	s_waitcnt lgkmcnt(0)
	v_mul_f64 v[11:12], v[1:2], v[9:10]
	v_mul_f64 v[15:16], v[3:4], v[9:10]
	s_delay_alu instid0(VALU_DEP_2) | instskip(NEXT) | instid1(VALU_DEP_2)
	v_fma_f64 v[9:10], v[3:4], v[7:8], -v[11:12]
	v_fma_f64 v[11:12], v[1:2], v[7:8], v[15:16]
	scratch_store_b128 off, v[9:12], off offset:96
.LBB43_39:
	s_or_b32 exec_lo, exec_lo, s2
	s_waitcnt_vscnt null, 0x0
	s_barrier
	buffer_gl0_inv
	scratch_load_b128 v[1:4], v173, off
	s_mov_b32 s2, exec_lo
	s_waitcnt vmcnt(0)
	ds_store_b128 v5, v[1:4]
	s_waitcnt lgkmcnt(0)
	s_barrier
	buffer_gl0_inv
	v_cmpx_gt_u32_e32 7, v134
	s_cbranch_execz .LBB43_43
; %bb.40:
	v_dual_mov_b32 v1, 0 :: v_dual_add_nc_u32 v8, 0x2c0, v13
	v_dual_mov_b32 v2, 0 :: v_dual_add_nc_u32 v7, -1, v134
	v_or_b32_e32 v9, 8, v14
	s_mov_b32 s3, 0
	s_delay_alu instid0(VALU_DEP_2)
	v_dual_mov_b32 v4, v2 :: v_dual_mov_b32 v3, v1
	.p2align	6
.LBB43_41:                              ; =>This Inner Loop Header: Depth=1
	scratch_load_b128 v[15:18], v9, off offset:-8
	ds_load_b128 v[19:22], v8
	v_add_nc_u32_e32 v7, 1, v7
	v_add_nc_u32_e32 v8, 16, v8
	;; [unrolled: 1-line block ×3, first 2 shown]
	s_delay_alu instid0(VALU_DEP_3) | instskip(SKIP_4) | instid1(VALU_DEP_2)
	v_cmp_lt_u32_e32 vcc_lo, 5, v7
	s_or_b32 s3, vcc_lo, s3
	s_waitcnt vmcnt(0) lgkmcnt(0)
	v_mul_f64 v[10:11], v[21:22], v[17:18]
	v_mul_f64 v[17:18], v[19:20], v[17:18]
	v_fma_f64 v[10:11], v[19:20], v[15:16], -v[10:11]
	s_delay_alu instid0(VALU_DEP_2) | instskip(NEXT) | instid1(VALU_DEP_2)
	v_fma_f64 v[15:16], v[21:22], v[15:16], v[17:18]
	v_add_f64 v[3:4], v[3:4], v[10:11]
	s_delay_alu instid0(VALU_DEP_2)
	v_add_f64 v[1:2], v[1:2], v[15:16]
	s_and_not1_b32 exec_lo, exec_lo, s3
	s_cbranch_execnz .LBB43_41
; %bb.42:
	s_or_b32 exec_lo, exec_lo, s3
	v_mov_b32_e32 v7, 0
	ds_load_b128 v[7:10], v7 offset:112
	s_waitcnt lgkmcnt(0)
	v_mul_f64 v[11:12], v[1:2], v[9:10]
	v_mul_f64 v[15:16], v[3:4], v[9:10]
	s_delay_alu instid0(VALU_DEP_2) | instskip(NEXT) | instid1(VALU_DEP_2)
	v_fma_f64 v[9:10], v[3:4], v[7:8], -v[11:12]
	v_fma_f64 v[11:12], v[1:2], v[7:8], v[15:16]
	scratch_store_b128 off, v[9:12], off offset:112
.LBB43_43:
	s_or_b32 exec_lo, exec_lo, s2
	s_waitcnt_vscnt null, 0x0
	s_barrier
	buffer_gl0_inv
	scratch_load_b128 v[1:4], v172, off
	s_mov_b32 s2, exec_lo
	s_waitcnt vmcnt(0)
	ds_store_b128 v5, v[1:4]
	s_waitcnt lgkmcnt(0)
	s_barrier
	buffer_gl0_inv
	v_cmpx_gt_u32_e32 8, v134
	s_cbranch_execz .LBB43_47
; %bb.44:
	v_dual_mov_b32 v1, 0 :: v_dual_add_nc_u32 v8, 0x2c0, v13
	v_dual_mov_b32 v2, 0 :: v_dual_add_nc_u32 v7, -1, v134
	v_or_b32_e32 v9, 8, v14
	s_mov_b32 s3, 0
	s_delay_alu instid0(VALU_DEP_2)
	v_dual_mov_b32 v4, v2 :: v_dual_mov_b32 v3, v1
	.p2align	6
.LBB43_45:                              ; =>This Inner Loop Header: Depth=1
	scratch_load_b128 v[15:18], v9, off offset:-8
	ds_load_b128 v[19:22], v8
	v_add_nc_u32_e32 v7, 1, v7
	v_add_nc_u32_e32 v8, 16, v8
	;; [unrolled: 1-line block ×3, first 2 shown]
	s_delay_alu instid0(VALU_DEP_3) | instskip(SKIP_4) | instid1(VALU_DEP_2)
	v_cmp_lt_u32_e32 vcc_lo, 6, v7
	s_or_b32 s3, vcc_lo, s3
	s_waitcnt vmcnt(0) lgkmcnt(0)
	v_mul_f64 v[10:11], v[21:22], v[17:18]
	v_mul_f64 v[17:18], v[19:20], v[17:18]
	v_fma_f64 v[10:11], v[19:20], v[15:16], -v[10:11]
	s_delay_alu instid0(VALU_DEP_2) | instskip(NEXT) | instid1(VALU_DEP_2)
	v_fma_f64 v[15:16], v[21:22], v[15:16], v[17:18]
	v_add_f64 v[3:4], v[3:4], v[10:11]
	s_delay_alu instid0(VALU_DEP_2)
	v_add_f64 v[1:2], v[1:2], v[15:16]
	s_and_not1_b32 exec_lo, exec_lo, s3
	s_cbranch_execnz .LBB43_45
; %bb.46:
	s_or_b32 exec_lo, exec_lo, s3
	v_mov_b32_e32 v7, 0
	ds_load_b128 v[7:10], v7 offset:128
	s_waitcnt lgkmcnt(0)
	v_mul_f64 v[11:12], v[1:2], v[9:10]
	v_mul_f64 v[15:16], v[3:4], v[9:10]
	s_delay_alu instid0(VALU_DEP_2) | instskip(NEXT) | instid1(VALU_DEP_2)
	v_fma_f64 v[9:10], v[3:4], v[7:8], -v[11:12]
	v_fma_f64 v[11:12], v[1:2], v[7:8], v[15:16]
	scratch_store_b128 off, v[9:12], off offset:128
.LBB43_47:
	s_or_b32 exec_lo, exec_lo, s2
	s_waitcnt_vscnt null, 0x0
	s_barrier
	buffer_gl0_inv
	scratch_load_b128 v[1:4], v171, off
	s_mov_b32 s2, exec_lo
	s_waitcnt vmcnt(0)
	ds_store_b128 v5, v[1:4]
	s_waitcnt lgkmcnt(0)
	s_barrier
	buffer_gl0_inv
	v_cmpx_gt_u32_e32 9, v134
	s_cbranch_execz .LBB43_51
; %bb.48:
	v_dual_mov_b32 v1, 0 :: v_dual_add_nc_u32 v8, 0x2c0, v13
	v_dual_mov_b32 v2, 0 :: v_dual_add_nc_u32 v7, -1, v134
	v_or_b32_e32 v9, 8, v14
	s_mov_b32 s3, 0
	s_delay_alu instid0(VALU_DEP_2)
	v_dual_mov_b32 v4, v2 :: v_dual_mov_b32 v3, v1
	.p2align	6
.LBB43_49:                              ; =>This Inner Loop Header: Depth=1
	scratch_load_b128 v[15:18], v9, off offset:-8
	ds_load_b128 v[19:22], v8
	v_add_nc_u32_e32 v7, 1, v7
	v_add_nc_u32_e32 v8, 16, v8
	;; [unrolled: 1-line block ×3, first 2 shown]
	s_delay_alu instid0(VALU_DEP_3) | instskip(SKIP_4) | instid1(VALU_DEP_2)
	v_cmp_lt_u32_e32 vcc_lo, 7, v7
	s_or_b32 s3, vcc_lo, s3
	s_waitcnt vmcnt(0) lgkmcnt(0)
	v_mul_f64 v[10:11], v[21:22], v[17:18]
	v_mul_f64 v[17:18], v[19:20], v[17:18]
	v_fma_f64 v[10:11], v[19:20], v[15:16], -v[10:11]
	s_delay_alu instid0(VALU_DEP_2) | instskip(NEXT) | instid1(VALU_DEP_2)
	v_fma_f64 v[15:16], v[21:22], v[15:16], v[17:18]
	v_add_f64 v[3:4], v[3:4], v[10:11]
	s_delay_alu instid0(VALU_DEP_2)
	v_add_f64 v[1:2], v[1:2], v[15:16]
	s_and_not1_b32 exec_lo, exec_lo, s3
	s_cbranch_execnz .LBB43_49
; %bb.50:
	s_or_b32 exec_lo, exec_lo, s3
	v_mov_b32_e32 v7, 0
	ds_load_b128 v[7:10], v7 offset:144
	s_waitcnt lgkmcnt(0)
	v_mul_f64 v[11:12], v[1:2], v[9:10]
	v_mul_f64 v[15:16], v[3:4], v[9:10]
	s_delay_alu instid0(VALU_DEP_2) | instskip(NEXT) | instid1(VALU_DEP_2)
	v_fma_f64 v[9:10], v[3:4], v[7:8], -v[11:12]
	v_fma_f64 v[11:12], v[1:2], v[7:8], v[15:16]
	scratch_store_b128 off, v[9:12], off offset:144
.LBB43_51:
	s_or_b32 exec_lo, exec_lo, s2
	s_waitcnt_vscnt null, 0x0
	s_barrier
	buffer_gl0_inv
	scratch_load_b128 v[1:4], v170, off
	s_mov_b32 s2, exec_lo
	s_waitcnt vmcnt(0)
	ds_store_b128 v5, v[1:4]
	s_waitcnt lgkmcnt(0)
	s_barrier
	buffer_gl0_inv
	v_cmpx_gt_u32_e32 10, v134
	s_cbranch_execz .LBB43_55
; %bb.52:
	v_dual_mov_b32 v1, 0 :: v_dual_add_nc_u32 v8, 0x2c0, v13
	v_dual_mov_b32 v2, 0 :: v_dual_add_nc_u32 v7, -1, v134
	v_or_b32_e32 v9, 8, v14
	s_mov_b32 s3, 0
	s_delay_alu instid0(VALU_DEP_2)
	v_dual_mov_b32 v4, v2 :: v_dual_mov_b32 v3, v1
	.p2align	6
.LBB43_53:                              ; =>This Inner Loop Header: Depth=1
	scratch_load_b128 v[15:18], v9, off offset:-8
	ds_load_b128 v[19:22], v8
	v_add_nc_u32_e32 v7, 1, v7
	v_add_nc_u32_e32 v8, 16, v8
	;; [unrolled: 1-line block ×3, first 2 shown]
	s_delay_alu instid0(VALU_DEP_3) | instskip(SKIP_4) | instid1(VALU_DEP_2)
	v_cmp_lt_u32_e32 vcc_lo, 8, v7
	s_or_b32 s3, vcc_lo, s3
	s_waitcnt vmcnt(0) lgkmcnt(0)
	v_mul_f64 v[10:11], v[21:22], v[17:18]
	v_mul_f64 v[17:18], v[19:20], v[17:18]
	v_fma_f64 v[10:11], v[19:20], v[15:16], -v[10:11]
	s_delay_alu instid0(VALU_DEP_2) | instskip(NEXT) | instid1(VALU_DEP_2)
	v_fma_f64 v[15:16], v[21:22], v[15:16], v[17:18]
	v_add_f64 v[3:4], v[3:4], v[10:11]
	s_delay_alu instid0(VALU_DEP_2)
	v_add_f64 v[1:2], v[1:2], v[15:16]
	s_and_not1_b32 exec_lo, exec_lo, s3
	s_cbranch_execnz .LBB43_53
; %bb.54:
	s_or_b32 exec_lo, exec_lo, s3
	v_mov_b32_e32 v7, 0
	ds_load_b128 v[7:10], v7 offset:160
	s_waitcnt lgkmcnt(0)
	v_mul_f64 v[11:12], v[1:2], v[9:10]
	v_mul_f64 v[15:16], v[3:4], v[9:10]
	s_delay_alu instid0(VALU_DEP_2) | instskip(NEXT) | instid1(VALU_DEP_2)
	v_fma_f64 v[9:10], v[3:4], v[7:8], -v[11:12]
	v_fma_f64 v[11:12], v[1:2], v[7:8], v[15:16]
	scratch_store_b128 off, v[9:12], off offset:160
.LBB43_55:
	s_or_b32 exec_lo, exec_lo, s2
	s_waitcnt_vscnt null, 0x0
	s_barrier
	buffer_gl0_inv
	scratch_load_b128 v[1:4], v169, off
	s_mov_b32 s2, exec_lo
	s_waitcnt vmcnt(0)
	ds_store_b128 v5, v[1:4]
	s_waitcnt lgkmcnt(0)
	s_barrier
	buffer_gl0_inv
	v_cmpx_gt_u32_e32 11, v134
	s_cbranch_execz .LBB43_59
; %bb.56:
	v_dual_mov_b32 v1, 0 :: v_dual_add_nc_u32 v8, 0x2c0, v13
	v_dual_mov_b32 v2, 0 :: v_dual_add_nc_u32 v7, -1, v134
	v_or_b32_e32 v9, 8, v14
	s_mov_b32 s3, 0
	s_delay_alu instid0(VALU_DEP_2)
	v_dual_mov_b32 v4, v2 :: v_dual_mov_b32 v3, v1
	.p2align	6
.LBB43_57:                              ; =>This Inner Loop Header: Depth=1
	scratch_load_b128 v[15:18], v9, off offset:-8
	ds_load_b128 v[19:22], v8
	v_add_nc_u32_e32 v7, 1, v7
	v_add_nc_u32_e32 v8, 16, v8
	;; [unrolled: 1-line block ×3, first 2 shown]
	s_delay_alu instid0(VALU_DEP_3) | instskip(SKIP_4) | instid1(VALU_DEP_2)
	v_cmp_lt_u32_e32 vcc_lo, 9, v7
	s_or_b32 s3, vcc_lo, s3
	s_waitcnt vmcnt(0) lgkmcnt(0)
	v_mul_f64 v[10:11], v[21:22], v[17:18]
	v_mul_f64 v[17:18], v[19:20], v[17:18]
	v_fma_f64 v[10:11], v[19:20], v[15:16], -v[10:11]
	s_delay_alu instid0(VALU_DEP_2) | instskip(NEXT) | instid1(VALU_DEP_2)
	v_fma_f64 v[15:16], v[21:22], v[15:16], v[17:18]
	v_add_f64 v[3:4], v[3:4], v[10:11]
	s_delay_alu instid0(VALU_DEP_2)
	v_add_f64 v[1:2], v[1:2], v[15:16]
	s_and_not1_b32 exec_lo, exec_lo, s3
	s_cbranch_execnz .LBB43_57
; %bb.58:
	s_or_b32 exec_lo, exec_lo, s3
	v_mov_b32_e32 v7, 0
	ds_load_b128 v[7:10], v7 offset:176
	s_waitcnt lgkmcnt(0)
	v_mul_f64 v[11:12], v[1:2], v[9:10]
	v_mul_f64 v[15:16], v[3:4], v[9:10]
	s_delay_alu instid0(VALU_DEP_2) | instskip(NEXT) | instid1(VALU_DEP_2)
	v_fma_f64 v[9:10], v[3:4], v[7:8], -v[11:12]
	v_fma_f64 v[11:12], v[1:2], v[7:8], v[15:16]
	scratch_store_b128 off, v[9:12], off offset:176
.LBB43_59:
	s_or_b32 exec_lo, exec_lo, s2
	s_waitcnt_vscnt null, 0x0
	s_barrier
	buffer_gl0_inv
	scratch_load_b128 v[1:4], v168, off
	s_mov_b32 s2, exec_lo
	s_waitcnt vmcnt(0)
	ds_store_b128 v5, v[1:4]
	s_waitcnt lgkmcnt(0)
	s_barrier
	buffer_gl0_inv
	v_cmpx_gt_u32_e32 12, v134
	s_cbranch_execz .LBB43_63
; %bb.60:
	v_dual_mov_b32 v1, 0 :: v_dual_add_nc_u32 v8, 0x2c0, v13
	v_dual_mov_b32 v2, 0 :: v_dual_add_nc_u32 v7, -1, v134
	v_or_b32_e32 v9, 8, v14
	s_mov_b32 s3, 0
	s_delay_alu instid0(VALU_DEP_2)
	v_dual_mov_b32 v4, v2 :: v_dual_mov_b32 v3, v1
	.p2align	6
.LBB43_61:                              ; =>This Inner Loop Header: Depth=1
	scratch_load_b128 v[15:18], v9, off offset:-8
	ds_load_b128 v[19:22], v8
	v_add_nc_u32_e32 v7, 1, v7
	v_add_nc_u32_e32 v8, 16, v8
	;; [unrolled: 1-line block ×3, first 2 shown]
	s_delay_alu instid0(VALU_DEP_3) | instskip(SKIP_4) | instid1(VALU_DEP_2)
	v_cmp_lt_u32_e32 vcc_lo, 10, v7
	s_or_b32 s3, vcc_lo, s3
	s_waitcnt vmcnt(0) lgkmcnt(0)
	v_mul_f64 v[10:11], v[21:22], v[17:18]
	v_mul_f64 v[17:18], v[19:20], v[17:18]
	v_fma_f64 v[10:11], v[19:20], v[15:16], -v[10:11]
	s_delay_alu instid0(VALU_DEP_2) | instskip(NEXT) | instid1(VALU_DEP_2)
	v_fma_f64 v[15:16], v[21:22], v[15:16], v[17:18]
	v_add_f64 v[3:4], v[3:4], v[10:11]
	s_delay_alu instid0(VALU_DEP_2)
	v_add_f64 v[1:2], v[1:2], v[15:16]
	s_and_not1_b32 exec_lo, exec_lo, s3
	s_cbranch_execnz .LBB43_61
; %bb.62:
	s_or_b32 exec_lo, exec_lo, s3
	v_mov_b32_e32 v7, 0
	ds_load_b128 v[7:10], v7 offset:192
	s_waitcnt lgkmcnt(0)
	v_mul_f64 v[11:12], v[1:2], v[9:10]
	v_mul_f64 v[15:16], v[3:4], v[9:10]
	s_delay_alu instid0(VALU_DEP_2) | instskip(NEXT) | instid1(VALU_DEP_2)
	v_fma_f64 v[9:10], v[3:4], v[7:8], -v[11:12]
	v_fma_f64 v[11:12], v[1:2], v[7:8], v[15:16]
	scratch_store_b128 off, v[9:12], off offset:192
.LBB43_63:
	s_or_b32 exec_lo, exec_lo, s2
	s_waitcnt_vscnt null, 0x0
	s_barrier
	buffer_gl0_inv
	scratch_load_b128 v[1:4], v167, off
	s_mov_b32 s2, exec_lo
	s_waitcnt vmcnt(0)
	ds_store_b128 v5, v[1:4]
	s_waitcnt lgkmcnt(0)
	s_barrier
	buffer_gl0_inv
	v_cmpx_gt_u32_e32 13, v134
	s_cbranch_execz .LBB43_67
; %bb.64:
	v_dual_mov_b32 v1, 0 :: v_dual_add_nc_u32 v8, 0x2c0, v13
	v_dual_mov_b32 v2, 0 :: v_dual_add_nc_u32 v7, -1, v134
	v_or_b32_e32 v9, 8, v14
	s_mov_b32 s3, 0
	s_delay_alu instid0(VALU_DEP_2)
	v_dual_mov_b32 v4, v2 :: v_dual_mov_b32 v3, v1
	.p2align	6
.LBB43_65:                              ; =>This Inner Loop Header: Depth=1
	scratch_load_b128 v[15:18], v9, off offset:-8
	ds_load_b128 v[19:22], v8
	v_add_nc_u32_e32 v7, 1, v7
	v_add_nc_u32_e32 v8, 16, v8
	;; [unrolled: 1-line block ×3, first 2 shown]
	s_delay_alu instid0(VALU_DEP_3) | instskip(SKIP_4) | instid1(VALU_DEP_2)
	v_cmp_lt_u32_e32 vcc_lo, 11, v7
	s_or_b32 s3, vcc_lo, s3
	s_waitcnt vmcnt(0) lgkmcnt(0)
	v_mul_f64 v[10:11], v[21:22], v[17:18]
	v_mul_f64 v[17:18], v[19:20], v[17:18]
	v_fma_f64 v[10:11], v[19:20], v[15:16], -v[10:11]
	s_delay_alu instid0(VALU_DEP_2) | instskip(NEXT) | instid1(VALU_DEP_2)
	v_fma_f64 v[15:16], v[21:22], v[15:16], v[17:18]
	v_add_f64 v[3:4], v[3:4], v[10:11]
	s_delay_alu instid0(VALU_DEP_2)
	v_add_f64 v[1:2], v[1:2], v[15:16]
	s_and_not1_b32 exec_lo, exec_lo, s3
	s_cbranch_execnz .LBB43_65
; %bb.66:
	s_or_b32 exec_lo, exec_lo, s3
	v_mov_b32_e32 v7, 0
	ds_load_b128 v[7:10], v7 offset:208
	s_waitcnt lgkmcnt(0)
	v_mul_f64 v[11:12], v[1:2], v[9:10]
	v_mul_f64 v[15:16], v[3:4], v[9:10]
	s_delay_alu instid0(VALU_DEP_2) | instskip(NEXT) | instid1(VALU_DEP_2)
	v_fma_f64 v[9:10], v[3:4], v[7:8], -v[11:12]
	v_fma_f64 v[11:12], v[1:2], v[7:8], v[15:16]
	scratch_store_b128 off, v[9:12], off offset:208
.LBB43_67:
	s_or_b32 exec_lo, exec_lo, s2
	s_waitcnt_vscnt null, 0x0
	s_barrier
	buffer_gl0_inv
	scratch_load_b128 v[1:4], v166, off
	s_mov_b32 s2, exec_lo
	s_waitcnt vmcnt(0)
	ds_store_b128 v5, v[1:4]
	s_waitcnt lgkmcnt(0)
	s_barrier
	buffer_gl0_inv
	v_cmpx_gt_u32_e32 14, v134
	s_cbranch_execz .LBB43_71
; %bb.68:
	v_dual_mov_b32 v1, 0 :: v_dual_add_nc_u32 v8, 0x2c0, v13
	v_dual_mov_b32 v2, 0 :: v_dual_add_nc_u32 v7, -1, v134
	v_or_b32_e32 v9, 8, v14
	s_mov_b32 s3, 0
	s_delay_alu instid0(VALU_DEP_2)
	v_dual_mov_b32 v4, v2 :: v_dual_mov_b32 v3, v1
	.p2align	6
.LBB43_69:                              ; =>This Inner Loop Header: Depth=1
	scratch_load_b128 v[15:18], v9, off offset:-8
	ds_load_b128 v[19:22], v8
	v_add_nc_u32_e32 v7, 1, v7
	v_add_nc_u32_e32 v8, 16, v8
	;; [unrolled: 1-line block ×3, first 2 shown]
	s_delay_alu instid0(VALU_DEP_3) | instskip(SKIP_4) | instid1(VALU_DEP_2)
	v_cmp_lt_u32_e32 vcc_lo, 12, v7
	s_or_b32 s3, vcc_lo, s3
	s_waitcnt vmcnt(0) lgkmcnt(0)
	v_mul_f64 v[10:11], v[21:22], v[17:18]
	v_mul_f64 v[17:18], v[19:20], v[17:18]
	v_fma_f64 v[10:11], v[19:20], v[15:16], -v[10:11]
	s_delay_alu instid0(VALU_DEP_2) | instskip(NEXT) | instid1(VALU_DEP_2)
	v_fma_f64 v[15:16], v[21:22], v[15:16], v[17:18]
	v_add_f64 v[3:4], v[3:4], v[10:11]
	s_delay_alu instid0(VALU_DEP_2)
	v_add_f64 v[1:2], v[1:2], v[15:16]
	s_and_not1_b32 exec_lo, exec_lo, s3
	s_cbranch_execnz .LBB43_69
; %bb.70:
	s_or_b32 exec_lo, exec_lo, s3
	v_mov_b32_e32 v7, 0
	ds_load_b128 v[7:10], v7 offset:224
	s_waitcnt lgkmcnt(0)
	v_mul_f64 v[11:12], v[1:2], v[9:10]
	v_mul_f64 v[15:16], v[3:4], v[9:10]
	s_delay_alu instid0(VALU_DEP_2) | instskip(NEXT) | instid1(VALU_DEP_2)
	v_fma_f64 v[9:10], v[3:4], v[7:8], -v[11:12]
	v_fma_f64 v[11:12], v[1:2], v[7:8], v[15:16]
	scratch_store_b128 off, v[9:12], off offset:224
.LBB43_71:
	s_or_b32 exec_lo, exec_lo, s2
	s_waitcnt_vscnt null, 0x0
	s_barrier
	buffer_gl0_inv
	scratch_load_b128 v[1:4], v165, off
	s_mov_b32 s2, exec_lo
	s_waitcnt vmcnt(0)
	ds_store_b128 v5, v[1:4]
	s_waitcnt lgkmcnt(0)
	s_barrier
	buffer_gl0_inv
	v_cmpx_gt_u32_e32 15, v134
	s_cbranch_execz .LBB43_75
; %bb.72:
	v_dual_mov_b32 v1, 0 :: v_dual_add_nc_u32 v8, 0x2c0, v13
	v_dual_mov_b32 v2, 0 :: v_dual_add_nc_u32 v7, -1, v134
	v_or_b32_e32 v9, 8, v14
	s_mov_b32 s3, 0
	s_delay_alu instid0(VALU_DEP_2)
	v_dual_mov_b32 v4, v2 :: v_dual_mov_b32 v3, v1
	.p2align	6
.LBB43_73:                              ; =>This Inner Loop Header: Depth=1
	scratch_load_b128 v[15:18], v9, off offset:-8
	ds_load_b128 v[19:22], v8
	v_add_nc_u32_e32 v7, 1, v7
	v_add_nc_u32_e32 v8, 16, v8
	;; [unrolled: 1-line block ×3, first 2 shown]
	s_delay_alu instid0(VALU_DEP_3) | instskip(SKIP_4) | instid1(VALU_DEP_2)
	v_cmp_lt_u32_e32 vcc_lo, 13, v7
	s_or_b32 s3, vcc_lo, s3
	s_waitcnt vmcnt(0) lgkmcnt(0)
	v_mul_f64 v[10:11], v[21:22], v[17:18]
	v_mul_f64 v[17:18], v[19:20], v[17:18]
	v_fma_f64 v[10:11], v[19:20], v[15:16], -v[10:11]
	s_delay_alu instid0(VALU_DEP_2) | instskip(NEXT) | instid1(VALU_DEP_2)
	v_fma_f64 v[15:16], v[21:22], v[15:16], v[17:18]
	v_add_f64 v[3:4], v[3:4], v[10:11]
	s_delay_alu instid0(VALU_DEP_2)
	v_add_f64 v[1:2], v[1:2], v[15:16]
	s_and_not1_b32 exec_lo, exec_lo, s3
	s_cbranch_execnz .LBB43_73
; %bb.74:
	s_or_b32 exec_lo, exec_lo, s3
	v_mov_b32_e32 v7, 0
	ds_load_b128 v[7:10], v7 offset:240
	s_waitcnt lgkmcnt(0)
	v_mul_f64 v[11:12], v[1:2], v[9:10]
	v_mul_f64 v[15:16], v[3:4], v[9:10]
	s_delay_alu instid0(VALU_DEP_2) | instskip(NEXT) | instid1(VALU_DEP_2)
	v_fma_f64 v[9:10], v[3:4], v[7:8], -v[11:12]
	v_fma_f64 v[11:12], v[1:2], v[7:8], v[15:16]
	scratch_store_b128 off, v[9:12], off offset:240
.LBB43_75:
	s_or_b32 exec_lo, exec_lo, s2
	s_waitcnt_vscnt null, 0x0
	s_barrier
	buffer_gl0_inv
	scratch_load_b128 v[1:4], v164, off
	s_mov_b32 s2, exec_lo
	s_waitcnt vmcnt(0)
	ds_store_b128 v5, v[1:4]
	s_waitcnt lgkmcnt(0)
	s_barrier
	buffer_gl0_inv
	v_cmpx_gt_u32_e32 16, v134
	s_cbranch_execz .LBB43_79
; %bb.76:
	v_dual_mov_b32 v1, 0 :: v_dual_add_nc_u32 v8, 0x2c0, v13
	v_dual_mov_b32 v2, 0 :: v_dual_add_nc_u32 v7, -1, v134
	v_or_b32_e32 v9, 8, v14
	s_mov_b32 s3, 0
	s_delay_alu instid0(VALU_DEP_2)
	v_dual_mov_b32 v4, v2 :: v_dual_mov_b32 v3, v1
	.p2align	6
.LBB43_77:                              ; =>This Inner Loop Header: Depth=1
	scratch_load_b128 v[15:18], v9, off offset:-8
	ds_load_b128 v[19:22], v8
	v_add_nc_u32_e32 v7, 1, v7
	v_add_nc_u32_e32 v8, 16, v8
	;; [unrolled: 1-line block ×3, first 2 shown]
	s_delay_alu instid0(VALU_DEP_3) | instskip(SKIP_4) | instid1(VALU_DEP_2)
	v_cmp_lt_u32_e32 vcc_lo, 14, v7
	s_or_b32 s3, vcc_lo, s3
	s_waitcnt vmcnt(0) lgkmcnt(0)
	v_mul_f64 v[10:11], v[21:22], v[17:18]
	v_mul_f64 v[17:18], v[19:20], v[17:18]
	v_fma_f64 v[10:11], v[19:20], v[15:16], -v[10:11]
	s_delay_alu instid0(VALU_DEP_2) | instskip(NEXT) | instid1(VALU_DEP_2)
	v_fma_f64 v[15:16], v[21:22], v[15:16], v[17:18]
	v_add_f64 v[3:4], v[3:4], v[10:11]
	s_delay_alu instid0(VALU_DEP_2)
	v_add_f64 v[1:2], v[1:2], v[15:16]
	s_and_not1_b32 exec_lo, exec_lo, s3
	s_cbranch_execnz .LBB43_77
; %bb.78:
	s_or_b32 exec_lo, exec_lo, s3
	v_mov_b32_e32 v7, 0
	ds_load_b128 v[7:10], v7 offset:256
	s_waitcnt lgkmcnt(0)
	v_mul_f64 v[11:12], v[1:2], v[9:10]
	v_mul_f64 v[15:16], v[3:4], v[9:10]
	s_delay_alu instid0(VALU_DEP_2) | instskip(NEXT) | instid1(VALU_DEP_2)
	v_fma_f64 v[9:10], v[3:4], v[7:8], -v[11:12]
	v_fma_f64 v[11:12], v[1:2], v[7:8], v[15:16]
	scratch_store_b128 off, v[9:12], off offset:256
.LBB43_79:
	s_or_b32 exec_lo, exec_lo, s2
	s_waitcnt_vscnt null, 0x0
	s_barrier
	buffer_gl0_inv
	scratch_load_b128 v[1:4], v163, off
	s_mov_b32 s2, exec_lo
	s_waitcnt vmcnt(0)
	ds_store_b128 v5, v[1:4]
	s_waitcnt lgkmcnt(0)
	s_barrier
	buffer_gl0_inv
	v_cmpx_gt_u32_e32 17, v134
	s_cbranch_execz .LBB43_83
; %bb.80:
	v_dual_mov_b32 v1, 0 :: v_dual_add_nc_u32 v8, 0x2c0, v13
	v_dual_mov_b32 v2, 0 :: v_dual_add_nc_u32 v7, -1, v134
	v_or_b32_e32 v9, 8, v14
	s_mov_b32 s3, 0
	s_delay_alu instid0(VALU_DEP_2)
	v_dual_mov_b32 v4, v2 :: v_dual_mov_b32 v3, v1
	.p2align	6
.LBB43_81:                              ; =>This Inner Loop Header: Depth=1
	scratch_load_b128 v[15:18], v9, off offset:-8
	ds_load_b128 v[19:22], v8
	v_add_nc_u32_e32 v7, 1, v7
	v_add_nc_u32_e32 v8, 16, v8
	;; [unrolled: 1-line block ×3, first 2 shown]
	s_delay_alu instid0(VALU_DEP_3) | instskip(SKIP_4) | instid1(VALU_DEP_2)
	v_cmp_lt_u32_e32 vcc_lo, 15, v7
	s_or_b32 s3, vcc_lo, s3
	s_waitcnt vmcnt(0) lgkmcnt(0)
	v_mul_f64 v[10:11], v[21:22], v[17:18]
	v_mul_f64 v[17:18], v[19:20], v[17:18]
	v_fma_f64 v[10:11], v[19:20], v[15:16], -v[10:11]
	s_delay_alu instid0(VALU_DEP_2) | instskip(NEXT) | instid1(VALU_DEP_2)
	v_fma_f64 v[15:16], v[21:22], v[15:16], v[17:18]
	v_add_f64 v[3:4], v[3:4], v[10:11]
	s_delay_alu instid0(VALU_DEP_2)
	v_add_f64 v[1:2], v[1:2], v[15:16]
	s_and_not1_b32 exec_lo, exec_lo, s3
	s_cbranch_execnz .LBB43_81
; %bb.82:
	s_or_b32 exec_lo, exec_lo, s3
	v_mov_b32_e32 v7, 0
	ds_load_b128 v[7:10], v7 offset:272
	s_waitcnt lgkmcnt(0)
	v_mul_f64 v[11:12], v[1:2], v[9:10]
	v_mul_f64 v[15:16], v[3:4], v[9:10]
	s_delay_alu instid0(VALU_DEP_2) | instskip(NEXT) | instid1(VALU_DEP_2)
	v_fma_f64 v[9:10], v[3:4], v[7:8], -v[11:12]
	v_fma_f64 v[11:12], v[1:2], v[7:8], v[15:16]
	scratch_store_b128 off, v[9:12], off offset:272
.LBB43_83:
	s_or_b32 exec_lo, exec_lo, s2
	s_waitcnt_vscnt null, 0x0
	s_barrier
	buffer_gl0_inv
	scratch_load_b128 v[1:4], v162, off
	s_mov_b32 s2, exec_lo
	s_waitcnt vmcnt(0)
	ds_store_b128 v5, v[1:4]
	s_waitcnt lgkmcnt(0)
	s_barrier
	buffer_gl0_inv
	v_cmpx_gt_u32_e32 18, v134
	s_cbranch_execz .LBB43_87
; %bb.84:
	v_dual_mov_b32 v1, 0 :: v_dual_add_nc_u32 v8, 0x2c0, v13
	v_dual_mov_b32 v2, 0 :: v_dual_add_nc_u32 v7, -1, v134
	v_or_b32_e32 v9, 8, v14
	s_mov_b32 s3, 0
	s_delay_alu instid0(VALU_DEP_2)
	v_dual_mov_b32 v4, v2 :: v_dual_mov_b32 v3, v1
	.p2align	6
.LBB43_85:                              ; =>This Inner Loop Header: Depth=1
	scratch_load_b128 v[15:18], v9, off offset:-8
	ds_load_b128 v[19:22], v8
	v_add_nc_u32_e32 v7, 1, v7
	v_add_nc_u32_e32 v8, 16, v8
	;; [unrolled: 1-line block ×3, first 2 shown]
	s_delay_alu instid0(VALU_DEP_3) | instskip(SKIP_4) | instid1(VALU_DEP_2)
	v_cmp_lt_u32_e32 vcc_lo, 16, v7
	s_or_b32 s3, vcc_lo, s3
	s_waitcnt vmcnt(0) lgkmcnt(0)
	v_mul_f64 v[10:11], v[21:22], v[17:18]
	v_mul_f64 v[17:18], v[19:20], v[17:18]
	v_fma_f64 v[10:11], v[19:20], v[15:16], -v[10:11]
	s_delay_alu instid0(VALU_DEP_2) | instskip(NEXT) | instid1(VALU_DEP_2)
	v_fma_f64 v[15:16], v[21:22], v[15:16], v[17:18]
	v_add_f64 v[3:4], v[3:4], v[10:11]
	s_delay_alu instid0(VALU_DEP_2)
	v_add_f64 v[1:2], v[1:2], v[15:16]
	s_and_not1_b32 exec_lo, exec_lo, s3
	s_cbranch_execnz .LBB43_85
; %bb.86:
	s_or_b32 exec_lo, exec_lo, s3
	v_mov_b32_e32 v7, 0
	ds_load_b128 v[7:10], v7 offset:288
	s_waitcnt lgkmcnt(0)
	v_mul_f64 v[11:12], v[1:2], v[9:10]
	v_mul_f64 v[15:16], v[3:4], v[9:10]
	s_delay_alu instid0(VALU_DEP_2) | instskip(NEXT) | instid1(VALU_DEP_2)
	v_fma_f64 v[9:10], v[3:4], v[7:8], -v[11:12]
	v_fma_f64 v[11:12], v[1:2], v[7:8], v[15:16]
	scratch_store_b128 off, v[9:12], off offset:288
.LBB43_87:
	s_or_b32 exec_lo, exec_lo, s2
	s_waitcnt_vscnt null, 0x0
	s_barrier
	buffer_gl0_inv
	scratch_load_b128 v[1:4], v161, off
	s_mov_b32 s2, exec_lo
	s_waitcnt vmcnt(0)
	ds_store_b128 v5, v[1:4]
	s_waitcnt lgkmcnt(0)
	s_barrier
	buffer_gl0_inv
	v_cmpx_gt_u32_e32 19, v134
	s_cbranch_execz .LBB43_91
; %bb.88:
	v_dual_mov_b32 v1, 0 :: v_dual_add_nc_u32 v8, 0x2c0, v13
	v_dual_mov_b32 v2, 0 :: v_dual_add_nc_u32 v7, -1, v134
	v_or_b32_e32 v9, 8, v14
	s_mov_b32 s3, 0
	s_delay_alu instid0(VALU_DEP_2)
	v_dual_mov_b32 v4, v2 :: v_dual_mov_b32 v3, v1
	.p2align	6
.LBB43_89:                              ; =>This Inner Loop Header: Depth=1
	scratch_load_b128 v[15:18], v9, off offset:-8
	ds_load_b128 v[19:22], v8
	v_add_nc_u32_e32 v7, 1, v7
	v_add_nc_u32_e32 v8, 16, v8
	;; [unrolled: 1-line block ×3, first 2 shown]
	s_delay_alu instid0(VALU_DEP_3) | instskip(SKIP_4) | instid1(VALU_DEP_2)
	v_cmp_lt_u32_e32 vcc_lo, 17, v7
	s_or_b32 s3, vcc_lo, s3
	s_waitcnt vmcnt(0) lgkmcnt(0)
	v_mul_f64 v[10:11], v[21:22], v[17:18]
	v_mul_f64 v[17:18], v[19:20], v[17:18]
	v_fma_f64 v[10:11], v[19:20], v[15:16], -v[10:11]
	s_delay_alu instid0(VALU_DEP_2) | instskip(NEXT) | instid1(VALU_DEP_2)
	v_fma_f64 v[15:16], v[21:22], v[15:16], v[17:18]
	v_add_f64 v[3:4], v[3:4], v[10:11]
	s_delay_alu instid0(VALU_DEP_2)
	v_add_f64 v[1:2], v[1:2], v[15:16]
	s_and_not1_b32 exec_lo, exec_lo, s3
	s_cbranch_execnz .LBB43_89
; %bb.90:
	s_or_b32 exec_lo, exec_lo, s3
	v_mov_b32_e32 v7, 0
	ds_load_b128 v[7:10], v7 offset:304
	s_waitcnt lgkmcnt(0)
	v_mul_f64 v[11:12], v[1:2], v[9:10]
	v_mul_f64 v[15:16], v[3:4], v[9:10]
	s_delay_alu instid0(VALU_DEP_2) | instskip(NEXT) | instid1(VALU_DEP_2)
	v_fma_f64 v[9:10], v[3:4], v[7:8], -v[11:12]
	v_fma_f64 v[11:12], v[1:2], v[7:8], v[15:16]
	scratch_store_b128 off, v[9:12], off offset:304
.LBB43_91:
	s_or_b32 exec_lo, exec_lo, s2
	s_waitcnt_vscnt null, 0x0
	s_barrier
	buffer_gl0_inv
	scratch_load_b128 v[1:4], v160, off
	s_mov_b32 s2, exec_lo
	s_waitcnt vmcnt(0)
	ds_store_b128 v5, v[1:4]
	s_waitcnt lgkmcnt(0)
	s_barrier
	buffer_gl0_inv
	v_cmpx_gt_u32_e32 20, v134
	s_cbranch_execz .LBB43_95
; %bb.92:
	v_dual_mov_b32 v1, 0 :: v_dual_add_nc_u32 v8, 0x2c0, v13
	v_dual_mov_b32 v2, 0 :: v_dual_add_nc_u32 v7, -1, v134
	v_or_b32_e32 v9, 8, v14
	s_mov_b32 s3, 0
	s_delay_alu instid0(VALU_DEP_2)
	v_dual_mov_b32 v4, v2 :: v_dual_mov_b32 v3, v1
	.p2align	6
.LBB43_93:                              ; =>This Inner Loop Header: Depth=1
	scratch_load_b128 v[15:18], v9, off offset:-8
	ds_load_b128 v[19:22], v8
	v_add_nc_u32_e32 v7, 1, v7
	v_add_nc_u32_e32 v8, 16, v8
	;; [unrolled: 1-line block ×3, first 2 shown]
	s_delay_alu instid0(VALU_DEP_3) | instskip(SKIP_4) | instid1(VALU_DEP_2)
	v_cmp_lt_u32_e32 vcc_lo, 18, v7
	s_or_b32 s3, vcc_lo, s3
	s_waitcnt vmcnt(0) lgkmcnt(0)
	v_mul_f64 v[10:11], v[21:22], v[17:18]
	v_mul_f64 v[17:18], v[19:20], v[17:18]
	v_fma_f64 v[10:11], v[19:20], v[15:16], -v[10:11]
	s_delay_alu instid0(VALU_DEP_2) | instskip(NEXT) | instid1(VALU_DEP_2)
	v_fma_f64 v[15:16], v[21:22], v[15:16], v[17:18]
	v_add_f64 v[3:4], v[3:4], v[10:11]
	s_delay_alu instid0(VALU_DEP_2)
	v_add_f64 v[1:2], v[1:2], v[15:16]
	s_and_not1_b32 exec_lo, exec_lo, s3
	s_cbranch_execnz .LBB43_93
; %bb.94:
	s_or_b32 exec_lo, exec_lo, s3
	v_mov_b32_e32 v7, 0
	ds_load_b128 v[7:10], v7 offset:320
	s_waitcnt lgkmcnt(0)
	v_mul_f64 v[11:12], v[1:2], v[9:10]
	v_mul_f64 v[15:16], v[3:4], v[9:10]
	s_delay_alu instid0(VALU_DEP_2) | instskip(NEXT) | instid1(VALU_DEP_2)
	v_fma_f64 v[9:10], v[3:4], v[7:8], -v[11:12]
	v_fma_f64 v[11:12], v[1:2], v[7:8], v[15:16]
	scratch_store_b128 off, v[9:12], off offset:320
.LBB43_95:
	s_or_b32 exec_lo, exec_lo, s2
	s_waitcnt_vscnt null, 0x0
	s_barrier
	buffer_gl0_inv
	scratch_load_b128 v[1:4], v158, off
	s_mov_b32 s2, exec_lo
	s_waitcnt vmcnt(0)
	ds_store_b128 v5, v[1:4]
	s_waitcnt lgkmcnt(0)
	s_barrier
	buffer_gl0_inv
	v_cmpx_gt_u32_e32 21, v134
	s_cbranch_execz .LBB43_99
; %bb.96:
	v_dual_mov_b32 v1, 0 :: v_dual_add_nc_u32 v8, 0x2c0, v13
	v_dual_mov_b32 v2, 0 :: v_dual_add_nc_u32 v7, -1, v134
	v_or_b32_e32 v9, 8, v14
	s_mov_b32 s3, 0
	s_delay_alu instid0(VALU_DEP_2)
	v_dual_mov_b32 v4, v2 :: v_dual_mov_b32 v3, v1
	.p2align	6
.LBB43_97:                              ; =>This Inner Loop Header: Depth=1
	scratch_load_b128 v[15:18], v9, off offset:-8
	ds_load_b128 v[19:22], v8
	v_add_nc_u32_e32 v7, 1, v7
	v_add_nc_u32_e32 v8, 16, v8
	;; [unrolled: 1-line block ×3, first 2 shown]
	s_delay_alu instid0(VALU_DEP_3) | instskip(SKIP_4) | instid1(VALU_DEP_2)
	v_cmp_lt_u32_e32 vcc_lo, 19, v7
	s_or_b32 s3, vcc_lo, s3
	s_waitcnt vmcnt(0) lgkmcnt(0)
	v_mul_f64 v[10:11], v[21:22], v[17:18]
	v_mul_f64 v[17:18], v[19:20], v[17:18]
	v_fma_f64 v[10:11], v[19:20], v[15:16], -v[10:11]
	s_delay_alu instid0(VALU_DEP_2) | instskip(NEXT) | instid1(VALU_DEP_2)
	v_fma_f64 v[15:16], v[21:22], v[15:16], v[17:18]
	v_add_f64 v[3:4], v[3:4], v[10:11]
	s_delay_alu instid0(VALU_DEP_2)
	v_add_f64 v[1:2], v[1:2], v[15:16]
	s_and_not1_b32 exec_lo, exec_lo, s3
	s_cbranch_execnz .LBB43_97
; %bb.98:
	s_or_b32 exec_lo, exec_lo, s3
	v_mov_b32_e32 v7, 0
	ds_load_b128 v[7:10], v7 offset:336
	s_waitcnt lgkmcnt(0)
	v_mul_f64 v[11:12], v[1:2], v[9:10]
	v_mul_f64 v[15:16], v[3:4], v[9:10]
	s_delay_alu instid0(VALU_DEP_2) | instskip(NEXT) | instid1(VALU_DEP_2)
	v_fma_f64 v[9:10], v[3:4], v[7:8], -v[11:12]
	v_fma_f64 v[11:12], v[1:2], v[7:8], v[15:16]
	scratch_store_b128 off, v[9:12], off offset:336
.LBB43_99:
	s_or_b32 exec_lo, exec_lo, s2
	s_waitcnt_vscnt null, 0x0
	s_barrier
	buffer_gl0_inv
	scratch_load_b128 v[1:4], v157, off
	s_mov_b32 s2, exec_lo
	s_waitcnt vmcnt(0)
	ds_store_b128 v5, v[1:4]
	s_waitcnt lgkmcnt(0)
	s_barrier
	buffer_gl0_inv
	v_cmpx_gt_u32_e32 22, v134
	s_cbranch_execz .LBB43_103
; %bb.100:
	v_dual_mov_b32 v1, 0 :: v_dual_add_nc_u32 v8, 0x2c0, v13
	v_dual_mov_b32 v2, 0 :: v_dual_add_nc_u32 v7, -1, v134
	v_or_b32_e32 v9, 8, v14
	s_mov_b32 s3, 0
	s_delay_alu instid0(VALU_DEP_2)
	v_dual_mov_b32 v4, v2 :: v_dual_mov_b32 v3, v1
	.p2align	6
.LBB43_101:                             ; =>This Inner Loop Header: Depth=1
	scratch_load_b128 v[15:18], v9, off offset:-8
	ds_load_b128 v[19:22], v8
	v_add_nc_u32_e32 v7, 1, v7
	v_add_nc_u32_e32 v8, 16, v8
	;; [unrolled: 1-line block ×3, first 2 shown]
	s_delay_alu instid0(VALU_DEP_3) | instskip(SKIP_4) | instid1(VALU_DEP_2)
	v_cmp_lt_u32_e32 vcc_lo, 20, v7
	s_or_b32 s3, vcc_lo, s3
	s_waitcnt vmcnt(0) lgkmcnt(0)
	v_mul_f64 v[10:11], v[21:22], v[17:18]
	v_mul_f64 v[17:18], v[19:20], v[17:18]
	v_fma_f64 v[10:11], v[19:20], v[15:16], -v[10:11]
	s_delay_alu instid0(VALU_DEP_2) | instskip(NEXT) | instid1(VALU_DEP_2)
	v_fma_f64 v[15:16], v[21:22], v[15:16], v[17:18]
	v_add_f64 v[3:4], v[3:4], v[10:11]
	s_delay_alu instid0(VALU_DEP_2)
	v_add_f64 v[1:2], v[1:2], v[15:16]
	s_and_not1_b32 exec_lo, exec_lo, s3
	s_cbranch_execnz .LBB43_101
; %bb.102:
	s_or_b32 exec_lo, exec_lo, s3
	v_mov_b32_e32 v7, 0
	ds_load_b128 v[7:10], v7 offset:352
	s_waitcnt lgkmcnt(0)
	v_mul_f64 v[11:12], v[1:2], v[9:10]
	v_mul_f64 v[15:16], v[3:4], v[9:10]
	s_delay_alu instid0(VALU_DEP_2) | instskip(NEXT) | instid1(VALU_DEP_2)
	v_fma_f64 v[9:10], v[3:4], v[7:8], -v[11:12]
	v_fma_f64 v[11:12], v[1:2], v[7:8], v[15:16]
	scratch_store_b128 off, v[9:12], off offset:352
.LBB43_103:
	s_or_b32 exec_lo, exec_lo, s2
	s_waitcnt_vscnt null, 0x0
	s_barrier
	buffer_gl0_inv
	scratch_load_b128 v[1:4], v156, off
	s_mov_b32 s2, exec_lo
	s_waitcnt vmcnt(0)
	ds_store_b128 v5, v[1:4]
	s_waitcnt lgkmcnt(0)
	s_barrier
	buffer_gl0_inv
	v_cmpx_gt_u32_e32 23, v134
	s_cbranch_execz .LBB43_107
; %bb.104:
	v_dual_mov_b32 v1, 0 :: v_dual_add_nc_u32 v8, 0x2c0, v13
	v_dual_mov_b32 v2, 0 :: v_dual_add_nc_u32 v7, -1, v134
	v_or_b32_e32 v9, 8, v14
	s_mov_b32 s3, 0
	s_delay_alu instid0(VALU_DEP_2)
	v_dual_mov_b32 v4, v2 :: v_dual_mov_b32 v3, v1
	.p2align	6
.LBB43_105:                             ; =>This Inner Loop Header: Depth=1
	scratch_load_b128 v[15:18], v9, off offset:-8
	ds_load_b128 v[19:22], v8
	v_add_nc_u32_e32 v7, 1, v7
	v_add_nc_u32_e32 v8, 16, v8
	;; [unrolled: 1-line block ×3, first 2 shown]
	s_delay_alu instid0(VALU_DEP_3) | instskip(SKIP_4) | instid1(VALU_DEP_2)
	v_cmp_lt_u32_e32 vcc_lo, 21, v7
	s_or_b32 s3, vcc_lo, s3
	s_waitcnt vmcnt(0) lgkmcnt(0)
	v_mul_f64 v[10:11], v[21:22], v[17:18]
	v_mul_f64 v[17:18], v[19:20], v[17:18]
	v_fma_f64 v[10:11], v[19:20], v[15:16], -v[10:11]
	s_delay_alu instid0(VALU_DEP_2) | instskip(NEXT) | instid1(VALU_DEP_2)
	v_fma_f64 v[15:16], v[21:22], v[15:16], v[17:18]
	v_add_f64 v[3:4], v[3:4], v[10:11]
	s_delay_alu instid0(VALU_DEP_2)
	v_add_f64 v[1:2], v[1:2], v[15:16]
	s_and_not1_b32 exec_lo, exec_lo, s3
	s_cbranch_execnz .LBB43_105
; %bb.106:
	s_or_b32 exec_lo, exec_lo, s3
	v_mov_b32_e32 v7, 0
	ds_load_b128 v[7:10], v7 offset:368
	s_waitcnt lgkmcnt(0)
	v_mul_f64 v[11:12], v[1:2], v[9:10]
	v_mul_f64 v[15:16], v[3:4], v[9:10]
	s_delay_alu instid0(VALU_DEP_2) | instskip(NEXT) | instid1(VALU_DEP_2)
	v_fma_f64 v[9:10], v[3:4], v[7:8], -v[11:12]
	v_fma_f64 v[11:12], v[1:2], v[7:8], v[15:16]
	scratch_store_b128 off, v[9:12], off offset:368
.LBB43_107:
	s_or_b32 exec_lo, exec_lo, s2
	s_waitcnt_vscnt null, 0x0
	s_barrier
	buffer_gl0_inv
	scratch_load_b128 v[1:4], v154, off
	s_mov_b32 s2, exec_lo
	s_waitcnt vmcnt(0)
	ds_store_b128 v5, v[1:4]
	s_waitcnt lgkmcnt(0)
	s_barrier
	buffer_gl0_inv
	v_cmpx_gt_u32_e32 24, v134
	s_cbranch_execz .LBB43_111
; %bb.108:
	v_dual_mov_b32 v1, 0 :: v_dual_add_nc_u32 v8, 0x2c0, v13
	v_dual_mov_b32 v2, 0 :: v_dual_add_nc_u32 v7, -1, v134
	v_or_b32_e32 v9, 8, v14
	s_mov_b32 s3, 0
	s_delay_alu instid0(VALU_DEP_2)
	v_dual_mov_b32 v4, v2 :: v_dual_mov_b32 v3, v1
	.p2align	6
.LBB43_109:                             ; =>This Inner Loop Header: Depth=1
	scratch_load_b128 v[15:18], v9, off offset:-8
	ds_load_b128 v[19:22], v8
	v_add_nc_u32_e32 v7, 1, v7
	v_add_nc_u32_e32 v8, 16, v8
	;; [unrolled: 1-line block ×3, first 2 shown]
	s_delay_alu instid0(VALU_DEP_3) | instskip(SKIP_4) | instid1(VALU_DEP_2)
	v_cmp_lt_u32_e32 vcc_lo, 22, v7
	s_or_b32 s3, vcc_lo, s3
	s_waitcnt vmcnt(0) lgkmcnt(0)
	v_mul_f64 v[10:11], v[21:22], v[17:18]
	v_mul_f64 v[17:18], v[19:20], v[17:18]
	v_fma_f64 v[10:11], v[19:20], v[15:16], -v[10:11]
	s_delay_alu instid0(VALU_DEP_2) | instskip(NEXT) | instid1(VALU_DEP_2)
	v_fma_f64 v[15:16], v[21:22], v[15:16], v[17:18]
	v_add_f64 v[3:4], v[3:4], v[10:11]
	s_delay_alu instid0(VALU_DEP_2)
	v_add_f64 v[1:2], v[1:2], v[15:16]
	s_and_not1_b32 exec_lo, exec_lo, s3
	s_cbranch_execnz .LBB43_109
; %bb.110:
	s_or_b32 exec_lo, exec_lo, s3
	v_mov_b32_e32 v7, 0
	ds_load_b128 v[7:10], v7 offset:384
	s_waitcnt lgkmcnt(0)
	v_mul_f64 v[11:12], v[1:2], v[9:10]
	v_mul_f64 v[15:16], v[3:4], v[9:10]
	s_delay_alu instid0(VALU_DEP_2) | instskip(NEXT) | instid1(VALU_DEP_2)
	v_fma_f64 v[9:10], v[3:4], v[7:8], -v[11:12]
	v_fma_f64 v[11:12], v[1:2], v[7:8], v[15:16]
	scratch_store_b128 off, v[9:12], off offset:384
.LBB43_111:
	s_or_b32 exec_lo, exec_lo, s2
	s_waitcnt_vscnt null, 0x0
	s_barrier
	buffer_gl0_inv
	scratch_load_b128 v[1:4], v152, off
	s_mov_b32 s2, exec_lo
	s_waitcnt vmcnt(0)
	ds_store_b128 v5, v[1:4]
	s_waitcnt lgkmcnt(0)
	s_barrier
	buffer_gl0_inv
	v_cmpx_gt_u32_e32 25, v134
	s_cbranch_execz .LBB43_115
; %bb.112:
	v_dual_mov_b32 v1, 0 :: v_dual_add_nc_u32 v8, 0x2c0, v13
	v_dual_mov_b32 v2, 0 :: v_dual_add_nc_u32 v7, -1, v134
	v_or_b32_e32 v9, 8, v14
	s_mov_b32 s3, 0
	s_delay_alu instid0(VALU_DEP_2)
	v_dual_mov_b32 v4, v2 :: v_dual_mov_b32 v3, v1
	.p2align	6
.LBB43_113:                             ; =>This Inner Loop Header: Depth=1
	scratch_load_b128 v[15:18], v9, off offset:-8
	ds_load_b128 v[19:22], v8
	v_add_nc_u32_e32 v7, 1, v7
	v_add_nc_u32_e32 v8, 16, v8
	;; [unrolled: 1-line block ×3, first 2 shown]
	s_delay_alu instid0(VALU_DEP_3) | instskip(SKIP_4) | instid1(VALU_DEP_2)
	v_cmp_lt_u32_e32 vcc_lo, 23, v7
	s_or_b32 s3, vcc_lo, s3
	s_waitcnt vmcnt(0) lgkmcnt(0)
	v_mul_f64 v[10:11], v[21:22], v[17:18]
	v_mul_f64 v[17:18], v[19:20], v[17:18]
	v_fma_f64 v[10:11], v[19:20], v[15:16], -v[10:11]
	s_delay_alu instid0(VALU_DEP_2) | instskip(NEXT) | instid1(VALU_DEP_2)
	v_fma_f64 v[15:16], v[21:22], v[15:16], v[17:18]
	v_add_f64 v[3:4], v[3:4], v[10:11]
	s_delay_alu instid0(VALU_DEP_2)
	v_add_f64 v[1:2], v[1:2], v[15:16]
	s_and_not1_b32 exec_lo, exec_lo, s3
	s_cbranch_execnz .LBB43_113
; %bb.114:
	s_or_b32 exec_lo, exec_lo, s3
	v_mov_b32_e32 v7, 0
	ds_load_b128 v[7:10], v7 offset:400
	s_waitcnt lgkmcnt(0)
	v_mul_f64 v[11:12], v[1:2], v[9:10]
	v_mul_f64 v[15:16], v[3:4], v[9:10]
	s_delay_alu instid0(VALU_DEP_2) | instskip(NEXT) | instid1(VALU_DEP_2)
	v_fma_f64 v[9:10], v[3:4], v[7:8], -v[11:12]
	v_fma_f64 v[11:12], v[1:2], v[7:8], v[15:16]
	scratch_store_b128 off, v[9:12], off offset:400
.LBB43_115:
	s_or_b32 exec_lo, exec_lo, s2
	s_waitcnt_vscnt null, 0x0
	s_barrier
	buffer_gl0_inv
	scratch_load_b128 v[1:4], v150, off
	s_mov_b32 s2, exec_lo
	s_waitcnt vmcnt(0)
	ds_store_b128 v5, v[1:4]
	s_waitcnt lgkmcnt(0)
	s_barrier
	buffer_gl0_inv
	v_cmpx_gt_u32_e32 26, v134
	s_cbranch_execz .LBB43_119
; %bb.116:
	v_dual_mov_b32 v1, 0 :: v_dual_add_nc_u32 v8, 0x2c0, v13
	v_dual_mov_b32 v2, 0 :: v_dual_add_nc_u32 v7, -1, v134
	v_or_b32_e32 v9, 8, v14
	s_mov_b32 s3, 0
	s_delay_alu instid0(VALU_DEP_2)
	v_dual_mov_b32 v4, v2 :: v_dual_mov_b32 v3, v1
	.p2align	6
.LBB43_117:                             ; =>This Inner Loop Header: Depth=1
	scratch_load_b128 v[15:18], v9, off offset:-8
	ds_load_b128 v[19:22], v8
	v_add_nc_u32_e32 v7, 1, v7
	v_add_nc_u32_e32 v8, 16, v8
	;; [unrolled: 1-line block ×3, first 2 shown]
	s_delay_alu instid0(VALU_DEP_3) | instskip(SKIP_4) | instid1(VALU_DEP_2)
	v_cmp_lt_u32_e32 vcc_lo, 24, v7
	s_or_b32 s3, vcc_lo, s3
	s_waitcnt vmcnt(0) lgkmcnt(0)
	v_mul_f64 v[10:11], v[21:22], v[17:18]
	v_mul_f64 v[17:18], v[19:20], v[17:18]
	v_fma_f64 v[10:11], v[19:20], v[15:16], -v[10:11]
	s_delay_alu instid0(VALU_DEP_2) | instskip(NEXT) | instid1(VALU_DEP_2)
	v_fma_f64 v[15:16], v[21:22], v[15:16], v[17:18]
	v_add_f64 v[3:4], v[3:4], v[10:11]
	s_delay_alu instid0(VALU_DEP_2)
	v_add_f64 v[1:2], v[1:2], v[15:16]
	s_and_not1_b32 exec_lo, exec_lo, s3
	s_cbranch_execnz .LBB43_117
; %bb.118:
	s_or_b32 exec_lo, exec_lo, s3
	v_mov_b32_e32 v7, 0
	ds_load_b128 v[7:10], v7 offset:416
	s_waitcnt lgkmcnt(0)
	v_mul_f64 v[11:12], v[1:2], v[9:10]
	v_mul_f64 v[15:16], v[3:4], v[9:10]
	s_delay_alu instid0(VALU_DEP_2) | instskip(NEXT) | instid1(VALU_DEP_2)
	v_fma_f64 v[9:10], v[3:4], v[7:8], -v[11:12]
	v_fma_f64 v[11:12], v[1:2], v[7:8], v[15:16]
	scratch_store_b128 off, v[9:12], off offset:416
.LBB43_119:
	s_or_b32 exec_lo, exec_lo, s2
	s_waitcnt_vscnt null, 0x0
	s_barrier
	buffer_gl0_inv
	scratch_load_b128 v[1:4], v149, off
	s_mov_b32 s2, exec_lo
	s_waitcnt vmcnt(0)
	ds_store_b128 v5, v[1:4]
	s_waitcnt lgkmcnt(0)
	s_barrier
	buffer_gl0_inv
	v_cmpx_gt_u32_e32 27, v134
	s_cbranch_execz .LBB43_123
; %bb.120:
	v_dual_mov_b32 v1, 0 :: v_dual_add_nc_u32 v8, 0x2c0, v13
	v_dual_mov_b32 v2, 0 :: v_dual_add_nc_u32 v7, -1, v134
	v_or_b32_e32 v9, 8, v14
	s_mov_b32 s3, 0
	s_delay_alu instid0(VALU_DEP_2)
	v_dual_mov_b32 v4, v2 :: v_dual_mov_b32 v3, v1
	.p2align	6
.LBB43_121:                             ; =>This Inner Loop Header: Depth=1
	scratch_load_b128 v[15:18], v9, off offset:-8
	ds_load_b128 v[19:22], v8
	v_add_nc_u32_e32 v7, 1, v7
	v_add_nc_u32_e32 v8, 16, v8
	;; [unrolled: 1-line block ×3, first 2 shown]
	s_delay_alu instid0(VALU_DEP_3) | instskip(SKIP_4) | instid1(VALU_DEP_2)
	v_cmp_lt_u32_e32 vcc_lo, 25, v7
	s_or_b32 s3, vcc_lo, s3
	s_waitcnt vmcnt(0) lgkmcnt(0)
	v_mul_f64 v[10:11], v[21:22], v[17:18]
	v_mul_f64 v[17:18], v[19:20], v[17:18]
	v_fma_f64 v[10:11], v[19:20], v[15:16], -v[10:11]
	s_delay_alu instid0(VALU_DEP_2) | instskip(NEXT) | instid1(VALU_DEP_2)
	v_fma_f64 v[15:16], v[21:22], v[15:16], v[17:18]
	v_add_f64 v[3:4], v[3:4], v[10:11]
	s_delay_alu instid0(VALU_DEP_2)
	v_add_f64 v[1:2], v[1:2], v[15:16]
	s_and_not1_b32 exec_lo, exec_lo, s3
	s_cbranch_execnz .LBB43_121
; %bb.122:
	s_or_b32 exec_lo, exec_lo, s3
	v_mov_b32_e32 v7, 0
	ds_load_b128 v[7:10], v7 offset:432
	s_waitcnt lgkmcnt(0)
	v_mul_f64 v[11:12], v[1:2], v[9:10]
	v_mul_f64 v[15:16], v[3:4], v[9:10]
	s_delay_alu instid0(VALU_DEP_2) | instskip(NEXT) | instid1(VALU_DEP_2)
	v_fma_f64 v[9:10], v[3:4], v[7:8], -v[11:12]
	v_fma_f64 v[11:12], v[1:2], v[7:8], v[15:16]
	scratch_store_b128 off, v[9:12], off offset:432
.LBB43_123:
	s_or_b32 exec_lo, exec_lo, s2
	s_waitcnt_vscnt null, 0x0
	s_barrier
	buffer_gl0_inv
	scratch_load_b128 v[1:4], v147, off
	s_mov_b32 s2, exec_lo
	s_waitcnt vmcnt(0)
	ds_store_b128 v5, v[1:4]
	s_waitcnt lgkmcnt(0)
	s_barrier
	buffer_gl0_inv
	v_cmpx_gt_u32_e32 28, v134
	s_cbranch_execz .LBB43_127
; %bb.124:
	v_dual_mov_b32 v1, 0 :: v_dual_add_nc_u32 v8, 0x2c0, v13
	v_dual_mov_b32 v2, 0 :: v_dual_add_nc_u32 v7, -1, v134
	v_or_b32_e32 v9, 8, v14
	s_mov_b32 s3, 0
	s_delay_alu instid0(VALU_DEP_2)
	v_dual_mov_b32 v4, v2 :: v_dual_mov_b32 v3, v1
	.p2align	6
.LBB43_125:                             ; =>This Inner Loop Header: Depth=1
	scratch_load_b128 v[15:18], v9, off offset:-8
	ds_load_b128 v[19:22], v8
	v_add_nc_u32_e32 v7, 1, v7
	v_add_nc_u32_e32 v8, 16, v8
	;; [unrolled: 1-line block ×3, first 2 shown]
	s_delay_alu instid0(VALU_DEP_3) | instskip(SKIP_4) | instid1(VALU_DEP_2)
	v_cmp_lt_u32_e32 vcc_lo, 26, v7
	s_or_b32 s3, vcc_lo, s3
	s_waitcnt vmcnt(0) lgkmcnt(0)
	v_mul_f64 v[10:11], v[21:22], v[17:18]
	v_mul_f64 v[17:18], v[19:20], v[17:18]
	v_fma_f64 v[10:11], v[19:20], v[15:16], -v[10:11]
	s_delay_alu instid0(VALU_DEP_2) | instskip(NEXT) | instid1(VALU_DEP_2)
	v_fma_f64 v[15:16], v[21:22], v[15:16], v[17:18]
	v_add_f64 v[3:4], v[3:4], v[10:11]
	s_delay_alu instid0(VALU_DEP_2)
	v_add_f64 v[1:2], v[1:2], v[15:16]
	s_and_not1_b32 exec_lo, exec_lo, s3
	s_cbranch_execnz .LBB43_125
; %bb.126:
	s_or_b32 exec_lo, exec_lo, s3
	v_mov_b32_e32 v7, 0
	ds_load_b128 v[7:10], v7 offset:448
	s_waitcnt lgkmcnt(0)
	v_mul_f64 v[11:12], v[1:2], v[9:10]
	v_mul_f64 v[15:16], v[3:4], v[9:10]
	s_delay_alu instid0(VALU_DEP_2) | instskip(NEXT) | instid1(VALU_DEP_2)
	v_fma_f64 v[9:10], v[3:4], v[7:8], -v[11:12]
	v_fma_f64 v[11:12], v[1:2], v[7:8], v[15:16]
	scratch_store_b128 off, v[9:12], off offset:448
.LBB43_127:
	s_or_b32 exec_lo, exec_lo, s2
	s_waitcnt_vscnt null, 0x0
	s_barrier
	buffer_gl0_inv
	scratch_load_b128 v[1:4], v145, off
	s_mov_b32 s2, exec_lo
	s_waitcnt vmcnt(0)
	ds_store_b128 v5, v[1:4]
	s_waitcnt lgkmcnt(0)
	s_barrier
	buffer_gl0_inv
	v_cmpx_gt_u32_e32 29, v134
	s_cbranch_execz .LBB43_131
; %bb.128:
	v_dual_mov_b32 v1, 0 :: v_dual_add_nc_u32 v8, 0x2c0, v13
	v_dual_mov_b32 v2, 0 :: v_dual_add_nc_u32 v7, -1, v134
	v_or_b32_e32 v9, 8, v14
	s_mov_b32 s3, 0
	s_delay_alu instid0(VALU_DEP_2)
	v_dual_mov_b32 v4, v2 :: v_dual_mov_b32 v3, v1
	.p2align	6
.LBB43_129:                             ; =>This Inner Loop Header: Depth=1
	scratch_load_b128 v[15:18], v9, off offset:-8
	ds_load_b128 v[19:22], v8
	v_add_nc_u32_e32 v7, 1, v7
	v_add_nc_u32_e32 v8, 16, v8
	;; [unrolled: 1-line block ×3, first 2 shown]
	s_delay_alu instid0(VALU_DEP_3) | instskip(SKIP_4) | instid1(VALU_DEP_2)
	v_cmp_lt_u32_e32 vcc_lo, 27, v7
	s_or_b32 s3, vcc_lo, s3
	s_waitcnt vmcnt(0) lgkmcnt(0)
	v_mul_f64 v[10:11], v[21:22], v[17:18]
	v_mul_f64 v[17:18], v[19:20], v[17:18]
	v_fma_f64 v[10:11], v[19:20], v[15:16], -v[10:11]
	s_delay_alu instid0(VALU_DEP_2) | instskip(NEXT) | instid1(VALU_DEP_2)
	v_fma_f64 v[15:16], v[21:22], v[15:16], v[17:18]
	v_add_f64 v[3:4], v[3:4], v[10:11]
	s_delay_alu instid0(VALU_DEP_2)
	v_add_f64 v[1:2], v[1:2], v[15:16]
	s_and_not1_b32 exec_lo, exec_lo, s3
	s_cbranch_execnz .LBB43_129
; %bb.130:
	s_or_b32 exec_lo, exec_lo, s3
	v_mov_b32_e32 v7, 0
	ds_load_b128 v[7:10], v7 offset:464
	s_waitcnt lgkmcnt(0)
	v_mul_f64 v[11:12], v[1:2], v[9:10]
	v_mul_f64 v[15:16], v[3:4], v[9:10]
	s_delay_alu instid0(VALU_DEP_2) | instskip(NEXT) | instid1(VALU_DEP_2)
	v_fma_f64 v[9:10], v[3:4], v[7:8], -v[11:12]
	v_fma_f64 v[11:12], v[1:2], v[7:8], v[15:16]
	scratch_store_b128 off, v[9:12], off offset:464
.LBB43_131:
	s_or_b32 exec_lo, exec_lo, s2
	s_waitcnt_vscnt null, 0x0
	s_barrier
	buffer_gl0_inv
	scratch_load_b128 v[1:4], v143, off
	s_mov_b32 s2, exec_lo
	s_waitcnt vmcnt(0)
	ds_store_b128 v5, v[1:4]
	s_waitcnt lgkmcnt(0)
	s_barrier
	buffer_gl0_inv
	v_cmpx_gt_u32_e32 30, v134
	s_cbranch_execz .LBB43_135
; %bb.132:
	v_dual_mov_b32 v1, 0 :: v_dual_add_nc_u32 v8, 0x2c0, v13
	v_dual_mov_b32 v2, 0 :: v_dual_add_nc_u32 v7, -1, v134
	v_or_b32_e32 v9, 8, v14
	s_mov_b32 s3, 0
	s_delay_alu instid0(VALU_DEP_2)
	v_dual_mov_b32 v4, v2 :: v_dual_mov_b32 v3, v1
	.p2align	6
.LBB43_133:                             ; =>This Inner Loop Header: Depth=1
	scratch_load_b128 v[15:18], v9, off offset:-8
	ds_load_b128 v[19:22], v8
	v_add_nc_u32_e32 v7, 1, v7
	v_add_nc_u32_e32 v8, 16, v8
	;; [unrolled: 1-line block ×3, first 2 shown]
	s_delay_alu instid0(VALU_DEP_3) | instskip(SKIP_4) | instid1(VALU_DEP_2)
	v_cmp_lt_u32_e32 vcc_lo, 28, v7
	s_or_b32 s3, vcc_lo, s3
	s_waitcnt vmcnt(0) lgkmcnt(0)
	v_mul_f64 v[10:11], v[21:22], v[17:18]
	v_mul_f64 v[17:18], v[19:20], v[17:18]
	v_fma_f64 v[10:11], v[19:20], v[15:16], -v[10:11]
	s_delay_alu instid0(VALU_DEP_2) | instskip(NEXT) | instid1(VALU_DEP_2)
	v_fma_f64 v[15:16], v[21:22], v[15:16], v[17:18]
	v_add_f64 v[3:4], v[3:4], v[10:11]
	s_delay_alu instid0(VALU_DEP_2)
	v_add_f64 v[1:2], v[1:2], v[15:16]
	s_and_not1_b32 exec_lo, exec_lo, s3
	s_cbranch_execnz .LBB43_133
; %bb.134:
	s_or_b32 exec_lo, exec_lo, s3
	v_mov_b32_e32 v7, 0
	ds_load_b128 v[7:10], v7 offset:480
	s_waitcnt lgkmcnt(0)
	v_mul_f64 v[11:12], v[1:2], v[9:10]
	v_mul_f64 v[15:16], v[3:4], v[9:10]
	s_delay_alu instid0(VALU_DEP_2) | instskip(NEXT) | instid1(VALU_DEP_2)
	v_fma_f64 v[9:10], v[3:4], v[7:8], -v[11:12]
	v_fma_f64 v[11:12], v[1:2], v[7:8], v[15:16]
	scratch_store_b128 off, v[9:12], off offset:480
.LBB43_135:
	s_or_b32 exec_lo, exec_lo, s2
	s_waitcnt_vscnt null, 0x0
	s_barrier
	buffer_gl0_inv
	scratch_load_b128 v[1:4], v142, off
	s_mov_b32 s2, exec_lo
	s_waitcnt vmcnt(0)
	ds_store_b128 v5, v[1:4]
	s_waitcnt lgkmcnt(0)
	s_barrier
	buffer_gl0_inv
	v_cmpx_gt_u32_e32 31, v134
	s_cbranch_execz .LBB43_139
; %bb.136:
	v_dual_mov_b32 v1, 0 :: v_dual_add_nc_u32 v8, 0x2c0, v13
	v_dual_mov_b32 v2, 0 :: v_dual_add_nc_u32 v7, -1, v134
	v_or_b32_e32 v9, 8, v14
	s_mov_b32 s3, 0
	s_delay_alu instid0(VALU_DEP_2)
	v_dual_mov_b32 v4, v2 :: v_dual_mov_b32 v3, v1
	.p2align	6
.LBB43_137:                             ; =>This Inner Loop Header: Depth=1
	scratch_load_b128 v[15:18], v9, off offset:-8
	ds_load_b128 v[19:22], v8
	v_add_nc_u32_e32 v7, 1, v7
	v_add_nc_u32_e32 v8, 16, v8
	;; [unrolled: 1-line block ×3, first 2 shown]
	s_delay_alu instid0(VALU_DEP_3) | instskip(SKIP_4) | instid1(VALU_DEP_2)
	v_cmp_lt_u32_e32 vcc_lo, 29, v7
	s_or_b32 s3, vcc_lo, s3
	s_waitcnt vmcnt(0) lgkmcnt(0)
	v_mul_f64 v[10:11], v[21:22], v[17:18]
	v_mul_f64 v[17:18], v[19:20], v[17:18]
	v_fma_f64 v[10:11], v[19:20], v[15:16], -v[10:11]
	s_delay_alu instid0(VALU_DEP_2) | instskip(NEXT) | instid1(VALU_DEP_2)
	v_fma_f64 v[15:16], v[21:22], v[15:16], v[17:18]
	v_add_f64 v[3:4], v[3:4], v[10:11]
	s_delay_alu instid0(VALU_DEP_2)
	v_add_f64 v[1:2], v[1:2], v[15:16]
	s_and_not1_b32 exec_lo, exec_lo, s3
	s_cbranch_execnz .LBB43_137
; %bb.138:
	s_or_b32 exec_lo, exec_lo, s3
	v_mov_b32_e32 v7, 0
	ds_load_b128 v[7:10], v7 offset:496
	s_waitcnt lgkmcnt(0)
	v_mul_f64 v[11:12], v[1:2], v[9:10]
	v_mul_f64 v[15:16], v[3:4], v[9:10]
	s_delay_alu instid0(VALU_DEP_2) | instskip(NEXT) | instid1(VALU_DEP_2)
	v_fma_f64 v[9:10], v[3:4], v[7:8], -v[11:12]
	v_fma_f64 v[11:12], v[1:2], v[7:8], v[15:16]
	scratch_store_b128 off, v[9:12], off offset:496
.LBB43_139:
	s_or_b32 exec_lo, exec_lo, s2
	s_waitcnt_vscnt null, 0x0
	s_barrier
	buffer_gl0_inv
	scratch_load_b128 v[1:4], v141, off
	s_mov_b32 s2, exec_lo
	s_waitcnt vmcnt(0)
	ds_store_b128 v5, v[1:4]
	s_waitcnt lgkmcnt(0)
	s_barrier
	buffer_gl0_inv
	v_cmpx_gt_u32_e32 32, v134
	s_cbranch_execz .LBB43_143
; %bb.140:
	v_dual_mov_b32 v1, 0 :: v_dual_add_nc_u32 v8, 0x2c0, v13
	v_dual_mov_b32 v2, 0 :: v_dual_add_nc_u32 v7, -1, v134
	v_or_b32_e32 v9, 8, v14
	s_mov_b32 s3, 0
	s_delay_alu instid0(VALU_DEP_2)
	v_dual_mov_b32 v4, v2 :: v_dual_mov_b32 v3, v1
	.p2align	6
.LBB43_141:                             ; =>This Inner Loop Header: Depth=1
	scratch_load_b128 v[15:18], v9, off offset:-8
	ds_load_b128 v[19:22], v8
	v_add_nc_u32_e32 v7, 1, v7
	v_add_nc_u32_e32 v8, 16, v8
	;; [unrolled: 1-line block ×3, first 2 shown]
	s_delay_alu instid0(VALU_DEP_3) | instskip(SKIP_4) | instid1(VALU_DEP_2)
	v_cmp_lt_u32_e32 vcc_lo, 30, v7
	s_or_b32 s3, vcc_lo, s3
	s_waitcnt vmcnt(0) lgkmcnt(0)
	v_mul_f64 v[10:11], v[21:22], v[17:18]
	v_mul_f64 v[17:18], v[19:20], v[17:18]
	v_fma_f64 v[10:11], v[19:20], v[15:16], -v[10:11]
	s_delay_alu instid0(VALU_DEP_2) | instskip(NEXT) | instid1(VALU_DEP_2)
	v_fma_f64 v[15:16], v[21:22], v[15:16], v[17:18]
	v_add_f64 v[3:4], v[3:4], v[10:11]
	s_delay_alu instid0(VALU_DEP_2)
	v_add_f64 v[1:2], v[1:2], v[15:16]
	s_and_not1_b32 exec_lo, exec_lo, s3
	s_cbranch_execnz .LBB43_141
; %bb.142:
	s_or_b32 exec_lo, exec_lo, s3
	v_mov_b32_e32 v7, 0
	ds_load_b128 v[7:10], v7 offset:512
	s_waitcnt lgkmcnt(0)
	v_mul_f64 v[11:12], v[1:2], v[9:10]
	v_mul_f64 v[15:16], v[3:4], v[9:10]
	s_delay_alu instid0(VALU_DEP_2) | instskip(NEXT) | instid1(VALU_DEP_2)
	v_fma_f64 v[9:10], v[3:4], v[7:8], -v[11:12]
	v_fma_f64 v[11:12], v[1:2], v[7:8], v[15:16]
	scratch_store_b128 off, v[9:12], off offset:512
.LBB43_143:
	s_or_b32 exec_lo, exec_lo, s2
	s_waitcnt_vscnt null, 0x0
	s_barrier
	buffer_gl0_inv
	scratch_load_b128 v[1:4], v140, off
	s_mov_b32 s2, exec_lo
	s_waitcnt vmcnt(0)
	ds_store_b128 v5, v[1:4]
	s_waitcnt lgkmcnt(0)
	s_barrier
	buffer_gl0_inv
	v_cmpx_gt_u32_e32 33, v134
	s_cbranch_execz .LBB43_147
; %bb.144:
	v_dual_mov_b32 v1, 0 :: v_dual_add_nc_u32 v8, 0x2c0, v13
	v_dual_mov_b32 v2, 0 :: v_dual_add_nc_u32 v7, -1, v134
	v_or_b32_e32 v9, 8, v14
	s_mov_b32 s3, 0
	s_delay_alu instid0(VALU_DEP_2)
	v_dual_mov_b32 v4, v2 :: v_dual_mov_b32 v3, v1
	.p2align	6
.LBB43_145:                             ; =>This Inner Loop Header: Depth=1
	scratch_load_b128 v[15:18], v9, off offset:-8
	ds_load_b128 v[19:22], v8
	v_add_nc_u32_e32 v7, 1, v7
	v_add_nc_u32_e32 v8, 16, v8
	;; [unrolled: 1-line block ×3, first 2 shown]
	s_delay_alu instid0(VALU_DEP_3) | instskip(SKIP_4) | instid1(VALU_DEP_2)
	v_cmp_lt_u32_e32 vcc_lo, 31, v7
	s_or_b32 s3, vcc_lo, s3
	s_waitcnt vmcnt(0) lgkmcnt(0)
	v_mul_f64 v[10:11], v[21:22], v[17:18]
	v_mul_f64 v[17:18], v[19:20], v[17:18]
	v_fma_f64 v[10:11], v[19:20], v[15:16], -v[10:11]
	s_delay_alu instid0(VALU_DEP_2) | instskip(NEXT) | instid1(VALU_DEP_2)
	v_fma_f64 v[15:16], v[21:22], v[15:16], v[17:18]
	v_add_f64 v[3:4], v[3:4], v[10:11]
	s_delay_alu instid0(VALU_DEP_2)
	v_add_f64 v[1:2], v[1:2], v[15:16]
	s_and_not1_b32 exec_lo, exec_lo, s3
	s_cbranch_execnz .LBB43_145
; %bb.146:
	s_or_b32 exec_lo, exec_lo, s3
	v_mov_b32_e32 v7, 0
	ds_load_b128 v[7:10], v7 offset:528
	s_waitcnt lgkmcnt(0)
	v_mul_f64 v[11:12], v[1:2], v[9:10]
	v_mul_f64 v[15:16], v[3:4], v[9:10]
	s_delay_alu instid0(VALU_DEP_2) | instskip(NEXT) | instid1(VALU_DEP_2)
	v_fma_f64 v[9:10], v[3:4], v[7:8], -v[11:12]
	v_fma_f64 v[11:12], v[1:2], v[7:8], v[15:16]
	scratch_store_b128 off, v[9:12], off offset:528
.LBB43_147:
	s_or_b32 exec_lo, exec_lo, s2
	s_waitcnt_vscnt null, 0x0
	s_barrier
	buffer_gl0_inv
	scratch_load_b128 v[1:4], v139, off
	s_mov_b32 s2, exec_lo
	s_waitcnt vmcnt(0)
	ds_store_b128 v5, v[1:4]
	s_waitcnt lgkmcnt(0)
	s_barrier
	buffer_gl0_inv
	v_cmpx_gt_u32_e32 34, v134
	s_cbranch_execz .LBB43_151
; %bb.148:
	v_dual_mov_b32 v1, 0 :: v_dual_add_nc_u32 v8, 0x2c0, v13
	v_dual_mov_b32 v2, 0 :: v_dual_add_nc_u32 v7, -1, v134
	v_or_b32_e32 v9, 8, v14
	s_mov_b32 s3, 0
	s_delay_alu instid0(VALU_DEP_2)
	v_dual_mov_b32 v4, v2 :: v_dual_mov_b32 v3, v1
	.p2align	6
.LBB43_149:                             ; =>This Inner Loop Header: Depth=1
	scratch_load_b128 v[15:18], v9, off offset:-8
	ds_load_b128 v[19:22], v8
	v_add_nc_u32_e32 v7, 1, v7
	v_add_nc_u32_e32 v8, 16, v8
	;; [unrolled: 1-line block ×3, first 2 shown]
	s_delay_alu instid0(VALU_DEP_3) | instskip(SKIP_4) | instid1(VALU_DEP_2)
	v_cmp_lt_u32_e32 vcc_lo, 32, v7
	s_or_b32 s3, vcc_lo, s3
	s_waitcnt vmcnt(0) lgkmcnt(0)
	v_mul_f64 v[10:11], v[21:22], v[17:18]
	v_mul_f64 v[17:18], v[19:20], v[17:18]
	v_fma_f64 v[10:11], v[19:20], v[15:16], -v[10:11]
	s_delay_alu instid0(VALU_DEP_2) | instskip(NEXT) | instid1(VALU_DEP_2)
	v_fma_f64 v[15:16], v[21:22], v[15:16], v[17:18]
	v_add_f64 v[3:4], v[3:4], v[10:11]
	s_delay_alu instid0(VALU_DEP_2)
	v_add_f64 v[1:2], v[1:2], v[15:16]
	s_and_not1_b32 exec_lo, exec_lo, s3
	s_cbranch_execnz .LBB43_149
; %bb.150:
	s_or_b32 exec_lo, exec_lo, s3
	v_mov_b32_e32 v7, 0
	ds_load_b128 v[7:10], v7 offset:544
	s_waitcnt lgkmcnt(0)
	v_mul_f64 v[11:12], v[1:2], v[9:10]
	v_mul_f64 v[15:16], v[3:4], v[9:10]
	s_delay_alu instid0(VALU_DEP_2) | instskip(NEXT) | instid1(VALU_DEP_2)
	v_fma_f64 v[9:10], v[3:4], v[7:8], -v[11:12]
	v_fma_f64 v[11:12], v[1:2], v[7:8], v[15:16]
	scratch_store_b128 off, v[9:12], off offset:544
.LBB43_151:
	s_or_b32 exec_lo, exec_lo, s2
	s_waitcnt_vscnt null, 0x0
	s_barrier
	buffer_gl0_inv
	scratch_load_b128 v[1:4], v138, off
	s_mov_b32 s2, exec_lo
	s_waitcnt vmcnt(0)
	ds_store_b128 v5, v[1:4]
	s_waitcnt lgkmcnt(0)
	s_barrier
	buffer_gl0_inv
	v_cmpx_gt_u32_e32 35, v134
	s_cbranch_execz .LBB43_155
; %bb.152:
	v_dual_mov_b32 v1, 0 :: v_dual_add_nc_u32 v8, 0x2c0, v13
	v_dual_mov_b32 v2, 0 :: v_dual_add_nc_u32 v7, -1, v134
	v_or_b32_e32 v9, 8, v14
	s_mov_b32 s3, 0
	s_delay_alu instid0(VALU_DEP_2)
	v_dual_mov_b32 v4, v2 :: v_dual_mov_b32 v3, v1
	.p2align	6
.LBB43_153:                             ; =>This Inner Loop Header: Depth=1
	scratch_load_b128 v[15:18], v9, off offset:-8
	ds_load_b128 v[19:22], v8
	v_add_nc_u32_e32 v7, 1, v7
	v_add_nc_u32_e32 v8, 16, v8
	;; [unrolled: 1-line block ×3, first 2 shown]
	s_delay_alu instid0(VALU_DEP_3) | instskip(SKIP_4) | instid1(VALU_DEP_2)
	v_cmp_lt_u32_e32 vcc_lo, 33, v7
	s_or_b32 s3, vcc_lo, s3
	s_waitcnt vmcnt(0) lgkmcnt(0)
	v_mul_f64 v[10:11], v[21:22], v[17:18]
	v_mul_f64 v[17:18], v[19:20], v[17:18]
	v_fma_f64 v[10:11], v[19:20], v[15:16], -v[10:11]
	s_delay_alu instid0(VALU_DEP_2) | instskip(NEXT) | instid1(VALU_DEP_2)
	v_fma_f64 v[15:16], v[21:22], v[15:16], v[17:18]
	v_add_f64 v[3:4], v[3:4], v[10:11]
	s_delay_alu instid0(VALU_DEP_2)
	v_add_f64 v[1:2], v[1:2], v[15:16]
	s_and_not1_b32 exec_lo, exec_lo, s3
	s_cbranch_execnz .LBB43_153
; %bb.154:
	s_or_b32 exec_lo, exec_lo, s3
	v_mov_b32_e32 v7, 0
	ds_load_b128 v[7:10], v7 offset:560
	s_waitcnt lgkmcnt(0)
	v_mul_f64 v[11:12], v[1:2], v[9:10]
	v_mul_f64 v[15:16], v[3:4], v[9:10]
	s_delay_alu instid0(VALU_DEP_2) | instskip(NEXT) | instid1(VALU_DEP_2)
	v_fma_f64 v[9:10], v[3:4], v[7:8], -v[11:12]
	v_fma_f64 v[11:12], v[1:2], v[7:8], v[15:16]
	scratch_store_b128 off, v[9:12], off offset:560
.LBB43_155:
	s_or_b32 exec_lo, exec_lo, s2
	s_waitcnt_vscnt null, 0x0
	s_barrier
	buffer_gl0_inv
	scratch_load_b128 v[1:4], v137, off
	s_mov_b32 s2, exec_lo
	s_waitcnt vmcnt(0)
	ds_store_b128 v5, v[1:4]
	s_waitcnt lgkmcnt(0)
	s_barrier
	buffer_gl0_inv
	v_cmpx_gt_u32_e32 36, v134
	s_cbranch_execz .LBB43_159
; %bb.156:
	v_dual_mov_b32 v1, 0 :: v_dual_add_nc_u32 v8, 0x2c0, v13
	v_dual_mov_b32 v2, 0 :: v_dual_add_nc_u32 v7, -1, v134
	v_or_b32_e32 v9, 8, v14
	s_mov_b32 s3, 0
	s_delay_alu instid0(VALU_DEP_2)
	v_dual_mov_b32 v4, v2 :: v_dual_mov_b32 v3, v1
	.p2align	6
.LBB43_157:                             ; =>This Inner Loop Header: Depth=1
	scratch_load_b128 v[15:18], v9, off offset:-8
	ds_load_b128 v[19:22], v8
	v_add_nc_u32_e32 v7, 1, v7
	v_add_nc_u32_e32 v8, 16, v8
	;; [unrolled: 1-line block ×3, first 2 shown]
	s_delay_alu instid0(VALU_DEP_3) | instskip(SKIP_4) | instid1(VALU_DEP_2)
	v_cmp_lt_u32_e32 vcc_lo, 34, v7
	s_or_b32 s3, vcc_lo, s3
	s_waitcnt vmcnt(0) lgkmcnt(0)
	v_mul_f64 v[10:11], v[21:22], v[17:18]
	v_mul_f64 v[17:18], v[19:20], v[17:18]
	v_fma_f64 v[10:11], v[19:20], v[15:16], -v[10:11]
	s_delay_alu instid0(VALU_DEP_2) | instskip(NEXT) | instid1(VALU_DEP_2)
	v_fma_f64 v[15:16], v[21:22], v[15:16], v[17:18]
	v_add_f64 v[3:4], v[3:4], v[10:11]
	s_delay_alu instid0(VALU_DEP_2)
	v_add_f64 v[1:2], v[1:2], v[15:16]
	s_and_not1_b32 exec_lo, exec_lo, s3
	s_cbranch_execnz .LBB43_157
; %bb.158:
	s_or_b32 exec_lo, exec_lo, s3
	v_mov_b32_e32 v7, 0
	ds_load_b128 v[7:10], v7 offset:576
	s_waitcnt lgkmcnt(0)
	v_mul_f64 v[11:12], v[1:2], v[9:10]
	v_mul_f64 v[15:16], v[3:4], v[9:10]
	s_delay_alu instid0(VALU_DEP_2) | instskip(NEXT) | instid1(VALU_DEP_2)
	v_fma_f64 v[9:10], v[3:4], v[7:8], -v[11:12]
	v_fma_f64 v[11:12], v[1:2], v[7:8], v[15:16]
	scratch_store_b128 off, v[9:12], off offset:576
.LBB43_159:
	s_or_b32 exec_lo, exec_lo, s2
	s_waitcnt_vscnt null, 0x0
	s_barrier
	buffer_gl0_inv
	scratch_load_b128 v[1:4], v159, off
	s_mov_b32 s2, exec_lo
	s_waitcnt vmcnt(0)
	ds_store_b128 v5, v[1:4]
	s_waitcnt lgkmcnt(0)
	s_barrier
	buffer_gl0_inv
	v_cmpx_gt_u32_e32 37, v134
	s_cbranch_execz .LBB43_163
; %bb.160:
	v_dual_mov_b32 v1, 0 :: v_dual_add_nc_u32 v8, 0x2c0, v13
	v_dual_mov_b32 v2, 0 :: v_dual_add_nc_u32 v7, -1, v134
	v_or_b32_e32 v9, 8, v14
	s_mov_b32 s3, 0
	s_delay_alu instid0(VALU_DEP_2)
	v_dual_mov_b32 v4, v2 :: v_dual_mov_b32 v3, v1
	.p2align	6
.LBB43_161:                             ; =>This Inner Loop Header: Depth=1
	scratch_load_b128 v[15:18], v9, off offset:-8
	ds_load_b128 v[19:22], v8
	v_add_nc_u32_e32 v7, 1, v7
	v_add_nc_u32_e32 v8, 16, v8
	;; [unrolled: 1-line block ×3, first 2 shown]
	s_delay_alu instid0(VALU_DEP_3) | instskip(SKIP_4) | instid1(VALU_DEP_2)
	v_cmp_lt_u32_e32 vcc_lo, 35, v7
	s_or_b32 s3, vcc_lo, s3
	s_waitcnt vmcnt(0) lgkmcnt(0)
	v_mul_f64 v[10:11], v[21:22], v[17:18]
	v_mul_f64 v[17:18], v[19:20], v[17:18]
	v_fma_f64 v[10:11], v[19:20], v[15:16], -v[10:11]
	s_delay_alu instid0(VALU_DEP_2) | instskip(NEXT) | instid1(VALU_DEP_2)
	v_fma_f64 v[15:16], v[21:22], v[15:16], v[17:18]
	v_add_f64 v[3:4], v[3:4], v[10:11]
	s_delay_alu instid0(VALU_DEP_2)
	v_add_f64 v[1:2], v[1:2], v[15:16]
	s_and_not1_b32 exec_lo, exec_lo, s3
	s_cbranch_execnz .LBB43_161
; %bb.162:
	s_or_b32 exec_lo, exec_lo, s3
	v_mov_b32_e32 v7, 0
	ds_load_b128 v[7:10], v7 offset:592
	s_waitcnt lgkmcnt(0)
	v_mul_f64 v[11:12], v[1:2], v[9:10]
	v_mul_f64 v[15:16], v[3:4], v[9:10]
	s_delay_alu instid0(VALU_DEP_2) | instskip(NEXT) | instid1(VALU_DEP_2)
	v_fma_f64 v[9:10], v[3:4], v[7:8], -v[11:12]
	v_fma_f64 v[11:12], v[1:2], v[7:8], v[15:16]
	scratch_store_b128 off, v[9:12], off offset:592
.LBB43_163:
	s_or_b32 exec_lo, exec_lo, s2
	s_waitcnt_vscnt null, 0x0
	s_barrier
	buffer_gl0_inv
	scratch_load_b128 v[1:4], v155, off
	s_mov_b32 s2, exec_lo
	s_waitcnt vmcnt(0)
	ds_store_b128 v5, v[1:4]
	s_waitcnt lgkmcnt(0)
	s_barrier
	buffer_gl0_inv
	v_cmpx_gt_u32_e32 38, v134
	s_cbranch_execz .LBB43_167
; %bb.164:
	v_dual_mov_b32 v1, 0 :: v_dual_add_nc_u32 v8, 0x2c0, v13
	v_dual_mov_b32 v2, 0 :: v_dual_add_nc_u32 v7, -1, v134
	v_or_b32_e32 v9, 8, v14
	s_mov_b32 s3, 0
	s_delay_alu instid0(VALU_DEP_2)
	v_dual_mov_b32 v4, v2 :: v_dual_mov_b32 v3, v1
	.p2align	6
.LBB43_165:                             ; =>This Inner Loop Header: Depth=1
	scratch_load_b128 v[15:18], v9, off offset:-8
	ds_load_b128 v[19:22], v8
	v_add_nc_u32_e32 v7, 1, v7
	v_add_nc_u32_e32 v8, 16, v8
	;; [unrolled: 1-line block ×3, first 2 shown]
	s_delay_alu instid0(VALU_DEP_3) | instskip(SKIP_4) | instid1(VALU_DEP_2)
	v_cmp_lt_u32_e32 vcc_lo, 36, v7
	s_or_b32 s3, vcc_lo, s3
	s_waitcnt vmcnt(0) lgkmcnt(0)
	v_mul_f64 v[10:11], v[21:22], v[17:18]
	v_mul_f64 v[17:18], v[19:20], v[17:18]
	v_fma_f64 v[10:11], v[19:20], v[15:16], -v[10:11]
	s_delay_alu instid0(VALU_DEP_2) | instskip(NEXT) | instid1(VALU_DEP_2)
	v_fma_f64 v[15:16], v[21:22], v[15:16], v[17:18]
	v_add_f64 v[3:4], v[3:4], v[10:11]
	s_delay_alu instid0(VALU_DEP_2)
	v_add_f64 v[1:2], v[1:2], v[15:16]
	s_and_not1_b32 exec_lo, exec_lo, s3
	s_cbranch_execnz .LBB43_165
; %bb.166:
	s_or_b32 exec_lo, exec_lo, s3
	v_mov_b32_e32 v7, 0
	ds_load_b128 v[7:10], v7 offset:608
	s_waitcnt lgkmcnt(0)
	v_mul_f64 v[11:12], v[1:2], v[9:10]
	v_mul_f64 v[15:16], v[3:4], v[9:10]
	s_delay_alu instid0(VALU_DEP_2) | instskip(NEXT) | instid1(VALU_DEP_2)
	v_fma_f64 v[9:10], v[3:4], v[7:8], -v[11:12]
	v_fma_f64 v[11:12], v[1:2], v[7:8], v[15:16]
	scratch_store_b128 off, v[9:12], off offset:608
.LBB43_167:
	s_or_b32 exec_lo, exec_lo, s2
	s_waitcnt_vscnt null, 0x0
	s_barrier
	buffer_gl0_inv
	scratch_load_b128 v[1:4], v153, off
	s_mov_b32 s2, exec_lo
	s_waitcnt vmcnt(0)
	ds_store_b128 v5, v[1:4]
	s_waitcnt lgkmcnt(0)
	s_barrier
	buffer_gl0_inv
	v_cmpx_gt_u32_e32 39, v134
	s_cbranch_execz .LBB43_171
; %bb.168:
	v_dual_mov_b32 v1, 0 :: v_dual_add_nc_u32 v8, 0x2c0, v13
	v_dual_mov_b32 v2, 0 :: v_dual_add_nc_u32 v7, -1, v134
	v_or_b32_e32 v9, 8, v14
	s_mov_b32 s3, 0
	s_delay_alu instid0(VALU_DEP_2)
	v_dual_mov_b32 v4, v2 :: v_dual_mov_b32 v3, v1
	.p2align	6
.LBB43_169:                             ; =>This Inner Loop Header: Depth=1
	scratch_load_b128 v[15:18], v9, off offset:-8
	ds_load_b128 v[19:22], v8
	v_add_nc_u32_e32 v7, 1, v7
	v_add_nc_u32_e32 v8, 16, v8
	;; [unrolled: 1-line block ×3, first 2 shown]
	s_delay_alu instid0(VALU_DEP_3) | instskip(SKIP_4) | instid1(VALU_DEP_2)
	v_cmp_lt_u32_e32 vcc_lo, 37, v7
	s_or_b32 s3, vcc_lo, s3
	s_waitcnt vmcnt(0) lgkmcnt(0)
	v_mul_f64 v[10:11], v[21:22], v[17:18]
	v_mul_f64 v[17:18], v[19:20], v[17:18]
	v_fma_f64 v[10:11], v[19:20], v[15:16], -v[10:11]
	s_delay_alu instid0(VALU_DEP_2) | instskip(NEXT) | instid1(VALU_DEP_2)
	v_fma_f64 v[15:16], v[21:22], v[15:16], v[17:18]
	v_add_f64 v[3:4], v[3:4], v[10:11]
	s_delay_alu instid0(VALU_DEP_2)
	v_add_f64 v[1:2], v[1:2], v[15:16]
	s_and_not1_b32 exec_lo, exec_lo, s3
	s_cbranch_execnz .LBB43_169
; %bb.170:
	s_or_b32 exec_lo, exec_lo, s3
	v_mov_b32_e32 v7, 0
	ds_load_b128 v[7:10], v7 offset:624
	s_waitcnt lgkmcnt(0)
	v_mul_f64 v[11:12], v[1:2], v[9:10]
	v_mul_f64 v[15:16], v[3:4], v[9:10]
	s_delay_alu instid0(VALU_DEP_2) | instskip(NEXT) | instid1(VALU_DEP_2)
	v_fma_f64 v[9:10], v[3:4], v[7:8], -v[11:12]
	v_fma_f64 v[11:12], v[1:2], v[7:8], v[15:16]
	scratch_store_b128 off, v[9:12], off offset:624
.LBB43_171:
	s_or_b32 exec_lo, exec_lo, s2
	s_waitcnt_vscnt null, 0x0
	s_barrier
	buffer_gl0_inv
	scratch_load_b128 v[1:4], v151, off
	s_mov_b32 s2, exec_lo
	s_waitcnt vmcnt(0)
	ds_store_b128 v5, v[1:4]
	s_waitcnt lgkmcnt(0)
	s_barrier
	buffer_gl0_inv
	v_cmpx_gt_u32_e32 40, v134
	s_cbranch_execz .LBB43_175
; %bb.172:
	v_dual_mov_b32 v1, 0 :: v_dual_add_nc_u32 v8, 0x2c0, v13
	v_dual_mov_b32 v2, 0 :: v_dual_add_nc_u32 v7, -1, v134
	v_or_b32_e32 v9, 8, v14
	s_mov_b32 s3, 0
	s_delay_alu instid0(VALU_DEP_2)
	v_dual_mov_b32 v4, v2 :: v_dual_mov_b32 v3, v1
	.p2align	6
.LBB43_173:                             ; =>This Inner Loop Header: Depth=1
	scratch_load_b128 v[15:18], v9, off offset:-8
	ds_load_b128 v[19:22], v8
	v_add_nc_u32_e32 v7, 1, v7
	v_add_nc_u32_e32 v8, 16, v8
	;; [unrolled: 1-line block ×3, first 2 shown]
	s_delay_alu instid0(VALU_DEP_3) | instskip(SKIP_4) | instid1(VALU_DEP_2)
	v_cmp_lt_u32_e32 vcc_lo, 38, v7
	s_or_b32 s3, vcc_lo, s3
	s_waitcnt vmcnt(0) lgkmcnt(0)
	v_mul_f64 v[10:11], v[21:22], v[17:18]
	v_mul_f64 v[17:18], v[19:20], v[17:18]
	v_fma_f64 v[10:11], v[19:20], v[15:16], -v[10:11]
	s_delay_alu instid0(VALU_DEP_2) | instskip(NEXT) | instid1(VALU_DEP_2)
	v_fma_f64 v[15:16], v[21:22], v[15:16], v[17:18]
	v_add_f64 v[3:4], v[3:4], v[10:11]
	s_delay_alu instid0(VALU_DEP_2)
	v_add_f64 v[1:2], v[1:2], v[15:16]
	s_and_not1_b32 exec_lo, exec_lo, s3
	s_cbranch_execnz .LBB43_173
; %bb.174:
	s_or_b32 exec_lo, exec_lo, s3
	v_mov_b32_e32 v7, 0
	ds_load_b128 v[7:10], v7 offset:640
	s_waitcnt lgkmcnt(0)
	v_mul_f64 v[11:12], v[1:2], v[9:10]
	v_mul_f64 v[15:16], v[3:4], v[9:10]
	s_delay_alu instid0(VALU_DEP_2) | instskip(NEXT) | instid1(VALU_DEP_2)
	v_fma_f64 v[9:10], v[3:4], v[7:8], -v[11:12]
	v_fma_f64 v[11:12], v[1:2], v[7:8], v[15:16]
	scratch_store_b128 off, v[9:12], off offset:640
.LBB43_175:
	s_or_b32 exec_lo, exec_lo, s2
	s_waitcnt_vscnt null, 0x0
	s_barrier
	buffer_gl0_inv
	scratch_load_b128 v[1:4], v148, off
	s_mov_b32 s2, exec_lo
	s_waitcnt vmcnt(0)
	ds_store_b128 v5, v[1:4]
	s_waitcnt lgkmcnt(0)
	s_barrier
	buffer_gl0_inv
	v_cmpx_gt_u32_e32 41, v134
	s_cbranch_execz .LBB43_179
; %bb.176:
	v_dual_mov_b32 v1, 0 :: v_dual_add_nc_u32 v8, 0x2c0, v13
	v_dual_mov_b32 v2, 0 :: v_dual_add_nc_u32 v7, -1, v134
	v_or_b32_e32 v9, 8, v14
	s_mov_b32 s3, 0
	s_delay_alu instid0(VALU_DEP_2)
	v_dual_mov_b32 v4, v2 :: v_dual_mov_b32 v3, v1
	.p2align	6
.LBB43_177:                             ; =>This Inner Loop Header: Depth=1
	scratch_load_b128 v[15:18], v9, off offset:-8
	ds_load_b128 v[19:22], v8
	v_add_nc_u32_e32 v7, 1, v7
	v_add_nc_u32_e32 v8, 16, v8
	;; [unrolled: 1-line block ×3, first 2 shown]
	s_delay_alu instid0(VALU_DEP_3) | instskip(SKIP_4) | instid1(VALU_DEP_2)
	v_cmp_lt_u32_e32 vcc_lo, 39, v7
	s_or_b32 s3, vcc_lo, s3
	s_waitcnt vmcnt(0) lgkmcnt(0)
	v_mul_f64 v[10:11], v[21:22], v[17:18]
	v_mul_f64 v[17:18], v[19:20], v[17:18]
	v_fma_f64 v[10:11], v[19:20], v[15:16], -v[10:11]
	s_delay_alu instid0(VALU_DEP_2) | instskip(NEXT) | instid1(VALU_DEP_2)
	v_fma_f64 v[15:16], v[21:22], v[15:16], v[17:18]
	v_add_f64 v[3:4], v[3:4], v[10:11]
	s_delay_alu instid0(VALU_DEP_2)
	v_add_f64 v[1:2], v[1:2], v[15:16]
	s_and_not1_b32 exec_lo, exec_lo, s3
	s_cbranch_execnz .LBB43_177
; %bb.178:
	s_or_b32 exec_lo, exec_lo, s3
	v_mov_b32_e32 v7, 0
	ds_load_b128 v[7:10], v7 offset:656
	s_waitcnt lgkmcnt(0)
	v_mul_f64 v[11:12], v[1:2], v[9:10]
	v_mul_f64 v[15:16], v[3:4], v[9:10]
	s_delay_alu instid0(VALU_DEP_2) | instskip(NEXT) | instid1(VALU_DEP_2)
	v_fma_f64 v[9:10], v[3:4], v[7:8], -v[11:12]
	v_fma_f64 v[11:12], v[1:2], v[7:8], v[15:16]
	scratch_store_b128 off, v[9:12], off offset:656
.LBB43_179:
	s_or_b32 exec_lo, exec_lo, s2
	s_waitcnt_vscnt null, 0x0
	s_barrier
	buffer_gl0_inv
	scratch_load_b128 v[1:4], v146, off
	s_mov_b32 s2, exec_lo
	s_waitcnt vmcnt(0)
	ds_store_b128 v5, v[1:4]
	s_waitcnt lgkmcnt(0)
	s_barrier
	buffer_gl0_inv
	v_cmpx_gt_u32_e32 42, v134
	s_cbranch_execz .LBB43_183
; %bb.180:
	v_dual_mov_b32 v1, 0 :: v_dual_add_nc_u32 v8, 0x2c0, v13
	v_dual_mov_b32 v2, 0 :: v_dual_add_nc_u32 v7, -1, v134
	v_or_b32_e32 v9, 8, v14
	s_mov_b32 s3, 0
	s_delay_alu instid0(VALU_DEP_2)
	v_dual_mov_b32 v4, v2 :: v_dual_mov_b32 v3, v1
	.p2align	6
.LBB43_181:                             ; =>This Inner Loop Header: Depth=1
	scratch_load_b128 v[10:13], v9, off offset:-8
	ds_load_b128 v[15:18], v8
	v_add_nc_u32_e32 v7, 1, v7
	v_add_nc_u32_e32 v8, 16, v8
	;; [unrolled: 1-line block ×3, first 2 shown]
	s_delay_alu instid0(VALU_DEP_3) | instskip(SKIP_4) | instid1(VALU_DEP_2)
	v_cmp_lt_u32_e32 vcc_lo, 40, v7
	s_or_b32 s3, vcc_lo, s3
	s_waitcnt vmcnt(0) lgkmcnt(0)
	v_mul_f64 v[19:20], v[17:18], v[12:13]
	v_mul_f64 v[12:13], v[15:16], v[12:13]
	v_fma_f64 v[15:16], v[15:16], v[10:11], -v[19:20]
	s_delay_alu instid0(VALU_DEP_2) | instskip(NEXT) | instid1(VALU_DEP_2)
	v_fma_f64 v[10:11], v[17:18], v[10:11], v[12:13]
	v_add_f64 v[3:4], v[3:4], v[15:16]
	s_delay_alu instid0(VALU_DEP_2)
	v_add_f64 v[1:2], v[1:2], v[10:11]
	s_and_not1_b32 exec_lo, exec_lo, s3
	s_cbranch_execnz .LBB43_181
; %bb.182:
	s_or_b32 exec_lo, exec_lo, s3
	v_mov_b32_e32 v7, 0
	ds_load_b128 v[7:10], v7 offset:672
	s_waitcnt lgkmcnt(0)
	v_mul_f64 v[11:12], v[1:2], v[9:10]
	v_mul_f64 v[15:16], v[3:4], v[9:10]
	s_delay_alu instid0(VALU_DEP_2) | instskip(NEXT) | instid1(VALU_DEP_2)
	v_fma_f64 v[9:10], v[3:4], v[7:8], -v[11:12]
	v_fma_f64 v[11:12], v[1:2], v[7:8], v[15:16]
	scratch_store_b128 off, v[9:12], off offset:672
.LBB43_183:
	s_or_b32 exec_lo, exec_lo, s2
	s_waitcnt_vscnt null, 0x0
	s_barrier
	buffer_gl0_inv
	scratch_load_b128 v[1:4], v144, off
	s_mov_b32 s2, exec_lo
	s_waitcnt vmcnt(0)
	ds_store_b128 v5, v[1:4]
	s_waitcnt lgkmcnt(0)
	s_barrier
	buffer_gl0_inv
	v_cmpx_ne_u32_e32 43, v134
	s_cbranch_execz .LBB43_187
; %bb.184:
	v_mov_b32_e32 v1, 0
	v_mov_b32_e32 v2, 0
	v_or_b32_e32 v7, 8, v14
	s_mov_b32 s3, 0
	s_delay_alu instid0(VALU_DEP_2)
	v_dual_mov_b32 v4, v2 :: v_dual_mov_b32 v3, v1
	.p2align	6
.LBB43_185:                             ; =>This Inner Loop Header: Depth=1
	scratch_load_b128 v[8:11], v7, off offset:-8
	ds_load_b128 v[12:15], v5
	v_add_nc_u32_e32 v6, 1, v6
	v_add_nc_u32_e32 v5, 16, v5
	;; [unrolled: 1-line block ×3, first 2 shown]
	s_delay_alu instid0(VALU_DEP_3) | instskip(SKIP_4) | instid1(VALU_DEP_2)
	v_cmp_lt_u32_e32 vcc_lo, 41, v6
	s_or_b32 s3, vcc_lo, s3
	s_waitcnt vmcnt(0) lgkmcnt(0)
	v_mul_f64 v[16:17], v[14:15], v[10:11]
	v_mul_f64 v[10:11], v[12:13], v[10:11]
	v_fma_f64 v[12:13], v[12:13], v[8:9], -v[16:17]
	s_delay_alu instid0(VALU_DEP_2) | instskip(NEXT) | instid1(VALU_DEP_2)
	v_fma_f64 v[8:9], v[14:15], v[8:9], v[10:11]
	v_add_f64 v[3:4], v[3:4], v[12:13]
	s_delay_alu instid0(VALU_DEP_2)
	v_add_f64 v[1:2], v[1:2], v[8:9]
	s_and_not1_b32 exec_lo, exec_lo, s3
	s_cbranch_execnz .LBB43_185
; %bb.186:
	s_or_b32 exec_lo, exec_lo, s3
	v_mov_b32_e32 v5, 0
	ds_load_b128 v[5:8], v5 offset:688
	s_waitcnt lgkmcnt(0)
	v_mul_f64 v[9:10], v[1:2], v[7:8]
	v_mul_f64 v[7:8], v[3:4], v[7:8]
	s_delay_alu instid0(VALU_DEP_2) | instskip(NEXT) | instid1(VALU_DEP_2)
	v_fma_f64 v[3:4], v[3:4], v[5:6], -v[9:10]
	v_fma_f64 v[5:6], v[1:2], v[5:6], v[7:8]
	scratch_store_b128 off, v[3:6], off offset:688
.LBB43_187:
	s_or_b32 exec_lo, exec_lo, s2
	s_mov_b32 s3, -1
	s_waitcnt_vscnt null, 0x0
	s_barrier
	buffer_gl0_inv
.LBB43_188:
	s_and_b32 vcc_lo, exec_lo, s3
	s_cbranch_vccz .LBB43_190
; %bb.189:
	s_lshl_b64 s[2:3], s[18:19], 2
	v_mov_b32_e32 v1, 0
	s_add_u32 s2, s6, s2
	s_addc_u32 s3, s7, s3
	global_load_b32 v1, v1, s[2:3]
	s_waitcnt vmcnt(0)
	v_cmp_ne_u32_e32 vcc_lo, 0, v1
	s_cbranch_vccz .LBB43_191
.LBB43_190:
	s_endpgm
.LBB43_191:
	v_lshl_add_u32 v178, v134, 4, 0x2c0
	s_mov_b32 s2, exec_lo
	v_cmpx_eq_u32_e32 43, v134
	s_cbranch_execz .LBB43_193
; %bb.192:
	scratch_load_b128 v[1:4], v146, off
	v_mov_b32_e32 v5, 0
	s_delay_alu instid0(VALU_DEP_1)
	v_mov_b32_e32 v6, v5
	v_mov_b32_e32 v7, v5
	;; [unrolled: 1-line block ×3, first 2 shown]
	scratch_store_b128 off, v[5:8], off offset:672
	s_waitcnt vmcnt(0)
	ds_store_b128 v178, v[1:4]
.LBB43_193:
	s_or_b32 exec_lo, exec_lo, s2
	s_waitcnt lgkmcnt(0)
	s_waitcnt_vscnt null, 0x0
	s_barrier
	buffer_gl0_inv
	s_clause 0x1
	scratch_load_b128 v[2:5], off, off offset:688
	scratch_load_b128 v[6:9], off, off offset:672
	v_mov_b32_e32 v1, 0
	s_mov_b32 s2, exec_lo
	ds_load_b128 v[10:13], v1 offset:1392
	s_waitcnt vmcnt(1) lgkmcnt(0)
	v_mul_f64 v[14:15], v[12:13], v[4:5]
	v_mul_f64 v[4:5], v[10:11], v[4:5]
	s_delay_alu instid0(VALU_DEP_2) | instskip(NEXT) | instid1(VALU_DEP_2)
	v_fma_f64 v[10:11], v[10:11], v[2:3], -v[14:15]
	v_fma_f64 v[2:3], v[12:13], v[2:3], v[4:5]
	s_delay_alu instid0(VALU_DEP_2) | instskip(NEXT) | instid1(VALU_DEP_2)
	v_add_f64 v[4:5], v[10:11], 0
	v_add_f64 v[10:11], v[2:3], 0
	s_waitcnt vmcnt(0)
	s_delay_alu instid0(VALU_DEP_2) | instskip(NEXT) | instid1(VALU_DEP_2)
	v_add_f64 v[2:3], v[6:7], -v[4:5]
	v_add_f64 v[4:5], v[8:9], -v[10:11]
	scratch_store_b128 off, v[2:5], off offset:672
	v_cmpx_lt_u32_e32 41, v134
	s_cbranch_execz .LBB43_195
; %bb.194:
	scratch_load_b128 v[5:8], v148, off
	v_mov_b32_e32 v2, v1
	v_mov_b32_e32 v3, v1
	v_mov_b32_e32 v4, v1
	scratch_store_b128 off, v[1:4], off offset:656
	s_waitcnt vmcnt(0)
	ds_store_b128 v178, v[5:8]
.LBB43_195:
	s_or_b32 exec_lo, exec_lo, s2
	s_waitcnt lgkmcnt(0)
	s_waitcnt_vscnt null, 0x0
	s_barrier
	buffer_gl0_inv
	s_clause 0x2
	scratch_load_b128 v[2:5], off, off offset:672
	scratch_load_b128 v[6:9], off, off offset:688
	;; [unrolled: 1-line block ×3, first 2 shown]
	ds_load_b128 v[14:17], v1 offset:1376
	ds_load_b128 v[18:21], v1 offset:1392
	s_mov_b32 s2, exec_lo
	s_waitcnt vmcnt(2) lgkmcnt(1)
	v_mul_f64 v[22:23], v[16:17], v[4:5]
	v_mul_f64 v[4:5], v[14:15], v[4:5]
	s_waitcnt vmcnt(1) lgkmcnt(0)
	v_mul_f64 v[24:25], v[18:19], v[8:9]
	v_mul_f64 v[8:9], v[20:21], v[8:9]
	s_delay_alu instid0(VALU_DEP_4) | instskip(NEXT) | instid1(VALU_DEP_4)
	v_fma_f64 v[14:15], v[14:15], v[2:3], -v[22:23]
	v_fma_f64 v[1:2], v[16:17], v[2:3], v[4:5]
	s_delay_alu instid0(VALU_DEP_4) | instskip(NEXT) | instid1(VALU_DEP_4)
	v_fma_f64 v[3:4], v[20:21], v[6:7], v[24:25]
	v_fma_f64 v[5:6], v[18:19], v[6:7], -v[8:9]
	s_delay_alu instid0(VALU_DEP_4) | instskip(NEXT) | instid1(VALU_DEP_4)
	v_add_f64 v[7:8], v[14:15], 0
	v_add_f64 v[1:2], v[1:2], 0
	s_delay_alu instid0(VALU_DEP_2) | instskip(NEXT) | instid1(VALU_DEP_2)
	v_add_f64 v[5:6], v[7:8], v[5:6]
	v_add_f64 v[3:4], v[1:2], v[3:4]
	s_waitcnt vmcnt(0)
	s_delay_alu instid0(VALU_DEP_2) | instskip(NEXT) | instid1(VALU_DEP_2)
	v_add_f64 v[1:2], v[10:11], -v[5:6]
	v_add_f64 v[3:4], v[12:13], -v[3:4]
	scratch_store_b128 off, v[1:4], off offset:656
	v_cmpx_lt_u32_e32 40, v134
	s_cbranch_execz .LBB43_197
; %bb.196:
	scratch_load_b128 v[1:4], v151, off
	v_mov_b32_e32 v5, 0
	s_delay_alu instid0(VALU_DEP_1)
	v_mov_b32_e32 v6, v5
	v_mov_b32_e32 v7, v5
	;; [unrolled: 1-line block ×3, first 2 shown]
	scratch_store_b128 off, v[5:8], off offset:640
	s_waitcnt vmcnt(0)
	ds_store_b128 v178, v[1:4]
.LBB43_197:
	s_or_b32 exec_lo, exec_lo, s2
	s_waitcnt lgkmcnt(0)
	s_waitcnt_vscnt null, 0x0
	s_barrier
	buffer_gl0_inv
	s_clause 0x3
	scratch_load_b128 v[2:5], off, off offset:656
	scratch_load_b128 v[6:9], off, off offset:672
	;; [unrolled: 1-line block ×4, first 2 shown]
	v_mov_b32_e32 v1, 0
	ds_load_b128 v[18:21], v1 offset:1360
	ds_load_b128 v[22:25], v1 offset:1376
	s_mov_b32 s2, exec_lo
	s_waitcnt vmcnt(3) lgkmcnt(1)
	v_mul_f64 v[26:27], v[20:21], v[4:5]
	v_mul_f64 v[4:5], v[18:19], v[4:5]
	s_waitcnt vmcnt(2) lgkmcnt(0)
	v_mul_f64 v[28:29], v[22:23], v[8:9]
	v_mul_f64 v[8:9], v[24:25], v[8:9]
	s_delay_alu instid0(VALU_DEP_4) | instskip(NEXT) | instid1(VALU_DEP_4)
	v_fma_f64 v[18:19], v[18:19], v[2:3], -v[26:27]
	v_fma_f64 v[20:21], v[20:21], v[2:3], v[4:5]
	ds_load_b128 v[2:5], v1 offset:1392
	v_fma_f64 v[24:25], v[24:25], v[6:7], v[28:29]
	v_fma_f64 v[6:7], v[22:23], v[6:7], -v[8:9]
	s_waitcnt vmcnt(1) lgkmcnt(0)
	v_mul_f64 v[26:27], v[2:3], v[12:13]
	v_mul_f64 v[12:13], v[4:5], v[12:13]
	v_add_f64 v[8:9], v[18:19], 0
	v_add_f64 v[18:19], v[20:21], 0
	s_delay_alu instid0(VALU_DEP_4) | instskip(NEXT) | instid1(VALU_DEP_4)
	v_fma_f64 v[4:5], v[4:5], v[10:11], v[26:27]
	v_fma_f64 v[2:3], v[2:3], v[10:11], -v[12:13]
	s_delay_alu instid0(VALU_DEP_4) | instskip(NEXT) | instid1(VALU_DEP_4)
	v_add_f64 v[6:7], v[8:9], v[6:7]
	v_add_f64 v[8:9], v[18:19], v[24:25]
	s_delay_alu instid0(VALU_DEP_2) | instskip(NEXT) | instid1(VALU_DEP_2)
	v_add_f64 v[2:3], v[6:7], v[2:3]
	v_add_f64 v[4:5], v[8:9], v[4:5]
	s_waitcnt vmcnt(0)
	s_delay_alu instid0(VALU_DEP_2) | instskip(NEXT) | instid1(VALU_DEP_2)
	v_add_f64 v[2:3], v[14:15], -v[2:3]
	v_add_f64 v[4:5], v[16:17], -v[4:5]
	scratch_store_b128 off, v[2:5], off offset:640
	v_cmpx_lt_u32_e32 39, v134
	s_cbranch_execz .LBB43_199
; %bb.198:
	scratch_load_b128 v[5:8], v153, off
	v_mov_b32_e32 v2, v1
	v_mov_b32_e32 v3, v1
	;; [unrolled: 1-line block ×3, first 2 shown]
	scratch_store_b128 off, v[1:4], off offset:624
	s_waitcnt vmcnt(0)
	ds_store_b128 v178, v[5:8]
.LBB43_199:
	s_or_b32 exec_lo, exec_lo, s2
	s_waitcnt lgkmcnt(0)
	s_waitcnt_vscnt null, 0x0
	s_barrier
	buffer_gl0_inv
	s_clause 0x4
	scratch_load_b128 v[2:5], off, off offset:640
	scratch_load_b128 v[6:9], off, off offset:656
	;; [unrolled: 1-line block ×5, first 2 shown]
	ds_load_b128 v[22:25], v1 offset:1344
	ds_load_b128 v[26:29], v1 offset:1360
	s_mov_b32 s2, exec_lo
	s_waitcnt vmcnt(4) lgkmcnt(1)
	v_mul_f64 v[30:31], v[24:25], v[4:5]
	v_mul_f64 v[4:5], v[22:23], v[4:5]
	s_waitcnt vmcnt(3) lgkmcnt(0)
	v_mul_f64 v[32:33], v[26:27], v[8:9]
	v_mul_f64 v[8:9], v[28:29], v[8:9]
	s_delay_alu instid0(VALU_DEP_4) | instskip(NEXT) | instid1(VALU_DEP_4)
	v_fma_f64 v[30:31], v[22:23], v[2:3], -v[30:31]
	v_fma_f64 v[34:35], v[24:25], v[2:3], v[4:5]
	ds_load_b128 v[2:5], v1 offset:1376
	ds_load_b128 v[22:25], v1 offset:1392
	v_fma_f64 v[28:29], v[28:29], v[6:7], v[32:33]
	v_fma_f64 v[6:7], v[26:27], v[6:7], -v[8:9]
	s_waitcnt vmcnt(2) lgkmcnt(1)
	v_mul_f64 v[36:37], v[2:3], v[12:13]
	v_mul_f64 v[12:13], v[4:5], v[12:13]
	v_add_f64 v[8:9], v[30:31], 0
	v_add_f64 v[26:27], v[34:35], 0
	s_waitcnt vmcnt(1) lgkmcnt(0)
	v_mul_f64 v[30:31], v[22:23], v[16:17]
	v_mul_f64 v[16:17], v[24:25], v[16:17]
	v_fma_f64 v[4:5], v[4:5], v[10:11], v[36:37]
	v_fma_f64 v[1:2], v[2:3], v[10:11], -v[12:13]
	v_add_f64 v[6:7], v[8:9], v[6:7]
	v_add_f64 v[8:9], v[26:27], v[28:29]
	v_fma_f64 v[10:11], v[24:25], v[14:15], v[30:31]
	v_fma_f64 v[12:13], v[22:23], v[14:15], -v[16:17]
	s_delay_alu instid0(VALU_DEP_4) | instskip(NEXT) | instid1(VALU_DEP_4)
	v_add_f64 v[1:2], v[6:7], v[1:2]
	v_add_f64 v[3:4], v[8:9], v[4:5]
	s_delay_alu instid0(VALU_DEP_2) | instskip(NEXT) | instid1(VALU_DEP_2)
	v_add_f64 v[1:2], v[1:2], v[12:13]
	v_add_f64 v[3:4], v[3:4], v[10:11]
	s_waitcnt vmcnt(0)
	s_delay_alu instid0(VALU_DEP_2) | instskip(NEXT) | instid1(VALU_DEP_2)
	v_add_f64 v[1:2], v[18:19], -v[1:2]
	v_add_f64 v[3:4], v[20:21], -v[3:4]
	scratch_store_b128 off, v[1:4], off offset:624
	v_cmpx_lt_u32_e32 38, v134
	s_cbranch_execz .LBB43_201
; %bb.200:
	scratch_load_b128 v[1:4], v155, off
	v_mov_b32_e32 v5, 0
	s_delay_alu instid0(VALU_DEP_1)
	v_mov_b32_e32 v6, v5
	v_mov_b32_e32 v7, v5
	;; [unrolled: 1-line block ×3, first 2 shown]
	scratch_store_b128 off, v[5:8], off offset:608
	s_waitcnt vmcnt(0)
	ds_store_b128 v178, v[1:4]
.LBB43_201:
	s_or_b32 exec_lo, exec_lo, s2
	s_waitcnt lgkmcnt(0)
	s_waitcnt_vscnt null, 0x0
	s_barrier
	buffer_gl0_inv
	s_clause 0x5
	scratch_load_b128 v[2:5], off, off offset:624
	scratch_load_b128 v[6:9], off, off offset:640
	;; [unrolled: 1-line block ×6, first 2 shown]
	v_mov_b32_e32 v1, 0
	ds_load_b128 v[26:29], v1 offset:1328
	ds_load_b128 v[30:33], v1 offset:1344
	s_mov_b32 s2, exec_lo
	s_waitcnt vmcnt(5) lgkmcnt(1)
	v_mul_f64 v[34:35], v[28:29], v[4:5]
	v_mul_f64 v[4:5], v[26:27], v[4:5]
	s_waitcnt vmcnt(4) lgkmcnt(0)
	v_mul_f64 v[36:37], v[30:31], v[8:9]
	v_mul_f64 v[8:9], v[32:33], v[8:9]
	s_delay_alu instid0(VALU_DEP_4) | instskip(NEXT) | instid1(VALU_DEP_4)
	v_fma_f64 v[34:35], v[26:27], v[2:3], -v[34:35]
	v_fma_f64 v[38:39], v[28:29], v[2:3], v[4:5]
	ds_load_b128 v[2:5], v1 offset:1360
	ds_load_b128 v[26:29], v1 offset:1376
	v_fma_f64 v[32:33], v[32:33], v[6:7], v[36:37]
	v_fma_f64 v[6:7], v[30:31], v[6:7], -v[8:9]
	s_waitcnt vmcnt(3) lgkmcnt(1)
	v_mul_f64 v[40:41], v[2:3], v[12:13]
	v_mul_f64 v[12:13], v[4:5], v[12:13]
	v_add_f64 v[8:9], v[34:35], 0
	v_add_f64 v[30:31], v[38:39], 0
	s_waitcnt vmcnt(2) lgkmcnt(0)
	v_mul_f64 v[34:35], v[26:27], v[16:17]
	v_mul_f64 v[16:17], v[28:29], v[16:17]
	v_fma_f64 v[36:37], v[4:5], v[10:11], v[40:41]
	v_fma_f64 v[10:11], v[2:3], v[10:11], -v[12:13]
	ds_load_b128 v[2:5], v1 offset:1392
	v_add_f64 v[6:7], v[8:9], v[6:7]
	v_add_f64 v[8:9], v[30:31], v[32:33]
	v_fma_f64 v[28:29], v[28:29], v[14:15], v[34:35]
	v_fma_f64 v[14:15], v[26:27], v[14:15], -v[16:17]
	s_waitcnt vmcnt(1) lgkmcnt(0)
	v_mul_f64 v[12:13], v[2:3], v[20:21]
	v_mul_f64 v[20:21], v[4:5], v[20:21]
	v_add_f64 v[6:7], v[6:7], v[10:11]
	v_add_f64 v[8:9], v[8:9], v[36:37]
	s_delay_alu instid0(VALU_DEP_4) | instskip(NEXT) | instid1(VALU_DEP_4)
	v_fma_f64 v[4:5], v[4:5], v[18:19], v[12:13]
	v_fma_f64 v[2:3], v[2:3], v[18:19], -v[20:21]
	s_delay_alu instid0(VALU_DEP_4) | instskip(NEXT) | instid1(VALU_DEP_4)
	v_add_f64 v[6:7], v[6:7], v[14:15]
	v_add_f64 v[8:9], v[8:9], v[28:29]
	s_delay_alu instid0(VALU_DEP_2) | instskip(NEXT) | instid1(VALU_DEP_2)
	v_add_f64 v[2:3], v[6:7], v[2:3]
	v_add_f64 v[4:5], v[8:9], v[4:5]
	s_waitcnt vmcnt(0)
	s_delay_alu instid0(VALU_DEP_2) | instskip(NEXT) | instid1(VALU_DEP_2)
	v_add_f64 v[2:3], v[22:23], -v[2:3]
	v_add_f64 v[4:5], v[24:25], -v[4:5]
	scratch_store_b128 off, v[2:5], off offset:608
	v_cmpx_lt_u32_e32 37, v134
	s_cbranch_execz .LBB43_203
; %bb.202:
	scratch_load_b128 v[5:8], v159, off
	v_mov_b32_e32 v2, v1
	v_mov_b32_e32 v3, v1
	;; [unrolled: 1-line block ×3, first 2 shown]
	scratch_store_b128 off, v[1:4], off offset:592
	s_waitcnt vmcnt(0)
	ds_store_b128 v178, v[5:8]
.LBB43_203:
	s_or_b32 exec_lo, exec_lo, s2
	s_waitcnt lgkmcnt(0)
	s_waitcnt_vscnt null, 0x0
	s_barrier
	buffer_gl0_inv
	s_clause 0x5
	scratch_load_b128 v[2:5], off, off offset:608
	scratch_load_b128 v[6:9], off, off offset:624
	;; [unrolled: 1-line block ×6, first 2 shown]
	ds_load_b128 v[26:29], v1 offset:1312
	ds_load_b128 v[34:37], v1 offset:1328
	scratch_load_b128 v[30:33], off, off offset:592
	s_mov_b32 s2, exec_lo
	s_waitcnt vmcnt(6) lgkmcnt(1)
	v_mul_f64 v[38:39], v[28:29], v[4:5]
	v_mul_f64 v[4:5], v[26:27], v[4:5]
	s_waitcnt vmcnt(5) lgkmcnt(0)
	v_mul_f64 v[40:41], v[34:35], v[8:9]
	v_mul_f64 v[8:9], v[36:37], v[8:9]
	s_delay_alu instid0(VALU_DEP_4) | instskip(NEXT) | instid1(VALU_DEP_4)
	v_fma_f64 v[38:39], v[26:27], v[2:3], -v[38:39]
	v_fma_f64 v[42:43], v[28:29], v[2:3], v[4:5]
	ds_load_b128 v[2:5], v1 offset:1344
	ds_load_b128 v[26:29], v1 offset:1360
	v_fma_f64 v[36:37], v[36:37], v[6:7], v[40:41]
	v_fma_f64 v[6:7], v[34:35], v[6:7], -v[8:9]
	s_waitcnt vmcnt(4) lgkmcnt(1)
	v_mul_f64 v[44:45], v[2:3], v[12:13]
	v_mul_f64 v[12:13], v[4:5], v[12:13]
	v_add_f64 v[8:9], v[38:39], 0
	v_add_f64 v[34:35], v[42:43], 0
	s_waitcnt vmcnt(3) lgkmcnt(0)
	v_mul_f64 v[38:39], v[26:27], v[16:17]
	v_mul_f64 v[16:17], v[28:29], v[16:17]
	v_fma_f64 v[40:41], v[4:5], v[10:11], v[44:45]
	v_fma_f64 v[10:11], v[2:3], v[10:11], -v[12:13]
	v_add_f64 v[12:13], v[8:9], v[6:7]
	v_add_f64 v[34:35], v[34:35], v[36:37]
	ds_load_b128 v[2:5], v1 offset:1376
	ds_load_b128 v[6:9], v1 offset:1392
	v_fma_f64 v[28:29], v[28:29], v[14:15], v[38:39]
	v_fma_f64 v[14:15], v[26:27], v[14:15], -v[16:17]
	s_waitcnt vmcnt(2) lgkmcnt(1)
	v_mul_f64 v[36:37], v[2:3], v[20:21]
	v_mul_f64 v[20:21], v[4:5], v[20:21]
	s_waitcnt vmcnt(1) lgkmcnt(0)
	v_mul_f64 v[16:17], v[6:7], v[24:25]
	v_mul_f64 v[24:25], v[8:9], v[24:25]
	v_add_f64 v[10:11], v[12:13], v[10:11]
	v_add_f64 v[12:13], v[34:35], v[40:41]
	v_fma_f64 v[4:5], v[4:5], v[18:19], v[36:37]
	v_fma_f64 v[1:2], v[2:3], v[18:19], -v[20:21]
	v_fma_f64 v[8:9], v[8:9], v[22:23], v[16:17]
	v_fma_f64 v[6:7], v[6:7], v[22:23], -v[24:25]
	v_add_f64 v[10:11], v[10:11], v[14:15]
	v_add_f64 v[12:13], v[12:13], v[28:29]
	s_delay_alu instid0(VALU_DEP_2) | instskip(NEXT) | instid1(VALU_DEP_2)
	v_add_f64 v[1:2], v[10:11], v[1:2]
	v_add_f64 v[3:4], v[12:13], v[4:5]
	s_delay_alu instid0(VALU_DEP_2) | instskip(NEXT) | instid1(VALU_DEP_2)
	v_add_f64 v[1:2], v[1:2], v[6:7]
	v_add_f64 v[3:4], v[3:4], v[8:9]
	s_waitcnt vmcnt(0)
	s_delay_alu instid0(VALU_DEP_2) | instskip(NEXT) | instid1(VALU_DEP_2)
	v_add_f64 v[1:2], v[30:31], -v[1:2]
	v_add_f64 v[3:4], v[32:33], -v[3:4]
	scratch_store_b128 off, v[1:4], off offset:592
	v_cmpx_lt_u32_e32 36, v134
	s_cbranch_execz .LBB43_205
; %bb.204:
	scratch_load_b128 v[1:4], v137, off
	v_mov_b32_e32 v5, 0
	s_delay_alu instid0(VALU_DEP_1)
	v_mov_b32_e32 v6, v5
	v_mov_b32_e32 v7, v5
	;; [unrolled: 1-line block ×3, first 2 shown]
	scratch_store_b128 off, v[5:8], off offset:576
	s_waitcnt vmcnt(0)
	ds_store_b128 v178, v[1:4]
.LBB43_205:
	s_or_b32 exec_lo, exec_lo, s2
	s_waitcnt lgkmcnt(0)
	s_waitcnt_vscnt null, 0x0
	s_barrier
	buffer_gl0_inv
	s_clause 0x6
	scratch_load_b128 v[2:5], off, off offset:592
	scratch_load_b128 v[6:9], off, off offset:608
	;; [unrolled: 1-line block ×7, first 2 shown]
	v_mov_b32_e32 v1, 0
	scratch_load_b128 v[34:37], off, off offset:576
	s_mov_b32 s2, exec_lo
	ds_load_b128 v[30:33], v1 offset:1296
	ds_load_b128 v[38:41], v1 offset:1312
	s_waitcnt vmcnt(7) lgkmcnt(1)
	v_mul_f64 v[42:43], v[32:33], v[4:5]
	v_mul_f64 v[4:5], v[30:31], v[4:5]
	s_waitcnt vmcnt(6) lgkmcnt(0)
	v_mul_f64 v[44:45], v[38:39], v[8:9]
	v_mul_f64 v[8:9], v[40:41], v[8:9]
	s_delay_alu instid0(VALU_DEP_4) | instskip(NEXT) | instid1(VALU_DEP_4)
	v_fma_f64 v[42:43], v[30:31], v[2:3], -v[42:43]
	v_fma_f64 v[179:180], v[32:33], v[2:3], v[4:5]
	ds_load_b128 v[2:5], v1 offset:1328
	ds_load_b128 v[30:33], v1 offset:1344
	v_fma_f64 v[40:41], v[40:41], v[6:7], v[44:45]
	v_fma_f64 v[6:7], v[38:39], v[6:7], -v[8:9]
	s_waitcnt vmcnt(5) lgkmcnt(1)
	v_mul_f64 v[181:182], v[2:3], v[12:13]
	v_mul_f64 v[12:13], v[4:5], v[12:13]
	v_add_f64 v[8:9], v[42:43], 0
	v_add_f64 v[38:39], v[179:180], 0
	s_waitcnt vmcnt(4) lgkmcnt(0)
	v_mul_f64 v[42:43], v[30:31], v[16:17]
	v_mul_f64 v[16:17], v[32:33], v[16:17]
	v_fma_f64 v[44:45], v[4:5], v[10:11], v[181:182]
	v_fma_f64 v[10:11], v[2:3], v[10:11], -v[12:13]
	v_add_f64 v[12:13], v[8:9], v[6:7]
	v_add_f64 v[38:39], v[38:39], v[40:41]
	ds_load_b128 v[2:5], v1 offset:1360
	ds_load_b128 v[6:9], v1 offset:1376
	v_fma_f64 v[32:33], v[32:33], v[14:15], v[42:43]
	v_fma_f64 v[14:15], v[30:31], v[14:15], -v[16:17]
	s_waitcnt vmcnt(3) lgkmcnt(1)
	v_mul_f64 v[40:41], v[2:3], v[20:21]
	v_mul_f64 v[20:21], v[4:5], v[20:21]
	s_waitcnt vmcnt(2) lgkmcnt(0)
	v_mul_f64 v[16:17], v[6:7], v[24:25]
	v_mul_f64 v[24:25], v[8:9], v[24:25]
	v_add_f64 v[10:11], v[12:13], v[10:11]
	v_add_f64 v[12:13], v[38:39], v[44:45]
	v_fma_f64 v[30:31], v[4:5], v[18:19], v[40:41]
	v_fma_f64 v[18:19], v[2:3], v[18:19], -v[20:21]
	ds_load_b128 v[2:5], v1 offset:1392
	v_fma_f64 v[8:9], v[8:9], v[22:23], v[16:17]
	v_fma_f64 v[6:7], v[6:7], v[22:23], -v[24:25]
	v_add_f64 v[10:11], v[10:11], v[14:15]
	v_add_f64 v[12:13], v[12:13], v[32:33]
	s_waitcnt vmcnt(1) lgkmcnt(0)
	v_mul_f64 v[14:15], v[2:3], v[28:29]
	v_mul_f64 v[20:21], v[4:5], v[28:29]
	s_delay_alu instid0(VALU_DEP_4) | instskip(NEXT) | instid1(VALU_DEP_4)
	v_add_f64 v[10:11], v[10:11], v[18:19]
	v_add_f64 v[12:13], v[12:13], v[30:31]
	s_delay_alu instid0(VALU_DEP_4) | instskip(NEXT) | instid1(VALU_DEP_4)
	v_fma_f64 v[4:5], v[4:5], v[26:27], v[14:15]
	v_fma_f64 v[2:3], v[2:3], v[26:27], -v[20:21]
	s_delay_alu instid0(VALU_DEP_4) | instskip(NEXT) | instid1(VALU_DEP_4)
	v_add_f64 v[6:7], v[10:11], v[6:7]
	v_add_f64 v[8:9], v[12:13], v[8:9]
	s_delay_alu instid0(VALU_DEP_2) | instskip(NEXT) | instid1(VALU_DEP_2)
	v_add_f64 v[2:3], v[6:7], v[2:3]
	v_add_f64 v[4:5], v[8:9], v[4:5]
	s_waitcnt vmcnt(0)
	s_delay_alu instid0(VALU_DEP_2) | instskip(NEXT) | instid1(VALU_DEP_2)
	v_add_f64 v[2:3], v[34:35], -v[2:3]
	v_add_f64 v[4:5], v[36:37], -v[4:5]
	scratch_store_b128 off, v[2:5], off offset:576
	v_cmpx_lt_u32_e32 35, v134
	s_cbranch_execz .LBB43_207
; %bb.206:
	scratch_load_b128 v[5:8], v138, off
	v_mov_b32_e32 v2, v1
	v_mov_b32_e32 v3, v1
	;; [unrolled: 1-line block ×3, first 2 shown]
	scratch_store_b128 off, v[1:4], off offset:560
	s_waitcnt vmcnt(0)
	ds_store_b128 v178, v[5:8]
.LBB43_207:
	s_or_b32 exec_lo, exec_lo, s2
	s_waitcnt lgkmcnt(0)
	s_waitcnt_vscnt null, 0x0
	s_barrier
	buffer_gl0_inv
	s_clause 0x7
	scratch_load_b128 v[2:5], off, off offset:576
	scratch_load_b128 v[6:9], off, off offset:592
	;; [unrolled: 1-line block ×8, first 2 shown]
	ds_load_b128 v[34:37], v1 offset:1280
	ds_load_b128 v[38:41], v1 offset:1296
	scratch_load_b128 v[42:45], off, off offset:560
	s_mov_b32 s2, exec_lo
	s_waitcnt vmcnt(8) lgkmcnt(1)
	v_mul_f64 v[179:180], v[36:37], v[4:5]
	v_mul_f64 v[4:5], v[34:35], v[4:5]
	s_waitcnt vmcnt(7) lgkmcnt(0)
	v_mul_f64 v[181:182], v[38:39], v[8:9]
	v_mul_f64 v[8:9], v[40:41], v[8:9]
	s_delay_alu instid0(VALU_DEP_4) | instskip(NEXT) | instid1(VALU_DEP_4)
	v_fma_f64 v[179:180], v[34:35], v[2:3], -v[179:180]
	v_fma_f64 v[183:184], v[36:37], v[2:3], v[4:5]
	ds_load_b128 v[2:5], v1 offset:1312
	ds_load_b128 v[34:37], v1 offset:1328
	v_fma_f64 v[40:41], v[40:41], v[6:7], v[181:182]
	v_fma_f64 v[6:7], v[38:39], v[6:7], -v[8:9]
	s_waitcnt vmcnt(6) lgkmcnt(1)
	v_mul_f64 v[185:186], v[2:3], v[12:13]
	v_mul_f64 v[12:13], v[4:5], v[12:13]
	v_add_f64 v[8:9], v[179:180], 0
	v_add_f64 v[38:39], v[183:184], 0
	s_waitcnt vmcnt(5) lgkmcnt(0)
	v_mul_f64 v[179:180], v[34:35], v[16:17]
	v_mul_f64 v[16:17], v[36:37], v[16:17]
	v_fma_f64 v[181:182], v[4:5], v[10:11], v[185:186]
	v_fma_f64 v[10:11], v[2:3], v[10:11], -v[12:13]
	v_add_f64 v[12:13], v[8:9], v[6:7]
	v_add_f64 v[38:39], v[38:39], v[40:41]
	ds_load_b128 v[2:5], v1 offset:1344
	ds_load_b128 v[6:9], v1 offset:1360
	v_fma_f64 v[36:37], v[36:37], v[14:15], v[179:180]
	v_fma_f64 v[14:15], v[34:35], v[14:15], -v[16:17]
	s_waitcnt vmcnt(4) lgkmcnt(1)
	v_mul_f64 v[40:41], v[2:3], v[20:21]
	v_mul_f64 v[20:21], v[4:5], v[20:21]
	s_waitcnt vmcnt(3) lgkmcnt(0)
	v_mul_f64 v[16:17], v[6:7], v[24:25]
	v_mul_f64 v[24:25], v[8:9], v[24:25]
	v_add_f64 v[10:11], v[12:13], v[10:11]
	v_add_f64 v[12:13], v[38:39], v[181:182]
	v_fma_f64 v[34:35], v[4:5], v[18:19], v[40:41]
	v_fma_f64 v[18:19], v[2:3], v[18:19], -v[20:21]
	v_fma_f64 v[8:9], v[8:9], v[22:23], v[16:17]
	v_fma_f64 v[6:7], v[6:7], v[22:23], -v[24:25]
	v_add_f64 v[14:15], v[10:11], v[14:15]
	v_add_f64 v[20:21], v[12:13], v[36:37]
	ds_load_b128 v[2:5], v1 offset:1376
	ds_load_b128 v[10:13], v1 offset:1392
	s_waitcnt vmcnt(2) lgkmcnt(1)
	v_mul_f64 v[36:37], v[2:3], v[28:29]
	v_mul_f64 v[28:29], v[4:5], v[28:29]
	v_add_f64 v[14:15], v[14:15], v[18:19]
	v_add_f64 v[16:17], v[20:21], v[34:35]
	s_waitcnt vmcnt(1) lgkmcnt(0)
	v_mul_f64 v[18:19], v[10:11], v[32:33]
	v_mul_f64 v[20:21], v[12:13], v[32:33]
	v_fma_f64 v[4:5], v[4:5], v[26:27], v[36:37]
	v_fma_f64 v[1:2], v[2:3], v[26:27], -v[28:29]
	v_add_f64 v[6:7], v[14:15], v[6:7]
	v_add_f64 v[8:9], v[16:17], v[8:9]
	v_fma_f64 v[12:13], v[12:13], v[30:31], v[18:19]
	v_fma_f64 v[10:11], v[10:11], v[30:31], -v[20:21]
	s_delay_alu instid0(VALU_DEP_4) | instskip(NEXT) | instid1(VALU_DEP_4)
	v_add_f64 v[1:2], v[6:7], v[1:2]
	v_add_f64 v[3:4], v[8:9], v[4:5]
	s_delay_alu instid0(VALU_DEP_2) | instskip(NEXT) | instid1(VALU_DEP_2)
	v_add_f64 v[1:2], v[1:2], v[10:11]
	v_add_f64 v[3:4], v[3:4], v[12:13]
	s_waitcnt vmcnt(0)
	s_delay_alu instid0(VALU_DEP_2) | instskip(NEXT) | instid1(VALU_DEP_2)
	v_add_f64 v[1:2], v[42:43], -v[1:2]
	v_add_f64 v[3:4], v[44:45], -v[3:4]
	scratch_store_b128 off, v[1:4], off offset:560
	v_cmpx_lt_u32_e32 34, v134
	s_cbranch_execz .LBB43_209
; %bb.208:
	scratch_load_b128 v[1:4], v139, off
	v_mov_b32_e32 v5, 0
	s_delay_alu instid0(VALU_DEP_1)
	v_mov_b32_e32 v6, v5
	v_mov_b32_e32 v7, v5
	;; [unrolled: 1-line block ×3, first 2 shown]
	scratch_store_b128 off, v[5:8], off offset:544
	s_waitcnt vmcnt(0)
	ds_store_b128 v178, v[1:4]
.LBB43_209:
	s_or_b32 exec_lo, exec_lo, s2
	s_waitcnt lgkmcnt(0)
	s_waitcnt_vscnt null, 0x0
	s_barrier
	buffer_gl0_inv
	s_clause 0x7
	scratch_load_b128 v[2:5], off, off offset:560
	scratch_load_b128 v[6:9], off, off offset:576
	;; [unrolled: 1-line block ×8, first 2 shown]
	v_mov_b32_e32 v1, 0
	scratch_load_b128 v[38:41], off, off offset:688
	s_mov_b32 s2, exec_lo
	ds_load_b128 v[34:37], v1 offset:1264
	ds_load_b128 v[42:45], v1 offset:1280
	s_waitcnt vmcnt(8) lgkmcnt(1)
	v_mul_f64 v[179:180], v[36:37], v[4:5]
	v_mul_f64 v[4:5], v[34:35], v[4:5]
	s_waitcnt vmcnt(7) lgkmcnt(0)
	v_mul_f64 v[181:182], v[42:43], v[8:9]
	v_mul_f64 v[8:9], v[44:45], v[8:9]
	s_delay_alu instid0(VALU_DEP_4) | instskip(NEXT) | instid1(VALU_DEP_4)
	v_fma_f64 v[34:35], v[34:35], v[2:3], -v[179:180]
	v_fma_f64 v[36:37], v[36:37], v[2:3], v[4:5]
	ds_load_b128 v[2:5], v1 offset:1296
	v_fma_f64 v[44:45], v[44:45], v[6:7], v[181:182]
	v_fma_f64 v[42:43], v[42:43], v[6:7], -v[8:9]
	ds_load_b128 v[6:9], v1 offset:1312
	s_waitcnt vmcnt(6) lgkmcnt(1)
	v_mul_f64 v[179:180], v[2:3], v[12:13]
	v_mul_f64 v[12:13], v[4:5], v[12:13]
	s_waitcnt vmcnt(5) lgkmcnt(0)
	v_mul_f64 v[185:186], v[6:7], v[16:17]
	v_mul_f64 v[16:17], v[8:9], v[16:17]
	v_add_f64 v[181:182], v[34:35], 0
	v_add_f64 v[183:184], v[36:37], 0
	scratch_load_b128 v[34:37], off, off offset:544
	v_fma_f64 v[179:180], v[4:5], v[10:11], v[179:180]
	v_fma_f64 v[10:11], v[2:3], v[10:11], -v[12:13]
	ds_load_b128 v[2:5], v1 offset:1328
	v_add_f64 v[12:13], v[181:182], v[42:43]
	v_add_f64 v[42:43], v[183:184], v[44:45]
	v_fma_f64 v[181:182], v[8:9], v[14:15], v[185:186]
	v_fma_f64 v[14:15], v[6:7], v[14:15], -v[16:17]
	ds_load_b128 v[6:9], v1 offset:1344
	s_waitcnt vmcnt(5) lgkmcnt(1)
	v_mul_f64 v[44:45], v[2:3], v[20:21]
	v_mul_f64 v[20:21], v[4:5], v[20:21]
	s_waitcnt vmcnt(4) lgkmcnt(0)
	v_mul_f64 v[16:17], v[6:7], v[24:25]
	v_mul_f64 v[24:25], v[8:9], v[24:25]
	v_add_f64 v[10:11], v[12:13], v[10:11]
	v_add_f64 v[12:13], v[42:43], v[179:180]
	v_fma_f64 v[42:43], v[4:5], v[18:19], v[44:45]
	v_fma_f64 v[18:19], v[2:3], v[18:19], -v[20:21]
	ds_load_b128 v[2:5], v1 offset:1360
	v_fma_f64 v[16:17], v[8:9], v[22:23], v[16:17]
	v_fma_f64 v[22:23], v[6:7], v[22:23], -v[24:25]
	ds_load_b128 v[6:9], v1 offset:1376
	s_waitcnt vmcnt(3) lgkmcnt(1)
	v_mul_f64 v[20:21], v[4:5], v[28:29]
	v_add_f64 v[10:11], v[10:11], v[14:15]
	v_add_f64 v[12:13], v[12:13], v[181:182]
	v_mul_f64 v[14:15], v[2:3], v[28:29]
	s_waitcnt vmcnt(2) lgkmcnt(0)
	v_mul_f64 v[24:25], v[8:9], v[32:33]
	v_fma_f64 v[20:21], v[2:3], v[26:27], -v[20:21]
	v_add_f64 v[10:11], v[10:11], v[18:19]
	v_add_f64 v[12:13], v[12:13], v[42:43]
	v_mul_f64 v[18:19], v[6:7], v[32:33]
	v_fma_f64 v[14:15], v[4:5], v[26:27], v[14:15]
	ds_load_b128 v[2:5], v1 offset:1392
	v_fma_f64 v[6:7], v[6:7], v[30:31], -v[24:25]
	v_add_f64 v[10:11], v[10:11], v[22:23]
	v_add_f64 v[12:13], v[12:13], v[16:17]
	s_waitcnt vmcnt(1) lgkmcnt(0)
	v_mul_f64 v[16:17], v[2:3], v[40:41]
	v_mul_f64 v[22:23], v[4:5], v[40:41]
	v_fma_f64 v[8:9], v[8:9], v[30:31], v[18:19]
	v_add_f64 v[10:11], v[10:11], v[20:21]
	v_add_f64 v[12:13], v[12:13], v[14:15]
	v_fma_f64 v[4:5], v[4:5], v[38:39], v[16:17]
	v_fma_f64 v[2:3], v[2:3], v[38:39], -v[22:23]
	s_delay_alu instid0(VALU_DEP_4) | instskip(NEXT) | instid1(VALU_DEP_4)
	v_add_f64 v[6:7], v[10:11], v[6:7]
	v_add_f64 v[8:9], v[12:13], v[8:9]
	s_delay_alu instid0(VALU_DEP_2) | instskip(NEXT) | instid1(VALU_DEP_2)
	v_add_f64 v[2:3], v[6:7], v[2:3]
	v_add_f64 v[4:5], v[8:9], v[4:5]
	s_waitcnt vmcnt(0)
	s_delay_alu instid0(VALU_DEP_2) | instskip(NEXT) | instid1(VALU_DEP_2)
	v_add_f64 v[2:3], v[34:35], -v[2:3]
	v_add_f64 v[4:5], v[36:37], -v[4:5]
	scratch_store_b128 off, v[2:5], off offset:544
	v_cmpx_lt_u32_e32 33, v134
	s_cbranch_execz .LBB43_211
; %bb.210:
	scratch_load_b128 v[5:8], v140, off
	v_mov_b32_e32 v2, v1
	v_mov_b32_e32 v3, v1
	;; [unrolled: 1-line block ×3, first 2 shown]
	scratch_store_b128 off, v[1:4], off offset:528
	s_waitcnt vmcnt(0)
	ds_store_b128 v178, v[5:8]
.LBB43_211:
	s_or_b32 exec_lo, exec_lo, s2
	s_waitcnt lgkmcnt(0)
	s_waitcnt_vscnt null, 0x0
	s_barrier
	buffer_gl0_inv
	s_clause 0x7
	scratch_load_b128 v[2:5], off, off offset:544
	scratch_load_b128 v[6:9], off, off offset:560
	;; [unrolled: 1-line block ×8, first 2 shown]
	ds_load_b128 v[34:37], v1 offset:1248
	ds_load_b128 v[42:45], v1 offset:1264
	s_clause 0x1
	scratch_load_b128 v[38:41], off, off offset:672
	scratch_load_b128 v[179:182], off, off offset:688
	s_mov_b32 s2, exec_lo
	s_waitcnt vmcnt(9) lgkmcnt(1)
	v_mul_f64 v[183:184], v[36:37], v[4:5]
	v_mul_f64 v[4:5], v[34:35], v[4:5]
	s_waitcnt vmcnt(8) lgkmcnt(0)
	v_mul_f64 v[185:186], v[42:43], v[8:9]
	v_mul_f64 v[8:9], v[44:45], v[8:9]
	s_delay_alu instid0(VALU_DEP_4) | instskip(NEXT) | instid1(VALU_DEP_4)
	v_fma_f64 v[34:35], v[34:35], v[2:3], -v[183:184]
	v_fma_f64 v[36:37], v[36:37], v[2:3], v[4:5]
	ds_load_b128 v[2:5], v1 offset:1280
	v_fma_f64 v[44:45], v[44:45], v[6:7], v[185:186]
	v_fma_f64 v[42:43], v[42:43], v[6:7], -v[8:9]
	ds_load_b128 v[6:9], v1 offset:1296
	s_waitcnt vmcnt(7) lgkmcnt(1)
	v_mul_f64 v[183:184], v[2:3], v[12:13]
	v_mul_f64 v[12:13], v[4:5], v[12:13]
	s_waitcnt vmcnt(6) lgkmcnt(0)
	v_mul_f64 v[185:186], v[6:7], v[16:17]
	v_mul_f64 v[16:17], v[8:9], v[16:17]
	v_add_f64 v[34:35], v[34:35], 0
	v_add_f64 v[36:37], v[36:37], 0
	v_fma_f64 v[183:184], v[4:5], v[10:11], v[183:184]
	v_fma_f64 v[187:188], v[2:3], v[10:11], -v[12:13]
	ds_load_b128 v[2:5], v1 offset:1312
	scratch_load_b128 v[10:13], off, off offset:528
	v_add_f64 v[34:35], v[34:35], v[42:43]
	v_add_f64 v[36:37], v[36:37], v[44:45]
	v_fma_f64 v[44:45], v[8:9], v[14:15], v[185:186]
	v_fma_f64 v[14:15], v[6:7], v[14:15], -v[16:17]
	ds_load_b128 v[6:9], v1 offset:1328
	s_waitcnt vmcnt(6) lgkmcnt(1)
	v_mul_f64 v[42:43], v[2:3], v[20:21]
	v_mul_f64 v[20:21], v[4:5], v[20:21]
	v_add_f64 v[16:17], v[34:35], v[187:188]
	v_add_f64 v[34:35], v[36:37], v[183:184]
	s_waitcnt vmcnt(5) lgkmcnt(0)
	v_mul_f64 v[36:37], v[6:7], v[24:25]
	v_mul_f64 v[24:25], v[8:9], v[24:25]
	v_fma_f64 v[42:43], v[4:5], v[18:19], v[42:43]
	v_fma_f64 v[18:19], v[2:3], v[18:19], -v[20:21]
	ds_load_b128 v[2:5], v1 offset:1344
	v_add_f64 v[14:15], v[16:17], v[14:15]
	v_add_f64 v[16:17], v[34:35], v[44:45]
	v_fma_f64 v[34:35], v[8:9], v[22:23], v[36:37]
	v_fma_f64 v[22:23], v[6:7], v[22:23], -v[24:25]
	ds_load_b128 v[6:9], v1 offset:1360
	s_waitcnt vmcnt(4) lgkmcnt(1)
	v_mul_f64 v[20:21], v[2:3], v[28:29]
	v_mul_f64 v[28:29], v[4:5], v[28:29]
	s_waitcnt vmcnt(3) lgkmcnt(0)
	v_mul_f64 v[24:25], v[8:9], v[32:33]
	v_add_f64 v[14:15], v[14:15], v[18:19]
	v_add_f64 v[16:17], v[16:17], v[42:43]
	v_mul_f64 v[18:19], v[6:7], v[32:33]
	v_fma_f64 v[20:21], v[4:5], v[26:27], v[20:21]
	v_fma_f64 v[26:27], v[2:3], v[26:27], -v[28:29]
	ds_load_b128 v[2:5], v1 offset:1376
	v_fma_f64 v[24:25], v[6:7], v[30:31], -v[24:25]
	v_add_f64 v[14:15], v[14:15], v[22:23]
	v_add_f64 v[16:17], v[16:17], v[34:35]
	v_fma_f64 v[18:19], v[8:9], v[30:31], v[18:19]
	ds_load_b128 v[6:9], v1 offset:1392
	s_waitcnt vmcnt(2) lgkmcnt(1)
	v_mul_f64 v[22:23], v[2:3], v[40:41]
	v_mul_f64 v[28:29], v[4:5], v[40:41]
	v_add_f64 v[14:15], v[14:15], v[26:27]
	v_add_f64 v[16:17], v[16:17], v[20:21]
	s_waitcnt vmcnt(1) lgkmcnt(0)
	v_mul_f64 v[20:21], v[6:7], v[181:182]
	v_mul_f64 v[26:27], v[8:9], v[181:182]
	v_fma_f64 v[4:5], v[4:5], v[38:39], v[22:23]
	v_fma_f64 v[1:2], v[2:3], v[38:39], -v[28:29]
	v_add_f64 v[14:15], v[14:15], v[24:25]
	v_add_f64 v[16:17], v[16:17], v[18:19]
	v_fma_f64 v[8:9], v[8:9], v[179:180], v[20:21]
	v_fma_f64 v[6:7], v[6:7], v[179:180], -v[26:27]
	s_delay_alu instid0(VALU_DEP_4) | instskip(NEXT) | instid1(VALU_DEP_4)
	v_add_f64 v[1:2], v[14:15], v[1:2]
	v_add_f64 v[3:4], v[16:17], v[4:5]
	s_delay_alu instid0(VALU_DEP_2) | instskip(NEXT) | instid1(VALU_DEP_2)
	v_add_f64 v[1:2], v[1:2], v[6:7]
	v_add_f64 v[3:4], v[3:4], v[8:9]
	s_waitcnt vmcnt(0)
	s_delay_alu instid0(VALU_DEP_2) | instskip(NEXT) | instid1(VALU_DEP_2)
	v_add_f64 v[1:2], v[10:11], -v[1:2]
	v_add_f64 v[3:4], v[12:13], -v[3:4]
	scratch_store_b128 off, v[1:4], off offset:528
	v_cmpx_lt_u32_e32 32, v134
	s_cbranch_execz .LBB43_213
; %bb.212:
	scratch_load_b128 v[1:4], v141, off
	v_mov_b32_e32 v5, 0
	s_delay_alu instid0(VALU_DEP_1)
	v_mov_b32_e32 v6, v5
	v_mov_b32_e32 v7, v5
	;; [unrolled: 1-line block ×3, first 2 shown]
	scratch_store_b128 off, v[5:8], off offset:512
	s_waitcnt vmcnt(0)
	ds_store_b128 v178, v[1:4]
.LBB43_213:
	s_or_b32 exec_lo, exec_lo, s2
	s_waitcnt lgkmcnt(0)
	s_waitcnt_vscnt null, 0x0
	s_barrier
	buffer_gl0_inv
	s_clause 0x7
	scratch_load_b128 v[2:5], off, off offset:528
	scratch_load_b128 v[6:9], off, off offset:544
	;; [unrolled: 1-line block ×8, first 2 shown]
	v_mov_b32_e32 v1, 0
	s_clause 0x1
	scratch_load_b128 v[38:41], off, off offset:656
	scratch_load_b128 v[179:182], off, off offset:672
	s_mov_b32 s2, exec_lo
	ds_load_b128 v[34:37], v1 offset:1232
	ds_load_b128 v[42:45], v1 offset:1248
	s_waitcnt vmcnt(9) lgkmcnt(1)
	v_mul_f64 v[183:184], v[36:37], v[4:5]
	v_mul_f64 v[4:5], v[34:35], v[4:5]
	s_waitcnt vmcnt(8) lgkmcnt(0)
	v_mul_f64 v[185:186], v[42:43], v[8:9]
	v_mul_f64 v[8:9], v[44:45], v[8:9]
	s_delay_alu instid0(VALU_DEP_4) | instskip(NEXT) | instid1(VALU_DEP_4)
	v_fma_f64 v[183:184], v[34:35], v[2:3], -v[183:184]
	v_fma_f64 v[187:188], v[36:37], v[2:3], v[4:5]
	ds_load_b128 v[2:5], v1 offset:1264
	scratch_load_b128 v[34:37], off, off offset:688
	v_fma_f64 v[44:45], v[44:45], v[6:7], v[185:186]
	v_fma_f64 v[42:43], v[42:43], v[6:7], -v[8:9]
	ds_load_b128 v[6:9], v1 offset:1280
	s_waitcnt vmcnt(8) lgkmcnt(1)
	v_mul_f64 v[189:190], v[2:3], v[12:13]
	v_mul_f64 v[12:13], v[4:5], v[12:13]
	v_add_f64 v[183:184], v[183:184], 0
	v_add_f64 v[185:186], v[187:188], 0
	s_waitcnt vmcnt(7) lgkmcnt(0)
	v_mul_f64 v[187:188], v[6:7], v[16:17]
	v_mul_f64 v[16:17], v[8:9], v[16:17]
	v_fma_f64 v[189:190], v[4:5], v[10:11], v[189:190]
	v_fma_f64 v[10:11], v[2:3], v[10:11], -v[12:13]
	ds_load_b128 v[2:5], v1 offset:1296
	v_add_f64 v[12:13], v[183:184], v[42:43]
	v_add_f64 v[42:43], v[185:186], v[44:45]
	v_fma_f64 v[183:184], v[8:9], v[14:15], v[187:188]
	v_fma_f64 v[14:15], v[6:7], v[14:15], -v[16:17]
	ds_load_b128 v[6:9], v1 offset:1312
	s_waitcnt vmcnt(6) lgkmcnt(1)
	v_mul_f64 v[44:45], v[2:3], v[20:21]
	v_mul_f64 v[20:21], v[4:5], v[20:21]
	s_waitcnt vmcnt(5) lgkmcnt(0)
	v_mul_f64 v[185:186], v[6:7], v[24:25]
	v_mul_f64 v[24:25], v[8:9], v[24:25]
	v_add_f64 v[16:17], v[12:13], v[10:11]
	v_add_f64 v[42:43], v[42:43], v[189:190]
	scratch_load_b128 v[10:13], off, off offset:512
	v_fma_f64 v[44:45], v[4:5], v[18:19], v[44:45]
	v_fma_f64 v[18:19], v[2:3], v[18:19], -v[20:21]
	ds_load_b128 v[2:5], v1 offset:1328
	v_add_f64 v[14:15], v[16:17], v[14:15]
	v_add_f64 v[16:17], v[42:43], v[183:184]
	v_fma_f64 v[42:43], v[8:9], v[22:23], v[185:186]
	v_fma_f64 v[22:23], v[6:7], v[22:23], -v[24:25]
	ds_load_b128 v[6:9], v1 offset:1344
	s_waitcnt vmcnt(5) lgkmcnt(1)
	v_mul_f64 v[20:21], v[2:3], v[28:29]
	v_mul_f64 v[28:29], v[4:5], v[28:29]
	s_waitcnt vmcnt(4) lgkmcnt(0)
	v_mul_f64 v[24:25], v[8:9], v[32:33]
	v_add_f64 v[14:15], v[14:15], v[18:19]
	v_add_f64 v[16:17], v[16:17], v[44:45]
	v_mul_f64 v[18:19], v[6:7], v[32:33]
	v_fma_f64 v[20:21], v[4:5], v[26:27], v[20:21]
	v_fma_f64 v[26:27], v[2:3], v[26:27], -v[28:29]
	ds_load_b128 v[2:5], v1 offset:1360
	v_fma_f64 v[24:25], v[6:7], v[30:31], -v[24:25]
	v_add_f64 v[14:15], v[14:15], v[22:23]
	v_add_f64 v[16:17], v[16:17], v[42:43]
	v_fma_f64 v[18:19], v[8:9], v[30:31], v[18:19]
	ds_load_b128 v[6:9], v1 offset:1376
	s_waitcnt vmcnt(3) lgkmcnt(1)
	v_mul_f64 v[22:23], v[2:3], v[40:41]
	v_mul_f64 v[28:29], v[4:5], v[40:41]
	v_add_f64 v[14:15], v[14:15], v[26:27]
	v_add_f64 v[16:17], v[16:17], v[20:21]
	s_waitcnt vmcnt(2) lgkmcnt(0)
	v_mul_f64 v[20:21], v[6:7], v[181:182]
	v_mul_f64 v[26:27], v[8:9], v[181:182]
	v_fma_f64 v[22:23], v[4:5], v[38:39], v[22:23]
	v_fma_f64 v[28:29], v[2:3], v[38:39], -v[28:29]
	ds_load_b128 v[2:5], v1 offset:1392
	v_add_f64 v[14:15], v[14:15], v[24:25]
	v_add_f64 v[16:17], v[16:17], v[18:19]
	v_fma_f64 v[8:9], v[8:9], v[179:180], v[20:21]
	v_fma_f64 v[6:7], v[6:7], v[179:180], -v[26:27]
	s_waitcnt vmcnt(1) lgkmcnt(0)
	v_mul_f64 v[18:19], v[2:3], v[36:37]
	v_mul_f64 v[24:25], v[4:5], v[36:37]
	v_add_f64 v[14:15], v[14:15], v[28:29]
	v_add_f64 v[16:17], v[16:17], v[22:23]
	s_delay_alu instid0(VALU_DEP_4) | instskip(NEXT) | instid1(VALU_DEP_4)
	v_fma_f64 v[4:5], v[4:5], v[34:35], v[18:19]
	v_fma_f64 v[2:3], v[2:3], v[34:35], -v[24:25]
	s_delay_alu instid0(VALU_DEP_4) | instskip(NEXT) | instid1(VALU_DEP_4)
	v_add_f64 v[6:7], v[14:15], v[6:7]
	v_add_f64 v[8:9], v[16:17], v[8:9]
	s_delay_alu instid0(VALU_DEP_2) | instskip(NEXT) | instid1(VALU_DEP_2)
	v_add_f64 v[2:3], v[6:7], v[2:3]
	v_add_f64 v[4:5], v[8:9], v[4:5]
	s_waitcnt vmcnt(0)
	s_delay_alu instid0(VALU_DEP_2) | instskip(NEXT) | instid1(VALU_DEP_2)
	v_add_f64 v[2:3], v[10:11], -v[2:3]
	v_add_f64 v[4:5], v[12:13], -v[4:5]
	scratch_store_b128 off, v[2:5], off offset:512
	v_cmpx_lt_u32_e32 31, v134
	s_cbranch_execz .LBB43_215
; %bb.214:
	scratch_load_b128 v[5:8], v142, off
	v_mov_b32_e32 v2, v1
	v_mov_b32_e32 v3, v1
	;; [unrolled: 1-line block ×3, first 2 shown]
	scratch_store_b128 off, v[1:4], off offset:496
	s_waitcnt vmcnt(0)
	ds_store_b128 v178, v[5:8]
.LBB43_215:
	s_or_b32 exec_lo, exec_lo, s2
	s_waitcnt lgkmcnt(0)
	s_waitcnt_vscnt null, 0x0
	s_barrier
	buffer_gl0_inv
	s_clause 0x8
	scratch_load_b128 v[2:5], off, off offset:512
	scratch_load_b128 v[6:9], off, off offset:528
	;; [unrolled: 1-line block ×9, first 2 shown]
	ds_load_b128 v[38:41], v1 offset:1216
	ds_load_b128 v[42:45], v1 offset:1232
	s_clause 0x1
	scratch_load_b128 v[179:182], off, off offset:496
	scratch_load_b128 v[183:186], off, off offset:656
	s_mov_b32 s2, exec_lo
	s_waitcnt vmcnt(10) lgkmcnt(1)
	v_mul_f64 v[187:188], v[40:41], v[4:5]
	v_mul_f64 v[4:5], v[38:39], v[4:5]
	s_waitcnt vmcnt(9) lgkmcnt(0)
	v_mul_f64 v[191:192], v[42:43], v[8:9]
	v_mul_f64 v[8:9], v[44:45], v[8:9]
	s_delay_alu instid0(VALU_DEP_4) | instskip(NEXT) | instid1(VALU_DEP_4)
	v_fma_f64 v[193:194], v[38:39], v[2:3], -v[187:188]
	v_fma_f64 v[195:196], v[40:41], v[2:3], v[4:5]
	ds_load_b128 v[2:5], v1 offset:1248
	ds_load_b128 v[187:190], v1 offset:1264
	scratch_load_b128 v[38:41], off, off offset:672
	v_fma_f64 v[44:45], v[44:45], v[6:7], v[191:192]
	v_fma_f64 v[42:43], v[42:43], v[6:7], -v[8:9]
	scratch_load_b128 v[6:9], off, off offset:688
	s_waitcnt vmcnt(10) lgkmcnt(1)
	v_mul_f64 v[197:198], v[2:3], v[12:13]
	v_mul_f64 v[12:13], v[4:5], v[12:13]
	v_add_f64 v[191:192], v[193:194], 0
	v_add_f64 v[193:194], v[195:196], 0
	s_waitcnt vmcnt(9) lgkmcnt(0)
	v_mul_f64 v[195:196], v[187:188], v[16:17]
	v_mul_f64 v[16:17], v[189:190], v[16:17]
	v_fma_f64 v[197:198], v[4:5], v[10:11], v[197:198]
	v_fma_f64 v[199:200], v[2:3], v[10:11], -v[12:13]
	ds_load_b128 v[2:5], v1 offset:1280
	ds_load_b128 v[10:13], v1 offset:1296
	v_add_f64 v[42:43], v[191:192], v[42:43]
	v_add_f64 v[44:45], v[193:194], v[44:45]
	v_fma_f64 v[189:190], v[189:190], v[14:15], v[195:196]
	v_fma_f64 v[14:15], v[187:188], v[14:15], -v[16:17]
	s_waitcnt vmcnt(8) lgkmcnt(1)
	v_mul_f64 v[191:192], v[2:3], v[20:21]
	v_mul_f64 v[20:21], v[4:5], v[20:21]
	v_add_f64 v[16:17], v[42:43], v[199:200]
	v_add_f64 v[42:43], v[44:45], v[197:198]
	s_waitcnt vmcnt(7) lgkmcnt(0)
	v_mul_f64 v[44:45], v[10:11], v[24:25]
	v_mul_f64 v[24:25], v[12:13], v[24:25]
	v_fma_f64 v[187:188], v[4:5], v[18:19], v[191:192]
	v_fma_f64 v[18:19], v[2:3], v[18:19], -v[20:21]
	v_add_f64 v[20:21], v[16:17], v[14:15]
	v_add_f64 v[42:43], v[42:43], v[189:190]
	ds_load_b128 v[2:5], v1 offset:1312
	ds_load_b128 v[14:17], v1 offset:1328
	v_fma_f64 v[12:13], v[12:13], v[22:23], v[44:45]
	v_fma_f64 v[10:11], v[10:11], v[22:23], -v[24:25]
	s_waitcnt vmcnt(6) lgkmcnt(1)
	v_mul_f64 v[189:190], v[2:3], v[28:29]
	v_mul_f64 v[28:29], v[4:5], v[28:29]
	s_waitcnt vmcnt(5) lgkmcnt(0)
	v_mul_f64 v[22:23], v[14:15], v[32:33]
	v_mul_f64 v[24:25], v[16:17], v[32:33]
	v_add_f64 v[18:19], v[20:21], v[18:19]
	v_add_f64 v[20:21], v[42:43], v[187:188]
	v_fma_f64 v[32:33], v[4:5], v[26:27], v[189:190]
	v_fma_f64 v[26:27], v[2:3], v[26:27], -v[28:29]
	v_fma_f64 v[16:17], v[16:17], v[30:31], v[22:23]
	v_fma_f64 v[14:15], v[14:15], v[30:31], -v[24:25]
	v_add_f64 v[18:19], v[18:19], v[10:11]
	v_add_f64 v[20:21], v[20:21], v[12:13]
	ds_load_b128 v[2:5], v1 offset:1344
	ds_load_b128 v[10:13], v1 offset:1360
	s_waitcnt vmcnt(4) lgkmcnt(1)
	v_mul_f64 v[28:29], v[2:3], v[36:37]
	v_mul_f64 v[36:37], v[4:5], v[36:37]
	s_waitcnt vmcnt(2) lgkmcnt(0)
	v_mul_f64 v[22:23], v[10:11], v[185:186]
	v_mul_f64 v[24:25], v[12:13], v[185:186]
	v_add_f64 v[18:19], v[18:19], v[26:27]
	v_add_f64 v[20:21], v[20:21], v[32:33]
	v_fma_f64 v[26:27], v[4:5], v[34:35], v[28:29]
	v_fma_f64 v[28:29], v[2:3], v[34:35], -v[36:37]
	v_fma_f64 v[12:13], v[12:13], v[183:184], v[22:23]
	v_fma_f64 v[10:11], v[10:11], v[183:184], -v[24:25]
	v_add_f64 v[18:19], v[18:19], v[14:15]
	v_add_f64 v[20:21], v[20:21], v[16:17]
	ds_load_b128 v[2:5], v1 offset:1376
	ds_load_b128 v[14:17], v1 offset:1392
	s_waitcnt vmcnt(1) lgkmcnt(1)
	v_mul_f64 v[30:31], v[2:3], v[40:41]
	v_mul_f64 v[32:33], v[4:5], v[40:41]
	s_waitcnt vmcnt(0) lgkmcnt(0)
	v_mul_f64 v[22:23], v[14:15], v[8:9]
	v_mul_f64 v[8:9], v[16:17], v[8:9]
	v_add_f64 v[18:19], v[18:19], v[28:29]
	v_add_f64 v[20:21], v[20:21], v[26:27]
	v_fma_f64 v[4:5], v[4:5], v[38:39], v[30:31]
	v_fma_f64 v[1:2], v[2:3], v[38:39], -v[32:33]
	v_fma_f64 v[16:17], v[16:17], v[6:7], v[22:23]
	v_fma_f64 v[6:7], v[14:15], v[6:7], -v[8:9]
	v_add_f64 v[10:11], v[18:19], v[10:11]
	v_add_f64 v[12:13], v[20:21], v[12:13]
	s_delay_alu instid0(VALU_DEP_2) | instskip(NEXT) | instid1(VALU_DEP_2)
	v_add_f64 v[1:2], v[10:11], v[1:2]
	v_add_f64 v[3:4], v[12:13], v[4:5]
	s_delay_alu instid0(VALU_DEP_2) | instskip(NEXT) | instid1(VALU_DEP_2)
	;; [unrolled: 3-line block ×3, first 2 shown]
	v_add_f64 v[1:2], v[179:180], -v[1:2]
	v_add_f64 v[3:4], v[181:182], -v[3:4]
	scratch_store_b128 off, v[1:4], off offset:496
	v_cmpx_lt_u32_e32 30, v134
	s_cbranch_execz .LBB43_217
; %bb.216:
	scratch_load_b128 v[1:4], v143, off
	v_mov_b32_e32 v5, 0
	s_delay_alu instid0(VALU_DEP_1)
	v_mov_b32_e32 v6, v5
	v_mov_b32_e32 v7, v5
	v_mov_b32_e32 v8, v5
	scratch_store_b128 off, v[5:8], off offset:480
	s_waitcnt vmcnt(0)
	ds_store_b128 v178, v[1:4]
.LBB43_217:
	s_or_b32 exec_lo, exec_lo, s2
	s_waitcnt lgkmcnt(0)
	s_waitcnt_vscnt null, 0x0
	s_barrier
	buffer_gl0_inv
	s_clause 0x7
	scratch_load_b128 v[2:5], off, off offset:496
	scratch_load_b128 v[6:9], off, off offset:512
	;; [unrolled: 1-line block ×8, first 2 shown]
	v_mov_b32_e32 v1, 0
	s_mov_b32 s2, exec_lo
	ds_load_b128 v[34:37], v1 offset:1200
	s_clause 0x1
	scratch_load_b128 v[38:41], off, off offset:624
	scratch_load_b128 v[42:45], off, off offset:480
	ds_load_b128 v[179:182], v1 offset:1216
	scratch_load_b128 v[183:186], off, off offset:640
	s_waitcnt vmcnt(10) lgkmcnt(1)
	v_mul_f64 v[187:188], v[36:37], v[4:5]
	v_mul_f64 v[4:5], v[34:35], v[4:5]
	s_delay_alu instid0(VALU_DEP_2) | instskip(NEXT) | instid1(VALU_DEP_2)
	v_fma_f64 v[193:194], v[34:35], v[2:3], -v[187:188]
	v_fma_f64 v[195:196], v[36:37], v[2:3], v[4:5]
	scratch_load_b128 v[34:37], off, off offset:656
	ds_load_b128 v[2:5], v1 offset:1232
	s_waitcnt vmcnt(10) lgkmcnt(1)
	v_mul_f64 v[191:192], v[179:180], v[8:9]
	v_mul_f64 v[8:9], v[181:182], v[8:9]
	ds_load_b128 v[187:190], v1 offset:1248
	s_waitcnt vmcnt(9) lgkmcnt(1)
	v_mul_f64 v[197:198], v[2:3], v[12:13]
	v_mul_f64 v[12:13], v[4:5], v[12:13]
	v_fma_f64 v[181:182], v[181:182], v[6:7], v[191:192]
	v_fma_f64 v[179:180], v[179:180], v[6:7], -v[8:9]
	v_add_f64 v[191:192], v[193:194], 0
	v_add_f64 v[193:194], v[195:196], 0
	scratch_load_b128 v[6:9], off, off offset:672
	v_fma_f64 v[197:198], v[4:5], v[10:11], v[197:198]
	v_fma_f64 v[199:200], v[2:3], v[10:11], -v[12:13]
	scratch_load_b128 v[10:13], off, off offset:688
	ds_load_b128 v[2:5], v1 offset:1264
	s_waitcnt vmcnt(10) lgkmcnt(1)
	v_mul_f64 v[195:196], v[187:188], v[16:17]
	v_mul_f64 v[16:17], v[189:190], v[16:17]
	v_add_f64 v[191:192], v[191:192], v[179:180]
	v_add_f64 v[193:194], v[193:194], v[181:182]
	s_waitcnt vmcnt(9) lgkmcnt(0)
	v_mul_f64 v[201:202], v[2:3], v[20:21]
	v_mul_f64 v[20:21], v[4:5], v[20:21]
	ds_load_b128 v[179:182], v1 offset:1280
	v_fma_f64 v[189:190], v[189:190], v[14:15], v[195:196]
	v_fma_f64 v[14:15], v[187:188], v[14:15], -v[16:17]
	v_add_f64 v[16:17], v[191:192], v[199:200]
	v_add_f64 v[187:188], v[193:194], v[197:198]
	s_waitcnt vmcnt(8) lgkmcnt(0)
	v_mul_f64 v[191:192], v[179:180], v[24:25]
	v_mul_f64 v[24:25], v[181:182], v[24:25]
	v_fma_f64 v[193:194], v[4:5], v[18:19], v[201:202]
	v_fma_f64 v[18:19], v[2:3], v[18:19], -v[20:21]
	v_add_f64 v[20:21], v[16:17], v[14:15]
	v_add_f64 v[187:188], v[187:188], v[189:190]
	ds_load_b128 v[2:5], v1 offset:1296
	ds_load_b128 v[14:17], v1 offset:1312
	v_fma_f64 v[181:182], v[181:182], v[22:23], v[191:192]
	v_fma_f64 v[22:23], v[179:180], v[22:23], -v[24:25]
	s_waitcnt vmcnt(7) lgkmcnt(1)
	v_mul_f64 v[189:190], v[2:3], v[28:29]
	v_mul_f64 v[28:29], v[4:5], v[28:29]
	s_waitcnt vmcnt(6) lgkmcnt(0)
	v_mul_f64 v[24:25], v[14:15], v[32:33]
	v_mul_f64 v[32:33], v[16:17], v[32:33]
	v_add_f64 v[18:19], v[20:21], v[18:19]
	v_add_f64 v[20:21], v[187:188], v[193:194]
	v_fma_f64 v[179:180], v[4:5], v[26:27], v[189:190]
	v_fma_f64 v[26:27], v[2:3], v[26:27], -v[28:29]
	v_fma_f64 v[16:17], v[16:17], v[30:31], v[24:25]
	v_fma_f64 v[14:15], v[14:15], v[30:31], -v[32:33]
	v_add_f64 v[22:23], v[18:19], v[22:23]
	v_add_f64 v[28:29], v[20:21], v[181:182]
	ds_load_b128 v[2:5], v1 offset:1328
	ds_load_b128 v[18:21], v1 offset:1344
	s_waitcnt vmcnt(5) lgkmcnt(1)
	v_mul_f64 v[181:182], v[2:3], v[40:41]
	v_mul_f64 v[40:41], v[4:5], v[40:41]
	v_add_f64 v[22:23], v[22:23], v[26:27]
	v_add_f64 v[24:25], v[28:29], v[179:180]
	s_waitcnt vmcnt(3) lgkmcnt(0)
	v_mul_f64 v[26:27], v[18:19], v[185:186]
	v_mul_f64 v[28:29], v[20:21], v[185:186]
	v_fma_f64 v[30:31], v[4:5], v[38:39], v[181:182]
	v_fma_f64 v[32:33], v[2:3], v[38:39], -v[40:41]
	v_add_f64 v[22:23], v[22:23], v[14:15]
	v_add_f64 v[24:25], v[24:25], v[16:17]
	ds_load_b128 v[2:5], v1 offset:1360
	ds_load_b128 v[14:17], v1 offset:1376
	v_fma_f64 v[20:21], v[20:21], v[183:184], v[26:27]
	v_fma_f64 v[18:19], v[18:19], v[183:184], -v[28:29]
	s_waitcnt vmcnt(2) lgkmcnt(1)
	v_mul_f64 v[38:39], v[2:3], v[36:37]
	v_mul_f64 v[36:37], v[4:5], v[36:37]
	v_add_f64 v[22:23], v[22:23], v[32:33]
	v_add_f64 v[24:25], v[24:25], v[30:31]
	s_waitcnt vmcnt(1) lgkmcnt(0)
	v_mul_f64 v[26:27], v[14:15], v[8:9]
	v_mul_f64 v[8:9], v[16:17], v[8:9]
	v_fma_f64 v[28:29], v[4:5], v[34:35], v[38:39]
	v_fma_f64 v[30:31], v[2:3], v[34:35], -v[36:37]
	ds_load_b128 v[2:5], v1 offset:1392
	v_add_f64 v[18:19], v[22:23], v[18:19]
	v_add_f64 v[20:21], v[24:25], v[20:21]
	s_waitcnt vmcnt(0) lgkmcnt(0)
	v_mul_f64 v[22:23], v[2:3], v[12:13]
	v_mul_f64 v[12:13], v[4:5], v[12:13]
	v_fma_f64 v[16:17], v[16:17], v[6:7], v[26:27]
	v_fma_f64 v[6:7], v[14:15], v[6:7], -v[8:9]
	v_add_f64 v[8:9], v[18:19], v[30:31]
	v_add_f64 v[14:15], v[20:21], v[28:29]
	v_fma_f64 v[4:5], v[4:5], v[10:11], v[22:23]
	v_fma_f64 v[2:3], v[2:3], v[10:11], -v[12:13]
	s_delay_alu instid0(VALU_DEP_4) | instskip(NEXT) | instid1(VALU_DEP_4)
	v_add_f64 v[6:7], v[8:9], v[6:7]
	v_add_f64 v[8:9], v[14:15], v[16:17]
	s_delay_alu instid0(VALU_DEP_2) | instskip(NEXT) | instid1(VALU_DEP_2)
	v_add_f64 v[2:3], v[6:7], v[2:3]
	v_add_f64 v[4:5], v[8:9], v[4:5]
	s_delay_alu instid0(VALU_DEP_2) | instskip(NEXT) | instid1(VALU_DEP_2)
	v_add_f64 v[2:3], v[42:43], -v[2:3]
	v_add_f64 v[4:5], v[44:45], -v[4:5]
	scratch_store_b128 off, v[2:5], off offset:480
	v_cmpx_lt_u32_e32 29, v134
	s_cbranch_execz .LBB43_219
; %bb.218:
	scratch_load_b128 v[5:8], v145, off
	v_mov_b32_e32 v2, v1
	v_mov_b32_e32 v3, v1
	;; [unrolled: 1-line block ×3, first 2 shown]
	scratch_store_b128 off, v[1:4], off offset:464
	s_waitcnt vmcnt(0)
	ds_store_b128 v178, v[5:8]
.LBB43_219:
	s_or_b32 exec_lo, exec_lo, s2
	s_waitcnt lgkmcnt(0)
	s_waitcnt_vscnt null, 0x0
	s_barrier
	buffer_gl0_inv
	s_clause 0x8
	scratch_load_b128 v[2:5], off, off offset:480
	scratch_load_b128 v[6:9], off, off offset:496
	;; [unrolled: 1-line block ×9, first 2 shown]
	ds_load_b128 v[38:41], v1 offset:1184
	ds_load_b128 v[42:45], v1 offset:1200
	s_clause 0x1
	scratch_load_b128 v[179:182], off, off offset:464
	scratch_load_b128 v[183:186], off, off offset:624
	s_mov_b32 s2, exec_lo
	s_waitcnt vmcnt(10) lgkmcnt(1)
	v_mul_f64 v[187:188], v[40:41], v[4:5]
	v_mul_f64 v[4:5], v[38:39], v[4:5]
	s_waitcnt vmcnt(9) lgkmcnt(0)
	v_mul_f64 v[191:192], v[42:43], v[8:9]
	v_mul_f64 v[8:9], v[44:45], v[8:9]
	s_delay_alu instid0(VALU_DEP_4) | instskip(NEXT) | instid1(VALU_DEP_4)
	v_fma_f64 v[193:194], v[38:39], v[2:3], -v[187:188]
	v_fma_f64 v[195:196], v[40:41], v[2:3], v[4:5]
	ds_load_b128 v[2:5], v1 offset:1216
	ds_load_b128 v[187:190], v1 offset:1232
	scratch_load_b128 v[38:41], off, off offset:640
	v_fma_f64 v[44:45], v[44:45], v[6:7], v[191:192]
	v_fma_f64 v[42:43], v[42:43], v[6:7], -v[8:9]
	scratch_load_b128 v[6:9], off, off offset:656
	s_waitcnt vmcnt(10) lgkmcnt(1)
	v_mul_f64 v[197:198], v[2:3], v[12:13]
	v_mul_f64 v[12:13], v[4:5], v[12:13]
	v_add_f64 v[191:192], v[193:194], 0
	v_add_f64 v[193:194], v[195:196], 0
	s_waitcnt vmcnt(9) lgkmcnt(0)
	v_mul_f64 v[195:196], v[187:188], v[16:17]
	v_mul_f64 v[16:17], v[189:190], v[16:17]
	v_fma_f64 v[197:198], v[4:5], v[10:11], v[197:198]
	v_fma_f64 v[199:200], v[2:3], v[10:11], -v[12:13]
	ds_load_b128 v[2:5], v1 offset:1248
	scratch_load_b128 v[10:13], off, off offset:672
	v_add_f64 v[191:192], v[191:192], v[42:43]
	v_add_f64 v[193:194], v[193:194], v[44:45]
	ds_load_b128 v[42:45], v1 offset:1264
	v_fma_f64 v[189:190], v[189:190], v[14:15], v[195:196]
	v_fma_f64 v[187:188], v[187:188], v[14:15], -v[16:17]
	scratch_load_b128 v[14:17], off, off offset:688
	s_waitcnt vmcnt(10) lgkmcnt(1)
	v_mul_f64 v[201:202], v[2:3], v[20:21]
	v_mul_f64 v[20:21], v[4:5], v[20:21]
	s_waitcnt vmcnt(9) lgkmcnt(0)
	v_mul_f64 v[195:196], v[42:43], v[24:25]
	v_mul_f64 v[24:25], v[44:45], v[24:25]
	v_add_f64 v[191:192], v[191:192], v[199:200]
	v_add_f64 v[193:194], v[193:194], v[197:198]
	v_fma_f64 v[197:198], v[4:5], v[18:19], v[201:202]
	v_fma_f64 v[199:200], v[2:3], v[18:19], -v[20:21]
	ds_load_b128 v[2:5], v1 offset:1280
	ds_load_b128 v[18:21], v1 offset:1296
	v_fma_f64 v[44:45], v[44:45], v[22:23], v[195:196]
	v_fma_f64 v[22:23], v[42:43], v[22:23], -v[24:25]
	v_add_f64 v[187:188], v[191:192], v[187:188]
	v_add_f64 v[189:190], v[193:194], v[189:190]
	s_waitcnt vmcnt(8) lgkmcnt(1)
	v_mul_f64 v[191:192], v[2:3], v[28:29]
	v_mul_f64 v[28:29], v[4:5], v[28:29]
	s_delay_alu instid0(VALU_DEP_4) | instskip(NEXT) | instid1(VALU_DEP_4)
	v_add_f64 v[24:25], v[187:188], v[199:200]
	v_add_f64 v[42:43], v[189:190], v[197:198]
	s_waitcnt vmcnt(7) lgkmcnt(0)
	v_mul_f64 v[187:188], v[18:19], v[32:33]
	v_mul_f64 v[32:33], v[20:21], v[32:33]
	v_fma_f64 v[189:190], v[4:5], v[26:27], v[191:192]
	v_fma_f64 v[26:27], v[2:3], v[26:27], -v[28:29]
	v_add_f64 v[28:29], v[24:25], v[22:23]
	v_add_f64 v[42:43], v[42:43], v[44:45]
	ds_load_b128 v[2:5], v1 offset:1312
	ds_load_b128 v[22:25], v1 offset:1328
	v_fma_f64 v[20:21], v[20:21], v[30:31], v[187:188]
	v_fma_f64 v[18:19], v[18:19], v[30:31], -v[32:33]
	s_waitcnt vmcnt(6) lgkmcnt(1)
	v_mul_f64 v[44:45], v[2:3], v[36:37]
	v_mul_f64 v[36:37], v[4:5], v[36:37]
	s_waitcnt vmcnt(4) lgkmcnt(0)
	v_mul_f64 v[30:31], v[22:23], v[185:186]
	v_mul_f64 v[32:33], v[24:25], v[185:186]
	v_add_f64 v[26:27], v[28:29], v[26:27]
	v_add_f64 v[28:29], v[42:43], v[189:190]
	v_fma_f64 v[42:43], v[4:5], v[34:35], v[44:45]
	v_fma_f64 v[34:35], v[2:3], v[34:35], -v[36:37]
	v_fma_f64 v[24:25], v[24:25], v[183:184], v[30:31]
	v_fma_f64 v[22:23], v[22:23], v[183:184], -v[32:33]
	v_add_f64 v[26:27], v[26:27], v[18:19]
	v_add_f64 v[28:29], v[28:29], v[20:21]
	ds_load_b128 v[2:5], v1 offset:1344
	ds_load_b128 v[18:21], v1 offset:1360
	s_waitcnt vmcnt(3) lgkmcnt(1)
	v_mul_f64 v[36:37], v[2:3], v[40:41]
	v_mul_f64 v[40:41], v[4:5], v[40:41]
	s_waitcnt vmcnt(2) lgkmcnt(0)
	v_mul_f64 v[30:31], v[18:19], v[8:9]
	v_mul_f64 v[8:9], v[20:21], v[8:9]
	v_add_f64 v[26:27], v[26:27], v[34:35]
	v_add_f64 v[28:29], v[28:29], v[42:43]
	v_fma_f64 v[32:33], v[4:5], v[38:39], v[36:37]
	v_fma_f64 v[34:35], v[2:3], v[38:39], -v[40:41]
	v_fma_f64 v[20:21], v[20:21], v[6:7], v[30:31]
	v_fma_f64 v[6:7], v[18:19], v[6:7], -v[8:9]
	v_add_f64 v[26:27], v[26:27], v[22:23]
	v_add_f64 v[28:29], v[28:29], v[24:25]
	ds_load_b128 v[2:5], v1 offset:1376
	ds_load_b128 v[22:25], v1 offset:1392
	s_waitcnt vmcnt(1) lgkmcnt(1)
	v_mul_f64 v[36:37], v[2:3], v[12:13]
	v_mul_f64 v[12:13], v[4:5], v[12:13]
	v_add_f64 v[8:9], v[26:27], v[34:35]
	v_add_f64 v[18:19], v[28:29], v[32:33]
	s_waitcnt vmcnt(0) lgkmcnt(0)
	v_mul_f64 v[26:27], v[22:23], v[16:17]
	v_mul_f64 v[16:17], v[24:25], v[16:17]
	v_fma_f64 v[4:5], v[4:5], v[10:11], v[36:37]
	v_fma_f64 v[1:2], v[2:3], v[10:11], -v[12:13]
	v_add_f64 v[6:7], v[8:9], v[6:7]
	v_add_f64 v[8:9], v[18:19], v[20:21]
	v_fma_f64 v[10:11], v[24:25], v[14:15], v[26:27]
	v_fma_f64 v[12:13], v[22:23], v[14:15], -v[16:17]
	s_delay_alu instid0(VALU_DEP_4) | instskip(NEXT) | instid1(VALU_DEP_4)
	v_add_f64 v[1:2], v[6:7], v[1:2]
	v_add_f64 v[3:4], v[8:9], v[4:5]
	s_delay_alu instid0(VALU_DEP_2) | instskip(NEXT) | instid1(VALU_DEP_2)
	v_add_f64 v[1:2], v[1:2], v[12:13]
	v_add_f64 v[3:4], v[3:4], v[10:11]
	s_delay_alu instid0(VALU_DEP_2) | instskip(NEXT) | instid1(VALU_DEP_2)
	v_add_f64 v[1:2], v[179:180], -v[1:2]
	v_add_f64 v[3:4], v[181:182], -v[3:4]
	scratch_store_b128 off, v[1:4], off offset:464
	v_cmpx_lt_u32_e32 28, v134
	s_cbranch_execz .LBB43_221
; %bb.220:
	scratch_load_b128 v[1:4], v147, off
	v_mov_b32_e32 v5, 0
	s_delay_alu instid0(VALU_DEP_1)
	v_mov_b32_e32 v6, v5
	v_mov_b32_e32 v7, v5
	;; [unrolled: 1-line block ×3, first 2 shown]
	scratch_store_b128 off, v[5:8], off offset:448
	s_waitcnt vmcnt(0)
	ds_store_b128 v178, v[1:4]
.LBB43_221:
	s_or_b32 exec_lo, exec_lo, s2
	s_waitcnt lgkmcnt(0)
	s_waitcnt_vscnt null, 0x0
	s_barrier
	buffer_gl0_inv
	s_clause 0x7
	scratch_load_b128 v[2:5], off, off offset:464
	scratch_load_b128 v[6:9], off, off offset:480
	;; [unrolled: 1-line block ×8, first 2 shown]
	v_mov_b32_e32 v1, 0
	s_mov_b32 s2, exec_lo
	ds_load_b128 v[34:37], v1 offset:1168
	s_clause 0x1
	scratch_load_b128 v[38:41], off, off offset:592
	scratch_load_b128 v[42:45], off, off offset:448
	ds_load_b128 v[179:182], v1 offset:1184
	scratch_load_b128 v[183:186], off, off offset:608
	s_waitcnt vmcnt(10) lgkmcnt(1)
	v_mul_f64 v[187:188], v[36:37], v[4:5]
	v_mul_f64 v[4:5], v[34:35], v[4:5]
	s_delay_alu instid0(VALU_DEP_2) | instskip(NEXT) | instid1(VALU_DEP_2)
	v_fma_f64 v[193:194], v[34:35], v[2:3], -v[187:188]
	v_fma_f64 v[195:196], v[36:37], v[2:3], v[4:5]
	scratch_load_b128 v[34:37], off, off offset:624
	ds_load_b128 v[2:5], v1 offset:1200
	s_waitcnt vmcnt(10) lgkmcnt(1)
	v_mul_f64 v[191:192], v[179:180], v[8:9]
	v_mul_f64 v[8:9], v[181:182], v[8:9]
	ds_load_b128 v[187:190], v1 offset:1216
	s_waitcnt vmcnt(9) lgkmcnt(1)
	v_mul_f64 v[197:198], v[2:3], v[12:13]
	v_mul_f64 v[12:13], v[4:5], v[12:13]
	v_fma_f64 v[181:182], v[181:182], v[6:7], v[191:192]
	v_fma_f64 v[179:180], v[179:180], v[6:7], -v[8:9]
	v_add_f64 v[191:192], v[193:194], 0
	v_add_f64 v[193:194], v[195:196], 0
	scratch_load_b128 v[6:9], off, off offset:640
	v_fma_f64 v[197:198], v[4:5], v[10:11], v[197:198]
	v_fma_f64 v[199:200], v[2:3], v[10:11], -v[12:13]
	scratch_load_b128 v[10:13], off, off offset:656
	ds_load_b128 v[2:5], v1 offset:1232
	s_waitcnt vmcnt(10) lgkmcnt(1)
	v_mul_f64 v[195:196], v[187:188], v[16:17]
	v_mul_f64 v[16:17], v[189:190], v[16:17]
	v_add_f64 v[191:192], v[191:192], v[179:180]
	v_add_f64 v[193:194], v[193:194], v[181:182]
	s_waitcnt vmcnt(9) lgkmcnt(0)
	v_mul_f64 v[201:202], v[2:3], v[20:21]
	v_mul_f64 v[20:21], v[4:5], v[20:21]
	ds_load_b128 v[179:182], v1 offset:1248
	v_fma_f64 v[189:190], v[189:190], v[14:15], v[195:196]
	v_fma_f64 v[187:188], v[187:188], v[14:15], -v[16:17]
	scratch_load_b128 v[14:17], off, off offset:672
	v_add_f64 v[191:192], v[191:192], v[199:200]
	v_add_f64 v[193:194], v[193:194], v[197:198]
	v_fma_f64 v[197:198], v[4:5], v[18:19], v[201:202]
	v_fma_f64 v[199:200], v[2:3], v[18:19], -v[20:21]
	scratch_load_b128 v[18:21], off, off offset:688
	ds_load_b128 v[2:5], v1 offset:1264
	s_waitcnt vmcnt(10) lgkmcnt(1)
	v_mul_f64 v[195:196], v[179:180], v[24:25]
	v_mul_f64 v[24:25], v[181:182], v[24:25]
	s_waitcnt vmcnt(9) lgkmcnt(0)
	v_mul_f64 v[201:202], v[2:3], v[28:29]
	v_mul_f64 v[28:29], v[4:5], v[28:29]
	v_add_f64 v[191:192], v[191:192], v[187:188]
	v_add_f64 v[193:194], v[193:194], v[189:190]
	ds_load_b128 v[187:190], v1 offset:1280
	v_fma_f64 v[181:182], v[181:182], v[22:23], v[195:196]
	v_fma_f64 v[22:23], v[179:180], v[22:23], -v[24:25]
	v_add_f64 v[24:25], v[191:192], v[199:200]
	v_add_f64 v[179:180], v[193:194], v[197:198]
	s_waitcnt vmcnt(8) lgkmcnt(0)
	v_mul_f64 v[191:192], v[187:188], v[32:33]
	v_mul_f64 v[32:33], v[189:190], v[32:33]
	v_fma_f64 v[193:194], v[4:5], v[26:27], v[201:202]
	v_fma_f64 v[26:27], v[2:3], v[26:27], -v[28:29]
	v_add_f64 v[28:29], v[24:25], v[22:23]
	v_add_f64 v[179:180], v[179:180], v[181:182]
	ds_load_b128 v[2:5], v1 offset:1296
	ds_load_b128 v[22:25], v1 offset:1312
	v_fma_f64 v[189:190], v[189:190], v[30:31], v[191:192]
	v_fma_f64 v[30:31], v[187:188], v[30:31], -v[32:33]
	s_waitcnt vmcnt(7) lgkmcnt(1)
	v_mul_f64 v[181:182], v[2:3], v[40:41]
	v_mul_f64 v[40:41], v[4:5], v[40:41]
	s_waitcnt vmcnt(5) lgkmcnt(0)
	v_mul_f64 v[32:33], v[22:23], v[185:186]
	v_add_f64 v[26:27], v[28:29], v[26:27]
	v_add_f64 v[28:29], v[179:180], v[193:194]
	v_mul_f64 v[179:180], v[24:25], v[185:186]
	v_fma_f64 v[181:182], v[4:5], v[38:39], v[181:182]
	v_fma_f64 v[38:39], v[2:3], v[38:39], -v[40:41]
	v_fma_f64 v[24:25], v[24:25], v[183:184], v[32:33]
	v_add_f64 v[30:31], v[26:27], v[30:31]
	v_add_f64 v[40:41], v[28:29], v[189:190]
	ds_load_b128 v[2:5], v1 offset:1328
	ds_load_b128 v[26:29], v1 offset:1344
	v_fma_f64 v[22:23], v[22:23], v[183:184], -v[179:180]
	s_waitcnt vmcnt(4) lgkmcnt(1)
	v_mul_f64 v[185:186], v[2:3], v[36:37]
	v_mul_f64 v[36:37], v[4:5], v[36:37]
	v_add_f64 v[30:31], v[30:31], v[38:39]
	v_add_f64 v[32:33], v[40:41], v[181:182]
	s_waitcnt vmcnt(3) lgkmcnt(0)
	v_mul_f64 v[38:39], v[26:27], v[8:9]
	v_mul_f64 v[8:9], v[28:29], v[8:9]
	v_fma_f64 v[40:41], v[4:5], v[34:35], v[185:186]
	v_fma_f64 v[34:35], v[2:3], v[34:35], -v[36:37]
	v_add_f64 v[30:31], v[30:31], v[22:23]
	v_add_f64 v[32:33], v[32:33], v[24:25]
	ds_load_b128 v[2:5], v1 offset:1360
	ds_load_b128 v[22:25], v1 offset:1376
	v_fma_f64 v[28:29], v[28:29], v[6:7], v[38:39]
	v_fma_f64 v[6:7], v[26:27], v[6:7], -v[8:9]
	s_waitcnt vmcnt(2) lgkmcnt(1)
	v_mul_f64 v[36:37], v[2:3], v[12:13]
	v_mul_f64 v[12:13], v[4:5], v[12:13]
	v_add_f64 v[8:9], v[30:31], v[34:35]
	v_add_f64 v[26:27], v[32:33], v[40:41]
	s_waitcnt vmcnt(1) lgkmcnt(0)
	v_mul_f64 v[30:31], v[22:23], v[16:17]
	v_mul_f64 v[16:17], v[24:25], v[16:17]
	v_fma_f64 v[32:33], v[4:5], v[10:11], v[36:37]
	v_fma_f64 v[10:11], v[2:3], v[10:11], -v[12:13]
	ds_load_b128 v[2:5], v1 offset:1392
	v_add_f64 v[6:7], v[8:9], v[6:7]
	v_add_f64 v[8:9], v[26:27], v[28:29]
	v_fma_f64 v[24:25], v[24:25], v[14:15], v[30:31]
	v_fma_f64 v[14:15], v[22:23], v[14:15], -v[16:17]
	s_waitcnt vmcnt(0) lgkmcnt(0)
	v_mul_f64 v[12:13], v[2:3], v[20:21]
	v_mul_f64 v[20:21], v[4:5], v[20:21]
	v_add_f64 v[6:7], v[6:7], v[10:11]
	v_add_f64 v[8:9], v[8:9], v[32:33]
	s_delay_alu instid0(VALU_DEP_4) | instskip(NEXT) | instid1(VALU_DEP_4)
	v_fma_f64 v[4:5], v[4:5], v[18:19], v[12:13]
	v_fma_f64 v[2:3], v[2:3], v[18:19], -v[20:21]
	s_delay_alu instid0(VALU_DEP_4) | instskip(NEXT) | instid1(VALU_DEP_4)
	v_add_f64 v[6:7], v[6:7], v[14:15]
	v_add_f64 v[8:9], v[8:9], v[24:25]
	s_delay_alu instid0(VALU_DEP_2) | instskip(NEXT) | instid1(VALU_DEP_2)
	v_add_f64 v[2:3], v[6:7], v[2:3]
	v_add_f64 v[4:5], v[8:9], v[4:5]
	s_delay_alu instid0(VALU_DEP_2) | instskip(NEXT) | instid1(VALU_DEP_2)
	v_add_f64 v[2:3], v[42:43], -v[2:3]
	v_add_f64 v[4:5], v[44:45], -v[4:5]
	scratch_store_b128 off, v[2:5], off offset:448
	v_cmpx_lt_u32_e32 27, v134
	s_cbranch_execz .LBB43_223
; %bb.222:
	scratch_load_b128 v[5:8], v149, off
	v_mov_b32_e32 v2, v1
	v_mov_b32_e32 v3, v1
	;; [unrolled: 1-line block ×3, first 2 shown]
	scratch_store_b128 off, v[1:4], off offset:432
	s_waitcnt vmcnt(0)
	ds_store_b128 v178, v[5:8]
.LBB43_223:
	s_or_b32 exec_lo, exec_lo, s2
	s_waitcnt lgkmcnt(0)
	s_waitcnt_vscnt null, 0x0
	s_barrier
	buffer_gl0_inv
	s_clause 0x8
	scratch_load_b128 v[2:5], off, off offset:448
	scratch_load_b128 v[6:9], off, off offset:464
	;; [unrolled: 1-line block ×9, first 2 shown]
	ds_load_b128 v[38:41], v1 offset:1152
	ds_load_b128 v[42:45], v1 offset:1168
	s_clause 0x1
	scratch_load_b128 v[179:182], off, off offset:432
	scratch_load_b128 v[183:186], off, off offset:592
	s_mov_b32 s2, exec_lo
	s_waitcnt vmcnt(10) lgkmcnt(1)
	v_mul_f64 v[187:188], v[40:41], v[4:5]
	v_mul_f64 v[4:5], v[38:39], v[4:5]
	s_waitcnt vmcnt(9) lgkmcnt(0)
	v_mul_f64 v[191:192], v[42:43], v[8:9]
	v_mul_f64 v[8:9], v[44:45], v[8:9]
	s_delay_alu instid0(VALU_DEP_4) | instskip(NEXT) | instid1(VALU_DEP_4)
	v_fma_f64 v[193:194], v[38:39], v[2:3], -v[187:188]
	v_fma_f64 v[195:196], v[40:41], v[2:3], v[4:5]
	ds_load_b128 v[2:5], v1 offset:1184
	ds_load_b128 v[187:190], v1 offset:1200
	scratch_load_b128 v[38:41], off, off offset:608
	v_fma_f64 v[44:45], v[44:45], v[6:7], v[191:192]
	v_fma_f64 v[42:43], v[42:43], v[6:7], -v[8:9]
	scratch_load_b128 v[6:9], off, off offset:624
	s_waitcnt vmcnt(10) lgkmcnt(1)
	v_mul_f64 v[197:198], v[2:3], v[12:13]
	v_mul_f64 v[12:13], v[4:5], v[12:13]
	v_add_f64 v[191:192], v[193:194], 0
	v_add_f64 v[193:194], v[195:196], 0
	s_waitcnt vmcnt(9) lgkmcnt(0)
	v_mul_f64 v[195:196], v[187:188], v[16:17]
	v_mul_f64 v[16:17], v[189:190], v[16:17]
	v_fma_f64 v[197:198], v[4:5], v[10:11], v[197:198]
	v_fma_f64 v[199:200], v[2:3], v[10:11], -v[12:13]
	ds_load_b128 v[2:5], v1 offset:1216
	scratch_load_b128 v[10:13], off, off offset:640
	v_add_f64 v[191:192], v[191:192], v[42:43]
	v_add_f64 v[193:194], v[193:194], v[44:45]
	ds_load_b128 v[42:45], v1 offset:1232
	v_fma_f64 v[189:190], v[189:190], v[14:15], v[195:196]
	v_fma_f64 v[187:188], v[187:188], v[14:15], -v[16:17]
	scratch_load_b128 v[14:17], off, off offset:656
	s_waitcnt vmcnt(10) lgkmcnt(1)
	v_mul_f64 v[201:202], v[2:3], v[20:21]
	v_mul_f64 v[20:21], v[4:5], v[20:21]
	s_waitcnt vmcnt(9) lgkmcnt(0)
	v_mul_f64 v[195:196], v[42:43], v[24:25]
	v_mul_f64 v[24:25], v[44:45], v[24:25]
	v_add_f64 v[191:192], v[191:192], v[199:200]
	v_add_f64 v[193:194], v[193:194], v[197:198]
	v_fma_f64 v[197:198], v[4:5], v[18:19], v[201:202]
	v_fma_f64 v[199:200], v[2:3], v[18:19], -v[20:21]
	ds_load_b128 v[2:5], v1 offset:1248
	scratch_load_b128 v[18:21], off, off offset:672
	v_fma_f64 v[44:45], v[44:45], v[22:23], v[195:196]
	v_fma_f64 v[42:43], v[42:43], v[22:23], -v[24:25]
	scratch_load_b128 v[22:25], off, off offset:688
	v_add_f64 v[191:192], v[191:192], v[187:188]
	v_add_f64 v[193:194], v[193:194], v[189:190]
	ds_load_b128 v[187:190], v1 offset:1264
	s_waitcnt vmcnt(10) lgkmcnt(1)
	v_mul_f64 v[201:202], v[2:3], v[28:29]
	v_mul_f64 v[28:29], v[4:5], v[28:29]
	s_waitcnt vmcnt(9) lgkmcnt(0)
	v_mul_f64 v[195:196], v[187:188], v[32:33]
	v_mul_f64 v[32:33], v[189:190], v[32:33]
	v_add_f64 v[191:192], v[191:192], v[199:200]
	v_add_f64 v[193:194], v[193:194], v[197:198]
	v_fma_f64 v[197:198], v[4:5], v[26:27], v[201:202]
	v_fma_f64 v[199:200], v[2:3], v[26:27], -v[28:29]
	ds_load_b128 v[2:5], v1 offset:1280
	ds_load_b128 v[26:29], v1 offset:1296
	v_fma_f64 v[189:190], v[189:190], v[30:31], v[195:196]
	v_fma_f64 v[30:31], v[187:188], v[30:31], -v[32:33]
	v_add_f64 v[42:43], v[191:192], v[42:43]
	v_add_f64 v[44:45], v[193:194], v[44:45]
	s_waitcnt vmcnt(8) lgkmcnt(1)
	v_mul_f64 v[191:192], v[2:3], v[36:37]
	v_mul_f64 v[36:37], v[4:5], v[36:37]
	s_delay_alu instid0(VALU_DEP_4) | instskip(NEXT) | instid1(VALU_DEP_4)
	v_add_f64 v[32:33], v[42:43], v[199:200]
	v_add_f64 v[42:43], v[44:45], v[197:198]
	s_waitcnt vmcnt(6) lgkmcnt(0)
	v_mul_f64 v[44:45], v[26:27], v[185:186]
	v_mul_f64 v[185:186], v[28:29], v[185:186]
	v_fma_f64 v[187:188], v[4:5], v[34:35], v[191:192]
	v_fma_f64 v[34:35], v[2:3], v[34:35], -v[36:37]
	v_add_f64 v[36:37], v[32:33], v[30:31]
	v_add_f64 v[42:43], v[42:43], v[189:190]
	ds_load_b128 v[2:5], v1 offset:1312
	ds_load_b128 v[30:33], v1 offset:1328
	v_fma_f64 v[28:29], v[28:29], v[183:184], v[44:45]
	v_fma_f64 v[26:27], v[26:27], v[183:184], -v[185:186]
	s_waitcnt vmcnt(5) lgkmcnt(1)
	v_mul_f64 v[189:190], v[2:3], v[40:41]
	v_mul_f64 v[40:41], v[4:5], v[40:41]
	v_add_f64 v[34:35], v[36:37], v[34:35]
	v_add_f64 v[36:37], v[42:43], v[187:188]
	s_waitcnt vmcnt(4) lgkmcnt(0)
	v_mul_f64 v[42:43], v[30:31], v[8:9]
	v_mul_f64 v[8:9], v[32:33], v[8:9]
	v_fma_f64 v[44:45], v[4:5], v[38:39], v[189:190]
	v_fma_f64 v[38:39], v[2:3], v[38:39], -v[40:41]
	v_add_f64 v[34:35], v[34:35], v[26:27]
	v_add_f64 v[36:37], v[36:37], v[28:29]
	ds_load_b128 v[2:5], v1 offset:1344
	ds_load_b128 v[26:29], v1 offset:1360
	v_fma_f64 v[32:33], v[32:33], v[6:7], v[42:43]
	v_fma_f64 v[6:7], v[30:31], v[6:7], -v[8:9]
	s_waitcnt vmcnt(3) lgkmcnt(1)
	v_mul_f64 v[40:41], v[2:3], v[12:13]
	v_mul_f64 v[12:13], v[4:5], v[12:13]
	;; [unrolled: 16-line block ×3, first 2 shown]
	s_waitcnt vmcnt(0) lgkmcnt(0)
	v_mul_f64 v[16:17], v[6:7], v[24:25]
	v_mul_f64 v[24:25], v[8:9], v[24:25]
	v_add_f64 v[10:11], v[12:13], v[10:11]
	v_add_f64 v[12:13], v[30:31], v[36:37]
	v_fma_f64 v[4:5], v[4:5], v[18:19], v[32:33]
	v_fma_f64 v[1:2], v[2:3], v[18:19], -v[20:21]
	v_fma_f64 v[8:9], v[8:9], v[22:23], v[16:17]
	v_fma_f64 v[6:7], v[6:7], v[22:23], -v[24:25]
	v_add_f64 v[10:11], v[10:11], v[14:15]
	v_add_f64 v[12:13], v[12:13], v[28:29]
	s_delay_alu instid0(VALU_DEP_2) | instskip(NEXT) | instid1(VALU_DEP_2)
	v_add_f64 v[1:2], v[10:11], v[1:2]
	v_add_f64 v[3:4], v[12:13], v[4:5]
	s_delay_alu instid0(VALU_DEP_2) | instskip(NEXT) | instid1(VALU_DEP_2)
	;; [unrolled: 3-line block ×3, first 2 shown]
	v_add_f64 v[1:2], v[179:180], -v[1:2]
	v_add_f64 v[3:4], v[181:182], -v[3:4]
	scratch_store_b128 off, v[1:4], off offset:432
	v_cmpx_lt_u32_e32 26, v134
	s_cbranch_execz .LBB43_225
; %bb.224:
	scratch_load_b128 v[1:4], v150, off
	v_mov_b32_e32 v5, 0
	s_delay_alu instid0(VALU_DEP_1)
	v_mov_b32_e32 v6, v5
	v_mov_b32_e32 v7, v5
	;; [unrolled: 1-line block ×3, first 2 shown]
	scratch_store_b128 off, v[5:8], off offset:416
	s_waitcnt vmcnt(0)
	ds_store_b128 v178, v[1:4]
.LBB43_225:
	s_or_b32 exec_lo, exec_lo, s2
	s_waitcnt lgkmcnt(0)
	s_waitcnt_vscnt null, 0x0
	s_barrier
	buffer_gl0_inv
	s_clause 0x7
	scratch_load_b128 v[2:5], off, off offset:432
	scratch_load_b128 v[6:9], off, off offset:448
	;; [unrolled: 1-line block ×8, first 2 shown]
	v_mov_b32_e32 v1, 0
	s_mov_b32 s2, exec_lo
	ds_load_b128 v[34:37], v1 offset:1136
	s_clause 0x1
	scratch_load_b128 v[38:41], off, off offset:560
	scratch_load_b128 v[42:45], off, off offset:416
	ds_load_b128 v[179:182], v1 offset:1152
	scratch_load_b128 v[183:186], off, off offset:576
	s_waitcnt vmcnt(10) lgkmcnt(1)
	v_mul_f64 v[187:188], v[36:37], v[4:5]
	v_mul_f64 v[4:5], v[34:35], v[4:5]
	s_delay_alu instid0(VALU_DEP_2) | instskip(NEXT) | instid1(VALU_DEP_2)
	v_fma_f64 v[193:194], v[34:35], v[2:3], -v[187:188]
	v_fma_f64 v[195:196], v[36:37], v[2:3], v[4:5]
	scratch_load_b128 v[34:37], off, off offset:592
	ds_load_b128 v[2:5], v1 offset:1168
	s_waitcnt vmcnt(10) lgkmcnt(1)
	v_mul_f64 v[191:192], v[179:180], v[8:9]
	v_mul_f64 v[8:9], v[181:182], v[8:9]
	ds_load_b128 v[187:190], v1 offset:1184
	s_waitcnt vmcnt(9) lgkmcnt(1)
	v_mul_f64 v[197:198], v[2:3], v[12:13]
	v_mul_f64 v[12:13], v[4:5], v[12:13]
	v_fma_f64 v[181:182], v[181:182], v[6:7], v[191:192]
	v_fma_f64 v[179:180], v[179:180], v[6:7], -v[8:9]
	v_add_f64 v[191:192], v[193:194], 0
	v_add_f64 v[193:194], v[195:196], 0
	scratch_load_b128 v[6:9], off, off offset:608
	v_fma_f64 v[197:198], v[4:5], v[10:11], v[197:198]
	v_fma_f64 v[199:200], v[2:3], v[10:11], -v[12:13]
	scratch_load_b128 v[10:13], off, off offset:624
	ds_load_b128 v[2:5], v1 offset:1200
	s_waitcnt vmcnt(10) lgkmcnt(1)
	v_mul_f64 v[195:196], v[187:188], v[16:17]
	v_mul_f64 v[16:17], v[189:190], v[16:17]
	v_add_f64 v[191:192], v[191:192], v[179:180]
	v_add_f64 v[193:194], v[193:194], v[181:182]
	s_waitcnt vmcnt(9) lgkmcnt(0)
	v_mul_f64 v[201:202], v[2:3], v[20:21]
	v_mul_f64 v[20:21], v[4:5], v[20:21]
	ds_load_b128 v[179:182], v1 offset:1216
	v_fma_f64 v[189:190], v[189:190], v[14:15], v[195:196]
	v_fma_f64 v[187:188], v[187:188], v[14:15], -v[16:17]
	scratch_load_b128 v[14:17], off, off offset:640
	v_add_f64 v[191:192], v[191:192], v[199:200]
	v_add_f64 v[193:194], v[193:194], v[197:198]
	v_fma_f64 v[197:198], v[4:5], v[18:19], v[201:202]
	v_fma_f64 v[199:200], v[2:3], v[18:19], -v[20:21]
	scratch_load_b128 v[18:21], off, off offset:656
	ds_load_b128 v[2:5], v1 offset:1232
	s_waitcnt vmcnt(10) lgkmcnt(1)
	v_mul_f64 v[195:196], v[179:180], v[24:25]
	v_mul_f64 v[24:25], v[181:182], v[24:25]
	s_waitcnt vmcnt(9) lgkmcnt(0)
	v_mul_f64 v[201:202], v[2:3], v[28:29]
	v_mul_f64 v[28:29], v[4:5], v[28:29]
	v_add_f64 v[191:192], v[191:192], v[187:188]
	v_add_f64 v[193:194], v[193:194], v[189:190]
	ds_load_b128 v[187:190], v1 offset:1248
	v_fma_f64 v[181:182], v[181:182], v[22:23], v[195:196]
	v_fma_f64 v[179:180], v[179:180], v[22:23], -v[24:25]
	scratch_load_b128 v[22:25], off, off offset:672
	v_add_f64 v[191:192], v[191:192], v[199:200]
	v_add_f64 v[193:194], v[193:194], v[197:198]
	v_fma_f64 v[197:198], v[4:5], v[26:27], v[201:202]
	v_fma_f64 v[199:200], v[2:3], v[26:27], -v[28:29]
	scratch_load_b128 v[26:29], off, off offset:688
	ds_load_b128 v[2:5], v1 offset:1264
	s_waitcnt vmcnt(10) lgkmcnt(1)
	v_mul_f64 v[195:196], v[187:188], v[32:33]
	v_mul_f64 v[32:33], v[189:190], v[32:33]
	s_waitcnt vmcnt(9) lgkmcnt(0)
	v_mul_f64 v[201:202], v[2:3], v[40:41]
	v_mul_f64 v[40:41], v[4:5], v[40:41]
	v_add_f64 v[191:192], v[191:192], v[179:180]
	v_add_f64 v[193:194], v[193:194], v[181:182]
	ds_load_b128 v[179:182], v1 offset:1280
	v_fma_f64 v[189:190], v[189:190], v[30:31], v[195:196]
	v_fma_f64 v[30:31], v[187:188], v[30:31], -v[32:33]
	v_add_f64 v[32:33], v[191:192], v[199:200]
	v_add_f64 v[187:188], v[193:194], v[197:198]
	s_waitcnt vmcnt(7) lgkmcnt(0)
	v_mul_f64 v[191:192], v[179:180], v[185:186]
	v_mul_f64 v[185:186], v[181:182], v[185:186]
	v_fma_f64 v[193:194], v[4:5], v[38:39], v[201:202]
	v_fma_f64 v[38:39], v[2:3], v[38:39], -v[40:41]
	v_add_f64 v[40:41], v[32:33], v[30:31]
	v_add_f64 v[187:188], v[187:188], v[189:190]
	ds_load_b128 v[2:5], v1 offset:1296
	ds_load_b128 v[30:33], v1 offset:1312
	v_fma_f64 v[181:182], v[181:182], v[183:184], v[191:192]
	v_fma_f64 v[179:180], v[179:180], v[183:184], -v[185:186]
	s_waitcnt vmcnt(6) lgkmcnt(1)
	v_mul_f64 v[189:190], v[2:3], v[36:37]
	v_mul_f64 v[36:37], v[4:5], v[36:37]
	v_add_f64 v[38:39], v[40:41], v[38:39]
	v_add_f64 v[40:41], v[187:188], v[193:194]
	s_waitcnt vmcnt(5) lgkmcnt(0)
	v_mul_f64 v[183:184], v[30:31], v[8:9]
	v_mul_f64 v[8:9], v[32:33], v[8:9]
	v_fma_f64 v[185:186], v[4:5], v[34:35], v[189:190]
	v_fma_f64 v[187:188], v[2:3], v[34:35], -v[36:37]
	ds_load_b128 v[2:5], v1 offset:1328
	ds_load_b128 v[34:37], v1 offset:1344
	v_add_f64 v[38:39], v[38:39], v[179:180]
	v_add_f64 v[40:41], v[40:41], v[181:182]
	s_waitcnt vmcnt(4) lgkmcnt(1)
	v_mul_f64 v[179:180], v[2:3], v[12:13]
	v_mul_f64 v[12:13], v[4:5], v[12:13]
	v_fma_f64 v[32:33], v[32:33], v[6:7], v[183:184]
	v_fma_f64 v[6:7], v[30:31], v[6:7], -v[8:9]
	v_add_f64 v[8:9], v[38:39], v[187:188]
	v_add_f64 v[30:31], v[40:41], v[185:186]
	s_waitcnt vmcnt(3) lgkmcnt(0)
	v_mul_f64 v[38:39], v[34:35], v[16:17]
	v_mul_f64 v[16:17], v[36:37], v[16:17]
	v_fma_f64 v[40:41], v[4:5], v[10:11], v[179:180]
	v_fma_f64 v[10:11], v[2:3], v[10:11], -v[12:13]
	v_add_f64 v[12:13], v[8:9], v[6:7]
	v_add_f64 v[30:31], v[30:31], v[32:33]
	ds_load_b128 v[2:5], v1 offset:1360
	ds_load_b128 v[6:9], v1 offset:1376
	v_fma_f64 v[36:37], v[36:37], v[14:15], v[38:39]
	v_fma_f64 v[14:15], v[34:35], v[14:15], -v[16:17]
	s_waitcnt vmcnt(2) lgkmcnt(1)
	v_mul_f64 v[32:33], v[2:3], v[20:21]
	v_mul_f64 v[20:21], v[4:5], v[20:21]
	s_waitcnt vmcnt(1) lgkmcnt(0)
	v_mul_f64 v[16:17], v[6:7], v[24:25]
	v_mul_f64 v[24:25], v[8:9], v[24:25]
	v_add_f64 v[10:11], v[12:13], v[10:11]
	v_add_f64 v[12:13], v[30:31], v[40:41]
	v_fma_f64 v[30:31], v[4:5], v[18:19], v[32:33]
	v_fma_f64 v[18:19], v[2:3], v[18:19], -v[20:21]
	ds_load_b128 v[2:5], v1 offset:1392
	v_fma_f64 v[8:9], v[8:9], v[22:23], v[16:17]
	v_fma_f64 v[6:7], v[6:7], v[22:23], -v[24:25]
	v_add_f64 v[10:11], v[10:11], v[14:15]
	v_add_f64 v[12:13], v[12:13], v[36:37]
	s_waitcnt vmcnt(0) lgkmcnt(0)
	v_mul_f64 v[14:15], v[2:3], v[28:29]
	v_mul_f64 v[20:21], v[4:5], v[28:29]
	s_delay_alu instid0(VALU_DEP_4) | instskip(NEXT) | instid1(VALU_DEP_4)
	v_add_f64 v[10:11], v[10:11], v[18:19]
	v_add_f64 v[12:13], v[12:13], v[30:31]
	s_delay_alu instid0(VALU_DEP_4) | instskip(NEXT) | instid1(VALU_DEP_4)
	v_fma_f64 v[4:5], v[4:5], v[26:27], v[14:15]
	v_fma_f64 v[2:3], v[2:3], v[26:27], -v[20:21]
	s_delay_alu instid0(VALU_DEP_4) | instskip(NEXT) | instid1(VALU_DEP_4)
	v_add_f64 v[6:7], v[10:11], v[6:7]
	v_add_f64 v[8:9], v[12:13], v[8:9]
	s_delay_alu instid0(VALU_DEP_2) | instskip(NEXT) | instid1(VALU_DEP_2)
	v_add_f64 v[2:3], v[6:7], v[2:3]
	v_add_f64 v[4:5], v[8:9], v[4:5]
	s_delay_alu instid0(VALU_DEP_2) | instskip(NEXT) | instid1(VALU_DEP_2)
	v_add_f64 v[2:3], v[42:43], -v[2:3]
	v_add_f64 v[4:5], v[44:45], -v[4:5]
	scratch_store_b128 off, v[2:5], off offset:416
	v_cmpx_lt_u32_e32 25, v134
	s_cbranch_execz .LBB43_227
; %bb.226:
	scratch_load_b128 v[5:8], v152, off
	v_mov_b32_e32 v2, v1
	v_mov_b32_e32 v3, v1
	;; [unrolled: 1-line block ×3, first 2 shown]
	scratch_store_b128 off, v[1:4], off offset:400
	s_waitcnt vmcnt(0)
	ds_store_b128 v178, v[5:8]
.LBB43_227:
	s_or_b32 exec_lo, exec_lo, s2
	s_waitcnt lgkmcnt(0)
	s_waitcnt_vscnt null, 0x0
	s_barrier
	buffer_gl0_inv
	s_clause 0x8
	scratch_load_b128 v[2:5], off, off offset:416
	scratch_load_b128 v[6:9], off, off offset:432
	scratch_load_b128 v[10:13], off, off offset:448
	scratch_load_b128 v[14:17], off, off offset:464
	scratch_load_b128 v[18:21], off, off offset:480
	scratch_load_b128 v[22:25], off, off offset:496
	scratch_load_b128 v[26:29], off, off offset:512
	scratch_load_b128 v[30:33], off, off offset:528
	scratch_load_b128 v[34:37], off, off offset:544
	ds_load_b128 v[38:41], v1 offset:1120
	ds_load_b128 v[42:45], v1 offset:1136
	s_clause 0x1
	scratch_load_b128 v[179:182], off, off offset:400
	scratch_load_b128 v[183:186], off, off offset:560
	s_mov_b32 s2, exec_lo
	s_waitcnt vmcnt(10) lgkmcnt(1)
	v_mul_f64 v[187:188], v[40:41], v[4:5]
	v_mul_f64 v[4:5], v[38:39], v[4:5]
	s_waitcnt vmcnt(9) lgkmcnt(0)
	v_mul_f64 v[191:192], v[42:43], v[8:9]
	v_mul_f64 v[8:9], v[44:45], v[8:9]
	s_delay_alu instid0(VALU_DEP_4) | instskip(NEXT) | instid1(VALU_DEP_4)
	v_fma_f64 v[193:194], v[38:39], v[2:3], -v[187:188]
	v_fma_f64 v[195:196], v[40:41], v[2:3], v[4:5]
	ds_load_b128 v[2:5], v1 offset:1152
	ds_load_b128 v[187:190], v1 offset:1168
	scratch_load_b128 v[38:41], off, off offset:576
	v_fma_f64 v[44:45], v[44:45], v[6:7], v[191:192]
	v_fma_f64 v[42:43], v[42:43], v[6:7], -v[8:9]
	scratch_load_b128 v[6:9], off, off offset:592
	s_waitcnt vmcnt(10) lgkmcnt(1)
	v_mul_f64 v[197:198], v[2:3], v[12:13]
	v_mul_f64 v[12:13], v[4:5], v[12:13]
	v_add_f64 v[191:192], v[193:194], 0
	v_add_f64 v[193:194], v[195:196], 0
	s_waitcnt vmcnt(9) lgkmcnt(0)
	v_mul_f64 v[195:196], v[187:188], v[16:17]
	v_mul_f64 v[16:17], v[189:190], v[16:17]
	v_fma_f64 v[197:198], v[4:5], v[10:11], v[197:198]
	v_fma_f64 v[199:200], v[2:3], v[10:11], -v[12:13]
	ds_load_b128 v[2:5], v1 offset:1184
	scratch_load_b128 v[10:13], off, off offset:608
	v_add_f64 v[191:192], v[191:192], v[42:43]
	v_add_f64 v[193:194], v[193:194], v[44:45]
	ds_load_b128 v[42:45], v1 offset:1200
	v_fma_f64 v[189:190], v[189:190], v[14:15], v[195:196]
	v_fma_f64 v[187:188], v[187:188], v[14:15], -v[16:17]
	scratch_load_b128 v[14:17], off, off offset:624
	s_waitcnt vmcnt(10) lgkmcnt(1)
	v_mul_f64 v[201:202], v[2:3], v[20:21]
	v_mul_f64 v[20:21], v[4:5], v[20:21]
	s_waitcnt vmcnt(9) lgkmcnt(0)
	v_mul_f64 v[195:196], v[42:43], v[24:25]
	v_mul_f64 v[24:25], v[44:45], v[24:25]
	v_add_f64 v[191:192], v[191:192], v[199:200]
	v_add_f64 v[193:194], v[193:194], v[197:198]
	v_fma_f64 v[197:198], v[4:5], v[18:19], v[201:202]
	v_fma_f64 v[199:200], v[2:3], v[18:19], -v[20:21]
	ds_load_b128 v[2:5], v1 offset:1216
	scratch_load_b128 v[18:21], off, off offset:640
	v_fma_f64 v[44:45], v[44:45], v[22:23], v[195:196]
	v_fma_f64 v[42:43], v[42:43], v[22:23], -v[24:25]
	scratch_load_b128 v[22:25], off, off offset:656
	v_add_f64 v[191:192], v[191:192], v[187:188]
	v_add_f64 v[193:194], v[193:194], v[189:190]
	ds_load_b128 v[187:190], v1 offset:1232
	s_waitcnt vmcnt(10) lgkmcnt(1)
	v_mul_f64 v[201:202], v[2:3], v[28:29]
	v_mul_f64 v[28:29], v[4:5], v[28:29]
	s_waitcnt vmcnt(9) lgkmcnt(0)
	v_mul_f64 v[195:196], v[187:188], v[32:33]
	v_mul_f64 v[32:33], v[189:190], v[32:33]
	v_add_f64 v[191:192], v[191:192], v[199:200]
	v_add_f64 v[193:194], v[193:194], v[197:198]
	v_fma_f64 v[197:198], v[4:5], v[26:27], v[201:202]
	v_fma_f64 v[199:200], v[2:3], v[26:27], -v[28:29]
	ds_load_b128 v[2:5], v1 offset:1248
	scratch_load_b128 v[26:29], off, off offset:672
	v_fma_f64 v[189:190], v[189:190], v[30:31], v[195:196]
	v_fma_f64 v[187:188], v[187:188], v[30:31], -v[32:33]
	scratch_load_b128 v[30:33], off, off offset:688
	v_add_f64 v[191:192], v[191:192], v[42:43]
	v_add_f64 v[193:194], v[193:194], v[44:45]
	ds_load_b128 v[42:45], v1 offset:1264
	s_waitcnt vmcnt(10) lgkmcnt(1)
	v_mul_f64 v[201:202], v[2:3], v[36:37]
	v_mul_f64 v[36:37], v[4:5], v[36:37]
	s_waitcnt vmcnt(8) lgkmcnt(0)
	v_mul_f64 v[195:196], v[42:43], v[185:186]
	v_mul_f64 v[185:186], v[44:45], v[185:186]
	v_add_f64 v[191:192], v[191:192], v[199:200]
	v_add_f64 v[193:194], v[193:194], v[197:198]
	v_fma_f64 v[197:198], v[4:5], v[34:35], v[201:202]
	v_fma_f64 v[199:200], v[2:3], v[34:35], -v[36:37]
	ds_load_b128 v[2:5], v1 offset:1280
	ds_load_b128 v[34:37], v1 offset:1296
	v_fma_f64 v[44:45], v[44:45], v[183:184], v[195:196]
	v_fma_f64 v[42:43], v[42:43], v[183:184], -v[185:186]
	v_add_f64 v[187:188], v[191:192], v[187:188]
	v_add_f64 v[189:190], v[193:194], v[189:190]
	s_waitcnt vmcnt(7) lgkmcnt(1)
	v_mul_f64 v[191:192], v[2:3], v[40:41]
	v_mul_f64 v[40:41], v[4:5], v[40:41]
	s_delay_alu instid0(VALU_DEP_4) | instskip(NEXT) | instid1(VALU_DEP_4)
	v_add_f64 v[183:184], v[187:188], v[199:200]
	v_add_f64 v[185:186], v[189:190], v[197:198]
	s_waitcnt vmcnt(6) lgkmcnt(0)
	v_mul_f64 v[187:188], v[34:35], v[8:9]
	v_mul_f64 v[8:9], v[36:37], v[8:9]
	v_fma_f64 v[189:190], v[4:5], v[38:39], v[191:192]
	v_fma_f64 v[191:192], v[2:3], v[38:39], -v[40:41]
	ds_load_b128 v[2:5], v1 offset:1312
	ds_load_b128 v[38:41], v1 offset:1328
	v_add_f64 v[42:43], v[183:184], v[42:43]
	v_add_f64 v[44:45], v[185:186], v[44:45]
	v_fma_f64 v[36:37], v[36:37], v[6:7], v[187:188]
	s_waitcnt vmcnt(5) lgkmcnt(1)
	v_mul_f64 v[183:184], v[2:3], v[12:13]
	v_mul_f64 v[12:13], v[4:5], v[12:13]
	v_fma_f64 v[6:7], v[34:35], v[6:7], -v[8:9]
	v_add_f64 v[8:9], v[42:43], v[191:192]
	v_add_f64 v[34:35], v[44:45], v[189:190]
	s_waitcnt vmcnt(4) lgkmcnt(0)
	v_mul_f64 v[42:43], v[38:39], v[16:17]
	v_mul_f64 v[16:17], v[40:41], v[16:17]
	v_fma_f64 v[44:45], v[4:5], v[10:11], v[183:184]
	v_fma_f64 v[10:11], v[2:3], v[10:11], -v[12:13]
	v_add_f64 v[12:13], v[8:9], v[6:7]
	v_add_f64 v[34:35], v[34:35], v[36:37]
	ds_load_b128 v[2:5], v1 offset:1344
	ds_load_b128 v[6:9], v1 offset:1360
	v_fma_f64 v[40:41], v[40:41], v[14:15], v[42:43]
	v_fma_f64 v[14:15], v[38:39], v[14:15], -v[16:17]
	s_waitcnt vmcnt(3) lgkmcnt(1)
	v_mul_f64 v[36:37], v[2:3], v[20:21]
	v_mul_f64 v[20:21], v[4:5], v[20:21]
	s_waitcnt vmcnt(2) lgkmcnt(0)
	v_mul_f64 v[16:17], v[6:7], v[24:25]
	v_mul_f64 v[24:25], v[8:9], v[24:25]
	v_add_f64 v[10:11], v[12:13], v[10:11]
	v_add_f64 v[12:13], v[34:35], v[44:45]
	v_fma_f64 v[34:35], v[4:5], v[18:19], v[36:37]
	v_fma_f64 v[18:19], v[2:3], v[18:19], -v[20:21]
	v_fma_f64 v[8:9], v[8:9], v[22:23], v[16:17]
	v_fma_f64 v[6:7], v[6:7], v[22:23], -v[24:25]
	v_add_f64 v[14:15], v[10:11], v[14:15]
	v_add_f64 v[20:21], v[12:13], v[40:41]
	ds_load_b128 v[2:5], v1 offset:1376
	ds_load_b128 v[10:13], v1 offset:1392
	s_waitcnt vmcnt(1) lgkmcnt(1)
	v_mul_f64 v[36:37], v[2:3], v[28:29]
	v_mul_f64 v[28:29], v[4:5], v[28:29]
	v_add_f64 v[14:15], v[14:15], v[18:19]
	v_add_f64 v[16:17], v[20:21], v[34:35]
	s_waitcnt vmcnt(0) lgkmcnt(0)
	v_mul_f64 v[18:19], v[10:11], v[32:33]
	v_mul_f64 v[20:21], v[12:13], v[32:33]
	v_fma_f64 v[4:5], v[4:5], v[26:27], v[36:37]
	v_fma_f64 v[1:2], v[2:3], v[26:27], -v[28:29]
	v_add_f64 v[6:7], v[14:15], v[6:7]
	v_add_f64 v[8:9], v[16:17], v[8:9]
	v_fma_f64 v[12:13], v[12:13], v[30:31], v[18:19]
	v_fma_f64 v[10:11], v[10:11], v[30:31], -v[20:21]
	s_delay_alu instid0(VALU_DEP_4) | instskip(NEXT) | instid1(VALU_DEP_4)
	v_add_f64 v[1:2], v[6:7], v[1:2]
	v_add_f64 v[3:4], v[8:9], v[4:5]
	s_delay_alu instid0(VALU_DEP_2) | instskip(NEXT) | instid1(VALU_DEP_2)
	v_add_f64 v[1:2], v[1:2], v[10:11]
	v_add_f64 v[3:4], v[3:4], v[12:13]
	s_delay_alu instid0(VALU_DEP_2) | instskip(NEXT) | instid1(VALU_DEP_2)
	v_add_f64 v[1:2], v[179:180], -v[1:2]
	v_add_f64 v[3:4], v[181:182], -v[3:4]
	scratch_store_b128 off, v[1:4], off offset:400
	v_cmpx_lt_u32_e32 24, v134
	s_cbranch_execz .LBB43_229
; %bb.228:
	scratch_load_b128 v[1:4], v154, off
	v_mov_b32_e32 v5, 0
	s_delay_alu instid0(VALU_DEP_1)
	v_mov_b32_e32 v6, v5
	v_mov_b32_e32 v7, v5
	;; [unrolled: 1-line block ×3, first 2 shown]
	scratch_store_b128 off, v[5:8], off offset:384
	s_waitcnt vmcnt(0)
	ds_store_b128 v178, v[1:4]
.LBB43_229:
	s_or_b32 exec_lo, exec_lo, s2
	s_waitcnt lgkmcnt(0)
	s_waitcnt_vscnt null, 0x0
	s_barrier
	buffer_gl0_inv
	s_clause 0x7
	scratch_load_b128 v[2:5], off, off offset:400
	scratch_load_b128 v[6:9], off, off offset:416
	;; [unrolled: 1-line block ×8, first 2 shown]
	v_mov_b32_e32 v1, 0
	s_mov_b32 s2, exec_lo
	ds_load_b128 v[34:37], v1 offset:1104
	s_clause 0x1
	scratch_load_b128 v[38:41], off, off offset:528
	scratch_load_b128 v[42:45], off, off offset:384
	ds_load_b128 v[179:182], v1 offset:1120
	scratch_load_b128 v[183:186], off, off offset:544
	s_waitcnt vmcnt(10) lgkmcnt(1)
	v_mul_f64 v[187:188], v[36:37], v[4:5]
	v_mul_f64 v[4:5], v[34:35], v[4:5]
	s_delay_alu instid0(VALU_DEP_2) | instskip(NEXT) | instid1(VALU_DEP_2)
	v_fma_f64 v[193:194], v[34:35], v[2:3], -v[187:188]
	v_fma_f64 v[195:196], v[36:37], v[2:3], v[4:5]
	scratch_load_b128 v[34:37], off, off offset:560
	ds_load_b128 v[2:5], v1 offset:1136
	s_waitcnt vmcnt(10) lgkmcnt(1)
	v_mul_f64 v[191:192], v[179:180], v[8:9]
	v_mul_f64 v[8:9], v[181:182], v[8:9]
	ds_load_b128 v[187:190], v1 offset:1152
	s_waitcnt vmcnt(9) lgkmcnt(1)
	v_mul_f64 v[197:198], v[2:3], v[12:13]
	v_mul_f64 v[12:13], v[4:5], v[12:13]
	v_fma_f64 v[181:182], v[181:182], v[6:7], v[191:192]
	v_fma_f64 v[179:180], v[179:180], v[6:7], -v[8:9]
	v_add_f64 v[191:192], v[193:194], 0
	v_add_f64 v[193:194], v[195:196], 0
	scratch_load_b128 v[6:9], off, off offset:576
	v_fma_f64 v[197:198], v[4:5], v[10:11], v[197:198]
	v_fma_f64 v[199:200], v[2:3], v[10:11], -v[12:13]
	scratch_load_b128 v[10:13], off, off offset:592
	ds_load_b128 v[2:5], v1 offset:1168
	s_waitcnt vmcnt(10) lgkmcnt(1)
	v_mul_f64 v[195:196], v[187:188], v[16:17]
	v_mul_f64 v[16:17], v[189:190], v[16:17]
	v_add_f64 v[191:192], v[191:192], v[179:180]
	v_add_f64 v[193:194], v[193:194], v[181:182]
	s_waitcnt vmcnt(9) lgkmcnt(0)
	v_mul_f64 v[201:202], v[2:3], v[20:21]
	v_mul_f64 v[20:21], v[4:5], v[20:21]
	ds_load_b128 v[179:182], v1 offset:1184
	v_fma_f64 v[189:190], v[189:190], v[14:15], v[195:196]
	v_fma_f64 v[187:188], v[187:188], v[14:15], -v[16:17]
	scratch_load_b128 v[14:17], off, off offset:608
	v_add_f64 v[191:192], v[191:192], v[199:200]
	v_add_f64 v[193:194], v[193:194], v[197:198]
	v_fma_f64 v[197:198], v[4:5], v[18:19], v[201:202]
	v_fma_f64 v[199:200], v[2:3], v[18:19], -v[20:21]
	scratch_load_b128 v[18:21], off, off offset:624
	ds_load_b128 v[2:5], v1 offset:1200
	s_waitcnt vmcnt(10) lgkmcnt(1)
	v_mul_f64 v[195:196], v[179:180], v[24:25]
	v_mul_f64 v[24:25], v[181:182], v[24:25]
	s_waitcnt vmcnt(9) lgkmcnt(0)
	v_mul_f64 v[201:202], v[2:3], v[28:29]
	v_mul_f64 v[28:29], v[4:5], v[28:29]
	v_add_f64 v[191:192], v[191:192], v[187:188]
	v_add_f64 v[193:194], v[193:194], v[189:190]
	ds_load_b128 v[187:190], v1 offset:1216
	v_fma_f64 v[181:182], v[181:182], v[22:23], v[195:196]
	v_fma_f64 v[179:180], v[179:180], v[22:23], -v[24:25]
	scratch_load_b128 v[22:25], off, off offset:640
	v_add_f64 v[191:192], v[191:192], v[199:200]
	v_add_f64 v[193:194], v[193:194], v[197:198]
	v_fma_f64 v[197:198], v[4:5], v[26:27], v[201:202]
	v_fma_f64 v[199:200], v[2:3], v[26:27], -v[28:29]
	scratch_load_b128 v[26:29], off, off offset:656
	ds_load_b128 v[2:5], v1 offset:1232
	s_waitcnt vmcnt(10) lgkmcnt(1)
	v_mul_f64 v[195:196], v[187:188], v[32:33]
	v_mul_f64 v[32:33], v[189:190], v[32:33]
	s_waitcnt vmcnt(9) lgkmcnt(0)
	v_mul_f64 v[201:202], v[2:3], v[40:41]
	v_mul_f64 v[40:41], v[4:5], v[40:41]
	v_add_f64 v[191:192], v[191:192], v[179:180]
	v_add_f64 v[193:194], v[193:194], v[181:182]
	ds_load_b128 v[179:182], v1 offset:1248
	v_fma_f64 v[189:190], v[189:190], v[30:31], v[195:196]
	v_fma_f64 v[187:188], v[187:188], v[30:31], -v[32:33]
	scratch_load_b128 v[30:33], off, off offset:672
	v_add_f64 v[191:192], v[191:192], v[199:200]
	v_add_f64 v[193:194], v[193:194], v[197:198]
	v_fma_f64 v[199:200], v[4:5], v[38:39], v[201:202]
	v_fma_f64 v[201:202], v[2:3], v[38:39], -v[40:41]
	scratch_load_b128 v[38:41], off, off offset:688
	ds_load_b128 v[2:5], v1 offset:1264
	s_waitcnt vmcnt(9) lgkmcnt(1)
	v_mul_f64 v[195:196], v[179:180], v[185:186]
	v_mul_f64 v[197:198], v[181:182], v[185:186]
	v_add_f64 v[191:192], v[191:192], v[187:188]
	v_add_f64 v[189:190], v[193:194], v[189:190]
	ds_load_b128 v[185:188], v1 offset:1280
	v_fma_f64 v[181:182], v[181:182], v[183:184], v[195:196]
	v_fma_f64 v[179:180], v[179:180], v[183:184], -v[197:198]
	s_waitcnt vmcnt(8) lgkmcnt(1)
	v_mul_f64 v[193:194], v[2:3], v[36:37]
	v_mul_f64 v[36:37], v[4:5], v[36:37]
	v_add_f64 v[183:184], v[191:192], v[201:202]
	v_add_f64 v[189:190], v[189:190], v[199:200]
	s_delay_alu instid0(VALU_DEP_4) | instskip(NEXT) | instid1(VALU_DEP_4)
	v_fma_f64 v[193:194], v[4:5], v[34:35], v[193:194]
	v_fma_f64 v[195:196], v[2:3], v[34:35], -v[36:37]
	ds_load_b128 v[2:5], v1 offset:1296
	ds_load_b128 v[34:37], v1 offset:1312
	s_waitcnt vmcnt(7) lgkmcnt(2)
	v_mul_f64 v[191:192], v[185:186], v[8:9]
	v_mul_f64 v[8:9], v[187:188], v[8:9]
	v_add_f64 v[179:180], v[183:184], v[179:180]
	v_add_f64 v[181:182], v[189:190], v[181:182]
	s_waitcnt vmcnt(6) lgkmcnt(1)
	v_mul_f64 v[183:184], v[2:3], v[12:13]
	v_mul_f64 v[12:13], v[4:5], v[12:13]
	v_fma_f64 v[187:188], v[187:188], v[6:7], v[191:192]
	v_fma_f64 v[6:7], v[185:186], v[6:7], -v[8:9]
	v_add_f64 v[8:9], v[179:180], v[195:196]
	v_add_f64 v[179:180], v[181:182], v[193:194]
	s_waitcnt vmcnt(5) lgkmcnt(0)
	v_mul_f64 v[181:182], v[34:35], v[16:17]
	v_mul_f64 v[16:17], v[36:37], v[16:17]
	v_fma_f64 v[183:184], v[4:5], v[10:11], v[183:184]
	v_fma_f64 v[10:11], v[2:3], v[10:11], -v[12:13]
	v_add_f64 v[12:13], v[8:9], v[6:7]
	v_add_f64 v[179:180], v[179:180], v[187:188]
	ds_load_b128 v[2:5], v1 offset:1328
	ds_load_b128 v[6:9], v1 offset:1344
	v_fma_f64 v[36:37], v[36:37], v[14:15], v[181:182]
	v_fma_f64 v[14:15], v[34:35], v[14:15], -v[16:17]
	s_waitcnt vmcnt(4) lgkmcnt(1)
	v_mul_f64 v[185:186], v[2:3], v[20:21]
	v_mul_f64 v[20:21], v[4:5], v[20:21]
	s_waitcnt vmcnt(3) lgkmcnt(0)
	v_mul_f64 v[16:17], v[6:7], v[24:25]
	v_mul_f64 v[24:25], v[8:9], v[24:25]
	v_add_f64 v[10:11], v[12:13], v[10:11]
	v_add_f64 v[12:13], v[179:180], v[183:184]
	v_fma_f64 v[34:35], v[4:5], v[18:19], v[185:186]
	v_fma_f64 v[18:19], v[2:3], v[18:19], -v[20:21]
	v_fma_f64 v[8:9], v[8:9], v[22:23], v[16:17]
	v_fma_f64 v[6:7], v[6:7], v[22:23], -v[24:25]
	v_add_f64 v[14:15], v[10:11], v[14:15]
	v_add_f64 v[20:21], v[12:13], v[36:37]
	ds_load_b128 v[2:5], v1 offset:1360
	ds_load_b128 v[10:13], v1 offset:1376
	s_waitcnt vmcnt(2) lgkmcnt(1)
	v_mul_f64 v[36:37], v[2:3], v[28:29]
	v_mul_f64 v[28:29], v[4:5], v[28:29]
	v_add_f64 v[14:15], v[14:15], v[18:19]
	v_add_f64 v[16:17], v[20:21], v[34:35]
	s_waitcnt vmcnt(1) lgkmcnt(0)
	v_mul_f64 v[18:19], v[10:11], v[32:33]
	v_mul_f64 v[20:21], v[12:13], v[32:33]
	v_fma_f64 v[22:23], v[4:5], v[26:27], v[36:37]
	v_fma_f64 v[24:25], v[2:3], v[26:27], -v[28:29]
	ds_load_b128 v[2:5], v1 offset:1392
	v_add_f64 v[6:7], v[14:15], v[6:7]
	v_add_f64 v[8:9], v[16:17], v[8:9]
	v_fma_f64 v[12:13], v[12:13], v[30:31], v[18:19]
	v_fma_f64 v[10:11], v[10:11], v[30:31], -v[20:21]
	s_waitcnt vmcnt(0) lgkmcnt(0)
	v_mul_f64 v[14:15], v[2:3], v[40:41]
	v_mul_f64 v[16:17], v[4:5], v[40:41]
	v_add_f64 v[6:7], v[6:7], v[24:25]
	v_add_f64 v[8:9], v[8:9], v[22:23]
	s_delay_alu instid0(VALU_DEP_4) | instskip(NEXT) | instid1(VALU_DEP_4)
	v_fma_f64 v[4:5], v[4:5], v[38:39], v[14:15]
	v_fma_f64 v[2:3], v[2:3], v[38:39], -v[16:17]
	s_delay_alu instid0(VALU_DEP_4) | instskip(NEXT) | instid1(VALU_DEP_4)
	v_add_f64 v[6:7], v[6:7], v[10:11]
	v_add_f64 v[8:9], v[8:9], v[12:13]
	s_delay_alu instid0(VALU_DEP_2) | instskip(NEXT) | instid1(VALU_DEP_2)
	v_add_f64 v[2:3], v[6:7], v[2:3]
	v_add_f64 v[4:5], v[8:9], v[4:5]
	s_delay_alu instid0(VALU_DEP_2) | instskip(NEXT) | instid1(VALU_DEP_2)
	v_add_f64 v[2:3], v[42:43], -v[2:3]
	v_add_f64 v[4:5], v[44:45], -v[4:5]
	scratch_store_b128 off, v[2:5], off offset:384
	v_cmpx_lt_u32_e32 23, v134
	s_cbranch_execz .LBB43_231
; %bb.230:
	scratch_load_b128 v[5:8], v156, off
	v_mov_b32_e32 v2, v1
	v_mov_b32_e32 v3, v1
	;; [unrolled: 1-line block ×3, first 2 shown]
	scratch_store_b128 off, v[1:4], off offset:368
	s_waitcnt vmcnt(0)
	ds_store_b128 v178, v[5:8]
.LBB43_231:
	s_or_b32 exec_lo, exec_lo, s2
	s_waitcnt lgkmcnt(0)
	s_waitcnt_vscnt null, 0x0
	s_barrier
	buffer_gl0_inv
	s_clause 0x8
	scratch_load_b128 v[2:5], off, off offset:384
	scratch_load_b128 v[6:9], off, off offset:400
	;; [unrolled: 1-line block ×9, first 2 shown]
	ds_load_b128 v[38:41], v1 offset:1088
	ds_load_b128 v[42:45], v1 offset:1104
	s_clause 0x1
	scratch_load_b128 v[179:182], off, off offset:368
	scratch_load_b128 v[183:186], off, off offset:528
	s_mov_b32 s2, exec_lo
	s_waitcnt vmcnt(10) lgkmcnt(1)
	v_mul_f64 v[187:188], v[40:41], v[4:5]
	v_mul_f64 v[4:5], v[38:39], v[4:5]
	s_waitcnt vmcnt(9) lgkmcnt(0)
	v_mul_f64 v[191:192], v[42:43], v[8:9]
	v_mul_f64 v[8:9], v[44:45], v[8:9]
	s_delay_alu instid0(VALU_DEP_4) | instskip(NEXT) | instid1(VALU_DEP_4)
	v_fma_f64 v[193:194], v[38:39], v[2:3], -v[187:188]
	v_fma_f64 v[195:196], v[40:41], v[2:3], v[4:5]
	ds_load_b128 v[2:5], v1 offset:1120
	ds_load_b128 v[187:190], v1 offset:1136
	scratch_load_b128 v[38:41], off, off offset:544
	v_fma_f64 v[44:45], v[44:45], v[6:7], v[191:192]
	v_fma_f64 v[42:43], v[42:43], v[6:7], -v[8:9]
	scratch_load_b128 v[6:9], off, off offset:560
	s_waitcnt vmcnt(10) lgkmcnt(1)
	v_mul_f64 v[197:198], v[2:3], v[12:13]
	v_mul_f64 v[12:13], v[4:5], v[12:13]
	v_add_f64 v[191:192], v[193:194], 0
	v_add_f64 v[193:194], v[195:196], 0
	s_waitcnt vmcnt(9) lgkmcnt(0)
	v_mul_f64 v[195:196], v[187:188], v[16:17]
	v_mul_f64 v[16:17], v[189:190], v[16:17]
	v_fma_f64 v[197:198], v[4:5], v[10:11], v[197:198]
	v_fma_f64 v[199:200], v[2:3], v[10:11], -v[12:13]
	ds_load_b128 v[2:5], v1 offset:1152
	scratch_load_b128 v[10:13], off, off offset:576
	v_add_f64 v[191:192], v[191:192], v[42:43]
	v_add_f64 v[193:194], v[193:194], v[44:45]
	ds_load_b128 v[42:45], v1 offset:1168
	v_fma_f64 v[189:190], v[189:190], v[14:15], v[195:196]
	v_fma_f64 v[187:188], v[187:188], v[14:15], -v[16:17]
	scratch_load_b128 v[14:17], off, off offset:592
	s_waitcnt vmcnt(10) lgkmcnt(1)
	v_mul_f64 v[201:202], v[2:3], v[20:21]
	v_mul_f64 v[20:21], v[4:5], v[20:21]
	s_waitcnt vmcnt(9) lgkmcnt(0)
	v_mul_f64 v[195:196], v[42:43], v[24:25]
	v_mul_f64 v[24:25], v[44:45], v[24:25]
	v_add_f64 v[191:192], v[191:192], v[199:200]
	v_add_f64 v[193:194], v[193:194], v[197:198]
	v_fma_f64 v[197:198], v[4:5], v[18:19], v[201:202]
	v_fma_f64 v[199:200], v[2:3], v[18:19], -v[20:21]
	ds_load_b128 v[2:5], v1 offset:1184
	scratch_load_b128 v[18:21], off, off offset:608
	v_fma_f64 v[44:45], v[44:45], v[22:23], v[195:196]
	v_fma_f64 v[42:43], v[42:43], v[22:23], -v[24:25]
	scratch_load_b128 v[22:25], off, off offset:624
	v_add_f64 v[191:192], v[191:192], v[187:188]
	v_add_f64 v[193:194], v[193:194], v[189:190]
	ds_load_b128 v[187:190], v1 offset:1200
	s_waitcnt vmcnt(10) lgkmcnt(1)
	v_mul_f64 v[201:202], v[2:3], v[28:29]
	v_mul_f64 v[28:29], v[4:5], v[28:29]
	s_waitcnt vmcnt(9) lgkmcnt(0)
	v_mul_f64 v[195:196], v[187:188], v[32:33]
	v_mul_f64 v[32:33], v[189:190], v[32:33]
	v_add_f64 v[191:192], v[191:192], v[199:200]
	v_add_f64 v[193:194], v[193:194], v[197:198]
	v_fma_f64 v[197:198], v[4:5], v[26:27], v[201:202]
	v_fma_f64 v[199:200], v[2:3], v[26:27], -v[28:29]
	ds_load_b128 v[2:5], v1 offset:1216
	scratch_load_b128 v[26:29], off, off offset:640
	v_fma_f64 v[189:190], v[189:190], v[30:31], v[195:196]
	v_fma_f64 v[187:188], v[187:188], v[30:31], -v[32:33]
	scratch_load_b128 v[30:33], off, off offset:656
	v_add_f64 v[191:192], v[191:192], v[42:43]
	v_add_f64 v[193:194], v[193:194], v[44:45]
	ds_load_b128 v[42:45], v1 offset:1232
	s_waitcnt vmcnt(10) lgkmcnt(1)
	v_mul_f64 v[201:202], v[2:3], v[36:37]
	v_mul_f64 v[36:37], v[4:5], v[36:37]
	s_waitcnt vmcnt(8) lgkmcnt(0)
	v_mul_f64 v[195:196], v[42:43], v[185:186]
	v_add_f64 v[191:192], v[191:192], v[199:200]
	v_add_f64 v[193:194], v[193:194], v[197:198]
	v_mul_f64 v[197:198], v[44:45], v[185:186]
	v_fma_f64 v[199:200], v[4:5], v[34:35], v[201:202]
	v_fma_f64 v[201:202], v[2:3], v[34:35], -v[36:37]
	ds_load_b128 v[2:5], v1 offset:1248
	scratch_load_b128 v[34:37], off, off offset:672
	v_fma_f64 v[44:45], v[44:45], v[183:184], v[195:196]
	v_add_f64 v[191:192], v[191:192], v[187:188]
	v_add_f64 v[189:190], v[193:194], v[189:190]
	ds_load_b128 v[185:188], v1 offset:1264
	v_fma_f64 v[183:184], v[42:43], v[183:184], -v[197:198]
	s_waitcnt vmcnt(8) lgkmcnt(1)
	v_mul_f64 v[193:194], v[2:3], v[40:41]
	v_mul_f64 v[203:204], v[4:5], v[40:41]
	scratch_load_b128 v[40:43], off, off offset:688
	s_waitcnt vmcnt(8) lgkmcnt(0)
	v_mul_f64 v[195:196], v[185:186], v[8:9]
	v_mul_f64 v[8:9], v[187:188], v[8:9]
	v_add_f64 v[191:192], v[191:192], v[201:202]
	v_add_f64 v[189:190], v[189:190], v[199:200]
	v_fma_f64 v[193:194], v[4:5], v[38:39], v[193:194]
	v_fma_f64 v[38:39], v[2:3], v[38:39], -v[203:204]
	v_fma_f64 v[187:188], v[187:188], v[6:7], v[195:196]
	v_fma_f64 v[6:7], v[185:186], v[6:7], -v[8:9]
	v_add_f64 v[183:184], v[191:192], v[183:184]
	v_add_f64 v[44:45], v[189:190], v[44:45]
	ds_load_b128 v[2:5], v1 offset:1280
	ds_load_b128 v[189:192], v1 offset:1296
	s_waitcnt vmcnt(7) lgkmcnt(1)
	v_mul_f64 v[197:198], v[2:3], v[12:13]
	v_mul_f64 v[12:13], v[4:5], v[12:13]
	v_add_f64 v[8:9], v[183:184], v[38:39]
	v_add_f64 v[38:39], v[44:45], v[193:194]
	s_waitcnt vmcnt(6) lgkmcnt(0)
	v_mul_f64 v[44:45], v[189:190], v[16:17]
	v_mul_f64 v[16:17], v[191:192], v[16:17]
	v_fma_f64 v[183:184], v[4:5], v[10:11], v[197:198]
	v_fma_f64 v[10:11], v[2:3], v[10:11], -v[12:13]
	v_add_f64 v[12:13], v[8:9], v[6:7]
	v_add_f64 v[38:39], v[38:39], v[187:188]
	ds_load_b128 v[2:5], v1 offset:1312
	ds_load_b128 v[6:9], v1 offset:1328
	v_fma_f64 v[44:45], v[191:192], v[14:15], v[44:45]
	v_fma_f64 v[14:15], v[189:190], v[14:15], -v[16:17]
	s_waitcnt vmcnt(5) lgkmcnt(1)
	v_mul_f64 v[185:186], v[2:3], v[20:21]
	v_mul_f64 v[20:21], v[4:5], v[20:21]
	s_waitcnt vmcnt(4) lgkmcnt(0)
	v_mul_f64 v[16:17], v[6:7], v[24:25]
	v_mul_f64 v[24:25], v[8:9], v[24:25]
	v_add_f64 v[10:11], v[12:13], v[10:11]
	v_add_f64 v[12:13], v[38:39], v[183:184]
	v_fma_f64 v[38:39], v[4:5], v[18:19], v[185:186]
	v_fma_f64 v[18:19], v[2:3], v[18:19], -v[20:21]
	v_fma_f64 v[8:9], v[8:9], v[22:23], v[16:17]
	v_fma_f64 v[6:7], v[6:7], v[22:23], -v[24:25]
	v_add_f64 v[14:15], v[10:11], v[14:15]
	v_add_f64 v[20:21], v[12:13], v[44:45]
	ds_load_b128 v[2:5], v1 offset:1344
	ds_load_b128 v[10:13], v1 offset:1360
	s_waitcnt vmcnt(3) lgkmcnt(1)
	v_mul_f64 v[44:45], v[2:3], v[28:29]
	v_mul_f64 v[28:29], v[4:5], v[28:29]
	v_add_f64 v[14:15], v[14:15], v[18:19]
	v_add_f64 v[16:17], v[20:21], v[38:39]
	s_waitcnt vmcnt(2) lgkmcnt(0)
	v_mul_f64 v[18:19], v[10:11], v[32:33]
	v_mul_f64 v[20:21], v[12:13], v[32:33]
	v_fma_f64 v[22:23], v[4:5], v[26:27], v[44:45]
	v_fma_f64 v[24:25], v[2:3], v[26:27], -v[28:29]
	v_add_f64 v[14:15], v[14:15], v[6:7]
	v_add_f64 v[16:17], v[16:17], v[8:9]
	ds_load_b128 v[2:5], v1 offset:1376
	ds_load_b128 v[6:9], v1 offset:1392
	v_fma_f64 v[12:13], v[12:13], v[30:31], v[18:19]
	v_fma_f64 v[10:11], v[10:11], v[30:31], -v[20:21]
	s_waitcnt vmcnt(1) lgkmcnt(1)
	v_mul_f64 v[26:27], v[2:3], v[36:37]
	v_mul_f64 v[28:29], v[4:5], v[36:37]
	s_waitcnt vmcnt(0) lgkmcnt(0)
	v_mul_f64 v[18:19], v[6:7], v[42:43]
	v_add_f64 v[14:15], v[14:15], v[24:25]
	v_add_f64 v[16:17], v[16:17], v[22:23]
	v_mul_f64 v[20:21], v[8:9], v[42:43]
	v_fma_f64 v[4:5], v[4:5], v[34:35], v[26:27]
	v_fma_f64 v[1:2], v[2:3], v[34:35], -v[28:29]
	v_fma_f64 v[8:9], v[8:9], v[40:41], v[18:19]
	v_add_f64 v[10:11], v[14:15], v[10:11]
	v_add_f64 v[12:13], v[16:17], v[12:13]
	v_fma_f64 v[6:7], v[6:7], v[40:41], -v[20:21]
	s_delay_alu instid0(VALU_DEP_3) | instskip(NEXT) | instid1(VALU_DEP_3)
	v_add_f64 v[1:2], v[10:11], v[1:2]
	v_add_f64 v[3:4], v[12:13], v[4:5]
	s_delay_alu instid0(VALU_DEP_2) | instskip(NEXT) | instid1(VALU_DEP_2)
	v_add_f64 v[1:2], v[1:2], v[6:7]
	v_add_f64 v[3:4], v[3:4], v[8:9]
	s_delay_alu instid0(VALU_DEP_2) | instskip(NEXT) | instid1(VALU_DEP_2)
	v_add_f64 v[1:2], v[179:180], -v[1:2]
	v_add_f64 v[3:4], v[181:182], -v[3:4]
	scratch_store_b128 off, v[1:4], off offset:368
	v_cmpx_lt_u32_e32 22, v134
	s_cbranch_execz .LBB43_233
; %bb.232:
	scratch_load_b128 v[1:4], v157, off
	v_mov_b32_e32 v5, 0
	s_delay_alu instid0(VALU_DEP_1)
	v_mov_b32_e32 v6, v5
	v_mov_b32_e32 v7, v5
	;; [unrolled: 1-line block ×3, first 2 shown]
	scratch_store_b128 off, v[5:8], off offset:352
	s_waitcnt vmcnt(0)
	ds_store_b128 v178, v[1:4]
.LBB43_233:
	s_or_b32 exec_lo, exec_lo, s2
	s_waitcnt lgkmcnt(0)
	s_waitcnt_vscnt null, 0x0
	s_barrier
	buffer_gl0_inv
	s_clause 0x7
	scratch_load_b128 v[2:5], off, off offset:368
	scratch_load_b128 v[6:9], off, off offset:384
	;; [unrolled: 1-line block ×8, first 2 shown]
	v_mov_b32_e32 v1, 0
	s_mov_b32 s2, exec_lo
	ds_load_b128 v[34:37], v1 offset:1072
	s_clause 0x1
	scratch_load_b128 v[38:41], off, off offset:496
	scratch_load_b128 v[42:45], off, off offset:352
	ds_load_b128 v[179:182], v1 offset:1088
	scratch_load_b128 v[183:186], off, off offset:512
	s_waitcnt vmcnt(10) lgkmcnt(1)
	v_mul_f64 v[187:188], v[36:37], v[4:5]
	v_mul_f64 v[4:5], v[34:35], v[4:5]
	s_delay_alu instid0(VALU_DEP_2) | instskip(NEXT) | instid1(VALU_DEP_2)
	v_fma_f64 v[193:194], v[34:35], v[2:3], -v[187:188]
	v_fma_f64 v[195:196], v[36:37], v[2:3], v[4:5]
	scratch_load_b128 v[34:37], off, off offset:528
	ds_load_b128 v[2:5], v1 offset:1104
	s_waitcnt vmcnt(10) lgkmcnt(1)
	v_mul_f64 v[191:192], v[179:180], v[8:9]
	v_mul_f64 v[8:9], v[181:182], v[8:9]
	ds_load_b128 v[187:190], v1 offset:1120
	s_waitcnt vmcnt(9) lgkmcnt(1)
	v_mul_f64 v[197:198], v[2:3], v[12:13]
	v_mul_f64 v[12:13], v[4:5], v[12:13]
	v_fma_f64 v[181:182], v[181:182], v[6:7], v[191:192]
	v_fma_f64 v[179:180], v[179:180], v[6:7], -v[8:9]
	v_add_f64 v[191:192], v[193:194], 0
	v_add_f64 v[193:194], v[195:196], 0
	scratch_load_b128 v[6:9], off, off offset:544
	v_fma_f64 v[197:198], v[4:5], v[10:11], v[197:198]
	v_fma_f64 v[199:200], v[2:3], v[10:11], -v[12:13]
	scratch_load_b128 v[10:13], off, off offset:560
	ds_load_b128 v[2:5], v1 offset:1136
	s_waitcnt vmcnt(10) lgkmcnt(1)
	v_mul_f64 v[195:196], v[187:188], v[16:17]
	v_mul_f64 v[16:17], v[189:190], v[16:17]
	v_add_f64 v[191:192], v[191:192], v[179:180]
	v_add_f64 v[193:194], v[193:194], v[181:182]
	s_waitcnt vmcnt(9) lgkmcnt(0)
	v_mul_f64 v[201:202], v[2:3], v[20:21]
	v_mul_f64 v[20:21], v[4:5], v[20:21]
	ds_load_b128 v[179:182], v1 offset:1152
	v_fma_f64 v[189:190], v[189:190], v[14:15], v[195:196]
	v_fma_f64 v[187:188], v[187:188], v[14:15], -v[16:17]
	scratch_load_b128 v[14:17], off, off offset:576
	v_add_f64 v[191:192], v[191:192], v[199:200]
	v_add_f64 v[193:194], v[193:194], v[197:198]
	v_fma_f64 v[197:198], v[4:5], v[18:19], v[201:202]
	v_fma_f64 v[199:200], v[2:3], v[18:19], -v[20:21]
	scratch_load_b128 v[18:21], off, off offset:592
	ds_load_b128 v[2:5], v1 offset:1168
	s_waitcnt vmcnt(10) lgkmcnt(1)
	v_mul_f64 v[195:196], v[179:180], v[24:25]
	v_mul_f64 v[24:25], v[181:182], v[24:25]
	s_waitcnt vmcnt(9) lgkmcnt(0)
	v_mul_f64 v[201:202], v[2:3], v[28:29]
	v_mul_f64 v[28:29], v[4:5], v[28:29]
	v_add_f64 v[191:192], v[191:192], v[187:188]
	v_add_f64 v[193:194], v[193:194], v[189:190]
	ds_load_b128 v[187:190], v1 offset:1184
	v_fma_f64 v[181:182], v[181:182], v[22:23], v[195:196]
	v_fma_f64 v[179:180], v[179:180], v[22:23], -v[24:25]
	scratch_load_b128 v[22:25], off, off offset:608
	v_add_f64 v[191:192], v[191:192], v[199:200]
	v_add_f64 v[193:194], v[193:194], v[197:198]
	v_fma_f64 v[197:198], v[4:5], v[26:27], v[201:202]
	v_fma_f64 v[199:200], v[2:3], v[26:27], -v[28:29]
	scratch_load_b128 v[26:29], off, off offset:624
	ds_load_b128 v[2:5], v1 offset:1200
	s_waitcnt vmcnt(10) lgkmcnt(1)
	v_mul_f64 v[195:196], v[187:188], v[32:33]
	v_mul_f64 v[32:33], v[189:190], v[32:33]
	s_waitcnt vmcnt(9) lgkmcnt(0)
	v_mul_f64 v[201:202], v[2:3], v[40:41]
	v_mul_f64 v[40:41], v[4:5], v[40:41]
	v_add_f64 v[191:192], v[191:192], v[179:180]
	v_add_f64 v[193:194], v[193:194], v[181:182]
	ds_load_b128 v[179:182], v1 offset:1216
	v_fma_f64 v[189:190], v[189:190], v[30:31], v[195:196]
	v_fma_f64 v[187:188], v[187:188], v[30:31], -v[32:33]
	scratch_load_b128 v[30:33], off, off offset:640
	v_add_f64 v[191:192], v[191:192], v[199:200]
	v_add_f64 v[193:194], v[193:194], v[197:198]
	v_fma_f64 v[199:200], v[4:5], v[38:39], v[201:202]
	v_fma_f64 v[201:202], v[2:3], v[38:39], -v[40:41]
	scratch_load_b128 v[38:41], off, off offset:656
	ds_load_b128 v[2:5], v1 offset:1232
	s_waitcnt vmcnt(9) lgkmcnt(1)
	v_mul_f64 v[195:196], v[179:180], v[185:186]
	v_mul_f64 v[197:198], v[181:182], v[185:186]
	v_add_f64 v[191:192], v[191:192], v[187:188]
	v_add_f64 v[189:190], v[193:194], v[189:190]
	ds_load_b128 v[185:188], v1 offset:1248
	v_fma_f64 v[195:196], v[181:182], v[183:184], v[195:196]
	v_fma_f64 v[183:184], v[179:180], v[183:184], -v[197:198]
	scratch_load_b128 v[179:182], off, off offset:672
	s_waitcnt vmcnt(9) lgkmcnt(1)
	v_mul_f64 v[193:194], v[2:3], v[36:37]
	v_mul_f64 v[36:37], v[4:5], v[36:37]
	v_add_f64 v[191:192], v[191:192], v[201:202]
	v_add_f64 v[189:190], v[189:190], v[199:200]
	s_delay_alu instid0(VALU_DEP_4) | instskip(NEXT) | instid1(VALU_DEP_4)
	v_fma_f64 v[193:194], v[4:5], v[34:35], v[193:194]
	v_fma_f64 v[199:200], v[2:3], v[34:35], -v[36:37]
	scratch_load_b128 v[34:37], off, off offset:688
	ds_load_b128 v[2:5], v1 offset:1264
	s_waitcnt vmcnt(9) lgkmcnt(1)
	v_mul_f64 v[197:198], v[185:186], v[8:9]
	v_mul_f64 v[8:9], v[187:188], v[8:9]
	s_waitcnt vmcnt(8) lgkmcnt(0)
	v_mul_f64 v[201:202], v[2:3], v[12:13]
	v_mul_f64 v[12:13], v[4:5], v[12:13]
	v_add_f64 v[183:184], v[191:192], v[183:184]
	v_add_f64 v[195:196], v[189:190], v[195:196]
	ds_load_b128 v[189:192], v1 offset:1280
	v_fma_f64 v[187:188], v[187:188], v[6:7], v[197:198]
	v_fma_f64 v[6:7], v[185:186], v[6:7], -v[8:9]
	v_add_f64 v[8:9], v[183:184], v[199:200]
	v_add_f64 v[183:184], v[195:196], v[193:194]
	s_waitcnt vmcnt(7) lgkmcnt(0)
	v_mul_f64 v[185:186], v[189:190], v[16:17]
	v_mul_f64 v[16:17], v[191:192], v[16:17]
	v_fma_f64 v[193:194], v[4:5], v[10:11], v[201:202]
	v_fma_f64 v[10:11], v[2:3], v[10:11], -v[12:13]
	v_add_f64 v[12:13], v[8:9], v[6:7]
	v_add_f64 v[183:184], v[183:184], v[187:188]
	ds_load_b128 v[2:5], v1 offset:1296
	ds_load_b128 v[6:9], v1 offset:1312
	v_fma_f64 v[185:186], v[191:192], v[14:15], v[185:186]
	v_fma_f64 v[14:15], v[189:190], v[14:15], -v[16:17]
	s_waitcnt vmcnt(6) lgkmcnt(1)
	v_mul_f64 v[187:188], v[2:3], v[20:21]
	v_mul_f64 v[20:21], v[4:5], v[20:21]
	s_waitcnt vmcnt(5) lgkmcnt(0)
	v_mul_f64 v[16:17], v[6:7], v[24:25]
	v_mul_f64 v[24:25], v[8:9], v[24:25]
	v_add_f64 v[10:11], v[12:13], v[10:11]
	v_add_f64 v[12:13], v[183:184], v[193:194]
	v_fma_f64 v[183:184], v[4:5], v[18:19], v[187:188]
	v_fma_f64 v[18:19], v[2:3], v[18:19], -v[20:21]
	v_fma_f64 v[8:9], v[8:9], v[22:23], v[16:17]
	v_fma_f64 v[6:7], v[6:7], v[22:23], -v[24:25]
	v_add_f64 v[14:15], v[10:11], v[14:15]
	v_add_f64 v[20:21], v[12:13], v[185:186]
	ds_load_b128 v[2:5], v1 offset:1328
	ds_load_b128 v[10:13], v1 offset:1344
	s_waitcnt vmcnt(4) lgkmcnt(1)
	v_mul_f64 v[185:186], v[2:3], v[28:29]
	v_mul_f64 v[28:29], v[4:5], v[28:29]
	v_add_f64 v[14:15], v[14:15], v[18:19]
	v_add_f64 v[16:17], v[20:21], v[183:184]
	s_waitcnt vmcnt(3) lgkmcnt(0)
	v_mul_f64 v[18:19], v[10:11], v[32:33]
	v_mul_f64 v[20:21], v[12:13], v[32:33]
	v_fma_f64 v[22:23], v[4:5], v[26:27], v[185:186]
	v_fma_f64 v[24:25], v[2:3], v[26:27], -v[28:29]
	v_add_f64 v[14:15], v[14:15], v[6:7]
	v_add_f64 v[16:17], v[16:17], v[8:9]
	ds_load_b128 v[2:5], v1 offset:1360
	ds_load_b128 v[6:9], v1 offset:1376
	v_fma_f64 v[12:13], v[12:13], v[30:31], v[18:19]
	v_fma_f64 v[10:11], v[10:11], v[30:31], -v[20:21]
	s_waitcnt vmcnt(2) lgkmcnt(1)
	v_mul_f64 v[26:27], v[2:3], v[40:41]
	v_mul_f64 v[28:29], v[4:5], v[40:41]
	s_waitcnt vmcnt(1) lgkmcnt(0)
	v_mul_f64 v[18:19], v[6:7], v[181:182]
	v_mul_f64 v[20:21], v[8:9], v[181:182]
	v_add_f64 v[14:15], v[14:15], v[24:25]
	v_add_f64 v[16:17], v[16:17], v[22:23]
	v_fma_f64 v[22:23], v[4:5], v[38:39], v[26:27]
	v_fma_f64 v[24:25], v[2:3], v[38:39], -v[28:29]
	ds_load_b128 v[2:5], v1 offset:1392
	v_fma_f64 v[8:9], v[8:9], v[179:180], v[18:19]
	v_fma_f64 v[6:7], v[6:7], v[179:180], -v[20:21]
	v_add_f64 v[10:11], v[14:15], v[10:11]
	v_add_f64 v[12:13], v[16:17], v[12:13]
	s_waitcnt vmcnt(0) lgkmcnt(0)
	v_mul_f64 v[14:15], v[2:3], v[36:37]
	v_mul_f64 v[16:17], v[4:5], v[36:37]
	s_delay_alu instid0(VALU_DEP_4) | instskip(NEXT) | instid1(VALU_DEP_4)
	v_add_f64 v[10:11], v[10:11], v[24:25]
	v_add_f64 v[12:13], v[12:13], v[22:23]
	s_delay_alu instid0(VALU_DEP_4) | instskip(NEXT) | instid1(VALU_DEP_4)
	v_fma_f64 v[4:5], v[4:5], v[34:35], v[14:15]
	v_fma_f64 v[2:3], v[2:3], v[34:35], -v[16:17]
	s_delay_alu instid0(VALU_DEP_4) | instskip(NEXT) | instid1(VALU_DEP_4)
	v_add_f64 v[6:7], v[10:11], v[6:7]
	v_add_f64 v[8:9], v[12:13], v[8:9]
	s_delay_alu instid0(VALU_DEP_2) | instskip(NEXT) | instid1(VALU_DEP_2)
	v_add_f64 v[2:3], v[6:7], v[2:3]
	v_add_f64 v[4:5], v[8:9], v[4:5]
	s_delay_alu instid0(VALU_DEP_2) | instskip(NEXT) | instid1(VALU_DEP_2)
	v_add_f64 v[2:3], v[42:43], -v[2:3]
	v_add_f64 v[4:5], v[44:45], -v[4:5]
	scratch_store_b128 off, v[2:5], off offset:352
	v_cmpx_lt_u32_e32 21, v134
	s_cbranch_execz .LBB43_235
; %bb.234:
	scratch_load_b128 v[5:8], v158, off
	v_mov_b32_e32 v2, v1
	v_mov_b32_e32 v3, v1
	;; [unrolled: 1-line block ×3, first 2 shown]
	scratch_store_b128 off, v[1:4], off offset:336
	s_waitcnt vmcnt(0)
	ds_store_b128 v178, v[5:8]
.LBB43_235:
	s_or_b32 exec_lo, exec_lo, s2
	s_waitcnt lgkmcnt(0)
	s_waitcnt_vscnt null, 0x0
	s_barrier
	buffer_gl0_inv
	s_clause 0x8
	scratch_load_b128 v[2:5], off, off offset:352
	scratch_load_b128 v[6:9], off, off offset:368
	;; [unrolled: 1-line block ×9, first 2 shown]
	ds_load_b128 v[38:41], v1 offset:1056
	ds_load_b128 v[42:45], v1 offset:1072
	s_clause 0x1
	scratch_load_b128 v[179:182], off, off offset:336
	scratch_load_b128 v[183:186], off, off offset:496
	s_mov_b32 s2, exec_lo
	s_waitcnt vmcnt(10) lgkmcnt(1)
	v_mul_f64 v[187:188], v[40:41], v[4:5]
	v_mul_f64 v[4:5], v[38:39], v[4:5]
	s_waitcnt vmcnt(9) lgkmcnt(0)
	v_mul_f64 v[191:192], v[42:43], v[8:9]
	v_mul_f64 v[8:9], v[44:45], v[8:9]
	s_delay_alu instid0(VALU_DEP_4) | instskip(NEXT) | instid1(VALU_DEP_4)
	v_fma_f64 v[193:194], v[38:39], v[2:3], -v[187:188]
	v_fma_f64 v[195:196], v[40:41], v[2:3], v[4:5]
	ds_load_b128 v[2:5], v1 offset:1088
	ds_load_b128 v[187:190], v1 offset:1104
	scratch_load_b128 v[38:41], off, off offset:512
	v_fma_f64 v[44:45], v[44:45], v[6:7], v[191:192]
	v_fma_f64 v[42:43], v[42:43], v[6:7], -v[8:9]
	scratch_load_b128 v[6:9], off, off offset:528
	s_waitcnt vmcnt(10) lgkmcnt(1)
	v_mul_f64 v[197:198], v[2:3], v[12:13]
	v_mul_f64 v[12:13], v[4:5], v[12:13]
	v_add_f64 v[191:192], v[193:194], 0
	v_add_f64 v[193:194], v[195:196], 0
	s_waitcnt vmcnt(9) lgkmcnt(0)
	v_mul_f64 v[195:196], v[187:188], v[16:17]
	v_mul_f64 v[16:17], v[189:190], v[16:17]
	v_fma_f64 v[197:198], v[4:5], v[10:11], v[197:198]
	v_fma_f64 v[199:200], v[2:3], v[10:11], -v[12:13]
	ds_load_b128 v[2:5], v1 offset:1120
	scratch_load_b128 v[10:13], off, off offset:544
	v_add_f64 v[191:192], v[191:192], v[42:43]
	v_add_f64 v[193:194], v[193:194], v[44:45]
	ds_load_b128 v[42:45], v1 offset:1136
	v_fma_f64 v[189:190], v[189:190], v[14:15], v[195:196]
	v_fma_f64 v[187:188], v[187:188], v[14:15], -v[16:17]
	scratch_load_b128 v[14:17], off, off offset:560
	s_waitcnt vmcnt(10) lgkmcnt(1)
	v_mul_f64 v[201:202], v[2:3], v[20:21]
	v_mul_f64 v[20:21], v[4:5], v[20:21]
	s_waitcnt vmcnt(9) lgkmcnt(0)
	v_mul_f64 v[195:196], v[42:43], v[24:25]
	v_mul_f64 v[24:25], v[44:45], v[24:25]
	v_add_f64 v[191:192], v[191:192], v[199:200]
	v_add_f64 v[193:194], v[193:194], v[197:198]
	v_fma_f64 v[197:198], v[4:5], v[18:19], v[201:202]
	v_fma_f64 v[199:200], v[2:3], v[18:19], -v[20:21]
	ds_load_b128 v[2:5], v1 offset:1152
	scratch_load_b128 v[18:21], off, off offset:576
	v_fma_f64 v[44:45], v[44:45], v[22:23], v[195:196]
	v_fma_f64 v[42:43], v[42:43], v[22:23], -v[24:25]
	scratch_load_b128 v[22:25], off, off offset:592
	v_add_f64 v[191:192], v[191:192], v[187:188]
	v_add_f64 v[193:194], v[193:194], v[189:190]
	ds_load_b128 v[187:190], v1 offset:1168
	s_waitcnt vmcnt(10) lgkmcnt(1)
	v_mul_f64 v[201:202], v[2:3], v[28:29]
	v_mul_f64 v[28:29], v[4:5], v[28:29]
	s_waitcnt vmcnt(9) lgkmcnt(0)
	v_mul_f64 v[195:196], v[187:188], v[32:33]
	v_mul_f64 v[32:33], v[189:190], v[32:33]
	v_add_f64 v[191:192], v[191:192], v[199:200]
	v_add_f64 v[193:194], v[193:194], v[197:198]
	v_fma_f64 v[197:198], v[4:5], v[26:27], v[201:202]
	v_fma_f64 v[199:200], v[2:3], v[26:27], -v[28:29]
	ds_load_b128 v[2:5], v1 offset:1184
	scratch_load_b128 v[26:29], off, off offset:608
	v_fma_f64 v[189:190], v[189:190], v[30:31], v[195:196]
	v_fma_f64 v[187:188], v[187:188], v[30:31], -v[32:33]
	scratch_load_b128 v[30:33], off, off offset:624
	v_add_f64 v[191:192], v[191:192], v[42:43]
	v_add_f64 v[193:194], v[193:194], v[44:45]
	ds_load_b128 v[42:45], v1 offset:1200
	s_waitcnt vmcnt(10) lgkmcnt(1)
	v_mul_f64 v[201:202], v[2:3], v[36:37]
	v_mul_f64 v[36:37], v[4:5], v[36:37]
	s_waitcnt vmcnt(8) lgkmcnt(0)
	v_mul_f64 v[195:196], v[42:43], v[185:186]
	v_add_f64 v[191:192], v[191:192], v[199:200]
	v_add_f64 v[193:194], v[193:194], v[197:198]
	v_mul_f64 v[197:198], v[44:45], v[185:186]
	v_fma_f64 v[199:200], v[4:5], v[34:35], v[201:202]
	v_fma_f64 v[201:202], v[2:3], v[34:35], -v[36:37]
	ds_load_b128 v[2:5], v1 offset:1216
	scratch_load_b128 v[34:37], off, off offset:640
	v_fma_f64 v[44:45], v[44:45], v[183:184], v[195:196]
	v_add_f64 v[191:192], v[191:192], v[187:188]
	v_add_f64 v[189:190], v[193:194], v[189:190]
	ds_load_b128 v[185:188], v1 offset:1232
	v_fma_f64 v[183:184], v[42:43], v[183:184], -v[197:198]
	s_waitcnt vmcnt(8) lgkmcnt(1)
	v_mul_f64 v[193:194], v[2:3], v[40:41]
	v_mul_f64 v[203:204], v[4:5], v[40:41]
	scratch_load_b128 v[40:43], off, off offset:656
	s_waitcnt vmcnt(8) lgkmcnt(0)
	v_mul_f64 v[197:198], v[185:186], v[8:9]
	v_mul_f64 v[8:9], v[187:188], v[8:9]
	v_add_f64 v[191:192], v[191:192], v[201:202]
	v_add_f64 v[189:190], v[189:190], v[199:200]
	v_fma_f64 v[199:200], v[4:5], v[38:39], v[193:194]
	v_fma_f64 v[38:39], v[2:3], v[38:39], -v[203:204]
	ds_load_b128 v[2:5], v1 offset:1248
	ds_load_b128 v[193:196], v1 offset:1264
	v_fma_f64 v[187:188], v[187:188], v[6:7], v[197:198]
	v_fma_f64 v[185:186], v[185:186], v[6:7], -v[8:9]
	scratch_load_b128 v[6:9], off, off offset:688
	v_add_f64 v[183:184], v[191:192], v[183:184]
	v_add_f64 v[44:45], v[189:190], v[44:45]
	scratch_load_b128 v[189:192], off, off offset:672
	s_waitcnt vmcnt(9) lgkmcnt(1)
	v_mul_f64 v[201:202], v[2:3], v[12:13]
	v_mul_f64 v[12:13], v[4:5], v[12:13]
	v_add_f64 v[38:39], v[183:184], v[38:39]
	v_add_f64 v[44:45], v[44:45], v[199:200]
	s_waitcnt vmcnt(8) lgkmcnt(0)
	v_mul_f64 v[183:184], v[193:194], v[16:17]
	v_mul_f64 v[16:17], v[195:196], v[16:17]
	v_fma_f64 v[197:198], v[4:5], v[10:11], v[201:202]
	v_fma_f64 v[199:200], v[2:3], v[10:11], -v[12:13]
	ds_load_b128 v[2:5], v1 offset:1280
	ds_load_b128 v[10:13], v1 offset:1296
	v_add_f64 v[38:39], v[38:39], v[185:186]
	v_add_f64 v[44:45], v[44:45], v[187:188]
	s_waitcnt vmcnt(7) lgkmcnt(1)
	v_mul_f64 v[185:186], v[2:3], v[20:21]
	v_mul_f64 v[20:21], v[4:5], v[20:21]
	v_fma_f64 v[183:184], v[195:196], v[14:15], v[183:184]
	v_fma_f64 v[14:15], v[193:194], v[14:15], -v[16:17]
	v_add_f64 v[16:17], v[38:39], v[199:200]
	v_add_f64 v[38:39], v[44:45], v[197:198]
	s_waitcnt vmcnt(6) lgkmcnt(0)
	v_mul_f64 v[44:45], v[10:11], v[24:25]
	v_mul_f64 v[24:25], v[12:13], v[24:25]
	v_fma_f64 v[185:186], v[4:5], v[18:19], v[185:186]
	v_fma_f64 v[18:19], v[2:3], v[18:19], -v[20:21]
	v_add_f64 v[20:21], v[16:17], v[14:15]
	v_add_f64 v[38:39], v[38:39], v[183:184]
	ds_load_b128 v[2:5], v1 offset:1312
	ds_load_b128 v[14:17], v1 offset:1328
	v_fma_f64 v[12:13], v[12:13], v[22:23], v[44:45]
	v_fma_f64 v[10:11], v[10:11], v[22:23], -v[24:25]
	s_waitcnt vmcnt(5) lgkmcnt(1)
	v_mul_f64 v[183:184], v[2:3], v[28:29]
	v_mul_f64 v[28:29], v[4:5], v[28:29]
	s_waitcnt vmcnt(4) lgkmcnt(0)
	v_mul_f64 v[22:23], v[14:15], v[32:33]
	v_mul_f64 v[24:25], v[16:17], v[32:33]
	v_add_f64 v[18:19], v[20:21], v[18:19]
	v_add_f64 v[20:21], v[38:39], v[185:186]
	v_fma_f64 v[32:33], v[4:5], v[26:27], v[183:184]
	v_fma_f64 v[26:27], v[2:3], v[26:27], -v[28:29]
	v_fma_f64 v[16:17], v[16:17], v[30:31], v[22:23]
	v_fma_f64 v[14:15], v[14:15], v[30:31], -v[24:25]
	v_add_f64 v[18:19], v[18:19], v[10:11]
	v_add_f64 v[20:21], v[20:21], v[12:13]
	ds_load_b128 v[2:5], v1 offset:1344
	ds_load_b128 v[10:13], v1 offset:1360
	s_waitcnt vmcnt(3) lgkmcnt(1)
	v_mul_f64 v[28:29], v[2:3], v[36:37]
	v_mul_f64 v[36:37], v[4:5], v[36:37]
	s_waitcnt vmcnt(2) lgkmcnt(0)
	v_mul_f64 v[22:23], v[10:11], v[42:43]
	v_add_f64 v[18:19], v[18:19], v[26:27]
	v_add_f64 v[20:21], v[20:21], v[32:33]
	v_mul_f64 v[24:25], v[12:13], v[42:43]
	v_fma_f64 v[26:27], v[4:5], v[34:35], v[28:29]
	v_fma_f64 v[28:29], v[2:3], v[34:35], -v[36:37]
	v_fma_f64 v[12:13], v[12:13], v[40:41], v[22:23]
	v_add_f64 v[18:19], v[18:19], v[14:15]
	v_add_f64 v[20:21], v[20:21], v[16:17]
	ds_load_b128 v[2:5], v1 offset:1376
	ds_load_b128 v[14:17], v1 offset:1392
	v_fma_f64 v[10:11], v[10:11], v[40:41], -v[24:25]
	s_waitcnt vmcnt(0) lgkmcnt(1)
	v_mul_f64 v[30:31], v[2:3], v[191:192]
	v_mul_f64 v[32:33], v[4:5], v[191:192]
	s_waitcnt lgkmcnt(0)
	v_mul_f64 v[22:23], v[14:15], v[8:9]
	v_mul_f64 v[8:9], v[16:17], v[8:9]
	v_add_f64 v[18:19], v[18:19], v[28:29]
	v_add_f64 v[20:21], v[20:21], v[26:27]
	v_fma_f64 v[4:5], v[4:5], v[189:190], v[30:31]
	v_fma_f64 v[1:2], v[2:3], v[189:190], -v[32:33]
	v_fma_f64 v[16:17], v[16:17], v[6:7], v[22:23]
	v_fma_f64 v[6:7], v[14:15], v[6:7], -v[8:9]
	v_add_f64 v[10:11], v[18:19], v[10:11]
	v_add_f64 v[12:13], v[20:21], v[12:13]
	s_delay_alu instid0(VALU_DEP_2) | instskip(NEXT) | instid1(VALU_DEP_2)
	v_add_f64 v[1:2], v[10:11], v[1:2]
	v_add_f64 v[3:4], v[12:13], v[4:5]
	s_delay_alu instid0(VALU_DEP_2) | instskip(NEXT) | instid1(VALU_DEP_2)
	;; [unrolled: 3-line block ×3, first 2 shown]
	v_add_f64 v[1:2], v[179:180], -v[1:2]
	v_add_f64 v[3:4], v[181:182], -v[3:4]
	scratch_store_b128 off, v[1:4], off offset:336
	v_cmpx_lt_u32_e32 20, v134
	s_cbranch_execz .LBB43_237
; %bb.236:
	scratch_load_b128 v[1:4], v160, off
	v_mov_b32_e32 v5, 0
	s_delay_alu instid0(VALU_DEP_1)
	v_mov_b32_e32 v6, v5
	v_mov_b32_e32 v7, v5
	;; [unrolled: 1-line block ×3, first 2 shown]
	scratch_store_b128 off, v[5:8], off offset:320
	s_waitcnt vmcnt(0)
	ds_store_b128 v178, v[1:4]
.LBB43_237:
	s_or_b32 exec_lo, exec_lo, s2
	s_waitcnt lgkmcnt(0)
	s_waitcnt_vscnt null, 0x0
	s_barrier
	buffer_gl0_inv
	s_clause 0x7
	scratch_load_b128 v[2:5], off, off offset:336
	scratch_load_b128 v[6:9], off, off offset:352
	;; [unrolled: 1-line block ×8, first 2 shown]
	v_mov_b32_e32 v1, 0
	s_mov_b32 s2, exec_lo
	ds_load_b128 v[34:37], v1 offset:1040
	s_clause 0x1
	scratch_load_b128 v[38:41], off, off offset:464
	scratch_load_b128 v[42:45], off, off offset:320
	ds_load_b128 v[179:182], v1 offset:1056
	scratch_load_b128 v[183:186], off, off offset:480
	s_waitcnt vmcnt(10) lgkmcnt(1)
	v_mul_f64 v[187:188], v[36:37], v[4:5]
	v_mul_f64 v[4:5], v[34:35], v[4:5]
	s_delay_alu instid0(VALU_DEP_2) | instskip(NEXT) | instid1(VALU_DEP_2)
	v_fma_f64 v[193:194], v[34:35], v[2:3], -v[187:188]
	v_fma_f64 v[195:196], v[36:37], v[2:3], v[4:5]
	scratch_load_b128 v[34:37], off, off offset:496
	ds_load_b128 v[2:5], v1 offset:1072
	s_waitcnt vmcnt(10) lgkmcnt(1)
	v_mul_f64 v[191:192], v[179:180], v[8:9]
	v_mul_f64 v[8:9], v[181:182], v[8:9]
	ds_load_b128 v[187:190], v1 offset:1088
	s_waitcnt vmcnt(9) lgkmcnt(1)
	v_mul_f64 v[197:198], v[2:3], v[12:13]
	v_mul_f64 v[12:13], v[4:5], v[12:13]
	v_fma_f64 v[181:182], v[181:182], v[6:7], v[191:192]
	v_fma_f64 v[179:180], v[179:180], v[6:7], -v[8:9]
	v_add_f64 v[191:192], v[193:194], 0
	v_add_f64 v[193:194], v[195:196], 0
	scratch_load_b128 v[6:9], off, off offset:512
	v_fma_f64 v[197:198], v[4:5], v[10:11], v[197:198]
	v_fma_f64 v[199:200], v[2:3], v[10:11], -v[12:13]
	scratch_load_b128 v[10:13], off, off offset:528
	ds_load_b128 v[2:5], v1 offset:1104
	s_waitcnt vmcnt(10) lgkmcnt(1)
	v_mul_f64 v[195:196], v[187:188], v[16:17]
	v_mul_f64 v[16:17], v[189:190], v[16:17]
	v_add_f64 v[191:192], v[191:192], v[179:180]
	v_add_f64 v[193:194], v[193:194], v[181:182]
	s_waitcnt vmcnt(9) lgkmcnt(0)
	v_mul_f64 v[201:202], v[2:3], v[20:21]
	v_mul_f64 v[20:21], v[4:5], v[20:21]
	ds_load_b128 v[179:182], v1 offset:1120
	v_fma_f64 v[189:190], v[189:190], v[14:15], v[195:196]
	v_fma_f64 v[187:188], v[187:188], v[14:15], -v[16:17]
	scratch_load_b128 v[14:17], off, off offset:544
	v_add_f64 v[191:192], v[191:192], v[199:200]
	v_add_f64 v[193:194], v[193:194], v[197:198]
	v_fma_f64 v[197:198], v[4:5], v[18:19], v[201:202]
	v_fma_f64 v[199:200], v[2:3], v[18:19], -v[20:21]
	scratch_load_b128 v[18:21], off, off offset:560
	ds_load_b128 v[2:5], v1 offset:1136
	s_waitcnt vmcnt(10) lgkmcnt(1)
	v_mul_f64 v[195:196], v[179:180], v[24:25]
	v_mul_f64 v[24:25], v[181:182], v[24:25]
	s_waitcnt vmcnt(9) lgkmcnt(0)
	v_mul_f64 v[201:202], v[2:3], v[28:29]
	v_mul_f64 v[28:29], v[4:5], v[28:29]
	v_add_f64 v[191:192], v[191:192], v[187:188]
	v_add_f64 v[193:194], v[193:194], v[189:190]
	ds_load_b128 v[187:190], v1 offset:1152
	v_fma_f64 v[181:182], v[181:182], v[22:23], v[195:196]
	v_fma_f64 v[179:180], v[179:180], v[22:23], -v[24:25]
	scratch_load_b128 v[22:25], off, off offset:576
	v_add_f64 v[191:192], v[191:192], v[199:200]
	v_add_f64 v[193:194], v[193:194], v[197:198]
	v_fma_f64 v[197:198], v[4:5], v[26:27], v[201:202]
	v_fma_f64 v[199:200], v[2:3], v[26:27], -v[28:29]
	scratch_load_b128 v[26:29], off, off offset:592
	ds_load_b128 v[2:5], v1 offset:1168
	s_waitcnt vmcnt(10) lgkmcnt(1)
	v_mul_f64 v[195:196], v[187:188], v[32:33]
	v_mul_f64 v[32:33], v[189:190], v[32:33]
	s_waitcnt vmcnt(9) lgkmcnt(0)
	v_mul_f64 v[201:202], v[2:3], v[40:41]
	v_mul_f64 v[40:41], v[4:5], v[40:41]
	v_add_f64 v[191:192], v[191:192], v[179:180]
	v_add_f64 v[193:194], v[193:194], v[181:182]
	ds_load_b128 v[179:182], v1 offset:1184
	v_fma_f64 v[189:190], v[189:190], v[30:31], v[195:196]
	v_fma_f64 v[187:188], v[187:188], v[30:31], -v[32:33]
	scratch_load_b128 v[30:33], off, off offset:608
	v_add_f64 v[191:192], v[191:192], v[199:200]
	v_add_f64 v[193:194], v[193:194], v[197:198]
	v_fma_f64 v[199:200], v[4:5], v[38:39], v[201:202]
	v_fma_f64 v[201:202], v[2:3], v[38:39], -v[40:41]
	scratch_load_b128 v[38:41], off, off offset:624
	ds_load_b128 v[2:5], v1 offset:1200
	s_waitcnt vmcnt(9) lgkmcnt(1)
	v_mul_f64 v[195:196], v[179:180], v[185:186]
	v_mul_f64 v[197:198], v[181:182], v[185:186]
	v_add_f64 v[191:192], v[191:192], v[187:188]
	v_add_f64 v[189:190], v[193:194], v[189:190]
	ds_load_b128 v[185:188], v1 offset:1216
	v_fma_f64 v[195:196], v[181:182], v[183:184], v[195:196]
	v_fma_f64 v[183:184], v[179:180], v[183:184], -v[197:198]
	scratch_load_b128 v[179:182], off, off offset:640
	s_waitcnt vmcnt(9) lgkmcnt(1)
	v_mul_f64 v[193:194], v[2:3], v[36:37]
	v_mul_f64 v[36:37], v[4:5], v[36:37]
	v_add_f64 v[191:192], v[191:192], v[201:202]
	v_add_f64 v[189:190], v[189:190], v[199:200]
	s_delay_alu instid0(VALU_DEP_4) | instskip(NEXT) | instid1(VALU_DEP_4)
	v_fma_f64 v[193:194], v[4:5], v[34:35], v[193:194]
	v_fma_f64 v[199:200], v[2:3], v[34:35], -v[36:37]
	scratch_load_b128 v[34:37], off, off offset:656
	ds_load_b128 v[2:5], v1 offset:1232
	s_waitcnt vmcnt(9) lgkmcnt(1)
	v_mul_f64 v[197:198], v[185:186], v[8:9]
	v_mul_f64 v[8:9], v[187:188], v[8:9]
	s_waitcnt vmcnt(8) lgkmcnt(0)
	v_mul_f64 v[201:202], v[2:3], v[12:13]
	v_mul_f64 v[12:13], v[4:5], v[12:13]
	v_add_f64 v[183:184], v[191:192], v[183:184]
	v_add_f64 v[195:196], v[189:190], v[195:196]
	ds_load_b128 v[189:192], v1 offset:1248
	v_fma_f64 v[187:188], v[187:188], v[6:7], v[197:198]
	v_fma_f64 v[185:186], v[185:186], v[6:7], -v[8:9]
	scratch_load_b128 v[6:9], off, off offset:672
	v_fma_f64 v[197:198], v[4:5], v[10:11], v[201:202]
	v_add_f64 v[183:184], v[183:184], v[199:200]
	v_add_f64 v[193:194], v[195:196], v[193:194]
	v_fma_f64 v[199:200], v[2:3], v[10:11], -v[12:13]
	scratch_load_b128 v[10:13], off, off offset:688
	ds_load_b128 v[2:5], v1 offset:1264
	s_waitcnt vmcnt(9) lgkmcnt(1)
	v_mul_f64 v[195:196], v[189:190], v[16:17]
	v_mul_f64 v[16:17], v[191:192], v[16:17]
	v_add_f64 v[201:202], v[183:184], v[185:186]
	v_add_f64 v[187:188], v[193:194], v[187:188]
	s_waitcnt vmcnt(8) lgkmcnt(0)
	v_mul_f64 v[193:194], v[2:3], v[20:21]
	v_mul_f64 v[20:21], v[4:5], v[20:21]
	ds_load_b128 v[183:186], v1 offset:1280
	v_fma_f64 v[191:192], v[191:192], v[14:15], v[195:196]
	v_fma_f64 v[14:15], v[189:190], v[14:15], -v[16:17]
	s_waitcnt vmcnt(7) lgkmcnt(0)
	v_mul_f64 v[189:190], v[183:184], v[24:25]
	v_mul_f64 v[24:25], v[185:186], v[24:25]
	v_add_f64 v[16:17], v[201:202], v[199:200]
	v_add_f64 v[187:188], v[187:188], v[197:198]
	v_fma_f64 v[193:194], v[4:5], v[18:19], v[193:194]
	v_fma_f64 v[18:19], v[2:3], v[18:19], -v[20:21]
	v_fma_f64 v[185:186], v[185:186], v[22:23], v[189:190]
	v_fma_f64 v[22:23], v[183:184], v[22:23], -v[24:25]
	v_add_f64 v[20:21], v[16:17], v[14:15]
	v_add_f64 v[187:188], v[187:188], v[191:192]
	ds_load_b128 v[2:5], v1 offset:1296
	ds_load_b128 v[14:17], v1 offset:1312
	s_waitcnt vmcnt(6) lgkmcnt(1)
	v_mul_f64 v[191:192], v[2:3], v[28:29]
	v_mul_f64 v[28:29], v[4:5], v[28:29]
	s_waitcnt vmcnt(5) lgkmcnt(0)
	v_mul_f64 v[24:25], v[14:15], v[32:33]
	v_mul_f64 v[32:33], v[16:17], v[32:33]
	v_add_f64 v[18:19], v[20:21], v[18:19]
	v_add_f64 v[20:21], v[187:188], v[193:194]
	v_fma_f64 v[183:184], v[4:5], v[26:27], v[191:192]
	v_fma_f64 v[26:27], v[2:3], v[26:27], -v[28:29]
	v_fma_f64 v[16:17], v[16:17], v[30:31], v[24:25]
	v_fma_f64 v[14:15], v[14:15], v[30:31], -v[32:33]
	v_add_f64 v[22:23], v[18:19], v[22:23]
	v_add_f64 v[28:29], v[20:21], v[185:186]
	ds_load_b128 v[2:5], v1 offset:1328
	ds_load_b128 v[18:21], v1 offset:1344
	s_waitcnt vmcnt(4) lgkmcnt(1)
	v_mul_f64 v[185:186], v[2:3], v[40:41]
	v_mul_f64 v[40:41], v[4:5], v[40:41]
	v_add_f64 v[22:23], v[22:23], v[26:27]
	v_add_f64 v[24:25], v[28:29], v[183:184]
	s_waitcnt vmcnt(3) lgkmcnt(0)
	v_mul_f64 v[26:27], v[18:19], v[181:182]
	v_mul_f64 v[28:29], v[20:21], v[181:182]
	v_fma_f64 v[30:31], v[4:5], v[38:39], v[185:186]
	v_fma_f64 v[32:33], v[2:3], v[38:39], -v[40:41]
	v_add_f64 v[22:23], v[22:23], v[14:15]
	v_add_f64 v[24:25], v[24:25], v[16:17]
	ds_load_b128 v[2:5], v1 offset:1360
	ds_load_b128 v[14:17], v1 offset:1376
	v_fma_f64 v[20:21], v[20:21], v[179:180], v[26:27]
	v_fma_f64 v[18:19], v[18:19], v[179:180], -v[28:29]
	s_waitcnt vmcnt(2) lgkmcnt(1)
	v_mul_f64 v[38:39], v[2:3], v[36:37]
	v_mul_f64 v[36:37], v[4:5], v[36:37]
	s_waitcnt vmcnt(1) lgkmcnt(0)
	v_mul_f64 v[26:27], v[14:15], v[8:9]
	v_mul_f64 v[8:9], v[16:17], v[8:9]
	v_add_f64 v[22:23], v[22:23], v[32:33]
	v_add_f64 v[24:25], v[24:25], v[30:31]
	v_fma_f64 v[28:29], v[4:5], v[34:35], v[38:39]
	v_fma_f64 v[30:31], v[2:3], v[34:35], -v[36:37]
	ds_load_b128 v[2:5], v1 offset:1392
	v_fma_f64 v[16:17], v[16:17], v[6:7], v[26:27]
	v_fma_f64 v[6:7], v[14:15], v[6:7], -v[8:9]
	v_add_f64 v[18:19], v[22:23], v[18:19]
	v_add_f64 v[20:21], v[24:25], v[20:21]
	s_waitcnt vmcnt(0) lgkmcnt(0)
	v_mul_f64 v[22:23], v[2:3], v[12:13]
	v_mul_f64 v[12:13], v[4:5], v[12:13]
	s_delay_alu instid0(VALU_DEP_4) | instskip(NEXT) | instid1(VALU_DEP_4)
	v_add_f64 v[8:9], v[18:19], v[30:31]
	v_add_f64 v[14:15], v[20:21], v[28:29]
	s_delay_alu instid0(VALU_DEP_4) | instskip(NEXT) | instid1(VALU_DEP_4)
	v_fma_f64 v[4:5], v[4:5], v[10:11], v[22:23]
	v_fma_f64 v[2:3], v[2:3], v[10:11], -v[12:13]
	s_delay_alu instid0(VALU_DEP_4) | instskip(NEXT) | instid1(VALU_DEP_4)
	v_add_f64 v[6:7], v[8:9], v[6:7]
	v_add_f64 v[8:9], v[14:15], v[16:17]
	s_delay_alu instid0(VALU_DEP_2) | instskip(NEXT) | instid1(VALU_DEP_2)
	v_add_f64 v[2:3], v[6:7], v[2:3]
	v_add_f64 v[4:5], v[8:9], v[4:5]
	s_delay_alu instid0(VALU_DEP_2) | instskip(NEXT) | instid1(VALU_DEP_2)
	v_add_f64 v[2:3], v[42:43], -v[2:3]
	v_add_f64 v[4:5], v[44:45], -v[4:5]
	scratch_store_b128 off, v[2:5], off offset:320
	v_cmpx_lt_u32_e32 19, v134
	s_cbranch_execz .LBB43_239
; %bb.238:
	scratch_load_b128 v[5:8], v161, off
	v_mov_b32_e32 v2, v1
	v_mov_b32_e32 v3, v1
	;; [unrolled: 1-line block ×3, first 2 shown]
	scratch_store_b128 off, v[1:4], off offset:304
	s_waitcnt vmcnt(0)
	ds_store_b128 v178, v[5:8]
.LBB43_239:
	s_or_b32 exec_lo, exec_lo, s2
	s_waitcnt lgkmcnt(0)
	s_waitcnt_vscnt null, 0x0
	s_barrier
	buffer_gl0_inv
	s_clause 0x8
	scratch_load_b128 v[2:5], off, off offset:320
	scratch_load_b128 v[6:9], off, off offset:336
	;; [unrolled: 1-line block ×9, first 2 shown]
	ds_load_b128 v[38:41], v1 offset:1024
	ds_load_b128 v[42:45], v1 offset:1040
	s_clause 0x1
	scratch_load_b128 v[179:182], off, off offset:304
	scratch_load_b128 v[183:186], off, off offset:464
	s_mov_b32 s2, exec_lo
	s_waitcnt vmcnt(10) lgkmcnt(1)
	v_mul_f64 v[187:188], v[40:41], v[4:5]
	v_mul_f64 v[4:5], v[38:39], v[4:5]
	s_waitcnt vmcnt(9) lgkmcnt(0)
	v_mul_f64 v[191:192], v[42:43], v[8:9]
	v_mul_f64 v[8:9], v[44:45], v[8:9]
	s_delay_alu instid0(VALU_DEP_4) | instskip(NEXT) | instid1(VALU_DEP_4)
	v_fma_f64 v[193:194], v[38:39], v[2:3], -v[187:188]
	v_fma_f64 v[195:196], v[40:41], v[2:3], v[4:5]
	ds_load_b128 v[2:5], v1 offset:1056
	ds_load_b128 v[187:190], v1 offset:1072
	scratch_load_b128 v[38:41], off, off offset:480
	v_fma_f64 v[44:45], v[44:45], v[6:7], v[191:192]
	v_fma_f64 v[42:43], v[42:43], v[6:7], -v[8:9]
	scratch_load_b128 v[6:9], off, off offset:496
	s_waitcnt vmcnt(10) lgkmcnt(1)
	v_mul_f64 v[197:198], v[2:3], v[12:13]
	v_mul_f64 v[12:13], v[4:5], v[12:13]
	v_add_f64 v[191:192], v[193:194], 0
	v_add_f64 v[193:194], v[195:196], 0
	s_waitcnt vmcnt(9) lgkmcnt(0)
	v_mul_f64 v[195:196], v[187:188], v[16:17]
	v_mul_f64 v[16:17], v[189:190], v[16:17]
	v_fma_f64 v[197:198], v[4:5], v[10:11], v[197:198]
	v_fma_f64 v[199:200], v[2:3], v[10:11], -v[12:13]
	ds_load_b128 v[2:5], v1 offset:1088
	scratch_load_b128 v[10:13], off, off offset:512
	v_add_f64 v[191:192], v[191:192], v[42:43]
	v_add_f64 v[193:194], v[193:194], v[44:45]
	ds_load_b128 v[42:45], v1 offset:1104
	v_fma_f64 v[189:190], v[189:190], v[14:15], v[195:196]
	v_fma_f64 v[187:188], v[187:188], v[14:15], -v[16:17]
	scratch_load_b128 v[14:17], off, off offset:528
	s_waitcnt vmcnt(10) lgkmcnt(1)
	v_mul_f64 v[201:202], v[2:3], v[20:21]
	v_mul_f64 v[20:21], v[4:5], v[20:21]
	s_waitcnt vmcnt(9) lgkmcnt(0)
	v_mul_f64 v[195:196], v[42:43], v[24:25]
	v_mul_f64 v[24:25], v[44:45], v[24:25]
	v_add_f64 v[191:192], v[191:192], v[199:200]
	v_add_f64 v[193:194], v[193:194], v[197:198]
	v_fma_f64 v[197:198], v[4:5], v[18:19], v[201:202]
	v_fma_f64 v[199:200], v[2:3], v[18:19], -v[20:21]
	ds_load_b128 v[2:5], v1 offset:1120
	scratch_load_b128 v[18:21], off, off offset:544
	v_fma_f64 v[44:45], v[44:45], v[22:23], v[195:196]
	v_fma_f64 v[42:43], v[42:43], v[22:23], -v[24:25]
	scratch_load_b128 v[22:25], off, off offset:560
	v_add_f64 v[191:192], v[191:192], v[187:188]
	v_add_f64 v[193:194], v[193:194], v[189:190]
	ds_load_b128 v[187:190], v1 offset:1136
	s_waitcnt vmcnt(10) lgkmcnt(1)
	v_mul_f64 v[201:202], v[2:3], v[28:29]
	v_mul_f64 v[28:29], v[4:5], v[28:29]
	s_waitcnt vmcnt(9) lgkmcnt(0)
	v_mul_f64 v[195:196], v[187:188], v[32:33]
	v_mul_f64 v[32:33], v[189:190], v[32:33]
	v_add_f64 v[191:192], v[191:192], v[199:200]
	v_add_f64 v[193:194], v[193:194], v[197:198]
	v_fma_f64 v[197:198], v[4:5], v[26:27], v[201:202]
	v_fma_f64 v[199:200], v[2:3], v[26:27], -v[28:29]
	ds_load_b128 v[2:5], v1 offset:1152
	scratch_load_b128 v[26:29], off, off offset:576
	v_fma_f64 v[189:190], v[189:190], v[30:31], v[195:196]
	v_fma_f64 v[187:188], v[187:188], v[30:31], -v[32:33]
	scratch_load_b128 v[30:33], off, off offset:592
	v_add_f64 v[191:192], v[191:192], v[42:43]
	v_add_f64 v[193:194], v[193:194], v[44:45]
	ds_load_b128 v[42:45], v1 offset:1168
	s_waitcnt vmcnt(10) lgkmcnt(1)
	v_mul_f64 v[201:202], v[2:3], v[36:37]
	v_mul_f64 v[36:37], v[4:5], v[36:37]
	s_waitcnt vmcnt(8) lgkmcnt(0)
	v_mul_f64 v[195:196], v[42:43], v[185:186]
	v_add_f64 v[191:192], v[191:192], v[199:200]
	v_add_f64 v[193:194], v[193:194], v[197:198]
	v_mul_f64 v[197:198], v[44:45], v[185:186]
	v_fma_f64 v[199:200], v[4:5], v[34:35], v[201:202]
	v_fma_f64 v[201:202], v[2:3], v[34:35], -v[36:37]
	ds_load_b128 v[2:5], v1 offset:1184
	scratch_load_b128 v[34:37], off, off offset:608
	v_fma_f64 v[44:45], v[44:45], v[183:184], v[195:196]
	v_add_f64 v[191:192], v[191:192], v[187:188]
	v_add_f64 v[189:190], v[193:194], v[189:190]
	ds_load_b128 v[185:188], v1 offset:1200
	v_fma_f64 v[183:184], v[42:43], v[183:184], -v[197:198]
	s_waitcnt vmcnt(8) lgkmcnt(1)
	v_mul_f64 v[193:194], v[2:3], v[40:41]
	v_mul_f64 v[203:204], v[4:5], v[40:41]
	scratch_load_b128 v[40:43], off, off offset:624
	s_waitcnt vmcnt(8) lgkmcnt(0)
	v_mul_f64 v[197:198], v[185:186], v[8:9]
	v_mul_f64 v[8:9], v[187:188], v[8:9]
	v_add_f64 v[191:192], v[191:192], v[201:202]
	v_add_f64 v[189:190], v[189:190], v[199:200]
	v_fma_f64 v[199:200], v[4:5], v[38:39], v[193:194]
	v_fma_f64 v[38:39], v[2:3], v[38:39], -v[203:204]
	ds_load_b128 v[2:5], v1 offset:1216
	ds_load_b128 v[193:196], v1 offset:1232
	v_fma_f64 v[187:188], v[187:188], v[6:7], v[197:198]
	v_fma_f64 v[185:186], v[185:186], v[6:7], -v[8:9]
	scratch_load_b128 v[6:9], off, off offset:656
	v_add_f64 v[183:184], v[191:192], v[183:184]
	v_add_f64 v[44:45], v[189:190], v[44:45]
	scratch_load_b128 v[189:192], off, off offset:640
	s_waitcnt vmcnt(9) lgkmcnt(1)
	v_mul_f64 v[201:202], v[2:3], v[12:13]
	v_mul_f64 v[12:13], v[4:5], v[12:13]
	s_waitcnt vmcnt(8) lgkmcnt(0)
	v_mul_f64 v[197:198], v[193:194], v[16:17]
	v_mul_f64 v[16:17], v[195:196], v[16:17]
	v_add_f64 v[38:39], v[183:184], v[38:39]
	v_add_f64 v[44:45], v[44:45], v[199:200]
	v_fma_f64 v[199:200], v[4:5], v[10:11], v[201:202]
	v_fma_f64 v[201:202], v[2:3], v[10:11], -v[12:13]
	ds_load_b128 v[2:5], v1 offset:1248
	scratch_load_b128 v[10:13], off, off offset:672
	v_fma_f64 v[195:196], v[195:196], v[14:15], v[197:198]
	v_fma_f64 v[193:194], v[193:194], v[14:15], -v[16:17]
	scratch_load_b128 v[14:17], off, off offset:688
	v_add_f64 v[38:39], v[38:39], v[185:186]
	v_add_f64 v[44:45], v[44:45], v[187:188]
	ds_load_b128 v[183:186], v1 offset:1264
	s_waitcnt vmcnt(9) lgkmcnt(1)
	v_mul_f64 v[187:188], v[2:3], v[20:21]
	v_mul_f64 v[20:21], v[4:5], v[20:21]
	s_waitcnt vmcnt(8) lgkmcnt(0)
	v_mul_f64 v[197:198], v[183:184], v[24:25]
	v_mul_f64 v[24:25], v[185:186], v[24:25]
	v_add_f64 v[38:39], v[38:39], v[201:202]
	v_add_f64 v[44:45], v[44:45], v[199:200]
	v_fma_f64 v[187:188], v[4:5], v[18:19], v[187:188]
	v_fma_f64 v[199:200], v[2:3], v[18:19], -v[20:21]
	ds_load_b128 v[2:5], v1 offset:1280
	ds_load_b128 v[18:21], v1 offset:1296
	v_fma_f64 v[185:186], v[185:186], v[22:23], v[197:198]
	v_fma_f64 v[22:23], v[183:184], v[22:23], -v[24:25]
	v_add_f64 v[38:39], v[38:39], v[193:194]
	v_add_f64 v[44:45], v[44:45], v[195:196]
	s_waitcnt vmcnt(7) lgkmcnt(1)
	v_mul_f64 v[193:194], v[2:3], v[28:29]
	v_mul_f64 v[28:29], v[4:5], v[28:29]
	s_delay_alu instid0(VALU_DEP_4) | instskip(NEXT) | instid1(VALU_DEP_4)
	v_add_f64 v[24:25], v[38:39], v[199:200]
	v_add_f64 v[38:39], v[44:45], v[187:188]
	s_waitcnt vmcnt(6) lgkmcnt(0)
	v_mul_f64 v[44:45], v[18:19], v[32:33]
	v_mul_f64 v[32:33], v[20:21], v[32:33]
	v_fma_f64 v[183:184], v[4:5], v[26:27], v[193:194]
	v_fma_f64 v[26:27], v[2:3], v[26:27], -v[28:29]
	v_add_f64 v[28:29], v[24:25], v[22:23]
	v_add_f64 v[38:39], v[38:39], v[185:186]
	ds_load_b128 v[2:5], v1 offset:1312
	ds_load_b128 v[22:25], v1 offset:1328
	v_fma_f64 v[20:21], v[20:21], v[30:31], v[44:45]
	v_fma_f64 v[18:19], v[18:19], v[30:31], -v[32:33]
	s_waitcnt vmcnt(5) lgkmcnt(1)
	v_mul_f64 v[185:186], v[2:3], v[36:37]
	v_mul_f64 v[36:37], v[4:5], v[36:37]
	s_waitcnt vmcnt(4) lgkmcnt(0)
	v_mul_f64 v[30:31], v[22:23], v[42:43]
	v_add_f64 v[26:27], v[28:29], v[26:27]
	v_add_f64 v[28:29], v[38:39], v[183:184]
	v_mul_f64 v[32:33], v[24:25], v[42:43]
	v_fma_f64 v[38:39], v[4:5], v[34:35], v[185:186]
	v_fma_f64 v[34:35], v[2:3], v[34:35], -v[36:37]
	v_fma_f64 v[24:25], v[24:25], v[40:41], v[30:31]
	v_add_f64 v[26:27], v[26:27], v[18:19]
	v_add_f64 v[28:29], v[28:29], v[20:21]
	ds_load_b128 v[2:5], v1 offset:1344
	ds_load_b128 v[18:21], v1 offset:1360
	v_fma_f64 v[22:23], v[22:23], v[40:41], -v[32:33]
	s_waitcnt vmcnt(2) lgkmcnt(1)
	v_mul_f64 v[36:37], v[2:3], v[191:192]
	v_mul_f64 v[42:43], v[4:5], v[191:192]
	s_waitcnt lgkmcnt(0)
	v_mul_f64 v[30:31], v[18:19], v[8:9]
	v_mul_f64 v[8:9], v[20:21], v[8:9]
	v_add_f64 v[26:27], v[26:27], v[34:35]
	v_add_f64 v[28:29], v[28:29], v[38:39]
	v_fma_f64 v[32:33], v[4:5], v[189:190], v[36:37]
	v_fma_f64 v[34:35], v[2:3], v[189:190], -v[42:43]
	v_fma_f64 v[20:21], v[20:21], v[6:7], v[30:31]
	v_fma_f64 v[6:7], v[18:19], v[6:7], -v[8:9]
	v_add_f64 v[26:27], v[26:27], v[22:23]
	v_add_f64 v[28:29], v[28:29], v[24:25]
	ds_load_b128 v[2:5], v1 offset:1376
	ds_load_b128 v[22:25], v1 offset:1392
	s_waitcnt vmcnt(1) lgkmcnt(1)
	v_mul_f64 v[36:37], v[2:3], v[12:13]
	v_mul_f64 v[12:13], v[4:5], v[12:13]
	v_add_f64 v[8:9], v[26:27], v[34:35]
	v_add_f64 v[18:19], v[28:29], v[32:33]
	s_waitcnt vmcnt(0) lgkmcnt(0)
	v_mul_f64 v[26:27], v[22:23], v[16:17]
	v_mul_f64 v[16:17], v[24:25], v[16:17]
	v_fma_f64 v[4:5], v[4:5], v[10:11], v[36:37]
	v_fma_f64 v[1:2], v[2:3], v[10:11], -v[12:13]
	v_add_f64 v[6:7], v[8:9], v[6:7]
	v_add_f64 v[8:9], v[18:19], v[20:21]
	v_fma_f64 v[10:11], v[24:25], v[14:15], v[26:27]
	v_fma_f64 v[12:13], v[22:23], v[14:15], -v[16:17]
	s_delay_alu instid0(VALU_DEP_4) | instskip(NEXT) | instid1(VALU_DEP_4)
	v_add_f64 v[1:2], v[6:7], v[1:2]
	v_add_f64 v[3:4], v[8:9], v[4:5]
	s_delay_alu instid0(VALU_DEP_2) | instskip(NEXT) | instid1(VALU_DEP_2)
	v_add_f64 v[1:2], v[1:2], v[12:13]
	v_add_f64 v[3:4], v[3:4], v[10:11]
	s_delay_alu instid0(VALU_DEP_2) | instskip(NEXT) | instid1(VALU_DEP_2)
	v_add_f64 v[1:2], v[179:180], -v[1:2]
	v_add_f64 v[3:4], v[181:182], -v[3:4]
	scratch_store_b128 off, v[1:4], off offset:304
	v_cmpx_lt_u32_e32 18, v134
	s_cbranch_execz .LBB43_241
; %bb.240:
	scratch_load_b128 v[1:4], v162, off
	v_mov_b32_e32 v5, 0
	s_delay_alu instid0(VALU_DEP_1)
	v_mov_b32_e32 v6, v5
	v_mov_b32_e32 v7, v5
	;; [unrolled: 1-line block ×3, first 2 shown]
	scratch_store_b128 off, v[5:8], off offset:288
	s_waitcnt vmcnt(0)
	ds_store_b128 v178, v[1:4]
.LBB43_241:
	s_or_b32 exec_lo, exec_lo, s2
	s_waitcnt lgkmcnt(0)
	s_waitcnt_vscnt null, 0x0
	s_barrier
	buffer_gl0_inv
	s_clause 0x7
	scratch_load_b128 v[2:5], off, off offset:304
	scratch_load_b128 v[6:9], off, off offset:320
	;; [unrolled: 1-line block ×8, first 2 shown]
	v_mov_b32_e32 v1, 0
	s_mov_b32 s2, exec_lo
	ds_load_b128 v[34:37], v1 offset:1008
	s_clause 0x1
	scratch_load_b128 v[38:41], off, off offset:432
	scratch_load_b128 v[42:45], off, off offset:288
	ds_load_b128 v[179:182], v1 offset:1024
	scratch_load_b128 v[183:186], off, off offset:448
	s_waitcnt vmcnt(10) lgkmcnt(1)
	v_mul_f64 v[187:188], v[36:37], v[4:5]
	v_mul_f64 v[4:5], v[34:35], v[4:5]
	s_delay_alu instid0(VALU_DEP_2) | instskip(NEXT) | instid1(VALU_DEP_2)
	v_fma_f64 v[193:194], v[34:35], v[2:3], -v[187:188]
	v_fma_f64 v[195:196], v[36:37], v[2:3], v[4:5]
	scratch_load_b128 v[34:37], off, off offset:464
	ds_load_b128 v[2:5], v1 offset:1040
	s_waitcnt vmcnt(10) lgkmcnt(1)
	v_mul_f64 v[191:192], v[179:180], v[8:9]
	v_mul_f64 v[8:9], v[181:182], v[8:9]
	ds_load_b128 v[187:190], v1 offset:1056
	s_waitcnt vmcnt(9) lgkmcnt(1)
	v_mul_f64 v[197:198], v[2:3], v[12:13]
	v_mul_f64 v[12:13], v[4:5], v[12:13]
	v_fma_f64 v[181:182], v[181:182], v[6:7], v[191:192]
	v_fma_f64 v[179:180], v[179:180], v[6:7], -v[8:9]
	v_add_f64 v[191:192], v[193:194], 0
	v_add_f64 v[193:194], v[195:196], 0
	scratch_load_b128 v[6:9], off, off offset:480
	v_fma_f64 v[197:198], v[4:5], v[10:11], v[197:198]
	v_fma_f64 v[199:200], v[2:3], v[10:11], -v[12:13]
	scratch_load_b128 v[10:13], off, off offset:496
	ds_load_b128 v[2:5], v1 offset:1072
	s_waitcnt vmcnt(10) lgkmcnt(1)
	v_mul_f64 v[195:196], v[187:188], v[16:17]
	v_mul_f64 v[16:17], v[189:190], v[16:17]
	v_add_f64 v[191:192], v[191:192], v[179:180]
	v_add_f64 v[193:194], v[193:194], v[181:182]
	s_waitcnt vmcnt(9) lgkmcnt(0)
	v_mul_f64 v[201:202], v[2:3], v[20:21]
	v_mul_f64 v[20:21], v[4:5], v[20:21]
	ds_load_b128 v[179:182], v1 offset:1088
	v_fma_f64 v[189:190], v[189:190], v[14:15], v[195:196]
	v_fma_f64 v[187:188], v[187:188], v[14:15], -v[16:17]
	scratch_load_b128 v[14:17], off, off offset:512
	v_add_f64 v[191:192], v[191:192], v[199:200]
	v_add_f64 v[193:194], v[193:194], v[197:198]
	v_fma_f64 v[197:198], v[4:5], v[18:19], v[201:202]
	v_fma_f64 v[199:200], v[2:3], v[18:19], -v[20:21]
	scratch_load_b128 v[18:21], off, off offset:528
	ds_load_b128 v[2:5], v1 offset:1104
	s_waitcnt vmcnt(10) lgkmcnt(1)
	v_mul_f64 v[195:196], v[179:180], v[24:25]
	v_mul_f64 v[24:25], v[181:182], v[24:25]
	s_waitcnt vmcnt(9) lgkmcnt(0)
	v_mul_f64 v[201:202], v[2:3], v[28:29]
	v_mul_f64 v[28:29], v[4:5], v[28:29]
	v_add_f64 v[191:192], v[191:192], v[187:188]
	v_add_f64 v[193:194], v[193:194], v[189:190]
	ds_load_b128 v[187:190], v1 offset:1120
	v_fma_f64 v[181:182], v[181:182], v[22:23], v[195:196]
	v_fma_f64 v[179:180], v[179:180], v[22:23], -v[24:25]
	scratch_load_b128 v[22:25], off, off offset:544
	v_add_f64 v[191:192], v[191:192], v[199:200]
	v_add_f64 v[193:194], v[193:194], v[197:198]
	v_fma_f64 v[197:198], v[4:5], v[26:27], v[201:202]
	v_fma_f64 v[199:200], v[2:3], v[26:27], -v[28:29]
	scratch_load_b128 v[26:29], off, off offset:560
	ds_load_b128 v[2:5], v1 offset:1136
	s_waitcnt vmcnt(10) lgkmcnt(1)
	v_mul_f64 v[195:196], v[187:188], v[32:33]
	v_mul_f64 v[32:33], v[189:190], v[32:33]
	s_waitcnt vmcnt(9) lgkmcnt(0)
	v_mul_f64 v[201:202], v[2:3], v[40:41]
	v_mul_f64 v[40:41], v[4:5], v[40:41]
	v_add_f64 v[191:192], v[191:192], v[179:180]
	v_add_f64 v[193:194], v[193:194], v[181:182]
	ds_load_b128 v[179:182], v1 offset:1152
	v_fma_f64 v[189:190], v[189:190], v[30:31], v[195:196]
	v_fma_f64 v[187:188], v[187:188], v[30:31], -v[32:33]
	scratch_load_b128 v[30:33], off, off offset:576
	v_add_f64 v[191:192], v[191:192], v[199:200]
	v_add_f64 v[193:194], v[193:194], v[197:198]
	v_fma_f64 v[199:200], v[4:5], v[38:39], v[201:202]
	v_fma_f64 v[201:202], v[2:3], v[38:39], -v[40:41]
	scratch_load_b128 v[38:41], off, off offset:592
	ds_load_b128 v[2:5], v1 offset:1168
	s_waitcnt vmcnt(9) lgkmcnt(1)
	v_mul_f64 v[195:196], v[179:180], v[185:186]
	v_mul_f64 v[197:198], v[181:182], v[185:186]
	v_add_f64 v[191:192], v[191:192], v[187:188]
	v_add_f64 v[189:190], v[193:194], v[189:190]
	ds_load_b128 v[185:188], v1 offset:1184
	v_fma_f64 v[195:196], v[181:182], v[183:184], v[195:196]
	v_fma_f64 v[183:184], v[179:180], v[183:184], -v[197:198]
	scratch_load_b128 v[179:182], off, off offset:608
	s_waitcnt vmcnt(9) lgkmcnt(1)
	v_mul_f64 v[193:194], v[2:3], v[36:37]
	v_mul_f64 v[36:37], v[4:5], v[36:37]
	v_add_f64 v[191:192], v[191:192], v[201:202]
	v_add_f64 v[189:190], v[189:190], v[199:200]
	s_delay_alu instid0(VALU_DEP_4) | instskip(NEXT) | instid1(VALU_DEP_4)
	v_fma_f64 v[193:194], v[4:5], v[34:35], v[193:194]
	v_fma_f64 v[199:200], v[2:3], v[34:35], -v[36:37]
	scratch_load_b128 v[34:37], off, off offset:624
	ds_load_b128 v[2:5], v1 offset:1200
	s_waitcnt vmcnt(9) lgkmcnt(1)
	v_mul_f64 v[197:198], v[185:186], v[8:9]
	v_mul_f64 v[8:9], v[187:188], v[8:9]
	s_waitcnt vmcnt(8) lgkmcnt(0)
	v_mul_f64 v[201:202], v[2:3], v[12:13]
	v_mul_f64 v[12:13], v[4:5], v[12:13]
	v_add_f64 v[183:184], v[191:192], v[183:184]
	v_add_f64 v[195:196], v[189:190], v[195:196]
	ds_load_b128 v[189:192], v1 offset:1216
	v_fma_f64 v[187:188], v[187:188], v[6:7], v[197:198]
	v_fma_f64 v[185:186], v[185:186], v[6:7], -v[8:9]
	scratch_load_b128 v[6:9], off, off offset:640
	v_fma_f64 v[197:198], v[4:5], v[10:11], v[201:202]
	v_add_f64 v[183:184], v[183:184], v[199:200]
	v_add_f64 v[193:194], v[195:196], v[193:194]
	v_fma_f64 v[199:200], v[2:3], v[10:11], -v[12:13]
	scratch_load_b128 v[10:13], off, off offset:656
	ds_load_b128 v[2:5], v1 offset:1232
	s_waitcnt vmcnt(9) lgkmcnt(1)
	v_mul_f64 v[195:196], v[189:190], v[16:17]
	v_mul_f64 v[16:17], v[191:192], v[16:17]
	v_add_f64 v[201:202], v[183:184], v[185:186]
	v_add_f64 v[187:188], v[193:194], v[187:188]
	s_waitcnt vmcnt(8) lgkmcnt(0)
	v_mul_f64 v[193:194], v[2:3], v[20:21]
	v_mul_f64 v[20:21], v[4:5], v[20:21]
	ds_load_b128 v[183:186], v1 offset:1248
	v_fma_f64 v[191:192], v[191:192], v[14:15], v[195:196]
	v_fma_f64 v[189:190], v[189:190], v[14:15], -v[16:17]
	scratch_load_b128 v[14:17], off, off offset:672
	v_add_f64 v[195:196], v[201:202], v[199:200]
	v_add_f64 v[187:188], v[187:188], v[197:198]
	v_fma_f64 v[193:194], v[4:5], v[18:19], v[193:194]
	v_fma_f64 v[199:200], v[2:3], v[18:19], -v[20:21]
	scratch_load_b128 v[18:21], off, off offset:688
	ds_load_b128 v[2:5], v1 offset:1264
	s_waitcnt vmcnt(9) lgkmcnt(1)
	v_mul_f64 v[197:198], v[183:184], v[24:25]
	v_mul_f64 v[24:25], v[185:186], v[24:25]
	s_waitcnt vmcnt(8) lgkmcnt(0)
	v_mul_f64 v[201:202], v[2:3], v[28:29]
	v_mul_f64 v[28:29], v[4:5], v[28:29]
	v_add_f64 v[195:196], v[195:196], v[189:190]
	v_add_f64 v[191:192], v[187:188], v[191:192]
	ds_load_b128 v[187:190], v1 offset:1280
	v_fma_f64 v[185:186], v[185:186], v[22:23], v[197:198]
	v_fma_f64 v[22:23], v[183:184], v[22:23], -v[24:25]
	v_add_f64 v[24:25], v[195:196], v[199:200]
	v_add_f64 v[183:184], v[191:192], v[193:194]
	s_waitcnt vmcnt(7) lgkmcnt(0)
	v_mul_f64 v[191:192], v[187:188], v[32:33]
	v_mul_f64 v[32:33], v[189:190], v[32:33]
	v_fma_f64 v[193:194], v[4:5], v[26:27], v[201:202]
	v_fma_f64 v[26:27], v[2:3], v[26:27], -v[28:29]
	v_add_f64 v[28:29], v[24:25], v[22:23]
	v_add_f64 v[183:184], v[183:184], v[185:186]
	ds_load_b128 v[2:5], v1 offset:1296
	ds_load_b128 v[22:25], v1 offset:1312
	v_fma_f64 v[189:190], v[189:190], v[30:31], v[191:192]
	v_fma_f64 v[30:31], v[187:188], v[30:31], -v[32:33]
	s_waitcnt vmcnt(6) lgkmcnt(1)
	v_mul_f64 v[185:186], v[2:3], v[40:41]
	v_mul_f64 v[40:41], v[4:5], v[40:41]
	s_waitcnt vmcnt(5) lgkmcnt(0)
	v_mul_f64 v[32:33], v[22:23], v[181:182]
	v_mul_f64 v[181:182], v[24:25], v[181:182]
	v_add_f64 v[26:27], v[28:29], v[26:27]
	v_add_f64 v[28:29], v[183:184], v[193:194]
	v_fma_f64 v[183:184], v[4:5], v[38:39], v[185:186]
	v_fma_f64 v[38:39], v[2:3], v[38:39], -v[40:41]
	v_fma_f64 v[24:25], v[24:25], v[179:180], v[32:33]
	v_fma_f64 v[22:23], v[22:23], v[179:180], -v[181:182]
	v_add_f64 v[30:31], v[26:27], v[30:31]
	v_add_f64 v[40:41], v[28:29], v[189:190]
	ds_load_b128 v[2:5], v1 offset:1328
	ds_load_b128 v[26:29], v1 offset:1344
	s_waitcnt vmcnt(4) lgkmcnt(1)
	v_mul_f64 v[185:186], v[2:3], v[36:37]
	v_mul_f64 v[36:37], v[4:5], v[36:37]
	v_add_f64 v[30:31], v[30:31], v[38:39]
	v_add_f64 v[32:33], v[40:41], v[183:184]
	s_waitcnt vmcnt(3) lgkmcnt(0)
	v_mul_f64 v[38:39], v[26:27], v[8:9]
	v_mul_f64 v[8:9], v[28:29], v[8:9]
	v_fma_f64 v[40:41], v[4:5], v[34:35], v[185:186]
	v_fma_f64 v[34:35], v[2:3], v[34:35], -v[36:37]
	v_add_f64 v[30:31], v[30:31], v[22:23]
	v_add_f64 v[32:33], v[32:33], v[24:25]
	ds_load_b128 v[2:5], v1 offset:1360
	ds_load_b128 v[22:25], v1 offset:1376
	v_fma_f64 v[28:29], v[28:29], v[6:7], v[38:39]
	v_fma_f64 v[6:7], v[26:27], v[6:7], -v[8:9]
	s_waitcnt vmcnt(2) lgkmcnt(1)
	v_mul_f64 v[36:37], v[2:3], v[12:13]
	v_mul_f64 v[12:13], v[4:5], v[12:13]
	v_add_f64 v[8:9], v[30:31], v[34:35]
	v_add_f64 v[26:27], v[32:33], v[40:41]
	s_waitcnt vmcnt(1) lgkmcnt(0)
	v_mul_f64 v[30:31], v[22:23], v[16:17]
	v_mul_f64 v[16:17], v[24:25], v[16:17]
	v_fma_f64 v[32:33], v[4:5], v[10:11], v[36:37]
	v_fma_f64 v[10:11], v[2:3], v[10:11], -v[12:13]
	ds_load_b128 v[2:5], v1 offset:1392
	v_add_f64 v[6:7], v[8:9], v[6:7]
	v_add_f64 v[8:9], v[26:27], v[28:29]
	v_fma_f64 v[24:25], v[24:25], v[14:15], v[30:31]
	v_fma_f64 v[14:15], v[22:23], v[14:15], -v[16:17]
	s_waitcnt vmcnt(0) lgkmcnt(0)
	v_mul_f64 v[12:13], v[2:3], v[20:21]
	v_mul_f64 v[20:21], v[4:5], v[20:21]
	v_add_f64 v[6:7], v[6:7], v[10:11]
	v_add_f64 v[8:9], v[8:9], v[32:33]
	s_delay_alu instid0(VALU_DEP_4) | instskip(NEXT) | instid1(VALU_DEP_4)
	v_fma_f64 v[4:5], v[4:5], v[18:19], v[12:13]
	v_fma_f64 v[2:3], v[2:3], v[18:19], -v[20:21]
	s_delay_alu instid0(VALU_DEP_4) | instskip(NEXT) | instid1(VALU_DEP_4)
	v_add_f64 v[6:7], v[6:7], v[14:15]
	v_add_f64 v[8:9], v[8:9], v[24:25]
	s_delay_alu instid0(VALU_DEP_2) | instskip(NEXT) | instid1(VALU_DEP_2)
	v_add_f64 v[2:3], v[6:7], v[2:3]
	v_add_f64 v[4:5], v[8:9], v[4:5]
	s_delay_alu instid0(VALU_DEP_2) | instskip(NEXT) | instid1(VALU_DEP_2)
	v_add_f64 v[2:3], v[42:43], -v[2:3]
	v_add_f64 v[4:5], v[44:45], -v[4:5]
	scratch_store_b128 off, v[2:5], off offset:288
	v_cmpx_lt_u32_e32 17, v134
	s_cbranch_execz .LBB43_243
; %bb.242:
	scratch_load_b128 v[5:8], v163, off
	v_mov_b32_e32 v2, v1
	v_mov_b32_e32 v3, v1
	;; [unrolled: 1-line block ×3, first 2 shown]
	scratch_store_b128 off, v[1:4], off offset:272
	s_waitcnt vmcnt(0)
	ds_store_b128 v178, v[5:8]
.LBB43_243:
	s_or_b32 exec_lo, exec_lo, s2
	s_waitcnt lgkmcnt(0)
	s_waitcnt_vscnt null, 0x0
	s_barrier
	buffer_gl0_inv
	s_clause 0x8
	scratch_load_b128 v[2:5], off, off offset:288
	scratch_load_b128 v[6:9], off, off offset:304
	scratch_load_b128 v[10:13], off, off offset:320
	scratch_load_b128 v[14:17], off, off offset:336
	scratch_load_b128 v[18:21], off, off offset:352
	scratch_load_b128 v[22:25], off, off offset:368
	scratch_load_b128 v[26:29], off, off offset:384
	scratch_load_b128 v[30:33], off, off offset:400
	scratch_load_b128 v[34:37], off, off offset:416
	ds_load_b128 v[38:41], v1 offset:992
	ds_load_b128 v[42:45], v1 offset:1008
	s_clause 0x1
	scratch_load_b128 v[179:182], off, off offset:272
	scratch_load_b128 v[183:186], off, off offset:432
	s_mov_b32 s2, exec_lo
	s_waitcnt vmcnt(10) lgkmcnt(1)
	v_mul_f64 v[187:188], v[40:41], v[4:5]
	v_mul_f64 v[4:5], v[38:39], v[4:5]
	s_waitcnt vmcnt(9) lgkmcnt(0)
	v_mul_f64 v[191:192], v[42:43], v[8:9]
	v_mul_f64 v[8:9], v[44:45], v[8:9]
	s_delay_alu instid0(VALU_DEP_4) | instskip(NEXT) | instid1(VALU_DEP_4)
	v_fma_f64 v[193:194], v[38:39], v[2:3], -v[187:188]
	v_fma_f64 v[195:196], v[40:41], v[2:3], v[4:5]
	ds_load_b128 v[2:5], v1 offset:1024
	ds_load_b128 v[187:190], v1 offset:1040
	scratch_load_b128 v[38:41], off, off offset:448
	v_fma_f64 v[44:45], v[44:45], v[6:7], v[191:192]
	v_fma_f64 v[42:43], v[42:43], v[6:7], -v[8:9]
	scratch_load_b128 v[6:9], off, off offset:464
	s_waitcnt vmcnt(10) lgkmcnt(1)
	v_mul_f64 v[197:198], v[2:3], v[12:13]
	v_mul_f64 v[12:13], v[4:5], v[12:13]
	v_add_f64 v[191:192], v[193:194], 0
	v_add_f64 v[193:194], v[195:196], 0
	s_waitcnt vmcnt(9) lgkmcnt(0)
	v_mul_f64 v[195:196], v[187:188], v[16:17]
	v_mul_f64 v[16:17], v[189:190], v[16:17]
	v_fma_f64 v[197:198], v[4:5], v[10:11], v[197:198]
	v_fma_f64 v[199:200], v[2:3], v[10:11], -v[12:13]
	ds_load_b128 v[2:5], v1 offset:1056
	scratch_load_b128 v[10:13], off, off offset:480
	v_add_f64 v[191:192], v[191:192], v[42:43]
	v_add_f64 v[193:194], v[193:194], v[44:45]
	ds_load_b128 v[42:45], v1 offset:1072
	v_fma_f64 v[189:190], v[189:190], v[14:15], v[195:196]
	v_fma_f64 v[187:188], v[187:188], v[14:15], -v[16:17]
	scratch_load_b128 v[14:17], off, off offset:496
	s_waitcnt vmcnt(10) lgkmcnt(1)
	v_mul_f64 v[201:202], v[2:3], v[20:21]
	v_mul_f64 v[20:21], v[4:5], v[20:21]
	s_waitcnt vmcnt(9) lgkmcnt(0)
	v_mul_f64 v[195:196], v[42:43], v[24:25]
	v_mul_f64 v[24:25], v[44:45], v[24:25]
	v_add_f64 v[191:192], v[191:192], v[199:200]
	v_add_f64 v[193:194], v[193:194], v[197:198]
	v_fma_f64 v[197:198], v[4:5], v[18:19], v[201:202]
	v_fma_f64 v[199:200], v[2:3], v[18:19], -v[20:21]
	ds_load_b128 v[2:5], v1 offset:1088
	scratch_load_b128 v[18:21], off, off offset:512
	v_fma_f64 v[44:45], v[44:45], v[22:23], v[195:196]
	v_fma_f64 v[42:43], v[42:43], v[22:23], -v[24:25]
	scratch_load_b128 v[22:25], off, off offset:528
	v_add_f64 v[191:192], v[191:192], v[187:188]
	v_add_f64 v[193:194], v[193:194], v[189:190]
	ds_load_b128 v[187:190], v1 offset:1104
	s_waitcnt vmcnt(10) lgkmcnt(1)
	v_mul_f64 v[201:202], v[2:3], v[28:29]
	v_mul_f64 v[28:29], v[4:5], v[28:29]
	s_waitcnt vmcnt(9) lgkmcnt(0)
	v_mul_f64 v[195:196], v[187:188], v[32:33]
	v_mul_f64 v[32:33], v[189:190], v[32:33]
	v_add_f64 v[191:192], v[191:192], v[199:200]
	v_add_f64 v[193:194], v[193:194], v[197:198]
	v_fma_f64 v[197:198], v[4:5], v[26:27], v[201:202]
	v_fma_f64 v[199:200], v[2:3], v[26:27], -v[28:29]
	ds_load_b128 v[2:5], v1 offset:1120
	scratch_load_b128 v[26:29], off, off offset:544
	v_fma_f64 v[189:190], v[189:190], v[30:31], v[195:196]
	v_fma_f64 v[187:188], v[187:188], v[30:31], -v[32:33]
	scratch_load_b128 v[30:33], off, off offset:560
	v_add_f64 v[191:192], v[191:192], v[42:43]
	v_add_f64 v[193:194], v[193:194], v[44:45]
	ds_load_b128 v[42:45], v1 offset:1136
	s_waitcnt vmcnt(10) lgkmcnt(1)
	v_mul_f64 v[201:202], v[2:3], v[36:37]
	v_mul_f64 v[36:37], v[4:5], v[36:37]
	s_waitcnt vmcnt(8) lgkmcnt(0)
	v_mul_f64 v[195:196], v[42:43], v[185:186]
	v_add_f64 v[191:192], v[191:192], v[199:200]
	v_add_f64 v[193:194], v[193:194], v[197:198]
	v_mul_f64 v[197:198], v[44:45], v[185:186]
	v_fma_f64 v[199:200], v[4:5], v[34:35], v[201:202]
	v_fma_f64 v[201:202], v[2:3], v[34:35], -v[36:37]
	ds_load_b128 v[2:5], v1 offset:1152
	scratch_load_b128 v[34:37], off, off offset:576
	v_fma_f64 v[44:45], v[44:45], v[183:184], v[195:196]
	v_add_f64 v[191:192], v[191:192], v[187:188]
	v_add_f64 v[189:190], v[193:194], v[189:190]
	ds_load_b128 v[185:188], v1 offset:1168
	v_fma_f64 v[183:184], v[42:43], v[183:184], -v[197:198]
	s_waitcnt vmcnt(8) lgkmcnt(1)
	v_mul_f64 v[193:194], v[2:3], v[40:41]
	v_mul_f64 v[203:204], v[4:5], v[40:41]
	scratch_load_b128 v[40:43], off, off offset:592
	s_waitcnt vmcnt(8) lgkmcnt(0)
	v_mul_f64 v[197:198], v[185:186], v[8:9]
	v_mul_f64 v[8:9], v[187:188], v[8:9]
	v_add_f64 v[191:192], v[191:192], v[201:202]
	v_add_f64 v[189:190], v[189:190], v[199:200]
	v_fma_f64 v[199:200], v[4:5], v[38:39], v[193:194]
	v_fma_f64 v[38:39], v[2:3], v[38:39], -v[203:204]
	ds_load_b128 v[2:5], v1 offset:1184
	ds_load_b128 v[193:196], v1 offset:1200
	v_fma_f64 v[187:188], v[187:188], v[6:7], v[197:198]
	v_fma_f64 v[185:186], v[185:186], v[6:7], -v[8:9]
	scratch_load_b128 v[6:9], off, off offset:624
	v_add_f64 v[183:184], v[191:192], v[183:184]
	v_add_f64 v[44:45], v[189:190], v[44:45]
	scratch_load_b128 v[189:192], off, off offset:608
	s_waitcnt vmcnt(9) lgkmcnt(1)
	v_mul_f64 v[201:202], v[2:3], v[12:13]
	v_mul_f64 v[12:13], v[4:5], v[12:13]
	s_waitcnt vmcnt(8) lgkmcnt(0)
	v_mul_f64 v[197:198], v[193:194], v[16:17]
	v_mul_f64 v[16:17], v[195:196], v[16:17]
	v_add_f64 v[38:39], v[183:184], v[38:39]
	v_add_f64 v[44:45], v[44:45], v[199:200]
	v_fma_f64 v[199:200], v[4:5], v[10:11], v[201:202]
	v_fma_f64 v[201:202], v[2:3], v[10:11], -v[12:13]
	ds_load_b128 v[2:5], v1 offset:1216
	scratch_load_b128 v[10:13], off, off offset:640
	v_fma_f64 v[195:196], v[195:196], v[14:15], v[197:198]
	v_fma_f64 v[193:194], v[193:194], v[14:15], -v[16:17]
	scratch_load_b128 v[14:17], off, off offset:656
	v_add_f64 v[38:39], v[38:39], v[185:186]
	v_add_f64 v[44:45], v[44:45], v[187:188]
	ds_load_b128 v[183:186], v1 offset:1232
	s_waitcnt vmcnt(9) lgkmcnt(1)
	v_mul_f64 v[187:188], v[2:3], v[20:21]
	v_mul_f64 v[20:21], v[4:5], v[20:21]
	s_waitcnt vmcnt(8) lgkmcnt(0)
	v_mul_f64 v[197:198], v[183:184], v[24:25]
	v_mul_f64 v[24:25], v[185:186], v[24:25]
	v_add_f64 v[38:39], v[38:39], v[201:202]
	v_add_f64 v[44:45], v[44:45], v[199:200]
	v_fma_f64 v[187:188], v[4:5], v[18:19], v[187:188]
	v_fma_f64 v[199:200], v[2:3], v[18:19], -v[20:21]
	ds_load_b128 v[2:5], v1 offset:1248
	scratch_load_b128 v[18:21], off, off offset:672
	v_fma_f64 v[185:186], v[185:186], v[22:23], v[197:198]
	v_fma_f64 v[183:184], v[183:184], v[22:23], -v[24:25]
	scratch_load_b128 v[22:25], off, off offset:688
	v_add_f64 v[38:39], v[38:39], v[193:194]
	v_add_f64 v[44:45], v[44:45], v[195:196]
	ds_load_b128 v[193:196], v1 offset:1264
	s_waitcnt vmcnt(9) lgkmcnt(1)
	v_mul_f64 v[201:202], v[2:3], v[28:29]
	v_mul_f64 v[28:29], v[4:5], v[28:29]
	v_add_f64 v[38:39], v[38:39], v[199:200]
	v_add_f64 v[44:45], v[44:45], v[187:188]
	s_waitcnt vmcnt(8) lgkmcnt(0)
	v_mul_f64 v[187:188], v[193:194], v[32:33]
	v_mul_f64 v[32:33], v[195:196], v[32:33]
	v_fma_f64 v[197:198], v[4:5], v[26:27], v[201:202]
	v_fma_f64 v[199:200], v[2:3], v[26:27], -v[28:29]
	ds_load_b128 v[2:5], v1 offset:1280
	ds_load_b128 v[26:29], v1 offset:1296
	v_add_f64 v[38:39], v[38:39], v[183:184]
	v_add_f64 v[44:45], v[44:45], v[185:186]
	s_waitcnt vmcnt(7) lgkmcnt(1)
	v_mul_f64 v[183:184], v[2:3], v[36:37]
	v_mul_f64 v[36:37], v[4:5], v[36:37]
	v_fma_f64 v[185:186], v[195:196], v[30:31], v[187:188]
	v_fma_f64 v[30:31], v[193:194], v[30:31], -v[32:33]
	v_add_f64 v[32:33], v[38:39], v[199:200]
	v_add_f64 v[38:39], v[44:45], v[197:198]
	s_waitcnt vmcnt(6) lgkmcnt(0)
	v_mul_f64 v[44:45], v[26:27], v[42:43]
	v_mul_f64 v[42:43], v[28:29], v[42:43]
	v_fma_f64 v[183:184], v[4:5], v[34:35], v[183:184]
	v_fma_f64 v[34:35], v[2:3], v[34:35], -v[36:37]
	v_add_f64 v[36:37], v[32:33], v[30:31]
	v_add_f64 v[38:39], v[38:39], v[185:186]
	ds_load_b128 v[2:5], v1 offset:1312
	ds_load_b128 v[30:33], v1 offset:1328
	v_fma_f64 v[28:29], v[28:29], v[40:41], v[44:45]
	v_fma_f64 v[26:27], v[26:27], v[40:41], -v[42:43]
	s_waitcnt vmcnt(4) lgkmcnt(1)
	v_mul_f64 v[185:186], v[2:3], v[191:192]
	v_mul_f64 v[187:188], v[4:5], v[191:192]
	v_add_f64 v[34:35], v[36:37], v[34:35]
	v_add_f64 v[36:37], v[38:39], v[183:184]
	s_waitcnt lgkmcnt(0)
	v_mul_f64 v[38:39], v[30:31], v[8:9]
	v_mul_f64 v[8:9], v[32:33], v[8:9]
	v_fma_f64 v[40:41], v[4:5], v[189:190], v[185:186]
	v_fma_f64 v[42:43], v[2:3], v[189:190], -v[187:188]
	v_add_f64 v[34:35], v[34:35], v[26:27]
	v_add_f64 v[36:37], v[36:37], v[28:29]
	ds_load_b128 v[2:5], v1 offset:1344
	ds_load_b128 v[26:29], v1 offset:1360
	v_fma_f64 v[32:33], v[32:33], v[6:7], v[38:39]
	v_fma_f64 v[6:7], v[30:31], v[6:7], -v[8:9]
	s_waitcnt vmcnt(3) lgkmcnt(1)
	v_mul_f64 v[44:45], v[2:3], v[12:13]
	v_mul_f64 v[12:13], v[4:5], v[12:13]
	v_add_f64 v[8:9], v[34:35], v[42:43]
	v_add_f64 v[30:31], v[36:37], v[40:41]
	s_waitcnt vmcnt(2) lgkmcnt(0)
	v_mul_f64 v[34:35], v[26:27], v[16:17]
	v_mul_f64 v[16:17], v[28:29], v[16:17]
	v_fma_f64 v[36:37], v[4:5], v[10:11], v[44:45]
	v_fma_f64 v[10:11], v[2:3], v[10:11], -v[12:13]
	v_add_f64 v[12:13], v[8:9], v[6:7]
	v_add_f64 v[30:31], v[30:31], v[32:33]
	ds_load_b128 v[2:5], v1 offset:1376
	ds_load_b128 v[6:9], v1 offset:1392
	v_fma_f64 v[28:29], v[28:29], v[14:15], v[34:35]
	v_fma_f64 v[14:15], v[26:27], v[14:15], -v[16:17]
	s_waitcnt vmcnt(1) lgkmcnt(1)
	v_mul_f64 v[32:33], v[2:3], v[20:21]
	v_mul_f64 v[20:21], v[4:5], v[20:21]
	s_waitcnt vmcnt(0) lgkmcnt(0)
	v_mul_f64 v[16:17], v[6:7], v[24:25]
	v_mul_f64 v[24:25], v[8:9], v[24:25]
	v_add_f64 v[10:11], v[12:13], v[10:11]
	v_add_f64 v[12:13], v[30:31], v[36:37]
	v_fma_f64 v[4:5], v[4:5], v[18:19], v[32:33]
	v_fma_f64 v[1:2], v[2:3], v[18:19], -v[20:21]
	v_fma_f64 v[8:9], v[8:9], v[22:23], v[16:17]
	v_fma_f64 v[6:7], v[6:7], v[22:23], -v[24:25]
	v_add_f64 v[10:11], v[10:11], v[14:15]
	v_add_f64 v[12:13], v[12:13], v[28:29]
	s_delay_alu instid0(VALU_DEP_2) | instskip(NEXT) | instid1(VALU_DEP_2)
	v_add_f64 v[1:2], v[10:11], v[1:2]
	v_add_f64 v[3:4], v[12:13], v[4:5]
	s_delay_alu instid0(VALU_DEP_2) | instskip(NEXT) | instid1(VALU_DEP_2)
	;; [unrolled: 3-line block ×3, first 2 shown]
	v_add_f64 v[1:2], v[179:180], -v[1:2]
	v_add_f64 v[3:4], v[181:182], -v[3:4]
	scratch_store_b128 off, v[1:4], off offset:272
	v_cmpx_lt_u32_e32 16, v134
	s_cbranch_execz .LBB43_245
; %bb.244:
	scratch_load_b128 v[1:4], v164, off
	v_mov_b32_e32 v5, 0
	s_delay_alu instid0(VALU_DEP_1)
	v_mov_b32_e32 v6, v5
	v_mov_b32_e32 v7, v5
	;; [unrolled: 1-line block ×3, first 2 shown]
	scratch_store_b128 off, v[5:8], off offset:256
	s_waitcnt vmcnt(0)
	ds_store_b128 v178, v[1:4]
.LBB43_245:
	s_or_b32 exec_lo, exec_lo, s2
	s_waitcnt lgkmcnt(0)
	s_waitcnt_vscnt null, 0x0
	s_barrier
	buffer_gl0_inv
	s_clause 0x7
	scratch_load_b128 v[2:5], off, off offset:272
	scratch_load_b128 v[6:9], off, off offset:288
	;; [unrolled: 1-line block ×8, first 2 shown]
	v_mov_b32_e32 v1, 0
	s_mov_b32 s2, exec_lo
	ds_load_b128 v[38:41], v1 offset:976
	s_clause 0x1
	scratch_load_b128 v[34:37], off, off offset:400
	scratch_load_b128 v[42:45], off, off offset:256
	ds_load_b128 v[179:182], v1 offset:992
	scratch_load_b128 v[183:186], off, off offset:416
	s_waitcnt vmcnt(10) lgkmcnt(1)
	v_mul_f64 v[187:188], v[40:41], v[4:5]
	v_mul_f64 v[4:5], v[38:39], v[4:5]
	s_delay_alu instid0(VALU_DEP_2) | instskip(NEXT) | instid1(VALU_DEP_2)
	v_fma_f64 v[193:194], v[38:39], v[2:3], -v[187:188]
	v_fma_f64 v[195:196], v[40:41], v[2:3], v[4:5]
	scratch_load_b128 v[38:41], off, off offset:432
	ds_load_b128 v[2:5], v1 offset:1008
	s_waitcnt vmcnt(10) lgkmcnt(1)
	v_mul_f64 v[191:192], v[179:180], v[8:9]
	v_mul_f64 v[8:9], v[181:182], v[8:9]
	ds_load_b128 v[187:190], v1 offset:1024
	s_waitcnt vmcnt(9) lgkmcnt(1)
	v_mul_f64 v[197:198], v[2:3], v[12:13]
	v_mul_f64 v[12:13], v[4:5], v[12:13]
	v_fma_f64 v[181:182], v[181:182], v[6:7], v[191:192]
	v_fma_f64 v[179:180], v[179:180], v[6:7], -v[8:9]
	v_add_f64 v[191:192], v[193:194], 0
	v_add_f64 v[193:194], v[195:196], 0
	scratch_load_b128 v[6:9], off, off offset:448
	v_fma_f64 v[197:198], v[4:5], v[10:11], v[197:198]
	v_fma_f64 v[199:200], v[2:3], v[10:11], -v[12:13]
	scratch_load_b128 v[10:13], off, off offset:464
	ds_load_b128 v[2:5], v1 offset:1040
	s_waitcnt vmcnt(10) lgkmcnt(1)
	v_mul_f64 v[195:196], v[187:188], v[16:17]
	v_mul_f64 v[16:17], v[189:190], v[16:17]
	v_add_f64 v[191:192], v[191:192], v[179:180]
	v_add_f64 v[193:194], v[193:194], v[181:182]
	s_waitcnt vmcnt(9) lgkmcnt(0)
	v_mul_f64 v[201:202], v[2:3], v[20:21]
	v_mul_f64 v[20:21], v[4:5], v[20:21]
	ds_load_b128 v[179:182], v1 offset:1056
	v_fma_f64 v[189:190], v[189:190], v[14:15], v[195:196]
	v_fma_f64 v[187:188], v[187:188], v[14:15], -v[16:17]
	scratch_load_b128 v[14:17], off, off offset:480
	v_add_f64 v[191:192], v[191:192], v[199:200]
	v_add_f64 v[193:194], v[193:194], v[197:198]
	v_fma_f64 v[197:198], v[4:5], v[18:19], v[201:202]
	v_fma_f64 v[199:200], v[2:3], v[18:19], -v[20:21]
	scratch_load_b128 v[18:21], off, off offset:496
	ds_load_b128 v[2:5], v1 offset:1072
	s_waitcnt vmcnt(10) lgkmcnt(1)
	v_mul_f64 v[195:196], v[179:180], v[24:25]
	v_mul_f64 v[24:25], v[181:182], v[24:25]
	s_waitcnt vmcnt(9) lgkmcnt(0)
	v_mul_f64 v[201:202], v[2:3], v[28:29]
	v_mul_f64 v[28:29], v[4:5], v[28:29]
	v_add_f64 v[191:192], v[191:192], v[187:188]
	v_add_f64 v[193:194], v[193:194], v[189:190]
	ds_load_b128 v[187:190], v1 offset:1088
	v_fma_f64 v[181:182], v[181:182], v[22:23], v[195:196]
	v_fma_f64 v[179:180], v[179:180], v[22:23], -v[24:25]
	scratch_load_b128 v[22:25], off, off offset:512
	v_add_f64 v[191:192], v[191:192], v[199:200]
	v_add_f64 v[193:194], v[193:194], v[197:198]
	v_fma_f64 v[197:198], v[4:5], v[26:27], v[201:202]
	v_fma_f64 v[199:200], v[2:3], v[26:27], -v[28:29]
	scratch_load_b128 v[26:29], off, off offset:528
	ds_load_b128 v[2:5], v1 offset:1104
	s_waitcnt vmcnt(10) lgkmcnt(1)
	v_mul_f64 v[195:196], v[187:188], v[32:33]
	v_mul_f64 v[32:33], v[189:190], v[32:33]
	s_waitcnt vmcnt(9) lgkmcnt(0)
	v_mul_f64 v[201:202], v[2:3], v[36:37]
	v_mul_f64 v[36:37], v[4:5], v[36:37]
	v_add_f64 v[191:192], v[191:192], v[179:180]
	v_add_f64 v[193:194], v[193:194], v[181:182]
	ds_load_b128 v[179:182], v1 offset:1120
	v_fma_f64 v[189:190], v[189:190], v[30:31], v[195:196]
	v_fma_f64 v[187:188], v[187:188], v[30:31], -v[32:33]
	scratch_load_b128 v[30:33], off, off offset:544
	v_add_f64 v[191:192], v[191:192], v[199:200]
	v_add_f64 v[193:194], v[193:194], v[197:198]
	v_fma_f64 v[199:200], v[4:5], v[34:35], v[201:202]
	v_fma_f64 v[201:202], v[2:3], v[34:35], -v[36:37]
	scratch_load_b128 v[34:37], off, off offset:560
	ds_load_b128 v[2:5], v1 offset:1136
	s_waitcnt vmcnt(9) lgkmcnt(1)
	v_mul_f64 v[195:196], v[179:180], v[185:186]
	v_mul_f64 v[197:198], v[181:182], v[185:186]
	v_add_f64 v[191:192], v[191:192], v[187:188]
	v_add_f64 v[189:190], v[193:194], v[189:190]
	ds_load_b128 v[185:188], v1 offset:1152
	v_fma_f64 v[195:196], v[181:182], v[183:184], v[195:196]
	v_fma_f64 v[183:184], v[179:180], v[183:184], -v[197:198]
	scratch_load_b128 v[179:182], off, off offset:576
	s_waitcnt vmcnt(9) lgkmcnt(1)
	v_mul_f64 v[193:194], v[2:3], v[40:41]
	v_mul_f64 v[40:41], v[4:5], v[40:41]
	v_add_f64 v[191:192], v[191:192], v[201:202]
	v_add_f64 v[189:190], v[189:190], v[199:200]
	s_delay_alu instid0(VALU_DEP_4) | instskip(NEXT) | instid1(VALU_DEP_4)
	v_fma_f64 v[193:194], v[4:5], v[38:39], v[193:194]
	v_fma_f64 v[199:200], v[2:3], v[38:39], -v[40:41]
	scratch_load_b128 v[38:41], off, off offset:592
	ds_load_b128 v[2:5], v1 offset:1168
	s_waitcnt vmcnt(9) lgkmcnt(1)
	v_mul_f64 v[197:198], v[185:186], v[8:9]
	v_mul_f64 v[8:9], v[187:188], v[8:9]
	s_waitcnt vmcnt(8) lgkmcnt(0)
	v_mul_f64 v[201:202], v[2:3], v[12:13]
	v_mul_f64 v[12:13], v[4:5], v[12:13]
	v_add_f64 v[183:184], v[191:192], v[183:184]
	v_add_f64 v[195:196], v[189:190], v[195:196]
	ds_load_b128 v[189:192], v1 offset:1184
	v_fma_f64 v[187:188], v[187:188], v[6:7], v[197:198]
	v_fma_f64 v[185:186], v[185:186], v[6:7], -v[8:9]
	scratch_load_b128 v[6:9], off, off offset:608
	v_fma_f64 v[197:198], v[4:5], v[10:11], v[201:202]
	v_add_f64 v[183:184], v[183:184], v[199:200]
	v_add_f64 v[193:194], v[195:196], v[193:194]
	v_fma_f64 v[199:200], v[2:3], v[10:11], -v[12:13]
	scratch_load_b128 v[10:13], off, off offset:624
	ds_load_b128 v[2:5], v1 offset:1200
	s_waitcnt vmcnt(9) lgkmcnt(1)
	v_mul_f64 v[195:196], v[189:190], v[16:17]
	v_mul_f64 v[16:17], v[191:192], v[16:17]
	v_add_f64 v[201:202], v[183:184], v[185:186]
	v_add_f64 v[187:188], v[193:194], v[187:188]
	s_waitcnt vmcnt(8) lgkmcnt(0)
	v_mul_f64 v[193:194], v[2:3], v[20:21]
	v_mul_f64 v[20:21], v[4:5], v[20:21]
	ds_load_b128 v[183:186], v1 offset:1216
	v_fma_f64 v[191:192], v[191:192], v[14:15], v[195:196]
	v_fma_f64 v[189:190], v[189:190], v[14:15], -v[16:17]
	scratch_load_b128 v[14:17], off, off offset:640
	v_add_f64 v[195:196], v[201:202], v[199:200]
	v_add_f64 v[187:188], v[187:188], v[197:198]
	v_fma_f64 v[193:194], v[4:5], v[18:19], v[193:194]
	v_fma_f64 v[199:200], v[2:3], v[18:19], -v[20:21]
	scratch_load_b128 v[18:21], off, off offset:656
	ds_load_b128 v[2:5], v1 offset:1232
	s_waitcnt vmcnt(9) lgkmcnt(1)
	v_mul_f64 v[197:198], v[183:184], v[24:25]
	v_mul_f64 v[24:25], v[185:186], v[24:25]
	s_waitcnt vmcnt(8) lgkmcnt(0)
	v_mul_f64 v[201:202], v[2:3], v[28:29]
	v_mul_f64 v[28:29], v[4:5], v[28:29]
	v_add_f64 v[195:196], v[195:196], v[189:190]
	v_add_f64 v[191:192], v[187:188], v[191:192]
	ds_load_b128 v[187:190], v1 offset:1248
	v_fma_f64 v[185:186], v[185:186], v[22:23], v[197:198]
	v_fma_f64 v[183:184], v[183:184], v[22:23], -v[24:25]
	scratch_load_b128 v[22:25], off, off offset:672
	v_fma_f64 v[197:198], v[4:5], v[26:27], v[201:202]
	v_add_f64 v[195:196], v[195:196], v[199:200]
	v_add_f64 v[191:192], v[191:192], v[193:194]
	v_fma_f64 v[199:200], v[2:3], v[26:27], -v[28:29]
	scratch_load_b128 v[26:29], off, off offset:688
	ds_load_b128 v[2:5], v1 offset:1264
	s_waitcnt vmcnt(9) lgkmcnt(1)
	v_mul_f64 v[193:194], v[187:188], v[32:33]
	v_mul_f64 v[32:33], v[189:190], v[32:33]
	s_waitcnt vmcnt(8) lgkmcnt(0)
	v_mul_f64 v[201:202], v[2:3], v[36:37]
	v_mul_f64 v[36:37], v[4:5], v[36:37]
	v_add_f64 v[195:196], v[195:196], v[183:184]
	v_add_f64 v[191:192], v[191:192], v[185:186]
	ds_load_b128 v[183:186], v1 offset:1280
	v_fma_f64 v[189:190], v[189:190], v[30:31], v[193:194]
	v_fma_f64 v[30:31], v[187:188], v[30:31], -v[32:33]
	v_fma_f64 v[193:194], v[4:5], v[34:35], v[201:202]
	v_fma_f64 v[34:35], v[2:3], v[34:35], -v[36:37]
	v_add_f64 v[32:33], v[195:196], v[199:200]
	v_add_f64 v[187:188], v[191:192], v[197:198]
	s_waitcnt vmcnt(7) lgkmcnt(0)
	v_mul_f64 v[191:192], v[183:184], v[181:182]
	v_mul_f64 v[181:182], v[185:186], v[181:182]
	s_delay_alu instid0(VALU_DEP_4) | instskip(NEXT) | instid1(VALU_DEP_4)
	v_add_f64 v[36:37], v[32:33], v[30:31]
	v_add_f64 v[187:188], v[187:188], v[189:190]
	ds_load_b128 v[2:5], v1 offset:1296
	ds_load_b128 v[30:33], v1 offset:1312
	v_fma_f64 v[185:186], v[185:186], v[179:180], v[191:192]
	v_fma_f64 v[179:180], v[183:184], v[179:180], -v[181:182]
	s_waitcnt vmcnt(6) lgkmcnt(1)
	v_mul_f64 v[189:190], v[2:3], v[40:41]
	v_mul_f64 v[40:41], v[4:5], v[40:41]
	s_waitcnt vmcnt(5) lgkmcnt(0)
	v_mul_f64 v[181:182], v[30:31], v[8:9]
	v_mul_f64 v[8:9], v[32:33], v[8:9]
	v_add_f64 v[34:35], v[36:37], v[34:35]
	v_add_f64 v[36:37], v[187:188], v[193:194]
	v_fma_f64 v[183:184], v[4:5], v[38:39], v[189:190]
	v_fma_f64 v[38:39], v[2:3], v[38:39], -v[40:41]
	v_fma_f64 v[32:33], v[32:33], v[6:7], v[181:182]
	v_fma_f64 v[6:7], v[30:31], v[6:7], -v[8:9]
	v_add_f64 v[40:41], v[34:35], v[179:180]
	v_add_f64 v[179:180], v[36:37], v[185:186]
	ds_load_b128 v[2:5], v1 offset:1328
	ds_load_b128 v[34:37], v1 offset:1344
	s_waitcnt vmcnt(4) lgkmcnt(1)
	v_mul_f64 v[185:186], v[2:3], v[12:13]
	v_mul_f64 v[12:13], v[4:5], v[12:13]
	v_add_f64 v[8:9], v[40:41], v[38:39]
	v_add_f64 v[30:31], v[179:180], v[183:184]
	s_waitcnt vmcnt(3) lgkmcnt(0)
	v_mul_f64 v[38:39], v[34:35], v[16:17]
	v_mul_f64 v[16:17], v[36:37], v[16:17]
	v_fma_f64 v[40:41], v[4:5], v[10:11], v[185:186]
	v_fma_f64 v[10:11], v[2:3], v[10:11], -v[12:13]
	v_add_f64 v[12:13], v[8:9], v[6:7]
	v_add_f64 v[30:31], v[30:31], v[32:33]
	ds_load_b128 v[2:5], v1 offset:1360
	ds_load_b128 v[6:9], v1 offset:1376
	v_fma_f64 v[36:37], v[36:37], v[14:15], v[38:39]
	v_fma_f64 v[14:15], v[34:35], v[14:15], -v[16:17]
	s_waitcnt vmcnt(2) lgkmcnt(1)
	v_mul_f64 v[32:33], v[2:3], v[20:21]
	v_mul_f64 v[20:21], v[4:5], v[20:21]
	s_waitcnt vmcnt(1) lgkmcnt(0)
	v_mul_f64 v[16:17], v[6:7], v[24:25]
	v_mul_f64 v[24:25], v[8:9], v[24:25]
	v_add_f64 v[10:11], v[12:13], v[10:11]
	v_add_f64 v[12:13], v[30:31], v[40:41]
	v_fma_f64 v[30:31], v[4:5], v[18:19], v[32:33]
	v_fma_f64 v[18:19], v[2:3], v[18:19], -v[20:21]
	ds_load_b128 v[2:5], v1 offset:1392
	v_fma_f64 v[8:9], v[8:9], v[22:23], v[16:17]
	v_fma_f64 v[6:7], v[6:7], v[22:23], -v[24:25]
	v_add_f64 v[10:11], v[10:11], v[14:15]
	v_add_f64 v[12:13], v[12:13], v[36:37]
	s_waitcnt vmcnt(0) lgkmcnt(0)
	v_mul_f64 v[14:15], v[2:3], v[28:29]
	v_mul_f64 v[20:21], v[4:5], v[28:29]
	s_delay_alu instid0(VALU_DEP_4) | instskip(NEXT) | instid1(VALU_DEP_4)
	v_add_f64 v[10:11], v[10:11], v[18:19]
	v_add_f64 v[12:13], v[12:13], v[30:31]
	s_delay_alu instid0(VALU_DEP_4) | instskip(NEXT) | instid1(VALU_DEP_4)
	v_fma_f64 v[4:5], v[4:5], v[26:27], v[14:15]
	v_fma_f64 v[2:3], v[2:3], v[26:27], -v[20:21]
	s_delay_alu instid0(VALU_DEP_4) | instskip(NEXT) | instid1(VALU_DEP_4)
	v_add_f64 v[6:7], v[10:11], v[6:7]
	v_add_f64 v[8:9], v[12:13], v[8:9]
	s_delay_alu instid0(VALU_DEP_2) | instskip(NEXT) | instid1(VALU_DEP_2)
	v_add_f64 v[2:3], v[6:7], v[2:3]
	v_add_f64 v[4:5], v[8:9], v[4:5]
	s_delay_alu instid0(VALU_DEP_2) | instskip(NEXT) | instid1(VALU_DEP_2)
	v_add_f64 v[2:3], v[42:43], -v[2:3]
	v_add_f64 v[4:5], v[44:45], -v[4:5]
	scratch_store_b128 off, v[2:5], off offset:256
	v_cmpx_lt_u32_e32 15, v134
	s_cbranch_execz .LBB43_247
; %bb.246:
	scratch_load_b128 v[5:8], v165, off
	v_mov_b32_e32 v2, v1
	v_mov_b32_e32 v3, v1
	;; [unrolled: 1-line block ×3, first 2 shown]
	scratch_store_b128 off, v[1:4], off offset:240
	s_waitcnt vmcnt(0)
	ds_store_b128 v178, v[5:8]
.LBB43_247:
	s_or_b32 exec_lo, exec_lo, s2
	s_waitcnt lgkmcnt(0)
	s_waitcnt_vscnt null, 0x0
	s_barrier
	buffer_gl0_inv
	s_clause 0x8
	scratch_load_b128 v[2:5], off, off offset:256
	scratch_load_b128 v[6:9], off, off offset:272
	;; [unrolled: 1-line block ×9, first 2 shown]
	ds_load_b128 v[42:45], v1 offset:960
	ds_load_b128 v[38:41], v1 offset:976
	s_clause 0x1
	scratch_load_b128 v[179:182], off, off offset:240
	scratch_load_b128 v[183:186], off, off offset:400
	s_mov_b32 s2, exec_lo
	s_waitcnt vmcnt(10) lgkmcnt(1)
	v_mul_f64 v[187:188], v[44:45], v[4:5]
	v_mul_f64 v[4:5], v[42:43], v[4:5]
	s_waitcnt vmcnt(9) lgkmcnt(0)
	v_mul_f64 v[191:192], v[38:39], v[8:9]
	v_mul_f64 v[8:9], v[40:41], v[8:9]
	s_delay_alu instid0(VALU_DEP_4) | instskip(NEXT) | instid1(VALU_DEP_4)
	v_fma_f64 v[193:194], v[42:43], v[2:3], -v[187:188]
	v_fma_f64 v[195:196], v[44:45], v[2:3], v[4:5]
	ds_load_b128 v[2:5], v1 offset:992
	ds_load_b128 v[187:190], v1 offset:1008
	scratch_load_b128 v[42:45], off, off offset:416
	v_fma_f64 v[40:41], v[40:41], v[6:7], v[191:192]
	v_fma_f64 v[38:39], v[38:39], v[6:7], -v[8:9]
	scratch_load_b128 v[6:9], off, off offset:432
	s_waitcnt vmcnt(10) lgkmcnt(1)
	v_mul_f64 v[197:198], v[2:3], v[12:13]
	v_mul_f64 v[12:13], v[4:5], v[12:13]
	v_add_f64 v[191:192], v[193:194], 0
	v_add_f64 v[193:194], v[195:196], 0
	s_waitcnt vmcnt(9) lgkmcnt(0)
	v_mul_f64 v[195:196], v[187:188], v[16:17]
	v_mul_f64 v[16:17], v[189:190], v[16:17]
	v_fma_f64 v[197:198], v[4:5], v[10:11], v[197:198]
	v_fma_f64 v[199:200], v[2:3], v[10:11], -v[12:13]
	ds_load_b128 v[2:5], v1 offset:1024
	scratch_load_b128 v[10:13], off, off offset:448
	v_add_f64 v[191:192], v[191:192], v[38:39]
	v_add_f64 v[193:194], v[193:194], v[40:41]
	ds_load_b128 v[38:41], v1 offset:1040
	v_fma_f64 v[189:190], v[189:190], v[14:15], v[195:196]
	v_fma_f64 v[187:188], v[187:188], v[14:15], -v[16:17]
	scratch_load_b128 v[14:17], off, off offset:464
	s_waitcnt vmcnt(10) lgkmcnt(1)
	v_mul_f64 v[201:202], v[2:3], v[20:21]
	v_mul_f64 v[20:21], v[4:5], v[20:21]
	s_waitcnt vmcnt(9) lgkmcnt(0)
	v_mul_f64 v[195:196], v[38:39], v[24:25]
	v_mul_f64 v[24:25], v[40:41], v[24:25]
	v_add_f64 v[191:192], v[191:192], v[199:200]
	v_add_f64 v[193:194], v[193:194], v[197:198]
	v_fma_f64 v[197:198], v[4:5], v[18:19], v[201:202]
	v_fma_f64 v[199:200], v[2:3], v[18:19], -v[20:21]
	ds_load_b128 v[2:5], v1 offset:1056
	scratch_load_b128 v[18:21], off, off offset:480
	v_fma_f64 v[40:41], v[40:41], v[22:23], v[195:196]
	v_fma_f64 v[38:39], v[38:39], v[22:23], -v[24:25]
	scratch_load_b128 v[22:25], off, off offset:496
	v_add_f64 v[191:192], v[191:192], v[187:188]
	v_add_f64 v[193:194], v[193:194], v[189:190]
	ds_load_b128 v[187:190], v1 offset:1072
	s_waitcnt vmcnt(10) lgkmcnt(1)
	v_mul_f64 v[201:202], v[2:3], v[28:29]
	v_mul_f64 v[28:29], v[4:5], v[28:29]
	s_waitcnt vmcnt(9) lgkmcnt(0)
	v_mul_f64 v[195:196], v[187:188], v[32:33]
	v_mul_f64 v[32:33], v[189:190], v[32:33]
	v_add_f64 v[191:192], v[191:192], v[199:200]
	v_add_f64 v[193:194], v[193:194], v[197:198]
	v_fma_f64 v[197:198], v[4:5], v[26:27], v[201:202]
	v_fma_f64 v[199:200], v[2:3], v[26:27], -v[28:29]
	ds_load_b128 v[2:5], v1 offset:1088
	scratch_load_b128 v[26:29], off, off offset:512
	v_fma_f64 v[189:190], v[189:190], v[30:31], v[195:196]
	v_fma_f64 v[187:188], v[187:188], v[30:31], -v[32:33]
	scratch_load_b128 v[30:33], off, off offset:528
	v_add_f64 v[191:192], v[191:192], v[38:39]
	v_add_f64 v[193:194], v[193:194], v[40:41]
	ds_load_b128 v[38:41], v1 offset:1104
	s_waitcnt vmcnt(10) lgkmcnt(1)
	v_mul_f64 v[201:202], v[2:3], v[36:37]
	v_mul_f64 v[36:37], v[4:5], v[36:37]
	s_waitcnt vmcnt(8) lgkmcnt(0)
	v_mul_f64 v[195:196], v[38:39], v[185:186]
	v_add_f64 v[191:192], v[191:192], v[199:200]
	v_add_f64 v[193:194], v[193:194], v[197:198]
	v_mul_f64 v[197:198], v[40:41], v[185:186]
	v_fma_f64 v[199:200], v[4:5], v[34:35], v[201:202]
	v_fma_f64 v[201:202], v[2:3], v[34:35], -v[36:37]
	ds_load_b128 v[2:5], v1 offset:1120
	scratch_load_b128 v[34:37], off, off offset:544
	v_fma_f64 v[195:196], v[40:41], v[183:184], v[195:196]
	v_add_f64 v[191:192], v[191:192], v[187:188]
	v_add_f64 v[189:190], v[193:194], v[189:190]
	ds_load_b128 v[185:188], v1 offset:1136
	v_fma_f64 v[183:184], v[38:39], v[183:184], -v[197:198]
	scratch_load_b128 v[38:41], off, off offset:560
	s_waitcnt vmcnt(9) lgkmcnt(1)
	v_mul_f64 v[193:194], v[2:3], v[44:45]
	v_mul_f64 v[44:45], v[4:5], v[44:45]
	s_waitcnt vmcnt(8) lgkmcnt(0)
	v_mul_f64 v[197:198], v[185:186], v[8:9]
	v_mul_f64 v[8:9], v[187:188], v[8:9]
	v_add_f64 v[191:192], v[191:192], v[201:202]
	v_add_f64 v[189:190], v[189:190], v[199:200]
	v_fma_f64 v[193:194], v[4:5], v[42:43], v[193:194]
	v_fma_f64 v[199:200], v[2:3], v[42:43], -v[44:45]
	ds_load_b128 v[2:5], v1 offset:1152
	scratch_load_b128 v[42:45], off, off offset:576
	v_fma_f64 v[187:188], v[187:188], v[6:7], v[197:198]
	v_fma_f64 v[185:186], v[185:186], v[6:7], -v[8:9]
	scratch_load_b128 v[6:9], off, off offset:592
	v_add_f64 v[183:184], v[191:192], v[183:184]
	v_add_f64 v[195:196], v[189:190], v[195:196]
	ds_load_b128 v[189:192], v1 offset:1168
	s_waitcnt vmcnt(9) lgkmcnt(1)
	v_mul_f64 v[201:202], v[2:3], v[12:13]
	v_mul_f64 v[12:13], v[4:5], v[12:13]
	v_add_f64 v[183:184], v[183:184], v[199:200]
	v_add_f64 v[193:194], v[195:196], v[193:194]
	s_waitcnt vmcnt(8) lgkmcnt(0)
	v_mul_f64 v[195:196], v[189:190], v[16:17]
	v_mul_f64 v[16:17], v[191:192], v[16:17]
	v_fma_f64 v[197:198], v[4:5], v[10:11], v[201:202]
	v_fma_f64 v[199:200], v[2:3], v[10:11], -v[12:13]
	ds_load_b128 v[2:5], v1 offset:1184
	scratch_load_b128 v[10:13], off, off offset:608
	v_add_f64 v[201:202], v[183:184], v[185:186]
	v_add_f64 v[187:188], v[193:194], v[187:188]
	ds_load_b128 v[183:186], v1 offset:1200
	s_waitcnt vmcnt(8) lgkmcnt(1)
	v_mul_f64 v[193:194], v[2:3], v[20:21]
	v_mul_f64 v[20:21], v[4:5], v[20:21]
	v_fma_f64 v[191:192], v[191:192], v[14:15], v[195:196]
	v_fma_f64 v[189:190], v[189:190], v[14:15], -v[16:17]
	scratch_load_b128 v[14:17], off, off offset:624
	v_add_f64 v[195:196], v[201:202], v[199:200]
	v_add_f64 v[187:188], v[187:188], v[197:198]
	s_waitcnt vmcnt(8) lgkmcnt(0)
	v_mul_f64 v[197:198], v[183:184], v[24:25]
	v_mul_f64 v[24:25], v[185:186], v[24:25]
	v_fma_f64 v[193:194], v[4:5], v[18:19], v[193:194]
	v_fma_f64 v[199:200], v[2:3], v[18:19], -v[20:21]
	ds_load_b128 v[2:5], v1 offset:1216
	scratch_load_b128 v[18:21], off, off offset:640
	v_add_f64 v[195:196], v[195:196], v[189:190]
	v_add_f64 v[191:192], v[187:188], v[191:192]
	ds_load_b128 v[187:190], v1 offset:1232
	s_waitcnt vmcnt(8) lgkmcnt(1)
	v_mul_f64 v[201:202], v[2:3], v[28:29]
	v_mul_f64 v[28:29], v[4:5], v[28:29]
	v_fma_f64 v[185:186], v[185:186], v[22:23], v[197:198]
	v_fma_f64 v[183:184], v[183:184], v[22:23], -v[24:25]
	scratch_load_b128 v[22:25], off, off offset:656
	;; [unrolled: 18-line block ×3, first 2 shown]
	v_add_f64 v[193:194], v[195:196], v[199:200]
	v_add_f64 v[191:192], v[191:192], v[197:198]
	s_waitcnt vmcnt(8) lgkmcnt(0)
	v_mul_f64 v[195:196], v[183:184], v[40:41]
	v_mul_f64 v[40:41], v[185:186], v[40:41]
	v_fma_f64 v[197:198], v[4:5], v[34:35], v[201:202]
	v_fma_f64 v[199:200], v[2:3], v[34:35], -v[36:37]
	ds_load_b128 v[2:5], v1 offset:1280
	ds_load_b128 v[34:37], v1 offset:1296
	v_add_f64 v[187:188], v[193:194], v[187:188]
	v_add_f64 v[189:190], v[191:192], v[189:190]
	s_waitcnt vmcnt(7) lgkmcnt(1)
	v_mul_f64 v[191:192], v[2:3], v[44:45]
	v_mul_f64 v[44:45], v[4:5], v[44:45]
	v_fma_f64 v[185:186], v[185:186], v[38:39], v[195:196]
	v_fma_f64 v[38:39], v[183:184], v[38:39], -v[40:41]
	v_add_f64 v[40:41], v[187:188], v[199:200]
	v_add_f64 v[183:184], v[189:190], v[197:198]
	s_waitcnt vmcnt(6) lgkmcnt(0)
	v_mul_f64 v[187:188], v[34:35], v[8:9]
	v_mul_f64 v[8:9], v[36:37], v[8:9]
	v_fma_f64 v[189:190], v[4:5], v[42:43], v[191:192]
	v_fma_f64 v[42:43], v[2:3], v[42:43], -v[44:45]
	v_add_f64 v[44:45], v[40:41], v[38:39]
	v_add_f64 v[183:184], v[183:184], v[185:186]
	ds_load_b128 v[2:5], v1 offset:1312
	ds_load_b128 v[38:41], v1 offset:1328
	v_fma_f64 v[36:37], v[36:37], v[6:7], v[187:188]
	v_fma_f64 v[6:7], v[34:35], v[6:7], -v[8:9]
	s_waitcnt vmcnt(5) lgkmcnt(1)
	v_mul_f64 v[185:186], v[2:3], v[12:13]
	v_mul_f64 v[12:13], v[4:5], v[12:13]
	v_add_f64 v[8:9], v[44:45], v[42:43]
	v_add_f64 v[34:35], v[183:184], v[189:190]
	s_waitcnt vmcnt(4) lgkmcnt(0)
	v_mul_f64 v[42:43], v[38:39], v[16:17]
	v_mul_f64 v[16:17], v[40:41], v[16:17]
	v_fma_f64 v[44:45], v[4:5], v[10:11], v[185:186]
	v_fma_f64 v[10:11], v[2:3], v[10:11], -v[12:13]
	v_add_f64 v[12:13], v[8:9], v[6:7]
	v_add_f64 v[34:35], v[34:35], v[36:37]
	ds_load_b128 v[2:5], v1 offset:1344
	ds_load_b128 v[6:9], v1 offset:1360
	v_fma_f64 v[40:41], v[40:41], v[14:15], v[42:43]
	v_fma_f64 v[14:15], v[38:39], v[14:15], -v[16:17]
	s_waitcnt vmcnt(3) lgkmcnt(1)
	v_mul_f64 v[36:37], v[2:3], v[20:21]
	v_mul_f64 v[20:21], v[4:5], v[20:21]
	s_waitcnt vmcnt(2) lgkmcnt(0)
	v_mul_f64 v[16:17], v[6:7], v[24:25]
	v_mul_f64 v[24:25], v[8:9], v[24:25]
	v_add_f64 v[10:11], v[12:13], v[10:11]
	v_add_f64 v[12:13], v[34:35], v[44:45]
	v_fma_f64 v[34:35], v[4:5], v[18:19], v[36:37]
	v_fma_f64 v[18:19], v[2:3], v[18:19], -v[20:21]
	v_fma_f64 v[8:9], v[8:9], v[22:23], v[16:17]
	v_fma_f64 v[6:7], v[6:7], v[22:23], -v[24:25]
	v_add_f64 v[14:15], v[10:11], v[14:15]
	v_add_f64 v[20:21], v[12:13], v[40:41]
	ds_load_b128 v[2:5], v1 offset:1376
	ds_load_b128 v[10:13], v1 offset:1392
	s_waitcnt vmcnt(1) lgkmcnt(1)
	v_mul_f64 v[36:37], v[2:3], v[28:29]
	v_mul_f64 v[28:29], v[4:5], v[28:29]
	v_add_f64 v[14:15], v[14:15], v[18:19]
	v_add_f64 v[16:17], v[20:21], v[34:35]
	s_waitcnt vmcnt(0) lgkmcnt(0)
	v_mul_f64 v[18:19], v[10:11], v[32:33]
	v_mul_f64 v[20:21], v[12:13], v[32:33]
	v_fma_f64 v[4:5], v[4:5], v[26:27], v[36:37]
	v_fma_f64 v[1:2], v[2:3], v[26:27], -v[28:29]
	v_add_f64 v[6:7], v[14:15], v[6:7]
	v_add_f64 v[8:9], v[16:17], v[8:9]
	v_fma_f64 v[12:13], v[12:13], v[30:31], v[18:19]
	v_fma_f64 v[10:11], v[10:11], v[30:31], -v[20:21]
	s_delay_alu instid0(VALU_DEP_4) | instskip(NEXT) | instid1(VALU_DEP_4)
	v_add_f64 v[1:2], v[6:7], v[1:2]
	v_add_f64 v[3:4], v[8:9], v[4:5]
	s_delay_alu instid0(VALU_DEP_2) | instskip(NEXT) | instid1(VALU_DEP_2)
	v_add_f64 v[1:2], v[1:2], v[10:11]
	v_add_f64 v[3:4], v[3:4], v[12:13]
	s_delay_alu instid0(VALU_DEP_2) | instskip(NEXT) | instid1(VALU_DEP_2)
	v_add_f64 v[1:2], v[179:180], -v[1:2]
	v_add_f64 v[3:4], v[181:182], -v[3:4]
	scratch_store_b128 off, v[1:4], off offset:240
	v_cmpx_lt_u32_e32 14, v134
	s_cbranch_execz .LBB43_249
; %bb.248:
	scratch_load_b128 v[1:4], v166, off
	v_mov_b32_e32 v5, 0
	s_delay_alu instid0(VALU_DEP_1)
	v_mov_b32_e32 v6, v5
	v_mov_b32_e32 v7, v5
	;; [unrolled: 1-line block ×3, first 2 shown]
	scratch_store_b128 off, v[5:8], off offset:224
	s_waitcnt vmcnt(0)
	ds_store_b128 v178, v[1:4]
.LBB43_249:
	s_or_b32 exec_lo, exec_lo, s2
	s_waitcnt lgkmcnt(0)
	s_waitcnt_vscnt null, 0x0
	s_barrier
	buffer_gl0_inv
	s_clause 0x7
	scratch_load_b128 v[2:5], off, off offset:240
	scratch_load_b128 v[6:9], off, off offset:256
	;; [unrolled: 1-line block ×8, first 2 shown]
	v_mov_b32_e32 v1, 0
	s_mov_b32 s2, exec_lo
	ds_load_b128 v[38:41], v1 offset:944
	s_clause 0x1
	scratch_load_b128 v[34:37], off, off offset:368
	scratch_load_b128 v[42:45], off, off offset:224
	ds_load_b128 v[179:182], v1 offset:960
	scratch_load_b128 v[183:186], off, off offset:384
	s_waitcnt vmcnt(10) lgkmcnt(1)
	v_mul_f64 v[187:188], v[40:41], v[4:5]
	v_mul_f64 v[4:5], v[38:39], v[4:5]
	s_delay_alu instid0(VALU_DEP_2) | instskip(NEXT) | instid1(VALU_DEP_2)
	v_fma_f64 v[193:194], v[38:39], v[2:3], -v[187:188]
	v_fma_f64 v[195:196], v[40:41], v[2:3], v[4:5]
	scratch_load_b128 v[38:41], off, off offset:400
	ds_load_b128 v[2:5], v1 offset:976
	s_waitcnt vmcnt(10) lgkmcnt(1)
	v_mul_f64 v[191:192], v[179:180], v[8:9]
	v_mul_f64 v[8:9], v[181:182], v[8:9]
	ds_load_b128 v[187:190], v1 offset:992
	s_waitcnt vmcnt(9) lgkmcnt(1)
	v_mul_f64 v[197:198], v[2:3], v[12:13]
	v_mul_f64 v[12:13], v[4:5], v[12:13]
	v_fma_f64 v[181:182], v[181:182], v[6:7], v[191:192]
	v_fma_f64 v[179:180], v[179:180], v[6:7], -v[8:9]
	v_add_f64 v[191:192], v[193:194], 0
	v_add_f64 v[193:194], v[195:196], 0
	scratch_load_b128 v[6:9], off, off offset:416
	v_fma_f64 v[197:198], v[4:5], v[10:11], v[197:198]
	v_fma_f64 v[199:200], v[2:3], v[10:11], -v[12:13]
	scratch_load_b128 v[10:13], off, off offset:432
	ds_load_b128 v[2:5], v1 offset:1008
	s_waitcnt vmcnt(10) lgkmcnt(1)
	v_mul_f64 v[195:196], v[187:188], v[16:17]
	v_mul_f64 v[16:17], v[189:190], v[16:17]
	v_add_f64 v[191:192], v[191:192], v[179:180]
	v_add_f64 v[193:194], v[193:194], v[181:182]
	s_waitcnt vmcnt(9) lgkmcnt(0)
	v_mul_f64 v[201:202], v[2:3], v[20:21]
	v_mul_f64 v[20:21], v[4:5], v[20:21]
	ds_load_b128 v[179:182], v1 offset:1024
	v_fma_f64 v[189:190], v[189:190], v[14:15], v[195:196]
	v_fma_f64 v[187:188], v[187:188], v[14:15], -v[16:17]
	scratch_load_b128 v[14:17], off, off offset:448
	v_add_f64 v[191:192], v[191:192], v[199:200]
	v_add_f64 v[193:194], v[193:194], v[197:198]
	v_fma_f64 v[197:198], v[4:5], v[18:19], v[201:202]
	v_fma_f64 v[199:200], v[2:3], v[18:19], -v[20:21]
	scratch_load_b128 v[18:21], off, off offset:464
	ds_load_b128 v[2:5], v1 offset:1040
	s_waitcnt vmcnt(10) lgkmcnt(1)
	v_mul_f64 v[195:196], v[179:180], v[24:25]
	v_mul_f64 v[24:25], v[181:182], v[24:25]
	s_waitcnt vmcnt(9) lgkmcnt(0)
	v_mul_f64 v[201:202], v[2:3], v[28:29]
	v_mul_f64 v[28:29], v[4:5], v[28:29]
	v_add_f64 v[191:192], v[191:192], v[187:188]
	v_add_f64 v[193:194], v[193:194], v[189:190]
	ds_load_b128 v[187:190], v1 offset:1056
	v_fma_f64 v[181:182], v[181:182], v[22:23], v[195:196]
	v_fma_f64 v[179:180], v[179:180], v[22:23], -v[24:25]
	scratch_load_b128 v[22:25], off, off offset:480
	v_add_f64 v[191:192], v[191:192], v[199:200]
	v_add_f64 v[193:194], v[193:194], v[197:198]
	v_fma_f64 v[197:198], v[4:5], v[26:27], v[201:202]
	v_fma_f64 v[199:200], v[2:3], v[26:27], -v[28:29]
	scratch_load_b128 v[26:29], off, off offset:496
	ds_load_b128 v[2:5], v1 offset:1072
	s_waitcnt vmcnt(10) lgkmcnt(1)
	v_mul_f64 v[195:196], v[187:188], v[32:33]
	v_mul_f64 v[32:33], v[189:190], v[32:33]
	s_waitcnt vmcnt(9) lgkmcnt(0)
	v_mul_f64 v[201:202], v[2:3], v[36:37]
	v_mul_f64 v[36:37], v[4:5], v[36:37]
	v_add_f64 v[191:192], v[191:192], v[179:180]
	v_add_f64 v[193:194], v[193:194], v[181:182]
	ds_load_b128 v[179:182], v1 offset:1088
	v_fma_f64 v[189:190], v[189:190], v[30:31], v[195:196]
	v_fma_f64 v[187:188], v[187:188], v[30:31], -v[32:33]
	scratch_load_b128 v[30:33], off, off offset:512
	v_add_f64 v[191:192], v[191:192], v[199:200]
	v_add_f64 v[193:194], v[193:194], v[197:198]
	v_fma_f64 v[199:200], v[4:5], v[34:35], v[201:202]
	v_fma_f64 v[201:202], v[2:3], v[34:35], -v[36:37]
	scratch_load_b128 v[34:37], off, off offset:528
	ds_load_b128 v[2:5], v1 offset:1104
	s_waitcnt vmcnt(9) lgkmcnt(1)
	v_mul_f64 v[195:196], v[179:180], v[185:186]
	v_mul_f64 v[197:198], v[181:182], v[185:186]
	v_add_f64 v[191:192], v[191:192], v[187:188]
	v_add_f64 v[189:190], v[193:194], v[189:190]
	ds_load_b128 v[185:188], v1 offset:1120
	v_fma_f64 v[195:196], v[181:182], v[183:184], v[195:196]
	v_fma_f64 v[183:184], v[179:180], v[183:184], -v[197:198]
	scratch_load_b128 v[179:182], off, off offset:544
	s_waitcnt vmcnt(9) lgkmcnt(1)
	v_mul_f64 v[193:194], v[2:3], v[40:41]
	v_mul_f64 v[40:41], v[4:5], v[40:41]
	v_add_f64 v[191:192], v[191:192], v[201:202]
	v_add_f64 v[189:190], v[189:190], v[199:200]
	s_delay_alu instid0(VALU_DEP_4) | instskip(NEXT) | instid1(VALU_DEP_4)
	v_fma_f64 v[193:194], v[4:5], v[38:39], v[193:194]
	v_fma_f64 v[199:200], v[2:3], v[38:39], -v[40:41]
	scratch_load_b128 v[38:41], off, off offset:560
	ds_load_b128 v[2:5], v1 offset:1136
	s_waitcnt vmcnt(9) lgkmcnt(1)
	v_mul_f64 v[197:198], v[185:186], v[8:9]
	v_mul_f64 v[8:9], v[187:188], v[8:9]
	s_waitcnt vmcnt(8) lgkmcnt(0)
	v_mul_f64 v[201:202], v[2:3], v[12:13]
	v_mul_f64 v[12:13], v[4:5], v[12:13]
	v_add_f64 v[183:184], v[191:192], v[183:184]
	v_add_f64 v[195:196], v[189:190], v[195:196]
	ds_load_b128 v[189:192], v1 offset:1152
	v_fma_f64 v[187:188], v[187:188], v[6:7], v[197:198]
	v_fma_f64 v[185:186], v[185:186], v[6:7], -v[8:9]
	scratch_load_b128 v[6:9], off, off offset:576
	v_fma_f64 v[197:198], v[4:5], v[10:11], v[201:202]
	v_add_f64 v[183:184], v[183:184], v[199:200]
	v_add_f64 v[193:194], v[195:196], v[193:194]
	v_fma_f64 v[199:200], v[2:3], v[10:11], -v[12:13]
	scratch_load_b128 v[10:13], off, off offset:592
	ds_load_b128 v[2:5], v1 offset:1168
	s_waitcnt vmcnt(9) lgkmcnt(1)
	v_mul_f64 v[195:196], v[189:190], v[16:17]
	v_mul_f64 v[16:17], v[191:192], v[16:17]
	v_add_f64 v[201:202], v[183:184], v[185:186]
	v_add_f64 v[187:188], v[193:194], v[187:188]
	s_waitcnt vmcnt(8) lgkmcnt(0)
	v_mul_f64 v[193:194], v[2:3], v[20:21]
	v_mul_f64 v[20:21], v[4:5], v[20:21]
	ds_load_b128 v[183:186], v1 offset:1184
	v_fma_f64 v[191:192], v[191:192], v[14:15], v[195:196]
	v_fma_f64 v[189:190], v[189:190], v[14:15], -v[16:17]
	scratch_load_b128 v[14:17], off, off offset:608
	v_add_f64 v[195:196], v[201:202], v[199:200]
	v_add_f64 v[187:188], v[187:188], v[197:198]
	v_fma_f64 v[193:194], v[4:5], v[18:19], v[193:194]
	v_fma_f64 v[199:200], v[2:3], v[18:19], -v[20:21]
	scratch_load_b128 v[18:21], off, off offset:624
	ds_load_b128 v[2:5], v1 offset:1200
	s_waitcnt vmcnt(9) lgkmcnt(1)
	v_mul_f64 v[197:198], v[183:184], v[24:25]
	v_mul_f64 v[24:25], v[185:186], v[24:25]
	s_waitcnt vmcnt(8) lgkmcnt(0)
	v_mul_f64 v[201:202], v[2:3], v[28:29]
	v_mul_f64 v[28:29], v[4:5], v[28:29]
	v_add_f64 v[195:196], v[195:196], v[189:190]
	v_add_f64 v[191:192], v[187:188], v[191:192]
	ds_load_b128 v[187:190], v1 offset:1216
	v_fma_f64 v[185:186], v[185:186], v[22:23], v[197:198]
	v_fma_f64 v[183:184], v[183:184], v[22:23], -v[24:25]
	scratch_load_b128 v[22:25], off, off offset:640
	v_fma_f64 v[197:198], v[4:5], v[26:27], v[201:202]
	v_add_f64 v[195:196], v[195:196], v[199:200]
	v_add_f64 v[191:192], v[191:192], v[193:194]
	v_fma_f64 v[199:200], v[2:3], v[26:27], -v[28:29]
	scratch_load_b128 v[26:29], off, off offset:656
	ds_load_b128 v[2:5], v1 offset:1232
	s_waitcnt vmcnt(9) lgkmcnt(1)
	v_mul_f64 v[193:194], v[187:188], v[32:33]
	v_mul_f64 v[32:33], v[189:190], v[32:33]
	s_waitcnt vmcnt(8) lgkmcnt(0)
	v_mul_f64 v[201:202], v[2:3], v[36:37]
	v_mul_f64 v[36:37], v[4:5], v[36:37]
	v_add_f64 v[195:196], v[195:196], v[183:184]
	v_add_f64 v[191:192], v[191:192], v[185:186]
	ds_load_b128 v[183:186], v1 offset:1248
	v_fma_f64 v[189:190], v[189:190], v[30:31], v[193:194]
	v_fma_f64 v[187:188], v[187:188], v[30:31], -v[32:33]
	scratch_load_b128 v[30:33], off, off offset:672
	v_add_f64 v[193:194], v[195:196], v[199:200]
	v_add_f64 v[191:192], v[191:192], v[197:198]
	v_fma_f64 v[197:198], v[4:5], v[34:35], v[201:202]
	v_fma_f64 v[199:200], v[2:3], v[34:35], -v[36:37]
	scratch_load_b128 v[34:37], off, off offset:688
	ds_load_b128 v[2:5], v1 offset:1264
	s_waitcnt vmcnt(9) lgkmcnt(1)
	v_mul_f64 v[195:196], v[183:184], v[181:182]
	v_mul_f64 v[181:182], v[185:186], v[181:182]
	s_waitcnt vmcnt(8) lgkmcnt(0)
	v_mul_f64 v[201:202], v[2:3], v[40:41]
	v_mul_f64 v[40:41], v[4:5], v[40:41]
	v_add_f64 v[193:194], v[193:194], v[187:188]
	v_add_f64 v[191:192], v[191:192], v[189:190]
	ds_load_b128 v[187:190], v1 offset:1280
	v_fma_f64 v[185:186], v[185:186], v[179:180], v[195:196]
	v_fma_f64 v[179:180], v[183:184], v[179:180], -v[181:182]
	v_fma_f64 v[195:196], v[2:3], v[38:39], -v[40:41]
	v_add_f64 v[181:182], v[193:194], v[199:200]
	v_add_f64 v[183:184], v[191:192], v[197:198]
	s_waitcnt vmcnt(7) lgkmcnt(0)
	v_mul_f64 v[191:192], v[187:188], v[8:9]
	v_mul_f64 v[8:9], v[189:190], v[8:9]
	v_fma_f64 v[193:194], v[4:5], v[38:39], v[201:202]
	ds_load_b128 v[2:5], v1 offset:1296
	ds_load_b128 v[38:41], v1 offset:1312
	v_add_f64 v[179:180], v[181:182], v[179:180]
	v_add_f64 v[181:182], v[183:184], v[185:186]
	s_waitcnt vmcnt(6) lgkmcnt(1)
	v_mul_f64 v[183:184], v[2:3], v[12:13]
	v_mul_f64 v[12:13], v[4:5], v[12:13]
	v_fma_f64 v[185:186], v[189:190], v[6:7], v[191:192]
	v_fma_f64 v[6:7], v[187:188], v[6:7], -v[8:9]
	v_add_f64 v[8:9], v[179:180], v[195:196]
	v_add_f64 v[179:180], v[181:182], v[193:194]
	s_waitcnt vmcnt(5) lgkmcnt(0)
	v_mul_f64 v[181:182], v[38:39], v[16:17]
	v_mul_f64 v[16:17], v[40:41], v[16:17]
	v_fma_f64 v[183:184], v[4:5], v[10:11], v[183:184]
	v_fma_f64 v[10:11], v[2:3], v[10:11], -v[12:13]
	v_add_f64 v[12:13], v[8:9], v[6:7]
	v_add_f64 v[179:180], v[179:180], v[185:186]
	ds_load_b128 v[2:5], v1 offset:1328
	ds_load_b128 v[6:9], v1 offset:1344
	v_fma_f64 v[40:41], v[40:41], v[14:15], v[181:182]
	v_fma_f64 v[14:15], v[38:39], v[14:15], -v[16:17]
	s_waitcnt vmcnt(4) lgkmcnt(1)
	v_mul_f64 v[185:186], v[2:3], v[20:21]
	v_mul_f64 v[20:21], v[4:5], v[20:21]
	s_waitcnt vmcnt(3) lgkmcnt(0)
	v_mul_f64 v[16:17], v[6:7], v[24:25]
	v_mul_f64 v[24:25], v[8:9], v[24:25]
	v_add_f64 v[10:11], v[12:13], v[10:11]
	v_add_f64 v[12:13], v[179:180], v[183:184]
	v_fma_f64 v[38:39], v[4:5], v[18:19], v[185:186]
	v_fma_f64 v[18:19], v[2:3], v[18:19], -v[20:21]
	v_fma_f64 v[8:9], v[8:9], v[22:23], v[16:17]
	v_fma_f64 v[6:7], v[6:7], v[22:23], -v[24:25]
	v_add_f64 v[14:15], v[10:11], v[14:15]
	v_add_f64 v[20:21], v[12:13], v[40:41]
	ds_load_b128 v[2:5], v1 offset:1360
	ds_load_b128 v[10:13], v1 offset:1376
	s_waitcnt vmcnt(2) lgkmcnt(1)
	v_mul_f64 v[40:41], v[2:3], v[28:29]
	v_mul_f64 v[28:29], v[4:5], v[28:29]
	v_add_f64 v[14:15], v[14:15], v[18:19]
	v_add_f64 v[16:17], v[20:21], v[38:39]
	s_waitcnt vmcnt(1) lgkmcnt(0)
	v_mul_f64 v[18:19], v[10:11], v[32:33]
	v_mul_f64 v[20:21], v[12:13], v[32:33]
	v_fma_f64 v[22:23], v[4:5], v[26:27], v[40:41]
	v_fma_f64 v[24:25], v[2:3], v[26:27], -v[28:29]
	ds_load_b128 v[2:5], v1 offset:1392
	v_add_f64 v[6:7], v[14:15], v[6:7]
	v_add_f64 v[8:9], v[16:17], v[8:9]
	v_fma_f64 v[12:13], v[12:13], v[30:31], v[18:19]
	v_fma_f64 v[10:11], v[10:11], v[30:31], -v[20:21]
	s_waitcnt vmcnt(0) lgkmcnt(0)
	v_mul_f64 v[14:15], v[2:3], v[36:37]
	v_mul_f64 v[16:17], v[4:5], v[36:37]
	v_add_f64 v[6:7], v[6:7], v[24:25]
	v_add_f64 v[8:9], v[8:9], v[22:23]
	s_delay_alu instid0(VALU_DEP_4) | instskip(NEXT) | instid1(VALU_DEP_4)
	v_fma_f64 v[4:5], v[4:5], v[34:35], v[14:15]
	v_fma_f64 v[2:3], v[2:3], v[34:35], -v[16:17]
	s_delay_alu instid0(VALU_DEP_4) | instskip(NEXT) | instid1(VALU_DEP_4)
	v_add_f64 v[6:7], v[6:7], v[10:11]
	v_add_f64 v[8:9], v[8:9], v[12:13]
	s_delay_alu instid0(VALU_DEP_2) | instskip(NEXT) | instid1(VALU_DEP_2)
	v_add_f64 v[2:3], v[6:7], v[2:3]
	v_add_f64 v[4:5], v[8:9], v[4:5]
	s_delay_alu instid0(VALU_DEP_2) | instskip(NEXT) | instid1(VALU_DEP_2)
	v_add_f64 v[2:3], v[42:43], -v[2:3]
	v_add_f64 v[4:5], v[44:45], -v[4:5]
	scratch_store_b128 off, v[2:5], off offset:224
	v_cmpx_lt_u32_e32 13, v134
	s_cbranch_execz .LBB43_251
; %bb.250:
	scratch_load_b128 v[5:8], v167, off
	v_mov_b32_e32 v2, v1
	v_mov_b32_e32 v3, v1
	;; [unrolled: 1-line block ×3, first 2 shown]
	scratch_store_b128 off, v[1:4], off offset:208
	s_waitcnt vmcnt(0)
	ds_store_b128 v178, v[5:8]
.LBB43_251:
	s_or_b32 exec_lo, exec_lo, s2
	s_waitcnt lgkmcnt(0)
	s_waitcnt_vscnt null, 0x0
	s_barrier
	buffer_gl0_inv
	s_clause 0x8
	scratch_load_b128 v[2:5], off, off offset:224
	scratch_load_b128 v[6:9], off, off offset:240
	;; [unrolled: 1-line block ×9, first 2 shown]
	ds_load_b128 v[42:45], v1 offset:928
	ds_load_b128 v[38:41], v1 offset:944
	s_clause 0x1
	scratch_load_b128 v[179:182], off, off offset:208
	scratch_load_b128 v[183:186], off, off offset:368
	s_mov_b32 s2, exec_lo
	s_waitcnt vmcnt(10) lgkmcnt(1)
	v_mul_f64 v[187:188], v[44:45], v[4:5]
	v_mul_f64 v[4:5], v[42:43], v[4:5]
	s_waitcnt vmcnt(9) lgkmcnt(0)
	v_mul_f64 v[191:192], v[38:39], v[8:9]
	v_mul_f64 v[8:9], v[40:41], v[8:9]
	s_delay_alu instid0(VALU_DEP_4) | instskip(NEXT) | instid1(VALU_DEP_4)
	v_fma_f64 v[193:194], v[42:43], v[2:3], -v[187:188]
	v_fma_f64 v[195:196], v[44:45], v[2:3], v[4:5]
	ds_load_b128 v[2:5], v1 offset:960
	ds_load_b128 v[187:190], v1 offset:976
	scratch_load_b128 v[42:45], off, off offset:384
	v_fma_f64 v[40:41], v[40:41], v[6:7], v[191:192]
	v_fma_f64 v[38:39], v[38:39], v[6:7], -v[8:9]
	scratch_load_b128 v[6:9], off, off offset:400
	s_waitcnt vmcnt(10) lgkmcnt(1)
	v_mul_f64 v[197:198], v[2:3], v[12:13]
	v_mul_f64 v[12:13], v[4:5], v[12:13]
	v_add_f64 v[191:192], v[193:194], 0
	v_add_f64 v[193:194], v[195:196], 0
	s_waitcnt vmcnt(9) lgkmcnt(0)
	v_mul_f64 v[195:196], v[187:188], v[16:17]
	v_mul_f64 v[16:17], v[189:190], v[16:17]
	v_fma_f64 v[197:198], v[4:5], v[10:11], v[197:198]
	v_fma_f64 v[199:200], v[2:3], v[10:11], -v[12:13]
	ds_load_b128 v[2:5], v1 offset:992
	scratch_load_b128 v[10:13], off, off offset:416
	v_add_f64 v[191:192], v[191:192], v[38:39]
	v_add_f64 v[193:194], v[193:194], v[40:41]
	ds_load_b128 v[38:41], v1 offset:1008
	v_fma_f64 v[189:190], v[189:190], v[14:15], v[195:196]
	v_fma_f64 v[187:188], v[187:188], v[14:15], -v[16:17]
	scratch_load_b128 v[14:17], off, off offset:432
	s_waitcnt vmcnt(10) lgkmcnt(1)
	v_mul_f64 v[201:202], v[2:3], v[20:21]
	v_mul_f64 v[20:21], v[4:5], v[20:21]
	s_waitcnt vmcnt(9) lgkmcnt(0)
	v_mul_f64 v[195:196], v[38:39], v[24:25]
	v_mul_f64 v[24:25], v[40:41], v[24:25]
	v_add_f64 v[191:192], v[191:192], v[199:200]
	v_add_f64 v[193:194], v[193:194], v[197:198]
	v_fma_f64 v[197:198], v[4:5], v[18:19], v[201:202]
	v_fma_f64 v[199:200], v[2:3], v[18:19], -v[20:21]
	ds_load_b128 v[2:5], v1 offset:1024
	scratch_load_b128 v[18:21], off, off offset:448
	v_fma_f64 v[40:41], v[40:41], v[22:23], v[195:196]
	v_fma_f64 v[38:39], v[38:39], v[22:23], -v[24:25]
	scratch_load_b128 v[22:25], off, off offset:464
	v_add_f64 v[191:192], v[191:192], v[187:188]
	v_add_f64 v[193:194], v[193:194], v[189:190]
	ds_load_b128 v[187:190], v1 offset:1040
	s_waitcnt vmcnt(10) lgkmcnt(1)
	v_mul_f64 v[201:202], v[2:3], v[28:29]
	v_mul_f64 v[28:29], v[4:5], v[28:29]
	s_waitcnt vmcnt(9) lgkmcnt(0)
	v_mul_f64 v[195:196], v[187:188], v[32:33]
	v_mul_f64 v[32:33], v[189:190], v[32:33]
	v_add_f64 v[191:192], v[191:192], v[199:200]
	v_add_f64 v[193:194], v[193:194], v[197:198]
	v_fma_f64 v[197:198], v[4:5], v[26:27], v[201:202]
	v_fma_f64 v[199:200], v[2:3], v[26:27], -v[28:29]
	ds_load_b128 v[2:5], v1 offset:1056
	scratch_load_b128 v[26:29], off, off offset:480
	v_fma_f64 v[189:190], v[189:190], v[30:31], v[195:196]
	v_fma_f64 v[187:188], v[187:188], v[30:31], -v[32:33]
	scratch_load_b128 v[30:33], off, off offset:496
	v_add_f64 v[191:192], v[191:192], v[38:39]
	v_add_f64 v[193:194], v[193:194], v[40:41]
	ds_load_b128 v[38:41], v1 offset:1072
	s_waitcnt vmcnt(10) lgkmcnt(1)
	v_mul_f64 v[201:202], v[2:3], v[36:37]
	v_mul_f64 v[36:37], v[4:5], v[36:37]
	s_waitcnt vmcnt(8) lgkmcnt(0)
	v_mul_f64 v[195:196], v[38:39], v[185:186]
	v_add_f64 v[191:192], v[191:192], v[199:200]
	v_add_f64 v[193:194], v[193:194], v[197:198]
	v_mul_f64 v[197:198], v[40:41], v[185:186]
	v_fma_f64 v[199:200], v[4:5], v[34:35], v[201:202]
	v_fma_f64 v[201:202], v[2:3], v[34:35], -v[36:37]
	ds_load_b128 v[2:5], v1 offset:1088
	scratch_load_b128 v[34:37], off, off offset:512
	v_fma_f64 v[195:196], v[40:41], v[183:184], v[195:196]
	v_add_f64 v[191:192], v[191:192], v[187:188]
	v_add_f64 v[189:190], v[193:194], v[189:190]
	ds_load_b128 v[185:188], v1 offset:1104
	v_fma_f64 v[183:184], v[38:39], v[183:184], -v[197:198]
	scratch_load_b128 v[38:41], off, off offset:528
	s_waitcnt vmcnt(9) lgkmcnt(1)
	v_mul_f64 v[193:194], v[2:3], v[44:45]
	v_mul_f64 v[44:45], v[4:5], v[44:45]
	s_waitcnt vmcnt(8) lgkmcnt(0)
	v_mul_f64 v[197:198], v[185:186], v[8:9]
	v_mul_f64 v[8:9], v[187:188], v[8:9]
	v_add_f64 v[191:192], v[191:192], v[201:202]
	v_add_f64 v[189:190], v[189:190], v[199:200]
	v_fma_f64 v[193:194], v[4:5], v[42:43], v[193:194]
	v_fma_f64 v[199:200], v[2:3], v[42:43], -v[44:45]
	ds_load_b128 v[2:5], v1 offset:1120
	scratch_load_b128 v[42:45], off, off offset:544
	v_fma_f64 v[187:188], v[187:188], v[6:7], v[197:198]
	v_fma_f64 v[185:186], v[185:186], v[6:7], -v[8:9]
	scratch_load_b128 v[6:9], off, off offset:560
	v_add_f64 v[183:184], v[191:192], v[183:184]
	v_add_f64 v[195:196], v[189:190], v[195:196]
	ds_load_b128 v[189:192], v1 offset:1136
	s_waitcnt vmcnt(9) lgkmcnt(1)
	v_mul_f64 v[201:202], v[2:3], v[12:13]
	v_mul_f64 v[12:13], v[4:5], v[12:13]
	v_add_f64 v[183:184], v[183:184], v[199:200]
	v_add_f64 v[193:194], v[195:196], v[193:194]
	s_waitcnt vmcnt(8) lgkmcnt(0)
	v_mul_f64 v[195:196], v[189:190], v[16:17]
	v_mul_f64 v[16:17], v[191:192], v[16:17]
	v_fma_f64 v[197:198], v[4:5], v[10:11], v[201:202]
	v_fma_f64 v[199:200], v[2:3], v[10:11], -v[12:13]
	ds_load_b128 v[2:5], v1 offset:1152
	scratch_load_b128 v[10:13], off, off offset:576
	v_add_f64 v[201:202], v[183:184], v[185:186]
	v_add_f64 v[187:188], v[193:194], v[187:188]
	ds_load_b128 v[183:186], v1 offset:1168
	s_waitcnt vmcnt(8) lgkmcnt(1)
	v_mul_f64 v[193:194], v[2:3], v[20:21]
	v_mul_f64 v[20:21], v[4:5], v[20:21]
	v_fma_f64 v[191:192], v[191:192], v[14:15], v[195:196]
	v_fma_f64 v[189:190], v[189:190], v[14:15], -v[16:17]
	scratch_load_b128 v[14:17], off, off offset:592
	v_add_f64 v[195:196], v[201:202], v[199:200]
	v_add_f64 v[187:188], v[187:188], v[197:198]
	s_waitcnt vmcnt(8) lgkmcnt(0)
	v_mul_f64 v[197:198], v[183:184], v[24:25]
	v_mul_f64 v[24:25], v[185:186], v[24:25]
	v_fma_f64 v[193:194], v[4:5], v[18:19], v[193:194]
	v_fma_f64 v[199:200], v[2:3], v[18:19], -v[20:21]
	ds_load_b128 v[2:5], v1 offset:1184
	scratch_load_b128 v[18:21], off, off offset:608
	v_add_f64 v[195:196], v[195:196], v[189:190]
	v_add_f64 v[191:192], v[187:188], v[191:192]
	ds_load_b128 v[187:190], v1 offset:1200
	s_waitcnt vmcnt(8) lgkmcnt(1)
	v_mul_f64 v[201:202], v[2:3], v[28:29]
	v_mul_f64 v[28:29], v[4:5], v[28:29]
	v_fma_f64 v[185:186], v[185:186], v[22:23], v[197:198]
	v_fma_f64 v[183:184], v[183:184], v[22:23], -v[24:25]
	scratch_load_b128 v[22:25], off, off offset:624
	;; [unrolled: 18-line block ×4, first 2 shown]
	s_waitcnt vmcnt(8) lgkmcnt(0)
	v_mul_f64 v[195:196], v[187:188], v[8:9]
	v_mul_f64 v[8:9], v[189:190], v[8:9]
	v_add_f64 v[193:194], v[193:194], v[199:200]
	v_add_f64 v[191:192], v[191:192], v[197:198]
	v_fma_f64 v[197:198], v[4:5], v[42:43], v[201:202]
	v_fma_f64 v[199:200], v[2:3], v[42:43], -v[44:45]
	ds_load_b128 v[2:5], v1 offset:1280
	ds_load_b128 v[42:45], v1 offset:1296
	v_fma_f64 v[189:190], v[189:190], v[6:7], v[195:196]
	v_fma_f64 v[6:7], v[187:188], v[6:7], -v[8:9]
	v_add_f64 v[183:184], v[193:194], v[183:184]
	v_add_f64 v[185:186], v[191:192], v[185:186]
	s_waitcnt vmcnt(7) lgkmcnt(1)
	v_mul_f64 v[191:192], v[2:3], v[12:13]
	v_mul_f64 v[12:13], v[4:5], v[12:13]
	s_delay_alu instid0(VALU_DEP_4) | instskip(NEXT) | instid1(VALU_DEP_4)
	v_add_f64 v[8:9], v[183:184], v[199:200]
	v_add_f64 v[183:184], v[185:186], v[197:198]
	s_waitcnt vmcnt(6) lgkmcnt(0)
	v_mul_f64 v[185:186], v[42:43], v[16:17]
	v_mul_f64 v[16:17], v[44:45], v[16:17]
	v_fma_f64 v[187:188], v[4:5], v[10:11], v[191:192]
	v_fma_f64 v[10:11], v[2:3], v[10:11], -v[12:13]
	v_add_f64 v[12:13], v[8:9], v[6:7]
	v_add_f64 v[183:184], v[183:184], v[189:190]
	ds_load_b128 v[2:5], v1 offset:1312
	ds_load_b128 v[6:9], v1 offset:1328
	v_fma_f64 v[44:45], v[44:45], v[14:15], v[185:186]
	v_fma_f64 v[14:15], v[42:43], v[14:15], -v[16:17]
	s_waitcnt vmcnt(5) lgkmcnt(1)
	v_mul_f64 v[189:190], v[2:3], v[20:21]
	v_mul_f64 v[20:21], v[4:5], v[20:21]
	s_waitcnt vmcnt(4) lgkmcnt(0)
	v_mul_f64 v[16:17], v[6:7], v[24:25]
	v_mul_f64 v[24:25], v[8:9], v[24:25]
	v_add_f64 v[10:11], v[12:13], v[10:11]
	v_add_f64 v[12:13], v[183:184], v[187:188]
	v_fma_f64 v[42:43], v[4:5], v[18:19], v[189:190]
	v_fma_f64 v[18:19], v[2:3], v[18:19], -v[20:21]
	v_fma_f64 v[8:9], v[8:9], v[22:23], v[16:17]
	v_fma_f64 v[6:7], v[6:7], v[22:23], -v[24:25]
	v_add_f64 v[14:15], v[10:11], v[14:15]
	v_add_f64 v[20:21], v[12:13], v[44:45]
	ds_load_b128 v[2:5], v1 offset:1344
	ds_load_b128 v[10:13], v1 offset:1360
	s_waitcnt vmcnt(3) lgkmcnt(1)
	v_mul_f64 v[44:45], v[2:3], v[28:29]
	v_mul_f64 v[28:29], v[4:5], v[28:29]
	v_add_f64 v[14:15], v[14:15], v[18:19]
	v_add_f64 v[16:17], v[20:21], v[42:43]
	s_waitcnt vmcnt(2) lgkmcnt(0)
	v_mul_f64 v[18:19], v[10:11], v[32:33]
	v_mul_f64 v[20:21], v[12:13], v[32:33]
	v_fma_f64 v[22:23], v[4:5], v[26:27], v[44:45]
	v_fma_f64 v[24:25], v[2:3], v[26:27], -v[28:29]
	v_add_f64 v[14:15], v[14:15], v[6:7]
	v_add_f64 v[16:17], v[16:17], v[8:9]
	ds_load_b128 v[2:5], v1 offset:1376
	ds_load_b128 v[6:9], v1 offset:1392
	v_fma_f64 v[12:13], v[12:13], v[30:31], v[18:19]
	v_fma_f64 v[10:11], v[10:11], v[30:31], -v[20:21]
	s_waitcnt vmcnt(1) lgkmcnt(1)
	v_mul_f64 v[26:27], v[2:3], v[36:37]
	v_mul_f64 v[28:29], v[4:5], v[36:37]
	s_waitcnt vmcnt(0) lgkmcnt(0)
	v_mul_f64 v[18:19], v[6:7], v[40:41]
	v_mul_f64 v[20:21], v[8:9], v[40:41]
	v_add_f64 v[14:15], v[14:15], v[24:25]
	v_add_f64 v[16:17], v[16:17], v[22:23]
	v_fma_f64 v[4:5], v[4:5], v[34:35], v[26:27]
	v_fma_f64 v[1:2], v[2:3], v[34:35], -v[28:29]
	v_fma_f64 v[8:9], v[8:9], v[38:39], v[18:19]
	v_fma_f64 v[6:7], v[6:7], v[38:39], -v[20:21]
	v_add_f64 v[10:11], v[14:15], v[10:11]
	v_add_f64 v[12:13], v[16:17], v[12:13]
	s_delay_alu instid0(VALU_DEP_2) | instskip(NEXT) | instid1(VALU_DEP_2)
	v_add_f64 v[1:2], v[10:11], v[1:2]
	v_add_f64 v[3:4], v[12:13], v[4:5]
	s_delay_alu instid0(VALU_DEP_2) | instskip(NEXT) | instid1(VALU_DEP_2)
	v_add_f64 v[1:2], v[1:2], v[6:7]
	v_add_f64 v[3:4], v[3:4], v[8:9]
	s_delay_alu instid0(VALU_DEP_2) | instskip(NEXT) | instid1(VALU_DEP_2)
	v_add_f64 v[1:2], v[179:180], -v[1:2]
	v_add_f64 v[3:4], v[181:182], -v[3:4]
	scratch_store_b128 off, v[1:4], off offset:208
	v_cmpx_lt_u32_e32 12, v134
	s_cbranch_execz .LBB43_253
; %bb.252:
	scratch_load_b128 v[1:4], v168, off
	v_mov_b32_e32 v5, 0
	s_delay_alu instid0(VALU_DEP_1)
	v_mov_b32_e32 v6, v5
	v_mov_b32_e32 v7, v5
	;; [unrolled: 1-line block ×3, first 2 shown]
	scratch_store_b128 off, v[5:8], off offset:192
	s_waitcnt vmcnt(0)
	ds_store_b128 v178, v[1:4]
.LBB43_253:
	s_or_b32 exec_lo, exec_lo, s2
	s_waitcnt lgkmcnt(0)
	s_waitcnt_vscnt null, 0x0
	s_barrier
	buffer_gl0_inv
	s_clause 0x7
	scratch_load_b128 v[2:5], off, off offset:208
	scratch_load_b128 v[6:9], off, off offset:224
	;; [unrolled: 1-line block ×8, first 2 shown]
	v_mov_b32_e32 v1, 0
	s_mov_b32 s2, exec_lo
	ds_load_b128 v[38:41], v1 offset:912
	s_clause 0x1
	scratch_load_b128 v[34:37], off, off offset:336
	scratch_load_b128 v[42:45], off, off offset:192
	ds_load_b128 v[179:182], v1 offset:928
	scratch_load_b128 v[183:186], off, off offset:352
	s_waitcnt vmcnt(10) lgkmcnt(1)
	v_mul_f64 v[187:188], v[40:41], v[4:5]
	v_mul_f64 v[4:5], v[38:39], v[4:5]
	s_delay_alu instid0(VALU_DEP_2) | instskip(NEXT) | instid1(VALU_DEP_2)
	v_fma_f64 v[193:194], v[38:39], v[2:3], -v[187:188]
	v_fma_f64 v[195:196], v[40:41], v[2:3], v[4:5]
	scratch_load_b128 v[38:41], off, off offset:368
	ds_load_b128 v[2:5], v1 offset:944
	s_waitcnt vmcnt(10) lgkmcnt(1)
	v_mul_f64 v[191:192], v[179:180], v[8:9]
	v_mul_f64 v[8:9], v[181:182], v[8:9]
	ds_load_b128 v[187:190], v1 offset:960
	s_waitcnt vmcnt(9) lgkmcnt(1)
	v_mul_f64 v[197:198], v[2:3], v[12:13]
	v_mul_f64 v[12:13], v[4:5], v[12:13]
	v_fma_f64 v[181:182], v[181:182], v[6:7], v[191:192]
	v_fma_f64 v[179:180], v[179:180], v[6:7], -v[8:9]
	v_add_f64 v[191:192], v[193:194], 0
	v_add_f64 v[193:194], v[195:196], 0
	scratch_load_b128 v[6:9], off, off offset:384
	v_fma_f64 v[197:198], v[4:5], v[10:11], v[197:198]
	v_fma_f64 v[199:200], v[2:3], v[10:11], -v[12:13]
	scratch_load_b128 v[10:13], off, off offset:400
	ds_load_b128 v[2:5], v1 offset:976
	s_waitcnt vmcnt(10) lgkmcnt(1)
	v_mul_f64 v[195:196], v[187:188], v[16:17]
	v_mul_f64 v[16:17], v[189:190], v[16:17]
	v_add_f64 v[191:192], v[191:192], v[179:180]
	v_add_f64 v[193:194], v[193:194], v[181:182]
	s_waitcnt vmcnt(9) lgkmcnt(0)
	v_mul_f64 v[201:202], v[2:3], v[20:21]
	v_mul_f64 v[20:21], v[4:5], v[20:21]
	ds_load_b128 v[179:182], v1 offset:992
	v_fma_f64 v[189:190], v[189:190], v[14:15], v[195:196]
	v_fma_f64 v[187:188], v[187:188], v[14:15], -v[16:17]
	scratch_load_b128 v[14:17], off, off offset:416
	v_add_f64 v[191:192], v[191:192], v[199:200]
	v_add_f64 v[193:194], v[193:194], v[197:198]
	v_fma_f64 v[197:198], v[4:5], v[18:19], v[201:202]
	v_fma_f64 v[199:200], v[2:3], v[18:19], -v[20:21]
	scratch_load_b128 v[18:21], off, off offset:432
	ds_load_b128 v[2:5], v1 offset:1008
	s_waitcnt vmcnt(10) lgkmcnt(1)
	v_mul_f64 v[195:196], v[179:180], v[24:25]
	v_mul_f64 v[24:25], v[181:182], v[24:25]
	s_waitcnt vmcnt(9) lgkmcnt(0)
	v_mul_f64 v[201:202], v[2:3], v[28:29]
	v_mul_f64 v[28:29], v[4:5], v[28:29]
	v_add_f64 v[191:192], v[191:192], v[187:188]
	v_add_f64 v[193:194], v[193:194], v[189:190]
	ds_load_b128 v[187:190], v1 offset:1024
	v_fma_f64 v[181:182], v[181:182], v[22:23], v[195:196]
	v_fma_f64 v[179:180], v[179:180], v[22:23], -v[24:25]
	scratch_load_b128 v[22:25], off, off offset:448
	v_add_f64 v[191:192], v[191:192], v[199:200]
	v_add_f64 v[193:194], v[193:194], v[197:198]
	v_fma_f64 v[197:198], v[4:5], v[26:27], v[201:202]
	v_fma_f64 v[199:200], v[2:3], v[26:27], -v[28:29]
	scratch_load_b128 v[26:29], off, off offset:464
	ds_load_b128 v[2:5], v1 offset:1040
	s_waitcnt vmcnt(10) lgkmcnt(1)
	v_mul_f64 v[195:196], v[187:188], v[32:33]
	v_mul_f64 v[32:33], v[189:190], v[32:33]
	s_waitcnt vmcnt(9) lgkmcnt(0)
	v_mul_f64 v[201:202], v[2:3], v[36:37]
	v_mul_f64 v[36:37], v[4:5], v[36:37]
	v_add_f64 v[191:192], v[191:192], v[179:180]
	v_add_f64 v[193:194], v[193:194], v[181:182]
	ds_load_b128 v[179:182], v1 offset:1056
	v_fma_f64 v[189:190], v[189:190], v[30:31], v[195:196]
	v_fma_f64 v[187:188], v[187:188], v[30:31], -v[32:33]
	scratch_load_b128 v[30:33], off, off offset:480
	v_add_f64 v[191:192], v[191:192], v[199:200]
	v_add_f64 v[193:194], v[193:194], v[197:198]
	v_fma_f64 v[199:200], v[4:5], v[34:35], v[201:202]
	v_fma_f64 v[201:202], v[2:3], v[34:35], -v[36:37]
	scratch_load_b128 v[34:37], off, off offset:496
	ds_load_b128 v[2:5], v1 offset:1072
	s_waitcnt vmcnt(9) lgkmcnt(1)
	v_mul_f64 v[195:196], v[179:180], v[185:186]
	v_mul_f64 v[197:198], v[181:182], v[185:186]
	v_add_f64 v[191:192], v[191:192], v[187:188]
	v_add_f64 v[189:190], v[193:194], v[189:190]
	ds_load_b128 v[185:188], v1 offset:1088
	v_fma_f64 v[195:196], v[181:182], v[183:184], v[195:196]
	v_fma_f64 v[183:184], v[179:180], v[183:184], -v[197:198]
	scratch_load_b128 v[179:182], off, off offset:512
	s_waitcnt vmcnt(9) lgkmcnt(1)
	v_mul_f64 v[193:194], v[2:3], v[40:41]
	v_mul_f64 v[40:41], v[4:5], v[40:41]
	v_add_f64 v[191:192], v[191:192], v[201:202]
	v_add_f64 v[189:190], v[189:190], v[199:200]
	s_delay_alu instid0(VALU_DEP_4) | instskip(NEXT) | instid1(VALU_DEP_4)
	v_fma_f64 v[193:194], v[4:5], v[38:39], v[193:194]
	v_fma_f64 v[199:200], v[2:3], v[38:39], -v[40:41]
	scratch_load_b128 v[38:41], off, off offset:528
	ds_load_b128 v[2:5], v1 offset:1104
	s_waitcnt vmcnt(9) lgkmcnt(1)
	v_mul_f64 v[197:198], v[185:186], v[8:9]
	v_mul_f64 v[8:9], v[187:188], v[8:9]
	s_waitcnt vmcnt(8) lgkmcnt(0)
	v_mul_f64 v[201:202], v[2:3], v[12:13]
	v_mul_f64 v[12:13], v[4:5], v[12:13]
	v_add_f64 v[183:184], v[191:192], v[183:184]
	v_add_f64 v[195:196], v[189:190], v[195:196]
	ds_load_b128 v[189:192], v1 offset:1120
	v_fma_f64 v[187:188], v[187:188], v[6:7], v[197:198]
	v_fma_f64 v[185:186], v[185:186], v[6:7], -v[8:9]
	scratch_load_b128 v[6:9], off, off offset:544
	v_fma_f64 v[197:198], v[4:5], v[10:11], v[201:202]
	v_add_f64 v[183:184], v[183:184], v[199:200]
	v_add_f64 v[193:194], v[195:196], v[193:194]
	v_fma_f64 v[199:200], v[2:3], v[10:11], -v[12:13]
	scratch_load_b128 v[10:13], off, off offset:560
	ds_load_b128 v[2:5], v1 offset:1136
	s_waitcnt vmcnt(9) lgkmcnt(1)
	v_mul_f64 v[195:196], v[189:190], v[16:17]
	v_mul_f64 v[16:17], v[191:192], v[16:17]
	v_add_f64 v[201:202], v[183:184], v[185:186]
	v_add_f64 v[187:188], v[193:194], v[187:188]
	s_waitcnt vmcnt(8) lgkmcnt(0)
	v_mul_f64 v[193:194], v[2:3], v[20:21]
	v_mul_f64 v[20:21], v[4:5], v[20:21]
	ds_load_b128 v[183:186], v1 offset:1152
	v_fma_f64 v[191:192], v[191:192], v[14:15], v[195:196]
	v_fma_f64 v[189:190], v[189:190], v[14:15], -v[16:17]
	scratch_load_b128 v[14:17], off, off offset:576
	v_add_f64 v[195:196], v[201:202], v[199:200]
	v_add_f64 v[187:188], v[187:188], v[197:198]
	v_fma_f64 v[193:194], v[4:5], v[18:19], v[193:194]
	v_fma_f64 v[199:200], v[2:3], v[18:19], -v[20:21]
	scratch_load_b128 v[18:21], off, off offset:592
	ds_load_b128 v[2:5], v1 offset:1168
	s_waitcnt vmcnt(9) lgkmcnt(1)
	v_mul_f64 v[197:198], v[183:184], v[24:25]
	v_mul_f64 v[24:25], v[185:186], v[24:25]
	s_waitcnt vmcnt(8) lgkmcnt(0)
	v_mul_f64 v[201:202], v[2:3], v[28:29]
	v_mul_f64 v[28:29], v[4:5], v[28:29]
	v_add_f64 v[195:196], v[195:196], v[189:190]
	v_add_f64 v[191:192], v[187:188], v[191:192]
	ds_load_b128 v[187:190], v1 offset:1184
	v_fma_f64 v[185:186], v[185:186], v[22:23], v[197:198]
	v_fma_f64 v[183:184], v[183:184], v[22:23], -v[24:25]
	scratch_load_b128 v[22:25], off, off offset:608
	v_fma_f64 v[197:198], v[4:5], v[26:27], v[201:202]
	v_add_f64 v[195:196], v[195:196], v[199:200]
	v_add_f64 v[191:192], v[191:192], v[193:194]
	v_fma_f64 v[199:200], v[2:3], v[26:27], -v[28:29]
	scratch_load_b128 v[26:29], off, off offset:624
	ds_load_b128 v[2:5], v1 offset:1200
	s_waitcnt vmcnt(9) lgkmcnt(1)
	v_mul_f64 v[193:194], v[187:188], v[32:33]
	v_mul_f64 v[32:33], v[189:190], v[32:33]
	s_waitcnt vmcnt(8) lgkmcnt(0)
	v_mul_f64 v[201:202], v[2:3], v[36:37]
	v_mul_f64 v[36:37], v[4:5], v[36:37]
	v_add_f64 v[195:196], v[195:196], v[183:184]
	v_add_f64 v[191:192], v[191:192], v[185:186]
	ds_load_b128 v[183:186], v1 offset:1216
	v_fma_f64 v[189:190], v[189:190], v[30:31], v[193:194]
	v_fma_f64 v[187:188], v[187:188], v[30:31], -v[32:33]
	scratch_load_b128 v[30:33], off, off offset:640
	v_add_f64 v[193:194], v[195:196], v[199:200]
	v_add_f64 v[191:192], v[191:192], v[197:198]
	v_fma_f64 v[197:198], v[4:5], v[34:35], v[201:202]
	v_fma_f64 v[199:200], v[2:3], v[34:35], -v[36:37]
	scratch_load_b128 v[34:37], off, off offset:656
	ds_load_b128 v[2:5], v1 offset:1232
	s_waitcnt vmcnt(9) lgkmcnt(1)
	v_mul_f64 v[195:196], v[183:184], v[181:182]
	v_mul_f64 v[181:182], v[185:186], v[181:182]
	s_waitcnt vmcnt(8) lgkmcnt(0)
	v_mul_f64 v[201:202], v[2:3], v[40:41]
	v_mul_f64 v[40:41], v[4:5], v[40:41]
	v_add_f64 v[193:194], v[193:194], v[187:188]
	v_add_f64 v[191:192], v[191:192], v[189:190]
	ds_load_b128 v[187:190], v1 offset:1248
	v_fma_f64 v[185:186], v[185:186], v[179:180], v[195:196]
	v_fma_f64 v[183:184], v[183:184], v[179:180], -v[181:182]
	scratch_load_b128 v[179:182], off, off offset:672
	v_add_f64 v[193:194], v[193:194], v[199:200]
	v_add_f64 v[191:192], v[191:192], v[197:198]
	v_fma_f64 v[197:198], v[4:5], v[38:39], v[201:202]
	v_fma_f64 v[199:200], v[2:3], v[38:39], -v[40:41]
	scratch_load_b128 v[38:41], off, off offset:688
	ds_load_b128 v[2:5], v1 offset:1264
	s_waitcnt vmcnt(9) lgkmcnt(1)
	v_mul_f64 v[195:196], v[187:188], v[8:9]
	v_mul_f64 v[8:9], v[189:190], v[8:9]
	s_waitcnt vmcnt(8) lgkmcnt(0)
	v_mul_f64 v[201:202], v[2:3], v[12:13]
	v_mul_f64 v[12:13], v[4:5], v[12:13]
	v_add_f64 v[193:194], v[193:194], v[183:184]
	v_add_f64 v[191:192], v[191:192], v[185:186]
	ds_load_b128 v[183:186], v1 offset:1280
	v_fma_f64 v[189:190], v[189:190], v[6:7], v[195:196]
	v_fma_f64 v[6:7], v[187:188], v[6:7], -v[8:9]
	v_add_f64 v[8:9], v[193:194], v[199:200]
	v_add_f64 v[187:188], v[191:192], v[197:198]
	s_waitcnt vmcnt(7) lgkmcnt(0)
	v_mul_f64 v[191:192], v[183:184], v[16:17]
	v_mul_f64 v[16:17], v[185:186], v[16:17]
	v_fma_f64 v[193:194], v[4:5], v[10:11], v[201:202]
	v_fma_f64 v[10:11], v[2:3], v[10:11], -v[12:13]
	v_add_f64 v[12:13], v[8:9], v[6:7]
	v_add_f64 v[187:188], v[187:188], v[189:190]
	ds_load_b128 v[2:5], v1 offset:1296
	ds_load_b128 v[6:9], v1 offset:1312
	v_fma_f64 v[185:186], v[185:186], v[14:15], v[191:192]
	v_fma_f64 v[14:15], v[183:184], v[14:15], -v[16:17]
	s_waitcnt vmcnt(6) lgkmcnt(1)
	v_mul_f64 v[189:190], v[2:3], v[20:21]
	v_mul_f64 v[20:21], v[4:5], v[20:21]
	s_waitcnt vmcnt(5) lgkmcnt(0)
	v_mul_f64 v[16:17], v[6:7], v[24:25]
	v_mul_f64 v[24:25], v[8:9], v[24:25]
	v_add_f64 v[10:11], v[12:13], v[10:11]
	v_add_f64 v[12:13], v[187:188], v[193:194]
	v_fma_f64 v[183:184], v[4:5], v[18:19], v[189:190]
	v_fma_f64 v[18:19], v[2:3], v[18:19], -v[20:21]
	v_fma_f64 v[8:9], v[8:9], v[22:23], v[16:17]
	v_fma_f64 v[6:7], v[6:7], v[22:23], -v[24:25]
	v_add_f64 v[14:15], v[10:11], v[14:15]
	v_add_f64 v[20:21], v[12:13], v[185:186]
	ds_load_b128 v[2:5], v1 offset:1328
	ds_load_b128 v[10:13], v1 offset:1344
	s_waitcnt vmcnt(4) lgkmcnt(1)
	v_mul_f64 v[185:186], v[2:3], v[28:29]
	v_mul_f64 v[28:29], v[4:5], v[28:29]
	v_add_f64 v[14:15], v[14:15], v[18:19]
	v_add_f64 v[16:17], v[20:21], v[183:184]
	s_waitcnt vmcnt(3) lgkmcnt(0)
	v_mul_f64 v[18:19], v[10:11], v[32:33]
	v_mul_f64 v[20:21], v[12:13], v[32:33]
	v_fma_f64 v[22:23], v[4:5], v[26:27], v[185:186]
	v_fma_f64 v[24:25], v[2:3], v[26:27], -v[28:29]
	v_add_f64 v[14:15], v[14:15], v[6:7]
	v_add_f64 v[16:17], v[16:17], v[8:9]
	ds_load_b128 v[2:5], v1 offset:1360
	ds_load_b128 v[6:9], v1 offset:1376
	v_fma_f64 v[12:13], v[12:13], v[30:31], v[18:19]
	v_fma_f64 v[10:11], v[10:11], v[30:31], -v[20:21]
	s_waitcnt vmcnt(2) lgkmcnt(1)
	v_mul_f64 v[26:27], v[2:3], v[36:37]
	v_mul_f64 v[28:29], v[4:5], v[36:37]
	s_waitcnt vmcnt(1) lgkmcnt(0)
	v_mul_f64 v[18:19], v[6:7], v[181:182]
	v_mul_f64 v[20:21], v[8:9], v[181:182]
	v_add_f64 v[14:15], v[14:15], v[24:25]
	v_add_f64 v[16:17], v[16:17], v[22:23]
	v_fma_f64 v[22:23], v[4:5], v[34:35], v[26:27]
	v_fma_f64 v[24:25], v[2:3], v[34:35], -v[28:29]
	ds_load_b128 v[2:5], v1 offset:1392
	v_fma_f64 v[8:9], v[8:9], v[179:180], v[18:19]
	v_fma_f64 v[6:7], v[6:7], v[179:180], -v[20:21]
	v_add_f64 v[10:11], v[14:15], v[10:11]
	v_add_f64 v[12:13], v[16:17], v[12:13]
	s_waitcnt vmcnt(0) lgkmcnt(0)
	v_mul_f64 v[14:15], v[2:3], v[40:41]
	v_mul_f64 v[16:17], v[4:5], v[40:41]
	s_delay_alu instid0(VALU_DEP_4) | instskip(NEXT) | instid1(VALU_DEP_4)
	v_add_f64 v[10:11], v[10:11], v[24:25]
	v_add_f64 v[12:13], v[12:13], v[22:23]
	s_delay_alu instid0(VALU_DEP_4) | instskip(NEXT) | instid1(VALU_DEP_4)
	v_fma_f64 v[4:5], v[4:5], v[38:39], v[14:15]
	v_fma_f64 v[2:3], v[2:3], v[38:39], -v[16:17]
	s_delay_alu instid0(VALU_DEP_4) | instskip(NEXT) | instid1(VALU_DEP_4)
	v_add_f64 v[6:7], v[10:11], v[6:7]
	v_add_f64 v[8:9], v[12:13], v[8:9]
	s_delay_alu instid0(VALU_DEP_2) | instskip(NEXT) | instid1(VALU_DEP_2)
	v_add_f64 v[2:3], v[6:7], v[2:3]
	v_add_f64 v[4:5], v[8:9], v[4:5]
	s_delay_alu instid0(VALU_DEP_2) | instskip(NEXT) | instid1(VALU_DEP_2)
	v_add_f64 v[2:3], v[42:43], -v[2:3]
	v_add_f64 v[4:5], v[44:45], -v[4:5]
	scratch_store_b128 off, v[2:5], off offset:192
	v_cmpx_lt_u32_e32 11, v134
	s_cbranch_execz .LBB43_255
; %bb.254:
	scratch_load_b128 v[5:8], v169, off
	v_mov_b32_e32 v2, v1
	v_mov_b32_e32 v3, v1
	;; [unrolled: 1-line block ×3, first 2 shown]
	scratch_store_b128 off, v[1:4], off offset:176
	s_waitcnt vmcnt(0)
	ds_store_b128 v178, v[5:8]
.LBB43_255:
	s_or_b32 exec_lo, exec_lo, s2
	s_waitcnt lgkmcnt(0)
	s_waitcnt_vscnt null, 0x0
	s_barrier
	buffer_gl0_inv
	s_clause 0x8
	scratch_load_b128 v[2:5], off, off offset:192
	scratch_load_b128 v[6:9], off, off offset:208
	;; [unrolled: 1-line block ×9, first 2 shown]
	ds_load_b128 v[42:45], v1 offset:896
	ds_load_b128 v[38:41], v1 offset:912
	s_clause 0x1
	scratch_load_b128 v[179:182], off, off offset:176
	scratch_load_b128 v[183:186], off, off offset:336
	s_mov_b32 s2, exec_lo
	s_waitcnt vmcnt(10) lgkmcnt(1)
	v_mul_f64 v[187:188], v[44:45], v[4:5]
	v_mul_f64 v[4:5], v[42:43], v[4:5]
	s_waitcnt vmcnt(9) lgkmcnt(0)
	v_mul_f64 v[191:192], v[38:39], v[8:9]
	v_mul_f64 v[8:9], v[40:41], v[8:9]
	s_delay_alu instid0(VALU_DEP_4) | instskip(NEXT) | instid1(VALU_DEP_4)
	v_fma_f64 v[193:194], v[42:43], v[2:3], -v[187:188]
	v_fma_f64 v[195:196], v[44:45], v[2:3], v[4:5]
	ds_load_b128 v[2:5], v1 offset:928
	ds_load_b128 v[187:190], v1 offset:944
	scratch_load_b128 v[42:45], off, off offset:352
	v_fma_f64 v[40:41], v[40:41], v[6:7], v[191:192]
	v_fma_f64 v[38:39], v[38:39], v[6:7], -v[8:9]
	scratch_load_b128 v[6:9], off, off offset:368
	s_waitcnt vmcnt(10) lgkmcnt(1)
	v_mul_f64 v[197:198], v[2:3], v[12:13]
	v_mul_f64 v[12:13], v[4:5], v[12:13]
	v_add_f64 v[191:192], v[193:194], 0
	v_add_f64 v[193:194], v[195:196], 0
	s_waitcnt vmcnt(9) lgkmcnt(0)
	v_mul_f64 v[195:196], v[187:188], v[16:17]
	v_mul_f64 v[16:17], v[189:190], v[16:17]
	v_fma_f64 v[197:198], v[4:5], v[10:11], v[197:198]
	v_fma_f64 v[199:200], v[2:3], v[10:11], -v[12:13]
	ds_load_b128 v[2:5], v1 offset:960
	scratch_load_b128 v[10:13], off, off offset:384
	v_add_f64 v[191:192], v[191:192], v[38:39]
	v_add_f64 v[193:194], v[193:194], v[40:41]
	ds_load_b128 v[38:41], v1 offset:976
	v_fma_f64 v[189:190], v[189:190], v[14:15], v[195:196]
	v_fma_f64 v[187:188], v[187:188], v[14:15], -v[16:17]
	scratch_load_b128 v[14:17], off, off offset:400
	s_waitcnt vmcnt(10) lgkmcnt(1)
	v_mul_f64 v[201:202], v[2:3], v[20:21]
	v_mul_f64 v[20:21], v[4:5], v[20:21]
	s_waitcnt vmcnt(9) lgkmcnt(0)
	v_mul_f64 v[195:196], v[38:39], v[24:25]
	v_mul_f64 v[24:25], v[40:41], v[24:25]
	v_add_f64 v[191:192], v[191:192], v[199:200]
	v_add_f64 v[193:194], v[193:194], v[197:198]
	v_fma_f64 v[197:198], v[4:5], v[18:19], v[201:202]
	v_fma_f64 v[199:200], v[2:3], v[18:19], -v[20:21]
	ds_load_b128 v[2:5], v1 offset:992
	scratch_load_b128 v[18:21], off, off offset:416
	v_fma_f64 v[40:41], v[40:41], v[22:23], v[195:196]
	v_fma_f64 v[38:39], v[38:39], v[22:23], -v[24:25]
	scratch_load_b128 v[22:25], off, off offset:432
	v_add_f64 v[191:192], v[191:192], v[187:188]
	v_add_f64 v[193:194], v[193:194], v[189:190]
	ds_load_b128 v[187:190], v1 offset:1008
	s_waitcnt vmcnt(10) lgkmcnt(1)
	v_mul_f64 v[201:202], v[2:3], v[28:29]
	v_mul_f64 v[28:29], v[4:5], v[28:29]
	s_waitcnt vmcnt(9) lgkmcnt(0)
	v_mul_f64 v[195:196], v[187:188], v[32:33]
	v_mul_f64 v[32:33], v[189:190], v[32:33]
	v_add_f64 v[191:192], v[191:192], v[199:200]
	v_add_f64 v[193:194], v[193:194], v[197:198]
	v_fma_f64 v[197:198], v[4:5], v[26:27], v[201:202]
	v_fma_f64 v[199:200], v[2:3], v[26:27], -v[28:29]
	ds_load_b128 v[2:5], v1 offset:1024
	scratch_load_b128 v[26:29], off, off offset:448
	v_fma_f64 v[189:190], v[189:190], v[30:31], v[195:196]
	v_fma_f64 v[187:188], v[187:188], v[30:31], -v[32:33]
	scratch_load_b128 v[30:33], off, off offset:464
	v_add_f64 v[191:192], v[191:192], v[38:39]
	v_add_f64 v[193:194], v[193:194], v[40:41]
	ds_load_b128 v[38:41], v1 offset:1040
	s_waitcnt vmcnt(10) lgkmcnt(1)
	v_mul_f64 v[201:202], v[2:3], v[36:37]
	v_mul_f64 v[36:37], v[4:5], v[36:37]
	s_waitcnt vmcnt(8) lgkmcnt(0)
	v_mul_f64 v[195:196], v[38:39], v[185:186]
	v_add_f64 v[191:192], v[191:192], v[199:200]
	v_add_f64 v[193:194], v[193:194], v[197:198]
	v_mul_f64 v[197:198], v[40:41], v[185:186]
	v_fma_f64 v[199:200], v[4:5], v[34:35], v[201:202]
	v_fma_f64 v[201:202], v[2:3], v[34:35], -v[36:37]
	ds_load_b128 v[2:5], v1 offset:1056
	scratch_load_b128 v[34:37], off, off offset:480
	v_fma_f64 v[195:196], v[40:41], v[183:184], v[195:196]
	v_add_f64 v[191:192], v[191:192], v[187:188]
	v_add_f64 v[189:190], v[193:194], v[189:190]
	ds_load_b128 v[185:188], v1 offset:1072
	v_fma_f64 v[183:184], v[38:39], v[183:184], -v[197:198]
	scratch_load_b128 v[38:41], off, off offset:496
	s_waitcnt vmcnt(9) lgkmcnt(1)
	v_mul_f64 v[193:194], v[2:3], v[44:45]
	v_mul_f64 v[44:45], v[4:5], v[44:45]
	s_waitcnt vmcnt(8) lgkmcnt(0)
	v_mul_f64 v[197:198], v[185:186], v[8:9]
	v_mul_f64 v[8:9], v[187:188], v[8:9]
	v_add_f64 v[191:192], v[191:192], v[201:202]
	v_add_f64 v[189:190], v[189:190], v[199:200]
	v_fma_f64 v[193:194], v[4:5], v[42:43], v[193:194]
	v_fma_f64 v[199:200], v[2:3], v[42:43], -v[44:45]
	ds_load_b128 v[2:5], v1 offset:1088
	scratch_load_b128 v[42:45], off, off offset:512
	v_fma_f64 v[187:188], v[187:188], v[6:7], v[197:198]
	v_fma_f64 v[185:186], v[185:186], v[6:7], -v[8:9]
	scratch_load_b128 v[6:9], off, off offset:528
	v_add_f64 v[183:184], v[191:192], v[183:184]
	v_add_f64 v[195:196], v[189:190], v[195:196]
	ds_load_b128 v[189:192], v1 offset:1104
	s_waitcnt vmcnt(9) lgkmcnt(1)
	v_mul_f64 v[201:202], v[2:3], v[12:13]
	v_mul_f64 v[12:13], v[4:5], v[12:13]
	v_add_f64 v[183:184], v[183:184], v[199:200]
	v_add_f64 v[193:194], v[195:196], v[193:194]
	s_waitcnt vmcnt(8) lgkmcnt(0)
	v_mul_f64 v[195:196], v[189:190], v[16:17]
	v_mul_f64 v[16:17], v[191:192], v[16:17]
	v_fma_f64 v[197:198], v[4:5], v[10:11], v[201:202]
	v_fma_f64 v[199:200], v[2:3], v[10:11], -v[12:13]
	ds_load_b128 v[2:5], v1 offset:1120
	scratch_load_b128 v[10:13], off, off offset:544
	v_add_f64 v[201:202], v[183:184], v[185:186]
	v_add_f64 v[187:188], v[193:194], v[187:188]
	ds_load_b128 v[183:186], v1 offset:1136
	s_waitcnt vmcnt(8) lgkmcnt(1)
	v_mul_f64 v[193:194], v[2:3], v[20:21]
	v_mul_f64 v[20:21], v[4:5], v[20:21]
	v_fma_f64 v[191:192], v[191:192], v[14:15], v[195:196]
	v_fma_f64 v[189:190], v[189:190], v[14:15], -v[16:17]
	scratch_load_b128 v[14:17], off, off offset:560
	v_add_f64 v[195:196], v[201:202], v[199:200]
	v_add_f64 v[187:188], v[187:188], v[197:198]
	s_waitcnt vmcnt(8) lgkmcnt(0)
	v_mul_f64 v[197:198], v[183:184], v[24:25]
	v_mul_f64 v[24:25], v[185:186], v[24:25]
	v_fma_f64 v[193:194], v[4:5], v[18:19], v[193:194]
	v_fma_f64 v[199:200], v[2:3], v[18:19], -v[20:21]
	ds_load_b128 v[2:5], v1 offset:1152
	scratch_load_b128 v[18:21], off, off offset:576
	v_add_f64 v[195:196], v[195:196], v[189:190]
	v_add_f64 v[191:192], v[187:188], v[191:192]
	ds_load_b128 v[187:190], v1 offset:1168
	s_waitcnt vmcnt(8) lgkmcnt(1)
	v_mul_f64 v[201:202], v[2:3], v[28:29]
	v_mul_f64 v[28:29], v[4:5], v[28:29]
	v_fma_f64 v[185:186], v[185:186], v[22:23], v[197:198]
	v_fma_f64 v[183:184], v[183:184], v[22:23], -v[24:25]
	scratch_load_b128 v[22:25], off, off offset:592
	v_add_f64 v[195:196], v[195:196], v[199:200]
	v_add_f64 v[191:192], v[191:192], v[193:194]
	s_waitcnt vmcnt(8) lgkmcnt(0)
	v_mul_f64 v[193:194], v[187:188], v[32:33]
	v_mul_f64 v[32:33], v[189:190], v[32:33]
	v_fma_f64 v[197:198], v[4:5], v[26:27], v[201:202]
	v_fma_f64 v[199:200], v[2:3], v[26:27], -v[28:29]
	ds_load_b128 v[2:5], v1 offset:1184
	scratch_load_b128 v[26:29], off, off offset:608
	v_add_f64 v[195:196], v[195:196], v[183:184]
	v_add_f64 v[191:192], v[191:192], v[185:186]
	ds_load_b128 v[183:186], v1 offset:1200
	s_waitcnt vmcnt(8) lgkmcnt(1)
	v_mul_f64 v[201:202], v[2:3], v[36:37]
	v_mul_f64 v[36:37], v[4:5], v[36:37]
	v_fma_f64 v[189:190], v[189:190], v[30:31], v[193:194]
	v_fma_f64 v[187:188], v[187:188], v[30:31], -v[32:33]
	scratch_load_b128 v[30:33], off, off offset:624
	v_add_f64 v[193:194], v[195:196], v[199:200]
	v_add_f64 v[191:192], v[191:192], v[197:198]
	s_waitcnt vmcnt(8) lgkmcnt(0)
	v_mul_f64 v[195:196], v[183:184], v[40:41]
	v_mul_f64 v[40:41], v[185:186], v[40:41]
	v_fma_f64 v[197:198], v[4:5], v[34:35], v[201:202]
	v_fma_f64 v[199:200], v[2:3], v[34:35], -v[36:37]
	ds_load_b128 v[2:5], v1 offset:1216
	scratch_load_b128 v[34:37], off, off offset:640
	v_add_f64 v[193:194], v[193:194], v[187:188]
	v_add_f64 v[191:192], v[191:192], v[189:190]
	ds_load_b128 v[187:190], v1 offset:1232
	s_waitcnt vmcnt(8) lgkmcnt(1)
	v_mul_f64 v[201:202], v[2:3], v[44:45]
	v_mul_f64 v[44:45], v[4:5], v[44:45]
	v_fma_f64 v[185:186], v[185:186], v[38:39], v[195:196]
	v_fma_f64 v[183:184], v[183:184], v[38:39], -v[40:41]
	scratch_load_b128 v[38:41], off, off offset:656
	s_waitcnt vmcnt(8) lgkmcnt(0)
	v_mul_f64 v[195:196], v[187:188], v[8:9]
	v_mul_f64 v[8:9], v[189:190], v[8:9]
	v_add_f64 v[193:194], v[193:194], v[199:200]
	v_add_f64 v[191:192], v[191:192], v[197:198]
	v_fma_f64 v[197:198], v[4:5], v[42:43], v[201:202]
	v_fma_f64 v[199:200], v[2:3], v[42:43], -v[44:45]
	ds_load_b128 v[2:5], v1 offset:1248
	scratch_load_b128 v[42:45], off, off offset:672
	v_fma_f64 v[189:190], v[189:190], v[6:7], v[195:196]
	v_fma_f64 v[187:188], v[187:188], v[6:7], -v[8:9]
	scratch_load_b128 v[6:9], off, off offset:688
	v_add_f64 v[193:194], v[193:194], v[183:184]
	v_add_f64 v[191:192], v[191:192], v[185:186]
	ds_load_b128 v[183:186], v1 offset:1264
	s_waitcnt vmcnt(9) lgkmcnt(1)
	v_mul_f64 v[201:202], v[2:3], v[12:13]
	v_mul_f64 v[12:13], v[4:5], v[12:13]
	s_waitcnt vmcnt(8) lgkmcnt(0)
	v_mul_f64 v[195:196], v[183:184], v[16:17]
	v_mul_f64 v[16:17], v[185:186], v[16:17]
	v_add_f64 v[193:194], v[193:194], v[199:200]
	v_add_f64 v[191:192], v[191:192], v[197:198]
	v_fma_f64 v[197:198], v[4:5], v[10:11], v[201:202]
	v_fma_f64 v[199:200], v[2:3], v[10:11], -v[12:13]
	ds_load_b128 v[2:5], v1 offset:1280
	ds_load_b128 v[10:13], v1 offset:1296
	v_fma_f64 v[185:186], v[185:186], v[14:15], v[195:196]
	v_fma_f64 v[14:15], v[183:184], v[14:15], -v[16:17]
	v_add_f64 v[187:188], v[193:194], v[187:188]
	v_add_f64 v[189:190], v[191:192], v[189:190]
	s_waitcnt vmcnt(7) lgkmcnt(1)
	v_mul_f64 v[191:192], v[2:3], v[20:21]
	v_mul_f64 v[20:21], v[4:5], v[20:21]
	s_delay_alu instid0(VALU_DEP_4) | instskip(NEXT) | instid1(VALU_DEP_4)
	v_add_f64 v[16:17], v[187:188], v[199:200]
	v_add_f64 v[183:184], v[189:190], v[197:198]
	s_waitcnt vmcnt(6) lgkmcnt(0)
	v_mul_f64 v[187:188], v[10:11], v[24:25]
	v_mul_f64 v[24:25], v[12:13], v[24:25]
	v_fma_f64 v[189:190], v[4:5], v[18:19], v[191:192]
	v_fma_f64 v[18:19], v[2:3], v[18:19], -v[20:21]
	v_add_f64 v[20:21], v[16:17], v[14:15]
	v_add_f64 v[183:184], v[183:184], v[185:186]
	ds_load_b128 v[2:5], v1 offset:1312
	ds_load_b128 v[14:17], v1 offset:1328
	v_fma_f64 v[12:13], v[12:13], v[22:23], v[187:188]
	v_fma_f64 v[10:11], v[10:11], v[22:23], -v[24:25]
	s_waitcnt vmcnt(5) lgkmcnt(1)
	v_mul_f64 v[185:186], v[2:3], v[28:29]
	v_mul_f64 v[28:29], v[4:5], v[28:29]
	s_waitcnt vmcnt(4) lgkmcnt(0)
	v_mul_f64 v[22:23], v[14:15], v[32:33]
	v_mul_f64 v[24:25], v[16:17], v[32:33]
	v_add_f64 v[18:19], v[20:21], v[18:19]
	v_add_f64 v[20:21], v[183:184], v[189:190]
	v_fma_f64 v[32:33], v[4:5], v[26:27], v[185:186]
	v_fma_f64 v[26:27], v[2:3], v[26:27], -v[28:29]
	v_fma_f64 v[16:17], v[16:17], v[30:31], v[22:23]
	v_fma_f64 v[14:15], v[14:15], v[30:31], -v[24:25]
	v_add_f64 v[18:19], v[18:19], v[10:11]
	v_add_f64 v[20:21], v[20:21], v[12:13]
	ds_load_b128 v[2:5], v1 offset:1344
	ds_load_b128 v[10:13], v1 offset:1360
	s_waitcnt vmcnt(3) lgkmcnt(1)
	v_mul_f64 v[28:29], v[2:3], v[36:37]
	v_mul_f64 v[36:37], v[4:5], v[36:37]
	s_waitcnt vmcnt(2) lgkmcnt(0)
	v_mul_f64 v[22:23], v[10:11], v[40:41]
	v_mul_f64 v[24:25], v[12:13], v[40:41]
	v_add_f64 v[18:19], v[18:19], v[26:27]
	v_add_f64 v[20:21], v[20:21], v[32:33]
	v_fma_f64 v[26:27], v[4:5], v[34:35], v[28:29]
	v_fma_f64 v[28:29], v[2:3], v[34:35], -v[36:37]
	v_fma_f64 v[12:13], v[12:13], v[38:39], v[22:23]
	v_fma_f64 v[10:11], v[10:11], v[38:39], -v[24:25]
	v_add_f64 v[18:19], v[18:19], v[14:15]
	v_add_f64 v[20:21], v[20:21], v[16:17]
	ds_load_b128 v[2:5], v1 offset:1376
	ds_load_b128 v[14:17], v1 offset:1392
	s_waitcnt vmcnt(1) lgkmcnt(1)
	v_mul_f64 v[30:31], v[2:3], v[44:45]
	v_mul_f64 v[32:33], v[4:5], v[44:45]
	s_waitcnt vmcnt(0) lgkmcnt(0)
	v_mul_f64 v[22:23], v[14:15], v[8:9]
	v_mul_f64 v[8:9], v[16:17], v[8:9]
	v_add_f64 v[18:19], v[18:19], v[28:29]
	v_add_f64 v[20:21], v[20:21], v[26:27]
	v_fma_f64 v[4:5], v[4:5], v[42:43], v[30:31]
	v_fma_f64 v[1:2], v[2:3], v[42:43], -v[32:33]
	v_fma_f64 v[16:17], v[16:17], v[6:7], v[22:23]
	v_fma_f64 v[6:7], v[14:15], v[6:7], -v[8:9]
	v_add_f64 v[10:11], v[18:19], v[10:11]
	v_add_f64 v[12:13], v[20:21], v[12:13]
	s_delay_alu instid0(VALU_DEP_2) | instskip(NEXT) | instid1(VALU_DEP_2)
	v_add_f64 v[1:2], v[10:11], v[1:2]
	v_add_f64 v[3:4], v[12:13], v[4:5]
	s_delay_alu instid0(VALU_DEP_2) | instskip(NEXT) | instid1(VALU_DEP_2)
	;; [unrolled: 3-line block ×3, first 2 shown]
	v_add_f64 v[1:2], v[179:180], -v[1:2]
	v_add_f64 v[3:4], v[181:182], -v[3:4]
	scratch_store_b128 off, v[1:4], off offset:176
	v_cmpx_lt_u32_e32 10, v134
	s_cbranch_execz .LBB43_257
; %bb.256:
	scratch_load_b128 v[1:4], v170, off
	v_mov_b32_e32 v5, 0
	s_delay_alu instid0(VALU_DEP_1)
	v_mov_b32_e32 v6, v5
	v_mov_b32_e32 v7, v5
	;; [unrolled: 1-line block ×3, first 2 shown]
	scratch_store_b128 off, v[5:8], off offset:160
	s_waitcnt vmcnt(0)
	ds_store_b128 v178, v[1:4]
.LBB43_257:
	s_or_b32 exec_lo, exec_lo, s2
	s_waitcnt lgkmcnt(0)
	s_waitcnt_vscnt null, 0x0
	s_barrier
	buffer_gl0_inv
	s_clause 0x7
	scratch_load_b128 v[2:5], off, off offset:176
	scratch_load_b128 v[6:9], off, off offset:192
	scratch_load_b128 v[10:13], off, off offset:208
	scratch_load_b128 v[14:17], off, off offset:224
	scratch_load_b128 v[18:21], off, off offset:240
	scratch_load_b128 v[22:25], off, off offset:256
	scratch_load_b128 v[26:29], off, off offset:272
	scratch_load_b128 v[30:33], off, off offset:288
	v_mov_b32_e32 v1, 0
	s_mov_b32 s2, exec_lo
	ds_load_b128 v[38:41], v1 offset:880
	s_clause 0x1
	scratch_load_b128 v[34:37], off, off offset:304
	scratch_load_b128 v[42:45], off, off offset:160
	ds_load_b128 v[179:182], v1 offset:896
	scratch_load_b128 v[183:186], off, off offset:320
	s_waitcnt vmcnt(10) lgkmcnt(1)
	v_mul_f64 v[187:188], v[40:41], v[4:5]
	v_mul_f64 v[4:5], v[38:39], v[4:5]
	s_delay_alu instid0(VALU_DEP_2) | instskip(NEXT) | instid1(VALU_DEP_2)
	v_fma_f64 v[193:194], v[38:39], v[2:3], -v[187:188]
	v_fma_f64 v[195:196], v[40:41], v[2:3], v[4:5]
	scratch_load_b128 v[38:41], off, off offset:336
	ds_load_b128 v[2:5], v1 offset:912
	s_waitcnt vmcnt(10) lgkmcnt(1)
	v_mul_f64 v[191:192], v[179:180], v[8:9]
	v_mul_f64 v[8:9], v[181:182], v[8:9]
	ds_load_b128 v[187:190], v1 offset:928
	s_waitcnt vmcnt(9) lgkmcnt(1)
	v_mul_f64 v[197:198], v[2:3], v[12:13]
	v_mul_f64 v[12:13], v[4:5], v[12:13]
	v_fma_f64 v[181:182], v[181:182], v[6:7], v[191:192]
	v_fma_f64 v[179:180], v[179:180], v[6:7], -v[8:9]
	v_add_f64 v[191:192], v[193:194], 0
	v_add_f64 v[193:194], v[195:196], 0
	scratch_load_b128 v[6:9], off, off offset:352
	v_fma_f64 v[197:198], v[4:5], v[10:11], v[197:198]
	v_fma_f64 v[199:200], v[2:3], v[10:11], -v[12:13]
	scratch_load_b128 v[10:13], off, off offset:368
	ds_load_b128 v[2:5], v1 offset:944
	s_waitcnt vmcnt(10) lgkmcnt(1)
	v_mul_f64 v[195:196], v[187:188], v[16:17]
	v_mul_f64 v[16:17], v[189:190], v[16:17]
	v_add_f64 v[191:192], v[191:192], v[179:180]
	v_add_f64 v[193:194], v[193:194], v[181:182]
	s_waitcnt vmcnt(9) lgkmcnt(0)
	v_mul_f64 v[201:202], v[2:3], v[20:21]
	v_mul_f64 v[20:21], v[4:5], v[20:21]
	ds_load_b128 v[179:182], v1 offset:960
	v_fma_f64 v[189:190], v[189:190], v[14:15], v[195:196]
	v_fma_f64 v[187:188], v[187:188], v[14:15], -v[16:17]
	scratch_load_b128 v[14:17], off, off offset:384
	v_add_f64 v[191:192], v[191:192], v[199:200]
	v_add_f64 v[193:194], v[193:194], v[197:198]
	v_fma_f64 v[197:198], v[4:5], v[18:19], v[201:202]
	v_fma_f64 v[199:200], v[2:3], v[18:19], -v[20:21]
	scratch_load_b128 v[18:21], off, off offset:400
	ds_load_b128 v[2:5], v1 offset:976
	s_waitcnt vmcnt(10) lgkmcnt(1)
	v_mul_f64 v[195:196], v[179:180], v[24:25]
	v_mul_f64 v[24:25], v[181:182], v[24:25]
	s_waitcnt vmcnt(9) lgkmcnt(0)
	v_mul_f64 v[201:202], v[2:3], v[28:29]
	v_mul_f64 v[28:29], v[4:5], v[28:29]
	v_add_f64 v[191:192], v[191:192], v[187:188]
	v_add_f64 v[193:194], v[193:194], v[189:190]
	ds_load_b128 v[187:190], v1 offset:992
	v_fma_f64 v[181:182], v[181:182], v[22:23], v[195:196]
	v_fma_f64 v[179:180], v[179:180], v[22:23], -v[24:25]
	scratch_load_b128 v[22:25], off, off offset:416
	v_add_f64 v[191:192], v[191:192], v[199:200]
	v_add_f64 v[193:194], v[193:194], v[197:198]
	v_fma_f64 v[197:198], v[4:5], v[26:27], v[201:202]
	v_fma_f64 v[199:200], v[2:3], v[26:27], -v[28:29]
	scratch_load_b128 v[26:29], off, off offset:432
	ds_load_b128 v[2:5], v1 offset:1008
	s_waitcnt vmcnt(10) lgkmcnt(1)
	v_mul_f64 v[195:196], v[187:188], v[32:33]
	v_mul_f64 v[32:33], v[189:190], v[32:33]
	s_waitcnt vmcnt(9) lgkmcnt(0)
	v_mul_f64 v[201:202], v[2:3], v[36:37]
	v_mul_f64 v[36:37], v[4:5], v[36:37]
	v_add_f64 v[191:192], v[191:192], v[179:180]
	v_add_f64 v[193:194], v[193:194], v[181:182]
	ds_load_b128 v[179:182], v1 offset:1024
	v_fma_f64 v[189:190], v[189:190], v[30:31], v[195:196]
	v_fma_f64 v[187:188], v[187:188], v[30:31], -v[32:33]
	scratch_load_b128 v[30:33], off, off offset:448
	v_add_f64 v[191:192], v[191:192], v[199:200]
	v_add_f64 v[193:194], v[193:194], v[197:198]
	v_fma_f64 v[199:200], v[4:5], v[34:35], v[201:202]
	v_fma_f64 v[201:202], v[2:3], v[34:35], -v[36:37]
	scratch_load_b128 v[34:37], off, off offset:464
	ds_load_b128 v[2:5], v1 offset:1040
	s_waitcnt vmcnt(9) lgkmcnt(1)
	v_mul_f64 v[195:196], v[179:180], v[185:186]
	v_mul_f64 v[197:198], v[181:182], v[185:186]
	v_add_f64 v[191:192], v[191:192], v[187:188]
	v_add_f64 v[189:190], v[193:194], v[189:190]
	ds_load_b128 v[185:188], v1 offset:1056
	v_fma_f64 v[195:196], v[181:182], v[183:184], v[195:196]
	v_fma_f64 v[183:184], v[179:180], v[183:184], -v[197:198]
	scratch_load_b128 v[179:182], off, off offset:480
	s_waitcnt vmcnt(9) lgkmcnt(1)
	v_mul_f64 v[193:194], v[2:3], v[40:41]
	v_mul_f64 v[40:41], v[4:5], v[40:41]
	v_add_f64 v[191:192], v[191:192], v[201:202]
	v_add_f64 v[189:190], v[189:190], v[199:200]
	s_delay_alu instid0(VALU_DEP_4) | instskip(NEXT) | instid1(VALU_DEP_4)
	v_fma_f64 v[193:194], v[4:5], v[38:39], v[193:194]
	v_fma_f64 v[199:200], v[2:3], v[38:39], -v[40:41]
	scratch_load_b128 v[38:41], off, off offset:496
	ds_load_b128 v[2:5], v1 offset:1072
	s_waitcnt vmcnt(9) lgkmcnt(1)
	v_mul_f64 v[197:198], v[185:186], v[8:9]
	v_mul_f64 v[8:9], v[187:188], v[8:9]
	s_waitcnt vmcnt(8) lgkmcnt(0)
	v_mul_f64 v[201:202], v[2:3], v[12:13]
	v_mul_f64 v[12:13], v[4:5], v[12:13]
	v_add_f64 v[183:184], v[191:192], v[183:184]
	v_add_f64 v[195:196], v[189:190], v[195:196]
	ds_load_b128 v[189:192], v1 offset:1088
	v_fma_f64 v[187:188], v[187:188], v[6:7], v[197:198]
	v_fma_f64 v[185:186], v[185:186], v[6:7], -v[8:9]
	scratch_load_b128 v[6:9], off, off offset:512
	v_fma_f64 v[197:198], v[4:5], v[10:11], v[201:202]
	v_add_f64 v[183:184], v[183:184], v[199:200]
	v_add_f64 v[193:194], v[195:196], v[193:194]
	v_fma_f64 v[199:200], v[2:3], v[10:11], -v[12:13]
	scratch_load_b128 v[10:13], off, off offset:528
	ds_load_b128 v[2:5], v1 offset:1104
	s_waitcnt vmcnt(9) lgkmcnt(1)
	v_mul_f64 v[195:196], v[189:190], v[16:17]
	v_mul_f64 v[16:17], v[191:192], v[16:17]
	v_add_f64 v[201:202], v[183:184], v[185:186]
	v_add_f64 v[187:188], v[193:194], v[187:188]
	s_waitcnt vmcnt(8) lgkmcnt(0)
	v_mul_f64 v[193:194], v[2:3], v[20:21]
	v_mul_f64 v[20:21], v[4:5], v[20:21]
	ds_load_b128 v[183:186], v1 offset:1120
	v_fma_f64 v[191:192], v[191:192], v[14:15], v[195:196]
	v_fma_f64 v[189:190], v[189:190], v[14:15], -v[16:17]
	scratch_load_b128 v[14:17], off, off offset:544
	v_add_f64 v[195:196], v[201:202], v[199:200]
	v_add_f64 v[187:188], v[187:188], v[197:198]
	v_fma_f64 v[193:194], v[4:5], v[18:19], v[193:194]
	v_fma_f64 v[199:200], v[2:3], v[18:19], -v[20:21]
	scratch_load_b128 v[18:21], off, off offset:560
	ds_load_b128 v[2:5], v1 offset:1136
	s_waitcnt vmcnt(9) lgkmcnt(1)
	v_mul_f64 v[197:198], v[183:184], v[24:25]
	v_mul_f64 v[24:25], v[185:186], v[24:25]
	s_waitcnt vmcnt(8) lgkmcnt(0)
	v_mul_f64 v[201:202], v[2:3], v[28:29]
	v_mul_f64 v[28:29], v[4:5], v[28:29]
	v_add_f64 v[195:196], v[195:196], v[189:190]
	v_add_f64 v[191:192], v[187:188], v[191:192]
	ds_load_b128 v[187:190], v1 offset:1152
	v_fma_f64 v[185:186], v[185:186], v[22:23], v[197:198]
	v_fma_f64 v[183:184], v[183:184], v[22:23], -v[24:25]
	scratch_load_b128 v[22:25], off, off offset:576
	v_fma_f64 v[197:198], v[4:5], v[26:27], v[201:202]
	v_add_f64 v[195:196], v[195:196], v[199:200]
	v_add_f64 v[191:192], v[191:192], v[193:194]
	v_fma_f64 v[199:200], v[2:3], v[26:27], -v[28:29]
	scratch_load_b128 v[26:29], off, off offset:592
	ds_load_b128 v[2:5], v1 offset:1168
	s_waitcnt vmcnt(9) lgkmcnt(1)
	v_mul_f64 v[193:194], v[187:188], v[32:33]
	v_mul_f64 v[32:33], v[189:190], v[32:33]
	s_waitcnt vmcnt(8) lgkmcnt(0)
	v_mul_f64 v[201:202], v[2:3], v[36:37]
	v_mul_f64 v[36:37], v[4:5], v[36:37]
	v_add_f64 v[195:196], v[195:196], v[183:184]
	v_add_f64 v[191:192], v[191:192], v[185:186]
	ds_load_b128 v[183:186], v1 offset:1184
	v_fma_f64 v[189:190], v[189:190], v[30:31], v[193:194]
	v_fma_f64 v[187:188], v[187:188], v[30:31], -v[32:33]
	scratch_load_b128 v[30:33], off, off offset:608
	v_add_f64 v[193:194], v[195:196], v[199:200]
	v_add_f64 v[191:192], v[191:192], v[197:198]
	v_fma_f64 v[197:198], v[4:5], v[34:35], v[201:202]
	v_fma_f64 v[199:200], v[2:3], v[34:35], -v[36:37]
	scratch_load_b128 v[34:37], off, off offset:624
	ds_load_b128 v[2:5], v1 offset:1200
	s_waitcnt vmcnt(9) lgkmcnt(1)
	v_mul_f64 v[195:196], v[183:184], v[181:182]
	v_mul_f64 v[181:182], v[185:186], v[181:182]
	s_waitcnt vmcnt(8) lgkmcnt(0)
	v_mul_f64 v[201:202], v[2:3], v[40:41]
	v_mul_f64 v[40:41], v[4:5], v[40:41]
	v_add_f64 v[193:194], v[193:194], v[187:188]
	v_add_f64 v[191:192], v[191:192], v[189:190]
	ds_load_b128 v[187:190], v1 offset:1216
	v_fma_f64 v[185:186], v[185:186], v[179:180], v[195:196]
	v_fma_f64 v[183:184], v[183:184], v[179:180], -v[181:182]
	scratch_load_b128 v[179:182], off, off offset:640
	v_add_f64 v[193:194], v[193:194], v[199:200]
	v_add_f64 v[191:192], v[191:192], v[197:198]
	v_fma_f64 v[197:198], v[4:5], v[38:39], v[201:202]
	;; [unrolled: 18-line block ×3, first 2 shown]
	v_fma_f64 v[199:200], v[2:3], v[10:11], -v[12:13]
	scratch_load_b128 v[10:13], off, off offset:688
	ds_load_b128 v[2:5], v1 offset:1264
	s_waitcnt vmcnt(9) lgkmcnt(1)
	v_mul_f64 v[195:196], v[183:184], v[16:17]
	v_mul_f64 v[16:17], v[185:186], v[16:17]
	s_waitcnt vmcnt(8) lgkmcnt(0)
	v_mul_f64 v[201:202], v[2:3], v[20:21]
	v_mul_f64 v[20:21], v[4:5], v[20:21]
	v_add_f64 v[193:194], v[193:194], v[187:188]
	v_add_f64 v[191:192], v[191:192], v[189:190]
	ds_load_b128 v[187:190], v1 offset:1280
	v_fma_f64 v[185:186], v[185:186], v[14:15], v[195:196]
	v_fma_f64 v[14:15], v[183:184], v[14:15], -v[16:17]
	v_add_f64 v[16:17], v[193:194], v[199:200]
	v_add_f64 v[183:184], v[191:192], v[197:198]
	s_waitcnt vmcnt(7) lgkmcnt(0)
	v_mul_f64 v[191:192], v[187:188], v[24:25]
	v_mul_f64 v[24:25], v[189:190], v[24:25]
	v_fma_f64 v[193:194], v[4:5], v[18:19], v[201:202]
	v_fma_f64 v[18:19], v[2:3], v[18:19], -v[20:21]
	v_add_f64 v[20:21], v[16:17], v[14:15]
	v_add_f64 v[183:184], v[183:184], v[185:186]
	ds_load_b128 v[2:5], v1 offset:1296
	ds_load_b128 v[14:17], v1 offset:1312
	v_fma_f64 v[189:190], v[189:190], v[22:23], v[191:192]
	v_fma_f64 v[22:23], v[187:188], v[22:23], -v[24:25]
	s_waitcnt vmcnt(6) lgkmcnt(1)
	v_mul_f64 v[185:186], v[2:3], v[28:29]
	v_mul_f64 v[28:29], v[4:5], v[28:29]
	s_waitcnt vmcnt(5) lgkmcnt(0)
	v_mul_f64 v[24:25], v[14:15], v[32:33]
	v_mul_f64 v[32:33], v[16:17], v[32:33]
	v_add_f64 v[18:19], v[20:21], v[18:19]
	v_add_f64 v[20:21], v[183:184], v[193:194]
	v_fma_f64 v[183:184], v[4:5], v[26:27], v[185:186]
	v_fma_f64 v[26:27], v[2:3], v[26:27], -v[28:29]
	v_fma_f64 v[16:17], v[16:17], v[30:31], v[24:25]
	v_fma_f64 v[14:15], v[14:15], v[30:31], -v[32:33]
	v_add_f64 v[22:23], v[18:19], v[22:23]
	v_add_f64 v[28:29], v[20:21], v[189:190]
	ds_load_b128 v[2:5], v1 offset:1328
	ds_load_b128 v[18:21], v1 offset:1344
	s_waitcnt vmcnt(4) lgkmcnt(1)
	v_mul_f64 v[185:186], v[2:3], v[36:37]
	v_mul_f64 v[36:37], v[4:5], v[36:37]
	v_add_f64 v[22:23], v[22:23], v[26:27]
	v_add_f64 v[24:25], v[28:29], v[183:184]
	s_waitcnt vmcnt(3) lgkmcnt(0)
	v_mul_f64 v[26:27], v[18:19], v[181:182]
	v_mul_f64 v[28:29], v[20:21], v[181:182]
	v_fma_f64 v[30:31], v[4:5], v[34:35], v[185:186]
	v_fma_f64 v[32:33], v[2:3], v[34:35], -v[36:37]
	v_add_f64 v[22:23], v[22:23], v[14:15]
	v_add_f64 v[24:25], v[24:25], v[16:17]
	ds_load_b128 v[2:5], v1 offset:1360
	ds_load_b128 v[14:17], v1 offset:1376
	v_fma_f64 v[20:21], v[20:21], v[179:180], v[26:27]
	v_fma_f64 v[18:19], v[18:19], v[179:180], -v[28:29]
	s_waitcnt vmcnt(2) lgkmcnt(1)
	v_mul_f64 v[34:35], v[2:3], v[40:41]
	v_mul_f64 v[36:37], v[4:5], v[40:41]
	s_waitcnt vmcnt(1) lgkmcnt(0)
	v_mul_f64 v[26:27], v[14:15], v[8:9]
	v_mul_f64 v[8:9], v[16:17], v[8:9]
	v_add_f64 v[22:23], v[22:23], v[32:33]
	v_add_f64 v[24:25], v[24:25], v[30:31]
	v_fma_f64 v[28:29], v[4:5], v[38:39], v[34:35]
	v_fma_f64 v[30:31], v[2:3], v[38:39], -v[36:37]
	ds_load_b128 v[2:5], v1 offset:1392
	v_fma_f64 v[16:17], v[16:17], v[6:7], v[26:27]
	v_fma_f64 v[6:7], v[14:15], v[6:7], -v[8:9]
	v_add_f64 v[18:19], v[22:23], v[18:19]
	v_add_f64 v[20:21], v[24:25], v[20:21]
	s_waitcnt vmcnt(0) lgkmcnt(0)
	v_mul_f64 v[22:23], v[2:3], v[12:13]
	v_mul_f64 v[12:13], v[4:5], v[12:13]
	s_delay_alu instid0(VALU_DEP_4) | instskip(NEXT) | instid1(VALU_DEP_4)
	v_add_f64 v[8:9], v[18:19], v[30:31]
	v_add_f64 v[14:15], v[20:21], v[28:29]
	s_delay_alu instid0(VALU_DEP_4) | instskip(NEXT) | instid1(VALU_DEP_4)
	v_fma_f64 v[4:5], v[4:5], v[10:11], v[22:23]
	v_fma_f64 v[2:3], v[2:3], v[10:11], -v[12:13]
	s_delay_alu instid0(VALU_DEP_4) | instskip(NEXT) | instid1(VALU_DEP_4)
	v_add_f64 v[6:7], v[8:9], v[6:7]
	v_add_f64 v[8:9], v[14:15], v[16:17]
	s_delay_alu instid0(VALU_DEP_2) | instskip(NEXT) | instid1(VALU_DEP_2)
	v_add_f64 v[2:3], v[6:7], v[2:3]
	v_add_f64 v[4:5], v[8:9], v[4:5]
	s_delay_alu instid0(VALU_DEP_2) | instskip(NEXT) | instid1(VALU_DEP_2)
	v_add_f64 v[2:3], v[42:43], -v[2:3]
	v_add_f64 v[4:5], v[44:45], -v[4:5]
	scratch_store_b128 off, v[2:5], off offset:160
	v_cmpx_lt_u32_e32 9, v134
	s_cbranch_execz .LBB43_259
; %bb.258:
	scratch_load_b128 v[5:8], v171, off
	v_mov_b32_e32 v2, v1
	v_mov_b32_e32 v3, v1
	v_mov_b32_e32 v4, v1
	scratch_store_b128 off, v[1:4], off offset:144
	s_waitcnt vmcnt(0)
	ds_store_b128 v178, v[5:8]
.LBB43_259:
	s_or_b32 exec_lo, exec_lo, s2
	s_waitcnt lgkmcnt(0)
	s_waitcnt_vscnt null, 0x0
	s_barrier
	buffer_gl0_inv
	s_clause 0x8
	scratch_load_b128 v[2:5], off, off offset:160
	scratch_load_b128 v[6:9], off, off offset:176
	;; [unrolled: 1-line block ×9, first 2 shown]
	ds_load_b128 v[42:45], v1 offset:864
	ds_load_b128 v[38:41], v1 offset:880
	s_clause 0x1
	scratch_load_b128 v[179:182], off, off offset:144
	scratch_load_b128 v[183:186], off, off offset:304
	s_mov_b32 s2, exec_lo
	s_waitcnt vmcnt(10) lgkmcnt(1)
	v_mul_f64 v[187:188], v[44:45], v[4:5]
	v_mul_f64 v[4:5], v[42:43], v[4:5]
	s_waitcnt vmcnt(9) lgkmcnt(0)
	v_mul_f64 v[191:192], v[38:39], v[8:9]
	v_mul_f64 v[8:9], v[40:41], v[8:9]
	s_delay_alu instid0(VALU_DEP_4) | instskip(NEXT) | instid1(VALU_DEP_4)
	v_fma_f64 v[193:194], v[42:43], v[2:3], -v[187:188]
	v_fma_f64 v[195:196], v[44:45], v[2:3], v[4:5]
	ds_load_b128 v[2:5], v1 offset:896
	ds_load_b128 v[187:190], v1 offset:912
	scratch_load_b128 v[42:45], off, off offset:320
	v_fma_f64 v[40:41], v[40:41], v[6:7], v[191:192]
	v_fma_f64 v[38:39], v[38:39], v[6:7], -v[8:9]
	scratch_load_b128 v[6:9], off, off offset:336
	s_waitcnt vmcnt(10) lgkmcnt(1)
	v_mul_f64 v[197:198], v[2:3], v[12:13]
	v_mul_f64 v[12:13], v[4:5], v[12:13]
	v_add_f64 v[191:192], v[193:194], 0
	v_add_f64 v[193:194], v[195:196], 0
	s_waitcnt vmcnt(9) lgkmcnt(0)
	v_mul_f64 v[195:196], v[187:188], v[16:17]
	v_mul_f64 v[16:17], v[189:190], v[16:17]
	v_fma_f64 v[197:198], v[4:5], v[10:11], v[197:198]
	v_fma_f64 v[199:200], v[2:3], v[10:11], -v[12:13]
	ds_load_b128 v[2:5], v1 offset:928
	scratch_load_b128 v[10:13], off, off offset:352
	v_add_f64 v[191:192], v[191:192], v[38:39]
	v_add_f64 v[193:194], v[193:194], v[40:41]
	ds_load_b128 v[38:41], v1 offset:944
	v_fma_f64 v[189:190], v[189:190], v[14:15], v[195:196]
	v_fma_f64 v[187:188], v[187:188], v[14:15], -v[16:17]
	scratch_load_b128 v[14:17], off, off offset:368
	s_waitcnt vmcnt(10) lgkmcnt(1)
	v_mul_f64 v[201:202], v[2:3], v[20:21]
	v_mul_f64 v[20:21], v[4:5], v[20:21]
	s_waitcnt vmcnt(9) lgkmcnt(0)
	v_mul_f64 v[195:196], v[38:39], v[24:25]
	v_mul_f64 v[24:25], v[40:41], v[24:25]
	v_add_f64 v[191:192], v[191:192], v[199:200]
	v_add_f64 v[193:194], v[193:194], v[197:198]
	v_fma_f64 v[197:198], v[4:5], v[18:19], v[201:202]
	v_fma_f64 v[199:200], v[2:3], v[18:19], -v[20:21]
	ds_load_b128 v[2:5], v1 offset:960
	scratch_load_b128 v[18:21], off, off offset:384
	v_fma_f64 v[40:41], v[40:41], v[22:23], v[195:196]
	v_fma_f64 v[38:39], v[38:39], v[22:23], -v[24:25]
	scratch_load_b128 v[22:25], off, off offset:400
	v_add_f64 v[191:192], v[191:192], v[187:188]
	v_add_f64 v[193:194], v[193:194], v[189:190]
	ds_load_b128 v[187:190], v1 offset:976
	s_waitcnt vmcnt(10) lgkmcnt(1)
	v_mul_f64 v[201:202], v[2:3], v[28:29]
	v_mul_f64 v[28:29], v[4:5], v[28:29]
	s_waitcnt vmcnt(9) lgkmcnt(0)
	v_mul_f64 v[195:196], v[187:188], v[32:33]
	v_mul_f64 v[32:33], v[189:190], v[32:33]
	v_add_f64 v[191:192], v[191:192], v[199:200]
	v_add_f64 v[193:194], v[193:194], v[197:198]
	v_fma_f64 v[197:198], v[4:5], v[26:27], v[201:202]
	v_fma_f64 v[199:200], v[2:3], v[26:27], -v[28:29]
	ds_load_b128 v[2:5], v1 offset:992
	scratch_load_b128 v[26:29], off, off offset:416
	v_fma_f64 v[189:190], v[189:190], v[30:31], v[195:196]
	v_fma_f64 v[187:188], v[187:188], v[30:31], -v[32:33]
	scratch_load_b128 v[30:33], off, off offset:432
	v_add_f64 v[191:192], v[191:192], v[38:39]
	v_add_f64 v[193:194], v[193:194], v[40:41]
	ds_load_b128 v[38:41], v1 offset:1008
	s_waitcnt vmcnt(10) lgkmcnt(1)
	v_mul_f64 v[201:202], v[2:3], v[36:37]
	v_mul_f64 v[36:37], v[4:5], v[36:37]
	s_waitcnt vmcnt(8) lgkmcnt(0)
	v_mul_f64 v[195:196], v[38:39], v[185:186]
	v_add_f64 v[191:192], v[191:192], v[199:200]
	v_add_f64 v[193:194], v[193:194], v[197:198]
	v_mul_f64 v[197:198], v[40:41], v[185:186]
	v_fma_f64 v[199:200], v[4:5], v[34:35], v[201:202]
	v_fma_f64 v[201:202], v[2:3], v[34:35], -v[36:37]
	ds_load_b128 v[2:5], v1 offset:1024
	scratch_load_b128 v[34:37], off, off offset:448
	v_fma_f64 v[195:196], v[40:41], v[183:184], v[195:196]
	v_add_f64 v[191:192], v[191:192], v[187:188]
	v_add_f64 v[189:190], v[193:194], v[189:190]
	ds_load_b128 v[185:188], v1 offset:1040
	v_fma_f64 v[183:184], v[38:39], v[183:184], -v[197:198]
	scratch_load_b128 v[38:41], off, off offset:464
	s_waitcnt vmcnt(9) lgkmcnt(1)
	v_mul_f64 v[193:194], v[2:3], v[44:45]
	v_mul_f64 v[44:45], v[4:5], v[44:45]
	s_waitcnt vmcnt(8) lgkmcnt(0)
	v_mul_f64 v[197:198], v[185:186], v[8:9]
	v_mul_f64 v[8:9], v[187:188], v[8:9]
	v_add_f64 v[191:192], v[191:192], v[201:202]
	v_add_f64 v[189:190], v[189:190], v[199:200]
	v_fma_f64 v[193:194], v[4:5], v[42:43], v[193:194]
	v_fma_f64 v[199:200], v[2:3], v[42:43], -v[44:45]
	ds_load_b128 v[2:5], v1 offset:1056
	scratch_load_b128 v[42:45], off, off offset:480
	v_fma_f64 v[187:188], v[187:188], v[6:7], v[197:198]
	v_fma_f64 v[185:186], v[185:186], v[6:7], -v[8:9]
	scratch_load_b128 v[6:9], off, off offset:496
	v_add_f64 v[183:184], v[191:192], v[183:184]
	v_add_f64 v[195:196], v[189:190], v[195:196]
	ds_load_b128 v[189:192], v1 offset:1072
	s_waitcnt vmcnt(9) lgkmcnt(1)
	v_mul_f64 v[201:202], v[2:3], v[12:13]
	v_mul_f64 v[12:13], v[4:5], v[12:13]
	v_add_f64 v[183:184], v[183:184], v[199:200]
	v_add_f64 v[193:194], v[195:196], v[193:194]
	s_waitcnt vmcnt(8) lgkmcnt(0)
	v_mul_f64 v[195:196], v[189:190], v[16:17]
	v_mul_f64 v[16:17], v[191:192], v[16:17]
	v_fma_f64 v[197:198], v[4:5], v[10:11], v[201:202]
	v_fma_f64 v[199:200], v[2:3], v[10:11], -v[12:13]
	ds_load_b128 v[2:5], v1 offset:1088
	scratch_load_b128 v[10:13], off, off offset:512
	v_add_f64 v[201:202], v[183:184], v[185:186]
	v_add_f64 v[187:188], v[193:194], v[187:188]
	ds_load_b128 v[183:186], v1 offset:1104
	s_waitcnt vmcnt(8) lgkmcnt(1)
	v_mul_f64 v[193:194], v[2:3], v[20:21]
	v_mul_f64 v[20:21], v[4:5], v[20:21]
	v_fma_f64 v[191:192], v[191:192], v[14:15], v[195:196]
	v_fma_f64 v[189:190], v[189:190], v[14:15], -v[16:17]
	scratch_load_b128 v[14:17], off, off offset:528
	v_add_f64 v[195:196], v[201:202], v[199:200]
	v_add_f64 v[187:188], v[187:188], v[197:198]
	s_waitcnt vmcnt(8) lgkmcnt(0)
	v_mul_f64 v[197:198], v[183:184], v[24:25]
	v_mul_f64 v[24:25], v[185:186], v[24:25]
	v_fma_f64 v[193:194], v[4:5], v[18:19], v[193:194]
	v_fma_f64 v[199:200], v[2:3], v[18:19], -v[20:21]
	ds_load_b128 v[2:5], v1 offset:1120
	scratch_load_b128 v[18:21], off, off offset:544
	v_add_f64 v[195:196], v[195:196], v[189:190]
	v_add_f64 v[191:192], v[187:188], v[191:192]
	ds_load_b128 v[187:190], v1 offset:1136
	s_waitcnt vmcnt(8) lgkmcnt(1)
	v_mul_f64 v[201:202], v[2:3], v[28:29]
	v_mul_f64 v[28:29], v[4:5], v[28:29]
	v_fma_f64 v[185:186], v[185:186], v[22:23], v[197:198]
	v_fma_f64 v[183:184], v[183:184], v[22:23], -v[24:25]
	scratch_load_b128 v[22:25], off, off offset:560
	;; [unrolled: 18-line block ×4, first 2 shown]
	s_waitcnt vmcnt(8) lgkmcnt(0)
	v_mul_f64 v[195:196], v[187:188], v[8:9]
	v_mul_f64 v[8:9], v[189:190], v[8:9]
	v_add_f64 v[193:194], v[193:194], v[199:200]
	v_add_f64 v[191:192], v[191:192], v[197:198]
	v_fma_f64 v[197:198], v[4:5], v[42:43], v[201:202]
	v_fma_f64 v[199:200], v[2:3], v[42:43], -v[44:45]
	ds_load_b128 v[2:5], v1 offset:1216
	scratch_load_b128 v[42:45], off, off offset:640
	v_fma_f64 v[189:190], v[189:190], v[6:7], v[195:196]
	v_fma_f64 v[187:188], v[187:188], v[6:7], -v[8:9]
	scratch_load_b128 v[6:9], off, off offset:656
	v_add_f64 v[193:194], v[193:194], v[183:184]
	v_add_f64 v[191:192], v[191:192], v[185:186]
	ds_load_b128 v[183:186], v1 offset:1232
	s_waitcnt vmcnt(9) lgkmcnt(1)
	v_mul_f64 v[201:202], v[2:3], v[12:13]
	v_mul_f64 v[12:13], v[4:5], v[12:13]
	s_waitcnt vmcnt(8) lgkmcnt(0)
	v_mul_f64 v[195:196], v[183:184], v[16:17]
	v_mul_f64 v[16:17], v[185:186], v[16:17]
	v_add_f64 v[193:194], v[193:194], v[199:200]
	v_add_f64 v[191:192], v[191:192], v[197:198]
	v_fma_f64 v[197:198], v[4:5], v[10:11], v[201:202]
	v_fma_f64 v[199:200], v[2:3], v[10:11], -v[12:13]
	ds_load_b128 v[2:5], v1 offset:1248
	scratch_load_b128 v[10:13], off, off offset:672
	v_fma_f64 v[185:186], v[185:186], v[14:15], v[195:196]
	v_fma_f64 v[183:184], v[183:184], v[14:15], -v[16:17]
	scratch_load_b128 v[14:17], off, off offset:688
	v_add_f64 v[193:194], v[193:194], v[187:188]
	v_add_f64 v[191:192], v[191:192], v[189:190]
	ds_load_b128 v[187:190], v1 offset:1264
	s_waitcnt vmcnt(9) lgkmcnt(1)
	v_mul_f64 v[201:202], v[2:3], v[20:21]
	v_mul_f64 v[20:21], v[4:5], v[20:21]
	s_waitcnt vmcnt(8) lgkmcnt(0)
	v_mul_f64 v[195:196], v[187:188], v[24:25]
	v_mul_f64 v[24:25], v[189:190], v[24:25]
	v_add_f64 v[193:194], v[193:194], v[199:200]
	v_add_f64 v[191:192], v[191:192], v[197:198]
	v_fma_f64 v[197:198], v[4:5], v[18:19], v[201:202]
	v_fma_f64 v[199:200], v[2:3], v[18:19], -v[20:21]
	ds_load_b128 v[2:5], v1 offset:1280
	ds_load_b128 v[18:21], v1 offset:1296
	v_fma_f64 v[189:190], v[189:190], v[22:23], v[195:196]
	v_fma_f64 v[22:23], v[187:188], v[22:23], -v[24:25]
	v_add_f64 v[183:184], v[193:194], v[183:184]
	v_add_f64 v[185:186], v[191:192], v[185:186]
	s_waitcnt vmcnt(7) lgkmcnt(1)
	v_mul_f64 v[191:192], v[2:3], v[28:29]
	v_mul_f64 v[28:29], v[4:5], v[28:29]
	s_delay_alu instid0(VALU_DEP_4) | instskip(NEXT) | instid1(VALU_DEP_4)
	v_add_f64 v[24:25], v[183:184], v[199:200]
	v_add_f64 v[183:184], v[185:186], v[197:198]
	s_waitcnt vmcnt(6) lgkmcnt(0)
	v_mul_f64 v[185:186], v[18:19], v[32:33]
	v_mul_f64 v[32:33], v[20:21], v[32:33]
	v_fma_f64 v[187:188], v[4:5], v[26:27], v[191:192]
	v_fma_f64 v[26:27], v[2:3], v[26:27], -v[28:29]
	v_add_f64 v[28:29], v[24:25], v[22:23]
	v_add_f64 v[183:184], v[183:184], v[189:190]
	ds_load_b128 v[2:5], v1 offset:1312
	ds_load_b128 v[22:25], v1 offset:1328
	v_fma_f64 v[20:21], v[20:21], v[30:31], v[185:186]
	v_fma_f64 v[18:19], v[18:19], v[30:31], -v[32:33]
	s_waitcnt vmcnt(5) lgkmcnt(1)
	v_mul_f64 v[189:190], v[2:3], v[36:37]
	v_mul_f64 v[36:37], v[4:5], v[36:37]
	s_waitcnt vmcnt(4) lgkmcnt(0)
	v_mul_f64 v[30:31], v[22:23], v[40:41]
	v_mul_f64 v[32:33], v[24:25], v[40:41]
	v_add_f64 v[26:27], v[28:29], v[26:27]
	v_add_f64 v[28:29], v[183:184], v[187:188]
	v_fma_f64 v[40:41], v[4:5], v[34:35], v[189:190]
	v_fma_f64 v[34:35], v[2:3], v[34:35], -v[36:37]
	v_fma_f64 v[24:25], v[24:25], v[38:39], v[30:31]
	v_fma_f64 v[22:23], v[22:23], v[38:39], -v[32:33]
	v_add_f64 v[26:27], v[26:27], v[18:19]
	v_add_f64 v[28:29], v[28:29], v[20:21]
	ds_load_b128 v[2:5], v1 offset:1344
	ds_load_b128 v[18:21], v1 offset:1360
	s_waitcnt vmcnt(3) lgkmcnt(1)
	v_mul_f64 v[36:37], v[2:3], v[44:45]
	v_mul_f64 v[44:45], v[4:5], v[44:45]
	s_waitcnt vmcnt(2) lgkmcnt(0)
	v_mul_f64 v[30:31], v[18:19], v[8:9]
	v_mul_f64 v[8:9], v[20:21], v[8:9]
	v_add_f64 v[26:27], v[26:27], v[34:35]
	v_add_f64 v[28:29], v[28:29], v[40:41]
	v_fma_f64 v[32:33], v[4:5], v[42:43], v[36:37]
	v_fma_f64 v[34:35], v[2:3], v[42:43], -v[44:45]
	v_fma_f64 v[20:21], v[20:21], v[6:7], v[30:31]
	v_fma_f64 v[6:7], v[18:19], v[6:7], -v[8:9]
	v_add_f64 v[26:27], v[26:27], v[22:23]
	v_add_f64 v[28:29], v[28:29], v[24:25]
	ds_load_b128 v[2:5], v1 offset:1376
	ds_load_b128 v[22:25], v1 offset:1392
	s_waitcnt vmcnt(1) lgkmcnt(1)
	v_mul_f64 v[36:37], v[2:3], v[12:13]
	v_mul_f64 v[12:13], v[4:5], v[12:13]
	v_add_f64 v[8:9], v[26:27], v[34:35]
	v_add_f64 v[18:19], v[28:29], v[32:33]
	s_waitcnt vmcnt(0) lgkmcnt(0)
	v_mul_f64 v[26:27], v[22:23], v[16:17]
	v_mul_f64 v[16:17], v[24:25], v[16:17]
	v_fma_f64 v[4:5], v[4:5], v[10:11], v[36:37]
	v_fma_f64 v[1:2], v[2:3], v[10:11], -v[12:13]
	v_add_f64 v[6:7], v[8:9], v[6:7]
	v_add_f64 v[8:9], v[18:19], v[20:21]
	v_fma_f64 v[10:11], v[24:25], v[14:15], v[26:27]
	v_fma_f64 v[12:13], v[22:23], v[14:15], -v[16:17]
	s_delay_alu instid0(VALU_DEP_4) | instskip(NEXT) | instid1(VALU_DEP_4)
	v_add_f64 v[1:2], v[6:7], v[1:2]
	v_add_f64 v[3:4], v[8:9], v[4:5]
	s_delay_alu instid0(VALU_DEP_2) | instskip(NEXT) | instid1(VALU_DEP_2)
	v_add_f64 v[1:2], v[1:2], v[12:13]
	v_add_f64 v[3:4], v[3:4], v[10:11]
	s_delay_alu instid0(VALU_DEP_2) | instskip(NEXT) | instid1(VALU_DEP_2)
	v_add_f64 v[1:2], v[179:180], -v[1:2]
	v_add_f64 v[3:4], v[181:182], -v[3:4]
	scratch_store_b128 off, v[1:4], off offset:144
	v_cmpx_lt_u32_e32 8, v134
	s_cbranch_execz .LBB43_261
; %bb.260:
	scratch_load_b128 v[1:4], v172, off
	v_mov_b32_e32 v5, 0
	s_delay_alu instid0(VALU_DEP_1)
	v_mov_b32_e32 v6, v5
	v_mov_b32_e32 v7, v5
	;; [unrolled: 1-line block ×3, first 2 shown]
	scratch_store_b128 off, v[5:8], off offset:128
	s_waitcnt vmcnt(0)
	ds_store_b128 v178, v[1:4]
.LBB43_261:
	s_or_b32 exec_lo, exec_lo, s2
	s_waitcnt lgkmcnt(0)
	s_waitcnt_vscnt null, 0x0
	s_barrier
	buffer_gl0_inv
	s_clause 0x7
	scratch_load_b128 v[2:5], off, off offset:144
	scratch_load_b128 v[6:9], off, off offset:160
	;; [unrolled: 1-line block ×8, first 2 shown]
	v_mov_b32_e32 v1, 0
	s_mov_b32 s2, exec_lo
	ds_load_b128 v[38:41], v1 offset:848
	s_clause 0x1
	scratch_load_b128 v[34:37], off, off offset:272
	scratch_load_b128 v[42:45], off, off offset:128
	ds_load_b128 v[179:182], v1 offset:864
	scratch_load_b128 v[183:186], off, off offset:288
	s_waitcnt vmcnt(10) lgkmcnt(1)
	v_mul_f64 v[187:188], v[40:41], v[4:5]
	v_mul_f64 v[4:5], v[38:39], v[4:5]
	s_delay_alu instid0(VALU_DEP_2) | instskip(NEXT) | instid1(VALU_DEP_2)
	v_fma_f64 v[193:194], v[38:39], v[2:3], -v[187:188]
	v_fma_f64 v[195:196], v[40:41], v[2:3], v[4:5]
	scratch_load_b128 v[38:41], off, off offset:304
	ds_load_b128 v[2:5], v1 offset:880
	s_waitcnt vmcnt(10) lgkmcnt(1)
	v_mul_f64 v[191:192], v[179:180], v[8:9]
	v_mul_f64 v[8:9], v[181:182], v[8:9]
	ds_load_b128 v[187:190], v1 offset:896
	s_waitcnt vmcnt(9) lgkmcnt(1)
	v_mul_f64 v[197:198], v[2:3], v[12:13]
	v_mul_f64 v[12:13], v[4:5], v[12:13]
	v_fma_f64 v[181:182], v[181:182], v[6:7], v[191:192]
	v_fma_f64 v[179:180], v[179:180], v[6:7], -v[8:9]
	v_add_f64 v[191:192], v[193:194], 0
	v_add_f64 v[193:194], v[195:196], 0
	scratch_load_b128 v[6:9], off, off offset:320
	v_fma_f64 v[197:198], v[4:5], v[10:11], v[197:198]
	v_fma_f64 v[199:200], v[2:3], v[10:11], -v[12:13]
	scratch_load_b128 v[10:13], off, off offset:336
	ds_load_b128 v[2:5], v1 offset:912
	s_waitcnt vmcnt(10) lgkmcnt(1)
	v_mul_f64 v[195:196], v[187:188], v[16:17]
	v_mul_f64 v[16:17], v[189:190], v[16:17]
	v_add_f64 v[191:192], v[191:192], v[179:180]
	v_add_f64 v[193:194], v[193:194], v[181:182]
	s_waitcnt vmcnt(9) lgkmcnt(0)
	v_mul_f64 v[201:202], v[2:3], v[20:21]
	v_mul_f64 v[20:21], v[4:5], v[20:21]
	ds_load_b128 v[179:182], v1 offset:928
	v_fma_f64 v[189:190], v[189:190], v[14:15], v[195:196]
	v_fma_f64 v[187:188], v[187:188], v[14:15], -v[16:17]
	scratch_load_b128 v[14:17], off, off offset:352
	v_add_f64 v[191:192], v[191:192], v[199:200]
	v_add_f64 v[193:194], v[193:194], v[197:198]
	v_fma_f64 v[197:198], v[4:5], v[18:19], v[201:202]
	v_fma_f64 v[199:200], v[2:3], v[18:19], -v[20:21]
	scratch_load_b128 v[18:21], off, off offset:368
	ds_load_b128 v[2:5], v1 offset:944
	s_waitcnt vmcnt(10) lgkmcnt(1)
	v_mul_f64 v[195:196], v[179:180], v[24:25]
	v_mul_f64 v[24:25], v[181:182], v[24:25]
	s_waitcnt vmcnt(9) lgkmcnt(0)
	v_mul_f64 v[201:202], v[2:3], v[28:29]
	v_mul_f64 v[28:29], v[4:5], v[28:29]
	v_add_f64 v[191:192], v[191:192], v[187:188]
	v_add_f64 v[193:194], v[193:194], v[189:190]
	ds_load_b128 v[187:190], v1 offset:960
	v_fma_f64 v[181:182], v[181:182], v[22:23], v[195:196]
	v_fma_f64 v[179:180], v[179:180], v[22:23], -v[24:25]
	scratch_load_b128 v[22:25], off, off offset:384
	v_add_f64 v[191:192], v[191:192], v[199:200]
	v_add_f64 v[193:194], v[193:194], v[197:198]
	v_fma_f64 v[197:198], v[4:5], v[26:27], v[201:202]
	v_fma_f64 v[199:200], v[2:3], v[26:27], -v[28:29]
	scratch_load_b128 v[26:29], off, off offset:400
	ds_load_b128 v[2:5], v1 offset:976
	s_waitcnt vmcnt(10) lgkmcnt(1)
	v_mul_f64 v[195:196], v[187:188], v[32:33]
	v_mul_f64 v[32:33], v[189:190], v[32:33]
	s_waitcnt vmcnt(9) lgkmcnt(0)
	v_mul_f64 v[201:202], v[2:3], v[36:37]
	v_mul_f64 v[36:37], v[4:5], v[36:37]
	v_add_f64 v[191:192], v[191:192], v[179:180]
	v_add_f64 v[193:194], v[193:194], v[181:182]
	ds_load_b128 v[179:182], v1 offset:992
	v_fma_f64 v[189:190], v[189:190], v[30:31], v[195:196]
	v_fma_f64 v[187:188], v[187:188], v[30:31], -v[32:33]
	scratch_load_b128 v[30:33], off, off offset:416
	v_add_f64 v[191:192], v[191:192], v[199:200]
	v_add_f64 v[193:194], v[193:194], v[197:198]
	v_fma_f64 v[199:200], v[4:5], v[34:35], v[201:202]
	v_fma_f64 v[201:202], v[2:3], v[34:35], -v[36:37]
	scratch_load_b128 v[34:37], off, off offset:432
	ds_load_b128 v[2:5], v1 offset:1008
	s_waitcnt vmcnt(9) lgkmcnt(1)
	v_mul_f64 v[195:196], v[179:180], v[185:186]
	v_mul_f64 v[197:198], v[181:182], v[185:186]
	v_add_f64 v[191:192], v[191:192], v[187:188]
	v_add_f64 v[189:190], v[193:194], v[189:190]
	ds_load_b128 v[185:188], v1 offset:1024
	v_fma_f64 v[195:196], v[181:182], v[183:184], v[195:196]
	v_fma_f64 v[183:184], v[179:180], v[183:184], -v[197:198]
	scratch_load_b128 v[179:182], off, off offset:448
	s_waitcnt vmcnt(9) lgkmcnt(1)
	v_mul_f64 v[193:194], v[2:3], v[40:41]
	v_mul_f64 v[40:41], v[4:5], v[40:41]
	v_add_f64 v[191:192], v[191:192], v[201:202]
	v_add_f64 v[189:190], v[189:190], v[199:200]
	s_delay_alu instid0(VALU_DEP_4) | instskip(NEXT) | instid1(VALU_DEP_4)
	v_fma_f64 v[193:194], v[4:5], v[38:39], v[193:194]
	v_fma_f64 v[199:200], v[2:3], v[38:39], -v[40:41]
	scratch_load_b128 v[38:41], off, off offset:464
	ds_load_b128 v[2:5], v1 offset:1040
	s_waitcnt vmcnt(9) lgkmcnt(1)
	v_mul_f64 v[197:198], v[185:186], v[8:9]
	v_mul_f64 v[8:9], v[187:188], v[8:9]
	s_waitcnt vmcnt(8) lgkmcnt(0)
	v_mul_f64 v[201:202], v[2:3], v[12:13]
	v_mul_f64 v[12:13], v[4:5], v[12:13]
	v_add_f64 v[183:184], v[191:192], v[183:184]
	v_add_f64 v[195:196], v[189:190], v[195:196]
	ds_load_b128 v[189:192], v1 offset:1056
	v_fma_f64 v[187:188], v[187:188], v[6:7], v[197:198]
	v_fma_f64 v[185:186], v[185:186], v[6:7], -v[8:9]
	scratch_load_b128 v[6:9], off, off offset:480
	v_fma_f64 v[197:198], v[4:5], v[10:11], v[201:202]
	v_add_f64 v[183:184], v[183:184], v[199:200]
	v_add_f64 v[193:194], v[195:196], v[193:194]
	v_fma_f64 v[199:200], v[2:3], v[10:11], -v[12:13]
	scratch_load_b128 v[10:13], off, off offset:496
	ds_load_b128 v[2:5], v1 offset:1072
	s_waitcnt vmcnt(9) lgkmcnt(1)
	v_mul_f64 v[195:196], v[189:190], v[16:17]
	v_mul_f64 v[16:17], v[191:192], v[16:17]
	v_add_f64 v[201:202], v[183:184], v[185:186]
	v_add_f64 v[187:188], v[193:194], v[187:188]
	s_waitcnt vmcnt(8) lgkmcnt(0)
	v_mul_f64 v[193:194], v[2:3], v[20:21]
	v_mul_f64 v[20:21], v[4:5], v[20:21]
	ds_load_b128 v[183:186], v1 offset:1088
	v_fma_f64 v[191:192], v[191:192], v[14:15], v[195:196]
	v_fma_f64 v[189:190], v[189:190], v[14:15], -v[16:17]
	scratch_load_b128 v[14:17], off, off offset:512
	v_add_f64 v[195:196], v[201:202], v[199:200]
	v_add_f64 v[187:188], v[187:188], v[197:198]
	v_fma_f64 v[193:194], v[4:5], v[18:19], v[193:194]
	v_fma_f64 v[199:200], v[2:3], v[18:19], -v[20:21]
	scratch_load_b128 v[18:21], off, off offset:528
	ds_load_b128 v[2:5], v1 offset:1104
	s_waitcnt vmcnt(9) lgkmcnt(1)
	v_mul_f64 v[197:198], v[183:184], v[24:25]
	v_mul_f64 v[24:25], v[185:186], v[24:25]
	s_waitcnt vmcnt(8) lgkmcnt(0)
	v_mul_f64 v[201:202], v[2:3], v[28:29]
	v_mul_f64 v[28:29], v[4:5], v[28:29]
	v_add_f64 v[195:196], v[195:196], v[189:190]
	v_add_f64 v[191:192], v[187:188], v[191:192]
	ds_load_b128 v[187:190], v1 offset:1120
	v_fma_f64 v[185:186], v[185:186], v[22:23], v[197:198]
	v_fma_f64 v[183:184], v[183:184], v[22:23], -v[24:25]
	scratch_load_b128 v[22:25], off, off offset:544
	v_fma_f64 v[197:198], v[4:5], v[26:27], v[201:202]
	v_add_f64 v[195:196], v[195:196], v[199:200]
	v_add_f64 v[191:192], v[191:192], v[193:194]
	v_fma_f64 v[199:200], v[2:3], v[26:27], -v[28:29]
	scratch_load_b128 v[26:29], off, off offset:560
	ds_load_b128 v[2:5], v1 offset:1136
	s_waitcnt vmcnt(9) lgkmcnt(1)
	v_mul_f64 v[193:194], v[187:188], v[32:33]
	v_mul_f64 v[32:33], v[189:190], v[32:33]
	s_waitcnt vmcnt(8) lgkmcnt(0)
	v_mul_f64 v[201:202], v[2:3], v[36:37]
	v_mul_f64 v[36:37], v[4:5], v[36:37]
	v_add_f64 v[195:196], v[195:196], v[183:184]
	v_add_f64 v[191:192], v[191:192], v[185:186]
	ds_load_b128 v[183:186], v1 offset:1152
	v_fma_f64 v[189:190], v[189:190], v[30:31], v[193:194]
	v_fma_f64 v[187:188], v[187:188], v[30:31], -v[32:33]
	scratch_load_b128 v[30:33], off, off offset:576
	v_add_f64 v[193:194], v[195:196], v[199:200]
	v_add_f64 v[191:192], v[191:192], v[197:198]
	v_fma_f64 v[197:198], v[4:5], v[34:35], v[201:202]
	v_fma_f64 v[199:200], v[2:3], v[34:35], -v[36:37]
	scratch_load_b128 v[34:37], off, off offset:592
	ds_load_b128 v[2:5], v1 offset:1168
	s_waitcnt vmcnt(9) lgkmcnt(1)
	v_mul_f64 v[195:196], v[183:184], v[181:182]
	v_mul_f64 v[181:182], v[185:186], v[181:182]
	s_waitcnt vmcnt(8) lgkmcnt(0)
	v_mul_f64 v[201:202], v[2:3], v[40:41]
	v_mul_f64 v[40:41], v[4:5], v[40:41]
	v_add_f64 v[193:194], v[193:194], v[187:188]
	v_add_f64 v[191:192], v[191:192], v[189:190]
	ds_load_b128 v[187:190], v1 offset:1184
	v_fma_f64 v[185:186], v[185:186], v[179:180], v[195:196]
	v_fma_f64 v[183:184], v[183:184], v[179:180], -v[181:182]
	scratch_load_b128 v[179:182], off, off offset:608
	v_add_f64 v[193:194], v[193:194], v[199:200]
	v_add_f64 v[191:192], v[191:192], v[197:198]
	v_fma_f64 v[197:198], v[4:5], v[38:39], v[201:202]
	;; [unrolled: 18-line block ×4, first 2 shown]
	v_fma_f64 v[199:200], v[2:3], v[18:19], -v[20:21]
	scratch_load_b128 v[18:21], off, off offset:688
	ds_load_b128 v[2:5], v1 offset:1264
	s_waitcnt vmcnt(9) lgkmcnt(1)
	v_mul_f64 v[195:196], v[187:188], v[24:25]
	v_mul_f64 v[24:25], v[189:190], v[24:25]
	s_waitcnt vmcnt(8) lgkmcnt(0)
	v_mul_f64 v[201:202], v[2:3], v[28:29]
	v_mul_f64 v[28:29], v[4:5], v[28:29]
	v_add_f64 v[193:194], v[193:194], v[183:184]
	v_add_f64 v[191:192], v[191:192], v[185:186]
	ds_load_b128 v[183:186], v1 offset:1280
	v_fma_f64 v[189:190], v[189:190], v[22:23], v[195:196]
	v_fma_f64 v[22:23], v[187:188], v[22:23], -v[24:25]
	v_add_f64 v[24:25], v[193:194], v[199:200]
	v_add_f64 v[187:188], v[191:192], v[197:198]
	s_waitcnt vmcnt(7) lgkmcnt(0)
	v_mul_f64 v[191:192], v[183:184], v[32:33]
	v_mul_f64 v[32:33], v[185:186], v[32:33]
	v_fma_f64 v[193:194], v[4:5], v[26:27], v[201:202]
	v_fma_f64 v[26:27], v[2:3], v[26:27], -v[28:29]
	v_add_f64 v[28:29], v[24:25], v[22:23]
	v_add_f64 v[187:188], v[187:188], v[189:190]
	ds_load_b128 v[2:5], v1 offset:1296
	ds_load_b128 v[22:25], v1 offset:1312
	v_fma_f64 v[185:186], v[185:186], v[30:31], v[191:192]
	v_fma_f64 v[30:31], v[183:184], v[30:31], -v[32:33]
	s_waitcnt vmcnt(6) lgkmcnt(1)
	v_mul_f64 v[189:190], v[2:3], v[36:37]
	v_mul_f64 v[36:37], v[4:5], v[36:37]
	s_waitcnt vmcnt(5) lgkmcnt(0)
	v_mul_f64 v[32:33], v[22:23], v[181:182]
	v_mul_f64 v[181:182], v[24:25], v[181:182]
	v_add_f64 v[26:27], v[28:29], v[26:27]
	v_add_f64 v[28:29], v[187:188], v[193:194]
	v_fma_f64 v[183:184], v[4:5], v[34:35], v[189:190]
	v_fma_f64 v[34:35], v[2:3], v[34:35], -v[36:37]
	v_fma_f64 v[24:25], v[24:25], v[179:180], v[32:33]
	v_fma_f64 v[22:23], v[22:23], v[179:180], -v[181:182]
	v_add_f64 v[30:31], v[26:27], v[30:31]
	v_add_f64 v[36:37], v[28:29], v[185:186]
	ds_load_b128 v[2:5], v1 offset:1328
	ds_load_b128 v[26:29], v1 offset:1344
	s_waitcnt vmcnt(4) lgkmcnt(1)
	v_mul_f64 v[185:186], v[2:3], v[40:41]
	v_mul_f64 v[40:41], v[4:5], v[40:41]
	v_add_f64 v[30:31], v[30:31], v[34:35]
	v_add_f64 v[32:33], v[36:37], v[183:184]
	s_waitcnt vmcnt(3) lgkmcnt(0)
	v_mul_f64 v[34:35], v[26:27], v[8:9]
	v_mul_f64 v[8:9], v[28:29], v[8:9]
	v_fma_f64 v[36:37], v[4:5], v[38:39], v[185:186]
	v_fma_f64 v[38:39], v[2:3], v[38:39], -v[40:41]
	v_add_f64 v[30:31], v[30:31], v[22:23]
	v_add_f64 v[32:33], v[32:33], v[24:25]
	ds_load_b128 v[2:5], v1 offset:1360
	ds_load_b128 v[22:25], v1 offset:1376
	v_fma_f64 v[28:29], v[28:29], v[6:7], v[34:35]
	v_fma_f64 v[6:7], v[26:27], v[6:7], -v[8:9]
	s_waitcnt vmcnt(2) lgkmcnt(1)
	v_mul_f64 v[40:41], v[2:3], v[12:13]
	v_mul_f64 v[12:13], v[4:5], v[12:13]
	v_add_f64 v[8:9], v[30:31], v[38:39]
	v_add_f64 v[26:27], v[32:33], v[36:37]
	s_waitcnt vmcnt(1) lgkmcnt(0)
	v_mul_f64 v[30:31], v[22:23], v[16:17]
	v_mul_f64 v[16:17], v[24:25], v[16:17]
	v_fma_f64 v[32:33], v[4:5], v[10:11], v[40:41]
	v_fma_f64 v[10:11], v[2:3], v[10:11], -v[12:13]
	ds_load_b128 v[2:5], v1 offset:1392
	v_add_f64 v[6:7], v[8:9], v[6:7]
	v_add_f64 v[8:9], v[26:27], v[28:29]
	v_fma_f64 v[24:25], v[24:25], v[14:15], v[30:31]
	v_fma_f64 v[14:15], v[22:23], v[14:15], -v[16:17]
	s_waitcnt vmcnt(0) lgkmcnt(0)
	v_mul_f64 v[12:13], v[2:3], v[20:21]
	v_mul_f64 v[20:21], v[4:5], v[20:21]
	v_add_f64 v[6:7], v[6:7], v[10:11]
	v_add_f64 v[8:9], v[8:9], v[32:33]
	s_delay_alu instid0(VALU_DEP_4) | instskip(NEXT) | instid1(VALU_DEP_4)
	v_fma_f64 v[4:5], v[4:5], v[18:19], v[12:13]
	v_fma_f64 v[2:3], v[2:3], v[18:19], -v[20:21]
	s_delay_alu instid0(VALU_DEP_4) | instskip(NEXT) | instid1(VALU_DEP_4)
	v_add_f64 v[6:7], v[6:7], v[14:15]
	v_add_f64 v[8:9], v[8:9], v[24:25]
	s_delay_alu instid0(VALU_DEP_2) | instskip(NEXT) | instid1(VALU_DEP_2)
	v_add_f64 v[2:3], v[6:7], v[2:3]
	v_add_f64 v[4:5], v[8:9], v[4:5]
	s_delay_alu instid0(VALU_DEP_2) | instskip(NEXT) | instid1(VALU_DEP_2)
	v_add_f64 v[2:3], v[42:43], -v[2:3]
	v_add_f64 v[4:5], v[44:45], -v[4:5]
	scratch_store_b128 off, v[2:5], off offset:128
	v_cmpx_lt_u32_e32 7, v134
	s_cbranch_execz .LBB43_263
; %bb.262:
	scratch_load_b128 v[5:8], v173, off
	v_mov_b32_e32 v2, v1
	v_mov_b32_e32 v3, v1
	;; [unrolled: 1-line block ×3, first 2 shown]
	scratch_store_b128 off, v[1:4], off offset:112
	s_waitcnt vmcnt(0)
	ds_store_b128 v178, v[5:8]
.LBB43_263:
	s_or_b32 exec_lo, exec_lo, s2
	s_waitcnt lgkmcnt(0)
	s_waitcnt_vscnt null, 0x0
	s_barrier
	buffer_gl0_inv
	s_clause 0x8
	scratch_load_b128 v[2:5], off, off offset:128
	scratch_load_b128 v[6:9], off, off offset:144
	;; [unrolled: 1-line block ×9, first 2 shown]
	ds_load_b128 v[42:45], v1 offset:832
	ds_load_b128 v[38:41], v1 offset:848
	s_clause 0x1
	scratch_load_b128 v[179:182], off, off offset:112
	scratch_load_b128 v[183:186], off, off offset:272
	s_mov_b32 s2, exec_lo
	s_waitcnt vmcnt(10) lgkmcnt(1)
	v_mul_f64 v[187:188], v[44:45], v[4:5]
	v_mul_f64 v[4:5], v[42:43], v[4:5]
	s_waitcnt vmcnt(9) lgkmcnt(0)
	v_mul_f64 v[191:192], v[38:39], v[8:9]
	v_mul_f64 v[8:9], v[40:41], v[8:9]
	s_delay_alu instid0(VALU_DEP_4) | instskip(NEXT) | instid1(VALU_DEP_4)
	v_fma_f64 v[193:194], v[42:43], v[2:3], -v[187:188]
	v_fma_f64 v[195:196], v[44:45], v[2:3], v[4:5]
	ds_load_b128 v[2:5], v1 offset:864
	ds_load_b128 v[187:190], v1 offset:880
	scratch_load_b128 v[42:45], off, off offset:288
	v_fma_f64 v[40:41], v[40:41], v[6:7], v[191:192]
	v_fma_f64 v[38:39], v[38:39], v[6:7], -v[8:9]
	scratch_load_b128 v[6:9], off, off offset:304
	s_waitcnt vmcnt(10) lgkmcnt(1)
	v_mul_f64 v[197:198], v[2:3], v[12:13]
	v_mul_f64 v[12:13], v[4:5], v[12:13]
	v_add_f64 v[191:192], v[193:194], 0
	v_add_f64 v[193:194], v[195:196], 0
	s_waitcnt vmcnt(9) lgkmcnt(0)
	v_mul_f64 v[195:196], v[187:188], v[16:17]
	v_mul_f64 v[16:17], v[189:190], v[16:17]
	v_fma_f64 v[197:198], v[4:5], v[10:11], v[197:198]
	v_fma_f64 v[199:200], v[2:3], v[10:11], -v[12:13]
	ds_load_b128 v[2:5], v1 offset:896
	scratch_load_b128 v[10:13], off, off offset:320
	v_add_f64 v[191:192], v[191:192], v[38:39]
	v_add_f64 v[193:194], v[193:194], v[40:41]
	ds_load_b128 v[38:41], v1 offset:912
	v_fma_f64 v[189:190], v[189:190], v[14:15], v[195:196]
	v_fma_f64 v[187:188], v[187:188], v[14:15], -v[16:17]
	scratch_load_b128 v[14:17], off, off offset:336
	s_waitcnt vmcnt(10) lgkmcnt(1)
	v_mul_f64 v[201:202], v[2:3], v[20:21]
	v_mul_f64 v[20:21], v[4:5], v[20:21]
	s_waitcnt vmcnt(9) lgkmcnt(0)
	v_mul_f64 v[195:196], v[38:39], v[24:25]
	v_mul_f64 v[24:25], v[40:41], v[24:25]
	v_add_f64 v[191:192], v[191:192], v[199:200]
	v_add_f64 v[193:194], v[193:194], v[197:198]
	v_fma_f64 v[197:198], v[4:5], v[18:19], v[201:202]
	v_fma_f64 v[199:200], v[2:3], v[18:19], -v[20:21]
	ds_load_b128 v[2:5], v1 offset:928
	scratch_load_b128 v[18:21], off, off offset:352
	v_fma_f64 v[40:41], v[40:41], v[22:23], v[195:196]
	v_fma_f64 v[38:39], v[38:39], v[22:23], -v[24:25]
	scratch_load_b128 v[22:25], off, off offset:368
	v_add_f64 v[191:192], v[191:192], v[187:188]
	v_add_f64 v[193:194], v[193:194], v[189:190]
	ds_load_b128 v[187:190], v1 offset:944
	s_waitcnt vmcnt(10) lgkmcnt(1)
	v_mul_f64 v[201:202], v[2:3], v[28:29]
	v_mul_f64 v[28:29], v[4:5], v[28:29]
	s_waitcnt vmcnt(9) lgkmcnt(0)
	v_mul_f64 v[195:196], v[187:188], v[32:33]
	v_mul_f64 v[32:33], v[189:190], v[32:33]
	v_add_f64 v[191:192], v[191:192], v[199:200]
	v_add_f64 v[193:194], v[193:194], v[197:198]
	v_fma_f64 v[197:198], v[4:5], v[26:27], v[201:202]
	v_fma_f64 v[199:200], v[2:3], v[26:27], -v[28:29]
	ds_load_b128 v[2:5], v1 offset:960
	scratch_load_b128 v[26:29], off, off offset:384
	v_fma_f64 v[189:190], v[189:190], v[30:31], v[195:196]
	v_fma_f64 v[187:188], v[187:188], v[30:31], -v[32:33]
	scratch_load_b128 v[30:33], off, off offset:400
	v_add_f64 v[191:192], v[191:192], v[38:39]
	v_add_f64 v[193:194], v[193:194], v[40:41]
	ds_load_b128 v[38:41], v1 offset:976
	s_waitcnt vmcnt(10) lgkmcnt(1)
	v_mul_f64 v[201:202], v[2:3], v[36:37]
	v_mul_f64 v[36:37], v[4:5], v[36:37]
	s_waitcnt vmcnt(8) lgkmcnt(0)
	v_mul_f64 v[195:196], v[38:39], v[185:186]
	v_add_f64 v[191:192], v[191:192], v[199:200]
	v_add_f64 v[193:194], v[193:194], v[197:198]
	v_mul_f64 v[197:198], v[40:41], v[185:186]
	v_fma_f64 v[199:200], v[4:5], v[34:35], v[201:202]
	v_fma_f64 v[201:202], v[2:3], v[34:35], -v[36:37]
	ds_load_b128 v[2:5], v1 offset:992
	scratch_load_b128 v[34:37], off, off offset:416
	v_fma_f64 v[195:196], v[40:41], v[183:184], v[195:196]
	v_add_f64 v[191:192], v[191:192], v[187:188]
	v_add_f64 v[189:190], v[193:194], v[189:190]
	ds_load_b128 v[185:188], v1 offset:1008
	v_fma_f64 v[183:184], v[38:39], v[183:184], -v[197:198]
	scratch_load_b128 v[38:41], off, off offset:432
	s_waitcnt vmcnt(9) lgkmcnt(1)
	v_mul_f64 v[193:194], v[2:3], v[44:45]
	v_mul_f64 v[44:45], v[4:5], v[44:45]
	s_waitcnt vmcnt(8) lgkmcnt(0)
	v_mul_f64 v[197:198], v[185:186], v[8:9]
	v_mul_f64 v[8:9], v[187:188], v[8:9]
	v_add_f64 v[191:192], v[191:192], v[201:202]
	v_add_f64 v[189:190], v[189:190], v[199:200]
	v_fma_f64 v[193:194], v[4:5], v[42:43], v[193:194]
	v_fma_f64 v[199:200], v[2:3], v[42:43], -v[44:45]
	ds_load_b128 v[2:5], v1 offset:1024
	scratch_load_b128 v[42:45], off, off offset:448
	v_fma_f64 v[187:188], v[187:188], v[6:7], v[197:198]
	v_fma_f64 v[185:186], v[185:186], v[6:7], -v[8:9]
	scratch_load_b128 v[6:9], off, off offset:464
	v_add_f64 v[183:184], v[191:192], v[183:184]
	v_add_f64 v[195:196], v[189:190], v[195:196]
	ds_load_b128 v[189:192], v1 offset:1040
	s_waitcnt vmcnt(9) lgkmcnt(1)
	v_mul_f64 v[201:202], v[2:3], v[12:13]
	v_mul_f64 v[12:13], v[4:5], v[12:13]
	v_add_f64 v[183:184], v[183:184], v[199:200]
	v_add_f64 v[193:194], v[195:196], v[193:194]
	s_waitcnt vmcnt(8) lgkmcnt(0)
	v_mul_f64 v[195:196], v[189:190], v[16:17]
	v_mul_f64 v[16:17], v[191:192], v[16:17]
	v_fma_f64 v[197:198], v[4:5], v[10:11], v[201:202]
	v_fma_f64 v[199:200], v[2:3], v[10:11], -v[12:13]
	ds_load_b128 v[2:5], v1 offset:1056
	scratch_load_b128 v[10:13], off, off offset:480
	v_add_f64 v[201:202], v[183:184], v[185:186]
	v_add_f64 v[187:188], v[193:194], v[187:188]
	ds_load_b128 v[183:186], v1 offset:1072
	s_waitcnt vmcnt(8) lgkmcnt(1)
	v_mul_f64 v[193:194], v[2:3], v[20:21]
	v_mul_f64 v[20:21], v[4:5], v[20:21]
	v_fma_f64 v[191:192], v[191:192], v[14:15], v[195:196]
	v_fma_f64 v[189:190], v[189:190], v[14:15], -v[16:17]
	scratch_load_b128 v[14:17], off, off offset:496
	v_add_f64 v[195:196], v[201:202], v[199:200]
	v_add_f64 v[187:188], v[187:188], v[197:198]
	s_waitcnt vmcnt(8) lgkmcnt(0)
	v_mul_f64 v[197:198], v[183:184], v[24:25]
	v_mul_f64 v[24:25], v[185:186], v[24:25]
	v_fma_f64 v[193:194], v[4:5], v[18:19], v[193:194]
	v_fma_f64 v[199:200], v[2:3], v[18:19], -v[20:21]
	ds_load_b128 v[2:5], v1 offset:1088
	scratch_load_b128 v[18:21], off, off offset:512
	v_add_f64 v[195:196], v[195:196], v[189:190]
	v_add_f64 v[191:192], v[187:188], v[191:192]
	ds_load_b128 v[187:190], v1 offset:1104
	s_waitcnt vmcnt(8) lgkmcnt(1)
	v_mul_f64 v[201:202], v[2:3], v[28:29]
	v_mul_f64 v[28:29], v[4:5], v[28:29]
	v_fma_f64 v[185:186], v[185:186], v[22:23], v[197:198]
	v_fma_f64 v[183:184], v[183:184], v[22:23], -v[24:25]
	scratch_load_b128 v[22:25], off, off offset:528
	;; [unrolled: 18-line block ×4, first 2 shown]
	s_waitcnt vmcnt(8) lgkmcnt(0)
	v_mul_f64 v[195:196], v[187:188], v[8:9]
	v_mul_f64 v[8:9], v[189:190], v[8:9]
	v_add_f64 v[193:194], v[193:194], v[199:200]
	v_add_f64 v[191:192], v[191:192], v[197:198]
	v_fma_f64 v[197:198], v[4:5], v[42:43], v[201:202]
	v_fma_f64 v[199:200], v[2:3], v[42:43], -v[44:45]
	ds_load_b128 v[2:5], v1 offset:1184
	scratch_load_b128 v[42:45], off, off offset:608
	v_fma_f64 v[189:190], v[189:190], v[6:7], v[195:196]
	v_fma_f64 v[187:188], v[187:188], v[6:7], -v[8:9]
	scratch_load_b128 v[6:9], off, off offset:624
	v_add_f64 v[193:194], v[193:194], v[183:184]
	v_add_f64 v[191:192], v[191:192], v[185:186]
	ds_load_b128 v[183:186], v1 offset:1200
	s_waitcnt vmcnt(9) lgkmcnt(1)
	v_mul_f64 v[201:202], v[2:3], v[12:13]
	v_mul_f64 v[12:13], v[4:5], v[12:13]
	s_waitcnt vmcnt(8) lgkmcnt(0)
	v_mul_f64 v[195:196], v[183:184], v[16:17]
	v_mul_f64 v[16:17], v[185:186], v[16:17]
	v_add_f64 v[193:194], v[193:194], v[199:200]
	v_add_f64 v[191:192], v[191:192], v[197:198]
	v_fma_f64 v[197:198], v[4:5], v[10:11], v[201:202]
	v_fma_f64 v[199:200], v[2:3], v[10:11], -v[12:13]
	ds_load_b128 v[2:5], v1 offset:1216
	scratch_load_b128 v[10:13], off, off offset:640
	v_fma_f64 v[185:186], v[185:186], v[14:15], v[195:196]
	v_fma_f64 v[183:184], v[183:184], v[14:15], -v[16:17]
	scratch_load_b128 v[14:17], off, off offset:656
	v_add_f64 v[193:194], v[193:194], v[187:188]
	v_add_f64 v[191:192], v[191:192], v[189:190]
	ds_load_b128 v[187:190], v1 offset:1232
	s_waitcnt vmcnt(9) lgkmcnt(1)
	v_mul_f64 v[201:202], v[2:3], v[20:21]
	v_mul_f64 v[20:21], v[4:5], v[20:21]
	;; [unrolled: 18-line block ×3, first 2 shown]
	s_waitcnt vmcnt(8) lgkmcnt(0)
	v_mul_f64 v[195:196], v[183:184], v[32:33]
	v_mul_f64 v[32:33], v[185:186], v[32:33]
	v_add_f64 v[193:194], v[193:194], v[199:200]
	v_add_f64 v[191:192], v[191:192], v[197:198]
	v_fma_f64 v[197:198], v[4:5], v[26:27], v[201:202]
	v_fma_f64 v[199:200], v[2:3], v[26:27], -v[28:29]
	ds_load_b128 v[2:5], v1 offset:1280
	ds_load_b128 v[26:29], v1 offset:1296
	v_fma_f64 v[185:186], v[185:186], v[30:31], v[195:196]
	v_fma_f64 v[30:31], v[183:184], v[30:31], -v[32:33]
	v_add_f64 v[187:188], v[193:194], v[187:188]
	v_add_f64 v[189:190], v[191:192], v[189:190]
	s_waitcnt vmcnt(7) lgkmcnt(1)
	v_mul_f64 v[191:192], v[2:3], v[36:37]
	v_mul_f64 v[36:37], v[4:5], v[36:37]
	s_delay_alu instid0(VALU_DEP_4) | instskip(NEXT) | instid1(VALU_DEP_4)
	v_add_f64 v[32:33], v[187:188], v[199:200]
	v_add_f64 v[183:184], v[189:190], v[197:198]
	s_waitcnt vmcnt(6) lgkmcnt(0)
	v_mul_f64 v[187:188], v[26:27], v[40:41]
	v_mul_f64 v[40:41], v[28:29], v[40:41]
	v_fma_f64 v[189:190], v[4:5], v[34:35], v[191:192]
	v_fma_f64 v[34:35], v[2:3], v[34:35], -v[36:37]
	v_add_f64 v[36:37], v[32:33], v[30:31]
	v_add_f64 v[183:184], v[183:184], v[185:186]
	ds_load_b128 v[2:5], v1 offset:1312
	ds_load_b128 v[30:33], v1 offset:1328
	v_fma_f64 v[28:29], v[28:29], v[38:39], v[187:188]
	v_fma_f64 v[26:27], v[26:27], v[38:39], -v[40:41]
	s_waitcnt vmcnt(5) lgkmcnt(1)
	v_mul_f64 v[185:186], v[2:3], v[44:45]
	v_mul_f64 v[44:45], v[4:5], v[44:45]
	s_waitcnt vmcnt(4) lgkmcnt(0)
	v_mul_f64 v[38:39], v[30:31], v[8:9]
	v_mul_f64 v[8:9], v[32:33], v[8:9]
	v_add_f64 v[34:35], v[36:37], v[34:35]
	v_add_f64 v[36:37], v[183:184], v[189:190]
	v_fma_f64 v[40:41], v[4:5], v[42:43], v[185:186]
	v_fma_f64 v[42:43], v[2:3], v[42:43], -v[44:45]
	v_fma_f64 v[32:33], v[32:33], v[6:7], v[38:39]
	v_fma_f64 v[6:7], v[30:31], v[6:7], -v[8:9]
	v_add_f64 v[34:35], v[34:35], v[26:27]
	v_add_f64 v[36:37], v[36:37], v[28:29]
	ds_load_b128 v[2:5], v1 offset:1344
	ds_load_b128 v[26:29], v1 offset:1360
	s_waitcnt vmcnt(3) lgkmcnt(1)
	v_mul_f64 v[44:45], v[2:3], v[12:13]
	v_mul_f64 v[12:13], v[4:5], v[12:13]
	v_add_f64 v[8:9], v[34:35], v[42:43]
	v_add_f64 v[30:31], v[36:37], v[40:41]
	s_waitcnt vmcnt(2) lgkmcnt(0)
	v_mul_f64 v[34:35], v[26:27], v[16:17]
	v_mul_f64 v[16:17], v[28:29], v[16:17]
	v_fma_f64 v[36:37], v[4:5], v[10:11], v[44:45]
	v_fma_f64 v[10:11], v[2:3], v[10:11], -v[12:13]
	v_add_f64 v[12:13], v[8:9], v[6:7]
	v_add_f64 v[30:31], v[30:31], v[32:33]
	ds_load_b128 v[2:5], v1 offset:1376
	ds_load_b128 v[6:9], v1 offset:1392
	v_fma_f64 v[28:29], v[28:29], v[14:15], v[34:35]
	v_fma_f64 v[14:15], v[26:27], v[14:15], -v[16:17]
	s_waitcnt vmcnt(1) lgkmcnt(1)
	v_mul_f64 v[32:33], v[2:3], v[20:21]
	v_mul_f64 v[20:21], v[4:5], v[20:21]
	s_waitcnt vmcnt(0) lgkmcnt(0)
	v_mul_f64 v[16:17], v[6:7], v[24:25]
	v_mul_f64 v[24:25], v[8:9], v[24:25]
	v_add_f64 v[10:11], v[12:13], v[10:11]
	v_add_f64 v[12:13], v[30:31], v[36:37]
	v_fma_f64 v[4:5], v[4:5], v[18:19], v[32:33]
	v_fma_f64 v[1:2], v[2:3], v[18:19], -v[20:21]
	v_fma_f64 v[8:9], v[8:9], v[22:23], v[16:17]
	v_fma_f64 v[6:7], v[6:7], v[22:23], -v[24:25]
	v_add_f64 v[10:11], v[10:11], v[14:15]
	v_add_f64 v[12:13], v[12:13], v[28:29]
	s_delay_alu instid0(VALU_DEP_2) | instskip(NEXT) | instid1(VALU_DEP_2)
	v_add_f64 v[1:2], v[10:11], v[1:2]
	v_add_f64 v[3:4], v[12:13], v[4:5]
	s_delay_alu instid0(VALU_DEP_2) | instskip(NEXT) | instid1(VALU_DEP_2)
	;; [unrolled: 3-line block ×3, first 2 shown]
	v_add_f64 v[1:2], v[179:180], -v[1:2]
	v_add_f64 v[3:4], v[181:182], -v[3:4]
	scratch_store_b128 off, v[1:4], off offset:112
	v_cmpx_lt_u32_e32 6, v134
	s_cbranch_execz .LBB43_265
; %bb.264:
	scratch_load_b128 v[1:4], v174, off
	v_mov_b32_e32 v5, 0
	s_delay_alu instid0(VALU_DEP_1)
	v_mov_b32_e32 v6, v5
	v_mov_b32_e32 v7, v5
	;; [unrolled: 1-line block ×3, first 2 shown]
	scratch_store_b128 off, v[5:8], off offset:96
	s_waitcnt vmcnt(0)
	ds_store_b128 v178, v[1:4]
.LBB43_265:
	s_or_b32 exec_lo, exec_lo, s2
	s_waitcnt lgkmcnt(0)
	s_waitcnt_vscnt null, 0x0
	s_barrier
	buffer_gl0_inv
	s_clause 0x7
	scratch_load_b128 v[2:5], off, off offset:112
	scratch_load_b128 v[6:9], off, off offset:128
	;; [unrolled: 1-line block ×8, first 2 shown]
	v_mov_b32_e32 v1, 0
	s_mov_b32 s2, exec_lo
	ds_load_b128 v[38:41], v1 offset:816
	s_clause 0x1
	scratch_load_b128 v[34:37], off, off offset:240
	scratch_load_b128 v[42:45], off, off offset:96
	ds_load_b128 v[179:182], v1 offset:832
	scratch_load_b128 v[183:186], off, off offset:256
	s_waitcnt vmcnt(10) lgkmcnt(1)
	v_mul_f64 v[187:188], v[40:41], v[4:5]
	v_mul_f64 v[4:5], v[38:39], v[4:5]
	s_delay_alu instid0(VALU_DEP_2) | instskip(NEXT) | instid1(VALU_DEP_2)
	v_fma_f64 v[193:194], v[38:39], v[2:3], -v[187:188]
	v_fma_f64 v[195:196], v[40:41], v[2:3], v[4:5]
	scratch_load_b128 v[38:41], off, off offset:272
	ds_load_b128 v[2:5], v1 offset:848
	s_waitcnt vmcnt(10) lgkmcnt(1)
	v_mul_f64 v[191:192], v[179:180], v[8:9]
	v_mul_f64 v[8:9], v[181:182], v[8:9]
	ds_load_b128 v[187:190], v1 offset:864
	s_waitcnt vmcnt(9) lgkmcnt(1)
	v_mul_f64 v[197:198], v[2:3], v[12:13]
	v_mul_f64 v[12:13], v[4:5], v[12:13]
	v_fma_f64 v[181:182], v[181:182], v[6:7], v[191:192]
	v_fma_f64 v[179:180], v[179:180], v[6:7], -v[8:9]
	v_add_f64 v[191:192], v[193:194], 0
	v_add_f64 v[193:194], v[195:196], 0
	scratch_load_b128 v[6:9], off, off offset:288
	v_fma_f64 v[197:198], v[4:5], v[10:11], v[197:198]
	v_fma_f64 v[199:200], v[2:3], v[10:11], -v[12:13]
	scratch_load_b128 v[10:13], off, off offset:304
	ds_load_b128 v[2:5], v1 offset:880
	s_waitcnt vmcnt(10) lgkmcnt(1)
	v_mul_f64 v[195:196], v[187:188], v[16:17]
	v_mul_f64 v[16:17], v[189:190], v[16:17]
	v_add_f64 v[191:192], v[191:192], v[179:180]
	v_add_f64 v[193:194], v[193:194], v[181:182]
	s_waitcnt vmcnt(9) lgkmcnt(0)
	v_mul_f64 v[201:202], v[2:3], v[20:21]
	v_mul_f64 v[20:21], v[4:5], v[20:21]
	ds_load_b128 v[179:182], v1 offset:896
	v_fma_f64 v[189:190], v[189:190], v[14:15], v[195:196]
	v_fma_f64 v[187:188], v[187:188], v[14:15], -v[16:17]
	scratch_load_b128 v[14:17], off, off offset:320
	v_add_f64 v[191:192], v[191:192], v[199:200]
	v_add_f64 v[193:194], v[193:194], v[197:198]
	v_fma_f64 v[197:198], v[4:5], v[18:19], v[201:202]
	v_fma_f64 v[199:200], v[2:3], v[18:19], -v[20:21]
	scratch_load_b128 v[18:21], off, off offset:336
	ds_load_b128 v[2:5], v1 offset:912
	s_waitcnt vmcnt(10) lgkmcnt(1)
	v_mul_f64 v[195:196], v[179:180], v[24:25]
	v_mul_f64 v[24:25], v[181:182], v[24:25]
	s_waitcnt vmcnt(9) lgkmcnt(0)
	v_mul_f64 v[201:202], v[2:3], v[28:29]
	v_mul_f64 v[28:29], v[4:5], v[28:29]
	v_add_f64 v[191:192], v[191:192], v[187:188]
	v_add_f64 v[193:194], v[193:194], v[189:190]
	ds_load_b128 v[187:190], v1 offset:928
	v_fma_f64 v[181:182], v[181:182], v[22:23], v[195:196]
	v_fma_f64 v[179:180], v[179:180], v[22:23], -v[24:25]
	scratch_load_b128 v[22:25], off, off offset:352
	v_add_f64 v[191:192], v[191:192], v[199:200]
	v_add_f64 v[193:194], v[193:194], v[197:198]
	v_fma_f64 v[197:198], v[4:5], v[26:27], v[201:202]
	v_fma_f64 v[199:200], v[2:3], v[26:27], -v[28:29]
	scratch_load_b128 v[26:29], off, off offset:368
	ds_load_b128 v[2:5], v1 offset:944
	s_waitcnt vmcnt(10) lgkmcnt(1)
	v_mul_f64 v[195:196], v[187:188], v[32:33]
	v_mul_f64 v[32:33], v[189:190], v[32:33]
	s_waitcnt vmcnt(9) lgkmcnt(0)
	v_mul_f64 v[201:202], v[2:3], v[36:37]
	v_mul_f64 v[36:37], v[4:5], v[36:37]
	v_add_f64 v[191:192], v[191:192], v[179:180]
	v_add_f64 v[193:194], v[193:194], v[181:182]
	ds_load_b128 v[179:182], v1 offset:960
	v_fma_f64 v[189:190], v[189:190], v[30:31], v[195:196]
	v_fma_f64 v[187:188], v[187:188], v[30:31], -v[32:33]
	scratch_load_b128 v[30:33], off, off offset:384
	v_add_f64 v[191:192], v[191:192], v[199:200]
	v_add_f64 v[193:194], v[193:194], v[197:198]
	v_fma_f64 v[199:200], v[4:5], v[34:35], v[201:202]
	v_fma_f64 v[201:202], v[2:3], v[34:35], -v[36:37]
	scratch_load_b128 v[34:37], off, off offset:400
	ds_load_b128 v[2:5], v1 offset:976
	s_waitcnt vmcnt(9) lgkmcnt(1)
	v_mul_f64 v[195:196], v[179:180], v[185:186]
	v_mul_f64 v[197:198], v[181:182], v[185:186]
	v_add_f64 v[191:192], v[191:192], v[187:188]
	v_add_f64 v[189:190], v[193:194], v[189:190]
	ds_load_b128 v[185:188], v1 offset:992
	v_fma_f64 v[195:196], v[181:182], v[183:184], v[195:196]
	v_fma_f64 v[183:184], v[179:180], v[183:184], -v[197:198]
	scratch_load_b128 v[179:182], off, off offset:416
	s_waitcnt vmcnt(9) lgkmcnt(1)
	v_mul_f64 v[193:194], v[2:3], v[40:41]
	v_mul_f64 v[40:41], v[4:5], v[40:41]
	v_add_f64 v[191:192], v[191:192], v[201:202]
	v_add_f64 v[189:190], v[189:190], v[199:200]
	s_delay_alu instid0(VALU_DEP_4) | instskip(NEXT) | instid1(VALU_DEP_4)
	v_fma_f64 v[193:194], v[4:5], v[38:39], v[193:194]
	v_fma_f64 v[199:200], v[2:3], v[38:39], -v[40:41]
	scratch_load_b128 v[38:41], off, off offset:432
	ds_load_b128 v[2:5], v1 offset:1008
	s_waitcnt vmcnt(9) lgkmcnt(1)
	v_mul_f64 v[197:198], v[185:186], v[8:9]
	v_mul_f64 v[8:9], v[187:188], v[8:9]
	s_waitcnt vmcnt(8) lgkmcnt(0)
	v_mul_f64 v[201:202], v[2:3], v[12:13]
	v_mul_f64 v[12:13], v[4:5], v[12:13]
	v_add_f64 v[183:184], v[191:192], v[183:184]
	v_add_f64 v[195:196], v[189:190], v[195:196]
	ds_load_b128 v[189:192], v1 offset:1024
	v_fma_f64 v[187:188], v[187:188], v[6:7], v[197:198]
	v_fma_f64 v[185:186], v[185:186], v[6:7], -v[8:9]
	scratch_load_b128 v[6:9], off, off offset:448
	v_fma_f64 v[197:198], v[4:5], v[10:11], v[201:202]
	v_add_f64 v[183:184], v[183:184], v[199:200]
	v_add_f64 v[193:194], v[195:196], v[193:194]
	v_fma_f64 v[199:200], v[2:3], v[10:11], -v[12:13]
	scratch_load_b128 v[10:13], off, off offset:464
	ds_load_b128 v[2:5], v1 offset:1040
	s_waitcnt vmcnt(9) lgkmcnt(1)
	v_mul_f64 v[195:196], v[189:190], v[16:17]
	v_mul_f64 v[16:17], v[191:192], v[16:17]
	v_add_f64 v[201:202], v[183:184], v[185:186]
	v_add_f64 v[187:188], v[193:194], v[187:188]
	s_waitcnt vmcnt(8) lgkmcnt(0)
	v_mul_f64 v[193:194], v[2:3], v[20:21]
	v_mul_f64 v[20:21], v[4:5], v[20:21]
	ds_load_b128 v[183:186], v1 offset:1056
	v_fma_f64 v[191:192], v[191:192], v[14:15], v[195:196]
	v_fma_f64 v[189:190], v[189:190], v[14:15], -v[16:17]
	scratch_load_b128 v[14:17], off, off offset:480
	v_add_f64 v[195:196], v[201:202], v[199:200]
	v_add_f64 v[187:188], v[187:188], v[197:198]
	v_fma_f64 v[193:194], v[4:5], v[18:19], v[193:194]
	v_fma_f64 v[199:200], v[2:3], v[18:19], -v[20:21]
	scratch_load_b128 v[18:21], off, off offset:496
	ds_load_b128 v[2:5], v1 offset:1072
	s_waitcnt vmcnt(9) lgkmcnt(1)
	v_mul_f64 v[197:198], v[183:184], v[24:25]
	v_mul_f64 v[24:25], v[185:186], v[24:25]
	s_waitcnt vmcnt(8) lgkmcnt(0)
	v_mul_f64 v[201:202], v[2:3], v[28:29]
	v_mul_f64 v[28:29], v[4:5], v[28:29]
	v_add_f64 v[195:196], v[195:196], v[189:190]
	v_add_f64 v[191:192], v[187:188], v[191:192]
	ds_load_b128 v[187:190], v1 offset:1088
	v_fma_f64 v[185:186], v[185:186], v[22:23], v[197:198]
	v_fma_f64 v[183:184], v[183:184], v[22:23], -v[24:25]
	scratch_load_b128 v[22:25], off, off offset:512
	v_fma_f64 v[197:198], v[4:5], v[26:27], v[201:202]
	v_add_f64 v[195:196], v[195:196], v[199:200]
	v_add_f64 v[191:192], v[191:192], v[193:194]
	v_fma_f64 v[199:200], v[2:3], v[26:27], -v[28:29]
	scratch_load_b128 v[26:29], off, off offset:528
	ds_load_b128 v[2:5], v1 offset:1104
	s_waitcnt vmcnt(9) lgkmcnt(1)
	v_mul_f64 v[193:194], v[187:188], v[32:33]
	v_mul_f64 v[32:33], v[189:190], v[32:33]
	s_waitcnt vmcnt(8) lgkmcnt(0)
	v_mul_f64 v[201:202], v[2:3], v[36:37]
	v_mul_f64 v[36:37], v[4:5], v[36:37]
	v_add_f64 v[195:196], v[195:196], v[183:184]
	v_add_f64 v[191:192], v[191:192], v[185:186]
	ds_load_b128 v[183:186], v1 offset:1120
	v_fma_f64 v[189:190], v[189:190], v[30:31], v[193:194]
	v_fma_f64 v[187:188], v[187:188], v[30:31], -v[32:33]
	scratch_load_b128 v[30:33], off, off offset:544
	v_add_f64 v[193:194], v[195:196], v[199:200]
	v_add_f64 v[191:192], v[191:192], v[197:198]
	v_fma_f64 v[197:198], v[4:5], v[34:35], v[201:202]
	v_fma_f64 v[199:200], v[2:3], v[34:35], -v[36:37]
	scratch_load_b128 v[34:37], off, off offset:560
	ds_load_b128 v[2:5], v1 offset:1136
	s_waitcnt vmcnt(9) lgkmcnt(1)
	v_mul_f64 v[195:196], v[183:184], v[181:182]
	v_mul_f64 v[181:182], v[185:186], v[181:182]
	s_waitcnt vmcnt(8) lgkmcnt(0)
	v_mul_f64 v[201:202], v[2:3], v[40:41]
	v_mul_f64 v[40:41], v[4:5], v[40:41]
	v_add_f64 v[193:194], v[193:194], v[187:188]
	v_add_f64 v[191:192], v[191:192], v[189:190]
	ds_load_b128 v[187:190], v1 offset:1152
	v_fma_f64 v[185:186], v[185:186], v[179:180], v[195:196]
	v_fma_f64 v[183:184], v[183:184], v[179:180], -v[181:182]
	scratch_load_b128 v[179:182], off, off offset:576
	v_add_f64 v[193:194], v[193:194], v[199:200]
	v_add_f64 v[191:192], v[191:192], v[197:198]
	v_fma_f64 v[197:198], v[4:5], v[38:39], v[201:202]
	;; [unrolled: 18-line block ×5, first 2 shown]
	v_fma_f64 v[199:200], v[2:3], v[26:27], -v[28:29]
	scratch_load_b128 v[26:29], off, off offset:688
	ds_load_b128 v[2:5], v1 offset:1264
	s_waitcnt vmcnt(9) lgkmcnt(1)
	v_mul_f64 v[195:196], v[183:184], v[32:33]
	v_mul_f64 v[32:33], v[185:186], v[32:33]
	s_waitcnt vmcnt(8) lgkmcnt(0)
	v_mul_f64 v[201:202], v[2:3], v[36:37]
	v_mul_f64 v[36:37], v[4:5], v[36:37]
	v_add_f64 v[193:194], v[193:194], v[187:188]
	v_add_f64 v[191:192], v[191:192], v[189:190]
	ds_load_b128 v[187:190], v1 offset:1280
	v_fma_f64 v[185:186], v[185:186], v[30:31], v[195:196]
	v_fma_f64 v[30:31], v[183:184], v[30:31], -v[32:33]
	v_add_f64 v[32:33], v[193:194], v[199:200]
	v_add_f64 v[183:184], v[191:192], v[197:198]
	s_waitcnt vmcnt(7) lgkmcnt(0)
	v_mul_f64 v[191:192], v[187:188], v[181:182]
	v_mul_f64 v[181:182], v[189:190], v[181:182]
	v_fma_f64 v[193:194], v[4:5], v[34:35], v[201:202]
	v_fma_f64 v[34:35], v[2:3], v[34:35], -v[36:37]
	v_add_f64 v[36:37], v[32:33], v[30:31]
	v_add_f64 v[183:184], v[183:184], v[185:186]
	ds_load_b128 v[2:5], v1 offset:1296
	ds_load_b128 v[30:33], v1 offset:1312
	v_fma_f64 v[189:190], v[189:190], v[179:180], v[191:192]
	v_fma_f64 v[179:180], v[187:188], v[179:180], -v[181:182]
	s_waitcnt vmcnt(6) lgkmcnt(1)
	v_mul_f64 v[185:186], v[2:3], v[40:41]
	v_mul_f64 v[40:41], v[4:5], v[40:41]
	s_waitcnt vmcnt(5) lgkmcnt(0)
	v_mul_f64 v[181:182], v[30:31], v[8:9]
	v_mul_f64 v[8:9], v[32:33], v[8:9]
	v_add_f64 v[34:35], v[36:37], v[34:35]
	v_add_f64 v[36:37], v[183:184], v[193:194]
	v_fma_f64 v[183:184], v[4:5], v[38:39], v[185:186]
	v_fma_f64 v[38:39], v[2:3], v[38:39], -v[40:41]
	v_fma_f64 v[32:33], v[32:33], v[6:7], v[181:182]
	v_fma_f64 v[6:7], v[30:31], v[6:7], -v[8:9]
	v_add_f64 v[40:41], v[34:35], v[179:180]
	v_add_f64 v[179:180], v[36:37], v[189:190]
	ds_load_b128 v[2:5], v1 offset:1328
	ds_load_b128 v[34:37], v1 offset:1344
	s_waitcnt vmcnt(4) lgkmcnt(1)
	v_mul_f64 v[185:186], v[2:3], v[12:13]
	v_mul_f64 v[12:13], v[4:5], v[12:13]
	v_add_f64 v[8:9], v[40:41], v[38:39]
	v_add_f64 v[30:31], v[179:180], v[183:184]
	s_waitcnt vmcnt(3) lgkmcnt(0)
	v_mul_f64 v[38:39], v[34:35], v[16:17]
	v_mul_f64 v[16:17], v[36:37], v[16:17]
	v_fma_f64 v[40:41], v[4:5], v[10:11], v[185:186]
	v_fma_f64 v[10:11], v[2:3], v[10:11], -v[12:13]
	v_add_f64 v[12:13], v[8:9], v[6:7]
	v_add_f64 v[30:31], v[30:31], v[32:33]
	ds_load_b128 v[2:5], v1 offset:1360
	ds_load_b128 v[6:9], v1 offset:1376
	v_fma_f64 v[36:37], v[36:37], v[14:15], v[38:39]
	v_fma_f64 v[14:15], v[34:35], v[14:15], -v[16:17]
	s_waitcnt vmcnt(2) lgkmcnt(1)
	v_mul_f64 v[32:33], v[2:3], v[20:21]
	v_mul_f64 v[20:21], v[4:5], v[20:21]
	s_waitcnt vmcnt(1) lgkmcnt(0)
	v_mul_f64 v[16:17], v[6:7], v[24:25]
	v_mul_f64 v[24:25], v[8:9], v[24:25]
	v_add_f64 v[10:11], v[12:13], v[10:11]
	v_add_f64 v[12:13], v[30:31], v[40:41]
	v_fma_f64 v[30:31], v[4:5], v[18:19], v[32:33]
	v_fma_f64 v[18:19], v[2:3], v[18:19], -v[20:21]
	ds_load_b128 v[2:5], v1 offset:1392
	v_fma_f64 v[8:9], v[8:9], v[22:23], v[16:17]
	v_fma_f64 v[6:7], v[6:7], v[22:23], -v[24:25]
	v_add_f64 v[10:11], v[10:11], v[14:15]
	v_add_f64 v[12:13], v[12:13], v[36:37]
	s_waitcnt vmcnt(0) lgkmcnt(0)
	v_mul_f64 v[14:15], v[2:3], v[28:29]
	v_mul_f64 v[20:21], v[4:5], v[28:29]
	s_delay_alu instid0(VALU_DEP_4) | instskip(NEXT) | instid1(VALU_DEP_4)
	v_add_f64 v[10:11], v[10:11], v[18:19]
	v_add_f64 v[12:13], v[12:13], v[30:31]
	s_delay_alu instid0(VALU_DEP_4) | instskip(NEXT) | instid1(VALU_DEP_4)
	v_fma_f64 v[4:5], v[4:5], v[26:27], v[14:15]
	v_fma_f64 v[2:3], v[2:3], v[26:27], -v[20:21]
	s_delay_alu instid0(VALU_DEP_4) | instskip(NEXT) | instid1(VALU_DEP_4)
	v_add_f64 v[6:7], v[10:11], v[6:7]
	v_add_f64 v[8:9], v[12:13], v[8:9]
	s_delay_alu instid0(VALU_DEP_2) | instskip(NEXT) | instid1(VALU_DEP_2)
	v_add_f64 v[2:3], v[6:7], v[2:3]
	v_add_f64 v[4:5], v[8:9], v[4:5]
	s_delay_alu instid0(VALU_DEP_2) | instskip(NEXT) | instid1(VALU_DEP_2)
	v_add_f64 v[2:3], v[42:43], -v[2:3]
	v_add_f64 v[4:5], v[44:45], -v[4:5]
	scratch_store_b128 off, v[2:5], off offset:96
	v_cmpx_lt_u32_e32 5, v134
	s_cbranch_execz .LBB43_267
; %bb.266:
	scratch_load_b128 v[5:8], v175, off
	v_mov_b32_e32 v2, v1
	v_mov_b32_e32 v3, v1
	;; [unrolled: 1-line block ×3, first 2 shown]
	scratch_store_b128 off, v[1:4], off offset:80
	s_waitcnt vmcnt(0)
	ds_store_b128 v178, v[5:8]
.LBB43_267:
	s_or_b32 exec_lo, exec_lo, s2
	s_waitcnt lgkmcnt(0)
	s_waitcnt_vscnt null, 0x0
	s_barrier
	buffer_gl0_inv
	s_clause 0x8
	scratch_load_b128 v[2:5], off, off offset:96
	scratch_load_b128 v[6:9], off, off offset:112
	;; [unrolled: 1-line block ×9, first 2 shown]
	ds_load_b128 v[42:45], v1 offset:800
	ds_load_b128 v[38:41], v1 offset:816
	s_clause 0x1
	scratch_load_b128 v[179:182], off, off offset:80
	scratch_load_b128 v[183:186], off, off offset:240
	s_mov_b32 s2, exec_lo
	s_waitcnt vmcnt(10) lgkmcnt(1)
	v_mul_f64 v[187:188], v[44:45], v[4:5]
	v_mul_f64 v[4:5], v[42:43], v[4:5]
	s_waitcnt vmcnt(9) lgkmcnt(0)
	v_mul_f64 v[191:192], v[38:39], v[8:9]
	v_mul_f64 v[8:9], v[40:41], v[8:9]
	s_delay_alu instid0(VALU_DEP_4) | instskip(NEXT) | instid1(VALU_DEP_4)
	v_fma_f64 v[193:194], v[42:43], v[2:3], -v[187:188]
	v_fma_f64 v[195:196], v[44:45], v[2:3], v[4:5]
	ds_load_b128 v[2:5], v1 offset:832
	ds_load_b128 v[187:190], v1 offset:848
	scratch_load_b128 v[42:45], off, off offset:256
	v_fma_f64 v[40:41], v[40:41], v[6:7], v[191:192]
	v_fma_f64 v[38:39], v[38:39], v[6:7], -v[8:9]
	scratch_load_b128 v[6:9], off, off offset:272
	s_waitcnt vmcnt(10) lgkmcnt(1)
	v_mul_f64 v[197:198], v[2:3], v[12:13]
	v_mul_f64 v[12:13], v[4:5], v[12:13]
	v_add_f64 v[191:192], v[193:194], 0
	v_add_f64 v[193:194], v[195:196], 0
	s_waitcnt vmcnt(9) lgkmcnt(0)
	v_mul_f64 v[195:196], v[187:188], v[16:17]
	v_mul_f64 v[16:17], v[189:190], v[16:17]
	v_fma_f64 v[197:198], v[4:5], v[10:11], v[197:198]
	v_fma_f64 v[199:200], v[2:3], v[10:11], -v[12:13]
	ds_load_b128 v[2:5], v1 offset:864
	scratch_load_b128 v[10:13], off, off offset:288
	v_add_f64 v[191:192], v[191:192], v[38:39]
	v_add_f64 v[193:194], v[193:194], v[40:41]
	ds_load_b128 v[38:41], v1 offset:880
	v_fma_f64 v[189:190], v[189:190], v[14:15], v[195:196]
	v_fma_f64 v[187:188], v[187:188], v[14:15], -v[16:17]
	scratch_load_b128 v[14:17], off, off offset:304
	s_waitcnt vmcnt(10) lgkmcnt(1)
	v_mul_f64 v[201:202], v[2:3], v[20:21]
	v_mul_f64 v[20:21], v[4:5], v[20:21]
	s_waitcnt vmcnt(9) lgkmcnt(0)
	v_mul_f64 v[195:196], v[38:39], v[24:25]
	v_mul_f64 v[24:25], v[40:41], v[24:25]
	v_add_f64 v[191:192], v[191:192], v[199:200]
	v_add_f64 v[193:194], v[193:194], v[197:198]
	v_fma_f64 v[197:198], v[4:5], v[18:19], v[201:202]
	v_fma_f64 v[199:200], v[2:3], v[18:19], -v[20:21]
	ds_load_b128 v[2:5], v1 offset:896
	scratch_load_b128 v[18:21], off, off offset:320
	v_fma_f64 v[40:41], v[40:41], v[22:23], v[195:196]
	v_fma_f64 v[38:39], v[38:39], v[22:23], -v[24:25]
	scratch_load_b128 v[22:25], off, off offset:336
	v_add_f64 v[191:192], v[191:192], v[187:188]
	v_add_f64 v[193:194], v[193:194], v[189:190]
	ds_load_b128 v[187:190], v1 offset:912
	s_waitcnt vmcnt(10) lgkmcnt(1)
	v_mul_f64 v[201:202], v[2:3], v[28:29]
	v_mul_f64 v[28:29], v[4:5], v[28:29]
	s_waitcnt vmcnt(9) lgkmcnt(0)
	v_mul_f64 v[195:196], v[187:188], v[32:33]
	v_mul_f64 v[32:33], v[189:190], v[32:33]
	v_add_f64 v[191:192], v[191:192], v[199:200]
	v_add_f64 v[193:194], v[193:194], v[197:198]
	v_fma_f64 v[197:198], v[4:5], v[26:27], v[201:202]
	v_fma_f64 v[199:200], v[2:3], v[26:27], -v[28:29]
	ds_load_b128 v[2:5], v1 offset:928
	scratch_load_b128 v[26:29], off, off offset:352
	v_fma_f64 v[189:190], v[189:190], v[30:31], v[195:196]
	v_fma_f64 v[187:188], v[187:188], v[30:31], -v[32:33]
	scratch_load_b128 v[30:33], off, off offset:368
	v_add_f64 v[191:192], v[191:192], v[38:39]
	v_add_f64 v[193:194], v[193:194], v[40:41]
	ds_load_b128 v[38:41], v1 offset:944
	s_waitcnt vmcnt(10) lgkmcnt(1)
	v_mul_f64 v[201:202], v[2:3], v[36:37]
	v_mul_f64 v[36:37], v[4:5], v[36:37]
	s_waitcnt vmcnt(8) lgkmcnt(0)
	v_mul_f64 v[195:196], v[38:39], v[185:186]
	v_add_f64 v[191:192], v[191:192], v[199:200]
	v_add_f64 v[193:194], v[193:194], v[197:198]
	v_mul_f64 v[197:198], v[40:41], v[185:186]
	v_fma_f64 v[199:200], v[4:5], v[34:35], v[201:202]
	v_fma_f64 v[201:202], v[2:3], v[34:35], -v[36:37]
	ds_load_b128 v[2:5], v1 offset:960
	scratch_load_b128 v[34:37], off, off offset:384
	v_fma_f64 v[195:196], v[40:41], v[183:184], v[195:196]
	v_add_f64 v[191:192], v[191:192], v[187:188]
	v_add_f64 v[189:190], v[193:194], v[189:190]
	ds_load_b128 v[185:188], v1 offset:976
	v_fma_f64 v[183:184], v[38:39], v[183:184], -v[197:198]
	scratch_load_b128 v[38:41], off, off offset:400
	s_waitcnt vmcnt(9) lgkmcnt(1)
	v_mul_f64 v[193:194], v[2:3], v[44:45]
	v_mul_f64 v[44:45], v[4:5], v[44:45]
	s_waitcnt vmcnt(8) lgkmcnt(0)
	v_mul_f64 v[197:198], v[185:186], v[8:9]
	v_mul_f64 v[8:9], v[187:188], v[8:9]
	v_add_f64 v[191:192], v[191:192], v[201:202]
	v_add_f64 v[189:190], v[189:190], v[199:200]
	v_fma_f64 v[193:194], v[4:5], v[42:43], v[193:194]
	v_fma_f64 v[199:200], v[2:3], v[42:43], -v[44:45]
	ds_load_b128 v[2:5], v1 offset:992
	scratch_load_b128 v[42:45], off, off offset:416
	v_fma_f64 v[187:188], v[187:188], v[6:7], v[197:198]
	v_fma_f64 v[185:186], v[185:186], v[6:7], -v[8:9]
	scratch_load_b128 v[6:9], off, off offset:432
	v_add_f64 v[183:184], v[191:192], v[183:184]
	v_add_f64 v[195:196], v[189:190], v[195:196]
	ds_load_b128 v[189:192], v1 offset:1008
	s_waitcnt vmcnt(9) lgkmcnt(1)
	v_mul_f64 v[201:202], v[2:3], v[12:13]
	v_mul_f64 v[12:13], v[4:5], v[12:13]
	v_add_f64 v[183:184], v[183:184], v[199:200]
	v_add_f64 v[193:194], v[195:196], v[193:194]
	s_waitcnt vmcnt(8) lgkmcnt(0)
	v_mul_f64 v[195:196], v[189:190], v[16:17]
	v_mul_f64 v[16:17], v[191:192], v[16:17]
	v_fma_f64 v[197:198], v[4:5], v[10:11], v[201:202]
	v_fma_f64 v[199:200], v[2:3], v[10:11], -v[12:13]
	ds_load_b128 v[2:5], v1 offset:1024
	scratch_load_b128 v[10:13], off, off offset:448
	v_add_f64 v[201:202], v[183:184], v[185:186]
	v_add_f64 v[187:188], v[193:194], v[187:188]
	ds_load_b128 v[183:186], v1 offset:1040
	s_waitcnt vmcnt(8) lgkmcnt(1)
	v_mul_f64 v[193:194], v[2:3], v[20:21]
	v_mul_f64 v[20:21], v[4:5], v[20:21]
	v_fma_f64 v[191:192], v[191:192], v[14:15], v[195:196]
	v_fma_f64 v[189:190], v[189:190], v[14:15], -v[16:17]
	scratch_load_b128 v[14:17], off, off offset:464
	v_add_f64 v[195:196], v[201:202], v[199:200]
	v_add_f64 v[187:188], v[187:188], v[197:198]
	s_waitcnt vmcnt(8) lgkmcnt(0)
	v_mul_f64 v[197:198], v[183:184], v[24:25]
	v_mul_f64 v[24:25], v[185:186], v[24:25]
	v_fma_f64 v[193:194], v[4:5], v[18:19], v[193:194]
	v_fma_f64 v[199:200], v[2:3], v[18:19], -v[20:21]
	ds_load_b128 v[2:5], v1 offset:1056
	scratch_load_b128 v[18:21], off, off offset:480
	v_add_f64 v[195:196], v[195:196], v[189:190]
	v_add_f64 v[191:192], v[187:188], v[191:192]
	ds_load_b128 v[187:190], v1 offset:1072
	s_waitcnt vmcnt(8) lgkmcnt(1)
	v_mul_f64 v[201:202], v[2:3], v[28:29]
	v_mul_f64 v[28:29], v[4:5], v[28:29]
	v_fma_f64 v[185:186], v[185:186], v[22:23], v[197:198]
	v_fma_f64 v[183:184], v[183:184], v[22:23], -v[24:25]
	scratch_load_b128 v[22:25], off, off offset:496
	;; [unrolled: 18-line block ×4, first 2 shown]
	s_waitcnt vmcnt(8) lgkmcnt(0)
	v_mul_f64 v[195:196], v[187:188], v[8:9]
	v_mul_f64 v[8:9], v[189:190], v[8:9]
	v_add_f64 v[193:194], v[193:194], v[199:200]
	v_add_f64 v[191:192], v[191:192], v[197:198]
	v_fma_f64 v[197:198], v[4:5], v[42:43], v[201:202]
	v_fma_f64 v[199:200], v[2:3], v[42:43], -v[44:45]
	ds_load_b128 v[2:5], v1 offset:1152
	scratch_load_b128 v[42:45], off, off offset:576
	v_fma_f64 v[189:190], v[189:190], v[6:7], v[195:196]
	v_fma_f64 v[187:188], v[187:188], v[6:7], -v[8:9]
	scratch_load_b128 v[6:9], off, off offset:592
	v_add_f64 v[193:194], v[193:194], v[183:184]
	v_add_f64 v[191:192], v[191:192], v[185:186]
	ds_load_b128 v[183:186], v1 offset:1168
	s_waitcnt vmcnt(9) lgkmcnt(1)
	v_mul_f64 v[201:202], v[2:3], v[12:13]
	v_mul_f64 v[12:13], v[4:5], v[12:13]
	s_waitcnt vmcnt(8) lgkmcnt(0)
	v_mul_f64 v[195:196], v[183:184], v[16:17]
	v_mul_f64 v[16:17], v[185:186], v[16:17]
	v_add_f64 v[193:194], v[193:194], v[199:200]
	v_add_f64 v[191:192], v[191:192], v[197:198]
	v_fma_f64 v[197:198], v[4:5], v[10:11], v[201:202]
	v_fma_f64 v[199:200], v[2:3], v[10:11], -v[12:13]
	ds_load_b128 v[2:5], v1 offset:1184
	scratch_load_b128 v[10:13], off, off offset:608
	v_fma_f64 v[185:186], v[185:186], v[14:15], v[195:196]
	v_fma_f64 v[183:184], v[183:184], v[14:15], -v[16:17]
	scratch_load_b128 v[14:17], off, off offset:624
	v_add_f64 v[193:194], v[193:194], v[187:188]
	v_add_f64 v[191:192], v[191:192], v[189:190]
	ds_load_b128 v[187:190], v1 offset:1200
	s_waitcnt vmcnt(9) lgkmcnt(1)
	v_mul_f64 v[201:202], v[2:3], v[20:21]
	v_mul_f64 v[20:21], v[4:5], v[20:21]
	;; [unrolled: 18-line block ×4, first 2 shown]
	s_waitcnt vmcnt(8) lgkmcnt(0)
	v_mul_f64 v[195:196], v[187:188], v[40:41]
	v_mul_f64 v[40:41], v[189:190], v[40:41]
	v_add_f64 v[193:194], v[193:194], v[199:200]
	v_add_f64 v[191:192], v[191:192], v[197:198]
	v_fma_f64 v[197:198], v[4:5], v[34:35], v[201:202]
	v_fma_f64 v[199:200], v[2:3], v[34:35], -v[36:37]
	ds_load_b128 v[2:5], v1 offset:1280
	ds_load_b128 v[34:37], v1 offset:1296
	v_fma_f64 v[189:190], v[189:190], v[38:39], v[195:196]
	v_fma_f64 v[38:39], v[187:188], v[38:39], -v[40:41]
	v_add_f64 v[183:184], v[193:194], v[183:184]
	v_add_f64 v[185:186], v[191:192], v[185:186]
	s_waitcnt vmcnt(7) lgkmcnt(1)
	v_mul_f64 v[191:192], v[2:3], v[44:45]
	v_mul_f64 v[44:45], v[4:5], v[44:45]
	s_delay_alu instid0(VALU_DEP_4) | instskip(NEXT) | instid1(VALU_DEP_4)
	v_add_f64 v[40:41], v[183:184], v[199:200]
	v_add_f64 v[183:184], v[185:186], v[197:198]
	s_waitcnt vmcnt(6) lgkmcnt(0)
	v_mul_f64 v[185:186], v[34:35], v[8:9]
	v_mul_f64 v[8:9], v[36:37], v[8:9]
	v_fma_f64 v[187:188], v[4:5], v[42:43], v[191:192]
	v_fma_f64 v[42:43], v[2:3], v[42:43], -v[44:45]
	v_add_f64 v[44:45], v[40:41], v[38:39]
	v_add_f64 v[183:184], v[183:184], v[189:190]
	ds_load_b128 v[2:5], v1 offset:1312
	ds_load_b128 v[38:41], v1 offset:1328
	v_fma_f64 v[36:37], v[36:37], v[6:7], v[185:186]
	v_fma_f64 v[6:7], v[34:35], v[6:7], -v[8:9]
	s_waitcnt vmcnt(5) lgkmcnt(1)
	v_mul_f64 v[189:190], v[2:3], v[12:13]
	v_mul_f64 v[12:13], v[4:5], v[12:13]
	v_add_f64 v[8:9], v[44:45], v[42:43]
	v_add_f64 v[34:35], v[183:184], v[187:188]
	s_waitcnt vmcnt(4) lgkmcnt(0)
	v_mul_f64 v[42:43], v[38:39], v[16:17]
	v_mul_f64 v[16:17], v[40:41], v[16:17]
	v_fma_f64 v[44:45], v[4:5], v[10:11], v[189:190]
	v_fma_f64 v[10:11], v[2:3], v[10:11], -v[12:13]
	v_add_f64 v[12:13], v[8:9], v[6:7]
	v_add_f64 v[34:35], v[34:35], v[36:37]
	ds_load_b128 v[2:5], v1 offset:1344
	ds_load_b128 v[6:9], v1 offset:1360
	v_fma_f64 v[40:41], v[40:41], v[14:15], v[42:43]
	v_fma_f64 v[14:15], v[38:39], v[14:15], -v[16:17]
	s_waitcnt vmcnt(3) lgkmcnt(1)
	v_mul_f64 v[36:37], v[2:3], v[20:21]
	v_mul_f64 v[20:21], v[4:5], v[20:21]
	s_waitcnt vmcnt(2) lgkmcnt(0)
	v_mul_f64 v[16:17], v[6:7], v[24:25]
	v_mul_f64 v[24:25], v[8:9], v[24:25]
	v_add_f64 v[10:11], v[12:13], v[10:11]
	v_add_f64 v[12:13], v[34:35], v[44:45]
	v_fma_f64 v[34:35], v[4:5], v[18:19], v[36:37]
	v_fma_f64 v[18:19], v[2:3], v[18:19], -v[20:21]
	v_fma_f64 v[8:9], v[8:9], v[22:23], v[16:17]
	v_fma_f64 v[6:7], v[6:7], v[22:23], -v[24:25]
	v_add_f64 v[14:15], v[10:11], v[14:15]
	v_add_f64 v[20:21], v[12:13], v[40:41]
	ds_load_b128 v[2:5], v1 offset:1376
	ds_load_b128 v[10:13], v1 offset:1392
	s_waitcnt vmcnt(1) lgkmcnt(1)
	v_mul_f64 v[36:37], v[2:3], v[28:29]
	v_mul_f64 v[28:29], v[4:5], v[28:29]
	v_add_f64 v[14:15], v[14:15], v[18:19]
	v_add_f64 v[16:17], v[20:21], v[34:35]
	s_waitcnt vmcnt(0) lgkmcnt(0)
	v_mul_f64 v[18:19], v[10:11], v[32:33]
	v_mul_f64 v[20:21], v[12:13], v[32:33]
	v_fma_f64 v[4:5], v[4:5], v[26:27], v[36:37]
	v_fma_f64 v[1:2], v[2:3], v[26:27], -v[28:29]
	v_add_f64 v[6:7], v[14:15], v[6:7]
	v_add_f64 v[8:9], v[16:17], v[8:9]
	v_fma_f64 v[12:13], v[12:13], v[30:31], v[18:19]
	v_fma_f64 v[10:11], v[10:11], v[30:31], -v[20:21]
	s_delay_alu instid0(VALU_DEP_4) | instskip(NEXT) | instid1(VALU_DEP_4)
	v_add_f64 v[1:2], v[6:7], v[1:2]
	v_add_f64 v[3:4], v[8:9], v[4:5]
	s_delay_alu instid0(VALU_DEP_2) | instskip(NEXT) | instid1(VALU_DEP_2)
	v_add_f64 v[1:2], v[1:2], v[10:11]
	v_add_f64 v[3:4], v[3:4], v[12:13]
	s_delay_alu instid0(VALU_DEP_2) | instskip(NEXT) | instid1(VALU_DEP_2)
	v_add_f64 v[1:2], v[179:180], -v[1:2]
	v_add_f64 v[3:4], v[181:182], -v[3:4]
	scratch_store_b128 off, v[1:4], off offset:80
	v_cmpx_lt_u32_e32 4, v134
	s_cbranch_execz .LBB43_269
; %bb.268:
	scratch_load_b128 v[1:4], v176, off
	v_mov_b32_e32 v5, 0
	s_delay_alu instid0(VALU_DEP_1)
	v_mov_b32_e32 v6, v5
	v_mov_b32_e32 v7, v5
	;; [unrolled: 1-line block ×3, first 2 shown]
	scratch_store_b128 off, v[5:8], off offset:64
	s_waitcnt vmcnt(0)
	ds_store_b128 v178, v[1:4]
.LBB43_269:
	s_or_b32 exec_lo, exec_lo, s2
	s_waitcnt lgkmcnt(0)
	s_waitcnt_vscnt null, 0x0
	s_barrier
	buffer_gl0_inv
	s_clause 0x7
	scratch_load_b128 v[2:5], off, off offset:80
	scratch_load_b128 v[6:9], off, off offset:96
	;; [unrolled: 1-line block ×8, first 2 shown]
	v_mov_b32_e32 v1, 0
	s_mov_b32 s2, exec_lo
	ds_load_b128 v[38:41], v1 offset:784
	s_clause 0x1
	scratch_load_b128 v[34:37], off, off offset:208
	scratch_load_b128 v[42:45], off, off offset:64
	ds_load_b128 v[179:182], v1 offset:800
	scratch_load_b128 v[183:186], off, off offset:224
	s_waitcnt vmcnt(10) lgkmcnt(1)
	v_mul_f64 v[187:188], v[40:41], v[4:5]
	v_mul_f64 v[4:5], v[38:39], v[4:5]
	s_delay_alu instid0(VALU_DEP_2) | instskip(NEXT) | instid1(VALU_DEP_2)
	v_fma_f64 v[193:194], v[38:39], v[2:3], -v[187:188]
	v_fma_f64 v[195:196], v[40:41], v[2:3], v[4:5]
	scratch_load_b128 v[38:41], off, off offset:240
	ds_load_b128 v[2:5], v1 offset:816
	s_waitcnt vmcnt(10) lgkmcnt(1)
	v_mul_f64 v[191:192], v[179:180], v[8:9]
	v_mul_f64 v[8:9], v[181:182], v[8:9]
	ds_load_b128 v[187:190], v1 offset:832
	s_waitcnt vmcnt(9) lgkmcnt(1)
	v_mul_f64 v[197:198], v[2:3], v[12:13]
	v_mul_f64 v[12:13], v[4:5], v[12:13]
	v_fma_f64 v[181:182], v[181:182], v[6:7], v[191:192]
	v_fma_f64 v[179:180], v[179:180], v[6:7], -v[8:9]
	v_add_f64 v[191:192], v[193:194], 0
	v_add_f64 v[193:194], v[195:196], 0
	scratch_load_b128 v[6:9], off, off offset:256
	v_fma_f64 v[197:198], v[4:5], v[10:11], v[197:198]
	v_fma_f64 v[199:200], v[2:3], v[10:11], -v[12:13]
	scratch_load_b128 v[10:13], off, off offset:272
	ds_load_b128 v[2:5], v1 offset:848
	s_waitcnt vmcnt(10) lgkmcnt(1)
	v_mul_f64 v[195:196], v[187:188], v[16:17]
	v_mul_f64 v[16:17], v[189:190], v[16:17]
	v_add_f64 v[191:192], v[191:192], v[179:180]
	v_add_f64 v[193:194], v[193:194], v[181:182]
	s_waitcnt vmcnt(9) lgkmcnt(0)
	v_mul_f64 v[201:202], v[2:3], v[20:21]
	v_mul_f64 v[20:21], v[4:5], v[20:21]
	ds_load_b128 v[179:182], v1 offset:864
	v_fma_f64 v[189:190], v[189:190], v[14:15], v[195:196]
	v_fma_f64 v[187:188], v[187:188], v[14:15], -v[16:17]
	scratch_load_b128 v[14:17], off, off offset:288
	v_add_f64 v[191:192], v[191:192], v[199:200]
	v_add_f64 v[193:194], v[193:194], v[197:198]
	v_fma_f64 v[197:198], v[4:5], v[18:19], v[201:202]
	v_fma_f64 v[199:200], v[2:3], v[18:19], -v[20:21]
	scratch_load_b128 v[18:21], off, off offset:304
	ds_load_b128 v[2:5], v1 offset:880
	s_waitcnt vmcnt(10) lgkmcnt(1)
	v_mul_f64 v[195:196], v[179:180], v[24:25]
	v_mul_f64 v[24:25], v[181:182], v[24:25]
	s_waitcnt vmcnt(9) lgkmcnt(0)
	v_mul_f64 v[201:202], v[2:3], v[28:29]
	v_mul_f64 v[28:29], v[4:5], v[28:29]
	v_add_f64 v[191:192], v[191:192], v[187:188]
	v_add_f64 v[193:194], v[193:194], v[189:190]
	ds_load_b128 v[187:190], v1 offset:896
	v_fma_f64 v[181:182], v[181:182], v[22:23], v[195:196]
	v_fma_f64 v[179:180], v[179:180], v[22:23], -v[24:25]
	scratch_load_b128 v[22:25], off, off offset:320
	v_add_f64 v[191:192], v[191:192], v[199:200]
	v_add_f64 v[193:194], v[193:194], v[197:198]
	v_fma_f64 v[197:198], v[4:5], v[26:27], v[201:202]
	v_fma_f64 v[199:200], v[2:3], v[26:27], -v[28:29]
	scratch_load_b128 v[26:29], off, off offset:336
	ds_load_b128 v[2:5], v1 offset:912
	s_waitcnt vmcnt(10) lgkmcnt(1)
	v_mul_f64 v[195:196], v[187:188], v[32:33]
	v_mul_f64 v[32:33], v[189:190], v[32:33]
	s_waitcnt vmcnt(9) lgkmcnt(0)
	v_mul_f64 v[201:202], v[2:3], v[36:37]
	v_mul_f64 v[36:37], v[4:5], v[36:37]
	v_add_f64 v[191:192], v[191:192], v[179:180]
	v_add_f64 v[193:194], v[193:194], v[181:182]
	ds_load_b128 v[179:182], v1 offset:928
	v_fma_f64 v[189:190], v[189:190], v[30:31], v[195:196]
	v_fma_f64 v[187:188], v[187:188], v[30:31], -v[32:33]
	scratch_load_b128 v[30:33], off, off offset:352
	v_add_f64 v[191:192], v[191:192], v[199:200]
	v_add_f64 v[193:194], v[193:194], v[197:198]
	v_fma_f64 v[199:200], v[4:5], v[34:35], v[201:202]
	v_fma_f64 v[201:202], v[2:3], v[34:35], -v[36:37]
	scratch_load_b128 v[34:37], off, off offset:368
	ds_load_b128 v[2:5], v1 offset:944
	s_waitcnt vmcnt(9) lgkmcnt(1)
	v_mul_f64 v[195:196], v[179:180], v[185:186]
	v_mul_f64 v[197:198], v[181:182], v[185:186]
	v_add_f64 v[191:192], v[191:192], v[187:188]
	v_add_f64 v[189:190], v[193:194], v[189:190]
	ds_load_b128 v[185:188], v1 offset:960
	v_fma_f64 v[195:196], v[181:182], v[183:184], v[195:196]
	v_fma_f64 v[183:184], v[179:180], v[183:184], -v[197:198]
	scratch_load_b128 v[179:182], off, off offset:384
	s_waitcnt vmcnt(9) lgkmcnt(1)
	v_mul_f64 v[193:194], v[2:3], v[40:41]
	v_mul_f64 v[40:41], v[4:5], v[40:41]
	v_add_f64 v[191:192], v[191:192], v[201:202]
	v_add_f64 v[189:190], v[189:190], v[199:200]
	s_delay_alu instid0(VALU_DEP_4) | instskip(NEXT) | instid1(VALU_DEP_4)
	v_fma_f64 v[193:194], v[4:5], v[38:39], v[193:194]
	v_fma_f64 v[199:200], v[2:3], v[38:39], -v[40:41]
	scratch_load_b128 v[38:41], off, off offset:400
	ds_load_b128 v[2:5], v1 offset:976
	s_waitcnt vmcnt(9) lgkmcnt(1)
	v_mul_f64 v[197:198], v[185:186], v[8:9]
	v_mul_f64 v[8:9], v[187:188], v[8:9]
	s_waitcnt vmcnt(8) lgkmcnt(0)
	v_mul_f64 v[201:202], v[2:3], v[12:13]
	v_mul_f64 v[12:13], v[4:5], v[12:13]
	v_add_f64 v[183:184], v[191:192], v[183:184]
	v_add_f64 v[195:196], v[189:190], v[195:196]
	ds_load_b128 v[189:192], v1 offset:992
	v_fma_f64 v[187:188], v[187:188], v[6:7], v[197:198]
	v_fma_f64 v[185:186], v[185:186], v[6:7], -v[8:9]
	scratch_load_b128 v[6:9], off, off offset:416
	v_fma_f64 v[197:198], v[4:5], v[10:11], v[201:202]
	v_add_f64 v[183:184], v[183:184], v[199:200]
	v_add_f64 v[193:194], v[195:196], v[193:194]
	v_fma_f64 v[199:200], v[2:3], v[10:11], -v[12:13]
	scratch_load_b128 v[10:13], off, off offset:432
	ds_load_b128 v[2:5], v1 offset:1008
	s_waitcnt vmcnt(9) lgkmcnt(1)
	v_mul_f64 v[195:196], v[189:190], v[16:17]
	v_mul_f64 v[16:17], v[191:192], v[16:17]
	v_add_f64 v[201:202], v[183:184], v[185:186]
	v_add_f64 v[187:188], v[193:194], v[187:188]
	s_waitcnt vmcnt(8) lgkmcnt(0)
	v_mul_f64 v[193:194], v[2:3], v[20:21]
	v_mul_f64 v[20:21], v[4:5], v[20:21]
	ds_load_b128 v[183:186], v1 offset:1024
	v_fma_f64 v[191:192], v[191:192], v[14:15], v[195:196]
	v_fma_f64 v[189:190], v[189:190], v[14:15], -v[16:17]
	scratch_load_b128 v[14:17], off, off offset:448
	v_add_f64 v[195:196], v[201:202], v[199:200]
	v_add_f64 v[187:188], v[187:188], v[197:198]
	v_fma_f64 v[193:194], v[4:5], v[18:19], v[193:194]
	v_fma_f64 v[199:200], v[2:3], v[18:19], -v[20:21]
	scratch_load_b128 v[18:21], off, off offset:464
	ds_load_b128 v[2:5], v1 offset:1040
	s_waitcnt vmcnt(9) lgkmcnt(1)
	v_mul_f64 v[197:198], v[183:184], v[24:25]
	v_mul_f64 v[24:25], v[185:186], v[24:25]
	s_waitcnt vmcnt(8) lgkmcnt(0)
	v_mul_f64 v[201:202], v[2:3], v[28:29]
	v_mul_f64 v[28:29], v[4:5], v[28:29]
	v_add_f64 v[195:196], v[195:196], v[189:190]
	v_add_f64 v[191:192], v[187:188], v[191:192]
	ds_load_b128 v[187:190], v1 offset:1056
	v_fma_f64 v[185:186], v[185:186], v[22:23], v[197:198]
	v_fma_f64 v[183:184], v[183:184], v[22:23], -v[24:25]
	scratch_load_b128 v[22:25], off, off offset:480
	v_fma_f64 v[197:198], v[4:5], v[26:27], v[201:202]
	v_add_f64 v[195:196], v[195:196], v[199:200]
	v_add_f64 v[191:192], v[191:192], v[193:194]
	v_fma_f64 v[199:200], v[2:3], v[26:27], -v[28:29]
	scratch_load_b128 v[26:29], off, off offset:496
	ds_load_b128 v[2:5], v1 offset:1072
	s_waitcnt vmcnt(9) lgkmcnt(1)
	v_mul_f64 v[193:194], v[187:188], v[32:33]
	v_mul_f64 v[32:33], v[189:190], v[32:33]
	s_waitcnt vmcnt(8) lgkmcnt(0)
	v_mul_f64 v[201:202], v[2:3], v[36:37]
	v_mul_f64 v[36:37], v[4:5], v[36:37]
	v_add_f64 v[195:196], v[195:196], v[183:184]
	v_add_f64 v[191:192], v[191:192], v[185:186]
	ds_load_b128 v[183:186], v1 offset:1088
	v_fma_f64 v[189:190], v[189:190], v[30:31], v[193:194]
	v_fma_f64 v[187:188], v[187:188], v[30:31], -v[32:33]
	scratch_load_b128 v[30:33], off, off offset:512
	v_add_f64 v[193:194], v[195:196], v[199:200]
	v_add_f64 v[191:192], v[191:192], v[197:198]
	v_fma_f64 v[197:198], v[4:5], v[34:35], v[201:202]
	v_fma_f64 v[199:200], v[2:3], v[34:35], -v[36:37]
	scratch_load_b128 v[34:37], off, off offset:528
	ds_load_b128 v[2:5], v1 offset:1104
	s_waitcnt vmcnt(9) lgkmcnt(1)
	v_mul_f64 v[195:196], v[183:184], v[181:182]
	v_mul_f64 v[181:182], v[185:186], v[181:182]
	s_waitcnt vmcnt(8) lgkmcnt(0)
	v_mul_f64 v[201:202], v[2:3], v[40:41]
	v_mul_f64 v[40:41], v[4:5], v[40:41]
	v_add_f64 v[193:194], v[193:194], v[187:188]
	v_add_f64 v[191:192], v[191:192], v[189:190]
	ds_load_b128 v[187:190], v1 offset:1120
	v_fma_f64 v[185:186], v[185:186], v[179:180], v[195:196]
	v_fma_f64 v[183:184], v[183:184], v[179:180], -v[181:182]
	scratch_load_b128 v[179:182], off, off offset:544
	v_add_f64 v[193:194], v[193:194], v[199:200]
	v_add_f64 v[191:192], v[191:192], v[197:198]
	v_fma_f64 v[197:198], v[4:5], v[38:39], v[201:202]
	v_fma_f64 v[199:200], v[2:3], v[38:39], -v[40:41]
	scratch_load_b128 v[38:41], off, off offset:560
	ds_load_b128 v[2:5], v1 offset:1136
	s_waitcnt vmcnt(9) lgkmcnt(1)
	v_mul_f64 v[195:196], v[187:188], v[8:9]
	v_mul_f64 v[8:9], v[189:190], v[8:9]
	s_waitcnt vmcnt(8) lgkmcnt(0)
	v_mul_f64 v[201:202], v[2:3], v[12:13]
	v_mul_f64 v[12:13], v[4:5], v[12:13]
	v_add_f64 v[193:194], v[193:194], v[183:184]
	v_add_f64 v[191:192], v[191:192], v[185:186]
	ds_load_b128 v[183:186], v1 offset:1152
	v_fma_f64 v[189:190], v[189:190], v[6:7], v[195:196]
	v_fma_f64 v[187:188], v[187:188], v[6:7], -v[8:9]
	scratch_load_b128 v[6:9], off, off offset:576
	v_add_f64 v[193:194], v[193:194], v[199:200]
	v_add_f64 v[191:192], v[191:192], v[197:198]
	v_fma_f64 v[197:198], v[4:5], v[10:11], v[201:202]
	v_fma_f64 v[199:200], v[2:3], v[10:11], -v[12:13]
	scratch_load_b128 v[10:13], off, off offset:592
	ds_load_b128 v[2:5], v1 offset:1168
	s_waitcnt vmcnt(9) lgkmcnt(1)
	v_mul_f64 v[195:196], v[183:184], v[16:17]
	v_mul_f64 v[16:17], v[185:186], v[16:17]
	s_waitcnt vmcnt(8) lgkmcnt(0)
	v_mul_f64 v[201:202], v[2:3], v[20:21]
	v_mul_f64 v[20:21], v[4:5], v[20:21]
	v_add_f64 v[193:194], v[193:194], v[187:188]
	v_add_f64 v[191:192], v[191:192], v[189:190]
	ds_load_b128 v[187:190], v1 offset:1184
	v_fma_f64 v[185:186], v[185:186], v[14:15], v[195:196]
	v_fma_f64 v[183:184], v[183:184], v[14:15], -v[16:17]
	scratch_load_b128 v[14:17], off, off offset:608
	v_add_f64 v[193:194], v[193:194], v[199:200]
	v_add_f64 v[191:192], v[191:192], v[197:198]
	v_fma_f64 v[197:198], v[4:5], v[18:19], v[201:202]
	v_fma_f64 v[199:200], v[2:3], v[18:19], -v[20:21]
	scratch_load_b128 v[18:21], off, off offset:624
	ds_load_b128 v[2:5], v1 offset:1200
	s_waitcnt vmcnt(9) lgkmcnt(1)
	v_mul_f64 v[195:196], v[187:188], v[24:25]
	v_mul_f64 v[24:25], v[189:190], v[24:25]
	s_waitcnt vmcnt(8) lgkmcnt(0)
	v_mul_f64 v[201:202], v[2:3], v[28:29]
	v_mul_f64 v[28:29], v[4:5], v[28:29]
	v_add_f64 v[193:194], v[193:194], v[183:184]
	v_add_f64 v[191:192], v[191:192], v[185:186]
	ds_load_b128 v[183:186], v1 offset:1216
	v_fma_f64 v[189:190], v[189:190], v[22:23], v[195:196]
	v_fma_f64 v[187:188], v[187:188], v[22:23], -v[24:25]
	scratch_load_b128 v[22:25], off, off offset:640
	v_add_f64 v[193:194], v[193:194], v[199:200]
	v_add_f64 v[191:192], v[191:192], v[197:198]
	v_fma_f64 v[197:198], v[4:5], v[26:27], v[201:202]
	v_fma_f64 v[199:200], v[2:3], v[26:27], -v[28:29]
	scratch_load_b128 v[26:29], off, off offset:656
	ds_load_b128 v[2:5], v1 offset:1232
	s_waitcnt vmcnt(9) lgkmcnt(1)
	v_mul_f64 v[195:196], v[183:184], v[32:33]
	v_mul_f64 v[32:33], v[185:186], v[32:33]
	s_waitcnt vmcnt(8) lgkmcnt(0)
	v_mul_f64 v[201:202], v[2:3], v[36:37]
	v_mul_f64 v[36:37], v[4:5], v[36:37]
	v_add_f64 v[193:194], v[193:194], v[187:188]
	v_add_f64 v[191:192], v[191:192], v[189:190]
	ds_load_b128 v[187:190], v1 offset:1248
	v_fma_f64 v[185:186], v[185:186], v[30:31], v[195:196]
	v_fma_f64 v[183:184], v[183:184], v[30:31], -v[32:33]
	scratch_load_b128 v[30:33], off, off offset:672
	v_add_f64 v[193:194], v[193:194], v[199:200]
	v_add_f64 v[191:192], v[191:192], v[197:198]
	v_fma_f64 v[199:200], v[4:5], v[34:35], v[201:202]
	v_fma_f64 v[201:202], v[2:3], v[34:35], -v[36:37]
	scratch_load_b128 v[34:37], off, off offset:688
	ds_load_b128 v[2:5], v1 offset:1264
	s_waitcnt vmcnt(9) lgkmcnt(1)
	v_mul_f64 v[195:196], v[187:188], v[181:182]
	v_mul_f64 v[197:198], v[189:190], v[181:182]
	v_add_f64 v[193:194], v[193:194], v[183:184]
	v_add_f64 v[185:186], v[191:192], v[185:186]
	s_waitcnt vmcnt(8) lgkmcnt(0)
	v_mul_f64 v[191:192], v[2:3], v[40:41]
	v_mul_f64 v[40:41], v[4:5], v[40:41]
	ds_load_b128 v[181:184], v1 offset:1280
	v_fma_f64 v[189:190], v[189:190], v[179:180], v[195:196]
	v_fma_f64 v[179:180], v[187:188], v[179:180], -v[197:198]
	v_add_f64 v[187:188], v[193:194], v[201:202]
	v_add_f64 v[185:186], v[185:186], v[199:200]
	s_waitcnt vmcnt(7) lgkmcnt(0)
	v_mul_f64 v[193:194], v[181:182], v[8:9]
	v_mul_f64 v[8:9], v[183:184], v[8:9]
	v_fma_f64 v[191:192], v[4:5], v[38:39], v[191:192]
	v_fma_f64 v[195:196], v[2:3], v[38:39], -v[40:41]
	ds_load_b128 v[2:5], v1 offset:1296
	ds_load_b128 v[38:41], v1 offset:1312
	v_add_f64 v[179:180], v[187:188], v[179:180]
	v_add_f64 v[185:186], v[185:186], v[189:190]
	s_waitcnt vmcnt(6) lgkmcnt(1)
	v_mul_f64 v[187:188], v[2:3], v[12:13]
	v_mul_f64 v[12:13], v[4:5], v[12:13]
	v_fma_f64 v[183:184], v[183:184], v[6:7], v[193:194]
	v_fma_f64 v[6:7], v[181:182], v[6:7], -v[8:9]
	s_waitcnt vmcnt(5) lgkmcnt(0)
	v_mul_f64 v[181:182], v[38:39], v[16:17]
	v_mul_f64 v[16:17], v[40:41], v[16:17]
	v_add_f64 v[8:9], v[179:180], v[195:196]
	v_add_f64 v[179:180], v[185:186], v[191:192]
	v_fma_f64 v[185:186], v[4:5], v[10:11], v[187:188]
	v_fma_f64 v[10:11], v[2:3], v[10:11], -v[12:13]
	v_fma_f64 v[40:41], v[40:41], v[14:15], v[181:182]
	v_fma_f64 v[14:15], v[38:39], v[14:15], -v[16:17]
	v_add_f64 v[12:13], v[8:9], v[6:7]
	v_add_f64 v[179:180], v[179:180], v[183:184]
	ds_load_b128 v[2:5], v1 offset:1328
	ds_load_b128 v[6:9], v1 offset:1344
	s_waitcnt vmcnt(4) lgkmcnt(1)
	v_mul_f64 v[183:184], v[2:3], v[20:21]
	v_mul_f64 v[20:21], v[4:5], v[20:21]
	s_waitcnt vmcnt(3) lgkmcnt(0)
	v_mul_f64 v[16:17], v[6:7], v[24:25]
	v_mul_f64 v[24:25], v[8:9], v[24:25]
	v_add_f64 v[10:11], v[12:13], v[10:11]
	v_add_f64 v[12:13], v[179:180], v[185:186]
	v_fma_f64 v[38:39], v[4:5], v[18:19], v[183:184]
	v_fma_f64 v[18:19], v[2:3], v[18:19], -v[20:21]
	v_fma_f64 v[8:9], v[8:9], v[22:23], v[16:17]
	v_fma_f64 v[6:7], v[6:7], v[22:23], -v[24:25]
	v_add_f64 v[14:15], v[10:11], v[14:15]
	v_add_f64 v[20:21], v[12:13], v[40:41]
	ds_load_b128 v[2:5], v1 offset:1360
	ds_load_b128 v[10:13], v1 offset:1376
	s_waitcnt vmcnt(2) lgkmcnt(1)
	v_mul_f64 v[40:41], v[2:3], v[28:29]
	v_mul_f64 v[28:29], v[4:5], v[28:29]
	v_add_f64 v[14:15], v[14:15], v[18:19]
	v_add_f64 v[16:17], v[20:21], v[38:39]
	s_waitcnt vmcnt(1) lgkmcnt(0)
	v_mul_f64 v[18:19], v[10:11], v[32:33]
	v_mul_f64 v[20:21], v[12:13], v[32:33]
	v_fma_f64 v[22:23], v[4:5], v[26:27], v[40:41]
	v_fma_f64 v[24:25], v[2:3], v[26:27], -v[28:29]
	ds_load_b128 v[2:5], v1 offset:1392
	v_add_f64 v[6:7], v[14:15], v[6:7]
	v_add_f64 v[8:9], v[16:17], v[8:9]
	v_fma_f64 v[12:13], v[12:13], v[30:31], v[18:19]
	v_fma_f64 v[10:11], v[10:11], v[30:31], -v[20:21]
	s_waitcnt vmcnt(0) lgkmcnt(0)
	v_mul_f64 v[14:15], v[2:3], v[36:37]
	v_mul_f64 v[16:17], v[4:5], v[36:37]
	v_add_f64 v[6:7], v[6:7], v[24:25]
	v_add_f64 v[8:9], v[8:9], v[22:23]
	s_delay_alu instid0(VALU_DEP_4) | instskip(NEXT) | instid1(VALU_DEP_4)
	v_fma_f64 v[4:5], v[4:5], v[34:35], v[14:15]
	v_fma_f64 v[2:3], v[2:3], v[34:35], -v[16:17]
	s_delay_alu instid0(VALU_DEP_4) | instskip(NEXT) | instid1(VALU_DEP_4)
	v_add_f64 v[6:7], v[6:7], v[10:11]
	v_add_f64 v[8:9], v[8:9], v[12:13]
	s_delay_alu instid0(VALU_DEP_2) | instskip(NEXT) | instid1(VALU_DEP_2)
	v_add_f64 v[2:3], v[6:7], v[2:3]
	v_add_f64 v[4:5], v[8:9], v[4:5]
	s_delay_alu instid0(VALU_DEP_2) | instskip(NEXT) | instid1(VALU_DEP_2)
	v_add_f64 v[2:3], v[42:43], -v[2:3]
	v_add_f64 v[4:5], v[44:45], -v[4:5]
	scratch_store_b128 off, v[2:5], off offset:64
	v_cmpx_lt_u32_e32 3, v134
	s_cbranch_execz .LBB43_271
; %bb.270:
	scratch_load_b128 v[5:8], v177, off
	v_mov_b32_e32 v2, v1
	v_mov_b32_e32 v3, v1
	;; [unrolled: 1-line block ×3, first 2 shown]
	scratch_store_b128 off, v[1:4], off offset:48
	s_waitcnt vmcnt(0)
	ds_store_b128 v178, v[5:8]
.LBB43_271:
	s_or_b32 exec_lo, exec_lo, s2
	s_waitcnt lgkmcnt(0)
	s_waitcnt_vscnt null, 0x0
	s_barrier
	buffer_gl0_inv
	s_clause 0x8
	scratch_load_b128 v[2:5], off, off offset:64
	scratch_load_b128 v[6:9], off, off offset:80
	;; [unrolled: 1-line block ×9, first 2 shown]
	ds_load_b128 v[42:45], v1 offset:768
	ds_load_b128 v[38:41], v1 offset:784
	s_clause 0x1
	scratch_load_b128 v[179:182], off, off offset:48
	scratch_load_b128 v[183:186], off, off offset:208
	s_mov_b32 s2, exec_lo
	s_waitcnt vmcnt(10) lgkmcnt(1)
	v_mul_f64 v[187:188], v[44:45], v[4:5]
	v_mul_f64 v[4:5], v[42:43], v[4:5]
	s_waitcnt vmcnt(9) lgkmcnt(0)
	v_mul_f64 v[191:192], v[38:39], v[8:9]
	v_mul_f64 v[8:9], v[40:41], v[8:9]
	s_delay_alu instid0(VALU_DEP_4) | instskip(NEXT) | instid1(VALU_DEP_4)
	v_fma_f64 v[193:194], v[42:43], v[2:3], -v[187:188]
	v_fma_f64 v[195:196], v[44:45], v[2:3], v[4:5]
	ds_load_b128 v[2:5], v1 offset:800
	ds_load_b128 v[187:190], v1 offset:816
	scratch_load_b128 v[42:45], off, off offset:224
	v_fma_f64 v[40:41], v[40:41], v[6:7], v[191:192]
	v_fma_f64 v[38:39], v[38:39], v[6:7], -v[8:9]
	scratch_load_b128 v[6:9], off, off offset:240
	s_waitcnt vmcnt(10) lgkmcnt(1)
	v_mul_f64 v[197:198], v[2:3], v[12:13]
	v_mul_f64 v[12:13], v[4:5], v[12:13]
	v_add_f64 v[191:192], v[193:194], 0
	v_add_f64 v[193:194], v[195:196], 0
	s_waitcnt vmcnt(9) lgkmcnt(0)
	v_mul_f64 v[195:196], v[187:188], v[16:17]
	v_mul_f64 v[16:17], v[189:190], v[16:17]
	v_fma_f64 v[197:198], v[4:5], v[10:11], v[197:198]
	v_fma_f64 v[199:200], v[2:3], v[10:11], -v[12:13]
	ds_load_b128 v[2:5], v1 offset:832
	scratch_load_b128 v[10:13], off, off offset:256
	v_add_f64 v[191:192], v[191:192], v[38:39]
	v_add_f64 v[193:194], v[193:194], v[40:41]
	ds_load_b128 v[38:41], v1 offset:848
	v_fma_f64 v[189:190], v[189:190], v[14:15], v[195:196]
	v_fma_f64 v[187:188], v[187:188], v[14:15], -v[16:17]
	scratch_load_b128 v[14:17], off, off offset:272
	s_waitcnt vmcnt(10) lgkmcnt(1)
	v_mul_f64 v[201:202], v[2:3], v[20:21]
	v_mul_f64 v[20:21], v[4:5], v[20:21]
	s_waitcnt vmcnt(9) lgkmcnt(0)
	v_mul_f64 v[195:196], v[38:39], v[24:25]
	v_mul_f64 v[24:25], v[40:41], v[24:25]
	v_add_f64 v[191:192], v[191:192], v[199:200]
	v_add_f64 v[193:194], v[193:194], v[197:198]
	v_fma_f64 v[197:198], v[4:5], v[18:19], v[201:202]
	v_fma_f64 v[199:200], v[2:3], v[18:19], -v[20:21]
	ds_load_b128 v[2:5], v1 offset:864
	scratch_load_b128 v[18:21], off, off offset:288
	v_fma_f64 v[40:41], v[40:41], v[22:23], v[195:196]
	v_fma_f64 v[38:39], v[38:39], v[22:23], -v[24:25]
	scratch_load_b128 v[22:25], off, off offset:304
	v_add_f64 v[191:192], v[191:192], v[187:188]
	v_add_f64 v[193:194], v[193:194], v[189:190]
	ds_load_b128 v[187:190], v1 offset:880
	s_waitcnt vmcnt(10) lgkmcnt(1)
	v_mul_f64 v[201:202], v[2:3], v[28:29]
	v_mul_f64 v[28:29], v[4:5], v[28:29]
	s_waitcnt vmcnt(9) lgkmcnt(0)
	v_mul_f64 v[195:196], v[187:188], v[32:33]
	v_mul_f64 v[32:33], v[189:190], v[32:33]
	v_add_f64 v[191:192], v[191:192], v[199:200]
	v_add_f64 v[193:194], v[193:194], v[197:198]
	v_fma_f64 v[197:198], v[4:5], v[26:27], v[201:202]
	v_fma_f64 v[199:200], v[2:3], v[26:27], -v[28:29]
	ds_load_b128 v[2:5], v1 offset:896
	scratch_load_b128 v[26:29], off, off offset:320
	v_fma_f64 v[189:190], v[189:190], v[30:31], v[195:196]
	v_fma_f64 v[187:188], v[187:188], v[30:31], -v[32:33]
	scratch_load_b128 v[30:33], off, off offset:336
	v_add_f64 v[191:192], v[191:192], v[38:39]
	v_add_f64 v[193:194], v[193:194], v[40:41]
	ds_load_b128 v[38:41], v1 offset:912
	s_waitcnt vmcnt(10) lgkmcnt(1)
	v_mul_f64 v[201:202], v[2:3], v[36:37]
	v_mul_f64 v[36:37], v[4:5], v[36:37]
	s_waitcnt vmcnt(8) lgkmcnt(0)
	v_mul_f64 v[195:196], v[38:39], v[185:186]
	v_add_f64 v[191:192], v[191:192], v[199:200]
	v_add_f64 v[193:194], v[193:194], v[197:198]
	v_mul_f64 v[197:198], v[40:41], v[185:186]
	v_fma_f64 v[199:200], v[4:5], v[34:35], v[201:202]
	v_fma_f64 v[201:202], v[2:3], v[34:35], -v[36:37]
	ds_load_b128 v[2:5], v1 offset:928
	scratch_load_b128 v[34:37], off, off offset:352
	v_fma_f64 v[195:196], v[40:41], v[183:184], v[195:196]
	v_add_f64 v[191:192], v[191:192], v[187:188]
	v_add_f64 v[189:190], v[193:194], v[189:190]
	ds_load_b128 v[185:188], v1 offset:944
	v_fma_f64 v[183:184], v[38:39], v[183:184], -v[197:198]
	scratch_load_b128 v[38:41], off, off offset:368
	s_waitcnt vmcnt(9) lgkmcnt(1)
	v_mul_f64 v[193:194], v[2:3], v[44:45]
	v_mul_f64 v[44:45], v[4:5], v[44:45]
	s_waitcnt vmcnt(8) lgkmcnt(0)
	v_mul_f64 v[197:198], v[185:186], v[8:9]
	v_mul_f64 v[8:9], v[187:188], v[8:9]
	v_add_f64 v[191:192], v[191:192], v[201:202]
	v_add_f64 v[189:190], v[189:190], v[199:200]
	v_fma_f64 v[193:194], v[4:5], v[42:43], v[193:194]
	v_fma_f64 v[199:200], v[2:3], v[42:43], -v[44:45]
	ds_load_b128 v[2:5], v1 offset:960
	scratch_load_b128 v[42:45], off, off offset:384
	v_fma_f64 v[187:188], v[187:188], v[6:7], v[197:198]
	v_fma_f64 v[185:186], v[185:186], v[6:7], -v[8:9]
	scratch_load_b128 v[6:9], off, off offset:400
	v_add_f64 v[183:184], v[191:192], v[183:184]
	v_add_f64 v[195:196], v[189:190], v[195:196]
	ds_load_b128 v[189:192], v1 offset:976
	s_waitcnt vmcnt(9) lgkmcnt(1)
	v_mul_f64 v[201:202], v[2:3], v[12:13]
	v_mul_f64 v[12:13], v[4:5], v[12:13]
	v_add_f64 v[183:184], v[183:184], v[199:200]
	v_add_f64 v[193:194], v[195:196], v[193:194]
	s_waitcnt vmcnt(8) lgkmcnt(0)
	v_mul_f64 v[195:196], v[189:190], v[16:17]
	v_mul_f64 v[16:17], v[191:192], v[16:17]
	v_fma_f64 v[197:198], v[4:5], v[10:11], v[201:202]
	v_fma_f64 v[199:200], v[2:3], v[10:11], -v[12:13]
	ds_load_b128 v[2:5], v1 offset:992
	scratch_load_b128 v[10:13], off, off offset:416
	v_add_f64 v[201:202], v[183:184], v[185:186]
	v_add_f64 v[187:188], v[193:194], v[187:188]
	ds_load_b128 v[183:186], v1 offset:1008
	s_waitcnt vmcnt(8) lgkmcnt(1)
	v_mul_f64 v[193:194], v[2:3], v[20:21]
	v_mul_f64 v[20:21], v[4:5], v[20:21]
	v_fma_f64 v[191:192], v[191:192], v[14:15], v[195:196]
	v_fma_f64 v[189:190], v[189:190], v[14:15], -v[16:17]
	scratch_load_b128 v[14:17], off, off offset:432
	v_add_f64 v[195:196], v[201:202], v[199:200]
	v_add_f64 v[187:188], v[187:188], v[197:198]
	s_waitcnt vmcnt(8) lgkmcnt(0)
	v_mul_f64 v[197:198], v[183:184], v[24:25]
	v_mul_f64 v[24:25], v[185:186], v[24:25]
	v_fma_f64 v[193:194], v[4:5], v[18:19], v[193:194]
	v_fma_f64 v[199:200], v[2:3], v[18:19], -v[20:21]
	ds_load_b128 v[2:5], v1 offset:1024
	scratch_load_b128 v[18:21], off, off offset:448
	v_add_f64 v[195:196], v[195:196], v[189:190]
	v_add_f64 v[191:192], v[187:188], v[191:192]
	ds_load_b128 v[187:190], v1 offset:1040
	s_waitcnt vmcnt(8) lgkmcnt(1)
	v_mul_f64 v[201:202], v[2:3], v[28:29]
	v_mul_f64 v[28:29], v[4:5], v[28:29]
	v_fma_f64 v[185:186], v[185:186], v[22:23], v[197:198]
	v_fma_f64 v[183:184], v[183:184], v[22:23], -v[24:25]
	scratch_load_b128 v[22:25], off, off offset:464
	;; [unrolled: 18-line block ×4, first 2 shown]
	s_waitcnt vmcnt(8) lgkmcnt(0)
	v_mul_f64 v[195:196], v[187:188], v[8:9]
	v_mul_f64 v[8:9], v[189:190], v[8:9]
	v_add_f64 v[193:194], v[193:194], v[199:200]
	v_add_f64 v[191:192], v[191:192], v[197:198]
	v_fma_f64 v[197:198], v[4:5], v[42:43], v[201:202]
	v_fma_f64 v[199:200], v[2:3], v[42:43], -v[44:45]
	ds_load_b128 v[2:5], v1 offset:1120
	scratch_load_b128 v[42:45], off, off offset:544
	v_fma_f64 v[189:190], v[189:190], v[6:7], v[195:196]
	v_fma_f64 v[187:188], v[187:188], v[6:7], -v[8:9]
	scratch_load_b128 v[6:9], off, off offset:560
	v_add_f64 v[193:194], v[193:194], v[183:184]
	v_add_f64 v[191:192], v[191:192], v[185:186]
	ds_load_b128 v[183:186], v1 offset:1136
	s_waitcnt vmcnt(9) lgkmcnt(1)
	v_mul_f64 v[201:202], v[2:3], v[12:13]
	v_mul_f64 v[12:13], v[4:5], v[12:13]
	s_waitcnt vmcnt(8) lgkmcnt(0)
	v_mul_f64 v[195:196], v[183:184], v[16:17]
	v_mul_f64 v[16:17], v[185:186], v[16:17]
	v_add_f64 v[193:194], v[193:194], v[199:200]
	v_add_f64 v[191:192], v[191:192], v[197:198]
	v_fma_f64 v[197:198], v[4:5], v[10:11], v[201:202]
	v_fma_f64 v[199:200], v[2:3], v[10:11], -v[12:13]
	ds_load_b128 v[2:5], v1 offset:1152
	scratch_load_b128 v[10:13], off, off offset:576
	v_fma_f64 v[185:186], v[185:186], v[14:15], v[195:196]
	v_fma_f64 v[183:184], v[183:184], v[14:15], -v[16:17]
	scratch_load_b128 v[14:17], off, off offset:592
	v_add_f64 v[193:194], v[193:194], v[187:188]
	v_add_f64 v[191:192], v[191:192], v[189:190]
	ds_load_b128 v[187:190], v1 offset:1168
	s_waitcnt vmcnt(9) lgkmcnt(1)
	v_mul_f64 v[201:202], v[2:3], v[20:21]
	v_mul_f64 v[20:21], v[4:5], v[20:21]
	;; [unrolled: 18-line block ×5, first 2 shown]
	s_waitcnt vmcnt(8) lgkmcnt(0)
	v_mul_f64 v[195:196], v[183:184], v[8:9]
	v_mul_f64 v[8:9], v[185:186], v[8:9]
	v_add_f64 v[193:194], v[193:194], v[199:200]
	v_add_f64 v[191:192], v[191:192], v[197:198]
	v_fma_f64 v[197:198], v[4:5], v[42:43], v[201:202]
	v_fma_f64 v[199:200], v[2:3], v[42:43], -v[44:45]
	ds_load_b128 v[2:5], v1 offset:1280
	ds_load_b128 v[42:45], v1 offset:1296
	v_fma_f64 v[185:186], v[185:186], v[6:7], v[195:196]
	v_fma_f64 v[6:7], v[183:184], v[6:7], -v[8:9]
	v_add_f64 v[187:188], v[193:194], v[187:188]
	v_add_f64 v[189:190], v[191:192], v[189:190]
	s_waitcnt vmcnt(7) lgkmcnt(1)
	v_mul_f64 v[191:192], v[2:3], v[12:13]
	v_mul_f64 v[12:13], v[4:5], v[12:13]
	s_delay_alu instid0(VALU_DEP_4) | instskip(NEXT) | instid1(VALU_DEP_4)
	v_add_f64 v[8:9], v[187:188], v[199:200]
	v_add_f64 v[183:184], v[189:190], v[197:198]
	s_waitcnt vmcnt(6) lgkmcnt(0)
	v_mul_f64 v[187:188], v[42:43], v[16:17]
	v_mul_f64 v[16:17], v[44:45], v[16:17]
	v_fma_f64 v[189:190], v[4:5], v[10:11], v[191:192]
	v_fma_f64 v[10:11], v[2:3], v[10:11], -v[12:13]
	v_add_f64 v[12:13], v[8:9], v[6:7]
	v_add_f64 v[183:184], v[183:184], v[185:186]
	ds_load_b128 v[2:5], v1 offset:1312
	ds_load_b128 v[6:9], v1 offset:1328
	v_fma_f64 v[44:45], v[44:45], v[14:15], v[187:188]
	v_fma_f64 v[14:15], v[42:43], v[14:15], -v[16:17]
	s_waitcnt vmcnt(5) lgkmcnt(1)
	v_mul_f64 v[185:186], v[2:3], v[20:21]
	v_mul_f64 v[20:21], v[4:5], v[20:21]
	s_waitcnt vmcnt(4) lgkmcnt(0)
	v_mul_f64 v[16:17], v[6:7], v[24:25]
	v_mul_f64 v[24:25], v[8:9], v[24:25]
	v_add_f64 v[10:11], v[12:13], v[10:11]
	v_add_f64 v[12:13], v[183:184], v[189:190]
	v_fma_f64 v[42:43], v[4:5], v[18:19], v[185:186]
	v_fma_f64 v[18:19], v[2:3], v[18:19], -v[20:21]
	v_fma_f64 v[8:9], v[8:9], v[22:23], v[16:17]
	v_fma_f64 v[6:7], v[6:7], v[22:23], -v[24:25]
	v_add_f64 v[14:15], v[10:11], v[14:15]
	v_add_f64 v[20:21], v[12:13], v[44:45]
	ds_load_b128 v[2:5], v1 offset:1344
	ds_load_b128 v[10:13], v1 offset:1360
	s_waitcnt vmcnt(3) lgkmcnt(1)
	v_mul_f64 v[44:45], v[2:3], v[28:29]
	v_mul_f64 v[28:29], v[4:5], v[28:29]
	v_add_f64 v[14:15], v[14:15], v[18:19]
	v_add_f64 v[16:17], v[20:21], v[42:43]
	s_waitcnt vmcnt(2) lgkmcnt(0)
	v_mul_f64 v[18:19], v[10:11], v[32:33]
	v_mul_f64 v[20:21], v[12:13], v[32:33]
	v_fma_f64 v[22:23], v[4:5], v[26:27], v[44:45]
	v_fma_f64 v[24:25], v[2:3], v[26:27], -v[28:29]
	v_add_f64 v[14:15], v[14:15], v[6:7]
	v_add_f64 v[16:17], v[16:17], v[8:9]
	ds_load_b128 v[2:5], v1 offset:1376
	ds_load_b128 v[6:9], v1 offset:1392
	v_fma_f64 v[12:13], v[12:13], v[30:31], v[18:19]
	v_fma_f64 v[10:11], v[10:11], v[30:31], -v[20:21]
	s_waitcnt vmcnt(1) lgkmcnt(1)
	v_mul_f64 v[26:27], v[2:3], v[36:37]
	v_mul_f64 v[28:29], v[4:5], v[36:37]
	s_waitcnt vmcnt(0) lgkmcnt(0)
	v_mul_f64 v[18:19], v[6:7], v[40:41]
	v_mul_f64 v[20:21], v[8:9], v[40:41]
	v_add_f64 v[14:15], v[14:15], v[24:25]
	v_add_f64 v[16:17], v[16:17], v[22:23]
	v_fma_f64 v[4:5], v[4:5], v[34:35], v[26:27]
	v_fma_f64 v[1:2], v[2:3], v[34:35], -v[28:29]
	v_fma_f64 v[8:9], v[8:9], v[38:39], v[18:19]
	v_fma_f64 v[6:7], v[6:7], v[38:39], -v[20:21]
	v_add_f64 v[10:11], v[14:15], v[10:11]
	v_add_f64 v[12:13], v[16:17], v[12:13]
	s_delay_alu instid0(VALU_DEP_2) | instskip(NEXT) | instid1(VALU_DEP_2)
	v_add_f64 v[1:2], v[10:11], v[1:2]
	v_add_f64 v[3:4], v[12:13], v[4:5]
	s_delay_alu instid0(VALU_DEP_2) | instskip(NEXT) | instid1(VALU_DEP_2)
	;; [unrolled: 3-line block ×3, first 2 shown]
	v_add_f64 v[1:2], v[179:180], -v[1:2]
	v_add_f64 v[3:4], v[181:182], -v[3:4]
	scratch_store_b128 off, v[1:4], off offset:48
	v_cmpx_lt_u32_e32 2, v134
	s_cbranch_execz .LBB43_273
; %bb.272:
	scratch_load_b128 v[1:4], v135, off
	v_mov_b32_e32 v5, 0
	s_delay_alu instid0(VALU_DEP_1)
	v_mov_b32_e32 v6, v5
	v_mov_b32_e32 v7, v5
	;; [unrolled: 1-line block ×3, first 2 shown]
	scratch_store_b128 off, v[5:8], off offset:32
	s_waitcnt vmcnt(0)
	ds_store_b128 v178, v[1:4]
.LBB43_273:
	s_or_b32 exec_lo, exec_lo, s2
	s_waitcnt lgkmcnt(0)
	s_waitcnt_vscnt null, 0x0
	s_barrier
	buffer_gl0_inv
	s_clause 0x7
	scratch_load_b128 v[2:5], off, off offset:48
	scratch_load_b128 v[6:9], off, off offset:64
	;; [unrolled: 1-line block ×8, first 2 shown]
	v_mov_b32_e32 v1, 0
	s_mov_b32 s2, exec_lo
	ds_load_b128 v[38:41], v1 offset:752
	s_clause 0x1
	scratch_load_b128 v[34:37], off, off offset:176
	scratch_load_b128 v[42:45], off, off offset:32
	ds_load_b128 v[179:182], v1 offset:768
	scratch_load_b128 v[183:186], off, off offset:192
	s_waitcnt vmcnt(10) lgkmcnt(1)
	v_mul_f64 v[187:188], v[40:41], v[4:5]
	v_mul_f64 v[4:5], v[38:39], v[4:5]
	s_delay_alu instid0(VALU_DEP_2) | instskip(NEXT) | instid1(VALU_DEP_2)
	v_fma_f64 v[193:194], v[38:39], v[2:3], -v[187:188]
	v_fma_f64 v[195:196], v[40:41], v[2:3], v[4:5]
	scratch_load_b128 v[38:41], off, off offset:208
	ds_load_b128 v[2:5], v1 offset:784
	s_waitcnt vmcnt(10) lgkmcnt(1)
	v_mul_f64 v[191:192], v[179:180], v[8:9]
	v_mul_f64 v[8:9], v[181:182], v[8:9]
	ds_load_b128 v[187:190], v1 offset:800
	s_waitcnt vmcnt(9) lgkmcnt(1)
	v_mul_f64 v[197:198], v[2:3], v[12:13]
	v_mul_f64 v[12:13], v[4:5], v[12:13]
	v_fma_f64 v[181:182], v[181:182], v[6:7], v[191:192]
	v_fma_f64 v[179:180], v[179:180], v[6:7], -v[8:9]
	v_add_f64 v[191:192], v[193:194], 0
	v_add_f64 v[193:194], v[195:196], 0
	scratch_load_b128 v[6:9], off, off offset:224
	v_fma_f64 v[197:198], v[4:5], v[10:11], v[197:198]
	v_fma_f64 v[199:200], v[2:3], v[10:11], -v[12:13]
	scratch_load_b128 v[10:13], off, off offset:240
	ds_load_b128 v[2:5], v1 offset:816
	s_waitcnt vmcnt(10) lgkmcnt(1)
	v_mul_f64 v[195:196], v[187:188], v[16:17]
	v_mul_f64 v[16:17], v[189:190], v[16:17]
	v_add_f64 v[191:192], v[191:192], v[179:180]
	v_add_f64 v[193:194], v[193:194], v[181:182]
	s_waitcnt vmcnt(9) lgkmcnt(0)
	v_mul_f64 v[201:202], v[2:3], v[20:21]
	v_mul_f64 v[20:21], v[4:5], v[20:21]
	ds_load_b128 v[179:182], v1 offset:832
	v_fma_f64 v[189:190], v[189:190], v[14:15], v[195:196]
	v_fma_f64 v[187:188], v[187:188], v[14:15], -v[16:17]
	scratch_load_b128 v[14:17], off, off offset:256
	v_add_f64 v[191:192], v[191:192], v[199:200]
	v_add_f64 v[193:194], v[193:194], v[197:198]
	v_fma_f64 v[197:198], v[4:5], v[18:19], v[201:202]
	v_fma_f64 v[199:200], v[2:3], v[18:19], -v[20:21]
	scratch_load_b128 v[18:21], off, off offset:272
	ds_load_b128 v[2:5], v1 offset:848
	s_waitcnt vmcnt(10) lgkmcnt(1)
	v_mul_f64 v[195:196], v[179:180], v[24:25]
	v_mul_f64 v[24:25], v[181:182], v[24:25]
	s_waitcnt vmcnt(9) lgkmcnt(0)
	v_mul_f64 v[201:202], v[2:3], v[28:29]
	v_mul_f64 v[28:29], v[4:5], v[28:29]
	v_add_f64 v[191:192], v[191:192], v[187:188]
	v_add_f64 v[193:194], v[193:194], v[189:190]
	ds_load_b128 v[187:190], v1 offset:864
	v_fma_f64 v[181:182], v[181:182], v[22:23], v[195:196]
	v_fma_f64 v[179:180], v[179:180], v[22:23], -v[24:25]
	scratch_load_b128 v[22:25], off, off offset:288
	v_add_f64 v[191:192], v[191:192], v[199:200]
	v_add_f64 v[193:194], v[193:194], v[197:198]
	v_fma_f64 v[197:198], v[4:5], v[26:27], v[201:202]
	v_fma_f64 v[199:200], v[2:3], v[26:27], -v[28:29]
	scratch_load_b128 v[26:29], off, off offset:304
	ds_load_b128 v[2:5], v1 offset:880
	s_waitcnt vmcnt(10) lgkmcnt(1)
	v_mul_f64 v[195:196], v[187:188], v[32:33]
	v_mul_f64 v[32:33], v[189:190], v[32:33]
	s_waitcnt vmcnt(9) lgkmcnt(0)
	v_mul_f64 v[201:202], v[2:3], v[36:37]
	v_mul_f64 v[36:37], v[4:5], v[36:37]
	v_add_f64 v[191:192], v[191:192], v[179:180]
	v_add_f64 v[193:194], v[193:194], v[181:182]
	ds_load_b128 v[179:182], v1 offset:896
	v_fma_f64 v[189:190], v[189:190], v[30:31], v[195:196]
	v_fma_f64 v[187:188], v[187:188], v[30:31], -v[32:33]
	scratch_load_b128 v[30:33], off, off offset:320
	v_add_f64 v[191:192], v[191:192], v[199:200]
	v_add_f64 v[193:194], v[193:194], v[197:198]
	v_fma_f64 v[199:200], v[4:5], v[34:35], v[201:202]
	v_fma_f64 v[201:202], v[2:3], v[34:35], -v[36:37]
	scratch_load_b128 v[34:37], off, off offset:336
	ds_load_b128 v[2:5], v1 offset:912
	s_waitcnt vmcnt(9) lgkmcnt(1)
	v_mul_f64 v[195:196], v[179:180], v[185:186]
	v_mul_f64 v[197:198], v[181:182], v[185:186]
	v_add_f64 v[191:192], v[191:192], v[187:188]
	v_add_f64 v[189:190], v[193:194], v[189:190]
	ds_load_b128 v[185:188], v1 offset:928
	v_fma_f64 v[195:196], v[181:182], v[183:184], v[195:196]
	v_fma_f64 v[183:184], v[179:180], v[183:184], -v[197:198]
	scratch_load_b128 v[179:182], off, off offset:352
	s_waitcnt vmcnt(9) lgkmcnt(1)
	v_mul_f64 v[193:194], v[2:3], v[40:41]
	v_mul_f64 v[40:41], v[4:5], v[40:41]
	v_add_f64 v[191:192], v[191:192], v[201:202]
	v_add_f64 v[189:190], v[189:190], v[199:200]
	s_delay_alu instid0(VALU_DEP_4) | instskip(NEXT) | instid1(VALU_DEP_4)
	v_fma_f64 v[193:194], v[4:5], v[38:39], v[193:194]
	v_fma_f64 v[199:200], v[2:3], v[38:39], -v[40:41]
	scratch_load_b128 v[38:41], off, off offset:368
	ds_load_b128 v[2:5], v1 offset:944
	s_waitcnt vmcnt(9) lgkmcnt(1)
	v_mul_f64 v[197:198], v[185:186], v[8:9]
	v_mul_f64 v[8:9], v[187:188], v[8:9]
	s_waitcnt vmcnt(8) lgkmcnt(0)
	v_mul_f64 v[201:202], v[2:3], v[12:13]
	v_mul_f64 v[12:13], v[4:5], v[12:13]
	v_add_f64 v[183:184], v[191:192], v[183:184]
	v_add_f64 v[195:196], v[189:190], v[195:196]
	ds_load_b128 v[189:192], v1 offset:960
	v_fma_f64 v[187:188], v[187:188], v[6:7], v[197:198]
	v_fma_f64 v[185:186], v[185:186], v[6:7], -v[8:9]
	scratch_load_b128 v[6:9], off, off offset:384
	v_fma_f64 v[197:198], v[4:5], v[10:11], v[201:202]
	v_add_f64 v[183:184], v[183:184], v[199:200]
	v_add_f64 v[193:194], v[195:196], v[193:194]
	v_fma_f64 v[199:200], v[2:3], v[10:11], -v[12:13]
	scratch_load_b128 v[10:13], off, off offset:400
	ds_load_b128 v[2:5], v1 offset:976
	s_waitcnt vmcnt(9) lgkmcnt(1)
	v_mul_f64 v[195:196], v[189:190], v[16:17]
	v_mul_f64 v[16:17], v[191:192], v[16:17]
	v_add_f64 v[201:202], v[183:184], v[185:186]
	v_add_f64 v[187:188], v[193:194], v[187:188]
	s_waitcnt vmcnt(8) lgkmcnt(0)
	v_mul_f64 v[193:194], v[2:3], v[20:21]
	v_mul_f64 v[20:21], v[4:5], v[20:21]
	ds_load_b128 v[183:186], v1 offset:992
	v_fma_f64 v[191:192], v[191:192], v[14:15], v[195:196]
	v_fma_f64 v[189:190], v[189:190], v[14:15], -v[16:17]
	scratch_load_b128 v[14:17], off, off offset:416
	v_add_f64 v[195:196], v[201:202], v[199:200]
	v_add_f64 v[187:188], v[187:188], v[197:198]
	v_fma_f64 v[193:194], v[4:5], v[18:19], v[193:194]
	v_fma_f64 v[199:200], v[2:3], v[18:19], -v[20:21]
	scratch_load_b128 v[18:21], off, off offset:432
	ds_load_b128 v[2:5], v1 offset:1008
	s_waitcnt vmcnt(9) lgkmcnt(1)
	v_mul_f64 v[197:198], v[183:184], v[24:25]
	v_mul_f64 v[24:25], v[185:186], v[24:25]
	s_waitcnt vmcnt(8) lgkmcnt(0)
	v_mul_f64 v[201:202], v[2:3], v[28:29]
	v_mul_f64 v[28:29], v[4:5], v[28:29]
	v_add_f64 v[195:196], v[195:196], v[189:190]
	v_add_f64 v[191:192], v[187:188], v[191:192]
	ds_load_b128 v[187:190], v1 offset:1024
	v_fma_f64 v[185:186], v[185:186], v[22:23], v[197:198]
	v_fma_f64 v[183:184], v[183:184], v[22:23], -v[24:25]
	scratch_load_b128 v[22:25], off, off offset:448
	v_fma_f64 v[197:198], v[4:5], v[26:27], v[201:202]
	v_add_f64 v[195:196], v[195:196], v[199:200]
	v_add_f64 v[191:192], v[191:192], v[193:194]
	v_fma_f64 v[199:200], v[2:3], v[26:27], -v[28:29]
	scratch_load_b128 v[26:29], off, off offset:464
	ds_load_b128 v[2:5], v1 offset:1040
	s_waitcnt vmcnt(9) lgkmcnt(1)
	v_mul_f64 v[193:194], v[187:188], v[32:33]
	v_mul_f64 v[32:33], v[189:190], v[32:33]
	s_waitcnt vmcnt(8) lgkmcnt(0)
	v_mul_f64 v[201:202], v[2:3], v[36:37]
	v_mul_f64 v[36:37], v[4:5], v[36:37]
	v_add_f64 v[195:196], v[195:196], v[183:184]
	v_add_f64 v[191:192], v[191:192], v[185:186]
	ds_load_b128 v[183:186], v1 offset:1056
	v_fma_f64 v[189:190], v[189:190], v[30:31], v[193:194]
	v_fma_f64 v[187:188], v[187:188], v[30:31], -v[32:33]
	scratch_load_b128 v[30:33], off, off offset:480
	v_add_f64 v[193:194], v[195:196], v[199:200]
	v_add_f64 v[191:192], v[191:192], v[197:198]
	v_fma_f64 v[197:198], v[4:5], v[34:35], v[201:202]
	v_fma_f64 v[199:200], v[2:3], v[34:35], -v[36:37]
	scratch_load_b128 v[34:37], off, off offset:496
	ds_load_b128 v[2:5], v1 offset:1072
	s_waitcnt vmcnt(9) lgkmcnt(1)
	v_mul_f64 v[195:196], v[183:184], v[181:182]
	v_mul_f64 v[181:182], v[185:186], v[181:182]
	s_waitcnt vmcnt(8) lgkmcnt(0)
	v_mul_f64 v[201:202], v[2:3], v[40:41]
	v_mul_f64 v[40:41], v[4:5], v[40:41]
	v_add_f64 v[193:194], v[193:194], v[187:188]
	v_add_f64 v[191:192], v[191:192], v[189:190]
	ds_load_b128 v[187:190], v1 offset:1088
	v_fma_f64 v[185:186], v[185:186], v[179:180], v[195:196]
	v_fma_f64 v[183:184], v[183:184], v[179:180], -v[181:182]
	scratch_load_b128 v[179:182], off, off offset:512
	v_add_f64 v[193:194], v[193:194], v[199:200]
	v_add_f64 v[191:192], v[191:192], v[197:198]
	v_fma_f64 v[197:198], v[4:5], v[38:39], v[201:202]
	;; [unrolled: 18-line block ×6, first 2 shown]
	v_fma_f64 v[201:202], v[2:3], v[34:35], -v[36:37]
	scratch_load_b128 v[34:37], off, off offset:656
	ds_load_b128 v[2:5], v1 offset:1232
	s_waitcnt vmcnt(9) lgkmcnt(1)
	v_mul_f64 v[195:196], v[187:188], v[181:182]
	v_mul_f64 v[197:198], v[189:190], v[181:182]
	v_add_f64 v[193:194], v[193:194], v[183:184]
	v_add_f64 v[185:186], v[191:192], v[185:186]
	s_waitcnt vmcnt(8) lgkmcnt(0)
	v_mul_f64 v[191:192], v[2:3], v[40:41]
	v_mul_f64 v[40:41], v[4:5], v[40:41]
	ds_load_b128 v[181:184], v1 offset:1248
	v_fma_f64 v[189:190], v[189:190], v[179:180], v[195:196]
	v_fma_f64 v[179:180], v[187:188], v[179:180], -v[197:198]
	v_add_f64 v[193:194], v[193:194], v[201:202]
	v_add_f64 v[195:196], v[185:186], v[199:200]
	scratch_load_b128 v[185:188], off, off offset:672
	v_fma_f64 v[199:200], v[4:5], v[38:39], v[191:192]
	v_fma_f64 v[201:202], v[2:3], v[38:39], -v[40:41]
	scratch_load_b128 v[38:41], off, off offset:688
	ds_load_b128 v[2:5], v1 offset:1264
	s_waitcnt vmcnt(9) lgkmcnt(1)
	v_mul_f64 v[197:198], v[181:182], v[8:9]
	v_mul_f64 v[8:9], v[183:184], v[8:9]
	v_add_f64 v[179:180], v[193:194], v[179:180]
	v_add_f64 v[193:194], v[195:196], v[189:190]
	s_waitcnt vmcnt(8) lgkmcnt(0)
	v_mul_f64 v[195:196], v[2:3], v[12:13]
	v_mul_f64 v[12:13], v[4:5], v[12:13]
	ds_load_b128 v[189:192], v1 offset:1280
	v_fma_f64 v[183:184], v[183:184], v[6:7], v[197:198]
	v_fma_f64 v[6:7], v[181:182], v[6:7], -v[8:9]
	s_waitcnt vmcnt(7) lgkmcnt(0)
	v_mul_f64 v[181:182], v[189:190], v[16:17]
	v_mul_f64 v[16:17], v[191:192], v[16:17]
	v_add_f64 v[8:9], v[179:180], v[201:202]
	v_add_f64 v[179:180], v[193:194], v[199:200]
	v_fma_f64 v[193:194], v[4:5], v[10:11], v[195:196]
	v_fma_f64 v[10:11], v[2:3], v[10:11], -v[12:13]
	v_fma_f64 v[181:182], v[191:192], v[14:15], v[181:182]
	v_fma_f64 v[14:15], v[189:190], v[14:15], -v[16:17]
	v_add_f64 v[12:13], v[8:9], v[6:7]
	v_add_f64 v[179:180], v[179:180], v[183:184]
	ds_load_b128 v[2:5], v1 offset:1296
	ds_load_b128 v[6:9], v1 offset:1312
	s_waitcnt vmcnt(6) lgkmcnt(1)
	v_mul_f64 v[183:184], v[2:3], v[20:21]
	v_mul_f64 v[20:21], v[4:5], v[20:21]
	s_waitcnt vmcnt(5) lgkmcnt(0)
	v_mul_f64 v[16:17], v[6:7], v[24:25]
	v_mul_f64 v[24:25], v[8:9], v[24:25]
	v_add_f64 v[10:11], v[12:13], v[10:11]
	v_add_f64 v[12:13], v[179:180], v[193:194]
	v_fma_f64 v[179:180], v[4:5], v[18:19], v[183:184]
	v_fma_f64 v[18:19], v[2:3], v[18:19], -v[20:21]
	v_fma_f64 v[8:9], v[8:9], v[22:23], v[16:17]
	v_fma_f64 v[6:7], v[6:7], v[22:23], -v[24:25]
	v_add_f64 v[14:15], v[10:11], v[14:15]
	v_add_f64 v[20:21], v[12:13], v[181:182]
	ds_load_b128 v[2:5], v1 offset:1328
	ds_load_b128 v[10:13], v1 offset:1344
	s_waitcnt vmcnt(4) lgkmcnt(1)
	v_mul_f64 v[181:182], v[2:3], v[28:29]
	v_mul_f64 v[28:29], v[4:5], v[28:29]
	v_add_f64 v[14:15], v[14:15], v[18:19]
	v_add_f64 v[16:17], v[20:21], v[179:180]
	s_waitcnt vmcnt(3) lgkmcnt(0)
	v_mul_f64 v[18:19], v[10:11], v[32:33]
	v_mul_f64 v[20:21], v[12:13], v[32:33]
	v_fma_f64 v[22:23], v[4:5], v[26:27], v[181:182]
	v_fma_f64 v[24:25], v[2:3], v[26:27], -v[28:29]
	v_add_f64 v[14:15], v[14:15], v[6:7]
	v_add_f64 v[16:17], v[16:17], v[8:9]
	ds_load_b128 v[2:5], v1 offset:1360
	ds_load_b128 v[6:9], v1 offset:1376
	v_fma_f64 v[12:13], v[12:13], v[30:31], v[18:19]
	v_fma_f64 v[10:11], v[10:11], v[30:31], -v[20:21]
	s_waitcnt vmcnt(2) lgkmcnt(1)
	v_mul_f64 v[26:27], v[2:3], v[36:37]
	v_mul_f64 v[28:29], v[4:5], v[36:37]
	v_add_f64 v[14:15], v[14:15], v[24:25]
	v_add_f64 v[16:17], v[16:17], v[22:23]
	s_waitcnt vmcnt(1) lgkmcnt(0)
	v_mul_f64 v[18:19], v[6:7], v[187:188]
	v_mul_f64 v[20:21], v[8:9], v[187:188]
	v_fma_f64 v[22:23], v[4:5], v[34:35], v[26:27]
	v_fma_f64 v[24:25], v[2:3], v[34:35], -v[28:29]
	ds_load_b128 v[2:5], v1 offset:1392
	v_add_f64 v[10:11], v[14:15], v[10:11]
	v_add_f64 v[12:13], v[16:17], v[12:13]
	s_waitcnt vmcnt(0) lgkmcnt(0)
	v_mul_f64 v[14:15], v[2:3], v[40:41]
	v_mul_f64 v[16:17], v[4:5], v[40:41]
	v_fma_f64 v[8:9], v[8:9], v[185:186], v[18:19]
	v_fma_f64 v[6:7], v[6:7], v[185:186], -v[20:21]
	v_add_f64 v[10:11], v[10:11], v[24:25]
	v_add_f64 v[12:13], v[12:13], v[22:23]
	v_fma_f64 v[4:5], v[4:5], v[38:39], v[14:15]
	v_fma_f64 v[2:3], v[2:3], v[38:39], -v[16:17]
	s_delay_alu instid0(VALU_DEP_4) | instskip(NEXT) | instid1(VALU_DEP_4)
	v_add_f64 v[6:7], v[10:11], v[6:7]
	v_add_f64 v[8:9], v[12:13], v[8:9]
	s_delay_alu instid0(VALU_DEP_2) | instskip(NEXT) | instid1(VALU_DEP_2)
	v_add_f64 v[2:3], v[6:7], v[2:3]
	v_add_f64 v[4:5], v[8:9], v[4:5]
	s_delay_alu instid0(VALU_DEP_2) | instskip(NEXT) | instid1(VALU_DEP_2)
	v_add_f64 v[2:3], v[42:43], -v[2:3]
	v_add_f64 v[4:5], v[44:45], -v[4:5]
	scratch_store_b128 off, v[2:5], off offset:32
	v_cmpx_lt_u32_e32 1, v134
	s_cbranch_execz .LBB43_275
; %bb.274:
	scratch_load_b128 v[5:8], v136, off
	v_mov_b32_e32 v2, v1
	v_mov_b32_e32 v3, v1
	;; [unrolled: 1-line block ×3, first 2 shown]
	scratch_store_b128 off, v[1:4], off offset:16
	s_waitcnt vmcnt(0)
	ds_store_b128 v178, v[5:8]
.LBB43_275:
	s_or_b32 exec_lo, exec_lo, s2
	s_waitcnt lgkmcnt(0)
	s_waitcnt_vscnt null, 0x0
	s_barrier
	buffer_gl0_inv
	s_clause 0x8
	scratch_load_b128 v[2:5], off, off offset:32
	scratch_load_b128 v[6:9], off, off offset:48
	;; [unrolled: 1-line block ×9, first 2 shown]
	ds_load_b128 v[42:45], v1 offset:736
	ds_load_b128 v[38:41], v1 offset:752
	s_clause 0x1
	scratch_load_b128 v[179:182], off, off offset:16
	scratch_load_b128 v[183:186], off, off offset:176
	s_mov_b32 s2, exec_lo
	s_waitcnt vmcnt(10) lgkmcnt(1)
	v_mul_f64 v[187:188], v[44:45], v[4:5]
	v_mul_f64 v[4:5], v[42:43], v[4:5]
	s_waitcnt vmcnt(9) lgkmcnt(0)
	v_mul_f64 v[191:192], v[38:39], v[8:9]
	v_mul_f64 v[8:9], v[40:41], v[8:9]
	s_delay_alu instid0(VALU_DEP_4) | instskip(NEXT) | instid1(VALU_DEP_4)
	v_fma_f64 v[193:194], v[42:43], v[2:3], -v[187:188]
	v_fma_f64 v[195:196], v[44:45], v[2:3], v[4:5]
	ds_load_b128 v[2:5], v1 offset:768
	ds_load_b128 v[187:190], v1 offset:784
	scratch_load_b128 v[42:45], off, off offset:192
	v_fma_f64 v[40:41], v[40:41], v[6:7], v[191:192]
	v_fma_f64 v[38:39], v[38:39], v[6:7], -v[8:9]
	scratch_load_b128 v[6:9], off, off offset:208
	s_waitcnt vmcnt(10) lgkmcnt(1)
	v_mul_f64 v[197:198], v[2:3], v[12:13]
	v_mul_f64 v[12:13], v[4:5], v[12:13]
	v_add_f64 v[191:192], v[193:194], 0
	v_add_f64 v[193:194], v[195:196], 0
	s_waitcnt vmcnt(9) lgkmcnt(0)
	v_mul_f64 v[195:196], v[187:188], v[16:17]
	v_mul_f64 v[16:17], v[189:190], v[16:17]
	v_fma_f64 v[197:198], v[4:5], v[10:11], v[197:198]
	v_fma_f64 v[199:200], v[2:3], v[10:11], -v[12:13]
	ds_load_b128 v[2:5], v1 offset:800
	scratch_load_b128 v[10:13], off, off offset:224
	v_add_f64 v[191:192], v[191:192], v[38:39]
	v_add_f64 v[193:194], v[193:194], v[40:41]
	ds_load_b128 v[38:41], v1 offset:816
	v_fma_f64 v[189:190], v[189:190], v[14:15], v[195:196]
	v_fma_f64 v[187:188], v[187:188], v[14:15], -v[16:17]
	scratch_load_b128 v[14:17], off, off offset:240
	s_waitcnt vmcnt(10) lgkmcnt(1)
	v_mul_f64 v[201:202], v[2:3], v[20:21]
	v_mul_f64 v[20:21], v[4:5], v[20:21]
	s_waitcnt vmcnt(9) lgkmcnt(0)
	v_mul_f64 v[195:196], v[38:39], v[24:25]
	v_mul_f64 v[24:25], v[40:41], v[24:25]
	v_add_f64 v[191:192], v[191:192], v[199:200]
	v_add_f64 v[193:194], v[193:194], v[197:198]
	v_fma_f64 v[197:198], v[4:5], v[18:19], v[201:202]
	v_fma_f64 v[199:200], v[2:3], v[18:19], -v[20:21]
	ds_load_b128 v[2:5], v1 offset:832
	scratch_load_b128 v[18:21], off, off offset:256
	v_fma_f64 v[40:41], v[40:41], v[22:23], v[195:196]
	v_fma_f64 v[38:39], v[38:39], v[22:23], -v[24:25]
	scratch_load_b128 v[22:25], off, off offset:272
	v_add_f64 v[191:192], v[191:192], v[187:188]
	v_add_f64 v[193:194], v[193:194], v[189:190]
	ds_load_b128 v[187:190], v1 offset:848
	s_waitcnt vmcnt(10) lgkmcnt(1)
	v_mul_f64 v[201:202], v[2:3], v[28:29]
	v_mul_f64 v[28:29], v[4:5], v[28:29]
	s_waitcnt vmcnt(9) lgkmcnt(0)
	v_mul_f64 v[195:196], v[187:188], v[32:33]
	v_mul_f64 v[32:33], v[189:190], v[32:33]
	v_add_f64 v[191:192], v[191:192], v[199:200]
	v_add_f64 v[193:194], v[193:194], v[197:198]
	v_fma_f64 v[197:198], v[4:5], v[26:27], v[201:202]
	v_fma_f64 v[199:200], v[2:3], v[26:27], -v[28:29]
	ds_load_b128 v[2:5], v1 offset:864
	scratch_load_b128 v[26:29], off, off offset:288
	v_fma_f64 v[189:190], v[189:190], v[30:31], v[195:196]
	v_fma_f64 v[187:188], v[187:188], v[30:31], -v[32:33]
	scratch_load_b128 v[30:33], off, off offset:304
	v_add_f64 v[191:192], v[191:192], v[38:39]
	v_add_f64 v[193:194], v[193:194], v[40:41]
	ds_load_b128 v[38:41], v1 offset:880
	s_waitcnt vmcnt(10) lgkmcnt(1)
	v_mul_f64 v[201:202], v[2:3], v[36:37]
	v_mul_f64 v[36:37], v[4:5], v[36:37]
	s_waitcnt vmcnt(8) lgkmcnt(0)
	v_mul_f64 v[195:196], v[38:39], v[185:186]
	v_add_f64 v[191:192], v[191:192], v[199:200]
	v_add_f64 v[193:194], v[193:194], v[197:198]
	v_mul_f64 v[197:198], v[40:41], v[185:186]
	v_fma_f64 v[199:200], v[4:5], v[34:35], v[201:202]
	v_fma_f64 v[201:202], v[2:3], v[34:35], -v[36:37]
	ds_load_b128 v[2:5], v1 offset:896
	scratch_load_b128 v[34:37], off, off offset:320
	v_fma_f64 v[195:196], v[40:41], v[183:184], v[195:196]
	v_add_f64 v[191:192], v[191:192], v[187:188]
	v_add_f64 v[189:190], v[193:194], v[189:190]
	ds_load_b128 v[185:188], v1 offset:912
	v_fma_f64 v[183:184], v[38:39], v[183:184], -v[197:198]
	scratch_load_b128 v[38:41], off, off offset:336
	s_waitcnt vmcnt(9) lgkmcnt(1)
	v_mul_f64 v[193:194], v[2:3], v[44:45]
	v_mul_f64 v[44:45], v[4:5], v[44:45]
	s_waitcnt vmcnt(8) lgkmcnt(0)
	v_mul_f64 v[197:198], v[185:186], v[8:9]
	v_mul_f64 v[8:9], v[187:188], v[8:9]
	v_add_f64 v[191:192], v[191:192], v[201:202]
	v_add_f64 v[189:190], v[189:190], v[199:200]
	v_fma_f64 v[193:194], v[4:5], v[42:43], v[193:194]
	v_fma_f64 v[199:200], v[2:3], v[42:43], -v[44:45]
	ds_load_b128 v[2:5], v1 offset:928
	scratch_load_b128 v[42:45], off, off offset:352
	v_fma_f64 v[187:188], v[187:188], v[6:7], v[197:198]
	v_fma_f64 v[185:186], v[185:186], v[6:7], -v[8:9]
	scratch_load_b128 v[6:9], off, off offset:368
	v_add_f64 v[183:184], v[191:192], v[183:184]
	v_add_f64 v[195:196], v[189:190], v[195:196]
	ds_load_b128 v[189:192], v1 offset:944
	s_waitcnt vmcnt(9) lgkmcnt(1)
	v_mul_f64 v[201:202], v[2:3], v[12:13]
	v_mul_f64 v[12:13], v[4:5], v[12:13]
	v_add_f64 v[183:184], v[183:184], v[199:200]
	v_add_f64 v[193:194], v[195:196], v[193:194]
	s_waitcnt vmcnt(8) lgkmcnt(0)
	v_mul_f64 v[195:196], v[189:190], v[16:17]
	v_mul_f64 v[16:17], v[191:192], v[16:17]
	v_fma_f64 v[197:198], v[4:5], v[10:11], v[201:202]
	v_fma_f64 v[199:200], v[2:3], v[10:11], -v[12:13]
	ds_load_b128 v[2:5], v1 offset:960
	scratch_load_b128 v[10:13], off, off offset:384
	v_add_f64 v[201:202], v[183:184], v[185:186]
	v_add_f64 v[187:188], v[193:194], v[187:188]
	ds_load_b128 v[183:186], v1 offset:976
	s_waitcnt vmcnt(8) lgkmcnt(1)
	v_mul_f64 v[193:194], v[2:3], v[20:21]
	v_mul_f64 v[20:21], v[4:5], v[20:21]
	v_fma_f64 v[191:192], v[191:192], v[14:15], v[195:196]
	v_fma_f64 v[189:190], v[189:190], v[14:15], -v[16:17]
	scratch_load_b128 v[14:17], off, off offset:400
	v_add_f64 v[195:196], v[201:202], v[199:200]
	v_add_f64 v[187:188], v[187:188], v[197:198]
	s_waitcnt vmcnt(8) lgkmcnt(0)
	v_mul_f64 v[197:198], v[183:184], v[24:25]
	v_mul_f64 v[24:25], v[185:186], v[24:25]
	v_fma_f64 v[193:194], v[4:5], v[18:19], v[193:194]
	v_fma_f64 v[199:200], v[2:3], v[18:19], -v[20:21]
	ds_load_b128 v[2:5], v1 offset:992
	scratch_load_b128 v[18:21], off, off offset:416
	v_add_f64 v[195:196], v[195:196], v[189:190]
	v_add_f64 v[191:192], v[187:188], v[191:192]
	ds_load_b128 v[187:190], v1 offset:1008
	s_waitcnt vmcnt(8) lgkmcnt(1)
	v_mul_f64 v[201:202], v[2:3], v[28:29]
	v_mul_f64 v[28:29], v[4:5], v[28:29]
	v_fma_f64 v[185:186], v[185:186], v[22:23], v[197:198]
	v_fma_f64 v[183:184], v[183:184], v[22:23], -v[24:25]
	scratch_load_b128 v[22:25], off, off offset:432
	;; [unrolled: 18-line block ×4, first 2 shown]
	s_waitcnt vmcnt(8) lgkmcnt(0)
	v_mul_f64 v[195:196], v[187:188], v[8:9]
	v_mul_f64 v[8:9], v[189:190], v[8:9]
	v_add_f64 v[193:194], v[193:194], v[199:200]
	v_add_f64 v[191:192], v[191:192], v[197:198]
	v_fma_f64 v[197:198], v[4:5], v[42:43], v[201:202]
	v_fma_f64 v[199:200], v[2:3], v[42:43], -v[44:45]
	ds_load_b128 v[2:5], v1 offset:1088
	scratch_load_b128 v[42:45], off, off offset:512
	v_fma_f64 v[189:190], v[189:190], v[6:7], v[195:196]
	v_fma_f64 v[187:188], v[187:188], v[6:7], -v[8:9]
	scratch_load_b128 v[6:9], off, off offset:528
	v_add_f64 v[193:194], v[193:194], v[183:184]
	v_add_f64 v[191:192], v[191:192], v[185:186]
	ds_load_b128 v[183:186], v1 offset:1104
	s_waitcnt vmcnt(9) lgkmcnt(1)
	v_mul_f64 v[201:202], v[2:3], v[12:13]
	v_mul_f64 v[12:13], v[4:5], v[12:13]
	s_waitcnt vmcnt(8) lgkmcnt(0)
	v_mul_f64 v[195:196], v[183:184], v[16:17]
	v_mul_f64 v[16:17], v[185:186], v[16:17]
	v_add_f64 v[193:194], v[193:194], v[199:200]
	v_add_f64 v[191:192], v[191:192], v[197:198]
	v_fma_f64 v[197:198], v[4:5], v[10:11], v[201:202]
	v_fma_f64 v[199:200], v[2:3], v[10:11], -v[12:13]
	ds_load_b128 v[2:5], v1 offset:1120
	scratch_load_b128 v[10:13], off, off offset:544
	v_fma_f64 v[185:186], v[185:186], v[14:15], v[195:196]
	v_fma_f64 v[183:184], v[183:184], v[14:15], -v[16:17]
	scratch_load_b128 v[14:17], off, off offset:560
	v_add_f64 v[193:194], v[193:194], v[187:188]
	v_add_f64 v[191:192], v[191:192], v[189:190]
	ds_load_b128 v[187:190], v1 offset:1136
	s_waitcnt vmcnt(9) lgkmcnt(1)
	v_mul_f64 v[201:202], v[2:3], v[20:21]
	v_mul_f64 v[20:21], v[4:5], v[20:21]
	;; [unrolled: 18-line block ×6, first 2 shown]
	s_waitcnt vmcnt(8) lgkmcnt(0)
	v_mul_f64 v[195:196], v[187:188], v[16:17]
	v_mul_f64 v[16:17], v[189:190], v[16:17]
	v_add_f64 v[193:194], v[193:194], v[199:200]
	v_add_f64 v[191:192], v[191:192], v[197:198]
	v_fma_f64 v[197:198], v[4:5], v[10:11], v[201:202]
	v_fma_f64 v[199:200], v[2:3], v[10:11], -v[12:13]
	ds_load_b128 v[2:5], v1 offset:1280
	ds_load_b128 v[10:13], v1 offset:1296
	v_fma_f64 v[189:190], v[189:190], v[14:15], v[195:196]
	v_fma_f64 v[14:15], v[187:188], v[14:15], -v[16:17]
	v_add_f64 v[183:184], v[193:194], v[183:184]
	v_add_f64 v[185:186], v[191:192], v[185:186]
	s_waitcnt vmcnt(7) lgkmcnt(1)
	v_mul_f64 v[191:192], v[2:3], v[20:21]
	v_mul_f64 v[20:21], v[4:5], v[20:21]
	s_delay_alu instid0(VALU_DEP_4) | instskip(NEXT) | instid1(VALU_DEP_4)
	v_add_f64 v[16:17], v[183:184], v[199:200]
	v_add_f64 v[183:184], v[185:186], v[197:198]
	s_waitcnt vmcnt(6) lgkmcnt(0)
	v_mul_f64 v[185:186], v[10:11], v[24:25]
	v_mul_f64 v[24:25], v[12:13], v[24:25]
	v_fma_f64 v[187:188], v[4:5], v[18:19], v[191:192]
	v_fma_f64 v[18:19], v[2:3], v[18:19], -v[20:21]
	v_add_f64 v[20:21], v[16:17], v[14:15]
	v_add_f64 v[183:184], v[183:184], v[189:190]
	ds_load_b128 v[2:5], v1 offset:1312
	ds_load_b128 v[14:17], v1 offset:1328
	v_fma_f64 v[12:13], v[12:13], v[22:23], v[185:186]
	v_fma_f64 v[10:11], v[10:11], v[22:23], -v[24:25]
	s_waitcnt vmcnt(5) lgkmcnt(1)
	v_mul_f64 v[189:190], v[2:3], v[28:29]
	v_mul_f64 v[28:29], v[4:5], v[28:29]
	s_waitcnt vmcnt(4) lgkmcnt(0)
	v_mul_f64 v[22:23], v[14:15], v[32:33]
	v_mul_f64 v[24:25], v[16:17], v[32:33]
	v_add_f64 v[18:19], v[20:21], v[18:19]
	v_add_f64 v[20:21], v[183:184], v[187:188]
	v_fma_f64 v[32:33], v[4:5], v[26:27], v[189:190]
	v_fma_f64 v[26:27], v[2:3], v[26:27], -v[28:29]
	v_fma_f64 v[16:17], v[16:17], v[30:31], v[22:23]
	v_fma_f64 v[14:15], v[14:15], v[30:31], -v[24:25]
	v_add_f64 v[18:19], v[18:19], v[10:11]
	v_add_f64 v[20:21], v[20:21], v[12:13]
	ds_load_b128 v[2:5], v1 offset:1344
	ds_load_b128 v[10:13], v1 offset:1360
	s_waitcnt vmcnt(3) lgkmcnt(1)
	v_mul_f64 v[28:29], v[2:3], v[36:37]
	v_mul_f64 v[36:37], v[4:5], v[36:37]
	s_waitcnt vmcnt(2) lgkmcnt(0)
	v_mul_f64 v[22:23], v[10:11], v[40:41]
	v_mul_f64 v[24:25], v[12:13], v[40:41]
	v_add_f64 v[18:19], v[18:19], v[26:27]
	v_add_f64 v[20:21], v[20:21], v[32:33]
	v_fma_f64 v[26:27], v[4:5], v[34:35], v[28:29]
	v_fma_f64 v[28:29], v[2:3], v[34:35], -v[36:37]
	v_fma_f64 v[12:13], v[12:13], v[38:39], v[22:23]
	v_fma_f64 v[10:11], v[10:11], v[38:39], -v[24:25]
	v_add_f64 v[18:19], v[18:19], v[14:15]
	v_add_f64 v[20:21], v[20:21], v[16:17]
	ds_load_b128 v[2:5], v1 offset:1376
	ds_load_b128 v[14:17], v1 offset:1392
	s_waitcnt vmcnt(1) lgkmcnt(1)
	v_mul_f64 v[30:31], v[2:3], v[44:45]
	v_mul_f64 v[32:33], v[4:5], v[44:45]
	s_waitcnt vmcnt(0) lgkmcnt(0)
	v_mul_f64 v[22:23], v[14:15], v[8:9]
	v_mul_f64 v[8:9], v[16:17], v[8:9]
	v_add_f64 v[18:19], v[18:19], v[28:29]
	v_add_f64 v[20:21], v[20:21], v[26:27]
	v_fma_f64 v[4:5], v[4:5], v[42:43], v[30:31]
	v_fma_f64 v[1:2], v[2:3], v[42:43], -v[32:33]
	v_fma_f64 v[16:17], v[16:17], v[6:7], v[22:23]
	v_fma_f64 v[6:7], v[14:15], v[6:7], -v[8:9]
	v_add_f64 v[10:11], v[18:19], v[10:11]
	v_add_f64 v[12:13], v[20:21], v[12:13]
	s_delay_alu instid0(VALU_DEP_2) | instskip(NEXT) | instid1(VALU_DEP_2)
	v_add_f64 v[1:2], v[10:11], v[1:2]
	v_add_f64 v[3:4], v[12:13], v[4:5]
	s_delay_alu instid0(VALU_DEP_2) | instskip(NEXT) | instid1(VALU_DEP_2)
	;; [unrolled: 3-line block ×3, first 2 shown]
	v_add_f64 v[1:2], v[179:180], -v[1:2]
	v_add_f64 v[3:4], v[181:182], -v[3:4]
	scratch_store_b128 off, v[1:4], off offset:16
	v_cmpx_ne_u32_e32 0, v134
	s_cbranch_execz .LBB43_277
; %bb.276:
	scratch_load_b128 v[1:4], off, off
	v_mov_b32_e32 v5, 0
	s_delay_alu instid0(VALU_DEP_1)
	v_mov_b32_e32 v6, v5
	v_mov_b32_e32 v7, v5
	v_mov_b32_e32 v8, v5
	scratch_store_b128 off, v[5:8], off
	s_waitcnt vmcnt(0)
	ds_store_b128 v178, v[1:4]
.LBB43_277:
	s_or_b32 exec_lo, exec_lo, s2
	s_waitcnt lgkmcnt(0)
	s_waitcnt_vscnt null, 0x0
	s_barrier
	buffer_gl0_inv
	s_clause 0x7
	scratch_load_b128 v[1:4], off, off offset:16
	scratch_load_b128 v[5:8], off, off offset:32
	scratch_load_b128 v[9:12], off, off offset:48
	scratch_load_b128 v[13:16], off, off offset:64
	scratch_load_b128 v[17:20], off, off offset:80
	scratch_load_b128 v[21:24], off, off offset:96
	scratch_load_b128 v[25:28], off, off offset:112
	scratch_load_b128 v[29:32], off, off offset:128
	v_mov_b32_e32 v41, 0
	s_and_b32 vcc_lo, exec_lo, s20
	ds_load_b128 v[37:40], v41 offset:720
	s_clause 0x1
	scratch_load_b128 v[33:36], off, off offset:144
	scratch_load_b128 v[42:45], off, off
	ds_load_b128 v[178:181], v41 offset:736
	scratch_load_b128 v[182:185], off, off offset:160
	s_waitcnt vmcnt(10) lgkmcnt(1)
	v_mul_f64 v[186:187], v[39:40], v[3:4]
	v_mul_f64 v[3:4], v[37:38], v[3:4]
	s_delay_alu instid0(VALU_DEP_2) | instskip(NEXT) | instid1(VALU_DEP_2)
	v_fma_f64 v[192:193], v[37:38], v[1:2], -v[186:187]
	v_fma_f64 v[194:195], v[39:40], v[1:2], v[3:4]
	scratch_load_b128 v[37:40], off, off offset:176
	ds_load_b128 v[1:4], v41 offset:752
	s_waitcnt vmcnt(10) lgkmcnt(1)
	v_mul_f64 v[190:191], v[178:179], v[7:8]
	v_mul_f64 v[7:8], v[180:181], v[7:8]
	ds_load_b128 v[186:189], v41 offset:768
	s_waitcnt vmcnt(9) lgkmcnt(1)
	v_mul_f64 v[196:197], v[1:2], v[11:12]
	v_mul_f64 v[11:12], v[3:4], v[11:12]
	v_fma_f64 v[180:181], v[180:181], v[5:6], v[190:191]
	v_fma_f64 v[178:179], v[178:179], v[5:6], -v[7:8]
	v_add_f64 v[190:191], v[192:193], 0
	v_add_f64 v[192:193], v[194:195], 0
	scratch_load_b128 v[5:8], off, off offset:192
	v_fma_f64 v[196:197], v[3:4], v[9:10], v[196:197]
	v_fma_f64 v[198:199], v[1:2], v[9:10], -v[11:12]
	scratch_load_b128 v[9:12], off, off offset:208
	ds_load_b128 v[1:4], v41 offset:784
	s_waitcnt vmcnt(10) lgkmcnt(1)
	v_mul_f64 v[194:195], v[186:187], v[15:16]
	v_mul_f64 v[15:16], v[188:189], v[15:16]
	v_add_f64 v[190:191], v[190:191], v[178:179]
	v_add_f64 v[192:193], v[192:193], v[180:181]
	s_waitcnt vmcnt(9) lgkmcnt(0)
	v_mul_f64 v[200:201], v[1:2], v[19:20]
	v_mul_f64 v[19:20], v[3:4], v[19:20]
	ds_load_b128 v[178:181], v41 offset:800
	v_fma_f64 v[188:189], v[188:189], v[13:14], v[194:195]
	v_fma_f64 v[186:187], v[186:187], v[13:14], -v[15:16]
	scratch_load_b128 v[13:16], off, off offset:224
	v_add_f64 v[190:191], v[190:191], v[198:199]
	v_add_f64 v[192:193], v[192:193], v[196:197]
	v_fma_f64 v[196:197], v[3:4], v[17:18], v[200:201]
	v_fma_f64 v[198:199], v[1:2], v[17:18], -v[19:20]
	scratch_load_b128 v[17:20], off, off offset:240
	ds_load_b128 v[1:4], v41 offset:816
	s_waitcnt vmcnt(10) lgkmcnt(1)
	v_mul_f64 v[194:195], v[178:179], v[23:24]
	v_mul_f64 v[23:24], v[180:181], v[23:24]
	s_waitcnt vmcnt(9) lgkmcnt(0)
	v_mul_f64 v[200:201], v[1:2], v[27:28]
	v_mul_f64 v[27:28], v[3:4], v[27:28]
	v_add_f64 v[190:191], v[190:191], v[186:187]
	v_add_f64 v[192:193], v[192:193], v[188:189]
	ds_load_b128 v[186:189], v41 offset:832
	v_fma_f64 v[180:181], v[180:181], v[21:22], v[194:195]
	v_fma_f64 v[178:179], v[178:179], v[21:22], -v[23:24]
	scratch_load_b128 v[21:24], off, off offset:256
	v_add_f64 v[190:191], v[190:191], v[198:199]
	v_add_f64 v[192:193], v[192:193], v[196:197]
	v_fma_f64 v[196:197], v[3:4], v[25:26], v[200:201]
	v_fma_f64 v[198:199], v[1:2], v[25:26], -v[27:28]
	scratch_load_b128 v[25:28], off, off offset:272
	ds_load_b128 v[1:4], v41 offset:848
	s_waitcnt vmcnt(10) lgkmcnt(1)
	v_mul_f64 v[194:195], v[186:187], v[31:32]
	v_mul_f64 v[31:32], v[188:189], v[31:32]
	s_waitcnt vmcnt(9) lgkmcnt(0)
	v_mul_f64 v[200:201], v[1:2], v[35:36]
	v_mul_f64 v[35:36], v[3:4], v[35:36]
	v_add_f64 v[190:191], v[190:191], v[178:179]
	v_add_f64 v[192:193], v[192:193], v[180:181]
	ds_load_b128 v[178:181], v41 offset:864
	v_fma_f64 v[188:189], v[188:189], v[29:30], v[194:195]
	v_fma_f64 v[186:187], v[186:187], v[29:30], -v[31:32]
	scratch_load_b128 v[29:32], off, off offset:288
	v_add_f64 v[190:191], v[190:191], v[198:199]
	v_add_f64 v[192:193], v[192:193], v[196:197]
	v_fma_f64 v[198:199], v[3:4], v[33:34], v[200:201]
	v_fma_f64 v[200:201], v[1:2], v[33:34], -v[35:36]
	scratch_load_b128 v[33:36], off, off offset:304
	ds_load_b128 v[1:4], v41 offset:880
	s_waitcnt vmcnt(9) lgkmcnt(1)
	v_mul_f64 v[194:195], v[178:179], v[184:185]
	v_mul_f64 v[196:197], v[180:181], v[184:185]
	v_add_f64 v[190:191], v[190:191], v[186:187]
	v_add_f64 v[188:189], v[192:193], v[188:189]
	ds_load_b128 v[184:187], v41 offset:896
	v_fma_f64 v[194:195], v[180:181], v[182:183], v[194:195]
	v_fma_f64 v[182:183], v[178:179], v[182:183], -v[196:197]
	scratch_load_b128 v[178:181], off, off offset:320
	s_waitcnt vmcnt(9) lgkmcnt(1)
	v_mul_f64 v[192:193], v[1:2], v[39:40]
	v_mul_f64 v[39:40], v[3:4], v[39:40]
	v_add_f64 v[190:191], v[190:191], v[200:201]
	v_add_f64 v[188:189], v[188:189], v[198:199]
	s_delay_alu instid0(VALU_DEP_4) | instskip(NEXT) | instid1(VALU_DEP_4)
	v_fma_f64 v[192:193], v[3:4], v[37:38], v[192:193]
	v_fma_f64 v[198:199], v[1:2], v[37:38], -v[39:40]
	scratch_load_b128 v[37:40], off, off offset:336
	ds_load_b128 v[1:4], v41 offset:912
	s_waitcnt vmcnt(9) lgkmcnt(1)
	v_mul_f64 v[196:197], v[184:185], v[7:8]
	v_mul_f64 v[7:8], v[186:187], v[7:8]
	s_waitcnt vmcnt(8) lgkmcnt(0)
	v_mul_f64 v[200:201], v[1:2], v[11:12]
	v_mul_f64 v[11:12], v[3:4], v[11:12]
	v_add_f64 v[182:183], v[190:191], v[182:183]
	v_add_f64 v[194:195], v[188:189], v[194:195]
	ds_load_b128 v[188:191], v41 offset:928
	v_fma_f64 v[186:187], v[186:187], v[5:6], v[196:197]
	v_fma_f64 v[184:185], v[184:185], v[5:6], -v[7:8]
	scratch_load_b128 v[5:8], off, off offset:352
	v_fma_f64 v[196:197], v[3:4], v[9:10], v[200:201]
	v_add_f64 v[182:183], v[182:183], v[198:199]
	v_add_f64 v[192:193], v[194:195], v[192:193]
	v_fma_f64 v[198:199], v[1:2], v[9:10], -v[11:12]
	scratch_load_b128 v[9:12], off, off offset:368
	ds_load_b128 v[1:4], v41 offset:944
	s_waitcnt vmcnt(9) lgkmcnt(1)
	v_mul_f64 v[194:195], v[188:189], v[15:16]
	v_mul_f64 v[15:16], v[190:191], v[15:16]
	v_add_f64 v[200:201], v[182:183], v[184:185]
	v_add_f64 v[186:187], v[192:193], v[186:187]
	s_waitcnt vmcnt(8) lgkmcnt(0)
	v_mul_f64 v[192:193], v[1:2], v[19:20]
	v_mul_f64 v[19:20], v[3:4], v[19:20]
	ds_load_b128 v[182:185], v41 offset:960
	v_fma_f64 v[190:191], v[190:191], v[13:14], v[194:195]
	v_fma_f64 v[188:189], v[188:189], v[13:14], -v[15:16]
	scratch_load_b128 v[13:16], off, off offset:384
	v_add_f64 v[194:195], v[200:201], v[198:199]
	v_add_f64 v[186:187], v[186:187], v[196:197]
	v_fma_f64 v[192:193], v[3:4], v[17:18], v[192:193]
	v_fma_f64 v[198:199], v[1:2], v[17:18], -v[19:20]
	scratch_load_b128 v[17:20], off, off offset:400
	ds_load_b128 v[1:4], v41 offset:976
	s_waitcnt vmcnt(9) lgkmcnt(1)
	v_mul_f64 v[196:197], v[182:183], v[23:24]
	v_mul_f64 v[23:24], v[184:185], v[23:24]
	s_waitcnt vmcnt(8) lgkmcnt(0)
	v_mul_f64 v[200:201], v[1:2], v[27:28]
	v_mul_f64 v[27:28], v[3:4], v[27:28]
	v_add_f64 v[194:195], v[194:195], v[188:189]
	v_add_f64 v[190:191], v[186:187], v[190:191]
	ds_load_b128 v[186:189], v41 offset:992
	v_fma_f64 v[184:185], v[184:185], v[21:22], v[196:197]
	v_fma_f64 v[182:183], v[182:183], v[21:22], -v[23:24]
	scratch_load_b128 v[21:24], off, off offset:416
	v_fma_f64 v[196:197], v[3:4], v[25:26], v[200:201]
	v_add_f64 v[194:195], v[194:195], v[198:199]
	v_add_f64 v[190:191], v[190:191], v[192:193]
	v_fma_f64 v[198:199], v[1:2], v[25:26], -v[27:28]
	scratch_load_b128 v[25:28], off, off offset:432
	ds_load_b128 v[1:4], v41 offset:1008
	s_waitcnt vmcnt(9) lgkmcnt(1)
	v_mul_f64 v[192:193], v[186:187], v[31:32]
	v_mul_f64 v[31:32], v[188:189], v[31:32]
	s_waitcnt vmcnt(8) lgkmcnt(0)
	v_mul_f64 v[200:201], v[1:2], v[35:36]
	v_mul_f64 v[35:36], v[3:4], v[35:36]
	v_add_f64 v[194:195], v[194:195], v[182:183]
	v_add_f64 v[190:191], v[190:191], v[184:185]
	ds_load_b128 v[182:185], v41 offset:1024
	v_fma_f64 v[188:189], v[188:189], v[29:30], v[192:193]
	v_fma_f64 v[186:187], v[186:187], v[29:30], -v[31:32]
	scratch_load_b128 v[29:32], off, off offset:448
	v_add_f64 v[192:193], v[194:195], v[198:199]
	v_add_f64 v[190:191], v[190:191], v[196:197]
	v_fma_f64 v[196:197], v[3:4], v[33:34], v[200:201]
	v_fma_f64 v[198:199], v[1:2], v[33:34], -v[35:36]
	scratch_load_b128 v[33:36], off, off offset:464
	ds_load_b128 v[1:4], v41 offset:1040
	s_waitcnt vmcnt(9) lgkmcnt(1)
	v_mul_f64 v[194:195], v[182:183], v[180:181]
	v_mul_f64 v[180:181], v[184:185], v[180:181]
	s_waitcnt vmcnt(8) lgkmcnt(0)
	v_mul_f64 v[200:201], v[1:2], v[39:40]
	v_mul_f64 v[39:40], v[3:4], v[39:40]
	v_add_f64 v[192:193], v[192:193], v[186:187]
	v_add_f64 v[190:191], v[190:191], v[188:189]
	ds_load_b128 v[186:189], v41 offset:1056
	v_fma_f64 v[184:185], v[184:185], v[178:179], v[194:195]
	v_fma_f64 v[182:183], v[182:183], v[178:179], -v[180:181]
	scratch_load_b128 v[178:181], off, off offset:480
	v_add_f64 v[192:193], v[192:193], v[198:199]
	v_add_f64 v[190:191], v[190:191], v[196:197]
	v_fma_f64 v[196:197], v[3:4], v[37:38], v[200:201]
	;; [unrolled: 18-line block ×6, first 2 shown]
	v_fma_f64 v[200:201], v[1:2], v[33:34], -v[35:36]
	scratch_load_b128 v[33:36], off, off offset:624
	ds_load_b128 v[1:4], v41 offset:1200
	s_waitcnt vmcnt(9) lgkmcnt(1)
	v_mul_f64 v[194:195], v[186:187], v[180:181]
	v_mul_f64 v[196:197], v[188:189], v[180:181]
	v_add_f64 v[192:193], v[192:193], v[182:183]
	v_add_f64 v[184:185], v[190:191], v[184:185]
	s_waitcnt vmcnt(8) lgkmcnt(0)
	v_mul_f64 v[190:191], v[1:2], v[39:40]
	v_mul_f64 v[39:40], v[3:4], v[39:40]
	ds_load_b128 v[180:183], v41 offset:1216
	v_fma_f64 v[188:189], v[188:189], v[178:179], v[194:195]
	v_fma_f64 v[178:179], v[186:187], v[178:179], -v[196:197]
	v_add_f64 v[192:193], v[192:193], v[200:201]
	v_add_f64 v[194:195], v[184:185], v[198:199]
	scratch_load_b128 v[184:187], off, off offset:640
	v_fma_f64 v[198:199], v[3:4], v[37:38], v[190:191]
	v_fma_f64 v[200:201], v[1:2], v[37:38], -v[39:40]
	scratch_load_b128 v[37:40], off, off offset:656
	ds_load_b128 v[1:4], v41 offset:1232
	s_waitcnt vmcnt(9) lgkmcnt(1)
	v_mul_f64 v[196:197], v[180:181], v[7:8]
	v_mul_f64 v[7:8], v[182:183], v[7:8]
	v_add_f64 v[178:179], v[192:193], v[178:179]
	v_add_f64 v[192:193], v[194:195], v[188:189]
	s_waitcnt vmcnt(8) lgkmcnt(0)
	v_mul_f64 v[194:195], v[1:2], v[11:12]
	v_mul_f64 v[11:12], v[3:4], v[11:12]
	ds_load_b128 v[188:191], v41 offset:1248
	v_fma_f64 v[182:183], v[182:183], v[5:6], v[196:197]
	v_fma_f64 v[180:181], v[180:181], v[5:6], -v[7:8]
	scratch_load_b128 v[5:8], off, off offset:672
	v_add_f64 v[178:179], v[178:179], v[200:201]
	v_add_f64 v[192:193], v[192:193], v[198:199]
	v_fma_f64 v[194:195], v[3:4], v[9:10], v[194:195]
	v_fma_f64 v[198:199], v[1:2], v[9:10], -v[11:12]
	scratch_load_b128 v[9:12], off, off offset:688
	ds_load_b128 v[1:4], v41 offset:1264
	s_waitcnt vmcnt(9) lgkmcnt(1)
	v_mul_f64 v[196:197], v[188:189], v[15:16]
	v_mul_f64 v[15:16], v[190:191], v[15:16]
	v_add_f64 v[200:201], v[178:179], v[180:181]
	v_add_f64 v[182:183], v[192:193], v[182:183]
	s_waitcnt vmcnt(8) lgkmcnt(0)
	v_mul_f64 v[192:193], v[1:2], v[19:20]
	v_mul_f64 v[19:20], v[3:4], v[19:20]
	ds_load_b128 v[178:181], v41 offset:1280
	v_fma_f64 v[190:191], v[190:191], v[13:14], v[196:197]
	v_fma_f64 v[13:14], v[188:189], v[13:14], -v[15:16]
	s_waitcnt vmcnt(7) lgkmcnt(0)
	v_mul_f64 v[188:189], v[178:179], v[23:24]
	v_mul_f64 v[23:24], v[180:181], v[23:24]
	v_add_f64 v[15:16], v[200:201], v[198:199]
	v_add_f64 v[182:183], v[182:183], v[194:195]
	v_fma_f64 v[192:193], v[3:4], v[17:18], v[192:193]
	v_fma_f64 v[17:18], v[1:2], v[17:18], -v[19:20]
	v_fma_f64 v[180:181], v[180:181], v[21:22], v[188:189]
	v_fma_f64 v[21:22], v[178:179], v[21:22], -v[23:24]
	v_add_f64 v[19:20], v[15:16], v[13:14]
	v_add_f64 v[182:183], v[182:183], v[190:191]
	ds_load_b128 v[1:4], v41 offset:1296
	ds_load_b128 v[13:16], v41 offset:1312
	s_waitcnt vmcnt(6) lgkmcnt(1)
	v_mul_f64 v[190:191], v[1:2], v[27:28]
	v_mul_f64 v[27:28], v[3:4], v[27:28]
	s_waitcnt vmcnt(5) lgkmcnt(0)
	v_mul_f64 v[23:24], v[13:14], v[31:32]
	v_mul_f64 v[31:32], v[15:16], v[31:32]
	v_add_f64 v[17:18], v[19:20], v[17:18]
	v_add_f64 v[19:20], v[182:183], v[192:193]
	v_fma_f64 v[178:179], v[3:4], v[25:26], v[190:191]
	v_fma_f64 v[25:26], v[1:2], v[25:26], -v[27:28]
	v_fma_f64 v[15:16], v[15:16], v[29:30], v[23:24]
	v_fma_f64 v[13:14], v[13:14], v[29:30], -v[31:32]
	v_add_f64 v[21:22], v[17:18], v[21:22]
	v_add_f64 v[27:28], v[19:20], v[180:181]
	ds_load_b128 v[1:4], v41 offset:1328
	ds_load_b128 v[17:20], v41 offset:1344
	s_waitcnt vmcnt(4) lgkmcnt(1)
	v_mul_f64 v[180:181], v[1:2], v[35:36]
	v_mul_f64 v[35:36], v[3:4], v[35:36]
	v_add_f64 v[21:22], v[21:22], v[25:26]
	v_add_f64 v[23:24], v[27:28], v[178:179]
	s_waitcnt vmcnt(3) lgkmcnt(0)
	v_mul_f64 v[25:26], v[17:18], v[186:187]
	v_mul_f64 v[27:28], v[19:20], v[186:187]
	v_fma_f64 v[29:30], v[3:4], v[33:34], v[180:181]
	v_fma_f64 v[31:32], v[1:2], v[33:34], -v[35:36]
	v_add_f64 v[21:22], v[21:22], v[13:14]
	v_add_f64 v[23:24], v[23:24], v[15:16]
	ds_load_b128 v[1:4], v41 offset:1360
	ds_load_b128 v[13:16], v41 offset:1376
	v_fma_f64 v[19:20], v[19:20], v[184:185], v[25:26]
	v_fma_f64 v[17:18], v[17:18], v[184:185], -v[27:28]
	s_waitcnt vmcnt(2) lgkmcnt(1)
	v_mul_f64 v[33:34], v[1:2], v[39:40]
	v_mul_f64 v[35:36], v[3:4], v[39:40]
	s_waitcnt vmcnt(1) lgkmcnt(0)
	v_mul_f64 v[25:26], v[13:14], v[7:8]
	v_mul_f64 v[7:8], v[15:16], v[7:8]
	v_add_f64 v[21:22], v[21:22], v[31:32]
	v_add_f64 v[23:24], v[23:24], v[29:30]
	v_fma_f64 v[27:28], v[3:4], v[37:38], v[33:34]
	v_fma_f64 v[29:30], v[1:2], v[37:38], -v[35:36]
	ds_load_b128 v[1:4], v41 offset:1392
	v_fma_f64 v[15:16], v[15:16], v[5:6], v[25:26]
	v_fma_f64 v[5:6], v[13:14], v[5:6], -v[7:8]
	v_add_f64 v[17:18], v[21:22], v[17:18]
	v_add_f64 v[19:20], v[23:24], v[19:20]
	s_waitcnt vmcnt(0) lgkmcnt(0)
	v_mul_f64 v[21:22], v[1:2], v[11:12]
	v_mul_f64 v[11:12], v[3:4], v[11:12]
	s_delay_alu instid0(VALU_DEP_4) | instskip(NEXT) | instid1(VALU_DEP_4)
	v_add_f64 v[7:8], v[17:18], v[29:30]
	v_add_f64 v[13:14], v[19:20], v[27:28]
	s_delay_alu instid0(VALU_DEP_4) | instskip(NEXT) | instid1(VALU_DEP_4)
	v_fma_f64 v[3:4], v[3:4], v[9:10], v[21:22]
	v_fma_f64 v[1:2], v[1:2], v[9:10], -v[11:12]
	s_delay_alu instid0(VALU_DEP_4) | instskip(NEXT) | instid1(VALU_DEP_4)
	v_add_f64 v[5:6], v[7:8], v[5:6]
	v_add_f64 v[7:8], v[13:14], v[15:16]
	s_delay_alu instid0(VALU_DEP_2) | instskip(NEXT) | instid1(VALU_DEP_2)
	v_add_f64 v[1:2], v[5:6], v[1:2]
	v_add_f64 v[3:4], v[7:8], v[3:4]
	s_delay_alu instid0(VALU_DEP_2) | instskip(NEXT) | instid1(VALU_DEP_2)
	v_add_f64 v[1:2], v[42:43], -v[1:2]
	v_add_f64 v[3:4], v[44:45], -v[3:4]
	scratch_store_b128 off, v[1:4], off
	s_cbranch_vccz .LBB43_365
; %bb.278:
	v_dual_mov_b32 v1, s16 :: v_dual_mov_b32 v2, s17
	s_load_b64 s[0:1], s[0:1], 0x4
	flat_load_b32 v1, v[1:2] offset:168
	v_bfe_u32 v2, v0, 10, 10
	v_bfe_u32 v0, v0, 20, 10
	s_waitcnt lgkmcnt(0)
	s_lshr_b32 s0, s0, 16
	s_delay_alu instid0(VALU_DEP_2) | instskip(SKIP_1) | instid1(SALU_CYCLE_1)
	v_mul_u32_u24_e32 v2, s1, v2
	s_mul_i32 s0, s0, s1
	v_mul_u32_u24_e32 v3, s0, v134
	s_mov_b32 s0, exec_lo
	s_delay_alu instid0(VALU_DEP_1) | instskip(NEXT) | instid1(VALU_DEP_1)
	v_add3_u32 v0, v3, v2, v0
	v_lshl_add_u32 v0, v0, 4, 0x588
	s_waitcnt vmcnt(0)
	v_cmpx_ne_u32_e32 43, v1
	s_cbranch_execz .LBB43_280
; %bb.279:
	v_lshl_add_u32 v9, v1, 4, 0
	s_clause 0x1
	scratch_load_b128 v[1:4], v146, off
	scratch_load_b128 v[5:8], v9, off offset:-16
	s_waitcnt vmcnt(1)
	ds_store_2addr_b64 v0, v[1:2], v[3:4] offset1:1
	s_waitcnt vmcnt(0)
	s_clause 0x1
	scratch_store_b128 v146, v[5:8], off
	scratch_store_b128 v9, v[1:4], off offset:-16
.LBB43_280:
	s_or_b32 exec_lo, exec_lo, s0
	v_dual_mov_b32 v1, s16 :: v_dual_mov_b32 v2, s17
	s_mov_b32 s0, exec_lo
	flat_load_b32 v1, v[1:2] offset:164
	s_waitcnt vmcnt(0) lgkmcnt(0)
	v_cmpx_ne_u32_e32 42, v1
	s_cbranch_execz .LBB43_282
; %bb.281:
	v_lshl_add_u32 v9, v1, 4, 0
	s_clause 0x1
	scratch_load_b128 v[1:4], v148, off
	scratch_load_b128 v[5:8], v9, off offset:-16
	s_waitcnt vmcnt(1)
	ds_store_2addr_b64 v0, v[1:2], v[3:4] offset1:1
	s_waitcnt vmcnt(0)
	s_clause 0x1
	scratch_store_b128 v148, v[5:8], off
	scratch_store_b128 v9, v[1:4], off offset:-16
.LBB43_282:
	s_or_b32 exec_lo, exec_lo, s0
	v_dual_mov_b32 v1, s16 :: v_dual_mov_b32 v2, s17
	s_mov_b32 s0, exec_lo
	flat_load_b32 v1, v[1:2] offset:160
	s_waitcnt vmcnt(0) lgkmcnt(0)
	;; [unrolled: 19-line block ×41, first 2 shown]
	v_cmpx_ne_u32_e32 2, v1
	s_cbranch_execz .LBB43_362
; %bb.361:
	v_lshl_add_u32 v9, v1, 4, 0
	s_clause 0x1
	scratch_load_b128 v[1:4], v136, off
	scratch_load_b128 v[5:8], v9, off offset:-16
	s_waitcnt vmcnt(1)
	ds_store_2addr_b64 v0, v[1:2], v[3:4] offset1:1
	s_waitcnt vmcnt(0)
	s_clause 0x1
	scratch_store_b128 v136, v[5:8], off
	scratch_store_b128 v9, v[1:4], off offset:-16
.LBB43_362:
	s_or_b32 exec_lo, exec_lo, s0
	v_dual_mov_b32 v1, s16 :: v_dual_mov_b32 v2, s17
	s_mov_b32 s0, exec_lo
	flat_load_b32 v1, v[1:2]
	s_waitcnt vmcnt(0) lgkmcnt(0)
	v_cmpx_ne_u32_e32 1, v1
	s_cbranch_execz .LBB43_364
; %bb.363:
	v_lshl_add_u32 v9, v1, 4, 0
	scratch_load_b128 v[1:4], off, off
	scratch_load_b128 v[5:8], v9, off offset:-16
	s_waitcnt vmcnt(1)
	ds_store_2addr_b64 v0, v[1:2], v[3:4] offset1:1
	s_waitcnt vmcnt(0)
	scratch_store_b128 off, v[5:8], off
	scratch_store_b128 v9, v[1:4], off offset:-16
.LBB43_364:
	s_or_b32 exec_lo, exec_lo, s0
.LBB43_365:
	scratch_load_b128 v[0:3], off, off
	s_clause 0x18
	scratch_load_b128 v[4:7], v136, off
	scratch_load_b128 v[8:11], v135, off
	scratch_load_b128 v[12:15], v177, off
	scratch_load_b128 v[16:19], v176, off
	scratch_load_b128 v[20:23], v175, off
	scratch_load_b128 v[24:27], v174, off
	scratch_load_b128 v[28:31], v173, off
	scratch_load_b128 v[32:35], v172, off
	scratch_load_b128 v[36:39], v171, off
	scratch_load_b128 v[40:43], v170, off
	scratch_load_b128 v[169:172], v169, off
	scratch_load_b128 v[173:176], v168, off
	scratch_load_b128 v[177:180], v167, off
	scratch_load_b128 v[181:184], v166, off
	scratch_load_b128 v[165:168], v165, off
	scratch_load_b128 v[185:188], v164, off
	scratch_load_b128 v[189:192], v163, off
	scratch_load_b128 v[193:196], v162, off
	scratch_load_b128 v[161:164], v161, off
	scratch_load_b128 v[197:200], v160, off
	scratch_load_b128 v[201:204], v158, off
	scratch_load_b128 v[205:208], v157, off
	scratch_load_b128 v[209:212], v156, off
	scratch_load_b128 v[213:216], v154, off
	scratch_load_b128 v[217:220], v152, off
	s_waitcnt vmcnt(25)
	global_store_b128 v[46:47], v[0:3], off
	s_clause 0x1
	scratch_load_b128 v[0:3], v150, off
	scratch_load_b128 v[44:47], v149, off
	s_waitcnt vmcnt(26)
	global_store_b128 v[48:49], v[4:7], off
	s_clause 0x1
	scratch_load_b128 v[4:7], v147, off
	scratch_load_b128 v[221:224], v145, off
	;; [unrolled: 5-line block ×9, first 2 shown]
	s_waitcnt vmcnt(34)
	global_store_b128 v[62:63], v[36:39], off
	s_waitcnt vmcnt(33)
	global_store_b128 v[66:67], v[40:43], off
	;; [unrolled: 2-line block ×35, first 2 shown]
	s_endpgm
	.section	.rodata,"a",@progbits
	.p2align	6, 0x0
	.amdhsa_kernel _ZN9rocsolver6v33100L18getri_kernel_smallILi44E19rocblas_complex_numIdEPS3_EEvT1_iilPiilS6_bb
		.amdhsa_group_segment_fixed_size 2440
		.amdhsa_private_segment_fixed_size 720
		.amdhsa_kernarg_size 60
		.amdhsa_user_sgpr_count 15
		.amdhsa_user_sgpr_dispatch_ptr 1
		.amdhsa_user_sgpr_queue_ptr 0
		.amdhsa_user_sgpr_kernarg_segment_ptr 1
		.amdhsa_user_sgpr_dispatch_id 0
		.amdhsa_user_sgpr_private_segment_size 0
		.amdhsa_wavefront_size32 1
		.amdhsa_uses_dynamic_stack 0
		.amdhsa_enable_private_segment 1
		.amdhsa_system_sgpr_workgroup_id_x 1
		.amdhsa_system_sgpr_workgroup_id_y 0
		.amdhsa_system_sgpr_workgroup_id_z 0
		.amdhsa_system_sgpr_workgroup_info 0
		.amdhsa_system_vgpr_workitem_id 2
		.amdhsa_next_free_vgpr 238
		.amdhsa_next_free_sgpr 50
		.amdhsa_reserve_vcc 1
		.amdhsa_float_round_mode_32 0
		.amdhsa_float_round_mode_16_64 0
		.amdhsa_float_denorm_mode_32 3
		.amdhsa_float_denorm_mode_16_64 3
		.amdhsa_dx10_clamp 1
		.amdhsa_ieee_mode 1
		.amdhsa_fp16_overflow 0
		.amdhsa_workgroup_processor_mode 1
		.amdhsa_memory_ordered 1
		.amdhsa_forward_progress 0
		.amdhsa_shared_vgpr_count 0
		.amdhsa_exception_fp_ieee_invalid_op 0
		.amdhsa_exception_fp_denorm_src 0
		.amdhsa_exception_fp_ieee_div_zero 0
		.amdhsa_exception_fp_ieee_overflow 0
		.amdhsa_exception_fp_ieee_underflow 0
		.amdhsa_exception_fp_ieee_inexact 0
		.amdhsa_exception_int_div_zero 0
	.end_amdhsa_kernel
	.section	.text._ZN9rocsolver6v33100L18getri_kernel_smallILi44E19rocblas_complex_numIdEPS3_EEvT1_iilPiilS6_bb,"axG",@progbits,_ZN9rocsolver6v33100L18getri_kernel_smallILi44E19rocblas_complex_numIdEPS3_EEvT1_iilPiilS6_bb,comdat
.Lfunc_end43:
	.size	_ZN9rocsolver6v33100L18getri_kernel_smallILi44E19rocblas_complex_numIdEPS3_EEvT1_iilPiilS6_bb, .Lfunc_end43-_ZN9rocsolver6v33100L18getri_kernel_smallILi44E19rocblas_complex_numIdEPS3_EEvT1_iilPiilS6_bb
                                        ; -- End function
	.section	.AMDGPU.csdata,"",@progbits
; Kernel info:
; codeLenInByte = 91724
; NumSgprs: 52
; NumVgprs: 238
; ScratchSize: 720
; MemoryBound: 0
; FloatMode: 240
; IeeeMode: 1
; LDSByteSize: 2440 bytes/workgroup (compile time only)
; SGPRBlocks: 6
; VGPRBlocks: 29
; NumSGPRsForWavesPerEU: 52
; NumVGPRsForWavesPerEU: 238
; Occupancy: 6
; WaveLimiterHint : 1
; COMPUTE_PGM_RSRC2:SCRATCH_EN: 1
; COMPUTE_PGM_RSRC2:USER_SGPR: 15
; COMPUTE_PGM_RSRC2:TRAP_HANDLER: 0
; COMPUTE_PGM_RSRC2:TGID_X_EN: 1
; COMPUTE_PGM_RSRC2:TGID_Y_EN: 0
; COMPUTE_PGM_RSRC2:TGID_Z_EN: 0
; COMPUTE_PGM_RSRC2:TIDIG_COMP_CNT: 2
	.section	.text._ZN9rocsolver6v33100L18getri_kernel_smallILi45E19rocblas_complex_numIdEPS3_EEvT1_iilPiilS6_bb,"axG",@progbits,_ZN9rocsolver6v33100L18getri_kernel_smallILi45E19rocblas_complex_numIdEPS3_EEvT1_iilPiilS6_bb,comdat
	.globl	_ZN9rocsolver6v33100L18getri_kernel_smallILi45E19rocblas_complex_numIdEPS3_EEvT1_iilPiilS6_bb ; -- Begin function _ZN9rocsolver6v33100L18getri_kernel_smallILi45E19rocblas_complex_numIdEPS3_EEvT1_iilPiilS6_bb
	.p2align	8
	.type	_ZN9rocsolver6v33100L18getri_kernel_smallILi45E19rocblas_complex_numIdEPS3_EEvT1_iilPiilS6_bb,@function
_ZN9rocsolver6v33100L18getri_kernel_smallILi45E19rocblas_complex_numIdEPS3_EEvT1_iilPiilS6_bb: ; @_ZN9rocsolver6v33100L18getri_kernel_smallILi45E19rocblas_complex_numIdEPS3_EEvT1_iilPiilS6_bb
; %bb.0:
	v_and_b32_e32 v136, 0x3ff, v0
	s_mov_b32 s4, exec_lo
	s_delay_alu instid0(VALU_DEP_1)
	v_cmpx_gt_u32_e32 45, v136
	s_cbranch_execz .LBB44_194
; %bb.1:
	s_mov_b32 s18, s15
	s_clause 0x2
	s_load_b32 s21, s[2:3], 0x38
	s_load_b128 s[12:15], s[2:3], 0x10
	s_load_b128 s[4:7], s[2:3], 0x28
                                        ; implicit-def: $sgpr16_sgpr17
	s_waitcnt lgkmcnt(0)
	s_bitcmp1_b32 s21, 8
	s_cselect_b32 s20, -1, 0
	s_bfe_u32 s8, s21, 0x10008
	s_ashr_i32 s19, s18, 31
	s_cmp_eq_u32 s8, 0
	s_cbranch_scc1 .LBB44_3
; %bb.2:
	s_load_b32 s8, s[2:3], 0x20
	s_mul_i32 s5, s18, s5
	s_mul_hi_u32 s9, s18, s4
	s_mul_i32 s10, s19, s4
	s_add_i32 s5, s9, s5
	s_mul_i32 s4, s18, s4
	s_add_i32 s5, s5, s10
	s_delay_alu instid0(SALU_CYCLE_1)
	s_lshl_b64 s[4:5], s[4:5], 2
	s_waitcnt lgkmcnt(0)
	s_ashr_i32 s9, s8, 31
	s_add_u32 s10, s14, s4
	s_addc_u32 s11, s15, s5
	s_lshl_b64 s[4:5], s[8:9], 2
	s_delay_alu instid0(SALU_CYCLE_1)
	s_add_u32 s16, s10, s4
	s_addc_u32 s17, s11, s5
.LBB44_3:
	s_load_b128 s[8:11], s[2:3], 0x0
	s_mul_i32 s2, s18, s13
	s_mul_hi_u32 s3, s18, s12
	s_mul_i32 s4, s19, s12
	s_add_i32 s3, s3, s2
	s_mul_i32 s2, s18, s12
	s_add_i32 s3, s3, s4
	v_lshlrev_b32_e32 v13, 4, v136
	s_lshl_b64 s[2:3], s[2:3], 4
	s_movk_i32 s12, 0xd0
	s_movk_i32 s13, 0xe0
	;; [unrolled: 1-line block ×11, first 2 shown]
	s_waitcnt lgkmcnt(0)
	v_add3_u32 v5, s11, s11, v136
	s_ashr_i32 s5, s10, 31
	s_mov_b32 s4, s10
	s_add_u32 s8, s8, s2
	s_addc_u32 s9, s9, s3
	v_add_nc_u32_e32 v7, s11, v5
	s_lshl_b64 s[2:3], s[4:5], 4
	v_ashrrev_i32_e32 v6, 31, v5
	s_add_u32 s2, s8, s2
	s_addc_u32 s3, s9, s3
	v_add_co_u32 v46, s8, s2, v13
	v_add_nc_u32_e32 v9, s11, v7
	s_mov_b32 s4, s11
	s_ashr_i32 s5, s11, 31
	v_add_co_ci_u32_e64 v47, null, s3, 0, s8
	v_ashrrev_i32_e32 v8, 31, v7
	v_lshlrev_b64 v[5:6], 4, v[5:6]
	s_lshl_b64 s[4:5], s[4:5], 4
	v_ashrrev_i32_e32 v10, 31, v9
	v_add_co_u32 v48, vcc_lo, v46, s4
	v_add_nc_u32_e32 v11, s11, v9
	v_add_co_ci_u32_e32 v49, vcc_lo, s5, v47, vcc_lo
	v_lshlrev_b64 v[7:8], 4, v[7:8]
	v_add_co_u32 v50, vcc_lo, s2, v5
	v_add_co_ci_u32_e32 v51, vcc_lo, s3, v6, vcc_lo
	v_lshlrev_b64 v[5:6], 4, v[9:10]
	v_ashrrev_i32_e32 v12, 31, v11
	v_add_nc_u32_e32 v9, s11, v11
	v_add_co_u32 v52, vcc_lo, s2, v7
	v_add_co_ci_u32_e32 v53, vcc_lo, s3, v8, vcc_lo
	s_delay_alu instid0(VALU_DEP_4) | instskip(NEXT) | instid1(VALU_DEP_4)
	v_lshlrev_b64 v[7:8], 4, v[11:12]
	v_ashrrev_i32_e32 v10, 31, v9
	v_add_nc_u32_e32 v11, s11, v9
	v_add_co_u32 v54, vcc_lo, s2, v5
	v_add_co_ci_u32_e32 v55, vcc_lo, s3, v6, vcc_lo
	s_delay_alu instid0(VALU_DEP_4) | instskip(NEXT) | instid1(VALU_DEP_4)
	v_lshlrev_b64 v[5:6], 4, v[9:10]
	v_ashrrev_i32_e32 v12, 31, v11
	v_add_nc_u32_e32 v9, s11, v11
	v_add_co_u32 v56, vcc_lo, s2, v7
	v_add_co_ci_u32_e32 v57, vcc_lo, s3, v8, vcc_lo
	s_delay_alu instid0(VALU_DEP_4) | instskip(NEXT) | instid1(VALU_DEP_4)
	v_lshlrev_b64 v[7:8], 4, v[11:12]
	v_ashrrev_i32_e32 v10, 31, v9
	v_add_nc_u32_e32 v11, s11, v9
	v_add_co_u32 v58, vcc_lo, s2, v5
	v_add_co_ci_u32_e32 v59, vcc_lo, s3, v6, vcc_lo
	s_delay_alu instid0(VALU_DEP_4) | instskip(NEXT) | instid1(VALU_DEP_4)
	v_lshlrev_b64 v[5:6], 4, v[9:10]
	v_ashrrev_i32_e32 v12, 31, v11
	v_add_nc_u32_e32 v9, s11, v11
	v_add_co_u32 v60, vcc_lo, s2, v7
	v_add_co_ci_u32_e32 v61, vcc_lo, s3, v8, vcc_lo
	s_delay_alu instid0(VALU_DEP_4) | instskip(NEXT) | instid1(VALU_DEP_4)
	v_lshlrev_b64 v[7:8], 4, v[11:12]
	v_ashrrev_i32_e32 v10, 31, v9
	v_add_nc_u32_e32 v11, s11, v9
	v_add_co_u32 v62, vcc_lo, s2, v5
	v_add_co_ci_u32_e32 v63, vcc_lo, s3, v6, vcc_lo
	s_delay_alu instid0(VALU_DEP_4) | instskip(NEXT) | instid1(VALU_DEP_4)
	v_lshlrev_b64 v[5:6], 4, v[9:10]
	v_add_nc_u32_e32 v9, s11, v11
	v_ashrrev_i32_e32 v12, 31, v11
	v_add_co_u32 v64, vcc_lo, s2, v7
	v_add_co_ci_u32_e32 v65, vcc_lo, s3, v8, vcc_lo
	s_delay_alu instid0(VALU_DEP_4) | instskip(NEXT) | instid1(VALU_DEP_4)
	v_add_nc_u32_e32 v32, s11, v9
	v_lshlrev_b64 v[30:31], 4, v[11:12]
	v_ashrrev_i32_e32 v10, 31, v9
	v_add_co_u32 v66, vcc_lo, s2, v5
	s_delay_alu instid0(VALU_DEP_4)
	v_ashrrev_i32_e32 v33, 31, v32
	global_load_b128 v[1:4], v13, s[2:3]
	v_add_co_ci_u32_e32 v67, vcc_lo, s3, v6, vcc_lo
	v_lshlrev_b64 v[70:71], 4, v[9:10]
	s_clause 0x1
	global_load_b128 v[5:8], v[48:49], off
	global_load_b128 v[9:12], v[50:51], off
	v_add_co_u32 v68, vcc_lo, s2, v30
	s_clause 0x3
	global_load_b128 v[14:17], v[52:53], off
	global_load_b128 v[18:21], v[54:55], off
	;; [unrolled: 1-line block ×4, first 2 shown]
	v_add_co_ci_u32_e32 v69, vcc_lo, s3, v31, vcc_lo
	v_add_nc_u32_e32 v76, s11, v32
	v_lshlrev_b64 v[72:73], 4, v[32:33]
	s_clause 0x4
	global_load_b128 v[30:33], v[60:61], off
	global_load_b128 v[34:37], v[62:63], off
	;; [unrolled: 1-line block ×5, first 2 shown]
	v_add_co_u32 v70, vcc_lo, s2, v70
	v_ashrrev_i32_e32 v77, 31, v76
	v_add_co_ci_u32_e32 v71, vcc_lo, s3, v71, vcc_lo
	v_add_co_u32 v72, vcc_lo, s2, v72
	s_delay_alu instid0(VALU_DEP_3) | instskip(SKIP_4) | instid1(VALU_DEP_2)
	v_lshlrev_b64 v[74:75], 4, v[76:77]
	v_add_nc_u32_e32 v76, s11, v76
	v_add_co_ci_u32_e32 v73, vcc_lo, s3, v73, vcc_lo
	s_movk_i32 s4, 0x70
	s_movk_i32 s5, 0x80
	v_add_nc_u32_e32 v78, s11, v76
	v_ashrrev_i32_e32 v77, 31, v76
	v_add_co_u32 v74, vcc_lo, s2, v74
	v_add_co_ci_u32_e32 v75, vcc_lo, s3, v75, vcc_lo
	s_delay_alu instid0(VALU_DEP_4)
	v_add_nc_u32_e32 v80, s11, v78
	v_ashrrev_i32_e32 v79, 31, v78
	v_lshlrev_b64 v[76:77], 4, v[76:77]
	s_clause 0x2
	global_load_b128 v[141:144], v[70:71], off
	global_load_b128 v[145:148], v[72:73], off
	;; [unrolled: 1-line block ×3, first 2 shown]
	s_movk_i32 s8, 0x90
	v_add_nc_u32_e32 v82, s11, v80
	v_ashrrev_i32_e32 v81, 31, v80
	v_lshlrev_b64 v[78:79], 4, v[78:79]
	v_add_co_u32 v76, vcc_lo, s2, v76
	s_delay_alu instid0(VALU_DEP_4) | instskip(SKIP_3) | instid1(VALU_DEP_4)
	v_add_nc_u32_e32 v84, s11, v82
	v_ashrrev_i32_e32 v83, 31, v82
	v_lshlrev_b64 v[80:81], 4, v[80:81]
	v_add_co_ci_u32_e32 v77, vcc_lo, s3, v77, vcc_lo
	v_add_nc_u32_e32 v86, s11, v84
	v_ashrrev_i32_e32 v85, 31, v84
	v_add_co_u32 v78, vcc_lo, s2, v78
	v_lshlrev_b64 v[82:83], 4, v[82:83]
	s_delay_alu instid0(VALU_DEP_4) | instskip(SKIP_3) | instid1(VALU_DEP_4)
	v_add_nc_u32_e32 v88, s11, v86
	v_ashrrev_i32_e32 v87, 31, v86
	v_add_co_ci_u32_e32 v79, vcc_lo, s3, v79, vcc_lo
	v_add_co_u32 v80, vcc_lo, s2, v80
	v_add_nc_u32_e32 v90, s11, v88
	v_lshlrev_b64 v[84:85], 4, v[84:85]
	v_ashrrev_i32_e32 v89, 31, v88
	v_add_co_ci_u32_e32 v81, vcc_lo, s3, v81, vcc_lo
	s_delay_alu instid0(VALU_DEP_4) | instskip(SKIP_3) | instid1(VALU_DEP_4)
	v_add_nc_u32_e32 v92, s11, v90
	v_add_co_u32 v82, vcc_lo, s2, v82
	v_lshlrev_b64 v[86:87], 4, v[86:87]
	v_ashrrev_i32_e32 v91, 31, v90
	v_add_nc_u32_e32 v94, s11, v92
	v_add_co_ci_u32_e32 v83, vcc_lo, s3, v83, vcc_lo
	v_add_co_u32 v84, vcc_lo, s2, v84
	s_delay_alu instid0(VALU_DEP_3) | instskip(SKIP_3) | instid1(VALU_DEP_4)
	v_add_nc_u32_e32 v96, s11, v94
	v_lshlrev_b64 v[88:89], 4, v[88:89]
	v_ashrrev_i32_e32 v93, 31, v92
	v_add_co_ci_u32_e32 v85, vcc_lo, s3, v85, vcc_lo
	v_add_nc_u32_e32 v98, s11, v96
	v_add_co_u32 v86, vcc_lo, s2, v86
	v_lshlrev_b64 v[90:91], 4, v[90:91]
	v_ashrrev_i32_e32 v95, 31, v94
	s_delay_alu instid0(VALU_DEP_4) | instskip(SKIP_2) | instid1(VALU_DEP_3)
	v_add_nc_u32_e32 v100, s11, v98
	v_add_co_ci_u32_e32 v87, vcc_lo, s3, v87, vcc_lo
	v_add_co_u32 v88, vcc_lo, s2, v88
	v_add_nc_u32_e32 v102, s11, v100
	v_lshlrev_b64 v[92:93], 4, v[92:93]
	v_ashrrev_i32_e32 v97, 31, v96
	v_add_co_ci_u32_e32 v89, vcc_lo, s3, v89, vcc_lo
	s_delay_alu instid0(VALU_DEP_4) | instskip(SKIP_3) | instid1(VALU_DEP_4)
	v_add_nc_u32_e32 v104, s11, v102
	v_add_co_u32 v90, vcc_lo, s2, v90
	v_lshlrev_b64 v[94:95], 4, v[94:95]
	v_ashrrev_i32_e32 v99, 31, v98
	v_add_nc_u32_e32 v106, s11, v104
	v_add_co_ci_u32_e32 v91, vcc_lo, s3, v91, vcc_lo
	v_add_co_u32 v92, vcc_lo, s2, v92
	s_delay_alu instid0(VALU_DEP_3) | instskip(SKIP_3) | instid1(VALU_DEP_4)
	v_add_nc_u32_e32 v108, s11, v106
	v_lshlrev_b64 v[96:97], 4, v[96:97]
	v_ashrrev_i32_e32 v101, 31, v100
	v_add_co_ci_u32_e32 v93, vcc_lo, s3, v93, vcc_lo
	v_add_nc_u32_e32 v110, s11, v108
	v_add_co_u32 v94, vcc_lo, s2, v94
	v_lshlrev_b64 v[98:99], 4, v[98:99]
	v_ashrrev_i32_e32 v103, 31, v102
	s_delay_alu instid0(VALU_DEP_4) | instskip(SKIP_2) | instid1(VALU_DEP_3)
	v_add_nc_u32_e32 v112, s11, v110
	v_add_co_ci_u32_e32 v95, vcc_lo, s3, v95, vcc_lo
	v_add_co_u32 v96, vcc_lo, s2, v96
	v_add_nc_u32_e32 v114, s11, v112
	v_lshlrev_b64 v[100:101], 4, v[100:101]
	v_ashrrev_i32_e32 v105, 31, v104
	v_add_co_ci_u32_e32 v97, vcc_lo, s3, v97, vcc_lo
	s_delay_alu instid0(VALU_DEP_4) | instskip(SKIP_3) | instid1(VALU_DEP_4)
	v_add_nc_u32_e32 v116, s11, v114
	v_add_co_u32 v98, vcc_lo, s2, v98
	v_lshlrev_b64 v[102:103], 4, v[102:103]
	v_ashrrev_i32_e32 v107, 31, v106
	v_add_nc_u32_e32 v118, s11, v116
	v_add_co_ci_u32_e32 v99, vcc_lo, s3, v99, vcc_lo
	v_add_co_u32 v100, vcc_lo, s2, v100
	v_lshlrev_b64 v[104:105], 4, v[104:105]
	s_delay_alu instid0(VALU_DEP_4)
	v_add_nc_u32_e32 v120, s11, v118
	v_ashrrev_i32_e32 v109, 31, v108
	v_add_co_ci_u32_e32 v101, vcc_lo, s3, v101, vcc_lo
	v_add_co_u32 v102, vcc_lo, s2, v102
	v_lshlrev_b64 v[106:107], 4, v[106:107]
	v_ashrrev_i32_e32 v111, 31, v110
	v_add_co_ci_u32_e32 v103, vcc_lo, s3, v103, vcc_lo
	v_add_nc_u32_e32 v122, s11, v120
	v_add_co_u32 v104, vcc_lo, s2, v104
	v_lshlrev_b64 v[108:109], 4, v[108:109]
	v_ashrrev_i32_e32 v113, 31, v112
	v_add_co_ci_u32_e32 v105, vcc_lo, s3, v105, vcc_lo
	v_add_co_u32 v106, vcc_lo, s2, v106
	v_lshlrev_b64 v[110:111], 4, v[110:111]
	v_ashrrev_i32_e32 v115, 31, v114
	v_add_nc_u32_e32 v124, s11, v122
	v_add_co_ci_u32_e32 v107, vcc_lo, s3, v107, vcc_lo
	v_add_co_u32 v108, vcc_lo, s2, v108
	v_lshlrev_b64 v[112:113], 4, v[112:113]
	v_ashrrev_i32_e32 v117, 31, v116
	v_add_co_ci_u32_e32 v109, vcc_lo, s3, v109, vcc_lo
	v_add_co_u32 v110, vcc_lo, s2, v110
	v_lshlrev_b64 v[114:115], 4, v[114:115]
	v_add_nc_u32_e32 v126, s11, v124
	v_ashrrev_i32_e32 v119, 31, v118
	v_add_co_ci_u32_e32 v111, vcc_lo, s3, v111, vcc_lo
	v_add_co_u32 v112, vcc_lo, s2, v112
	v_lshlrev_b64 v[116:117], 4, v[116:117]
	v_ashrrev_i32_e32 v121, 31, v120
	v_add_co_ci_u32_e32 v113, vcc_lo, s3, v113, vcc_lo
	v_add_nc_u32_e32 v128, s11, v126
	v_add_co_u32 v114, vcc_lo, s2, v114
	v_lshlrev_b64 v[118:119], 4, v[118:119]
	v_ashrrev_i32_e32 v123, 31, v122
	v_add_co_ci_u32_e32 v115, vcc_lo, s3, v115, vcc_lo
	v_add_co_u32 v116, vcc_lo, s2, v116
	v_lshlrev_b64 v[120:121], 4, v[120:121]
	v_ashrrev_i32_e32 v125, 31, v124
	v_add_nc_u32_e32 v130, s11, v128
	v_add_co_ci_u32_e32 v117, vcc_lo, s3, v117, vcc_lo
	v_add_co_u32 v118, vcc_lo, s2, v118
	v_lshlrev_b64 v[122:123], 4, v[122:123]
	v_ashrrev_i32_e32 v127, 31, v126
	v_add_co_ci_u32_e32 v119, vcc_lo, s3, v119, vcc_lo
	v_add_co_u32 v120, vcc_lo, s2, v120
	v_lshlrev_b64 v[124:125], 4, v[124:125]
	v_add_nc_u32_e32 v132, s11, v130
	v_ashrrev_i32_e32 v129, 31, v128
	v_add_co_ci_u32_e32 v121, vcc_lo, s3, v121, vcc_lo
	v_add_co_u32 v122, vcc_lo, s2, v122
	v_lshlrev_b64 v[126:127], 4, v[126:127]
	v_ashrrev_i32_e32 v131, 31, v130
	v_add_co_ci_u32_e32 v123, vcc_lo, s3, v123, vcc_lo
	v_add_nc_u32_e32 v134, s11, v132
	v_add_co_u32 v124, vcc_lo, s2, v124
	v_lshlrev_b64 v[128:129], 4, v[128:129]
	v_ashrrev_i32_e32 v133, 31, v132
	v_add_co_ci_u32_e32 v125, vcc_lo, s3, v125, vcc_lo
	v_add_co_u32 v126, vcc_lo, s2, v126
	v_lshlrev_b64 v[130:131], 4, v[130:131]
	v_ashrrev_i32_e32 v135, 31, v134
	v_add_co_ci_u32_e32 v127, vcc_lo, s3, v127, vcc_lo
	v_add_co_u32 v128, vcc_lo, s2, v128
	v_lshlrev_b64 v[132:133], 4, v[132:133]
	v_add_co_ci_u32_e32 v129, vcc_lo, s3, v129, vcc_lo
	v_add_co_u32 v130, vcc_lo, s2, v130
	v_lshlrev_b64 v[134:135], 4, v[134:135]
	v_add_co_ci_u32_e32 v131, vcc_lo, s3, v131, vcc_lo
	v_add_co_u32 v132, vcc_lo, s2, v132
	v_add_co_ci_u32_e32 v133, vcc_lo, s3, v133, vcc_lo
	s_delay_alu instid0(VALU_DEP_4)
	v_add_co_u32 v134, vcc_lo, s2, v134
	s_clause 0xd
	global_load_b128 v[153:156], v[76:77], off
	global_load_b128 v[157:160], v[78:79], off
	;; [unrolled: 1-line block ×14, first 2 shown]
	v_add_co_ci_u32_e32 v135, vcc_lo, s3, v135, vcc_lo
	s_movk_i32 s2, 0x50
	s_movk_i32 s3, 0x60
	;; [unrolled: 1-line block ×26, first 2 shown]
	v_add_nc_u32_e64 v180, 0, 16
	v_add_nc_u32_e64 v179, 0, 32
	;; [unrolled: 1-line block ×12, first 2 shown]
	s_bitcmp0_b32 s21, 0
	s_mov_b32 s3, -1
	s_waitcnt vmcnt(28)
	scratch_store_b128 off, v[1:4], off
	s_clause 0x1
	global_load_b128 v[1:4], v[104:105], off
	global_load_b128 v[221:224], v[106:107], off
	s_waitcnt vmcnt(29)
	scratch_store_b128 off, v[5:8], off offset:16
	s_waitcnt vmcnt(28)
	scratch_store_b128 off, v[9:12], off offset:32
	s_clause 0x1
	global_load_b128 v[5:8], v[108:109], off
	global_load_b128 v[9:12], v[110:111], off
	s_waitcnt vmcnt(29)
	scratch_store_b128 off, v[14:17], off offset:48
	s_waitcnt vmcnt(28)
	scratch_store_b128 off, v[18:21], off offset:64
	s_clause 0x1
	global_load_b128 v[14:17], v[112:113], off
	global_load_b128 v[18:21], v[114:115], off
	s_waitcnt vmcnt(29)
	scratch_store_b128 off, v[22:25], off offset:80
	s_waitcnt vmcnt(28)
	scratch_store_b128 off, v[26:29], off offset:96
	s_clause 0x1
	global_load_b128 v[22:25], v[116:117], off
	global_load_b128 v[26:29], v[118:119], off
	s_waitcnt vmcnt(29)
	scratch_store_b128 off, v[30:33], off offset:112
	s_waitcnt vmcnt(28)
	scratch_store_b128 off, v[34:37], off offset:128
	s_clause 0x1
	global_load_b128 v[30:33], v[120:121], off
	global_load_b128 v[34:37], v[122:123], off
	s_waitcnt vmcnt(29)
	scratch_store_b128 off, v[38:41], off offset:144
	s_waitcnt vmcnt(28)
	scratch_store_b128 off, v[42:45], off offset:160
	s_clause 0x5
	global_load_b128 v[38:41], v[124:125], off
	global_load_b128 v[42:45], v[126:127], off
	;; [unrolled: 1-line block ×6, first 2 shown]
	s_waitcnt vmcnt(33)
	scratch_store_b128 off, v[137:140], off offset:176
	v_add_nc_u32_e64 v140, s37, 0
	v_add_nc_u32_e64 v138, s38, 0
	;; [unrolled: 1-line block ×4, first 2 shown]
	s_waitcnt vmcnt(32)
	scratch_store_b128 off, v[141:144], off offset:192
	s_waitcnt vmcnt(31)
	scratch_store_b128 off, v[145:148], off offset:208
	;; [unrolled: 2-line block ×3, first 2 shown]
	v_add_nc_u32_e64 v151, s30, 0
	v_add_nc_u32_e64 v150, s31, 0
	;; [unrolled: 1-line block ×12, first 2 shown]
	s_waitcnt vmcnt(29)
	scratch_store_b128 off, v[153:156], off offset:240
	s_waitcnt vmcnt(28)
	scratch_store_b128 off, v[157:160], off offset:256
	;; [unrolled: 2-line block ×4, first 2 shown]
	v_add_nc_u32_e64 v168, s12, 0
	v_add_nc_u32_e64 v167, s13, 0
	;; [unrolled: 1-line block ×16, first 2 shown]
	s_waitcnt vmcnt(25)
	scratch_store_b128 off, v[181:184], off offset:304
	s_waitcnt vmcnt(24)
	scratch_store_b128 off, v[185:188], off offset:320
	;; [unrolled: 2-line block ×26, first 2 shown]
	s_cbranch_scc1 .LBB44_192
; %bb.4:
	v_cmp_eq_u32_e64 s2, 0, v136
	s_delay_alu instid0(VALU_DEP_1)
	s_and_saveexec_b32 s3, s2
	s_cbranch_execz .LBB44_6
; %bb.5:
	v_mov_b32_e32 v1, 0
	ds_store_b32 v1, v1 offset:1440
.LBB44_6:
	s_or_b32 exec_lo, exec_lo, s3
	s_waitcnt lgkmcnt(0)
	s_waitcnt_vscnt null, 0x0
	s_barrier
	buffer_gl0_inv
	scratch_load_b128 v[1:4], v13, off
	s_waitcnt vmcnt(0)
	v_cmp_eq_f64_e32 vcc_lo, 0, v[1:2]
	v_cmp_eq_f64_e64 s3, 0, v[3:4]
	s_delay_alu instid0(VALU_DEP_1) | instskip(NEXT) | instid1(SALU_CYCLE_1)
	s_and_b32 s3, vcc_lo, s3
	s_and_saveexec_b32 s4, s3
	s_cbranch_execz .LBB44_10
; %bb.7:
	v_mov_b32_e32 v1, 0
	s_mov_b32 s5, 0
	ds_load_b32 v2, v1 offset:1440
	s_waitcnt lgkmcnt(0)
	v_readfirstlane_b32 s3, v2
	v_add_nc_u32_e32 v2, 1, v136
	s_delay_alu instid0(VALU_DEP_2) | instskip(NEXT) | instid1(VALU_DEP_1)
	s_cmp_eq_u32 s3, 0
	v_cmp_gt_i32_e32 vcc_lo, s3, v2
	s_cselect_b32 s8, -1, 0
	s_delay_alu instid0(SALU_CYCLE_1) | instskip(NEXT) | instid1(SALU_CYCLE_1)
	s_or_b32 s8, s8, vcc_lo
	s_and_b32 exec_lo, exec_lo, s8
	s_cbranch_execz .LBB44_10
; %bb.8:
	v_mov_b32_e32 v3, s3
.LBB44_9:                               ; =>This Inner Loop Header: Depth=1
	ds_cmpstore_rtn_b32 v3, v1, v2, v3 offset:1440
	s_waitcnt lgkmcnt(0)
	v_cmp_ne_u32_e32 vcc_lo, 0, v3
	v_cmp_le_i32_e64 s3, v3, v2
	s_delay_alu instid0(VALU_DEP_1) | instskip(NEXT) | instid1(SALU_CYCLE_1)
	s_and_b32 s3, vcc_lo, s3
	s_and_b32 s3, exec_lo, s3
	s_delay_alu instid0(SALU_CYCLE_1) | instskip(NEXT) | instid1(SALU_CYCLE_1)
	s_or_b32 s5, s3, s5
	s_and_not1_b32 exec_lo, exec_lo, s5
	s_cbranch_execnz .LBB44_9
.LBB44_10:
	s_or_b32 exec_lo, exec_lo, s4
	v_mov_b32_e32 v1, 0
	s_barrier
	buffer_gl0_inv
	ds_load_b32 v2, v1 offset:1440
	s_and_saveexec_b32 s3, s2
	s_cbranch_execz .LBB44_12
; %bb.11:
	s_lshl_b64 s[4:5], s[18:19], 2
	s_delay_alu instid0(SALU_CYCLE_1)
	s_add_u32 s4, s6, s4
	s_addc_u32 s5, s7, s5
	s_waitcnt lgkmcnt(0)
	global_store_b32 v1, v2, s[4:5]
.LBB44_12:
	s_or_b32 exec_lo, exec_lo, s3
	s_waitcnt lgkmcnt(0)
	v_cmp_ne_u32_e32 vcc_lo, 0, v2
	s_mov_b32 s3, 0
	s_cbranch_vccnz .LBB44_192
; %bb.13:
	v_add_nc_u32_e32 v14, 0, v13
                                        ; implicit-def: $vgpr9_vgpr10
	scratch_load_b128 v[1:4], v14, off
	s_waitcnt vmcnt(0)
	v_mov_b32_e32 v5, v1
	v_cmp_gt_f64_e32 vcc_lo, 0, v[1:2]
	v_xor_b32_e32 v6, 0x80000000, v2
	v_xor_b32_e32 v7, 0x80000000, v4
	s_delay_alu instid0(VALU_DEP_2) | instskip(SKIP_1) | instid1(VALU_DEP_3)
	v_cndmask_b32_e32 v6, v2, v6, vcc_lo
	v_cmp_gt_f64_e32 vcc_lo, 0, v[3:4]
	v_dual_cndmask_b32 v8, v4, v7 :: v_dual_mov_b32 v7, v3
	s_delay_alu instid0(VALU_DEP_1) | instskip(SKIP_1) | instid1(SALU_CYCLE_1)
	v_cmp_ngt_f64_e32 vcc_lo, v[5:6], v[7:8]
                                        ; implicit-def: $vgpr5_vgpr6
	s_and_saveexec_b32 s3, vcc_lo
	s_xor_b32 s3, exec_lo, s3
	s_cbranch_execz .LBB44_15
; %bb.14:
	v_div_scale_f64 v[5:6], null, v[3:4], v[3:4], v[1:2]
	v_div_scale_f64 v[11:12], vcc_lo, v[1:2], v[3:4], v[1:2]
	s_delay_alu instid0(VALU_DEP_2) | instskip(SKIP_2) | instid1(VALU_DEP_1)
	v_rcp_f64_e32 v[7:8], v[5:6]
	s_waitcnt_depctr 0xfff
	v_fma_f64 v[9:10], -v[5:6], v[7:8], 1.0
	v_fma_f64 v[7:8], v[7:8], v[9:10], v[7:8]
	s_delay_alu instid0(VALU_DEP_1) | instskip(NEXT) | instid1(VALU_DEP_1)
	v_fma_f64 v[9:10], -v[5:6], v[7:8], 1.0
	v_fma_f64 v[7:8], v[7:8], v[9:10], v[7:8]
	s_delay_alu instid0(VALU_DEP_1) | instskip(NEXT) | instid1(VALU_DEP_1)
	v_mul_f64 v[9:10], v[11:12], v[7:8]
	v_fma_f64 v[5:6], -v[5:6], v[9:10], v[11:12]
	s_delay_alu instid0(VALU_DEP_1) | instskip(NEXT) | instid1(VALU_DEP_1)
	v_div_fmas_f64 v[5:6], v[5:6], v[7:8], v[9:10]
	v_div_fixup_f64 v[5:6], v[5:6], v[3:4], v[1:2]
	s_delay_alu instid0(VALU_DEP_1) | instskip(NEXT) | instid1(VALU_DEP_1)
	v_fma_f64 v[1:2], v[1:2], v[5:6], v[3:4]
	v_div_scale_f64 v[3:4], null, v[1:2], v[1:2], 1.0
	v_div_scale_f64 v[11:12], vcc_lo, 1.0, v[1:2], 1.0
	s_delay_alu instid0(VALU_DEP_2) | instskip(SKIP_2) | instid1(VALU_DEP_1)
	v_rcp_f64_e32 v[7:8], v[3:4]
	s_waitcnt_depctr 0xfff
	v_fma_f64 v[9:10], -v[3:4], v[7:8], 1.0
	v_fma_f64 v[7:8], v[7:8], v[9:10], v[7:8]
	s_delay_alu instid0(VALU_DEP_1) | instskip(NEXT) | instid1(VALU_DEP_1)
	v_fma_f64 v[9:10], -v[3:4], v[7:8], 1.0
	v_fma_f64 v[7:8], v[7:8], v[9:10], v[7:8]
	s_delay_alu instid0(VALU_DEP_1) | instskip(NEXT) | instid1(VALU_DEP_1)
	v_mul_f64 v[9:10], v[11:12], v[7:8]
	v_fma_f64 v[3:4], -v[3:4], v[9:10], v[11:12]
	s_delay_alu instid0(VALU_DEP_1) | instskip(NEXT) | instid1(VALU_DEP_1)
	v_div_fmas_f64 v[3:4], v[3:4], v[7:8], v[9:10]
	v_div_fixup_f64 v[7:8], v[3:4], v[1:2], 1.0
                                        ; implicit-def: $vgpr1_vgpr2
	s_delay_alu instid0(VALU_DEP_1) | instskip(SKIP_1) | instid1(VALU_DEP_2)
	v_mul_f64 v[5:6], v[5:6], v[7:8]
	v_xor_b32_e32 v8, 0x80000000, v8
	v_xor_b32_e32 v10, 0x80000000, v6
	s_delay_alu instid0(VALU_DEP_3)
	v_mov_b32_e32 v9, v5
.LBB44_15:
	s_and_not1_saveexec_b32 s3, s3
	s_cbranch_execz .LBB44_17
; %bb.16:
	v_div_scale_f64 v[5:6], null, v[1:2], v[1:2], v[3:4]
	v_div_scale_f64 v[11:12], vcc_lo, v[3:4], v[1:2], v[3:4]
	s_delay_alu instid0(VALU_DEP_2) | instskip(SKIP_2) | instid1(VALU_DEP_1)
	v_rcp_f64_e32 v[7:8], v[5:6]
	s_waitcnt_depctr 0xfff
	v_fma_f64 v[9:10], -v[5:6], v[7:8], 1.0
	v_fma_f64 v[7:8], v[7:8], v[9:10], v[7:8]
	s_delay_alu instid0(VALU_DEP_1) | instskip(NEXT) | instid1(VALU_DEP_1)
	v_fma_f64 v[9:10], -v[5:6], v[7:8], 1.0
	v_fma_f64 v[7:8], v[7:8], v[9:10], v[7:8]
	s_delay_alu instid0(VALU_DEP_1) | instskip(NEXT) | instid1(VALU_DEP_1)
	v_mul_f64 v[9:10], v[11:12], v[7:8]
	v_fma_f64 v[5:6], -v[5:6], v[9:10], v[11:12]
	s_delay_alu instid0(VALU_DEP_1) | instskip(NEXT) | instid1(VALU_DEP_1)
	v_div_fmas_f64 v[5:6], v[5:6], v[7:8], v[9:10]
	v_div_fixup_f64 v[7:8], v[5:6], v[1:2], v[3:4]
	s_delay_alu instid0(VALU_DEP_1) | instskip(NEXT) | instid1(VALU_DEP_1)
	v_fma_f64 v[1:2], v[3:4], v[7:8], v[1:2]
	v_div_scale_f64 v[3:4], null, v[1:2], v[1:2], 1.0
	s_delay_alu instid0(VALU_DEP_1) | instskip(SKIP_2) | instid1(VALU_DEP_1)
	v_rcp_f64_e32 v[5:6], v[3:4]
	s_waitcnt_depctr 0xfff
	v_fma_f64 v[9:10], -v[3:4], v[5:6], 1.0
	v_fma_f64 v[5:6], v[5:6], v[9:10], v[5:6]
	s_delay_alu instid0(VALU_DEP_1) | instskip(NEXT) | instid1(VALU_DEP_1)
	v_fma_f64 v[9:10], -v[3:4], v[5:6], 1.0
	v_fma_f64 v[5:6], v[5:6], v[9:10], v[5:6]
	v_div_scale_f64 v[9:10], vcc_lo, 1.0, v[1:2], 1.0
	s_delay_alu instid0(VALU_DEP_1) | instskip(NEXT) | instid1(VALU_DEP_1)
	v_mul_f64 v[11:12], v[9:10], v[5:6]
	v_fma_f64 v[3:4], -v[3:4], v[11:12], v[9:10]
	s_delay_alu instid0(VALU_DEP_1) | instskip(NEXT) | instid1(VALU_DEP_1)
	v_div_fmas_f64 v[3:4], v[3:4], v[5:6], v[11:12]
	v_div_fixup_f64 v[5:6], v[3:4], v[1:2], 1.0
	s_delay_alu instid0(VALU_DEP_1)
	v_mul_f64 v[7:8], v[7:8], -v[5:6]
	v_xor_b32_e32 v10, 0x80000000, v6
	v_mov_b32_e32 v9, v5
.LBB44_17:
	s_or_b32 exec_lo, exec_lo, s3
	scratch_store_b128 v14, v[5:8], off
	scratch_load_b128 v[1:4], v180, off
	v_xor_b32_e32 v12, 0x80000000, v8
	v_mov_b32_e32 v11, v7
	v_add_nc_u32_e32 v5, 0x2d0, v13
	ds_store_b128 v13, v[9:12]
	s_waitcnt vmcnt(0)
	ds_store_b128 v13, v[1:4] offset:720
	s_waitcnt lgkmcnt(0)
	s_waitcnt_vscnt null, 0x0
	s_barrier
	buffer_gl0_inv
	s_and_saveexec_b32 s3, s2
	s_cbranch_execz .LBB44_19
; %bb.18:
	scratch_load_b128 v[1:4], v14, off
	ds_load_b128 v[6:9], v5
	v_mov_b32_e32 v10, 0
	ds_load_b128 v[15:18], v10 offset:16
	s_waitcnt vmcnt(0) lgkmcnt(1)
	v_mul_f64 v[10:11], v[6:7], v[3:4]
	v_mul_f64 v[3:4], v[8:9], v[3:4]
	s_delay_alu instid0(VALU_DEP_2) | instskip(NEXT) | instid1(VALU_DEP_2)
	v_fma_f64 v[8:9], v[8:9], v[1:2], v[10:11]
	v_fma_f64 v[1:2], v[6:7], v[1:2], -v[3:4]
	s_delay_alu instid0(VALU_DEP_2) | instskip(NEXT) | instid1(VALU_DEP_2)
	v_add_f64 v[3:4], v[8:9], 0
	v_add_f64 v[1:2], v[1:2], 0
	s_waitcnt lgkmcnt(0)
	s_delay_alu instid0(VALU_DEP_2) | instskip(NEXT) | instid1(VALU_DEP_2)
	v_mul_f64 v[6:7], v[3:4], v[17:18]
	v_mul_f64 v[8:9], v[1:2], v[17:18]
	s_delay_alu instid0(VALU_DEP_2) | instskip(NEXT) | instid1(VALU_DEP_2)
	v_fma_f64 v[1:2], v[1:2], v[15:16], -v[6:7]
	v_fma_f64 v[3:4], v[3:4], v[15:16], v[8:9]
	scratch_store_b128 off, v[1:4], off offset:16
.LBB44_19:
	s_or_b32 exec_lo, exec_lo, s3
	s_waitcnt_vscnt null, 0x0
	s_barrier
	buffer_gl0_inv
	scratch_load_b128 v[1:4], v179, off
	s_mov_b32 s3, exec_lo
	s_waitcnt vmcnt(0)
	ds_store_b128 v5, v[1:4]
	s_waitcnt lgkmcnt(0)
	s_barrier
	buffer_gl0_inv
	v_cmpx_gt_u32_e32 2, v136
	s_cbranch_execz .LBB44_23
; %bb.20:
	scratch_load_b128 v[1:4], v14, off
	ds_load_b128 v[6:9], v5
	s_waitcnt vmcnt(0) lgkmcnt(0)
	v_mul_f64 v[10:11], v[8:9], v[3:4]
	v_mul_f64 v[3:4], v[6:7], v[3:4]
	s_delay_alu instid0(VALU_DEP_2) | instskip(NEXT) | instid1(VALU_DEP_2)
	v_fma_f64 v[6:7], v[6:7], v[1:2], -v[10:11]
	v_fma_f64 v[3:4], v[8:9], v[1:2], v[3:4]
	s_delay_alu instid0(VALU_DEP_2) | instskip(NEXT) | instid1(VALU_DEP_2)
	v_add_f64 v[1:2], v[6:7], 0
	v_add_f64 v[3:4], v[3:4], 0
	s_and_saveexec_b32 s4, s2
	s_cbranch_execz .LBB44_22
; %bb.21:
	scratch_load_b128 v[6:9], off, off offset:16
	v_mov_b32_e32 v10, 0
	ds_load_b128 v[15:18], v10 offset:736
	s_waitcnt vmcnt(0) lgkmcnt(0)
	v_mul_f64 v[10:11], v[15:16], v[8:9]
	v_mul_f64 v[8:9], v[17:18], v[8:9]
	s_delay_alu instid0(VALU_DEP_2) | instskip(NEXT) | instid1(VALU_DEP_2)
	v_fma_f64 v[10:11], v[17:18], v[6:7], v[10:11]
	v_fma_f64 v[6:7], v[15:16], v[6:7], -v[8:9]
	s_delay_alu instid0(VALU_DEP_2) | instskip(NEXT) | instid1(VALU_DEP_2)
	v_add_f64 v[3:4], v[3:4], v[10:11]
	v_add_f64 v[1:2], v[1:2], v[6:7]
.LBB44_22:
	s_or_b32 exec_lo, exec_lo, s4
	v_mov_b32_e32 v6, 0
	ds_load_b128 v[6:9], v6 offset:32
	s_waitcnt lgkmcnt(0)
	v_mul_f64 v[10:11], v[3:4], v[8:9]
	v_mul_f64 v[8:9], v[1:2], v[8:9]
	s_delay_alu instid0(VALU_DEP_2) | instskip(NEXT) | instid1(VALU_DEP_2)
	v_fma_f64 v[1:2], v[1:2], v[6:7], -v[10:11]
	v_fma_f64 v[3:4], v[3:4], v[6:7], v[8:9]
	scratch_store_b128 off, v[1:4], off offset:32
.LBB44_23:
	s_or_b32 exec_lo, exec_lo, s3
	s_waitcnt_vscnt null, 0x0
	s_barrier
	buffer_gl0_inv
	scratch_load_b128 v[1:4], v178, off
	v_add_nc_u32_e32 v6, -1, v136
	s_mov_b32 s2, exec_lo
	s_waitcnt vmcnt(0)
	ds_store_b128 v5, v[1:4]
	s_waitcnt lgkmcnt(0)
	s_barrier
	buffer_gl0_inv
	v_cmpx_gt_u32_e32 3, v136
	s_cbranch_execz .LBB44_27
; %bb.24:
	v_dual_mov_b32 v1, 0 :: v_dual_add_nc_u32 v8, 0x2d0, v13
	v_dual_mov_b32 v2, 0 :: v_dual_add_nc_u32 v7, -1, v136
	v_or_b32_e32 v9, 8, v14
	s_mov_b32 s3, 0
	s_delay_alu instid0(VALU_DEP_2)
	v_dual_mov_b32 v4, v2 :: v_dual_mov_b32 v3, v1
	.p2align	6
.LBB44_25:                              ; =>This Inner Loop Header: Depth=1
	scratch_load_b128 v[15:18], v9, off offset:-8
	ds_load_b128 v[19:22], v8
	v_add_nc_u32_e32 v7, 1, v7
	v_add_nc_u32_e32 v8, 16, v8
	;; [unrolled: 1-line block ×3, first 2 shown]
	s_delay_alu instid0(VALU_DEP_3) | instskip(SKIP_4) | instid1(VALU_DEP_2)
	v_cmp_lt_u32_e32 vcc_lo, 1, v7
	s_or_b32 s3, vcc_lo, s3
	s_waitcnt vmcnt(0) lgkmcnt(0)
	v_mul_f64 v[10:11], v[21:22], v[17:18]
	v_mul_f64 v[17:18], v[19:20], v[17:18]
	v_fma_f64 v[10:11], v[19:20], v[15:16], -v[10:11]
	s_delay_alu instid0(VALU_DEP_2) | instskip(NEXT) | instid1(VALU_DEP_2)
	v_fma_f64 v[15:16], v[21:22], v[15:16], v[17:18]
	v_add_f64 v[3:4], v[3:4], v[10:11]
	s_delay_alu instid0(VALU_DEP_2)
	v_add_f64 v[1:2], v[1:2], v[15:16]
	s_and_not1_b32 exec_lo, exec_lo, s3
	s_cbranch_execnz .LBB44_25
; %bb.26:
	s_or_b32 exec_lo, exec_lo, s3
	v_mov_b32_e32 v7, 0
	ds_load_b128 v[7:10], v7 offset:48
	s_waitcnt lgkmcnt(0)
	v_mul_f64 v[11:12], v[1:2], v[9:10]
	v_mul_f64 v[15:16], v[3:4], v[9:10]
	s_delay_alu instid0(VALU_DEP_2) | instskip(NEXT) | instid1(VALU_DEP_2)
	v_fma_f64 v[9:10], v[3:4], v[7:8], -v[11:12]
	v_fma_f64 v[11:12], v[1:2], v[7:8], v[15:16]
	scratch_store_b128 off, v[9:12], off offset:48
.LBB44_27:
	s_or_b32 exec_lo, exec_lo, s2
	s_waitcnt_vscnt null, 0x0
	s_barrier
	buffer_gl0_inv
	scratch_load_b128 v[1:4], v177, off
	s_mov_b32 s2, exec_lo
	s_waitcnt vmcnt(0)
	ds_store_b128 v5, v[1:4]
	s_waitcnt lgkmcnt(0)
	s_barrier
	buffer_gl0_inv
	v_cmpx_gt_u32_e32 4, v136
	s_cbranch_execz .LBB44_31
; %bb.28:
	v_dual_mov_b32 v1, 0 :: v_dual_add_nc_u32 v8, 0x2d0, v13
	v_dual_mov_b32 v2, 0 :: v_dual_add_nc_u32 v7, -1, v136
	v_or_b32_e32 v9, 8, v14
	s_mov_b32 s3, 0
	s_delay_alu instid0(VALU_DEP_2)
	v_dual_mov_b32 v4, v2 :: v_dual_mov_b32 v3, v1
	.p2align	6
.LBB44_29:                              ; =>This Inner Loop Header: Depth=1
	scratch_load_b128 v[15:18], v9, off offset:-8
	ds_load_b128 v[19:22], v8
	v_add_nc_u32_e32 v7, 1, v7
	v_add_nc_u32_e32 v8, 16, v8
	;; [unrolled: 1-line block ×3, first 2 shown]
	s_delay_alu instid0(VALU_DEP_3) | instskip(SKIP_4) | instid1(VALU_DEP_2)
	v_cmp_lt_u32_e32 vcc_lo, 2, v7
	s_or_b32 s3, vcc_lo, s3
	s_waitcnt vmcnt(0) lgkmcnt(0)
	v_mul_f64 v[10:11], v[21:22], v[17:18]
	v_mul_f64 v[17:18], v[19:20], v[17:18]
	v_fma_f64 v[10:11], v[19:20], v[15:16], -v[10:11]
	s_delay_alu instid0(VALU_DEP_2) | instskip(NEXT) | instid1(VALU_DEP_2)
	v_fma_f64 v[15:16], v[21:22], v[15:16], v[17:18]
	v_add_f64 v[3:4], v[3:4], v[10:11]
	s_delay_alu instid0(VALU_DEP_2)
	v_add_f64 v[1:2], v[1:2], v[15:16]
	s_and_not1_b32 exec_lo, exec_lo, s3
	s_cbranch_execnz .LBB44_29
; %bb.30:
	s_or_b32 exec_lo, exec_lo, s3
	v_mov_b32_e32 v7, 0
	ds_load_b128 v[7:10], v7 offset:64
	s_waitcnt lgkmcnt(0)
	v_mul_f64 v[11:12], v[1:2], v[9:10]
	v_mul_f64 v[15:16], v[3:4], v[9:10]
	s_delay_alu instid0(VALU_DEP_2) | instskip(NEXT) | instid1(VALU_DEP_2)
	v_fma_f64 v[9:10], v[3:4], v[7:8], -v[11:12]
	v_fma_f64 v[11:12], v[1:2], v[7:8], v[15:16]
	scratch_store_b128 off, v[9:12], off offset:64
.LBB44_31:
	s_or_b32 exec_lo, exec_lo, s2
	s_waitcnt_vscnt null, 0x0
	s_barrier
	buffer_gl0_inv
	scratch_load_b128 v[1:4], v176, off
	s_mov_b32 s2, exec_lo
	s_waitcnt vmcnt(0)
	ds_store_b128 v5, v[1:4]
	s_waitcnt lgkmcnt(0)
	s_barrier
	buffer_gl0_inv
	v_cmpx_gt_u32_e32 5, v136
	s_cbranch_execz .LBB44_35
; %bb.32:
	v_dual_mov_b32 v1, 0 :: v_dual_add_nc_u32 v8, 0x2d0, v13
	v_dual_mov_b32 v2, 0 :: v_dual_add_nc_u32 v7, -1, v136
	v_or_b32_e32 v9, 8, v14
	s_mov_b32 s3, 0
	s_delay_alu instid0(VALU_DEP_2)
	v_dual_mov_b32 v4, v2 :: v_dual_mov_b32 v3, v1
	.p2align	6
.LBB44_33:                              ; =>This Inner Loop Header: Depth=1
	scratch_load_b128 v[15:18], v9, off offset:-8
	ds_load_b128 v[19:22], v8
	v_add_nc_u32_e32 v7, 1, v7
	v_add_nc_u32_e32 v8, 16, v8
	;; [unrolled: 1-line block ×3, first 2 shown]
	s_delay_alu instid0(VALU_DEP_3) | instskip(SKIP_4) | instid1(VALU_DEP_2)
	v_cmp_lt_u32_e32 vcc_lo, 3, v7
	s_or_b32 s3, vcc_lo, s3
	s_waitcnt vmcnt(0) lgkmcnt(0)
	v_mul_f64 v[10:11], v[21:22], v[17:18]
	v_mul_f64 v[17:18], v[19:20], v[17:18]
	v_fma_f64 v[10:11], v[19:20], v[15:16], -v[10:11]
	s_delay_alu instid0(VALU_DEP_2) | instskip(NEXT) | instid1(VALU_DEP_2)
	v_fma_f64 v[15:16], v[21:22], v[15:16], v[17:18]
	v_add_f64 v[3:4], v[3:4], v[10:11]
	s_delay_alu instid0(VALU_DEP_2)
	v_add_f64 v[1:2], v[1:2], v[15:16]
	s_and_not1_b32 exec_lo, exec_lo, s3
	s_cbranch_execnz .LBB44_33
; %bb.34:
	s_or_b32 exec_lo, exec_lo, s3
	v_mov_b32_e32 v7, 0
	ds_load_b128 v[7:10], v7 offset:80
	s_waitcnt lgkmcnt(0)
	v_mul_f64 v[11:12], v[1:2], v[9:10]
	v_mul_f64 v[15:16], v[3:4], v[9:10]
	s_delay_alu instid0(VALU_DEP_2) | instskip(NEXT) | instid1(VALU_DEP_2)
	v_fma_f64 v[9:10], v[3:4], v[7:8], -v[11:12]
	v_fma_f64 v[11:12], v[1:2], v[7:8], v[15:16]
	scratch_store_b128 off, v[9:12], off offset:80
.LBB44_35:
	s_or_b32 exec_lo, exec_lo, s2
	s_waitcnt_vscnt null, 0x0
	s_barrier
	buffer_gl0_inv
	scratch_load_b128 v[1:4], v175, off
	s_mov_b32 s2, exec_lo
	s_waitcnt vmcnt(0)
	ds_store_b128 v5, v[1:4]
	s_waitcnt lgkmcnt(0)
	s_barrier
	buffer_gl0_inv
	v_cmpx_gt_u32_e32 6, v136
	s_cbranch_execz .LBB44_39
; %bb.36:
	v_dual_mov_b32 v1, 0 :: v_dual_add_nc_u32 v8, 0x2d0, v13
	v_dual_mov_b32 v2, 0 :: v_dual_add_nc_u32 v7, -1, v136
	v_or_b32_e32 v9, 8, v14
	s_mov_b32 s3, 0
	s_delay_alu instid0(VALU_DEP_2)
	v_dual_mov_b32 v4, v2 :: v_dual_mov_b32 v3, v1
	.p2align	6
.LBB44_37:                              ; =>This Inner Loop Header: Depth=1
	scratch_load_b128 v[15:18], v9, off offset:-8
	ds_load_b128 v[19:22], v8
	v_add_nc_u32_e32 v7, 1, v7
	v_add_nc_u32_e32 v8, 16, v8
	;; [unrolled: 1-line block ×3, first 2 shown]
	s_delay_alu instid0(VALU_DEP_3) | instskip(SKIP_4) | instid1(VALU_DEP_2)
	v_cmp_lt_u32_e32 vcc_lo, 4, v7
	s_or_b32 s3, vcc_lo, s3
	s_waitcnt vmcnt(0) lgkmcnt(0)
	v_mul_f64 v[10:11], v[21:22], v[17:18]
	v_mul_f64 v[17:18], v[19:20], v[17:18]
	v_fma_f64 v[10:11], v[19:20], v[15:16], -v[10:11]
	s_delay_alu instid0(VALU_DEP_2) | instskip(NEXT) | instid1(VALU_DEP_2)
	v_fma_f64 v[15:16], v[21:22], v[15:16], v[17:18]
	v_add_f64 v[3:4], v[3:4], v[10:11]
	s_delay_alu instid0(VALU_DEP_2)
	v_add_f64 v[1:2], v[1:2], v[15:16]
	s_and_not1_b32 exec_lo, exec_lo, s3
	s_cbranch_execnz .LBB44_37
; %bb.38:
	s_or_b32 exec_lo, exec_lo, s3
	v_mov_b32_e32 v7, 0
	ds_load_b128 v[7:10], v7 offset:96
	s_waitcnt lgkmcnt(0)
	v_mul_f64 v[11:12], v[1:2], v[9:10]
	v_mul_f64 v[15:16], v[3:4], v[9:10]
	s_delay_alu instid0(VALU_DEP_2) | instskip(NEXT) | instid1(VALU_DEP_2)
	v_fma_f64 v[9:10], v[3:4], v[7:8], -v[11:12]
	v_fma_f64 v[11:12], v[1:2], v[7:8], v[15:16]
	scratch_store_b128 off, v[9:12], off offset:96
.LBB44_39:
	s_or_b32 exec_lo, exec_lo, s2
	s_waitcnt_vscnt null, 0x0
	s_barrier
	buffer_gl0_inv
	scratch_load_b128 v[1:4], v174, off
	s_mov_b32 s2, exec_lo
	s_waitcnt vmcnt(0)
	ds_store_b128 v5, v[1:4]
	s_waitcnt lgkmcnt(0)
	s_barrier
	buffer_gl0_inv
	v_cmpx_gt_u32_e32 7, v136
	s_cbranch_execz .LBB44_43
; %bb.40:
	v_dual_mov_b32 v1, 0 :: v_dual_add_nc_u32 v8, 0x2d0, v13
	v_dual_mov_b32 v2, 0 :: v_dual_add_nc_u32 v7, -1, v136
	v_or_b32_e32 v9, 8, v14
	s_mov_b32 s3, 0
	s_delay_alu instid0(VALU_DEP_2)
	v_dual_mov_b32 v4, v2 :: v_dual_mov_b32 v3, v1
	.p2align	6
.LBB44_41:                              ; =>This Inner Loop Header: Depth=1
	scratch_load_b128 v[15:18], v9, off offset:-8
	ds_load_b128 v[19:22], v8
	v_add_nc_u32_e32 v7, 1, v7
	v_add_nc_u32_e32 v8, 16, v8
	;; [unrolled: 1-line block ×3, first 2 shown]
	s_delay_alu instid0(VALU_DEP_3) | instskip(SKIP_4) | instid1(VALU_DEP_2)
	v_cmp_lt_u32_e32 vcc_lo, 5, v7
	s_or_b32 s3, vcc_lo, s3
	s_waitcnt vmcnt(0) lgkmcnt(0)
	v_mul_f64 v[10:11], v[21:22], v[17:18]
	v_mul_f64 v[17:18], v[19:20], v[17:18]
	v_fma_f64 v[10:11], v[19:20], v[15:16], -v[10:11]
	s_delay_alu instid0(VALU_DEP_2) | instskip(NEXT) | instid1(VALU_DEP_2)
	v_fma_f64 v[15:16], v[21:22], v[15:16], v[17:18]
	v_add_f64 v[3:4], v[3:4], v[10:11]
	s_delay_alu instid0(VALU_DEP_2)
	v_add_f64 v[1:2], v[1:2], v[15:16]
	s_and_not1_b32 exec_lo, exec_lo, s3
	s_cbranch_execnz .LBB44_41
; %bb.42:
	s_or_b32 exec_lo, exec_lo, s3
	v_mov_b32_e32 v7, 0
	ds_load_b128 v[7:10], v7 offset:112
	s_waitcnt lgkmcnt(0)
	v_mul_f64 v[11:12], v[1:2], v[9:10]
	v_mul_f64 v[15:16], v[3:4], v[9:10]
	s_delay_alu instid0(VALU_DEP_2) | instskip(NEXT) | instid1(VALU_DEP_2)
	v_fma_f64 v[9:10], v[3:4], v[7:8], -v[11:12]
	v_fma_f64 v[11:12], v[1:2], v[7:8], v[15:16]
	scratch_store_b128 off, v[9:12], off offset:112
.LBB44_43:
	s_or_b32 exec_lo, exec_lo, s2
	s_waitcnt_vscnt null, 0x0
	s_barrier
	buffer_gl0_inv
	scratch_load_b128 v[1:4], v173, off
	s_mov_b32 s2, exec_lo
	s_waitcnt vmcnt(0)
	ds_store_b128 v5, v[1:4]
	s_waitcnt lgkmcnt(0)
	s_barrier
	buffer_gl0_inv
	v_cmpx_gt_u32_e32 8, v136
	s_cbranch_execz .LBB44_47
; %bb.44:
	v_dual_mov_b32 v1, 0 :: v_dual_add_nc_u32 v8, 0x2d0, v13
	v_dual_mov_b32 v2, 0 :: v_dual_add_nc_u32 v7, -1, v136
	v_or_b32_e32 v9, 8, v14
	s_mov_b32 s3, 0
	s_delay_alu instid0(VALU_DEP_2)
	v_dual_mov_b32 v4, v2 :: v_dual_mov_b32 v3, v1
	.p2align	6
.LBB44_45:                              ; =>This Inner Loop Header: Depth=1
	scratch_load_b128 v[15:18], v9, off offset:-8
	ds_load_b128 v[19:22], v8
	v_add_nc_u32_e32 v7, 1, v7
	v_add_nc_u32_e32 v8, 16, v8
	;; [unrolled: 1-line block ×3, first 2 shown]
	s_delay_alu instid0(VALU_DEP_3) | instskip(SKIP_4) | instid1(VALU_DEP_2)
	v_cmp_lt_u32_e32 vcc_lo, 6, v7
	s_or_b32 s3, vcc_lo, s3
	s_waitcnt vmcnt(0) lgkmcnt(0)
	v_mul_f64 v[10:11], v[21:22], v[17:18]
	v_mul_f64 v[17:18], v[19:20], v[17:18]
	v_fma_f64 v[10:11], v[19:20], v[15:16], -v[10:11]
	s_delay_alu instid0(VALU_DEP_2) | instskip(NEXT) | instid1(VALU_DEP_2)
	v_fma_f64 v[15:16], v[21:22], v[15:16], v[17:18]
	v_add_f64 v[3:4], v[3:4], v[10:11]
	s_delay_alu instid0(VALU_DEP_2)
	v_add_f64 v[1:2], v[1:2], v[15:16]
	s_and_not1_b32 exec_lo, exec_lo, s3
	s_cbranch_execnz .LBB44_45
; %bb.46:
	s_or_b32 exec_lo, exec_lo, s3
	v_mov_b32_e32 v7, 0
	ds_load_b128 v[7:10], v7 offset:128
	s_waitcnt lgkmcnt(0)
	v_mul_f64 v[11:12], v[1:2], v[9:10]
	v_mul_f64 v[15:16], v[3:4], v[9:10]
	s_delay_alu instid0(VALU_DEP_2) | instskip(NEXT) | instid1(VALU_DEP_2)
	v_fma_f64 v[9:10], v[3:4], v[7:8], -v[11:12]
	v_fma_f64 v[11:12], v[1:2], v[7:8], v[15:16]
	scratch_store_b128 off, v[9:12], off offset:128
.LBB44_47:
	s_or_b32 exec_lo, exec_lo, s2
	s_waitcnt_vscnt null, 0x0
	s_barrier
	buffer_gl0_inv
	scratch_load_b128 v[1:4], v172, off
	s_mov_b32 s2, exec_lo
	s_waitcnt vmcnt(0)
	ds_store_b128 v5, v[1:4]
	s_waitcnt lgkmcnt(0)
	s_barrier
	buffer_gl0_inv
	v_cmpx_gt_u32_e32 9, v136
	s_cbranch_execz .LBB44_51
; %bb.48:
	v_dual_mov_b32 v1, 0 :: v_dual_add_nc_u32 v8, 0x2d0, v13
	v_dual_mov_b32 v2, 0 :: v_dual_add_nc_u32 v7, -1, v136
	v_or_b32_e32 v9, 8, v14
	s_mov_b32 s3, 0
	s_delay_alu instid0(VALU_DEP_2)
	v_dual_mov_b32 v4, v2 :: v_dual_mov_b32 v3, v1
	.p2align	6
.LBB44_49:                              ; =>This Inner Loop Header: Depth=1
	scratch_load_b128 v[15:18], v9, off offset:-8
	ds_load_b128 v[19:22], v8
	v_add_nc_u32_e32 v7, 1, v7
	v_add_nc_u32_e32 v8, 16, v8
	;; [unrolled: 1-line block ×3, first 2 shown]
	s_delay_alu instid0(VALU_DEP_3) | instskip(SKIP_4) | instid1(VALU_DEP_2)
	v_cmp_lt_u32_e32 vcc_lo, 7, v7
	s_or_b32 s3, vcc_lo, s3
	s_waitcnt vmcnt(0) lgkmcnt(0)
	v_mul_f64 v[10:11], v[21:22], v[17:18]
	v_mul_f64 v[17:18], v[19:20], v[17:18]
	v_fma_f64 v[10:11], v[19:20], v[15:16], -v[10:11]
	s_delay_alu instid0(VALU_DEP_2) | instskip(NEXT) | instid1(VALU_DEP_2)
	v_fma_f64 v[15:16], v[21:22], v[15:16], v[17:18]
	v_add_f64 v[3:4], v[3:4], v[10:11]
	s_delay_alu instid0(VALU_DEP_2)
	v_add_f64 v[1:2], v[1:2], v[15:16]
	s_and_not1_b32 exec_lo, exec_lo, s3
	s_cbranch_execnz .LBB44_49
; %bb.50:
	s_or_b32 exec_lo, exec_lo, s3
	v_mov_b32_e32 v7, 0
	ds_load_b128 v[7:10], v7 offset:144
	s_waitcnt lgkmcnt(0)
	v_mul_f64 v[11:12], v[1:2], v[9:10]
	v_mul_f64 v[15:16], v[3:4], v[9:10]
	s_delay_alu instid0(VALU_DEP_2) | instskip(NEXT) | instid1(VALU_DEP_2)
	v_fma_f64 v[9:10], v[3:4], v[7:8], -v[11:12]
	v_fma_f64 v[11:12], v[1:2], v[7:8], v[15:16]
	scratch_store_b128 off, v[9:12], off offset:144
.LBB44_51:
	s_or_b32 exec_lo, exec_lo, s2
	s_waitcnt_vscnt null, 0x0
	s_barrier
	buffer_gl0_inv
	scratch_load_b128 v[1:4], v171, off
	s_mov_b32 s2, exec_lo
	s_waitcnt vmcnt(0)
	ds_store_b128 v5, v[1:4]
	s_waitcnt lgkmcnt(0)
	s_barrier
	buffer_gl0_inv
	v_cmpx_gt_u32_e32 10, v136
	s_cbranch_execz .LBB44_55
; %bb.52:
	v_dual_mov_b32 v1, 0 :: v_dual_add_nc_u32 v8, 0x2d0, v13
	v_dual_mov_b32 v2, 0 :: v_dual_add_nc_u32 v7, -1, v136
	v_or_b32_e32 v9, 8, v14
	s_mov_b32 s3, 0
	s_delay_alu instid0(VALU_DEP_2)
	v_dual_mov_b32 v4, v2 :: v_dual_mov_b32 v3, v1
	.p2align	6
.LBB44_53:                              ; =>This Inner Loop Header: Depth=1
	scratch_load_b128 v[15:18], v9, off offset:-8
	ds_load_b128 v[19:22], v8
	v_add_nc_u32_e32 v7, 1, v7
	v_add_nc_u32_e32 v8, 16, v8
	;; [unrolled: 1-line block ×3, first 2 shown]
	s_delay_alu instid0(VALU_DEP_3) | instskip(SKIP_4) | instid1(VALU_DEP_2)
	v_cmp_lt_u32_e32 vcc_lo, 8, v7
	s_or_b32 s3, vcc_lo, s3
	s_waitcnt vmcnt(0) lgkmcnt(0)
	v_mul_f64 v[10:11], v[21:22], v[17:18]
	v_mul_f64 v[17:18], v[19:20], v[17:18]
	v_fma_f64 v[10:11], v[19:20], v[15:16], -v[10:11]
	s_delay_alu instid0(VALU_DEP_2) | instskip(NEXT) | instid1(VALU_DEP_2)
	v_fma_f64 v[15:16], v[21:22], v[15:16], v[17:18]
	v_add_f64 v[3:4], v[3:4], v[10:11]
	s_delay_alu instid0(VALU_DEP_2)
	v_add_f64 v[1:2], v[1:2], v[15:16]
	s_and_not1_b32 exec_lo, exec_lo, s3
	s_cbranch_execnz .LBB44_53
; %bb.54:
	s_or_b32 exec_lo, exec_lo, s3
	v_mov_b32_e32 v7, 0
	ds_load_b128 v[7:10], v7 offset:160
	s_waitcnt lgkmcnt(0)
	v_mul_f64 v[11:12], v[1:2], v[9:10]
	v_mul_f64 v[15:16], v[3:4], v[9:10]
	s_delay_alu instid0(VALU_DEP_2) | instskip(NEXT) | instid1(VALU_DEP_2)
	v_fma_f64 v[9:10], v[3:4], v[7:8], -v[11:12]
	v_fma_f64 v[11:12], v[1:2], v[7:8], v[15:16]
	scratch_store_b128 off, v[9:12], off offset:160
.LBB44_55:
	s_or_b32 exec_lo, exec_lo, s2
	s_waitcnt_vscnt null, 0x0
	s_barrier
	buffer_gl0_inv
	scratch_load_b128 v[1:4], v170, off
	s_mov_b32 s2, exec_lo
	s_waitcnt vmcnt(0)
	ds_store_b128 v5, v[1:4]
	s_waitcnt lgkmcnt(0)
	s_barrier
	buffer_gl0_inv
	v_cmpx_gt_u32_e32 11, v136
	s_cbranch_execz .LBB44_59
; %bb.56:
	v_dual_mov_b32 v1, 0 :: v_dual_add_nc_u32 v8, 0x2d0, v13
	v_dual_mov_b32 v2, 0 :: v_dual_add_nc_u32 v7, -1, v136
	v_or_b32_e32 v9, 8, v14
	s_mov_b32 s3, 0
	s_delay_alu instid0(VALU_DEP_2)
	v_dual_mov_b32 v4, v2 :: v_dual_mov_b32 v3, v1
	.p2align	6
.LBB44_57:                              ; =>This Inner Loop Header: Depth=1
	scratch_load_b128 v[15:18], v9, off offset:-8
	ds_load_b128 v[19:22], v8
	v_add_nc_u32_e32 v7, 1, v7
	v_add_nc_u32_e32 v8, 16, v8
	;; [unrolled: 1-line block ×3, first 2 shown]
	s_delay_alu instid0(VALU_DEP_3) | instskip(SKIP_4) | instid1(VALU_DEP_2)
	v_cmp_lt_u32_e32 vcc_lo, 9, v7
	s_or_b32 s3, vcc_lo, s3
	s_waitcnt vmcnt(0) lgkmcnt(0)
	v_mul_f64 v[10:11], v[21:22], v[17:18]
	v_mul_f64 v[17:18], v[19:20], v[17:18]
	v_fma_f64 v[10:11], v[19:20], v[15:16], -v[10:11]
	s_delay_alu instid0(VALU_DEP_2) | instskip(NEXT) | instid1(VALU_DEP_2)
	v_fma_f64 v[15:16], v[21:22], v[15:16], v[17:18]
	v_add_f64 v[3:4], v[3:4], v[10:11]
	s_delay_alu instid0(VALU_DEP_2)
	v_add_f64 v[1:2], v[1:2], v[15:16]
	s_and_not1_b32 exec_lo, exec_lo, s3
	s_cbranch_execnz .LBB44_57
; %bb.58:
	s_or_b32 exec_lo, exec_lo, s3
	v_mov_b32_e32 v7, 0
	ds_load_b128 v[7:10], v7 offset:176
	s_waitcnt lgkmcnt(0)
	v_mul_f64 v[11:12], v[1:2], v[9:10]
	v_mul_f64 v[15:16], v[3:4], v[9:10]
	s_delay_alu instid0(VALU_DEP_2) | instskip(NEXT) | instid1(VALU_DEP_2)
	v_fma_f64 v[9:10], v[3:4], v[7:8], -v[11:12]
	v_fma_f64 v[11:12], v[1:2], v[7:8], v[15:16]
	scratch_store_b128 off, v[9:12], off offset:176
.LBB44_59:
	s_or_b32 exec_lo, exec_lo, s2
	s_waitcnt_vscnt null, 0x0
	s_barrier
	buffer_gl0_inv
	scratch_load_b128 v[1:4], v169, off
	s_mov_b32 s2, exec_lo
	s_waitcnt vmcnt(0)
	ds_store_b128 v5, v[1:4]
	s_waitcnt lgkmcnt(0)
	s_barrier
	buffer_gl0_inv
	v_cmpx_gt_u32_e32 12, v136
	s_cbranch_execz .LBB44_63
; %bb.60:
	v_dual_mov_b32 v1, 0 :: v_dual_add_nc_u32 v8, 0x2d0, v13
	v_dual_mov_b32 v2, 0 :: v_dual_add_nc_u32 v7, -1, v136
	v_or_b32_e32 v9, 8, v14
	s_mov_b32 s3, 0
	s_delay_alu instid0(VALU_DEP_2)
	v_dual_mov_b32 v4, v2 :: v_dual_mov_b32 v3, v1
	.p2align	6
.LBB44_61:                              ; =>This Inner Loop Header: Depth=1
	scratch_load_b128 v[15:18], v9, off offset:-8
	ds_load_b128 v[19:22], v8
	v_add_nc_u32_e32 v7, 1, v7
	v_add_nc_u32_e32 v8, 16, v8
	;; [unrolled: 1-line block ×3, first 2 shown]
	s_delay_alu instid0(VALU_DEP_3) | instskip(SKIP_4) | instid1(VALU_DEP_2)
	v_cmp_lt_u32_e32 vcc_lo, 10, v7
	s_or_b32 s3, vcc_lo, s3
	s_waitcnt vmcnt(0) lgkmcnt(0)
	v_mul_f64 v[10:11], v[21:22], v[17:18]
	v_mul_f64 v[17:18], v[19:20], v[17:18]
	v_fma_f64 v[10:11], v[19:20], v[15:16], -v[10:11]
	s_delay_alu instid0(VALU_DEP_2) | instskip(NEXT) | instid1(VALU_DEP_2)
	v_fma_f64 v[15:16], v[21:22], v[15:16], v[17:18]
	v_add_f64 v[3:4], v[3:4], v[10:11]
	s_delay_alu instid0(VALU_DEP_2)
	v_add_f64 v[1:2], v[1:2], v[15:16]
	s_and_not1_b32 exec_lo, exec_lo, s3
	s_cbranch_execnz .LBB44_61
; %bb.62:
	s_or_b32 exec_lo, exec_lo, s3
	v_mov_b32_e32 v7, 0
	ds_load_b128 v[7:10], v7 offset:192
	s_waitcnt lgkmcnt(0)
	v_mul_f64 v[11:12], v[1:2], v[9:10]
	v_mul_f64 v[15:16], v[3:4], v[9:10]
	s_delay_alu instid0(VALU_DEP_2) | instskip(NEXT) | instid1(VALU_DEP_2)
	v_fma_f64 v[9:10], v[3:4], v[7:8], -v[11:12]
	v_fma_f64 v[11:12], v[1:2], v[7:8], v[15:16]
	scratch_store_b128 off, v[9:12], off offset:192
.LBB44_63:
	s_or_b32 exec_lo, exec_lo, s2
	s_waitcnt_vscnt null, 0x0
	s_barrier
	buffer_gl0_inv
	scratch_load_b128 v[1:4], v168, off
	s_mov_b32 s2, exec_lo
	s_waitcnt vmcnt(0)
	ds_store_b128 v5, v[1:4]
	s_waitcnt lgkmcnt(0)
	s_barrier
	buffer_gl0_inv
	v_cmpx_gt_u32_e32 13, v136
	s_cbranch_execz .LBB44_67
; %bb.64:
	v_dual_mov_b32 v1, 0 :: v_dual_add_nc_u32 v8, 0x2d0, v13
	v_dual_mov_b32 v2, 0 :: v_dual_add_nc_u32 v7, -1, v136
	v_or_b32_e32 v9, 8, v14
	s_mov_b32 s3, 0
	s_delay_alu instid0(VALU_DEP_2)
	v_dual_mov_b32 v4, v2 :: v_dual_mov_b32 v3, v1
	.p2align	6
.LBB44_65:                              ; =>This Inner Loop Header: Depth=1
	scratch_load_b128 v[15:18], v9, off offset:-8
	ds_load_b128 v[19:22], v8
	v_add_nc_u32_e32 v7, 1, v7
	v_add_nc_u32_e32 v8, 16, v8
	;; [unrolled: 1-line block ×3, first 2 shown]
	s_delay_alu instid0(VALU_DEP_3) | instskip(SKIP_4) | instid1(VALU_DEP_2)
	v_cmp_lt_u32_e32 vcc_lo, 11, v7
	s_or_b32 s3, vcc_lo, s3
	s_waitcnt vmcnt(0) lgkmcnt(0)
	v_mul_f64 v[10:11], v[21:22], v[17:18]
	v_mul_f64 v[17:18], v[19:20], v[17:18]
	v_fma_f64 v[10:11], v[19:20], v[15:16], -v[10:11]
	s_delay_alu instid0(VALU_DEP_2) | instskip(NEXT) | instid1(VALU_DEP_2)
	v_fma_f64 v[15:16], v[21:22], v[15:16], v[17:18]
	v_add_f64 v[3:4], v[3:4], v[10:11]
	s_delay_alu instid0(VALU_DEP_2)
	v_add_f64 v[1:2], v[1:2], v[15:16]
	s_and_not1_b32 exec_lo, exec_lo, s3
	s_cbranch_execnz .LBB44_65
; %bb.66:
	s_or_b32 exec_lo, exec_lo, s3
	v_mov_b32_e32 v7, 0
	ds_load_b128 v[7:10], v7 offset:208
	s_waitcnt lgkmcnt(0)
	v_mul_f64 v[11:12], v[1:2], v[9:10]
	v_mul_f64 v[15:16], v[3:4], v[9:10]
	s_delay_alu instid0(VALU_DEP_2) | instskip(NEXT) | instid1(VALU_DEP_2)
	v_fma_f64 v[9:10], v[3:4], v[7:8], -v[11:12]
	v_fma_f64 v[11:12], v[1:2], v[7:8], v[15:16]
	scratch_store_b128 off, v[9:12], off offset:208
.LBB44_67:
	s_or_b32 exec_lo, exec_lo, s2
	s_waitcnt_vscnt null, 0x0
	s_barrier
	buffer_gl0_inv
	scratch_load_b128 v[1:4], v167, off
	s_mov_b32 s2, exec_lo
	s_waitcnt vmcnt(0)
	ds_store_b128 v5, v[1:4]
	s_waitcnt lgkmcnt(0)
	s_barrier
	buffer_gl0_inv
	v_cmpx_gt_u32_e32 14, v136
	s_cbranch_execz .LBB44_71
; %bb.68:
	v_dual_mov_b32 v1, 0 :: v_dual_add_nc_u32 v8, 0x2d0, v13
	v_dual_mov_b32 v2, 0 :: v_dual_add_nc_u32 v7, -1, v136
	v_or_b32_e32 v9, 8, v14
	s_mov_b32 s3, 0
	s_delay_alu instid0(VALU_DEP_2)
	v_dual_mov_b32 v4, v2 :: v_dual_mov_b32 v3, v1
	.p2align	6
.LBB44_69:                              ; =>This Inner Loop Header: Depth=1
	scratch_load_b128 v[15:18], v9, off offset:-8
	ds_load_b128 v[19:22], v8
	v_add_nc_u32_e32 v7, 1, v7
	v_add_nc_u32_e32 v8, 16, v8
	v_add_nc_u32_e32 v9, 16, v9
	s_delay_alu instid0(VALU_DEP_3) | instskip(SKIP_4) | instid1(VALU_DEP_2)
	v_cmp_lt_u32_e32 vcc_lo, 12, v7
	s_or_b32 s3, vcc_lo, s3
	s_waitcnt vmcnt(0) lgkmcnt(0)
	v_mul_f64 v[10:11], v[21:22], v[17:18]
	v_mul_f64 v[17:18], v[19:20], v[17:18]
	v_fma_f64 v[10:11], v[19:20], v[15:16], -v[10:11]
	s_delay_alu instid0(VALU_DEP_2) | instskip(NEXT) | instid1(VALU_DEP_2)
	v_fma_f64 v[15:16], v[21:22], v[15:16], v[17:18]
	v_add_f64 v[3:4], v[3:4], v[10:11]
	s_delay_alu instid0(VALU_DEP_2)
	v_add_f64 v[1:2], v[1:2], v[15:16]
	s_and_not1_b32 exec_lo, exec_lo, s3
	s_cbranch_execnz .LBB44_69
; %bb.70:
	s_or_b32 exec_lo, exec_lo, s3
	v_mov_b32_e32 v7, 0
	ds_load_b128 v[7:10], v7 offset:224
	s_waitcnt lgkmcnt(0)
	v_mul_f64 v[11:12], v[1:2], v[9:10]
	v_mul_f64 v[15:16], v[3:4], v[9:10]
	s_delay_alu instid0(VALU_DEP_2) | instskip(NEXT) | instid1(VALU_DEP_2)
	v_fma_f64 v[9:10], v[3:4], v[7:8], -v[11:12]
	v_fma_f64 v[11:12], v[1:2], v[7:8], v[15:16]
	scratch_store_b128 off, v[9:12], off offset:224
.LBB44_71:
	s_or_b32 exec_lo, exec_lo, s2
	s_waitcnt_vscnt null, 0x0
	s_barrier
	buffer_gl0_inv
	scratch_load_b128 v[1:4], v166, off
	s_mov_b32 s2, exec_lo
	s_waitcnt vmcnt(0)
	ds_store_b128 v5, v[1:4]
	s_waitcnt lgkmcnt(0)
	s_barrier
	buffer_gl0_inv
	v_cmpx_gt_u32_e32 15, v136
	s_cbranch_execz .LBB44_75
; %bb.72:
	v_dual_mov_b32 v1, 0 :: v_dual_add_nc_u32 v8, 0x2d0, v13
	v_dual_mov_b32 v2, 0 :: v_dual_add_nc_u32 v7, -1, v136
	v_or_b32_e32 v9, 8, v14
	s_mov_b32 s3, 0
	s_delay_alu instid0(VALU_DEP_2)
	v_dual_mov_b32 v4, v2 :: v_dual_mov_b32 v3, v1
	.p2align	6
.LBB44_73:                              ; =>This Inner Loop Header: Depth=1
	scratch_load_b128 v[15:18], v9, off offset:-8
	ds_load_b128 v[19:22], v8
	v_add_nc_u32_e32 v7, 1, v7
	v_add_nc_u32_e32 v8, 16, v8
	;; [unrolled: 1-line block ×3, first 2 shown]
	s_delay_alu instid0(VALU_DEP_3) | instskip(SKIP_4) | instid1(VALU_DEP_2)
	v_cmp_lt_u32_e32 vcc_lo, 13, v7
	s_or_b32 s3, vcc_lo, s3
	s_waitcnt vmcnt(0) lgkmcnt(0)
	v_mul_f64 v[10:11], v[21:22], v[17:18]
	v_mul_f64 v[17:18], v[19:20], v[17:18]
	v_fma_f64 v[10:11], v[19:20], v[15:16], -v[10:11]
	s_delay_alu instid0(VALU_DEP_2) | instskip(NEXT) | instid1(VALU_DEP_2)
	v_fma_f64 v[15:16], v[21:22], v[15:16], v[17:18]
	v_add_f64 v[3:4], v[3:4], v[10:11]
	s_delay_alu instid0(VALU_DEP_2)
	v_add_f64 v[1:2], v[1:2], v[15:16]
	s_and_not1_b32 exec_lo, exec_lo, s3
	s_cbranch_execnz .LBB44_73
; %bb.74:
	s_or_b32 exec_lo, exec_lo, s3
	v_mov_b32_e32 v7, 0
	ds_load_b128 v[7:10], v7 offset:240
	s_waitcnt lgkmcnt(0)
	v_mul_f64 v[11:12], v[1:2], v[9:10]
	v_mul_f64 v[15:16], v[3:4], v[9:10]
	s_delay_alu instid0(VALU_DEP_2) | instskip(NEXT) | instid1(VALU_DEP_2)
	v_fma_f64 v[9:10], v[3:4], v[7:8], -v[11:12]
	v_fma_f64 v[11:12], v[1:2], v[7:8], v[15:16]
	scratch_store_b128 off, v[9:12], off offset:240
.LBB44_75:
	s_or_b32 exec_lo, exec_lo, s2
	s_waitcnt_vscnt null, 0x0
	s_barrier
	buffer_gl0_inv
	scratch_load_b128 v[1:4], v165, off
	s_mov_b32 s2, exec_lo
	s_waitcnt vmcnt(0)
	ds_store_b128 v5, v[1:4]
	s_waitcnt lgkmcnt(0)
	s_barrier
	buffer_gl0_inv
	v_cmpx_gt_u32_e32 16, v136
	s_cbranch_execz .LBB44_79
; %bb.76:
	v_dual_mov_b32 v1, 0 :: v_dual_add_nc_u32 v8, 0x2d0, v13
	v_dual_mov_b32 v2, 0 :: v_dual_add_nc_u32 v7, -1, v136
	v_or_b32_e32 v9, 8, v14
	s_mov_b32 s3, 0
	s_delay_alu instid0(VALU_DEP_2)
	v_dual_mov_b32 v4, v2 :: v_dual_mov_b32 v3, v1
	.p2align	6
.LBB44_77:                              ; =>This Inner Loop Header: Depth=1
	scratch_load_b128 v[15:18], v9, off offset:-8
	ds_load_b128 v[19:22], v8
	v_add_nc_u32_e32 v7, 1, v7
	v_add_nc_u32_e32 v8, 16, v8
	;; [unrolled: 1-line block ×3, first 2 shown]
	s_delay_alu instid0(VALU_DEP_3) | instskip(SKIP_4) | instid1(VALU_DEP_2)
	v_cmp_lt_u32_e32 vcc_lo, 14, v7
	s_or_b32 s3, vcc_lo, s3
	s_waitcnt vmcnt(0) lgkmcnt(0)
	v_mul_f64 v[10:11], v[21:22], v[17:18]
	v_mul_f64 v[17:18], v[19:20], v[17:18]
	v_fma_f64 v[10:11], v[19:20], v[15:16], -v[10:11]
	s_delay_alu instid0(VALU_DEP_2) | instskip(NEXT) | instid1(VALU_DEP_2)
	v_fma_f64 v[15:16], v[21:22], v[15:16], v[17:18]
	v_add_f64 v[3:4], v[3:4], v[10:11]
	s_delay_alu instid0(VALU_DEP_2)
	v_add_f64 v[1:2], v[1:2], v[15:16]
	s_and_not1_b32 exec_lo, exec_lo, s3
	s_cbranch_execnz .LBB44_77
; %bb.78:
	s_or_b32 exec_lo, exec_lo, s3
	v_mov_b32_e32 v7, 0
	ds_load_b128 v[7:10], v7 offset:256
	s_waitcnt lgkmcnt(0)
	v_mul_f64 v[11:12], v[1:2], v[9:10]
	v_mul_f64 v[15:16], v[3:4], v[9:10]
	s_delay_alu instid0(VALU_DEP_2) | instskip(NEXT) | instid1(VALU_DEP_2)
	v_fma_f64 v[9:10], v[3:4], v[7:8], -v[11:12]
	v_fma_f64 v[11:12], v[1:2], v[7:8], v[15:16]
	scratch_store_b128 off, v[9:12], off offset:256
.LBB44_79:
	s_or_b32 exec_lo, exec_lo, s2
	s_waitcnt_vscnt null, 0x0
	s_barrier
	buffer_gl0_inv
	scratch_load_b128 v[1:4], v164, off
	s_mov_b32 s2, exec_lo
	s_waitcnt vmcnt(0)
	ds_store_b128 v5, v[1:4]
	s_waitcnt lgkmcnt(0)
	s_barrier
	buffer_gl0_inv
	v_cmpx_gt_u32_e32 17, v136
	s_cbranch_execz .LBB44_83
; %bb.80:
	v_dual_mov_b32 v1, 0 :: v_dual_add_nc_u32 v8, 0x2d0, v13
	v_dual_mov_b32 v2, 0 :: v_dual_add_nc_u32 v7, -1, v136
	v_or_b32_e32 v9, 8, v14
	s_mov_b32 s3, 0
	s_delay_alu instid0(VALU_DEP_2)
	v_dual_mov_b32 v4, v2 :: v_dual_mov_b32 v3, v1
	.p2align	6
.LBB44_81:                              ; =>This Inner Loop Header: Depth=1
	scratch_load_b128 v[15:18], v9, off offset:-8
	ds_load_b128 v[19:22], v8
	v_add_nc_u32_e32 v7, 1, v7
	v_add_nc_u32_e32 v8, 16, v8
	;; [unrolled: 1-line block ×3, first 2 shown]
	s_delay_alu instid0(VALU_DEP_3) | instskip(SKIP_4) | instid1(VALU_DEP_2)
	v_cmp_lt_u32_e32 vcc_lo, 15, v7
	s_or_b32 s3, vcc_lo, s3
	s_waitcnt vmcnt(0) lgkmcnt(0)
	v_mul_f64 v[10:11], v[21:22], v[17:18]
	v_mul_f64 v[17:18], v[19:20], v[17:18]
	v_fma_f64 v[10:11], v[19:20], v[15:16], -v[10:11]
	s_delay_alu instid0(VALU_DEP_2) | instskip(NEXT) | instid1(VALU_DEP_2)
	v_fma_f64 v[15:16], v[21:22], v[15:16], v[17:18]
	v_add_f64 v[3:4], v[3:4], v[10:11]
	s_delay_alu instid0(VALU_DEP_2)
	v_add_f64 v[1:2], v[1:2], v[15:16]
	s_and_not1_b32 exec_lo, exec_lo, s3
	s_cbranch_execnz .LBB44_81
; %bb.82:
	s_or_b32 exec_lo, exec_lo, s3
	v_mov_b32_e32 v7, 0
	ds_load_b128 v[7:10], v7 offset:272
	s_waitcnt lgkmcnt(0)
	v_mul_f64 v[11:12], v[1:2], v[9:10]
	v_mul_f64 v[15:16], v[3:4], v[9:10]
	s_delay_alu instid0(VALU_DEP_2) | instskip(NEXT) | instid1(VALU_DEP_2)
	v_fma_f64 v[9:10], v[3:4], v[7:8], -v[11:12]
	v_fma_f64 v[11:12], v[1:2], v[7:8], v[15:16]
	scratch_store_b128 off, v[9:12], off offset:272
.LBB44_83:
	s_or_b32 exec_lo, exec_lo, s2
	s_waitcnt_vscnt null, 0x0
	s_barrier
	buffer_gl0_inv
	scratch_load_b128 v[1:4], v162, off
	s_mov_b32 s2, exec_lo
	s_waitcnt vmcnt(0)
	ds_store_b128 v5, v[1:4]
	s_waitcnt lgkmcnt(0)
	s_barrier
	buffer_gl0_inv
	v_cmpx_gt_u32_e32 18, v136
	s_cbranch_execz .LBB44_87
; %bb.84:
	v_dual_mov_b32 v1, 0 :: v_dual_add_nc_u32 v8, 0x2d0, v13
	v_dual_mov_b32 v2, 0 :: v_dual_add_nc_u32 v7, -1, v136
	v_or_b32_e32 v9, 8, v14
	s_mov_b32 s3, 0
	s_delay_alu instid0(VALU_DEP_2)
	v_dual_mov_b32 v4, v2 :: v_dual_mov_b32 v3, v1
	.p2align	6
.LBB44_85:                              ; =>This Inner Loop Header: Depth=1
	scratch_load_b128 v[15:18], v9, off offset:-8
	ds_load_b128 v[19:22], v8
	v_add_nc_u32_e32 v7, 1, v7
	v_add_nc_u32_e32 v8, 16, v8
	;; [unrolled: 1-line block ×3, first 2 shown]
	s_delay_alu instid0(VALU_DEP_3) | instskip(SKIP_4) | instid1(VALU_DEP_2)
	v_cmp_lt_u32_e32 vcc_lo, 16, v7
	s_or_b32 s3, vcc_lo, s3
	s_waitcnt vmcnt(0) lgkmcnt(0)
	v_mul_f64 v[10:11], v[21:22], v[17:18]
	v_mul_f64 v[17:18], v[19:20], v[17:18]
	v_fma_f64 v[10:11], v[19:20], v[15:16], -v[10:11]
	s_delay_alu instid0(VALU_DEP_2) | instskip(NEXT) | instid1(VALU_DEP_2)
	v_fma_f64 v[15:16], v[21:22], v[15:16], v[17:18]
	v_add_f64 v[3:4], v[3:4], v[10:11]
	s_delay_alu instid0(VALU_DEP_2)
	v_add_f64 v[1:2], v[1:2], v[15:16]
	s_and_not1_b32 exec_lo, exec_lo, s3
	s_cbranch_execnz .LBB44_85
; %bb.86:
	s_or_b32 exec_lo, exec_lo, s3
	v_mov_b32_e32 v7, 0
	ds_load_b128 v[7:10], v7 offset:288
	s_waitcnt lgkmcnt(0)
	v_mul_f64 v[11:12], v[1:2], v[9:10]
	v_mul_f64 v[15:16], v[3:4], v[9:10]
	s_delay_alu instid0(VALU_DEP_2) | instskip(NEXT) | instid1(VALU_DEP_2)
	v_fma_f64 v[9:10], v[3:4], v[7:8], -v[11:12]
	v_fma_f64 v[11:12], v[1:2], v[7:8], v[15:16]
	scratch_store_b128 off, v[9:12], off offset:288
.LBB44_87:
	s_or_b32 exec_lo, exec_lo, s2
	s_waitcnt_vscnt null, 0x0
	s_barrier
	buffer_gl0_inv
	scratch_load_b128 v[1:4], v161, off
	s_mov_b32 s2, exec_lo
	s_waitcnt vmcnt(0)
	ds_store_b128 v5, v[1:4]
	s_waitcnt lgkmcnt(0)
	s_barrier
	buffer_gl0_inv
	v_cmpx_gt_u32_e32 19, v136
	s_cbranch_execz .LBB44_91
; %bb.88:
	v_dual_mov_b32 v1, 0 :: v_dual_add_nc_u32 v8, 0x2d0, v13
	v_dual_mov_b32 v2, 0 :: v_dual_add_nc_u32 v7, -1, v136
	v_or_b32_e32 v9, 8, v14
	s_mov_b32 s3, 0
	s_delay_alu instid0(VALU_DEP_2)
	v_dual_mov_b32 v4, v2 :: v_dual_mov_b32 v3, v1
	.p2align	6
.LBB44_89:                              ; =>This Inner Loop Header: Depth=1
	scratch_load_b128 v[15:18], v9, off offset:-8
	ds_load_b128 v[19:22], v8
	v_add_nc_u32_e32 v7, 1, v7
	v_add_nc_u32_e32 v8, 16, v8
	;; [unrolled: 1-line block ×3, first 2 shown]
	s_delay_alu instid0(VALU_DEP_3) | instskip(SKIP_4) | instid1(VALU_DEP_2)
	v_cmp_lt_u32_e32 vcc_lo, 17, v7
	s_or_b32 s3, vcc_lo, s3
	s_waitcnt vmcnt(0) lgkmcnt(0)
	v_mul_f64 v[10:11], v[21:22], v[17:18]
	v_mul_f64 v[17:18], v[19:20], v[17:18]
	v_fma_f64 v[10:11], v[19:20], v[15:16], -v[10:11]
	s_delay_alu instid0(VALU_DEP_2) | instskip(NEXT) | instid1(VALU_DEP_2)
	v_fma_f64 v[15:16], v[21:22], v[15:16], v[17:18]
	v_add_f64 v[3:4], v[3:4], v[10:11]
	s_delay_alu instid0(VALU_DEP_2)
	v_add_f64 v[1:2], v[1:2], v[15:16]
	s_and_not1_b32 exec_lo, exec_lo, s3
	s_cbranch_execnz .LBB44_89
; %bb.90:
	s_or_b32 exec_lo, exec_lo, s3
	v_mov_b32_e32 v7, 0
	ds_load_b128 v[7:10], v7 offset:304
	s_waitcnt lgkmcnt(0)
	v_mul_f64 v[11:12], v[1:2], v[9:10]
	v_mul_f64 v[15:16], v[3:4], v[9:10]
	s_delay_alu instid0(VALU_DEP_2) | instskip(NEXT) | instid1(VALU_DEP_2)
	v_fma_f64 v[9:10], v[3:4], v[7:8], -v[11:12]
	v_fma_f64 v[11:12], v[1:2], v[7:8], v[15:16]
	scratch_store_b128 off, v[9:12], off offset:304
.LBB44_91:
	s_or_b32 exec_lo, exec_lo, s2
	s_waitcnt_vscnt null, 0x0
	s_barrier
	buffer_gl0_inv
	scratch_load_b128 v[1:4], v159, off
	s_mov_b32 s2, exec_lo
	s_waitcnt vmcnt(0)
	ds_store_b128 v5, v[1:4]
	s_waitcnt lgkmcnt(0)
	s_barrier
	buffer_gl0_inv
	v_cmpx_gt_u32_e32 20, v136
	s_cbranch_execz .LBB44_95
; %bb.92:
	v_dual_mov_b32 v1, 0 :: v_dual_add_nc_u32 v8, 0x2d0, v13
	v_dual_mov_b32 v2, 0 :: v_dual_add_nc_u32 v7, -1, v136
	v_or_b32_e32 v9, 8, v14
	s_mov_b32 s3, 0
	s_delay_alu instid0(VALU_DEP_2)
	v_dual_mov_b32 v4, v2 :: v_dual_mov_b32 v3, v1
	.p2align	6
.LBB44_93:                              ; =>This Inner Loop Header: Depth=1
	scratch_load_b128 v[15:18], v9, off offset:-8
	ds_load_b128 v[19:22], v8
	v_add_nc_u32_e32 v7, 1, v7
	v_add_nc_u32_e32 v8, 16, v8
	;; [unrolled: 1-line block ×3, first 2 shown]
	s_delay_alu instid0(VALU_DEP_3) | instskip(SKIP_4) | instid1(VALU_DEP_2)
	v_cmp_lt_u32_e32 vcc_lo, 18, v7
	s_or_b32 s3, vcc_lo, s3
	s_waitcnt vmcnt(0) lgkmcnt(0)
	v_mul_f64 v[10:11], v[21:22], v[17:18]
	v_mul_f64 v[17:18], v[19:20], v[17:18]
	v_fma_f64 v[10:11], v[19:20], v[15:16], -v[10:11]
	s_delay_alu instid0(VALU_DEP_2) | instskip(NEXT) | instid1(VALU_DEP_2)
	v_fma_f64 v[15:16], v[21:22], v[15:16], v[17:18]
	v_add_f64 v[3:4], v[3:4], v[10:11]
	s_delay_alu instid0(VALU_DEP_2)
	v_add_f64 v[1:2], v[1:2], v[15:16]
	s_and_not1_b32 exec_lo, exec_lo, s3
	s_cbranch_execnz .LBB44_93
; %bb.94:
	s_or_b32 exec_lo, exec_lo, s3
	v_mov_b32_e32 v7, 0
	ds_load_b128 v[7:10], v7 offset:320
	s_waitcnt lgkmcnt(0)
	v_mul_f64 v[11:12], v[1:2], v[9:10]
	v_mul_f64 v[15:16], v[3:4], v[9:10]
	s_delay_alu instid0(VALU_DEP_2) | instskip(NEXT) | instid1(VALU_DEP_2)
	v_fma_f64 v[9:10], v[3:4], v[7:8], -v[11:12]
	v_fma_f64 v[11:12], v[1:2], v[7:8], v[15:16]
	scratch_store_b128 off, v[9:12], off offset:320
.LBB44_95:
	s_or_b32 exec_lo, exec_lo, s2
	s_waitcnt_vscnt null, 0x0
	s_barrier
	buffer_gl0_inv
	scratch_load_b128 v[1:4], v158, off
	s_mov_b32 s2, exec_lo
	s_waitcnt vmcnt(0)
	ds_store_b128 v5, v[1:4]
	s_waitcnt lgkmcnt(0)
	s_barrier
	buffer_gl0_inv
	v_cmpx_gt_u32_e32 21, v136
	s_cbranch_execz .LBB44_99
; %bb.96:
	v_dual_mov_b32 v1, 0 :: v_dual_add_nc_u32 v8, 0x2d0, v13
	v_dual_mov_b32 v2, 0 :: v_dual_add_nc_u32 v7, -1, v136
	v_or_b32_e32 v9, 8, v14
	s_mov_b32 s3, 0
	s_delay_alu instid0(VALU_DEP_2)
	v_dual_mov_b32 v4, v2 :: v_dual_mov_b32 v3, v1
	.p2align	6
.LBB44_97:                              ; =>This Inner Loop Header: Depth=1
	scratch_load_b128 v[15:18], v9, off offset:-8
	ds_load_b128 v[19:22], v8
	v_add_nc_u32_e32 v7, 1, v7
	v_add_nc_u32_e32 v8, 16, v8
	;; [unrolled: 1-line block ×3, first 2 shown]
	s_delay_alu instid0(VALU_DEP_3) | instskip(SKIP_4) | instid1(VALU_DEP_2)
	v_cmp_lt_u32_e32 vcc_lo, 19, v7
	s_or_b32 s3, vcc_lo, s3
	s_waitcnt vmcnt(0) lgkmcnt(0)
	v_mul_f64 v[10:11], v[21:22], v[17:18]
	v_mul_f64 v[17:18], v[19:20], v[17:18]
	v_fma_f64 v[10:11], v[19:20], v[15:16], -v[10:11]
	s_delay_alu instid0(VALU_DEP_2) | instskip(NEXT) | instid1(VALU_DEP_2)
	v_fma_f64 v[15:16], v[21:22], v[15:16], v[17:18]
	v_add_f64 v[3:4], v[3:4], v[10:11]
	s_delay_alu instid0(VALU_DEP_2)
	v_add_f64 v[1:2], v[1:2], v[15:16]
	s_and_not1_b32 exec_lo, exec_lo, s3
	s_cbranch_execnz .LBB44_97
; %bb.98:
	s_or_b32 exec_lo, exec_lo, s3
	v_mov_b32_e32 v7, 0
	ds_load_b128 v[7:10], v7 offset:336
	s_waitcnt lgkmcnt(0)
	v_mul_f64 v[11:12], v[1:2], v[9:10]
	v_mul_f64 v[15:16], v[3:4], v[9:10]
	s_delay_alu instid0(VALU_DEP_2) | instskip(NEXT) | instid1(VALU_DEP_2)
	v_fma_f64 v[9:10], v[3:4], v[7:8], -v[11:12]
	v_fma_f64 v[11:12], v[1:2], v[7:8], v[15:16]
	scratch_store_b128 off, v[9:12], off offset:336
.LBB44_99:
	s_or_b32 exec_lo, exec_lo, s2
	s_waitcnt_vscnt null, 0x0
	s_barrier
	buffer_gl0_inv
	scratch_load_b128 v[1:4], v156, off
	s_mov_b32 s2, exec_lo
	s_waitcnt vmcnt(0)
	ds_store_b128 v5, v[1:4]
	s_waitcnt lgkmcnt(0)
	s_barrier
	buffer_gl0_inv
	v_cmpx_gt_u32_e32 22, v136
	s_cbranch_execz .LBB44_103
; %bb.100:
	v_dual_mov_b32 v1, 0 :: v_dual_add_nc_u32 v8, 0x2d0, v13
	v_dual_mov_b32 v2, 0 :: v_dual_add_nc_u32 v7, -1, v136
	v_or_b32_e32 v9, 8, v14
	s_mov_b32 s3, 0
	s_delay_alu instid0(VALU_DEP_2)
	v_dual_mov_b32 v4, v2 :: v_dual_mov_b32 v3, v1
	.p2align	6
.LBB44_101:                             ; =>This Inner Loop Header: Depth=1
	scratch_load_b128 v[15:18], v9, off offset:-8
	ds_load_b128 v[19:22], v8
	v_add_nc_u32_e32 v7, 1, v7
	v_add_nc_u32_e32 v8, 16, v8
	;; [unrolled: 1-line block ×3, first 2 shown]
	s_delay_alu instid0(VALU_DEP_3) | instskip(SKIP_4) | instid1(VALU_DEP_2)
	v_cmp_lt_u32_e32 vcc_lo, 20, v7
	s_or_b32 s3, vcc_lo, s3
	s_waitcnt vmcnt(0) lgkmcnt(0)
	v_mul_f64 v[10:11], v[21:22], v[17:18]
	v_mul_f64 v[17:18], v[19:20], v[17:18]
	v_fma_f64 v[10:11], v[19:20], v[15:16], -v[10:11]
	s_delay_alu instid0(VALU_DEP_2) | instskip(NEXT) | instid1(VALU_DEP_2)
	v_fma_f64 v[15:16], v[21:22], v[15:16], v[17:18]
	v_add_f64 v[3:4], v[3:4], v[10:11]
	s_delay_alu instid0(VALU_DEP_2)
	v_add_f64 v[1:2], v[1:2], v[15:16]
	s_and_not1_b32 exec_lo, exec_lo, s3
	s_cbranch_execnz .LBB44_101
; %bb.102:
	s_or_b32 exec_lo, exec_lo, s3
	v_mov_b32_e32 v7, 0
	ds_load_b128 v[7:10], v7 offset:352
	s_waitcnt lgkmcnt(0)
	v_mul_f64 v[11:12], v[1:2], v[9:10]
	v_mul_f64 v[15:16], v[3:4], v[9:10]
	s_delay_alu instid0(VALU_DEP_2) | instskip(NEXT) | instid1(VALU_DEP_2)
	v_fma_f64 v[9:10], v[3:4], v[7:8], -v[11:12]
	v_fma_f64 v[11:12], v[1:2], v[7:8], v[15:16]
	scratch_store_b128 off, v[9:12], off offset:352
.LBB44_103:
	s_or_b32 exec_lo, exec_lo, s2
	s_waitcnt_vscnt null, 0x0
	s_barrier
	buffer_gl0_inv
	scratch_load_b128 v[1:4], v155, off
	s_mov_b32 s2, exec_lo
	s_waitcnt vmcnt(0)
	ds_store_b128 v5, v[1:4]
	s_waitcnt lgkmcnt(0)
	s_barrier
	buffer_gl0_inv
	v_cmpx_gt_u32_e32 23, v136
	s_cbranch_execz .LBB44_107
; %bb.104:
	v_dual_mov_b32 v1, 0 :: v_dual_add_nc_u32 v8, 0x2d0, v13
	v_dual_mov_b32 v2, 0 :: v_dual_add_nc_u32 v7, -1, v136
	v_or_b32_e32 v9, 8, v14
	s_mov_b32 s3, 0
	s_delay_alu instid0(VALU_DEP_2)
	v_dual_mov_b32 v4, v2 :: v_dual_mov_b32 v3, v1
	.p2align	6
.LBB44_105:                             ; =>This Inner Loop Header: Depth=1
	scratch_load_b128 v[15:18], v9, off offset:-8
	ds_load_b128 v[19:22], v8
	v_add_nc_u32_e32 v7, 1, v7
	v_add_nc_u32_e32 v8, 16, v8
	;; [unrolled: 1-line block ×3, first 2 shown]
	s_delay_alu instid0(VALU_DEP_3) | instskip(SKIP_4) | instid1(VALU_DEP_2)
	v_cmp_lt_u32_e32 vcc_lo, 21, v7
	s_or_b32 s3, vcc_lo, s3
	s_waitcnt vmcnt(0) lgkmcnt(0)
	v_mul_f64 v[10:11], v[21:22], v[17:18]
	v_mul_f64 v[17:18], v[19:20], v[17:18]
	v_fma_f64 v[10:11], v[19:20], v[15:16], -v[10:11]
	s_delay_alu instid0(VALU_DEP_2) | instskip(NEXT) | instid1(VALU_DEP_2)
	v_fma_f64 v[15:16], v[21:22], v[15:16], v[17:18]
	v_add_f64 v[3:4], v[3:4], v[10:11]
	s_delay_alu instid0(VALU_DEP_2)
	v_add_f64 v[1:2], v[1:2], v[15:16]
	s_and_not1_b32 exec_lo, exec_lo, s3
	s_cbranch_execnz .LBB44_105
; %bb.106:
	s_or_b32 exec_lo, exec_lo, s3
	v_mov_b32_e32 v7, 0
	ds_load_b128 v[7:10], v7 offset:368
	s_waitcnt lgkmcnt(0)
	v_mul_f64 v[11:12], v[1:2], v[9:10]
	v_mul_f64 v[15:16], v[3:4], v[9:10]
	s_delay_alu instid0(VALU_DEP_2) | instskip(NEXT) | instid1(VALU_DEP_2)
	v_fma_f64 v[9:10], v[3:4], v[7:8], -v[11:12]
	v_fma_f64 v[11:12], v[1:2], v[7:8], v[15:16]
	scratch_store_b128 off, v[9:12], off offset:368
.LBB44_107:
	s_or_b32 exec_lo, exec_lo, s2
	s_waitcnt_vscnt null, 0x0
	s_barrier
	buffer_gl0_inv
	scratch_load_b128 v[1:4], v153, off
	s_mov_b32 s2, exec_lo
	s_waitcnt vmcnt(0)
	ds_store_b128 v5, v[1:4]
	s_waitcnt lgkmcnt(0)
	s_barrier
	buffer_gl0_inv
	v_cmpx_gt_u32_e32 24, v136
	s_cbranch_execz .LBB44_111
; %bb.108:
	v_dual_mov_b32 v1, 0 :: v_dual_add_nc_u32 v8, 0x2d0, v13
	v_dual_mov_b32 v2, 0 :: v_dual_add_nc_u32 v7, -1, v136
	v_or_b32_e32 v9, 8, v14
	s_mov_b32 s3, 0
	s_delay_alu instid0(VALU_DEP_2)
	v_dual_mov_b32 v4, v2 :: v_dual_mov_b32 v3, v1
	.p2align	6
.LBB44_109:                             ; =>This Inner Loop Header: Depth=1
	scratch_load_b128 v[15:18], v9, off offset:-8
	ds_load_b128 v[19:22], v8
	v_add_nc_u32_e32 v7, 1, v7
	v_add_nc_u32_e32 v8, 16, v8
	;; [unrolled: 1-line block ×3, first 2 shown]
	s_delay_alu instid0(VALU_DEP_3) | instskip(SKIP_4) | instid1(VALU_DEP_2)
	v_cmp_lt_u32_e32 vcc_lo, 22, v7
	s_or_b32 s3, vcc_lo, s3
	s_waitcnt vmcnt(0) lgkmcnt(0)
	v_mul_f64 v[10:11], v[21:22], v[17:18]
	v_mul_f64 v[17:18], v[19:20], v[17:18]
	v_fma_f64 v[10:11], v[19:20], v[15:16], -v[10:11]
	s_delay_alu instid0(VALU_DEP_2) | instskip(NEXT) | instid1(VALU_DEP_2)
	v_fma_f64 v[15:16], v[21:22], v[15:16], v[17:18]
	v_add_f64 v[3:4], v[3:4], v[10:11]
	s_delay_alu instid0(VALU_DEP_2)
	v_add_f64 v[1:2], v[1:2], v[15:16]
	s_and_not1_b32 exec_lo, exec_lo, s3
	s_cbranch_execnz .LBB44_109
; %bb.110:
	s_or_b32 exec_lo, exec_lo, s3
	v_mov_b32_e32 v7, 0
	ds_load_b128 v[7:10], v7 offset:384
	s_waitcnt lgkmcnt(0)
	v_mul_f64 v[11:12], v[1:2], v[9:10]
	v_mul_f64 v[15:16], v[3:4], v[9:10]
	s_delay_alu instid0(VALU_DEP_2) | instskip(NEXT) | instid1(VALU_DEP_2)
	v_fma_f64 v[9:10], v[3:4], v[7:8], -v[11:12]
	v_fma_f64 v[11:12], v[1:2], v[7:8], v[15:16]
	scratch_store_b128 off, v[9:12], off offset:384
.LBB44_111:
	s_or_b32 exec_lo, exec_lo, s2
	s_waitcnt_vscnt null, 0x0
	s_barrier
	buffer_gl0_inv
	scratch_load_b128 v[1:4], v151, off
	s_mov_b32 s2, exec_lo
	s_waitcnt vmcnt(0)
	ds_store_b128 v5, v[1:4]
	s_waitcnt lgkmcnt(0)
	s_barrier
	buffer_gl0_inv
	v_cmpx_gt_u32_e32 25, v136
	s_cbranch_execz .LBB44_115
; %bb.112:
	v_dual_mov_b32 v1, 0 :: v_dual_add_nc_u32 v8, 0x2d0, v13
	v_dual_mov_b32 v2, 0 :: v_dual_add_nc_u32 v7, -1, v136
	v_or_b32_e32 v9, 8, v14
	s_mov_b32 s3, 0
	s_delay_alu instid0(VALU_DEP_2)
	v_dual_mov_b32 v4, v2 :: v_dual_mov_b32 v3, v1
	.p2align	6
.LBB44_113:                             ; =>This Inner Loop Header: Depth=1
	scratch_load_b128 v[15:18], v9, off offset:-8
	ds_load_b128 v[19:22], v8
	v_add_nc_u32_e32 v7, 1, v7
	v_add_nc_u32_e32 v8, 16, v8
	;; [unrolled: 1-line block ×3, first 2 shown]
	s_delay_alu instid0(VALU_DEP_3) | instskip(SKIP_4) | instid1(VALU_DEP_2)
	v_cmp_lt_u32_e32 vcc_lo, 23, v7
	s_or_b32 s3, vcc_lo, s3
	s_waitcnt vmcnt(0) lgkmcnt(0)
	v_mul_f64 v[10:11], v[21:22], v[17:18]
	v_mul_f64 v[17:18], v[19:20], v[17:18]
	v_fma_f64 v[10:11], v[19:20], v[15:16], -v[10:11]
	s_delay_alu instid0(VALU_DEP_2) | instskip(NEXT) | instid1(VALU_DEP_2)
	v_fma_f64 v[15:16], v[21:22], v[15:16], v[17:18]
	v_add_f64 v[3:4], v[3:4], v[10:11]
	s_delay_alu instid0(VALU_DEP_2)
	v_add_f64 v[1:2], v[1:2], v[15:16]
	s_and_not1_b32 exec_lo, exec_lo, s3
	s_cbranch_execnz .LBB44_113
; %bb.114:
	s_or_b32 exec_lo, exec_lo, s3
	v_mov_b32_e32 v7, 0
	ds_load_b128 v[7:10], v7 offset:400
	s_waitcnt lgkmcnt(0)
	v_mul_f64 v[11:12], v[1:2], v[9:10]
	v_mul_f64 v[15:16], v[3:4], v[9:10]
	s_delay_alu instid0(VALU_DEP_2) | instskip(NEXT) | instid1(VALU_DEP_2)
	v_fma_f64 v[9:10], v[3:4], v[7:8], -v[11:12]
	v_fma_f64 v[11:12], v[1:2], v[7:8], v[15:16]
	scratch_store_b128 off, v[9:12], off offset:400
.LBB44_115:
	s_or_b32 exec_lo, exec_lo, s2
	s_waitcnt_vscnt null, 0x0
	s_barrier
	buffer_gl0_inv
	scratch_load_b128 v[1:4], v150, off
	s_mov_b32 s2, exec_lo
	s_waitcnt vmcnt(0)
	ds_store_b128 v5, v[1:4]
	s_waitcnt lgkmcnt(0)
	s_barrier
	buffer_gl0_inv
	v_cmpx_gt_u32_e32 26, v136
	s_cbranch_execz .LBB44_119
; %bb.116:
	v_dual_mov_b32 v1, 0 :: v_dual_add_nc_u32 v8, 0x2d0, v13
	v_dual_mov_b32 v2, 0 :: v_dual_add_nc_u32 v7, -1, v136
	v_or_b32_e32 v9, 8, v14
	s_mov_b32 s3, 0
	s_delay_alu instid0(VALU_DEP_2)
	v_dual_mov_b32 v4, v2 :: v_dual_mov_b32 v3, v1
	.p2align	6
.LBB44_117:                             ; =>This Inner Loop Header: Depth=1
	scratch_load_b128 v[15:18], v9, off offset:-8
	ds_load_b128 v[19:22], v8
	v_add_nc_u32_e32 v7, 1, v7
	v_add_nc_u32_e32 v8, 16, v8
	;; [unrolled: 1-line block ×3, first 2 shown]
	s_delay_alu instid0(VALU_DEP_3) | instskip(SKIP_4) | instid1(VALU_DEP_2)
	v_cmp_lt_u32_e32 vcc_lo, 24, v7
	s_or_b32 s3, vcc_lo, s3
	s_waitcnt vmcnt(0) lgkmcnt(0)
	v_mul_f64 v[10:11], v[21:22], v[17:18]
	v_mul_f64 v[17:18], v[19:20], v[17:18]
	v_fma_f64 v[10:11], v[19:20], v[15:16], -v[10:11]
	s_delay_alu instid0(VALU_DEP_2) | instskip(NEXT) | instid1(VALU_DEP_2)
	v_fma_f64 v[15:16], v[21:22], v[15:16], v[17:18]
	v_add_f64 v[3:4], v[3:4], v[10:11]
	s_delay_alu instid0(VALU_DEP_2)
	v_add_f64 v[1:2], v[1:2], v[15:16]
	s_and_not1_b32 exec_lo, exec_lo, s3
	s_cbranch_execnz .LBB44_117
; %bb.118:
	s_or_b32 exec_lo, exec_lo, s3
	v_mov_b32_e32 v7, 0
	ds_load_b128 v[7:10], v7 offset:416
	s_waitcnt lgkmcnt(0)
	v_mul_f64 v[11:12], v[1:2], v[9:10]
	v_mul_f64 v[15:16], v[3:4], v[9:10]
	s_delay_alu instid0(VALU_DEP_2) | instskip(NEXT) | instid1(VALU_DEP_2)
	v_fma_f64 v[9:10], v[3:4], v[7:8], -v[11:12]
	v_fma_f64 v[11:12], v[1:2], v[7:8], v[15:16]
	scratch_store_b128 off, v[9:12], off offset:416
.LBB44_119:
	s_or_b32 exec_lo, exec_lo, s2
	s_waitcnt_vscnt null, 0x0
	s_barrier
	buffer_gl0_inv
	scratch_load_b128 v[1:4], v147, off
	s_mov_b32 s2, exec_lo
	s_waitcnt vmcnt(0)
	ds_store_b128 v5, v[1:4]
	s_waitcnt lgkmcnt(0)
	s_barrier
	buffer_gl0_inv
	v_cmpx_gt_u32_e32 27, v136
	s_cbranch_execz .LBB44_123
; %bb.120:
	v_dual_mov_b32 v1, 0 :: v_dual_add_nc_u32 v8, 0x2d0, v13
	v_dual_mov_b32 v2, 0 :: v_dual_add_nc_u32 v7, -1, v136
	v_or_b32_e32 v9, 8, v14
	s_mov_b32 s3, 0
	s_delay_alu instid0(VALU_DEP_2)
	v_dual_mov_b32 v4, v2 :: v_dual_mov_b32 v3, v1
	.p2align	6
.LBB44_121:                             ; =>This Inner Loop Header: Depth=1
	scratch_load_b128 v[15:18], v9, off offset:-8
	ds_load_b128 v[19:22], v8
	v_add_nc_u32_e32 v7, 1, v7
	v_add_nc_u32_e32 v8, 16, v8
	;; [unrolled: 1-line block ×3, first 2 shown]
	s_delay_alu instid0(VALU_DEP_3) | instskip(SKIP_4) | instid1(VALU_DEP_2)
	v_cmp_lt_u32_e32 vcc_lo, 25, v7
	s_or_b32 s3, vcc_lo, s3
	s_waitcnt vmcnt(0) lgkmcnt(0)
	v_mul_f64 v[10:11], v[21:22], v[17:18]
	v_mul_f64 v[17:18], v[19:20], v[17:18]
	v_fma_f64 v[10:11], v[19:20], v[15:16], -v[10:11]
	s_delay_alu instid0(VALU_DEP_2) | instskip(NEXT) | instid1(VALU_DEP_2)
	v_fma_f64 v[15:16], v[21:22], v[15:16], v[17:18]
	v_add_f64 v[3:4], v[3:4], v[10:11]
	s_delay_alu instid0(VALU_DEP_2)
	v_add_f64 v[1:2], v[1:2], v[15:16]
	s_and_not1_b32 exec_lo, exec_lo, s3
	s_cbranch_execnz .LBB44_121
; %bb.122:
	s_or_b32 exec_lo, exec_lo, s3
	v_mov_b32_e32 v7, 0
	ds_load_b128 v[7:10], v7 offset:432
	s_waitcnt lgkmcnt(0)
	v_mul_f64 v[11:12], v[1:2], v[9:10]
	v_mul_f64 v[15:16], v[3:4], v[9:10]
	s_delay_alu instid0(VALU_DEP_2) | instskip(NEXT) | instid1(VALU_DEP_2)
	v_fma_f64 v[9:10], v[3:4], v[7:8], -v[11:12]
	v_fma_f64 v[11:12], v[1:2], v[7:8], v[15:16]
	scratch_store_b128 off, v[9:12], off offset:432
.LBB44_123:
	s_or_b32 exec_lo, exec_lo, s2
	s_waitcnt_vscnt null, 0x0
	s_barrier
	buffer_gl0_inv
	scratch_load_b128 v[1:4], v146, off
	s_mov_b32 s2, exec_lo
	s_waitcnt vmcnt(0)
	ds_store_b128 v5, v[1:4]
	s_waitcnt lgkmcnt(0)
	s_barrier
	buffer_gl0_inv
	v_cmpx_gt_u32_e32 28, v136
	s_cbranch_execz .LBB44_127
; %bb.124:
	v_dual_mov_b32 v1, 0 :: v_dual_add_nc_u32 v8, 0x2d0, v13
	v_dual_mov_b32 v2, 0 :: v_dual_add_nc_u32 v7, -1, v136
	v_or_b32_e32 v9, 8, v14
	s_mov_b32 s3, 0
	s_delay_alu instid0(VALU_DEP_2)
	v_dual_mov_b32 v4, v2 :: v_dual_mov_b32 v3, v1
	.p2align	6
.LBB44_125:                             ; =>This Inner Loop Header: Depth=1
	scratch_load_b128 v[15:18], v9, off offset:-8
	ds_load_b128 v[19:22], v8
	v_add_nc_u32_e32 v7, 1, v7
	v_add_nc_u32_e32 v8, 16, v8
	;; [unrolled: 1-line block ×3, first 2 shown]
	s_delay_alu instid0(VALU_DEP_3) | instskip(SKIP_4) | instid1(VALU_DEP_2)
	v_cmp_lt_u32_e32 vcc_lo, 26, v7
	s_or_b32 s3, vcc_lo, s3
	s_waitcnt vmcnt(0) lgkmcnt(0)
	v_mul_f64 v[10:11], v[21:22], v[17:18]
	v_mul_f64 v[17:18], v[19:20], v[17:18]
	v_fma_f64 v[10:11], v[19:20], v[15:16], -v[10:11]
	s_delay_alu instid0(VALU_DEP_2) | instskip(NEXT) | instid1(VALU_DEP_2)
	v_fma_f64 v[15:16], v[21:22], v[15:16], v[17:18]
	v_add_f64 v[3:4], v[3:4], v[10:11]
	s_delay_alu instid0(VALU_DEP_2)
	v_add_f64 v[1:2], v[1:2], v[15:16]
	s_and_not1_b32 exec_lo, exec_lo, s3
	s_cbranch_execnz .LBB44_125
; %bb.126:
	s_or_b32 exec_lo, exec_lo, s3
	v_mov_b32_e32 v7, 0
	ds_load_b128 v[7:10], v7 offset:448
	s_waitcnt lgkmcnt(0)
	v_mul_f64 v[11:12], v[1:2], v[9:10]
	v_mul_f64 v[15:16], v[3:4], v[9:10]
	s_delay_alu instid0(VALU_DEP_2) | instskip(NEXT) | instid1(VALU_DEP_2)
	v_fma_f64 v[9:10], v[3:4], v[7:8], -v[11:12]
	v_fma_f64 v[11:12], v[1:2], v[7:8], v[15:16]
	scratch_store_b128 off, v[9:12], off offset:448
.LBB44_127:
	s_or_b32 exec_lo, exec_lo, s2
	s_waitcnt_vscnt null, 0x0
	s_barrier
	buffer_gl0_inv
	scratch_load_b128 v[1:4], v144, off
	s_mov_b32 s2, exec_lo
	s_waitcnt vmcnt(0)
	ds_store_b128 v5, v[1:4]
	s_waitcnt lgkmcnt(0)
	s_barrier
	buffer_gl0_inv
	v_cmpx_gt_u32_e32 29, v136
	s_cbranch_execz .LBB44_131
; %bb.128:
	v_dual_mov_b32 v1, 0 :: v_dual_add_nc_u32 v8, 0x2d0, v13
	v_dual_mov_b32 v2, 0 :: v_dual_add_nc_u32 v7, -1, v136
	v_or_b32_e32 v9, 8, v14
	s_mov_b32 s3, 0
	s_delay_alu instid0(VALU_DEP_2)
	v_dual_mov_b32 v4, v2 :: v_dual_mov_b32 v3, v1
	.p2align	6
.LBB44_129:                             ; =>This Inner Loop Header: Depth=1
	scratch_load_b128 v[15:18], v9, off offset:-8
	ds_load_b128 v[19:22], v8
	v_add_nc_u32_e32 v7, 1, v7
	v_add_nc_u32_e32 v8, 16, v8
	;; [unrolled: 1-line block ×3, first 2 shown]
	s_delay_alu instid0(VALU_DEP_3) | instskip(SKIP_4) | instid1(VALU_DEP_2)
	v_cmp_lt_u32_e32 vcc_lo, 27, v7
	s_or_b32 s3, vcc_lo, s3
	s_waitcnt vmcnt(0) lgkmcnt(0)
	v_mul_f64 v[10:11], v[21:22], v[17:18]
	v_mul_f64 v[17:18], v[19:20], v[17:18]
	v_fma_f64 v[10:11], v[19:20], v[15:16], -v[10:11]
	s_delay_alu instid0(VALU_DEP_2) | instskip(NEXT) | instid1(VALU_DEP_2)
	v_fma_f64 v[15:16], v[21:22], v[15:16], v[17:18]
	v_add_f64 v[3:4], v[3:4], v[10:11]
	s_delay_alu instid0(VALU_DEP_2)
	v_add_f64 v[1:2], v[1:2], v[15:16]
	s_and_not1_b32 exec_lo, exec_lo, s3
	s_cbranch_execnz .LBB44_129
; %bb.130:
	s_or_b32 exec_lo, exec_lo, s3
	v_mov_b32_e32 v7, 0
	ds_load_b128 v[7:10], v7 offset:464
	s_waitcnt lgkmcnt(0)
	v_mul_f64 v[11:12], v[1:2], v[9:10]
	v_mul_f64 v[15:16], v[3:4], v[9:10]
	s_delay_alu instid0(VALU_DEP_2) | instskip(NEXT) | instid1(VALU_DEP_2)
	v_fma_f64 v[9:10], v[3:4], v[7:8], -v[11:12]
	v_fma_f64 v[11:12], v[1:2], v[7:8], v[15:16]
	scratch_store_b128 off, v[9:12], off offset:464
.LBB44_131:
	s_or_b32 exec_lo, exec_lo, s2
	s_waitcnt_vscnt null, 0x0
	s_barrier
	buffer_gl0_inv
	scratch_load_b128 v[1:4], v142, off
	s_mov_b32 s2, exec_lo
	s_waitcnt vmcnt(0)
	ds_store_b128 v5, v[1:4]
	s_waitcnt lgkmcnt(0)
	s_barrier
	buffer_gl0_inv
	v_cmpx_gt_u32_e32 30, v136
	s_cbranch_execz .LBB44_135
; %bb.132:
	v_dual_mov_b32 v1, 0 :: v_dual_add_nc_u32 v8, 0x2d0, v13
	v_dual_mov_b32 v2, 0 :: v_dual_add_nc_u32 v7, -1, v136
	v_or_b32_e32 v9, 8, v14
	s_mov_b32 s3, 0
	s_delay_alu instid0(VALU_DEP_2)
	v_dual_mov_b32 v4, v2 :: v_dual_mov_b32 v3, v1
	.p2align	6
.LBB44_133:                             ; =>This Inner Loop Header: Depth=1
	scratch_load_b128 v[15:18], v9, off offset:-8
	ds_load_b128 v[19:22], v8
	v_add_nc_u32_e32 v7, 1, v7
	v_add_nc_u32_e32 v8, 16, v8
	;; [unrolled: 1-line block ×3, first 2 shown]
	s_delay_alu instid0(VALU_DEP_3) | instskip(SKIP_4) | instid1(VALU_DEP_2)
	v_cmp_lt_u32_e32 vcc_lo, 28, v7
	s_or_b32 s3, vcc_lo, s3
	s_waitcnt vmcnt(0) lgkmcnt(0)
	v_mul_f64 v[10:11], v[21:22], v[17:18]
	v_mul_f64 v[17:18], v[19:20], v[17:18]
	v_fma_f64 v[10:11], v[19:20], v[15:16], -v[10:11]
	s_delay_alu instid0(VALU_DEP_2) | instskip(NEXT) | instid1(VALU_DEP_2)
	v_fma_f64 v[15:16], v[21:22], v[15:16], v[17:18]
	v_add_f64 v[3:4], v[3:4], v[10:11]
	s_delay_alu instid0(VALU_DEP_2)
	v_add_f64 v[1:2], v[1:2], v[15:16]
	s_and_not1_b32 exec_lo, exec_lo, s3
	s_cbranch_execnz .LBB44_133
; %bb.134:
	s_or_b32 exec_lo, exec_lo, s3
	v_mov_b32_e32 v7, 0
	ds_load_b128 v[7:10], v7 offset:480
	s_waitcnt lgkmcnt(0)
	v_mul_f64 v[11:12], v[1:2], v[9:10]
	v_mul_f64 v[15:16], v[3:4], v[9:10]
	s_delay_alu instid0(VALU_DEP_2) | instskip(NEXT) | instid1(VALU_DEP_2)
	v_fma_f64 v[9:10], v[3:4], v[7:8], -v[11:12]
	v_fma_f64 v[11:12], v[1:2], v[7:8], v[15:16]
	scratch_store_b128 off, v[9:12], off offset:480
.LBB44_135:
	s_or_b32 exec_lo, exec_lo, s2
	s_waitcnt_vscnt null, 0x0
	s_barrier
	buffer_gl0_inv
	scratch_load_b128 v[1:4], v140, off
	s_mov_b32 s2, exec_lo
	s_waitcnt vmcnt(0)
	ds_store_b128 v5, v[1:4]
	s_waitcnt lgkmcnt(0)
	s_barrier
	buffer_gl0_inv
	v_cmpx_gt_u32_e32 31, v136
	s_cbranch_execz .LBB44_139
; %bb.136:
	v_dual_mov_b32 v1, 0 :: v_dual_add_nc_u32 v8, 0x2d0, v13
	v_dual_mov_b32 v2, 0 :: v_dual_add_nc_u32 v7, -1, v136
	v_or_b32_e32 v9, 8, v14
	s_mov_b32 s3, 0
	s_delay_alu instid0(VALU_DEP_2)
	v_dual_mov_b32 v4, v2 :: v_dual_mov_b32 v3, v1
	.p2align	6
.LBB44_137:                             ; =>This Inner Loop Header: Depth=1
	scratch_load_b128 v[15:18], v9, off offset:-8
	ds_load_b128 v[19:22], v8
	v_add_nc_u32_e32 v7, 1, v7
	v_add_nc_u32_e32 v8, 16, v8
	;; [unrolled: 1-line block ×3, first 2 shown]
	s_delay_alu instid0(VALU_DEP_3) | instskip(SKIP_4) | instid1(VALU_DEP_2)
	v_cmp_lt_u32_e32 vcc_lo, 29, v7
	s_or_b32 s3, vcc_lo, s3
	s_waitcnt vmcnt(0) lgkmcnt(0)
	v_mul_f64 v[10:11], v[21:22], v[17:18]
	v_mul_f64 v[17:18], v[19:20], v[17:18]
	v_fma_f64 v[10:11], v[19:20], v[15:16], -v[10:11]
	s_delay_alu instid0(VALU_DEP_2) | instskip(NEXT) | instid1(VALU_DEP_2)
	v_fma_f64 v[15:16], v[21:22], v[15:16], v[17:18]
	v_add_f64 v[3:4], v[3:4], v[10:11]
	s_delay_alu instid0(VALU_DEP_2)
	v_add_f64 v[1:2], v[1:2], v[15:16]
	s_and_not1_b32 exec_lo, exec_lo, s3
	s_cbranch_execnz .LBB44_137
; %bb.138:
	s_or_b32 exec_lo, exec_lo, s3
	v_mov_b32_e32 v7, 0
	ds_load_b128 v[7:10], v7 offset:496
	s_waitcnt lgkmcnt(0)
	v_mul_f64 v[11:12], v[1:2], v[9:10]
	v_mul_f64 v[15:16], v[3:4], v[9:10]
	s_delay_alu instid0(VALU_DEP_2) | instskip(NEXT) | instid1(VALU_DEP_2)
	v_fma_f64 v[9:10], v[3:4], v[7:8], -v[11:12]
	v_fma_f64 v[11:12], v[1:2], v[7:8], v[15:16]
	scratch_store_b128 off, v[9:12], off offset:496
.LBB44_139:
	s_or_b32 exec_lo, exec_lo, s2
	s_waitcnt_vscnt null, 0x0
	s_barrier
	buffer_gl0_inv
	scratch_load_b128 v[1:4], v138, off
	s_mov_b32 s2, exec_lo
	s_waitcnt vmcnt(0)
	ds_store_b128 v5, v[1:4]
	s_waitcnt lgkmcnt(0)
	s_barrier
	buffer_gl0_inv
	v_cmpx_gt_u32_e32 32, v136
	s_cbranch_execz .LBB44_143
; %bb.140:
	v_dual_mov_b32 v1, 0 :: v_dual_add_nc_u32 v8, 0x2d0, v13
	v_dual_mov_b32 v2, 0 :: v_dual_add_nc_u32 v7, -1, v136
	v_or_b32_e32 v9, 8, v14
	s_mov_b32 s3, 0
	s_delay_alu instid0(VALU_DEP_2)
	v_dual_mov_b32 v4, v2 :: v_dual_mov_b32 v3, v1
	.p2align	6
.LBB44_141:                             ; =>This Inner Loop Header: Depth=1
	scratch_load_b128 v[15:18], v9, off offset:-8
	ds_load_b128 v[19:22], v8
	v_add_nc_u32_e32 v7, 1, v7
	v_add_nc_u32_e32 v8, 16, v8
	;; [unrolled: 1-line block ×3, first 2 shown]
	s_delay_alu instid0(VALU_DEP_3) | instskip(SKIP_4) | instid1(VALU_DEP_2)
	v_cmp_lt_u32_e32 vcc_lo, 30, v7
	s_or_b32 s3, vcc_lo, s3
	s_waitcnt vmcnt(0) lgkmcnt(0)
	v_mul_f64 v[10:11], v[21:22], v[17:18]
	v_mul_f64 v[17:18], v[19:20], v[17:18]
	v_fma_f64 v[10:11], v[19:20], v[15:16], -v[10:11]
	s_delay_alu instid0(VALU_DEP_2) | instskip(NEXT) | instid1(VALU_DEP_2)
	v_fma_f64 v[15:16], v[21:22], v[15:16], v[17:18]
	v_add_f64 v[3:4], v[3:4], v[10:11]
	s_delay_alu instid0(VALU_DEP_2)
	v_add_f64 v[1:2], v[1:2], v[15:16]
	s_and_not1_b32 exec_lo, exec_lo, s3
	s_cbranch_execnz .LBB44_141
; %bb.142:
	s_or_b32 exec_lo, exec_lo, s3
	v_mov_b32_e32 v7, 0
	ds_load_b128 v[7:10], v7 offset:512
	s_waitcnt lgkmcnt(0)
	v_mul_f64 v[11:12], v[1:2], v[9:10]
	v_mul_f64 v[15:16], v[3:4], v[9:10]
	s_delay_alu instid0(VALU_DEP_2) | instskip(NEXT) | instid1(VALU_DEP_2)
	v_fma_f64 v[9:10], v[3:4], v[7:8], -v[11:12]
	v_fma_f64 v[11:12], v[1:2], v[7:8], v[15:16]
	scratch_store_b128 off, v[9:12], off offset:512
.LBB44_143:
	s_or_b32 exec_lo, exec_lo, s2
	s_waitcnt_vscnt null, 0x0
	s_barrier
	buffer_gl0_inv
	scratch_load_b128 v[1:4], v137, off
	s_mov_b32 s2, exec_lo
	s_waitcnt vmcnt(0)
	ds_store_b128 v5, v[1:4]
	s_waitcnt lgkmcnt(0)
	s_barrier
	buffer_gl0_inv
	v_cmpx_gt_u32_e32 33, v136
	s_cbranch_execz .LBB44_147
; %bb.144:
	v_dual_mov_b32 v1, 0 :: v_dual_add_nc_u32 v8, 0x2d0, v13
	v_dual_mov_b32 v2, 0 :: v_dual_add_nc_u32 v7, -1, v136
	v_or_b32_e32 v9, 8, v14
	s_mov_b32 s3, 0
	s_delay_alu instid0(VALU_DEP_2)
	v_dual_mov_b32 v4, v2 :: v_dual_mov_b32 v3, v1
	.p2align	6
.LBB44_145:                             ; =>This Inner Loop Header: Depth=1
	scratch_load_b128 v[15:18], v9, off offset:-8
	ds_load_b128 v[19:22], v8
	v_add_nc_u32_e32 v7, 1, v7
	v_add_nc_u32_e32 v8, 16, v8
	;; [unrolled: 1-line block ×3, first 2 shown]
	s_delay_alu instid0(VALU_DEP_3) | instskip(SKIP_4) | instid1(VALU_DEP_2)
	v_cmp_lt_u32_e32 vcc_lo, 31, v7
	s_or_b32 s3, vcc_lo, s3
	s_waitcnt vmcnt(0) lgkmcnt(0)
	v_mul_f64 v[10:11], v[21:22], v[17:18]
	v_mul_f64 v[17:18], v[19:20], v[17:18]
	v_fma_f64 v[10:11], v[19:20], v[15:16], -v[10:11]
	s_delay_alu instid0(VALU_DEP_2) | instskip(NEXT) | instid1(VALU_DEP_2)
	v_fma_f64 v[15:16], v[21:22], v[15:16], v[17:18]
	v_add_f64 v[3:4], v[3:4], v[10:11]
	s_delay_alu instid0(VALU_DEP_2)
	v_add_f64 v[1:2], v[1:2], v[15:16]
	s_and_not1_b32 exec_lo, exec_lo, s3
	s_cbranch_execnz .LBB44_145
; %bb.146:
	s_or_b32 exec_lo, exec_lo, s3
	v_mov_b32_e32 v7, 0
	ds_load_b128 v[7:10], v7 offset:528
	s_waitcnt lgkmcnt(0)
	v_mul_f64 v[11:12], v[1:2], v[9:10]
	v_mul_f64 v[15:16], v[3:4], v[9:10]
	s_delay_alu instid0(VALU_DEP_2) | instskip(NEXT) | instid1(VALU_DEP_2)
	v_fma_f64 v[9:10], v[3:4], v[7:8], -v[11:12]
	v_fma_f64 v[11:12], v[1:2], v[7:8], v[15:16]
	scratch_store_b128 off, v[9:12], off offset:528
.LBB44_147:
	s_or_b32 exec_lo, exec_lo, s2
	s_waitcnt_vscnt null, 0x0
	s_barrier
	buffer_gl0_inv
	scratch_load_b128 v[1:4], v163, off
	s_mov_b32 s2, exec_lo
	s_waitcnt vmcnt(0)
	ds_store_b128 v5, v[1:4]
	s_waitcnt lgkmcnt(0)
	s_barrier
	buffer_gl0_inv
	v_cmpx_gt_u32_e32 34, v136
	s_cbranch_execz .LBB44_151
; %bb.148:
	v_dual_mov_b32 v1, 0 :: v_dual_add_nc_u32 v8, 0x2d0, v13
	v_dual_mov_b32 v2, 0 :: v_dual_add_nc_u32 v7, -1, v136
	v_or_b32_e32 v9, 8, v14
	s_mov_b32 s3, 0
	s_delay_alu instid0(VALU_DEP_2)
	v_dual_mov_b32 v4, v2 :: v_dual_mov_b32 v3, v1
	.p2align	6
.LBB44_149:                             ; =>This Inner Loop Header: Depth=1
	scratch_load_b128 v[15:18], v9, off offset:-8
	ds_load_b128 v[19:22], v8
	v_add_nc_u32_e32 v7, 1, v7
	v_add_nc_u32_e32 v8, 16, v8
	;; [unrolled: 1-line block ×3, first 2 shown]
	s_delay_alu instid0(VALU_DEP_3) | instskip(SKIP_4) | instid1(VALU_DEP_2)
	v_cmp_lt_u32_e32 vcc_lo, 32, v7
	s_or_b32 s3, vcc_lo, s3
	s_waitcnt vmcnt(0) lgkmcnt(0)
	v_mul_f64 v[10:11], v[21:22], v[17:18]
	v_mul_f64 v[17:18], v[19:20], v[17:18]
	v_fma_f64 v[10:11], v[19:20], v[15:16], -v[10:11]
	s_delay_alu instid0(VALU_DEP_2) | instskip(NEXT) | instid1(VALU_DEP_2)
	v_fma_f64 v[15:16], v[21:22], v[15:16], v[17:18]
	v_add_f64 v[3:4], v[3:4], v[10:11]
	s_delay_alu instid0(VALU_DEP_2)
	v_add_f64 v[1:2], v[1:2], v[15:16]
	s_and_not1_b32 exec_lo, exec_lo, s3
	s_cbranch_execnz .LBB44_149
; %bb.150:
	s_or_b32 exec_lo, exec_lo, s3
	v_mov_b32_e32 v7, 0
	ds_load_b128 v[7:10], v7 offset:544
	s_waitcnt lgkmcnt(0)
	v_mul_f64 v[11:12], v[1:2], v[9:10]
	v_mul_f64 v[15:16], v[3:4], v[9:10]
	s_delay_alu instid0(VALU_DEP_2) | instskip(NEXT) | instid1(VALU_DEP_2)
	v_fma_f64 v[9:10], v[3:4], v[7:8], -v[11:12]
	v_fma_f64 v[11:12], v[1:2], v[7:8], v[15:16]
	scratch_store_b128 off, v[9:12], off offset:544
.LBB44_151:
	s_or_b32 exec_lo, exec_lo, s2
	s_waitcnt_vscnt null, 0x0
	s_barrier
	buffer_gl0_inv
	scratch_load_b128 v[1:4], v160, off
	s_mov_b32 s2, exec_lo
	s_waitcnt vmcnt(0)
	ds_store_b128 v5, v[1:4]
	s_waitcnt lgkmcnt(0)
	s_barrier
	buffer_gl0_inv
	v_cmpx_gt_u32_e32 35, v136
	s_cbranch_execz .LBB44_155
; %bb.152:
	v_dual_mov_b32 v1, 0 :: v_dual_add_nc_u32 v8, 0x2d0, v13
	v_dual_mov_b32 v2, 0 :: v_dual_add_nc_u32 v7, -1, v136
	v_or_b32_e32 v9, 8, v14
	s_mov_b32 s3, 0
	s_delay_alu instid0(VALU_DEP_2)
	v_dual_mov_b32 v4, v2 :: v_dual_mov_b32 v3, v1
	.p2align	6
.LBB44_153:                             ; =>This Inner Loop Header: Depth=1
	scratch_load_b128 v[15:18], v9, off offset:-8
	ds_load_b128 v[19:22], v8
	v_add_nc_u32_e32 v7, 1, v7
	v_add_nc_u32_e32 v8, 16, v8
	;; [unrolled: 1-line block ×3, first 2 shown]
	s_delay_alu instid0(VALU_DEP_3) | instskip(SKIP_4) | instid1(VALU_DEP_2)
	v_cmp_lt_u32_e32 vcc_lo, 33, v7
	s_or_b32 s3, vcc_lo, s3
	s_waitcnt vmcnt(0) lgkmcnt(0)
	v_mul_f64 v[10:11], v[21:22], v[17:18]
	v_mul_f64 v[17:18], v[19:20], v[17:18]
	v_fma_f64 v[10:11], v[19:20], v[15:16], -v[10:11]
	s_delay_alu instid0(VALU_DEP_2) | instskip(NEXT) | instid1(VALU_DEP_2)
	v_fma_f64 v[15:16], v[21:22], v[15:16], v[17:18]
	v_add_f64 v[3:4], v[3:4], v[10:11]
	s_delay_alu instid0(VALU_DEP_2)
	v_add_f64 v[1:2], v[1:2], v[15:16]
	s_and_not1_b32 exec_lo, exec_lo, s3
	s_cbranch_execnz .LBB44_153
; %bb.154:
	s_or_b32 exec_lo, exec_lo, s3
	v_mov_b32_e32 v7, 0
	ds_load_b128 v[7:10], v7 offset:560
	s_waitcnt lgkmcnt(0)
	v_mul_f64 v[11:12], v[1:2], v[9:10]
	v_mul_f64 v[15:16], v[3:4], v[9:10]
	s_delay_alu instid0(VALU_DEP_2) | instskip(NEXT) | instid1(VALU_DEP_2)
	v_fma_f64 v[9:10], v[3:4], v[7:8], -v[11:12]
	v_fma_f64 v[11:12], v[1:2], v[7:8], v[15:16]
	scratch_store_b128 off, v[9:12], off offset:560
.LBB44_155:
	s_or_b32 exec_lo, exec_lo, s2
	s_waitcnt_vscnt null, 0x0
	s_barrier
	buffer_gl0_inv
	scratch_load_b128 v[1:4], v157, off
	s_mov_b32 s2, exec_lo
	s_waitcnt vmcnt(0)
	ds_store_b128 v5, v[1:4]
	s_waitcnt lgkmcnt(0)
	s_barrier
	buffer_gl0_inv
	v_cmpx_gt_u32_e32 36, v136
	s_cbranch_execz .LBB44_159
; %bb.156:
	v_dual_mov_b32 v1, 0 :: v_dual_add_nc_u32 v8, 0x2d0, v13
	v_dual_mov_b32 v2, 0 :: v_dual_add_nc_u32 v7, -1, v136
	v_or_b32_e32 v9, 8, v14
	s_mov_b32 s3, 0
	s_delay_alu instid0(VALU_DEP_2)
	v_dual_mov_b32 v4, v2 :: v_dual_mov_b32 v3, v1
	.p2align	6
.LBB44_157:                             ; =>This Inner Loop Header: Depth=1
	scratch_load_b128 v[15:18], v9, off offset:-8
	ds_load_b128 v[19:22], v8
	v_add_nc_u32_e32 v7, 1, v7
	v_add_nc_u32_e32 v8, 16, v8
	;; [unrolled: 1-line block ×3, first 2 shown]
	s_delay_alu instid0(VALU_DEP_3) | instskip(SKIP_4) | instid1(VALU_DEP_2)
	v_cmp_lt_u32_e32 vcc_lo, 34, v7
	s_or_b32 s3, vcc_lo, s3
	s_waitcnt vmcnt(0) lgkmcnt(0)
	v_mul_f64 v[10:11], v[21:22], v[17:18]
	v_mul_f64 v[17:18], v[19:20], v[17:18]
	v_fma_f64 v[10:11], v[19:20], v[15:16], -v[10:11]
	s_delay_alu instid0(VALU_DEP_2) | instskip(NEXT) | instid1(VALU_DEP_2)
	v_fma_f64 v[15:16], v[21:22], v[15:16], v[17:18]
	v_add_f64 v[3:4], v[3:4], v[10:11]
	s_delay_alu instid0(VALU_DEP_2)
	v_add_f64 v[1:2], v[1:2], v[15:16]
	s_and_not1_b32 exec_lo, exec_lo, s3
	s_cbranch_execnz .LBB44_157
; %bb.158:
	s_or_b32 exec_lo, exec_lo, s3
	v_mov_b32_e32 v7, 0
	ds_load_b128 v[7:10], v7 offset:576
	s_waitcnt lgkmcnt(0)
	v_mul_f64 v[11:12], v[1:2], v[9:10]
	v_mul_f64 v[15:16], v[3:4], v[9:10]
	s_delay_alu instid0(VALU_DEP_2) | instskip(NEXT) | instid1(VALU_DEP_2)
	v_fma_f64 v[9:10], v[3:4], v[7:8], -v[11:12]
	v_fma_f64 v[11:12], v[1:2], v[7:8], v[15:16]
	scratch_store_b128 off, v[9:12], off offset:576
.LBB44_159:
	s_or_b32 exec_lo, exec_lo, s2
	s_waitcnt_vscnt null, 0x0
	s_barrier
	buffer_gl0_inv
	scratch_load_b128 v[1:4], v154, off
	s_mov_b32 s2, exec_lo
	s_waitcnt vmcnt(0)
	ds_store_b128 v5, v[1:4]
	s_waitcnt lgkmcnt(0)
	s_barrier
	buffer_gl0_inv
	v_cmpx_gt_u32_e32 37, v136
	s_cbranch_execz .LBB44_163
; %bb.160:
	v_dual_mov_b32 v1, 0 :: v_dual_add_nc_u32 v8, 0x2d0, v13
	v_dual_mov_b32 v2, 0 :: v_dual_add_nc_u32 v7, -1, v136
	v_or_b32_e32 v9, 8, v14
	s_mov_b32 s3, 0
	s_delay_alu instid0(VALU_DEP_2)
	v_dual_mov_b32 v4, v2 :: v_dual_mov_b32 v3, v1
	.p2align	6
.LBB44_161:                             ; =>This Inner Loop Header: Depth=1
	scratch_load_b128 v[15:18], v9, off offset:-8
	ds_load_b128 v[19:22], v8
	v_add_nc_u32_e32 v7, 1, v7
	v_add_nc_u32_e32 v8, 16, v8
	;; [unrolled: 1-line block ×3, first 2 shown]
	s_delay_alu instid0(VALU_DEP_3) | instskip(SKIP_4) | instid1(VALU_DEP_2)
	v_cmp_lt_u32_e32 vcc_lo, 35, v7
	s_or_b32 s3, vcc_lo, s3
	s_waitcnt vmcnt(0) lgkmcnt(0)
	v_mul_f64 v[10:11], v[21:22], v[17:18]
	v_mul_f64 v[17:18], v[19:20], v[17:18]
	v_fma_f64 v[10:11], v[19:20], v[15:16], -v[10:11]
	s_delay_alu instid0(VALU_DEP_2) | instskip(NEXT) | instid1(VALU_DEP_2)
	v_fma_f64 v[15:16], v[21:22], v[15:16], v[17:18]
	v_add_f64 v[3:4], v[3:4], v[10:11]
	s_delay_alu instid0(VALU_DEP_2)
	v_add_f64 v[1:2], v[1:2], v[15:16]
	s_and_not1_b32 exec_lo, exec_lo, s3
	s_cbranch_execnz .LBB44_161
; %bb.162:
	s_or_b32 exec_lo, exec_lo, s3
	v_mov_b32_e32 v7, 0
	ds_load_b128 v[7:10], v7 offset:592
	s_waitcnt lgkmcnt(0)
	v_mul_f64 v[11:12], v[1:2], v[9:10]
	v_mul_f64 v[15:16], v[3:4], v[9:10]
	s_delay_alu instid0(VALU_DEP_2) | instskip(NEXT) | instid1(VALU_DEP_2)
	v_fma_f64 v[9:10], v[3:4], v[7:8], -v[11:12]
	v_fma_f64 v[11:12], v[1:2], v[7:8], v[15:16]
	scratch_store_b128 off, v[9:12], off offset:592
.LBB44_163:
	s_or_b32 exec_lo, exec_lo, s2
	s_waitcnt_vscnt null, 0x0
	s_barrier
	buffer_gl0_inv
	scratch_load_b128 v[1:4], v152, off
	s_mov_b32 s2, exec_lo
	s_waitcnt vmcnt(0)
	ds_store_b128 v5, v[1:4]
	s_waitcnt lgkmcnt(0)
	s_barrier
	buffer_gl0_inv
	v_cmpx_gt_u32_e32 38, v136
	s_cbranch_execz .LBB44_167
; %bb.164:
	v_dual_mov_b32 v1, 0 :: v_dual_add_nc_u32 v8, 0x2d0, v13
	v_dual_mov_b32 v2, 0 :: v_dual_add_nc_u32 v7, -1, v136
	v_or_b32_e32 v9, 8, v14
	s_mov_b32 s3, 0
	s_delay_alu instid0(VALU_DEP_2)
	v_dual_mov_b32 v4, v2 :: v_dual_mov_b32 v3, v1
	.p2align	6
.LBB44_165:                             ; =>This Inner Loop Header: Depth=1
	scratch_load_b128 v[15:18], v9, off offset:-8
	ds_load_b128 v[19:22], v8
	v_add_nc_u32_e32 v7, 1, v7
	v_add_nc_u32_e32 v8, 16, v8
	;; [unrolled: 1-line block ×3, first 2 shown]
	s_delay_alu instid0(VALU_DEP_3) | instskip(SKIP_4) | instid1(VALU_DEP_2)
	v_cmp_lt_u32_e32 vcc_lo, 36, v7
	s_or_b32 s3, vcc_lo, s3
	s_waitcnt vmcnt(0) lgkmcnt(0)
	v_mul_f64 v[10:11], v[21:22], v[17:18]
	v_mul_f64 v[17:18], v[19:20], v[17:18]
	v_fma_f64 v[10:11], v[19:20], v[15:16], -v[10:11]
	s_delay_alu instid0(VALU_DEP_2) | instskip(NEXT) | instid1(VALU_DEP_2)
	v_fma_f64 v[15:16], v[21:22], v[15:16], v[17:18]
	v_add_f64 v[3:4], v[3:4], v[10:11]
	s_delay_alu instid0(VALU_DEP_2)
	v_add_f64 v[1:2], v[1:2], v[15:16]
	s_and_not1_b32 exec_lo, exec_lo, s3
	s_cbranch_execnz .LBB44_165
; %bb.166:
	s_or_b32 exec_lo, exec_lo, s3
	v_mov_b32_e32 v7, 0
	ds_load_b128 v[7:10], v7 offset:608
	s_waitcnt lgkmcnt(0)
	v_mul_f64 v[11:12], v[1:2], v[9:10]
	v_mul_f64 v[15:16], v[3:4], v[9:10]
	s_delay_alu instid0(VALU_DEP_2) | instskip(NEXT) | instid1(VALU_DEP_2)
	v_fma_f64 v[9:10], v[3:4], v[7:8], -v[11:12]
	v_fma_f64 v[11:12], v[1:2], v[7:8], v[15:16]
	scratch_store_b128 off, v[9:12], off offset:608
.LBB44_167:
	s_or_b32 exec_lo, exec_lo, s2
	s_waitcnt_vscnt null, 0x0
	s_barrier
	buffer_gl0_inv
	scratch_load_b128 v[1:4], v149, off
	s_mov_b32 s2, exec_lo
	s_waitcnt vmcnt(0)
	ds_store_b128 v5, v[1:4]
	s_waitcnt lgkmcnt(0)
	s_barrier
	buffer_gl0_inv
	v_cmpx_gt_u32_e32 39, v136
	s_cbranch_execz .LBB44_171
; %bb.168:
	v_dual_mov_b32 v1, 0 :: v_dual_add_nc_u32 v8, 0x2d0, v13
	v_dual_mov_b32 v2, 0 :: v_dual_add_nc_u32 v7, -1, v136
	v_or_b32_e32 v9, 8, v14
	s_mov_b32 s3, 0
	s_delay_alu instid0(VALU_DEP_2)
	v_dual_mov_b32 v4, v2 :: v_dual_mov_b32 v3, v1
	.p2align	6
.LBB44_169:                             ; =>This Inner Loop Header: Depth=1
	scratch_load_b128 v[15:18], v9, off offset:-8
	ds_load_b128 v[19:22], v8
	v_add_nc_u32_e32 v7, 1, v7
	v_add_nc_u32_e32 v8, 16, v8
	;; [unrolled: 1-line block ×3, first 2 shown]
	s_delay_alu instid0(VALU_DEP_3) | instskip(SKIP_4) | instid1(VALU_DEP_2)
	v_cmp_lt_u32_e32 vcc_lo, 37, v7
	s_or_b32 s3, vcc_lo, s3
	s_waitcnt vmcnt(0) lgkmcnt(0)
	v_mul_f64 v[10:11], v[21:22], v[17:18]
	v_mul_f64 v[17:18], v[19:20], v[17:18]
	v_fma_f64 v[10:11], v[19:20], v[15:16], -v[10:11]
	s_delay_alu instid0(VALU_DEP_2) | instskip(NEXT) | instid1(VALU_DEP_2)
	v_fma_f64 v[15:16], v[21:22], v[15:16], v[17:18]
	v_add_f64 v[3:4], v[3:4], v[10:11]
	s_delay_alu instid0(VALU_DEP_2)
	v_add_f64 v[1:2], v[1:2], v[15:16]
	s_and_not1_b32 exec_lo, exec_lo, s3
	s_cbranch_execnz .LBB44_169
; %bb.170:
	s_or_b32 exec_lo, exec_lo, s3
	v_mov_b32_e32 v7, 0
	ds_load_b128 v[7:10], v7 offset:624
	s_waitcnt lgkmcnt(0)
	v_mul_f64 v[11:12], v[1:2], v[9:10]
	v_mul_f64 v[15:16], v[3:4], v[9:10]
	s_delay_alu instid0(VALU_DEP_2) | instskip(NEXT) | instid1(VALU_DEP_2)
	v_fma_f64 v[9:10], v[3:4], v[7:8], -v[11:12]
	v_fma_f64 v[11:12], v[1:2], v[7:8], v[15:16]
	scratch_store_b128 off, v[9:12], off offset:624
.LBB44_171:
	s_or_b32 exec_lo, exec_lo, s2
	s_waitcnt_vscnt null, 0x0
	s_barrier
	buffer_gl0_inv
	scratch_load_b128 v[1:4], v148, off
	s_mov_b32 s2, exec_lo
	s_waitcnt vmcnt(0)
	ds_store_b128 v5, v[1:4]
	s_waitcnt lgkmcnt(0)
	s_barrier
	buffer_gl0_inv
	v_cmpx_gt_u32_e32 40, v136
	s_cbranch_execz .LBB44_175
; %bb.172:
	v_dual_mov_b32 v1, 0 :: v_dual_add_nc_u32 v8, 0x2d0, v13
	v_dual_mov_b32 v2, 0 :: v_dual_add_nc_u32 v7, -1, v136
	v_or_b32_e32 v9, 8, v14
	s_mov_b32 s3, 0
	s_delay_alu instid0(VALU_DEP_2)
	v_dual_mov_b32 v4, v2 :: v_dual_mov_b32 v3, v1
	.p2align	6
.LBB44_173:                             ; =>This Inner Loop Header: Depth=1
	scratch_load_b128 v[15:18], v9, off offset:-8
	ds_load_b128 v[19:22], v8
	v_add_nc_u32_e32 v7, 1, v7
	v_add_nc_u32_e32 v8, 16, v8
	;; [unrolled: 1-line block ×3, first 2 shown]
	s_delay_alu instid0(VALU_DEP_3) | instskip(SKIP_4) | instid1(VALU_DEP_2)
	v_cmp_lt_u32_e32 vcc_lo, 38, v7
	s_or_b32 s3, vcc_lo, s3
	s_waitcnt vmcnt(0) lgkmcnt(0)
	v_mul_f64 v[10:11], v[21:22], v[17:18]
	v_mul_f64 v[17:18], v[19:20], v[17:18]
	v_fma_f64 v[10:11], v[19:20], v[15:16], -v[10:11]
	s_delay_alu instid0(VALU_DEP_2) | instskip(NEXT) | instid1(VALU_DEP_2)
	v_fma_f64 v[15:16], v[21:22], v[15:16], v[17:18]
	v_add_f64 v[3:4], v[3:4], v[10:11]
	s_delay_alu instid0(VALU_DEP_2)
	v_add_f64 v[1:2], v[1:2], v[15:16]
	s_and_not1_b32 exec_lo, exec_lo, s3
	s_cbranch_execnz .LBB44_173
; %bb.174:
	s_or_b32 exec_lo, exec_lo, s3
	v_mov_b32_e32 v7, 0
	ds_load_b128 v[7:10], v7 offset:640
	s_waitcnt lgkmcnt(0)
	v_mul_f64 v[11:12], v[1:2], v[9:10]
	v_mul_f64 v[15:16], v[3:4], v[9:10]
	s_delay_alu instid0(VALU_DEP_2) | instskip(NEXT) | instid1(VALU_DEP_2)
	v_fma_f64 v[9:10], v[3:4], v[7:8], -v[11:12]
	v_fma_f64 v[11:12], v[1:2], v[7:8], v[15:16]
	scratch_store_b128 off, v[9:12], off offset:640
.LBB44_175:
	s_or_b32 exec_lo, exec_lo, s2
	s_waitcnt_vscnt null, 0x0
	s_barrier
	buffer_gl0_inv
	scratch_load_b128 v[1:4], v145, off
	s_mov_b32 s2, exec_lo
	s_waitcnt vmcnt(0)
	ds_store_b128 v5, v[1:4]
	s_waitcnt lgkmcnt(0)
	s_barrier
	buffer_gl0_inv
	v_cmpx_gt_u32_e32 41, v136
	s_cbranch_execz .LBB44_179
; %bb.176:
	v_dual_mov_b32 v1, 0 :: v_dual_add_nc_u32 v8, 0x2d0, v13
	v_dual_mov_b32 v2, 0 :: v_dual_add_nc_u32 v7, -1, v136
	v_or_b32_e32 v9, 8, v14
	s_mov_b32 s3, 0
	s_delay_alu instid0(VALU_DEP_2)
	v_dual_mov_b32 v4, v2 :: v_dual_mov_b32 v3, v1
	.p2align	6
.LBB44_177:                             ; =>This Inner Loop Header: Depth=1
	scratch_load_b128 v[15:18], v9, off offset:-8
	ds_load_b128 v[19:22], v8
	v_add_nc_u32_e32 v7, 1, v7
	v_add_nc_u32_e32 v8, 16, v8
	;; [unrolled: 1-line block ×3, first 2 shown]
	s_delay_alu instid0(VALU_DEP_3) | instskip(SKIP_4) | instid1(VALU_DEP_2)
	v_cmp_lt_u32_e32 vcc_lo, 39, v7
	s_or_b32 s3, vcc_lo, s3
	s_waitcnt vmcnt(0) lgkmcnt(0)
	v_mul_f64 v[10:11], v[21:22], v[17:18]
	v_mul_f64 v[17:18], v[19:20], v[17:18]
	v_fma_f64 v[10:11], v[19:20], v[15:16], -v[10:11]
	s_delay_alu instid0(VALU_DEP_2) | instskip(NEXT) | instid1(VALU_DEP_2)
	v_fma_f64 v[15:16], v[21:22], v[15:16], v[17:18]
	v_add_f64 v[3:4], v[3:4], v[10:11]
	s_delay_alu instid0(VALU_DEP_2)
	v_add_f64 v[1:2], v[1:2], v[15:16]
	s_and_not1_b32 exec_lo, exec_lo, s3
	s_cbranch_execnz .LBB44_177
; %bb.178:
	s_or_b32 exec_lo, exec_lo, s3
	v_mov_b32_e32 v7, 0
	ds_load_b128 v[7:10], v7 offset:656
	s_waitcnt lgkmcnt(0)
	v_mul_f64 v[11:12], v[1:2], v[9:10]
	v_mul_f64 v[15:16], v[3:4], v[9:10]
	s_delay_alu instid0(VALU_DEP_2) | instskip(NEXT) | instid1(VALU_DEP_2)
	v_fma_f64 v[9:10], v[3:4], v[7:8], -v[11:12]
	v_fma_f64 v[11:12], v[1:2], v[7:8], v[15:16]
	scratch_store_b128 off, v[9:12], off offset:656
.LBB44_179:
	s_or_b32 exec_lo, exec_lo, s2
	s_waitcnt_vscnt null, 0x0
	s_barrier
	buffer_gl0_inv
	scratch_load_b128 v[1:4], v143, off
	s_mov_b32 s2, exec_lo
	s_waitcnt vmcnt(0)
	ds_store_b128 v5, v[1:4]
	s_waitcnt lgkmcnt(0)
	s_barrier
	buffer_gl0_inv
	v_cmpx_gt_u32_e32 42, v136
	s_cbranch_execz .LBB44_183
; %bb.180:
	v_dual_mov_b32 v1, 0 :: v_dual_add_nc_u32 v8, 0x2d0, v13
	v_dual_mov_b32 v2, 0 :: v_dual_add_nc_u32 v7, -1, v136
	v_or_b32_e32 v9, 8, v14
	s_mov_b32 s3, 0
	s_delay_alu instid0(VALU_DEP_2)
	v_dual_mov_b32 v4, v2 :: v_dual_mov_b32 v3, v1
	.p2align	6
.LBB44_181:                             ; =>This Inner Loop Header: Depth=1
	scratch_load_b128 v[15:18], v9, off offset:-8
	ds_load_b128 v[19:22], v8
	v_add_nc_u32_e32 v7, 1, v7
	v_add_nc_u32_e32 v8, 16, v8
	;; [unrolled: 1-line block ×3, first 2 shown]
	s_delay_alu instid0(VALU_DEP_3) | instskip(SKIP_4) | instid1(VALU_DEP_2)
	v_cmp_lt_u32_e32 vcc_lo, 40, v7
	s_or_b32 s3, vcc_lo, s3
	s_waitcnt vmcnt(0) lgkmcnt(0)
	v_mul_f64 v[10:11], v[21:22], v[17:18]
	v_mul_f64 v[17:18], v[19:20], v[17:18]
	v_fma_f64 v[10:11], v[19:20], v[15:16], -v[10:11]
	s_delay_alu instid0(VALU_DEP_2) | instskip(NEXT) | instid1(VALU_DEP_2)
	v_fma_f64 v[15:16], v[21:22], v[15:16], v[17:18]
	v_add_f64 v[3:4], v[3:4], v[10:11]
	s_delay_alu instid0(VALU_DEP_2)
	v_add_f64 v[1:2], v[1:2], v[15:16]
	s_and_not1_b32 exec_lo, exec_lo, s3
	s_cbranch_execnz .LBB44_181
; %bb.182:
	s_or_b32 exec_lo, exec_lo, s3
	v_mov_b32_e32 v7, 0
	ds_load_b128 v[7:10], v7 offset:672
	s_waitcnt lgkmcnt(0)
	v_mul_f64 v[11:12], v[1:2], v[9:10]
	v_mul_f64 v[15:16], v[3:4], v[9:10]
	s_delay_alu instid0(VALU_DEP_2) | instskip(NEXT) | instid1(VALU_DEP_2)
	v_fma_f64 v[9:10], v[3:4], v[7:8], -v[11:12]
	v_fma_f64 v[11:12], v[1:2], v[7:8], v[15:16]
	scratch_store_b128 off, v[9:12], off offset:672
.LBB44_183:
	s_or_b32 exec_lo, exec_lo, s2
	s_waitcnt_vscnt null, 0x0
	s_barrier
	buffer_gl0_inv
	scratch_load_b128 v[1:4], v141, off
	s_mov_b32 s2, exec_lo
	s_waitcnt vmcnt(0)
	ds_store_b128 v5, v[1:4]
	s_waitcnt lgkmcnt(0)
	s_barrier
	buffer_gl0_inv
	v_cmpx_gt_u32_e32 43, v136
	s_cbranch_execz .LBB44_187
; %bb.184:
	v_dual_mov_b32 v1, 0 :: v_dual_add_nc_u32 v8, 0x2d0, v13
	v_dual_mov_b32 v2, 0 :: v_dual_add_nc_u32 v7, -1, v136
	v_or_b32_e32 v9, 8, v14
	s_mov_b32 s3, 0
	s_delay_alu instid0(VALU_DEP_2)
	v_dual_mov_b32 v4, v2 :: v_dual_mov_b32 v3, v1
	.p2align	6
.LBB44_185:                             ; =>This Inner Loop Header: Depth=1
	scratch_load_b128 v[10:13], v9, off offset:-8
	ds_load_b128 v[15:18], v8
	v_add_nc_u32_e32 v7, 1, v7
	v_add_nc_u32_e32 v8, 16, v8
	v_add_nc_u32_e32 v9, 16, v9
	s_delay_alu instid0(VALU_DEP_3) | instskip(SKIP_4) | instid1(VALU_DEP_2)
	v_cmp_lt_u32_e32 vcc_lo, 41, v7
	s_or_b32 s3, vcc_lo, s3
	s_waitcnt vmcnt(0) lgkmcnt(0)
	v_mul_f64 v[19:20], v[17:18], v[12:13]
	v_mul_f64 v[12:13], v[15:16], v[12:13]
	v_fma_f64 v[15:16], v[15:16], v[10:11], -v[19:20]
	s_delay_alu instid0(VALU_DEP_2) | instskip(NEXT) | instid1(VALU_DEP_2)
	v_fma_f64 v[10:11], v[17:18], v[10:11], v[12:13]
	v_add_f64 v[3:4], v[3:4], v[15:16]
	s_delay_alu instid0(VALU_DEP_2)
	v_add_f64 v[1:2], v[1:2], v[10:11]
	s_and_not1_b32 exec_lo, exec_lo, s3
	s_cbranch_execnz .LBB44_185
; %bb.186:
	s_or_b32 exec_lo, exec_lo, s3
	v_mov_b32_e32 v7, 0
	ds_load_b128 v[7:10], v7 offset:688
	s_waitcnt lgkmcnt(0)
	v_mul_f64 v[11:12], v[1:2], v[9:10]
	v_mul_f64 v[15:16], v[3:4], v[9:10]
	s_delay_alu instid0(VALU_DEP_2) | instskip(NEXT) | instid1(VALU_DEP_2)
	v_fma_f64 v[9:10], v[3:4], v[7:8], -v[11:12]
	v_fma_f64 v[11:12], v[1:2], v[7:8], v[15:16]
	scratch_store_b128 off, v[9:12], off offset:688
.LBB44_187:
	s_or_b32 exec_lo, exec_lo, s2
	s_waitcnt_vscnt null, 0x0
	s_barrier
	buffer_gl0_inv
	scratch_load_b128 v[1:4], v139, off
	s_mov_b32 s2, exec_lo
	s_waitcnt vmcnt(0)
	ds_store_b128 v5, v[1:4]
	s_waitcnt lgkmcnt(0)
	s_barrier
	buffer_gl0_inv
	v_cmpx_ne_u32_e32 44, v136
	s_cbranch_execz .LBB44_191
; %bb.188:
	v_mov_b32_e32 v1, 0
	v_mov_b32_e32 v2, 0
	v_or_b32_e32 v7, 8, v14
	s_mov_b32 s3, 0
	s_delay_alu instid0(VALU_DEP_2)
	v_dual_mov_b32 v4, v2 :: v_dual_mov_b32 v3, v1
	.p2align	6
.LBB44_189:                             ; =>This Inner Loop Header: Depth=1
	scratch_load_b128 v[8:11], v7, off offset:-8
	ds_load_b128 v[12:15], v5
	v_add_nc_u32_e32 v6, 1, v6
	v_add_nc_u32_e32 v5, 16, v5
	;; [unrolled: 1-line block ×3, first 2 shown]
	s_delay_alu instid0(VALU_DEP_3) | instskip(SKIP_4) | instid1(VALU_DEP_2)
	v_cmp_lt_u32_e32 vcc_lo, 42, v6
	s_or_b32 s3, vcc_lo, s3
	s_waitcnt vmcnt(0) lgkmcnt(0)
	v_mul_f64 v[16:17], v[14:15], v[10:11]
	v_mul_f64 v[10:11], v[12:13], v[10:11]
	v_fma_f64 v[12:13], v[12:13], v[8:9], -v[16:17]
	s_delay_alu instid0(VALU_DEP_2) | instskip(NEXT) | instid1(VALU_DEP_2)
	v_fma_f64 v[8:9], v[14:15], v[8:9], v[10:11]
	v_add_f64 v[3:4], v[3:4], v[12:13]
	s_delay_alu instid0(VALU_DEP_2)
	v_add_f64 v[1:2], v[1:2], v[8:9]
	s_and_not1_b32 exec_lo, exec_lo, s3
	s_cbranch_execnz .LBB44_189
; %bb.190:
	s_or_b32 exec_lo, exec_lo, s3
	v_mov_b32_e32 v5, 0
	ds_load_b128 v[5:8], v5 offset:704
	s_waitcnt lgkmcnt(0)
	v_mul_f64 v[9:10], v[1:2], v[7:8]
	v_mul_f64 v[7:8], v[3:4], v[7:8]
	s_delay_alu instid0(VALU_DEP_2) | instskip(NEXT) | instid1(VALU_DEP_2)
	v_fma_f64 v[3:4], v[3:4], v[5:6], -v[9:10]
	v_fma_f64 v[5:6], v[1:2], v[5:6], v[7:8]
	scratch_store_b128 off, v[3:6], off offset:704
.LBB44_191:
	s_or_b32 exec_lo, exec_lo, s2
	s_mov_b32 s3, -1
	s_waitcnt_vscnt null, 0x0
	s_barrier
	buffer_gl0_inv
.LBB44_192:
	s_and_b32 vcc_lo, exec_lo, s3
	s_cbranch_vccz .LBB44_194
; %bb.193:
	s_lshl_b64 s[2:3], s[18:19], 2
	v_mov_b32_e32 v1, 0
	s_add_u32 s2, s6, s2
	s_addc_u32 s3, s7, s3
	global_load_b32 v1, v1, s[2:3]
	s_waitcnt vmcnt(0)
	v_cmp_ne_u32_e32 vcc_lo, 0, v1
	s_cbranch_vccz .LBB44_195
.LBB44_194:
	s_endpgm
.LBB44_195:
	v_lshl_add_u32 v181, v136, 4, 0x2d0
	s_mov_b32 s2, exec_lo
	v_cmpx_eq_u32_e32 44, v136
	s_cbranch_execz .LBB44_197
; %bb.196:
	scratch_load_b128 v[1:4], v141, off
	v_mov_b32_e32 v5, 0
	s_delay_alu instid0(VALU_DEP_1)
	v_mov_b32_e32 v6, v5
	v_mov_b32_e32 v7, v5
	;; [unrolled: 1-line block ×3, first 2 shown]
	scratch_store_b128 off, v[5:8], off offset:688
	s_waitcnt vmcnt(0)
	ds_store_b128 v181, v[1:4]
.LBB44_197:
	s_or_b32 exec_lo, exec_lo, s2
	s_waitcnt lgkmcnt(0)
	s_waitcnt_vscnt null, 0x0
	s_barrier
	buffer_gl0_inv
	s_clause 0x1
	scratch_load_b128 v[2:5], off, off offset:704
	scratch_load_b128 v[6:9], off, off offset:688
	v_mov_b32_e32 v1, 0
	s_mov_b32 s2, exec_lo
	ds_load_b128 v[10:13], v1 offset:1424
	s_waitcnt vmcnt(1) lgkmcnt(0)
	v_mul_f64 v[14:15], v[12:13], v[4:5]
	v_mul_f64 v[4:5], v[10:11], v[4:5]
	s_delay_alu instid0(VALU_DEP_2) | instskip(NEXT) | instid1(VALU_DEP_2)
	v_fma_f64 v[10:11], v[10:11], v[2:3], -v[14:15]
	v_fma_f64 v[2:3], v[12:13], v[2:3], v[4:5]
	s_delay_alu instid0(VALU_DEP_2) | instskip(NEXT) | instid1(VALU_DEP_2)
	v_add_f64 v[4:5], v[10:11], 0
	v_add_f64 v[10:11], v[2:3], 0
	s_waitcnt vmcnt(0)
	s_delay_alu instid0(VALU_DEP_2) | instskip(NEXT) | instid1(VALU_DEP_2)
	v_add_f64 v[2:3], v[6:7], -v[4:5]
	v_add_f64 v[4:5], v[8:9], -v[10:11]
	scratch_store_b128 off, v[2:5], off offset:688
	v_cmpx_lt_u32_e32 42, v136
	s_cbranch_execz .LBB44_199
; %bb.198:
	scratch_load_b128 v[5:8], v143, off
	v_mov_b32_e32 v2, v1
	v_mov_b32_e32 v3, v1
	;; [unrolled: 1-line block ×3, first 2 shown]
	scratch_store_b128 off, v[1:4], off offset:672
	s_waitcnt vmcnt(0)
	ds_store_b128 v181, v[5:8]
.LBB44_199:
	s_or_b32 exec_lo, exec_lo, s2
	s_waitcnt lgkmcnt(0)
	s_waitcnt_vscnt null, 0x0
	s_barrier
	buffer_gl0_inv
	s_clause 0x2
	scratch_load_b128 v[2:5], off, off offset:688
	scratch_load_b128 v[6:9], off, off offset:704
	;; [unrolled: 1-line block ×3, first 2 shown]
	ds_load_b128 v[14:17], v1 offset:1408
	ds_load_b128 v[18:21], v1 offset:1424
	s_mov_b32 s2, exec_lo
	s_waitcnt vmcnt(2) lgkmcnt(1)
	v_mul_f64 v[22:23], v[16:17], v[4:5]
	v_mul_f64 v[4:5], v[14:15], v[4:5]
	s_waitcnt vmcnt(1) lgkmcnt(0)
	v_mul_f64 v[24:25], v[18:19], v[8:9]
	v_mul_f64 v[8:9], v[20:21], v[8:9]
	s_delay_alu instid0(VALU_DEP_4) | instskip(NEXT) | instid1(VALU_DEP_4)
	v_fma_f64 v[14:15], v[14:15], v[2:3], -v[22:23]
	v_fma_f64 v[1:2], v[16:17], v[2:3], v[4:5]
	s_delay_alu instid0(VALU_DEP_4) | instskip(NEXT) | instid1(VALU_DEP_4)
	v_fma_f64 v[3:4], v[20:21], v[6:7], v[24:25]
	v_fma_f64 v[5:6], v[18:19], v[6:7], -v[8:9]
	s_delay_alu instid0(VALU_DEP_4) | instskip(NEXT) | instid1(VALU_DEP_4)
	v_add_f64 v[7:8], v[14:15], 0
	v_add_f64 v[1:2], v[1:2], 0
	s_delay_alu instid0(VALU_DEP_2) | instskip(NEXT) | instid1(VALU_DEP_2)
	v_add_f64 v[5:6], v[7:8], v[5:6]
	v_add_f64 v[3:4], v[1:2], v[3:4]
	s_waitcnt vmcnt(0)
	s_delay_alu instid0(VALU_DEP_2) | instskip(NEXT) | instid1(VALU_DEP_2)
	v_add_f64 v[1:2], v[10:11], -v[5:6]
	v_add_f64 v[3:4], v[12:13], -v[3:4]
	scratch_store_b128 off, v[1:4], off offset:672
	v_cmpx_lt_u32_e32 41, v136
	s_cbranch_execz .LBB44_201
; %bb.200:
	scratch_load_b128 v[1:4], v145, off
	v_mov_b32_e32 v5, 0
	s_delay_alu instid0(VALU_DEP_1)
	v_mov_b32_e32 v6, v5
	v_mov_b32_e32 v7, v5
	;; [unrolled: 1-line block ×3, first 2 shown]
	scratch_store_b128 off, v[5:8], off offset:656
	s_waitcnt vmcnt(0)
	ds_store_b128 v181, v[1:4]
.LBB44_201:
	s_or_b32 exec_lo, exec_lo, s2
	s_waitcnt lgkmcnt(0)
	s_waitcnt_vscnt null, 0x0
	s_barrier
	buffer_gl0_inv
	s_clause 0x3
	scratch_load_b128 v[2:5], off, off offset:672
	scratch_load_b128 v[6:9], off, off offset:688
	;; [unrolled: 1-line block ×4, first 2 shown]
	v_mov_b32_e32 v1, 0
	ds_load_b128 v[18:21], v1 offset:1392
	ds_load_b128 v[22:25], v1 offset:1408
	s_mov_b32 s2, exec_lo
	s_waitcnt vmcnt(3) lgkmcnt(1)
	v_mul_f64 v[26:27], v[20:21], v[4:5]
	v_mul_f64 v[4:5], v[18:19], v[4:5]
	s_waitcnt vmcnt(2) lgkmcnt(0)
	v_mul_f64 v[28:29], v[22:23], v[8:9]
	v_mul_f64 v[8:9], v[24:25], v[8:9]
	s_delay_alu instid0(VALU_DEP_4) | instskip(NEXT) | instid1(VALU_DEP_4)
	v_fma_f64 v[18:19], v[18:19], v[2:3], -v[26:27]
	v_fma_f64 v[20:21], v[20:21], v[2:3], v[4:5]
	ds_load_b128 v[2:5], v1 offset:1424
	v_fma_f64 v[24:25], v[24:25], v[6:7], v[28:29]
	v_fma_f64 v[6:7], v[22:23], v[6:7], -v[8:9]
	s_waitcnt vmcnt(1) lgkmcnt(0)
	v_mul_f64 v[26:27], v[2:3], v[12:13]
	v_mul_f64 v[12:13], v[4:5], v[12:13]
	v_add_f64 v[8:9], v[18:19], 0
	v_add_f64 v[18:19], v[20:21], 0
	s_delay_alu instid0(VALU_DEP_4) | instskip(NEXT) | instid1(VALU_DEP_4)
	v_fma_f64 v[4:5], v[4:5], v[10:11], v[26:27]
	v_fma_f64 v[2:3], v[2:3], v[10:11], -v[12:13]
	s_delay_alu instid0(VALU_DEP_4) | instskip(NEXT) | instid1(VALU_DEP_4)
	v_add_f64 v[6:7], v[8:9], v[6:7]
	v_add_f64 v[8:9], v[18:19], v[24:25]
	s_delay_alu instid0(VALU_DEP_2) | instskip(NEXT) | instid1(VALU_DEP_2)
	v_add_f64 v[2:3], v[6:7], v[2:3]
	v_add_f64 v[4:5], v[8:9], v[4:5]
	s_waitcnt vmcnt(0)
	s_delay_alu instid0(VALU_DEP_2) | instskip(NEXT) | instid1(VALU_DEP_2)
	v_add_f64 v[2:3], v[14:15], -v[2:3]
	v_add_f64 v[4:5], v[16:17], -v[4:5]
	scratch_store_b128 off, v[2:5], off offset:656
	v_cmpx_lt_u32_e32 40, v136
	s_cbranch_execz .LBB44_203
; %bb.202:
	scratch_load_b128 v[5:8], v148, off
	v_mov_b32_e32 v2, v1
	v_mov_b32_e32 v3, v1
	;; [unrolled: 1-line block ×3, first 2 shown]
	scratch_store_b128 off, v[1:4], off offset:640
	s_waitcnt vmcnt(0)
	ds_store_b128 v181, v[5:8]
.LBB44_203:
	s_or_b32 exec_lo, exec_lo, s2
	s_waitcnt lgkmcnt(0)
	s_waitcnt_vscnt null, 0x0
	s_barrier
	buffer_gl0_inv
	s_clause 0x4
	scratch_load_b128 v[2:5], off, off offset:656
	scratch_load_b128 v[6:9], off, off offset:672
	;; [unrolled: 1-line block ×5, first 2 shown]
	ds_load_b128 v[22:25], v1 offset:1376
	ds_load_b128 v[26:29], v1 offset:1392
	s_mov_b32 s2, exec_lo
	s_waitcnt vmcnt(4) lgkmcnt(1)
	v_mul_f64 v[30:31], v[24:25], v[4:5]
	v_mul_f64 v[4:5], v[22:23], v[4:5]
	s_waitcnt vmcnt(3) lgkmcnt(0)
	v_mul_f64 v[32:33], v[26:27], v[8:9]
	v_mul_f64 v[8:9], v[28:29], v[8:9]
	s_delay_alu instid0(VALU_DEP_4) | instskip(NEXT) | instid1(VALU_DEP_4)
	v_fma_f64 v[30:31], v[22:23], v[2:3], -v[30:31]
	v_fma_f64 v[34:35], v[24:25], v[2:3], v[4:5]
	ds_load_b128 v[2:5], v1 offset:1408
	ds_load_b128 v[22:25], v1 offset:1424
	v_fma_f64 v[28:29], v[28:29], v[6:7], v[32:33]
	v_fma_f64 v[6:7], v[26:27], v[6:7], -v[8:9]
	s_waitcnt vmcnt(2) lgkmcnt(1)
	v_mul_f64 v[36:37], v[2:3], v[12:13]
	v_mul_f64 v[12:13], v[4:5], v[12:13]
	v_add_f64 v[8:9], v[30:31], 0
	v_add_f64 v[26:27], v[34:35], 0
	s_waitcnt vmcnt(1) lgkmcnt(0)
	v_mul_f64 v[30:31], v[22:23], v[16:17]
	v_mul_f64 v[16:17], v[24:25], v[16:17]
	v_fma_f64 v[4:5], v[4:5], v[10:11], v[36:37]
	v_fma_f64 v[1:2], v[2:3], v[10:11], -v[12:13]
	v_add_f64 v[6:7], v[8:9], v[6:7]
	v_add_f64 v[8:9], v[26:27], v[28:29]
	v_fma_f64 v[10:11], v[24:25], v[14:15], v[30:31]
	v_fma_f64 v[12:13], v[22:23], v[14:15], -v[16:17]
	s_delay_alu instid0(VALU_DEP_4) | instskip(NEXT) | instid1(VALU_DEP_4)
	v_add_f64 v[1:2], v[6:7], v[1:2]
	v_add_f64 v[3:4], v[8:9], v[4:5]
	s_delay_alu instid0(VALU_DEP_2) | instskip(NEXT) | instid1(VALU_DEP_2)
	v_add_f64 v[1:2], v[1:2], v[12:13]
	v_add_f64 v[3:4], v[3:4], v[10:11]
	s_waitcnt vmcnt(0)
	s_delay_alu instid0(VALU_DEP_2) | instskip(NEXT) | instid1(VALU_DEP_2)
	v_add_f64 v[1:2], v[18:19], -v[1:2]
	v_add_f64 v[3:4], v[20:21], -v[3:4]
	scratch_store_b128 off, v[1:4], off offset:640
	v_cmpx_lt_u32_e32 39, v136
	s_cbranch_execz .LBB44_205
; %bb.204:
	scratch_load_b128 v[1:4], v149, off
	v_mov_b32_e32 v5, 0
	s_delay_alu instid0(VALU_DEP_1)
	v_mov_b32_e32 v6, v5
	v_mov_b32_e32 v7, v5
	;; [unrolled: 1-line block ×3, first 2 shown]
	scratch_store_b128 off, v[5:8], off offset:624
	s_waitcnt vmcnt(0)
	ds_store_b128 v181, v[1:4]
.LBB44_205:
	s_or_b32 exec_lo, exec_lo, s2
	s_waitcnt lgkmcnt(0)
	s_waitcnt_vscnt null, 0x0
	s_barrier
	buffer_gl0_inv
	s_clause 0x5
	scratch_load_b128 v[2:5], off, off offset:640
	scratch_load_b128 v[6:9], off, off offset:656
	;; [unrolled: 1-line block ×6, first 2 shown]
	v_mov_b32_e32 v1, 0
	ds_load_b128 v[26:29], v1 offset:1360
	ds_load_b128 v[30:33], v1 offset:1376
	s_mov_b32 s2, exec_lo
	s_waitcnt vmcnt(5) lgkmcnt(1)
	v_mul_f64 v[34:35], v[28:29], v[4:5]
	v_mul_f64 v[4:5], v[26:27], v[4:5]
	s_waitcnt vmcnt(4) lgkmcnt(0)
	v_mul_f64 v[36:37], v[30:31], v[8:9]
	v_mul_f64 v[8:9], v[32:33], v[8:9]
	s_delay_alu instid0(VALU_DEP_4) | instskip(NEXT) | instid1(VALU_DEP_4)
	v_fma_f64 v[34:35], v[26:27], v[2:3], -v[34:35]
	v_fma_f64 v[38:39], v[28:29], v[2:3], v[4:5]
	ds_load_b128 v[2:5], v1 offset:1392
	ds_load_b128 v[26:29], v1 offset:1408
	v_fma_f64 v[32:33], v[32:33], v[6:7], v[36:37]
	v_fma_f64 v[6:7], v[30:31], v[6:7], -v[8:9]
	s_waitcnt vmcnt(3) lgkmcnt(1)
	v_mul_f64 v[40:41], v[2:3], v[12:13]
	v_mul_f64 v[12:13], v[4:5], v[12:13]
	v_add_f64 v[8:9], v[34:35], 0
	v_add_f64 v[30:31], v[38:39], 0
	s_waitcnt vmcnt(2) lgkmcnt(0)
	v_mul_f64 v[34:35], v[26:27], v[16:17]
	v_mul_f64 v[16:17], v[28:29], v[16:17]
	v_fma_f64 v[36:37], v[4:5], v[10:11], v[40:41]
	v_fma_f64 v[10:11], v[2:3], v[10:11], -v[12:13]
	ds_load_b128 v[2:5], v1 offset:1424
	v_add_f64 v[6:7], v[8:9], v[6:7]
	v_add_f64 v[8:9], v[30:31], v[32:33]
	v_fma_f64 v[28:29], v[28:29], v[14:15], v[34:35]
	v_fma_f64 v[14:15], v[26:27], v[14:15], -v[16:17]
	s_waitcnt vmcnt(1) lgkmcnt(0)
	v_mul_f64 v[12:13], v[2:3], v[20:21]
	v_mul_f64 v[20:21], v[4:5], v[20:21]
	v_add_f64 v[6:7], v[6:7], v[10:11]
	v_add_f64 v[8:9], v[8:9], v[36:37]
	s_delay_alu instid0(VALU_DEP_4) | instskip(NEXT) | instid1(VALU_DEP_4)
	v_fma_f64 v[4:5], v[4:5], v[18:19], v[12:13]
	v_fma_f64 v[2:3], v[2:3], v[18:19], -v[20:21]
	s_delay_alu instid0(VALU_DEP_4) | instskip(NEXT) | instid1(VALU_DEP_4)
	v_add_f64 v[6:7], v[6:7], v[14:15]
	v_add_f64 v[8:9], v[8:9], v[28:29]
	s_delay_alu instid0(VALU_DEP_2) | instskip(NEXT) | instid1(VALU_DEP_2)
	v_add_f64 v[2:3], v[6:7], v[2:3]
	v_add_f64 v[4:5], v[8:9], v[4:5]
	s_waitcnt vmcnt(0)
	s_delay_alu instid0(VALU_DEP_2) | instskip(NEXT) | instid1(VALU_DEP_2)
	v_add_f64 v[2:3], v[22:23], -v[2:3]
	v_add_f64 v[4:5], v[24:25], -v[4:5]
	scratch_store_b128 off, v[2:5], off offset:624
	v_cmpx_lt_u32_e32 38, v136
	s_cbranch_execz .LBB44_207
; %bb.206:
	scratch_load_b128 v[5:8], v152, off
	v_mov_b32_e32 v2, v1
	v_mov_b32_e32 v3, v1
	;; [unrolled: 1-line block ×3, first 2 shown]
	scratch_store_b128 off, v[1:4], off offset:608
	s_waitcnt vmcnt(0)
	ds_store_b128 v181, v[5:8]
.LBB44_207:
	s_or_b32 exec_lo, exec_lo, s2
	s_waitcnt lgkmcnt(0)
	s_waitcnt_vscnt null, 0x0
	s_barrier
	buffer_gl0_inv
	s_clause 0x5
	scratch_load_b128 v[2:5], off, off offset:624
	scratch_load_b128 v[6:9], off, off offset:640
	;; [unrolled: 1-line block ×6, first 2 shown]
	ds_load_b128 v[26:29], v1 offset:1344
	ds_load_b128 v[34:37], v1 offset:1360
	scratch_load_b128 v[30:33], off, off offset:608
	s_mov_b32 s2, exec_lo
	s_waitcnt vmcnt(6) lgkmcnt(1)
	v_mul_f64 v[38:39], v[28:29], v[4:5]
	v_mul_f64 v[4:5], v[26:27], v[4:5]
	s_waitcnt vmcnt(5) lgkmcnt(0)
	v_mul_f64 v[40:41], v[34:35], v[8:9]
	v_mul_f64 v[8:9], v[36:37], v[8:9]
	s_delay_alu instid0(VALU_DEP_4) | instskip(NEXT) | instid1(VALU_DEP_4)
	v_fma_f64 v[38:39], v[26:27], v[2:3], -v[38:39]
	v_fma_f64 v[42:43], v[28:29], v[2:3], v[4:5]
	ds_load_b128 v[2:5], v1 offset:1376
	ds_load_b128 v[26:29], v1 offset:1392
	v_fma_f64 v[36:37], v[36:37], v[6:7], v[40:41]
	v_fma_f64 v[6:7], v[34:35], v[6:7], -v[8:9]
	s_waitcnt vmcnt(4) lgkmcnt(1)
	v_mul_f64 v[44:45], v[2:3], v[12:13]
	v_mul_f64 v[12:13], v[4:5], v[12:13]
	v_add_f64 v[8:9], v[38:39], 0
	v_add_f64 v[34:35], v[42:43], 0
	s_waitcnt vmcnt(3) lgkmcnt(0)
	v_mul_f64 v[38:39], v[26:27], v[16:17]
	v_mul_f64 v[16:17], v[28:29], v[16:17]
	v_fma_f64 v[40:41], v[4:5], v[10:11], v[44:45]
	v_fma_f64 v[10:11], v[2:3], v[10:11], -v[12:13]
	v_add_f64 v[12:13], v[8:9], v[6:7]
	v_add_f64 v[34:35], v[34:35], v[36:37]
	ds_load_b128 v[2:5], v1 offset:1408
	ds_load_b128 v[6:9], v1 offset:1424
	v_fma_f64 v[28:29], v[28:29], v[14:15], v[38:39]
	v_fma_f64 v[14:15], v[26:27], v[14:15], -v[16:17]
	s_waitcnt vmcnt(2) lgkmcnt(1)
	v_mul_f64 v[36:37], v[2:3], v[20:21]
	v_mul_f64 v[20:21], v[4:5], v[20:21]
	s_waitcnt vmcnt(1) lgkmcnt(0)
	v_mul_f64 v[16:17], v[6:7], v[24:25]
	v_mul_f64 v[24:25], v[8:9], v[24:25]
	v_add_f64 v[10:11], v[12:13], v[10:11]
	v_add_f64 v[12:13], v[34:35], v[40:41]
	v_fma_f64 v[4:5], v[4:5], v[18:19], v[36:37]
	v_fma_f64 v[1:2], v[2:3], v[18:19], -v[20:21]
	v_fma_f64 v[8:9], v[8:9], v[22:23], v[16:17]
	v_fma_f64 v[6:7], v[6:7], v[22:23], -v[24:25]
	v_add_f64 v[10:11], v[10:11], v[14:15]
	v_add_f64 v[12:13], v[12:13], v[28:29]
	s_delay_alu instid0(VALU_DEP_2) | instskip(NEXT) | instid1(VALU_DEP_2)
	v_add_f64 v[1:2], v[10:11], v[1:2]
	v_add_f64 v[3:4], v[12:13], v[4:5]
	s_delay_alu instid0(VALU_DEP_2) | instskip(NEXT) | instid1(VALU_DEP_2)
	v_add_f64 v[1:2], v[1:2], v[6:7]
	v_add_f64 v[3:4], v[3:4], v[8:9]
	s_waitcnt vmcnt(0)
	s_delay_alu instid0(VALU_DEP_2) | instskip(NEXT) | instid1(VALU_DEP_2)
	v_add_f64 v[1:2], v[30:31], -v[1:2]
	v_add_f64 v[3:4], v[32:33], -v[3:4]
	scratch_store_b128 off, v[1:4], off offset:608
	v_cmpx_lt_u32_e32 37, v136
	s_cbranch_execz .LBB44_209
; %bb.208:
	scratch_load_b128 v[1:4], v154, off
	v_mov_b32_e32 v5, 0
	s_delay_alu instid0(VALU_DEP_1)
	v_mov_b32_e32 v6, v5
	v_mov_b32_e32 v7, v5
	;; [unrolled: 1-line block ×3, first 2 shown]
	scratch_store_b128 off, v[5:8], off offset:592
	s_waitcnt vmcnt(0)
	ds_store_b128 v181, v[1:4]
.LBB44_209:
	s_or_b32 exec_lo, exec_lo, s2
	s_waitcnt lgkmcnt(0)
	s_waitcnt_vscnt null, 0x0
	s_barrier
	buffer_gl0_inv
	s_clause 0x6
	scratch_load_b128 v[2:5], off, off offset:608
	scratch_load_b128 v[6:9], off, off offset:624
	;; [unrolled: 1-line block ×7, first 2 shown]
	v_mov_b32_e32 v1, 0
	scratch_load_b128 v[34:37], off, off offset:592
	s_mov_b32 s2, exec_lo
	ds_load_b128 v[30:33], v1 offset:1328
	ds_load_b128 v[38:41], v1 offset:1344
	s_waitcnt vmcnt(7) lgkmcnt(1)
	v_mul_f64 v[42:43], v[32:33], v[4:5]
	v_mul_f64 v[4:5], v[30:31], v[4:5]
	s_waitcnt vmcnt(6) lgkmcnt(0)
	v_mul_f64 v[44:45], v[38:39], v[8:9]
	v_mul_f64 v[8:9], v[40:41], v[8:9]
	s_delay_alu instid0(VALU_DEP_4) | instskip(NEXT) | instid1(VALU_DEP_4)
	v_fma_f64 v[42:43], v[30:31], v[2:3], -v[42:43]
	v_fma_f64 v[182:183], v[32:33], v[2:3], v[4:5]
	ds_load_b128 v[2:5], v1 offset:1360
	ds_load_b128 v[30:33], v1 offset:1376
	v_fma_f64 v[40:41], v[40:41], v[6:7], v[44:45]
	v_fma_f64 v[6:7], v[38:39], v[6:7], -v[8:9]
	s_waitcnt vmcnt(5) lgkmcnt(1)
	v_mul_f64 v[184:185], v[2:3], v[12:13]
	v_mul_f64 v[12:13], v[4:5], v[12:13]
	v_add_f64 v[8:9], v[42:43], 0
	v_add_f64 v[38:39], v[182:183], 0
	s_waitcnt vmcnt(4) lgkmcnt(0)
	v_mul_f64 v[42:43], v[30:31], v[16:17]
	v_mul_f64 v[16:17], v[32:33], v[16:17]
	v_fma_f64 v[44:45], v[4:5], v[10:11], v[184:185]
	v_fma_f64 v[10:11], v[2:3], v[10:11], -v[12:13]
	v_add_f64 v[12:13], v[8:9], v[6:7]
	v_add_f64 v[38:39], v[38:39], v[40:41]
	ds_load_b128 v[2:5], v1 offset:1392
	ds_load_b128 v[6:9], v1 offset:1408
	v_fma_f64 v[32:33], v[32:33], v[14:15], v[42:43]
	v_fma_f64 v[14:15], v[30:31], v[14:15], -v[16:17]
	s_waitcnt vmcnt(3) lgkmcnt(1)
	v_mul_f64 v[40:41], v[2:3], v[20:21]
	v_mul_f64 v[20:21], v[4:5], v[20:21]
	s_waitcnt vmcnt(2) lgkmcnt(0)
	v_mul_f64 v[16:17], v[6:7], v[24:25]
	v_mul_f64 v[24:25], v[8:9], v[24:25]
	v_add_f64 v[10:11], v[12:13], v[10:11]
	v_add_f64 v[12:13], v[38:39], v[44:45]
	v_fma_f64 v[30:31], v[4:5], v[18:19], v[40:41]
	v_fma_f64 v[18:19], v[2:3], v[18:19], -v[20:21]
	ds_load_b128 v[2:5], v1 offset:1424
	v_fma_f64 v[8:9], v[8:9], v[22:23], v[16:17]
	v_fma_f64 v[6:7], v[6:7], v[22:23], -v[24:25]
	v_add_f64 v[10:11], v[10:11], v[14:15]
	v_add_f64 v[12:13], v[12:13], v[32:33]
	s_waitcnt vmcnt(1) lgkmcnt(0)
	v_mul_f64 v[14:15], v[2:3], v[28:29]
	v_mul_f64 v[20:21], v[4:5], v[28:29]
	s_delay_alu instid0(VALU_DEP_4) | instskip(NEXT) | instid1(VALU_DEP_4)
	v_add_f64 v[10:11], v[10:11], v[18:19]
	v_add_f64 v[12:13], v[12:13], v[30:31]
	s_delay_alu instid0(VALU_DEP_4) | instskip(NEXT) | instid1(VALU_DEP_4)
	v_fma_f64 v[4:5], v[4:5], v[26:27], v[14:15]
	v_fma_f64 v[2:3], v[2:3], v[26:27], -v[20:21]
	s_delay_alu instid0(VALU_DEP_4) | instskip(NEXT) | instid1(VALU_DEP_4)
	v_add_f64 v[6:7], v[10:11], v[6:7]
	v_add_f64 v[8:9], v[12:13], v[8:9]
	s_delay_alu instid0(VALU_DEP_2) | instskip(NEXT) | instid1(VALU_DEP_2)
	v_add_f64 v[2:3], v[6:7], v[2:3]
	v_add_f64 v[4:5], v[8:9], v[4:5]
	s_waitcnt vmcnt(0)
	s_delay_alu instid0(VALU_DEP_2) | instskip(NEXT) | instid1(VALU_DEP_2)
	v_add_f64 v[2:3], v[34:35], -v[2:3]
	v_add_f64 v[4:5], v[36:37], -v[4:5]
	scratch_store_b128 off, v[2:5], off offset:592
	v_cmpx_lt_u32_e32 36, v136
	s_cbranch_execz .LBB44_211
; %bb.210:
	scratch_load_b128 v[5:8], v157, off
	v_mov_b32_e32 v2, v1
	v_mov_b32_e32 v3, v1
	;; [unrolled: 1-line block ×3, first 2 shown]
	scratch_store_b128 off, v[1:4], off offset:576
	s_waitcnt vmcnt(0)
	ds_store_b128 v181, v[5:8]
.LBB44_211:
	s_or_b32 exec_lo, exec_lo, s2
	s_waitcnt lgkmcnt(0)
	s_waitcnt_vscnt null, 0x0
	s_barrier
	buffer_gl0_inv
	s_clause 0x7
	scratch_load_b128 v[2:5], off, off offset:592
	scratch_load_b128 v[6:9], off, off offset:608
	;; [unrolled: 1-line block ×8, first 2 shown]
	ds_load_b128 v[34:37], v1 offset:1312
	ds_load_b128 v[38:41], v1 offset:1328
	scratch_load_b128 v[42:45], off, off offset:576
	s_mov_b32 s2, exec_lo
	s_waitcnt vmcnt(8) lgkmcnt(1)
	v_mul_f64 v[182:183], v[36:37], v[4:5]
	v_mul_f64 v[4:5], v[34:35], v[4:5]
	s_waitcnt vmcnt(7) lgkmcnt(0)
	v_mul_f64 v[184:185], v[38:39], v[8:9]
	v_mul_f64 v[8:9], v[40:41], v[8:9]
	s_delay_alu instid0(VALU_DEP_4) | instskip(NEXT) | instid1(VALU_DEP_4)
	v_fma_f64 v[182:183], v[34:35], v[2:3], -v[182:183]
	v_fma_f64 v[186:187], v[36:37], v[2:3], v[4:5]
	ds_load_b128 v[2:5], v1 offset:1344
	ds_load_b128 v[34:37], v1 offset:1360
	v_fma_f64 v[40:41], v[40:41], v[6:7], v[184:185]
	v_fma_f64 v[6:7], v[38:39], v[6:7], -v[8:9]
	s_waitcnt vmcnt(6) lgkmcnt(1)
	v_mul_f64 v[188:189], v[2:3], v[12:13]
	v_mul_f64 v[12:13], v[4:5], v[12:13]
	v_add_f64 v[8:9], v[182:183], 0
	v_add_f64 v[38:39], v[186:187], 0
	s_waitcnt vmcnt(5) lgkmcnt(0)
	v_mul_f64 v[182:183], v[34:35], v[16:17]
	v_mul_f64 v[16:17], v[36:37], v[16:17]
	v_fma_f64 v[184:185], v[4:5], v[10:11], v[188:189]
	v_fma_f64 v[10:11], v[2:3], v[10:11], -v[12:13]
	v_add_f64 v[12:13], v[8:9], v[6:7]
	v_add_f64 v[38:39], v[38:39], v[40:41]
	ds_load_b128 v[2:5], v1 offset:1376
	ds_load_b128 v[6:9], v1 offset:1392
	v_fma_f64 v[36:37], v[36:37], v[14:15], v[182:183]
	v_fma_f64 v[14:15], v[34:35], v[14:15], -v[16:17]
	s_waitcnt vmcnt(4) lgkmcnt(1)
	v_mul_f64 v[40:41], v[2:3], v[20:21]
	v_mul_f64 v[20:21], v[4:5], v[20:21]
	s_waitcnt vmcnt(3) lgkmcnt(0)
	v_mul_f64 v[16:17], v[6:7], v[24:25]
	v_mul_f64 v[24:25], v[8:9], v[24:25]
	v_add_f64 v[10:11], v[12:13], v[10:11]
	v_add_f64 v[12:13], v[38:39], v[184:185]
	v_fma_f64 v[34:35], v[4:5], v[18:19], v[40:41]
	v_fma_f64 v[18:19], v[2:3], v[18:19], -v[20:21]
	v_fma_f64 v[8:9], v[8:9], v[22:23], v[16:17]
	v_fma_f64 v[6:7], v[6:7], v[22:23], -v[24:25]
	v_add_f64 v[14:15], v[10:11], v[14:15]
	v_add_f64 v[20:21], v[12:13], v[36:37]
	ds_load_b128 v[2:5], v1 offset:1408
	ds_load_b128 v[10:13], v1 offset:1424
	s_waitcnt vmcnt(2) lgkmcnt(1)
	v_mul_f64 v[36:37], v[2:3], v[28:29]
	v_mul_f64 v[28:29], v[4:5], v[28:29]
	v_add_f64 v[14:15], v[14:15], v[18:19]
	v_add_f64 v[16:17], v[20:21], v[34:35]
	s_waitcnt vmcnt(1) lgkmcnt(0)
	v_mul_f64 v[18:19], v[10:11], v[32:33]
	v_mul_f64 v[20:21], v[12:13], v[32:33]
	v_fma_f64 v[4:5], v[4:5], v[26:27], v[36:37]
	v_fma_f64 v[1:2], v[2:3], v[26:27], -v[28:29]
	v_add_f64 v[6:7], v[14:15], v[6:7]
	v_add_f64 v[8:9], v[16:17], v[8:9]
	v_fma_f64 v[12:13], v[12:13], v[30:31], v[18:19]
	v_fma_f64 v[10:11], v[10:11], v[30:31], -v[20:21]
	s_delay_alu instid0(VALU_DEP_4) | instskip(NEXT) | instid1(VALU_DEP_4)
	v_add_f64 v[1:2], v[6:7], v[1:2]
	v_add_f64 v[3:4], v[8:9], v[4:5]
	s_delay_alu instid0(VALU_DEP_2) | instskip(NEXT) | instid1(VALU_DEP_2)
	v_add_f64 v[1:2], v[1:2], v[10:11]
	v_add_f64 v[3:4], v[3:4], v[12:13]
	s_waitcnt vmcnt(0)
	s_delay_alu instid0(VALU_DEP_2) | instskip(NEXT) | instid1(VALU_DEP_2)
	v_add_f64 v[1:2], v[42:43], -v[1:2]
	v_add_f64 v[3:4], v[44:45], -v[3:4]
	scratch_store_b128 off, v[1:4], off offset:576
	v_cmpx_lt_u32_e32 35, v136
	s_cbranch_execz .LBB44_213
; %bb.212:
	scratch_load_b128 v[1:4], v160, off
	v_mov_b32_e32 v5, 0
	s_delay_alu instid0(VALU_DEP_1)
	v_mov_b32_e32 v6, v5
	v_mov_b32_e32 v7, v5
	;; [unrolled: 1-line block ×3, first 2 shown]
	scratch_store_b128 off, v[5:8], off offset:560
	s_waitcnt vmcnt(0)
	ds_store_b128 v181, v[1:4]
.LBB44_213:
	s_or_b32 exec_lo, exec_lo, s2
	s_waitcnt lgkmcnt(0)
	s_waitcnt_vscnt null, 0x0
	s_barrier
	buffer_gl0_inv
	s_clause 0x7
	scratch_load_b128 v[2:5], off, off offset:576
	scratch_load_b128 v[6:9], off, off offset:592
	;; [unrolled: 1-line block ×8, first 2 shown]
	v_mov_b32_e32 v1, 0
	scratch_load_b128 v[38:41], off, off offset:704
	s_mov_b32 s2, exec_lo
	ds_load_b128 v[34:37], v1 offset:1296
	ds_load_b128 v[42:45], v1 offset:1312
	s_waitcnt vmcnt(8) lgkmcnt(1)
	v_mul_f64 v[182:183], v[36:37], v[4:5]
	v_mul_f64 v[4:5], v[34:35], v[4:5]
	s_waitcnt vmcnt(7) lgkmcnt(0)
	v_mul_f64 v[184:185], v[42:43], v[8:9]
	v_mul_f64 v[8:9], v[44:45], v[8:9]
	s_delay_alu instid0(VALU_DEP_4) | instskip(NEXT) | instid1(VALU_DEP_4)
	v_fma_f64 v[34:35], v[34:35], v[2:3], -v[182:183]
	v_fma_f64 v[36:37], v[36:37], v[2:3], v[4:5]
	ds_load_b128 v[2:5], v1 offset:1328
	v_fma_f64 v[44:45], v[44:45], v[6:7], v[184:185]
	v_fma_f64 v[42:43], v[42:43], v[6:7], -v[8:9]
	ds_load_b128 v[6:9], v1 offset:1344
	s_waitcnt vmcnt(6) lgkmcnt(1)
	v_mul_f64 v[182:183], v[2:3], v[12:13]
	v_mul_f64 v[12:13], v[4:5], v[12:13]
	s_waitcnt vmcnt(5) lgkmcnt(0)
	v_mul_f64 v[188:189], v[6:7], v[16:17]
	v_mul_f64 v[16:17], v[8:9], v[16:17]
	v_add_f64 v[184:185], v[34:35], 0
	v_add_f64 v[186:187], v[36:37], 0
	scratch_load_b128 v[34:37], off, off offset:560
	v_fma_f64 v[182:183], v[4:5], v[10:11], v[182:183]
	v_fma_f64 v[10:11], v[2:3], v[10:11], -v[12:13]
	ds_load_b128 v[2:5], v1 offset:1360
	v_add_f64 v[12:13], v[184:185], v[42:43]
	v_add_f64 v[42:43], v[186:187], v[44:45]
	v_fma_f64 v[184:185], v[8:9], v[14:15], v[188:189]
	v_fma_f64 v[14:15], v[6:7], v[14:15], -v[16:17]
	ds_load_b128 v[6:9], v1 offset:1376
	s_waitcnt vmcnt(5) lgkmcnt(1)
	v_mul_f64 v[44:45], v[2:3], v[20:21]
	v_mul_f64 v[20:21], v[4:5], v[20:21]
	s_waitcnt vmcnt(4) lgkmcnt(0)
	v_mul_f64 v[16:17], v[6:7], v[24:25]
	v_mul_f64 v[24:25], v[8:9], v[24:25]
	v_add_f64 v[10:11], v[12:13], v[10:11]
	v_add_f64 v[12:13], v[42:43], v[182:183]
	v_fma_f64 v[42:43], v[4:5], v[18:19], v[44:45]
	v_fma_f64 v[18:19], v[2:3], v[18:19], -v[20:21]
	ds_load_b128 v[2:5], v1 offset:1392
	v_fma_f64 v[16:17], v[8:9], v[22:23], v[16:17]
	v_fma_f64 v[22:23], v[6:7], v[22:23], -v[24:25]
	ds_load_b128 v[6:9], v1 offset:1408
	s_waitcnt vmcnt(3) lgkmcnt(1)
	v_mul_f64 v[20:21], v[4:5], v[28:29]
	v_add_f64 v[10:11], v[10:11], v[14:15]
	v_add_f64 v[12:13], v[12:13], v[184:185]
	v_mul_f64 v[14:15], v[2:3], v[28:29]
	s_waitcnt vmcnt(2) lgkmcnt(0)
	v_mul_f64 v[24:25], v[8:9], v[32:33]
	v_fma_f64 v[20:21], v[2:3], v[26:27], -v[20:21]
	v_add_f64 v[10:11], v[10:11], v[18:19]
	v_add_f64 v[12:13], v[12:13], v[42:43]
	v_mul_f64 v[18:19], v[6:7], v[32:33]
	v_fma_f64 v[14:15], v[4:5], v[26:27], v[14:15]
	ds_load_b128 v[2:5], v1 offset:1424
	v_fma_f64 v[6:7], v[6:7], v[30:31], -v[24:25]
	v_add_f64 v[10:11], v[10:11], v[22:23]
	v_add_f64 v[12:13], v[12:13], v[16:17]
	s_waitcnt vmcnt(1) lgkmcnt(0)
	v_mul_f64 v[16:17], v[2:3], v[40:41]
	v_mul_f64 v[22:23], v[4:5], v[40:41]
	v_fma_f64 v[8:9], v[8:9], v[30:31], v[18:19]
	v_add_f64 v[10:11], v[10:11], v[20:21]
	v_add_f64 v[12:13], v[12:13], v[14:15]
	v_fma_f64 v[4:5], v[4:5], v[38:39], v[16:17]
	v_fma_f64 v[2:3], v[2:3], v[38:39], -v[22:23]
	s_delay_alu instid0(VALU_DEP_4) | instskip(NEXT) | instid1(VALU_DEP_4)
	v_add_f64 v[6:7], v[10:11], v[6:7]
	v_add_f64 v[8:9], v[12:13], v[8:9]
	s_delay_alu instid0(VALU_DEP_2) | instskip(NEXT) | instid1(VALU_DEP_2)
	v_add_f64 v[2:3], v[6:7], v[2:3]
	v_add_f64 v[4:5], v[8:9], v[4:5]
	s_waitcnt vmcnt(0)
	s_delay_alu instid0(VALU_DEP_2) | instskip(NEXT) | instid1(VALU_DEP_2)
	v_add_f64 v[2:3], v[34:35], -v[2:3]
	v_add_f64 v[4:5], v[36:37], -v[4:5]
	scratch_store_b128 off, v[2:5], off offset:560
	v_cmpx_lt_u32_e32 34, v136
	s_cbranch_execz .LBB44_215
; %bb.214:
	scratch_load_b128 v[5:8], v163, off
	v_mov_b32_e32 v2, v1
	v_mov_b32_e32 v3, v1
	;; [unrolled: 1-line block ×3, first 2 shown]
	scratch_store_b128 off, v[1:4], off offset:544
	s_waitcnt vmcnt(0)
	ds_store_b128 v181, v[5:8]
.LBB44_215:
	s_or_b32 exec_lo, exec_lo, s2
	s_waitcnt lgkmcnt(0)
	s_waitcnt_vscnt null, 0x0
	s_barrier
	buffer_gl0_inv
	s_clause 0x7
	scratch_load_b128 v[2:5], off, off offset:560
	scratch_load_b128 v[6:9], off, off offset:576
	;; [unrolled: 1-line block ×8, first 2 shown]
	ds_load_b128 v[34:37], v1 offset:1280
	ds_load_b128 v[42:45], v1 offset:1296
	s_clause 0x1
	scratch_load_b128 v[38:41], off, off offset:688
	scratch_load_b128 v[182:185], off, off offset:704
	s_mov_b32 s2, exec_lo
	s_waitcnt vmcnt(9) lgkmcnt(1)
	v_mul_f64 v[186:187], v[36:37], v[4:5]
	v_mul_f64 v[4:5], v[34:35], v[4:5]
	s_waitcnt vmcnt(8) lgkmcnt(0)
	v_mul_f64 v[188:189], v[42:43], v[8:9]
	v_mul_f64 v[8:9], v[44:45], v[8:9]
	s_delay_alu instid0(VALU_DEP_4) | instskip(NEXT) | instid1(VALU_DEP_4)
	v_fma_f64 v[34:35], v[34:35], v[2:3], -v[186:187]
	v_fma_f64 v[36:37], v[36:37], v[2:3], v[4:5]
	ds_load_b128 v[2:5], v1 offset:1312
	v_fma_f64 v[44:45], v[44:45], v[6:7], v[188:189]
	v_fma_f64 v[42:43], v[42:43], v[6:7], -v[8:9]
	ds_load_b128 v[6:9], v1 offset:1328
	s_waitcnt vmcnt(7) lgkmcnt(1)
	v_mul_f64 v[186:187], v[2:3], v[12:13]
	v_mul_f64 v[12:13], v[4:5], v[12:13]
	s_waitcnt vmcnt(6) lgkmcnt(0)
	v_mul_f64 v[188:189], v[6:7], v[16:17]
	v_mul_f64 v[16:17], v[8:9], v[16:17]
	v_add_f64 v[34:35], v[34:35], 0
	v_add_f64 v[36:37], v[36:37], 0
	v_fma_f64 v[186:187], v[4:5], v[10:11], v[186:187]
	v_fma_f64 v[190:191], v[2:3], v[10:11], -v[12:13]
	ds_load_b128 v[2:5], v1 offset:1344
	scratch_load_b128 v[10:13], off, off offset:544
	v_add_f64 v[34:35], v[34:35], v[42:43]
	v_add_f64 v[36:37], v[36:37], v[44:45]
	v_fma_f64 v[44:45], v[8:9], v[14:15], v[188:189]
	v_fma_f64 v[14:15], v[6:7], v[14:15], -v[16:17]
	ds_load_b128 v[6:9], v1 offset:1360
	s_waitcnt vmcnt(6) lgkmcnt(1)
	v_mul_f64 v[42:43], v[2:3], v[20:21]
	v_mul_f64 v[20:21], v[4:5], v[20:21]
	v_add_f64 v[16:17], v[34:35], v[190:191]
	v_add_f64 v[34:35], v[36:37], v[186:187]
	s_waitcnt vmcnt(5) lgkmcnt(0)
	v_mul_f64 v[36:37], v[6:7], v[24:25]
	v_mul_f64 v[24:25], v[8:9], v[24:25]
	v_fma_f64 v[42:43], v[4:5], v[18:19], v[42:43]
	v_fma_f64 v[18:19], v[2:3], v[18:19], -v[20:21]
	ds_load_b128 v[2:5], v1 offset:1376
	v_add_f64 v[14:15], v[16:17], v[14:15]
	v_add_f64 v[16:17], v[34:35], v[44:45]
	v_fma_f64 v[34:35], v[8:9], v[22:23], v[36:37]
	v_fma_f64 v[22:23], v[6:7], v[22:23], -v[24:25]
	ds_load_b128 v[6:9], v1 offset:1392
	s_waitcnt vmcnt(4) lgkmcnt(1)
	v_mul_f64 v[20:21], v[2:3], v[28:29]
	v_mul_f64 v[28:29], v[4:5], v[28:29]
	s_waitcnt vmcnt(3) lgkmcnt(0)
	v_mul_f64 v[24:25], v[8:9], v[32:33]
	v_add_f64 v[14:15], v[14:15], v[18:19]
	v_add_f64 v[16:17], v[16:17], v[42:43]
	v_mul_f64 v[18:19], v[6:7], v[32:33]
	v_fma_f64 v[20:21], v[4:5], v[26:27], v[20:21]
	v_fma_f64 v[26:27], v[2:3], v[26:27], -v[28:29]
	ds_load_b128 v[2:5], v1 offset:1408
	v_fma_f64 v[24:25], v[6:7], v[30:31], -v[24:25]
	v_add_f64 v[14:15], v[14:15], v[22:23]
	v_add_f64 v[16:17], v[16:17], v[34:35]
	v_fma_f64 v[18:19], v[8:9], v[30:31], v[18:19]
	ds_load_b128 v[6:9], v1 offset:1424
	s_waitcnt vmcnt(2) lgkmcnt(1)
	v_mul_f64 v[22:23], v[2:3], v[40:41]
	v_mul_f64 v[28:29], v[4:5], v[40:41]
	v_add_f64 v[14:15], v[14:15], v[26:27]
	v_add_f64 v[16:17], v[16:17], v[20:21]
	s_waitcnt vmcnt(1) lgkmcnt(0)
	v_mul_f64 v[20:21], v[6:7], v[184:185]
	v_mul_f64 v[26:27], v[8:9], v[184:185]
	v_fma_f64 v[4:5], v[4:5], v[38:39], v[22:23]
	v_fma_f64 v[1:2], v[2:3], v[38:39], -v[28:29]
	v_add_f64 v[14:15], v[14:15], v[24:25]
	v_add_f64 v[16:17], v[16:17], v[18:19]
	v_fma_f64 v[8:9], v[8:9], v[182:183], v[20:21]
	v_fma_f64 v[6:7], v[6:7], v[182:183], -v[26:27]
	s_delay_alu instid0(VALU_DEP_4) | instskip(NEXT) | instid1(VALU_DEP_4)
	v_add_f64 v[1:2], v[14:15], v[1:2]
	v_add_f64 v[3:4], v[16:17], v[4:5]
	s_delay_alu instid0(VALU_DEP_2) | instskip(NEXT) | instid1(VALU_DEP_2)
	v_add_f64 v[1:2], v[1:2], v[6:7]
	v_add_f64 v[3:4], v[3:4], v[8:9]
	s_waitcnt vmcnt(0)
	s_delay_alu instid0(VALU_DEP_2) | instskip(NEXT) | instid1(VALU_DEP_2)
	v_add_f64 v[1:2], v[10:11], -v[1:2]
	v_add_f64 v[3:4], v[12:13], -v[3:4]
	scratch_store_b128 off, v[1:4], off offset:544
	v_cmpx_lt_u32_e32 33, v136
	s_cbranch_execz .LBB44_217
; %bb.216:
	scratch_load_b128 v[1:4], v137, off
	v_mov_b32_e32 v5, 0
	s_delay_alu instid0(VALU_DEP_1)
	v_mov_b32_e32 v6, v5
	v_mov_b32_e32 v7, v5
	;; [unrolled: 1-line block ×3, first 2 shown]
	scratch_store_b128 off, v[5:8], off offset:528
	s_waitcnt vmcnt(0)
	ds_store_b128 v181, v[1:4]
.LBB44_217:
	s_or_b32 exec_lo, exec_lo, s2
	s_waitcnt lgkmcnt(0)
	s_waitcnt_vscnt null, 0x0
	s_barrier
	buffer_gl0_inv
	s_clause 0x7
	scratch_load_b128 v[2:5], off, off offset:544
	scratch_load_b128 v[6:9], off, off offset:560
	;; [unrolled: 1-line block ×8, first 2 shown]
	v_mov_b32_e32 v1, 0
	s_clause 0x1
	scratch_load_b128 v[38:41], off, off offset:672
	scratch_load_b128 v[182:185], off, off offset:688
	s_mov_b32 s2, exec_lo
	ds_load_b128 v[34:37], v1 offset:1264
	ds_load_b128 v[42:45], v1 offset:1280
	s_waitcnt vmcnt(9) lgkmcnt(1)
	v_mul_f64 v[186:187], v[36:37], v[4:5]
	v_mul_f64 v[4:5], v[34:35], v[4:5]
	s_waitcnt vmcnt(8) lgkmcnt(0)
	v_mul_f64 v[188:189], v[42:43], v[8:9]
	v_mul_f64 v[8:9], v[44:45], v[8:9]
	s_delay_alu instid0(VALU_DEP_4) | instskip(NEXT) | instid1(VALU_DEP_4)
	v_fma_f64 v[186:187], v[34:35], v[2:3], -v[186:187]
	v_fma_f64 v[190:191], v[36:37], v[2:3], v[4:5]
	ds_load_b128 v[2:5], v1 offset:1296
	scratch_load_b128 v[34:37], off, off offset:704
	v_fma_f64 v[44:45], v[44:45], v[6:7], v[188:189]
	v_fma_f64 v[42:43], v[42:43], v[6:7], -v[8:9]
	ds_load_b128 v[6:9], v1 offset:1312
	s_waitcnt vmcnt(8) lgkmcnt(1)
	v_mul_f64 v[192:193], v[2:3], v[12:13]
	v_mul_f64 v[12:13], v[4:5], v[12:13]
	v_add_f64 v[186:187], v[186:187], 0
	v_add_f64 v[188:189], v[190:191], 0
	s_waitcnt vmcnt(7) lgkmcnt(0)
	v_mul_f64 v[190:191], v[6:7], v[16:17]
	v_mul_f64 v[16:17], v[8:9], v[16:17]
	v_fma_f64 v[192:193], v[4:5], v[10:11], v[192:193]
	v_fma_f64 v[10:11], v[2:3], v[10:11], -v[12:13]
	ds_load_b128 v[2:5], v1 offset:1328
	v_add_f64 v[12:13], v[186:187], v[42:43]
	v_add_f64 v[42:43], v[188:189], v[44:45]
	v_fma_f64 v[186:187], v[8:9], v[14:15], v[190:191]
	v_fma_f64 v[14:15], v[6:7], v[14:15], -v[16:17]
	ds_load_b128 v[6:9], v1 offset:1344
	s_waitcnt vmcnt(6) lgkmcnt(1)
	v_mul_f64 v[44:45], v[2:3], v[20:21]
	v_mul_f64 v[20:21], v[4:5], v[20:21]
	s_waitcnt vmcnt(5) lgkmcnt(0)
	v_mul_f64 v[188:189], v[6:7], v[24:25]
	v_mul_f64 v[24:25], v[8:9], v[24:25]
	v_add_f64 v[16:17], v[12:13], v[10:11]
	v_add_f64 v[42:43], v[42:43], v[192:193]
	scratch_load_b128 v[10:13], off, off offset:528
	v_fma_f64 v[44:45], v[4:5], v[18:19], v[44:45]
	v_fma_f64 v[18:19], v[2:3], v[18:19], -v[20:21]
	ds_load_b128 v[2:5], v1 offset:1360
	v_add_f64 v[14:15], v[16:17], v[14:15]
	v_add_f64 v[16:17], v[42:43], v[186:187]
	v_fma_f64 v[42:43], v[8:9], v[22:23], v[188:189]
	v_fma_f64 v[22:23], v[6:7], v[22:23], -v[24:25]
	ds_load_b128 v[6:9], v1 offset:1376
	s_waitcnt vmcnt(5) lgkmcnt(1)
	v_mul_f64 v[20:21], v[2:3], v[28:29]
	v_mul_f64 v[28:29], v[4:5], v[28:29]
	s_waitcnt vmcnt(4) lgkmcnt(0)
	v_mul_f64 v[24:25], v[8:9], v[32:33]
	v_add_f64 v[14:15], v[14:15], v[18:19]
	v_add_f64 v[16:17], v[16:17], v[44:45]
	v_mul_f64 v[18:19], v[6:7], v[32:33]
	v_fma_f64 v[20:21], v[4:5], v[26:27], v[20:21]
	v_fma_f64 v[26:27], v[2:3], v[26:27], -v[28:29]
	ds_load_b128 v[2:5], v1 offset:1392
	v_fma_f64 v[24:25], v[6:7], v[30:31], -v[24:25]
	v_add_f64 v[14:15], v[14:15], v[22:23]
	v_add_f64 v[16:17], v[16:17], v[42:43]
	v_fma_f64 v[18:19], v[8:9], v[30:31], v[18:19]
	ds_load_b128 v[6:9], v1 offset:1408
	s_waitcnt vmcnt(3) lgkmcnt(1)
	v_mul_f64 v[22:23], v[2:3], v[40:41]
	v_mul_f64 v[28:29], v[4:5], v[40:41]
	v_add_f64 v[14:15], v[14:15], v[26:27]
	v_add_f64 v[16:17], v[16:17], v[20:21]
	s_waitcnt vmcnt(2) lgkmcnt(0)
	v_mul_f64 v[20:21], v[6:7], v[184:185]
	v_mul_f64 v[26:27], v[8:9], v[184:185]
	v_fma_f64 v[22:23], v[4:5], v[38:39], v[22:23]
	v_fma_f64 v[28:29], v[2:3], v[38:39], -v[28:29]
	ds_load_b128 v[2:5], v1 offset:1424
	v_add_f64 v[14:15], v[14:15], v[24:25]
	v_add_f64 v[16:17], v[16:17], v[18:19]
	v_fma_f64 v[8:9], v[8:9], v[182:183], v[20:21]
	v_fma_f64 v[6:7], v[6:7], v[182:183], -v[26:27]
	s_waitcnt vmcnt(1) lgkmcnt(0)
	v_mul_f64 v[18:19], v[2:3], v[36:37]
	v_mul_f64 v[24:25], v[4:5], v[36:37]
	v_add_f64 v[14:15], v[14:15], v[28:29]
	v_add_f64 v[16:17], v[16:17], v[22:23]
	s_delay_alu instid0(VALU_DEP_4) | instskip(NEXT) | instid1(VALU_DEP_4)
	v_fma_f64 v[4:5], v[4:5], v[34:35], v[18:19]
	v_fma_f64 v[2:3], v[2:3], v[34:35], -v[24:25]
	s_delay_alu instid0(VALU_DEP_4) | instskip(NEXT) | instid1(VALU_DEP_4)
	v_add_f64 v[6:7], v[14:15], v[6:7]
	v_add_f64 v[8:9], v[16:17], v[8:9]
	s_delay_alu instid0(VALU_DEP_2) | instskip(NEXT) | instid1(VALU_DEP_2)
	v_add_f64 v[2:3], v[6:7], v[2:3]
	v_add_f64 v[4:5], v[8:9], v[4:5]
	s_waitcnt vmcnt(0)
	s_delay_alu instid0(VALU_DEP_2) | instskip(NEXT) | instid1(VALU_DEP_2)
	v_add_f64 v[2:3], v[10:11], -v[2:3]
	v_add_f64 v[4:5], v[12:13], -v[4:5]
	scratch_store_b128 off, v[2:5], off offset:528
	v_cmpx_lt_u32_e32 32, v136
	s_cbranch_execz .LBB44_219
; %bb.218:
	scratch_load_b128 v[5:8], v138, off
	v_mov_b32_e32 v2, v1
	v_mov_b32_e32 v3, v1
	;; [unrolled: 1-line block ×3, first 2 shown]
	scratch_store_b128 off, v[1:4], off offset:512
	s_waitcnt vmcnt(0)
	ds_store_b128 v181, v[5:8]
.LBB44_219:
	s_or_b32 exec_lo, exec_lo, s2
	s_waitcnt lgkmcnt(0)
	s_waitcnt_vscnt null, 0x0
	s_barrier
	buffer_gl0_inv
	s_clause 0x8
	scratch_load_b128 v[2:5], off, off offset:528
	scratch_load_b128 v[6:9], off, off offset:544
	scratch_load_b128 v[10:13], off, off offset:560
	scratch_load_b128 v[14:17], off, off offset:576
	scratch_load_b128 v[18:21], off, off offset:592
	scratch_load_b128 v[22:25], off, off offset:608
	scratch_load_b128 v[26:29], off, off offset:624
	scratch_load_b128 v[30:33], off, off offset:640
	scratch_load_b128 v[34:37], off, off offset:656
	ds_load_b128 v[38:41], v1 offset:1248
	ds_load_b128 v[42:45], v1 offset:1264
	s_clause 0x1
	scratch_load_b128 v[182:185], off, off offset:512
	scratch_load_b128 v[186:189], off, off offset:672
	s_mov_b32 s2, exec_lo
	s_waitcnt vmcnt(10) lgkmcnt(1)
	v_mul_f64 v[190:191], v[40:41], v[4:5]
	v_mul_f64 v[4:5], v[38:39], v[4:5]
	s_waitcnt vmcnt(9) lgkmcnt(0)
	v_mul_f64 v[194:195], v[42:43], v[8:9]
	v_mul_f64 v[8:9], v[44:45], v[8:9]
	s_delay_alu instid0(VALU_DEP_4) | instskip(NEXT) | instid1(VALU_DEP_4)
	v_fma_f64 v[196:197], v[38:39], v[2:3], -v[190:191]
	v_fma_f64 v[198:199], v[40:41], v[2:3], v[4:5]
	ds_load_b128 v[2:5], v1 offset:1280
	ds_load_b128 v[190:193], v1 offset:1296
	scratch_load_b128 v[38:41], off, off offset:688
	v_fma_f64 v[44:45], v[44:45], v[6:7], v[194:195]
	v_fma_f64 v[42:43], v[42:43], v[6:7], -v[8:9]
	scratch_load_b128 v[6:9], off, off offset:704
	s_waitcnt vmcnt(10) lgkmcnt(1)
	v_mul_f64 v[200:201], v[2:3], v[12:13]
	v_mul_f64 v[12:13], v[4:5], v[12:13]
	v_add_f64 v[194:195], v[196:197], 0
	v_add_f64 v[196:197], v[198:199], 0
	s_waitcnt vmcnt(9) lgkmcnt(0)
	v_mul_f64 v[198:199], v[190:191], v[16:17]
	v_mul_f64 v[16:17], v[192:193], v[16:17]
	v_fma_f64 v[200:201], v[4:5], v[10:11], v[200:201]
	v_fma_f64 v[202:203], v[2:3], v[10:11], -v[12:13]
	ds_load_b128 v[2:5], v1 offset:1312
	ds_load_b128 v[10:13], v1 offset:1328
	v_add_f64 v[42:43], v[194:195], v[42:43]
	v_add_f64 v[44:45], v[196:197], v[44:45]
	v_fma_f64 v[192:193], v[192:193], v[14:15], v[198:199]
	v_fma_f64 v[14:15], v[190:191], v[14:15], -v[16:17]
	s_waitcnt vmcnt(8) lgkmcnt(1)
	v_mul_f64 v[194:195], v[2:3], v[20:21]
	v_mul_f64 v[20:21], v[4:5], v[20:21]
	v_add_f64 v[16:17], v[42:43], v[202:203]
	v_add_f64 v[42:43], v[44:45], v[200:201]
	s_waitcnt vmcnt(7) lgkmcnt(0)
	v_mul_f64 v[44:45], v[10:11], v[24:25]
	v_mul_f64 v[24:25], v[12:13], v[24:25]
	v_fma_f64 v[190:191], v[4:5], v[18:19], v[194:195]
	v_fma_f64 v[18:19], v[2:3], v[18:19], -v[20:21]
	v_add_f64 v[20:21], v[16:17], v[14:15]
	v_add_f64 v[42:43], v[42:43], v[192:193]
	ds_load_b128 v[2:5], v1 offset:1344
	ds_load_b128 v[14:17], v1 offset:1360
	v_fma_f64 v[12:13], v[12:13], v[22:23], v[44:45]
	v_fma_f64 v[10:11], v[10:11], v[22:23], -v[24:25]
	s_waitcnt vmcnt(6) lgkmcnt(1)
	v_mul_f64 v[192:193], v[2:3], v[28:29]
	v_mul_f64 v[28:29], v[4:5], v[28:29]
	s_waitcnt vmcnt(5) lgkmcnt(0)
	v_mul_f64 v[22:23], v[14:15], v[32:33]
	v_mul_f64 v[24:25], v[16:17], v[32:33]
	v_add_f64 v[18:19], v[20:21], v[18:19]
	v_add_f64 v[20:21], v[42:43], v[190:191]
	v_fma_f64 v[32:33], v[4:5], v[26:27], v[192:193]
	v_fma_f64 v[26:27], v[2:3], v[26:27], -v[28:29]
	v_fma_f64 v[16:17], v[16:17], v[30:31], v[22:23]
	v_fma_f64 v[14:15], v[14:15], v[30:31], -v[24:25]
	v_add_f64 v[18:19], v[18:19], v[10:11]
	v_add_f64 v[20:21], v[20:21], v[12:13]
	ds_load_b128 v[2:5], v1 offset:1376
	ds_load_b128 v[10:13], v1 offset:1392
	s_waitcnt vmcnt(4) lgkmcnt(1)
	v_mul_f64 v[28:29], v[2:3], v[36:37]
	v_mul_f64 v[36:37], v[4:5], v[36:37]
	s_waitcnt vmcnt(2) lgkmcnt(0)
	v_mul_f64 v[22:23], v[10:11], v[188:189]
	v_mul_f64 v[24:25], v[12:13], v[188:189]
	v_add_f64 v[18:19], v[18:19], v[26:27]
	v_add_f64 v[20:21], v[20:21], v[32:33]
	v_fma_f64 v[26:27], v[4:5], v[34:35], v[28:29]
	v_fma_f64 v[28:29], v[2:3], v[34:35], -v[36:37]
	v_fma_f64 v[12:13], v[12:13], v[186:187], v[22:23]
	v_fma_f64 v[10:11], v[10:11], v[186:187], -v[24:25]
	v_add_f64 v[18:19], v[18:19], v[14:15]
	v_add_f64 v[20:21], v[20:21], v[16:17]
	ds_load_b128 v[2:5], v1 offset:1408
	ds_load_b128 v[14:17], v1 offset:1424
	s_waitcnt vmcnt(1) lgkmcnt(1)
	v_mul_f64 v[30:31], v[2:3], v[40:41]
	v_mul_f64 v[32:33], v[4:5], v[40:41]
	s_waitcnt vmcnt(0) lgkmcnt(0)
	v_mul_f64 v[22:23], v[14:15], v[8:9]
	v_mul_f64 v[8:9], v[16:17], v[8:9]
	v_add_f64 v[18:19], v[18:19], v[28:29]
	v_add_f64 v[20:21], v[20:21], v[26:27]
	v_fma_f64 v[4:5], v[4:5], v[38:39], v[30:31]
	v_fma_f64 v[1:2], v[2:3], v[38:39], -v[32:33]
	v_fma_f64 v[16:17], v[16:17], v[6:7], v[22:23]
	v_fma_f64 v[6:7], v[14:15], v[6:7], -v[8:9]
	v_add_f64 v[10:11], v[18:19], v[10:11]
	v_add_f64 v[12:13], v[20:21], v[12:13]
	s_delay_alu instid0(VALU_DEP_2) | instskip(NEXT) | instid1(VALU_DEP_2)
	v_add_f64 v[1:2], v[10:11], v[1:2]
	v_add_f64 v[3:4], v[12:13], v[4:5]
	s_delay_alu instid0(VALU_DEP_2) | instskip(NEXT) | instid1(VALU_DEP_2)
	;; [unrolled: 3-line block ×3, first 2 shown]
	v_add_f64 v[1:2], v[182:183], -v[1:2]
	v_add_f64 v[3:4], v[184:185], -v[3:4]
	scratch_store_b128 off, v[1:4], off offset:512
	v_cmpx_lt_u32_e32 31, v136
	s_cbranch_execz .LBB44_221
; %bb.220:
	scratch_load_b128 v[1:4], v140, off
	v_mov_b32_e32 v5, 0
	s_delay_alu instid0(VALU_DEP_1)
	v_mov_b32_e32 v6, v5
	v_mov_b32_e32 v7, v5
	;; [unrolled: 1-line block ×3, first 2 shown]
	scratch_store_b128 off, v[5:8], off offset:496
	s_waitcnt vmcnt(0)
	ds_store_b128 v181, v[1:4]
.LBB44_221:
	s_or_b32 exec_lo, exec_lo, s2
	s_waitcnt lgkmcnt(0)
	s_waitcnt_vscnt null, 0x0
	s_barrier
	buffer_gl0_inv
	s_clause 0x7
	scratch_load_b128 v[2:5], off, off offset:512
	scratch_load_b128 v[6:9], off, off offset:528
	;; [unrolled: 1-line block ×8, first 2 shown]
	v_mov_b32_e32 v1, 0
	s_mov_b32 s2, exec_lo
	ds_load_b128 v[34:37], v1 offset:1232
	s_clause 0x1
	scratch_load_b128 v[38:41], off, off offset:640
	scratch_load_b128 v[42:45], off, off offset:496
	ds_load_b128 v[182:185], v1 offset:1248
	scratch_load_b128 v[186:189], off, off offset:656
	s_waitcnt vmcnt(10) lgkmcnt(1)
	v_mul_f64 v[190:191], v[36:37], v[4:5]
	v_mul_f64 v[4:5], v[34:35], v[4:5]
	s_delay_alu instid0(VALU_DEP_2) | instskip(NEXT) | instid1(VALU_DEP_2)
	v_fma_f64 v[196:197], v[34:35], v[2:3], -v[190:191]
	v_fma_f64 v[198:199], v[36:37], v[2:3], v[4:5]
	scratch_load_b128 v[34:37], off, off offset:672
	ds_load_b128 v[2:5], v1 offset:1264
	s_waitcnt vmcnt(10) lgkmcnt(1)
	v_mul_f64 v[194:195], v[182:183], v[8:9]
	v_mul_f64 v[8:9], v[184:185], v[8:9]
	ds_load_b128 v[190:193], v1 offset:1280
	s_waitcnt vmcnt(9) lgkmcnt(1)
	v_mul_f64 v[200:201], v[2:3], v[12:13]
	v_mul_f64 v[12:13], v[4:5], v[12:13]
	v_fma_f64 v[184:185], v[184:185], v[6:7], v[194:195]
	v_fma_f64 v[182:183], v[182:183], v[6:7], -v[8:9]
	v_add_f64 v[194:195], v[196:197], 0
	v_add_f64 v[196:197], v[198:199], 0
	scratch_load_b128 v[6:9], off, off offset:688
	v_fma_f64 v[200:201], v[4:5], v[10:11], v[200:201]
	v_fma_f64 v[202:203], v[2:3], v[10:11], -v[12:13]
	scratch_load_b128 v[10:13], off, off offset:704
	ds_load_b128 v[2:5], v1 offset:1296
	s_waitcnt vmcnt(10) lgkmcnt(1)
	v_mul_f64 v[198:199], v[190:191], v[16:17]
	v_mul_f64 v[16:17], v[192:193], v[16:17]
	v_add_f64 v[194:195], v[194:195], v[182:183]
	v_add_f64 v[196:197], v[196:197], v[184:185]
	s_waitcnt vmcnt(9) lgkmcnt(0)
	v_mul_f64 v[204:205], v[2:3], v[20:21]
	v_mul_f64 v[20:21], v[4:5], v[20:21]
	ds_load_b128 v[182:185], v1 offset:1312
	v_fma_f64 v[192:193], v[192:193], v[14:15], v[198:199]
	v_fma_f64 v[14:15], v[190:191], v[14:15], -v[16:17]
	v_add_f64 v[16:17], v[194:195], v[202:203]
	v_add_f64 v[190:191], v[196:197], v[200:201]
	s_waitcnt vmcnt(8) lgkmcnt(0)
	v_mul_f64 v[194:195], v[182:183], v[24:25]
	v_mul_f64 v[24:25], v[184:185], v[24:25]
	v_fma_f64 v[196:197], v[4:5], v[18:19], v[204:205]
	v_fma_f64 v[18:19], v[2:3], v[18:19], -v[20:21]
	v_add_f64 v[20:21], v[16:17], v[14:15]
	v_add_f64 v[190:191], v[190:191], v[192:193]
	ds_load_b128 v[2:5], v1 offset:1328
	ds_load_b128 v[14:17], v1 offset:1344
	v_fma_f64 v[184:185], v[184:185], v[22:23], v[194:195]
	v_fma_f64 v[22:23], v[182:183], v[22:23], -v[24:25]
	s_waitcnt vmcnt(7) lgkmcnt(1)
	v_mul_f64 v[192:193], v[2:3], v[28:29]
	v_mul_f64 v[28:29], v[4:5], v[28:29]
	s_waitcnt vmcnt(6) lgkmcnt(0)
	v_mul_f64 v[24:25], v[14:15], v[32:33]
	v_mul_f64 v[32:33], v[16:17], v[32:33]
	v_add_f64 v[18:19], v[20:21], v[18:19]
	v_add_f64 v[20:21], v[190:191], v[196:197]
	v_fma_f64 v[182:183], v[4:5], v[26:27], v[192:193]
	v_fma_f64 v[26:27], v[2:3], v[26:27], -v[28:29]
	v_fma_f64 v[16:17], v[16:17], v[30:31], v[24:25]
	v_fma_f64 v[14:15], v[14:15], v[30:31], -v[32:33]
	v_add_f64 v[22:23], v[18:19], v[22:23]
	v_add_f64 v[28:29], v[20:21], v[184:185]
	ds_load_b128 v[2:5], v1 offset:1360
	ds_load_b128 v[18:21], v1 offset:1376
	s_waitcnt vmcnt(5) lgkmcnt(1)
	v_mul_f64 v[184:185], v[2:3], v[40:41]
	v_mul_f64 v[40:41], v[4:5], v[40:41]
	v_add_f64 v[22:23], v[22:23], v[26:27]
	v_add_f64 v[24:25], v[28:29], v[182:183]
	s_waitcnt vmcnt(3) lgkmcnt(0)
	v_mul_f64 v[26:27], v[18:19], v[188:189]
	v_mul_f64 v[28:29], v[20:21], v[188:189]
	v_fma_f64 v[30:31], v[4:5], v[38:39], v[184:185]
	v_fma_f64 v[32:33], v[2:3], v[38:39], -v[40:41]
	v_add_f64 v[22:23], v[22:23], v[14:15]
	v_add_f64 v[24:25], v[24:25], v[16:17]
	ds_load_b128 v[2:5], v1 offset:1392
	ds_load_b128 v[14:17], v1 offset:1408
	v_fma_f64 v[20:21], v[20:21], v[186:187], v[26:27]
	v_fma_f64 v[18:19], v[18:19], v[186:187], -v[28:29]
	s_waitcnt vmcnt(2) lgkmcnt(1)
	v_mul_f64 v[38:39], v[2:3], v[36:37]
	v_mul_f64 v[36:37], v[4:5], v[36:37]
	v_add_f64 v[22:23], v[22:23], v[32:33]
	v_add_f64 v[24:25], v[24:25], v[30:31]
	s_waitcnt vmcnt(1) lgkmcnt(0)
	v_mul_f64 v[26:27], v[14:15], v[8:9]
	v_mul_f64 v[8:9], v[16:17], v[8:9]
	v_fma_f64 v[28:29], v[4:5], v[34:35], v[38:39]
	v_fma_f64 v[30:31], v[2:3], v[34:35], -v[36:37]
	ds_load_b128 v[2:5], v1 offset:1424
	v_add_f64 v[18:19], v[22:23], v[18:19]
	v_add_f64 v[20:21], v[24:25], v[20:21]
	s_waitcnt vmcnt(0) lgkmcnt(0)
	v_mul_f64 v[22:23], v[2:3], v[12:13]
	v_mul_f64 v[12:13], v[4:5], v[12:13]
	v_fma_f64 v[16:17], v[16:17], v[6:7], v[26:27]
	v_fma_f64 v[6:7], v[14:15], v[6:7], -v[8:9]
	v_add_f64 v[8:9], v[18:19], v[30:31]
	v_add_f64 v[14:15], v[20:21], v[28:29]
	v_fma_f64 v[4:5], v[4:5], v[10:11], v[22:23]
	v_fma_f64 v[2:3], v[2:3], v[10:11], -v[12:13]
	s_delay_alu instid0(VALU_DEP_4) | instskip(NEXT) | instid1(VALU_DEP_4)
	v_add_f64 v[6:7], v[8:9], v[6:7]
	v_add_f64 v[8:9], v[14:15], v[16:17]
	s_delay_alu instid0(VALU_DEP_2) | instskip(NEXT) | instid1(VALU_DEP_2)
	v_add_f64 v[2:3], v[6:7], v[2:3]
	v_add_f64 v[4:5], v[8:9], v[4:5]
	s_delay_alu instid0(VALU_DEP_2) | instskip(NEXT) | instid1(VALU_DEP_2)
	v_add_f64 v[2:3], v[42:43], -v[2:3]
	v_add_f64 v[4:5], v[44:45], -v[4:5]
	scratch_store_b128 off, v[2:5], off offset:496
	v_cmpx_lt_u32_e32 30, v136
	s_cbranch_execz .LBB44_223
; %bb.222:
	scratch_load_b128 v[5:8], v142, off
	v_mov_b32_e32 v2, v1
	v_mov_b32_e32 v3, v1
	;; [unrolled: 1-line block ×3, first 2 shown]
	scratch_store_b128 off, v[1:4], off offset:480
	s_waitcnt vmcnt(0)
	ds_store_b128 v181, v[5:8]
.LBB44_223:
	s_or_b32 exec_lo, exec_lo, s2
	s_waitcnt lgkmcnt(0)
	s_waitcnt_vscnt null, 0x0
	s_barrier
	buffer_gl0_inv
	s_clause 0x8
	scratch_load_b128 v[2:5], off, off offset:496
	scratch_load_b128 v[6:9], off, off offset:512
	;; [unrolled: 1-line block ×9, first 2 shown]
	ds_load_b128 v[38:41], v1 offset:1216
	ds_load_b128 v[42:45], v1 offset:1232
	s_clause 0x1
	scratch_load_b128 v[182:185], off, off offset:480
	scratch_load_b128 v[186:189], off, off offset:640
	s_mov_b32 s2, exec_lo
	s_waitcnt vmcnt(10) lgkmcnt(1)
	v_mul_f64 v[190:191], v[40:41], v[4:5]
	v_mul_f64 v[4:5], v[38:39], v[4:5]
	s_waitcnt vmcnt(9) lgkmcnt(0)
	v_mul_f64 v[194:195], v[42:43], v[8:9]
	v_mul_f64 v[8:9], v[44:45], v[8:9]
	s_delay_alu instid0(VALU_DEP_4) | instskip(NEXT) | instid1(VALU_DEP_4)
	v_fma_f64 v[196:197], v[38:39], v[2:3], -v[190:191]
	v_fma_f64 v[198:199], v[40:41], v[2:3], v[4:5]
	ds_load_b128 v[2:5], v1 offset:1248
	ds_load_b128 v[190:193], v1 offset:1264
	scratch_load_b128 v[38:41], off, off offset:656
	v_fma_f64 v[44:45], v[44:45], v[6:7], v[194:195]
	v_fma_f64 v[42:43], v[42:43], v[6:7], -v[8:9]
	scratch_load_b128 v[6:9], off, off offset:672
	s_waitcnt vmcnt(10) lgkmcnt(1)
	v_mul_f64 v[200:201], v[2:3], v[12:13]
	v_mul_f64 v[12:13], v[4:5], v[12:13]
	v_add_f64 v[194:195], v[196:197], 0
	v_add_f64 v[196:197], v[198:199], 0
	s_waitcnt vmcnt(9) lgkmcnt(0)
	v_mul_f64 v[198:199], v[190:191], v[16:17]
	v_mul_f64 v[16:17], v[192:193], v[16:17]
	v_fma_f64 v[200:201], v[4:5], v[10:11], v[200:201]
	v_fma_f64 v[202:203], v[2:3], v[10:11], -v[12:13]
	ds_load_b128 v[2:5], v1 offset:1280
	scratch_load_b128 v[10:13], off, off offset:688
	v_add_f64 v[194:195], v[194:195], v[42:43]
	v_add_f64 v[196:197], v[196:197], v[44:45]
	ds_load_b128 v[42:45], v1 offset:1296
	v_fma_f64 v[192:193], v[192:193], v[14:15], v[198:199]
	v_fma_f64 v[190:191], v[190:191], v[14:15], -v[16:17]
	scratch_load_b128 v[14:17], off, off offset:704
	s_waitcnt vmcnt(10) lgkmcnt(1)
	v_mul_f64 v[204:205], v[2:3], v[20:21]
	v_mul_f64 v[20:21], v[4:5], v[20:21]
	s_waitcnt vmcnt(9) lgkmcnt(0)
	v_mul_f64 v[198:199], v[42:43], v[24:25]
	v_mul_f64 v[24:25], v[44:45], v[24:25]
	v_add_f64 v[194:195], v[194:195], v[202:203]
	v_add_f64 v[196:197], v[196:197], v[200:201]
	v_fma_f64 v[200:201], v[4:5], v[18:19], v[204:205]
	v_fma_f64 v[202:203], v[2:3], v[18:19], -v[20:21]
	ds_load_b128 v[2:5], v1 offset:1312
	ds_load_b128 v[18:21], v1 offset:1328
	v_fma_f64 v[44:45], v[44:45], v[22:23], v[198:199]
	v_fma_f64 v[22:23], v[42:43], v[22:23], -v[24:25]
	v_add_f64 v[190:191], v[194:195], v[190:191]
	v_add_f64 v[192:193], v[196:197], v[192:193]
	s_waitcnt vmcnt(8) lgkmcnt(1)
	v_mul_f64 v[194:195], v[2:3], v[28:29]
	v_mul_f64 v[28:29], v[4:5], v[28:29]
	s_delay_alu instid0(VALU_DEP_4) | instskip(NEXT) | instid1(VALU_DEP_4)
	v_add_f64 v[24:25], v[190:191], v[202:203]
	v_add_f64 v[42:43], v[192:193], v[200:201]
	s_waitcnt vmcnt(7) lgkmcnt(0)
	v_mul_f64 v[190:191], v[18:19], v[32:33]
	v_mul_f64 v[32:33], v[20:21], v[32:33]
	v_fma_f64 v[192:193], v[4:5], v[26:27], v[194:195]
	v_fma_f64 v[26:27], v[2:3], v[26:27], -v[28:29]
	v_add_f64 v[28:29], v[24:25], v[22:23]
	v_add_f64 v[42:43], v[42:43], v[44:45]
	ds_load_b128 v[2:5], v1 offset:1344
	ds_load_b128 v[22:25], v1 offset:1360
	v_fma_f64 v[20:21], v[20:21], v[30:31], v[190:191]
	v_fma_f64 v[18:19], v[18:19], v[30:31], -v[32:33]
	s_waitcnt vmcnt(6) lgkmcnt(1)
	v_mul_f64 v[44:45], v[2:3], v[36:37]
	v_mul_f64 v[36:37], v[4:5], v[36:37]
	s_waitcnt vmcnt(4) lgkmcnt(0)
	v_mul_f64 v[30:31], v[22:23], v[188:189]
	v_mul_f64 v[32:33], v[24:25], v[188:189]
	v_add_f64 v[26:27], v[28:29], v[26:27]
	v_add_f64 v[28:29], v[42:43], v[192:193]
	v_fma_f64 v[42:43], v[4:5], v[34:35], v[44:45]
	v_fma_f64 v[34:35], v[2:3], v[34:35], -v[36:37]
	v_fma_f64 v[24:25], v[24:25], v[186:187], v[30:31]
	v_fma_f64 v[22:23], v[22:23], v[186:187], -v[32:33]
	v_add_f64 v[26:27], v[26:27], v[18:19]
	v_add_f64 v[28:29], v[28:29], v[20:21]
	ds_load_b128 v[2:5], v1 offset:1376
	ds_load_b128 v[18:21], v1 offset:1392
	s_waitcnt vmcnt(3) lgkmcnt(1)
	v_mul_f64 v[36:37], v[2:3], v[40:41]
	v_mul_f64 v[40:41], v[4:5], v[40:41]
	s_waitcnt vmcnt(2) lgkmcnt(0)
	v_mul_f64 v[30:31], v[18:19], v[8:9]
	v_mul_f64 v[8:9], v[20:21], v[8:9]
	v_add_f64 v[26:27], v[26:27], v[34:35]
	v_add_f64 v[28:29], v[28:29], v[42:43]
	v_fma_f64 v[32:33], v[4:5], v[38:39], v[36:37]
	v_fma_f64 v[34:35], v[2:3], v[38:39], -v[40:41]
	v_fma_f64 v[20:21], v[20:21], v[6:7], v[30:31]
	v_fma_f64 v[6:7], v[18:19], v[6:7], -v[8:9]
	v_add_f64 v[26:27], v[26:27], v[22:23]
	v_add_f64 v[28:29], v[28:29], v[24:25]
	ds_load_b128 v[2:5], v1 offset:1408
	ds_load_b128 v[22:25], v1 offset:1424
	s_waitcnt vmcnt(1) lgkmcnt(1)
	v_mul_f64 v[36:37], v[2:3], v[12:13]
	v_mul_f64 v[12:13], v[4:5], v[12:13]
	v_add_f64 v[8:9], v[26:27], v[34:35]
	v_add_f64 v[18:19], v[28:29], v[32:33]
	s_waitcnt vmcnt(0) lgkmcnt(0)
	v_mul_f64 v[26:27], v[22:23], v[16:17]
	v_mul_f64 v[16:17], v[24:25], v[16:17]
	v_fma_f64 v[4:5], v[4:5], v[10:11], v[36:37]
	v_fma_f64 v[1:2], v[2:3], v[10:11], -v[12:13]
	v_add_f64 v[6:7], v[8:9], v[6:7]
	v_add_f64 v[8:9], v[18:19], v[20:21]
	v_fma_f64 v[10:11], v[24:25], v[14:15], v[26:27]
	v_fma_f64 v[12:13], v[22:23], v[14:15], -v[16:17]
	s_delay_alu instid0(VALU_DEP_4) | instskip(NEXT) | instid1(VALU_DEP_4)
	v_add_f64 v[1:2], v[6:7], v[1:2]
	v_add_f64 v[3:4], v[8:9], v[4:5]
	s_delay_alu instid0(VALU_DEP_2) | instskip(NEXT) | instid1(VALU_DEP_2)
	v_add_f64 v[1:2], v[1:2], v[12:13]
	v_add_f64 v[3:4], v[3:4], v[10:11]
	s_delay_alu instid0(VALU_DEP_2) | instskip(NEXT) | instid1(VALU_DEP_2)
	v_add_f64 v[1:2], v[182:183], -v[1:2]
	v_add_f64 v[3:4], v[184:185], -v[3:4]
	scratch_store_b128 off, v[1:4], off offset:480
	v_cmpx_lt_u32_e32 29, v136
	s_cbranch_execz .LBB44_225
; %bb.224:
	scratch_load_b128 v[1:4], v144, off
	v_mov_b32_e32 v5, 0
	s_delay_alu instid0(VALU_DEP_1)
	v_mov_b32_e32 v6, v5
	v_mov_b32_e32 v7, v5
	;; [unrolled: 1-line block ×3, first 2 shown]
	scratch_store_b128 off, v[5:8], off offset:464
	s_waitcnt vmcnt(0)
	ds_store_b128 v181, v[1:4]
.LBB44_225:
	s_or_b32 exec_lo, exec_lo, s2
	s_waitcnt lgkmcnt(0)
	s_waitcnt_vscnt null, 0x0
	s_barrier
	buffer_gl0_inv
	s_clause 0x7
	scratch_load_b128 v[2:5], off, off offset:480
	scratch_load_b128 v[6:9], off, off offset:496
	;; [unrolled: 1-line block ×8, first 2 shown]
	v_mov_b32_e32 v1, 0
	s_mov_b32 s2, exec_lo
	ds_load_b128 v[34:37], v1 offset:1200
	s_clause 0x1
	scratch_load_b128 v[38:41], off, off offset:608
	scratch_load_b128 v[42:45], off, off offset:464
	ds_load_b128 v[182:185], v1 offset:1216
	scratch_load_b128 v[186:189], off, off offset:624
	s_waitcnt vmcnt(10) lgkmcnt(1)
	v_mul_f64 v[190:191], v[36:37], v[4:5]
	v_mul_f64 v[4:5], v[34:35], v[4:5]
	s_delay_alu instid0(VALU_DEP_2) | instskip(NEXT) | instid1(VALU_DEP_2)
	v_fma_f64 v[196:197], v[34:35], v[2:3], -v[190:191]
	v_fma_f64 v[198:199], v[36:37], v[2:3], v[4:5]
	scratch_load_b128 v[34:37], off, off offset:640
	ds_load_b128 v[2:5], v1 offset:1232
	s_waitcnt vmcnt(10) lgkmcnt(1)
	v_mul_f64 v[194:195], v[182:183], v[8:9]
	v_mul_f64 v[8:9], v[184:185], v[8:9]
	ds_load_b128 v[190:193], v1 offset:1248
	s_waitcnt vmcnt(9) lgkmcnt(1)
	v_mul_f64 v[200:201], v[2:3], v[12:13]
	v_mul_f64 v[12:13], v[4:5], v[12:13]
	v_fma_f64 v[184:185], v[184:185], v[6:7], v[194:195]
	v_fma_f64 v[182:183], v[182:183], v[6:7], -v[8:9]
	v_add_f64 v[194:195], v[196:197], 0
	v_add_f64 v[196:197], v[198:199], 0
	scratch_load_b128 v[6:9], off, off offset:656
	v_fma_f64 v[200:201], v[4:5], v[10:11], v[200:201]
	v_fma_f64 v[202:203], v[2:3], v[10:11], -v[12:13]
	scratch_load_b128 v[10:13], off, off offset:672
	ds_load_b128 v[2:5], v1 offset:1264
	s_waitcnt vmcnt(10) lgkmcnt(1)
	v_mul_f64 v[198:199], v[190:191], v[16:17]
	v_mul_f64 v[16:17], v[192:193], v[16:17]
	v_add_f64 v[194:195], v[194:195], v[182:183]
	v_add_f64 v[196:197], v[196:197], v[184:185]
	s_waitcnt vmcnt(9) lgkmcnt(0)
	v_mul_f64 v[204:205], v[2:3], v[20:21]
	v_mul_f64 v[20:21], v[4:5], v[20:21]
	ds_load_b128 v[182:185], v1 offset:1280
	v_fma_f64 v[192:193], v[192:193], v[14:15], v[198:199]
	v_fma_f64 v[190:191], v[190:191], v[14:15], -v[16:17]
	scratch_load_b128 v[14:17], off, off offset:688
	v_add_f64 v[194:195], v[194:195], v[202:203]
	v_add_f64 v[196:197], v[196:197], v[200:201]
	v_fma_f64 v[200:201], v[4:5], v[18:19], v[204:205]
	v_fma_f64 v[202:203], v[2:3], v[18:19], -v[20:21]
	scratch_load_b128 v[18:21], off, off offset:704
	ds_load_b128 v[2:5], v1 offset:1296
	s_waitcnt vmcnt(10) lgkmcnt(1)
	v_mul_f64 v[198:199], v[182:183], v[24:25]
	v_mul_f64 v[24:25], v[184:185], v[24:25]
	s_waitcnt vmcnt(9) lgkmcnt(0)
	v_mul_f64 v[204:205], v[2:3], v[28:29]
	v_mul_f64 v[28:29], v[4:5], v[28:29]
	v_add_f64 v[194:195], v[194:195], v[190:191]
	v_add_f64 v[196:197], v[196:197], v[192:193]
	ds_load_b128 v[190:193], v1 offset:1312
	v_fma_f64 v[184:185], v[184:185], v[22:23], v[198:199]
	v_fma_f64 v[22:23], v[182:183], v[22:23], -v[24:25]
	v_add_f64 v[24:25], v[194:195], v[202:203]
	v_add_f64 v[182:183], v[196:197], v[200:201]
	s_waitcnt vmcnt(8) lgkmcnt(0)
	v_mul_f64 v[194:195], v[190:191], v[32:33]
	v_mul_f64 v[32:33], v[192:193], v[32:33]
	v_fma_f64 v[196:197], v[4:5], v[26:27], v[204:205]
	v_fma_f64 v[26:27], v[2:3], v[26:27], -v[28:29]
	v_add_f64 v[28:29], v[24:25], v[22:23]
	v_add_f64 v[182:183], v[182:183], v[184:185]
	ds_load_b128 v[2:5], v1 offset:1328
	ds_load_b128 v[22:25], v1 offset:1344
	v_fma_f64 v[192:193], v[192:193], v[30:31], v[194:195]
	v_fma_f64 v[30:31], v[190:191], v[30:31], -v[32:33]
	s_waitcnt vmcnt(7) lgkmcnt(1)
	v_mul_f64 v[184:185], v[2:3], v[40:41]
	v_mul_f64 v[40:41], v[4:5], v[40:41]
	s_waitcnt vmcnt(5) lgkmcnt(0)
	v_mul_f64 v[32:33], v[22:23], v[188:189]
	v_add_f64 v[26:27], v[28:29], v[26:27]
	v_add_f64 v[28:29], v[182:183], v[196:197]
	v_mul_f64 v[182:183], v[24:25], v[188:189]
	v_fma_f64 v[184:185], v[4:5], v[38:39], v[184:185]
	v_fma_f64 v[38:39], v[2:3], v[38:39], -v[40:41]
	v_fma_f64 v[24:25], v[24:25], v[186:187], v[32:33]
	v_add_f64 v[30:31], v[26:27], v[30:31]
	v_add_f64 v[40:41], v[28:29], v[192:193]
	ds_load_b128 v[2:5], v1 offset:1360
	ds_load_b128 v[26:29], v1 offset:1376
	v_fma_f64 v[22:23], v[22:23], v[186:187], -v[182:183]
	s_waitcnt vmcnt(4) lgkmcnt(1)
	v_mul_f64 v[188:189], v[2:3], v[36:37]
	v_mul_f64 v[36:37], v[4:5], v[36:37]
	v_add_f64 v[30:31], v[30:31], v[38:39]
	v_add_f64 v[32:33], v[40:41], v[184:185]
	s_waitcnt vmcnt(3) lgkmcnt(0)
	v_mul_f64 v[38:39], v[26:27], v[8:9]
	v_mul_f64 v[8:9], v[28:29], v[8:9]
	v_fma_f64 v[40:41], v[4:5], v[34:35], v[188:189]
	v_fma_f64 v[34:35], v[2:3], v[34:35], -v[36:37]
	v_add_f64 v[30:31], v[30:31], v[22:23]
	v_add_f64 v[32:33], v[32:33], v[24:25]
	ds_load_b128 v[2:5], v1 offset:1392
	ds_load_b128 v[22:25], v1 offset:1408
	v_fma_f64 v[28:29], v[28:29], v[6:7], v[38:39]
	v_fma_f64 v[6:7], v[26:27], v[6:7], -v[8:9]
	s_waitcnt vmcnt(2) lgkmcnt(1)
	v_mul_f64 v[36:37], v[2:3], v[12:13]
	v_mul_f64 v[12:13], v[4:5], v[12:13]
	v_add_f64 v[8:9], v[30:31], v[34:35]
	v_add_f64 v[26:27], v[32:33], v[40:41]
	s_waitcnt vmcnt(1) lgkmcnt(0)
	v_mul_f64 v[30:31], v[22:23], v[16:17]
	v_mul_f64 v[16:17], v[24:25], v[16:17]
	v_fma_f64 v[32:33], v[4:5], v[10:11], v[36:37]
	v_fma_f64 v[10:11], v[2:3], v[10:11], -v[12:13]
	ds_load_b128 v[2:5], v1 offset:1424
	v_add_f64 v[6:7], v[8:9], v[6:7]
	v_add_f64 v[8:9], v[26:27], v[28:29]
	v_fma_f64 v[24:25], v[24:25], v[14:15], v[30:31]
	v_fma_f64 v[14:15], v[22:23], v[14:15], -v[16:17]
	s_waitcnt vmcnt(0) lgkmcnt(0)
	v_mul_f64 v[12:13], v[2:3], v[20:21]
	v_mul_f64 v[20:21], v[4:5], v[20:21]
	v_add_f64 v[6:7], v[6:7], v[10:11]
	v_add_f64 v[8:9], v[8:9], v[32:33]
	s_delay_alu instid0(VALU_DEP_4) | instskip(NEXT) | instid1(VALU_DEP_4)
	v_fma_f64 v[4:5], v[4:5], v[18:19], v[12:13]
	v_fma_f64 v[2:3], v[2:3], v[18:19], -v[20:21]
	s_delay_alu instid0(VALU_DEP_4) | instskip(NEXT) | instid1(VALU_DEP_4)
	v_add_f64 v[6:7], v[6:7], v[14:15]
	v_add_f64 v[8:9], v[8:9], v[24:25]
	s_delay_alu instid0(VALU_DEP_2) | instskip(NEXT) | instid1(VALU_DEP_2)
	v_add_f64 v[2:3], v[6:7], v[2:3]
	v_add_f64 v[4:5], v[8:9], v[4:5]
	s_delay_alu instid0(VALU_DEP_2) | instskip(NEXT) | instid1(VALU_DEP_2)
	v_add_f64 v[2:3], v[42:43], -v[2:3]
	v_add_f64 v[4:5], v[44:45], -v[4:5]
	scratch_store_b128 off, v[2:5], off offset:464
	v_cmpx_lt_u32_e32 28, v136
	s_cbranch_execz .LBB44_227
; %bb.226:
	scratch_load_b128 v[5:8], v146, off
	v_mov_b32_e32 v2, v1
	v_mov_b32_e32 v3, v1
	;; [unrolled: 1-line block ×3, first 2 shown]
	scratch_store_b128 off, v[1:4], off offset:448
	s_waitcnt vmcnt(0)
	ds_store_b128 v181, v[5:8]
.LBB44_227:
	s_or_b32 exec_lo, exec_lo, s2
	s_waitcnt lgkmcnt(0)
	s_waitcnt_vscnt null, 0x0
	s_barrier
	buffer_gl0_inv
	s_clause 0x8
	scratch_load_b128 v[2:5], off, off offset:464
	scratch_load_b128 v[6:9], off, off offset:480
	;; [unrolled: 1-line block ×9, first 2 shown]
	ds_load_b128 v[38:41], v1 offset:1184
	ds_load_b128 v[42:45], v1 offset:1200
	s_clause 0x1
	scratch_load_b128 v[182:185], off, off offset:448
	scratch_load_b128 v[186:189], off, off offset:608
	s_mov_b32 s2, exec_lo
	s_waitcnt vmcnt(10) lgkmcnt(1)
	v_mul_f64 v[190:191], v[40:41], v[4:5]
	v_mul_f64 v[4:5], v[38:39], v[4:5]
	s_waitcnt vmcnt(9) lgkmcnt(0)
	v_mul_f64 v[194:195], v[42:43], v[8:9]
	v_mul_f64 v[8:9], v[44:45], v[8:9]
	s_delay_alu instid0(VALU_DEP_4) | instskip(NEXT) | instid1(VALU_DEP_4)
	v_fma_f64 v[196:197], v[38:39], v[2:3], -v[190:191]
	v_fma_f64 v[198:199], v[40:41], v[2:3], v[4:5]
	ds_load_b128 v[2:5], v1 offset:1216
	ds_load_b128 v[190:193], v1 offset:1232
	scratch_load_b128 v[38:41], off, off offset:624
	v_fma_f64 v[44:45], v[44:45], v[6:7], v[194:195]
	v_fma_f64 v[42:43], v[42:43], v[6:7], -v[8:9]
	scratch_load_b128 v[6:9], off, off offset:640
	s_waitcnt vmcnt(10) lgkmcnt(1)
	v_mul_f64 v[200:201], v[2:3], v[12:13]
	v_mul_f64 v[12:13], v[4:5], v[12:13]
	v_add_f64 v[194:195], v[196:197], 0
	v_add_f64 v[196:197], v[198:199], 0
	s_waitcnt vmcnt(9) lgkmcnt(0)
	v_mul_f64 v[198:199], v[190:191], v[16:17]
	v_mul_f64 v[16:17], v[192:193], v[16:17]
	v_fma_f64 v[200:201], v[4:5], v[10:11], v[200:201]
	v_fma_f64 v[202:203], v[2:3], v[10:11], -v[12:13]
	ds_load_b128 v[2:5], v1 offset:1248
	scratch_load_b128 v[10:13], off, off offset:656
	v_add_f64 v[194:195], v[194:195], v[42:43]
	v_add_f64 v[196:197], v[196:197], v[44:45]
	ds_load_b128 v[42:45], v1 offset:1264
	v_fma_f64 v[192:193], v[192:193], v[14:15], v[198:199]
	v_fma_f64 v[190:191], v[190:191], v[14:15], -v[16:17]
	scratch_load_b128 v[14:17], off, off offset:672
	s_waitcnt vmcnt(10) lgkmcnt(1)
	v_mul_f64 v[204:205], v[2:3], v[20:21]
	v_mul_f64 v[20:21], v[4:5], v[20:21]
	s_waitcnt vmcnt(9) lgkmcnt(0)
	v_mul_f64 v[198:199], v[42:43], v[24:25]
	v_mul_f64 v[24:25], v[44:45], v[24:25]
	v_add_f64 v[194:195], v[194:195], v[202:203]
	v_add_f64 v[196:197], v[196:197], v[200:201]
	v_fma_f64 v[200:201], v[4:5], v[18:19], v[204:205]
	v_fma_f64 v[202:203], v[2:3], v[18:19], -v[20:21]
	ds_load_b128 v[2:5], v1 offset:1280
	scratch_load_b128 v[18:21], off, off offset:688
	v_fma_f64 v[44:45], v[44:45], v[22:23], v[198:199]
	v_fma_f64 v[42:43], v[42:43], v[22:23], -v[24:25]
	scratch_load_b128 v[22:25], off, off offset:704
	v_add_f64 v[194:195], v[194:195], v[190:191]
	v_add_f64 v[196:197], v[196:197], v[192:193]
	ds_load_b128 v[190:193], v1 offset:1296
	s_waitcnt vmcnt(10) lgkmcnt(1)
	v_mul_f64 v[204:205], v[2:3], v[28:29]
	v_mul_f64 v[28:29], v[4:5], v[28:29]
	s_waitcnt vmcnt(9) lgkmcnt(0)
	v_mul_f64 v[198:199], v[190:191], v[32:33]
	v_mul_f64 v[32:33], v[192:193], v[32:33]
	v_add_f64 v[194:195], v[194:195], v[202:203]
	v_add_f64 v[196:197], v[196:197], v[200:201]
	v_fma_f64 v[200:201], v[4:5], v[26:27], v[204:205]
	v_fma_f64 v[202:203], v[2:3], v[26:27], -v[28:29]
	ds_load_b128 v[2:5], v1 offset:1312
	ds_load_b128 v[26:29], v1 offset:1328
	v_fma_f64 v[192:193], v[192:193], v[30:31], v[198:199]
	v_fma_f64 v[30:31], v[190:191], v[30:31], -v[32:33]
	v_add_f64 v[42:43], v[194:195], v[42:43]
	v_add_f64 v[44:45], v[196:197], v[44:45]
	s_waitcnt vmcnt(8) lgkmcnt(1)
	v_mul_f64 v[194:195], v[2:3], v[36:37]
	v_mul_f64 v[36:37], v[4:5], v[36:37]
	s_delay_alu instid0(VALU_DEP_4) | instskip(NEXT) | instid1(VALU_DEP_4)
	v_add_f64 v[32:33], v[42:43], v[202:203]
	v_add_f64 v[42:43], v[44:45], v[200:201]
	s_waitcnt vmcnt(6) lgkmcnt(0)
	v_mul_f64 v[44:45], v[26:27], v[188:189]
	v_mul_f64 v[188:189], v[28:29], v[188:189]
	v_fma_f64 v[190:191], v[4:5], v[34:35], v[194:195]
	v_fma_f64 v[34:35], v[2:3], v[34:35], -v[36:37]
	v_add_f64 v[36:37], v[32:33], v[30:31]
	v_add_f64 v[42:43], v[42:43], v[192:193]
	ds_load_b128 v[2:5], v1 offset:1344
	ds_load_b128 v[30:33], v1 offset:1360
	v_fma_f64 v[28:29], v[28:29], v[186:187], v[44:45]
	v_fma_f64 v[26:27], v[26:27], v[186:187], -v[188:189]
	s_waitcnt vmcnt(5) lgkmcnt(1)
	v_mul_f64 v[192:193], v[2:3], v[40:41]
	v_mul_f64 v[40:41], v[4:5], v[40:41]
	v_add_f64 v[34:35], v[36:37], v[34:35]
	v_add_f64 v[36:37], v[42:43], v[190:191]
	s_waitcnt vmcnt(4) lgkmcnt(0)
	v_mul_f64 v[42:43], v[30:31], v[8:9]
	v_mul_f64 v[8:9], v[32:33], v[8:9]
	v_fma_f64 v[44:45], v[4:5], v[38:39], v[192:193]
	v_fma_f64 v[38:39], v[2:3], v[38:39], -v[40:41]
	v_add_f64 v[34:35], v[34:35], v[26:27]
	v_add_f64 v[36:37], v[36:37], v[28:29]
	ds_load_b128 v[2:5], v1 offset:1376
	ds_load_b128 v[26:29], v1 offset:1392
	v_fma_f64 v[32:33], v[32:33], v[6:7], v[42:43]
	v_fma_f64 v[6:7], v[30:31], v[6:7], -v[8:9]
	s_waitcnt vmcnt(3) lgkmcnt(1)
	v_mul_f64 v[40:41], v[2:3], v[12:13]
	v_mul_f64 v[12:13], v[4:5], v[12:13]
	;; [unrolled: 16-line block ×3, first 2 shown]
	s_waitcnt vmcnt(0) lgkmcnt(0)
	v_mul_f64 v[16:17], v[6:7], v[24:25]
	v_mul_f64 v[24:25], v[8:9], v[24:25]
	v_add_f64 v[10:11], v[12:13], v[10:11]
	v_add_f64 v[12:13], v[30:31], v[36:37]
	v_fma_f64 v[4:5], v[4:5], v[18:19], v[32:33]
	v_fma_f64 v[1:2], v[2:3], v[18:19], -v[20:21]
	v_fma_f64 v[8:9], v[8:9], v[22:23], v[16:17]
	v_fma_f64 v[6:7], v[6:7], v[22:23], -v[24:25]
	v_add_f64 v[10:11], v[10:11], v[14:15]
	v_add_f64 v[12:13], v[12:13], v[28:29]
	s_delay_alu instid0(VALU_DEP_2) | instskip(NEXT) | instid1(VALU_DEP_2)
	v_add_f64 v[1:2], v[10:11], v[1:2]
	v_add_f64 v[3:4], v[12:13], v[4:5]
	s_delay_alu instid0(VALU_DEP_2) | instskip(NEXT) | instid1(VALU_DEP_2)
	v_add_f64 v[1:2], v[1:2], v[6:7]
	v_add_f64 v[3:4], v[3:4], v[8:9]
	s_delay_alu instid0(VALU_DEP_2) | instskip(NEXT) | instid1(VALU_DEP_2)
	v_add_f64 v[1:2], v[182:183], -v[1:2]
	v_add_f64 v[3:4], v[184:185], -v[3:4]
	scratch_store_b128 off, v[1:4], off offset:448
	v_cmpx_lt_u32_e32 27, v136
	s_cbranch_execz .LBB44_229
; %bb.228:
	scratch_load_b128 v[1:4], v147, off
	v_mov_b32_e32 v5, 0
	s_delay_alu instid0(VALU_DEP_1)
	v_mov_b32_e32 v6, v5
	v_mov_b32_e32 v7, v5
	;; [unrolled: 1-line block ×3, first 2 shown]
	scratch_store_b128 off, v[5:8], off offset:432
	s_waitcnt vmcnt(0)
	ds_store_b128 v181, v[1:4]
.LBB44_229:
	s_or_b32 exec_lo, exec_lo, s2
	s_waitcnt lgkmcnt(0)
	s_waitcnt_vscnt null, 0x0
	s_barrier
	buffer_gl0_inv
	s_clause 0x7
	scratch_load_b128 v[2:5], off, off offset:448
	scratch_load_b128 v[6:9], off, off offset:464
	;; [unrolled: 1-line block ×8, first 2 shown]
	v_mov_b32_e32 v1, 0
	s_mov_b32 s2, exec_lo
	ds_load_b128 v[34:37], v1 offset:1168
	s_clause 0x1
	scratch_load_b128 v[38:41], off, off offset:576
	scratch_load_b128 v[42:45], off, off offset:432
	ds_load_b128 v[182:185], v1 offset:1184
	scratch_load_b128 v[186:189], off, off offset:592
	s_waitcnt vmcnt(10) lgkmcnt(1)
	v_mul_f64 v[190:191], v[36:37], v[4:5]
	v_mul_f64 v[4:5], v[34:35], v[4:5]
	s_delay_alu instid0(VALU_DEP_2) | instskip(NEXT) | instid1(VALU_DEP_2)
	v_fma_f64 v[196:197], v[34:35], v[2:3], -v[190:191]
	v_fma_f64 v[198:199], v[36:37], v[2:3], v[4:5]
	scratch_load_b128 v[34:37], off, off offset:608
	ds_load_b128 v[2:5], v1 offset:1200
	s_waitcnt vmcnt(10) lgkmcnt(1)
	v_mul_f64 v[194:195], v[182:183], v[8:9]
	v_mul_f64 v[8:9], v[184:185], v[8:9]
	ds_load_b128 v[190:193], v1 offset:1216
	s_waitcnt vmcnt(9) lgkmcnt(1)
	v_mul_f64 v[200:201], v[2:3], v[12:13]
	v_mul_f64 v[12:13], v[4:5], v[12:13]
	v_fma_f64 v[184:185], v[184:185], v[6:7], v[194:195]
	v_fma_f64 v[182:183], v[182:183], v[6:7], -v[8:9]
	v_add_f64 v[194:195], v[196:197], 0
	v_add_f64 v[196:197], v[198:199], 0
	scratch_load_b128 v[6:9], off, off offset:624
	v_fma_f64 v[200:201], v[4:5], v[10:11], v[200:201]
	v_fma_f64 v[202:203], v[2:3], v[10:11], -v[12:13]
	scratch_load_b128 v[10:13], off, off offset:640
	ds_load_b128 v[2:5], v1 offset:1232
	s_waitcnt vmcnt(10) lgkmcnt(1)
	v_mul_f64 v[198:199], v[190:191], v[16:17]
	v_mul_f64 v[16:17], v[192:193], v[16:17]
	v_add_f64 v[194:195], v[194:195], v[182:183]
	v_add_f64 v[196:197], v[196:197], v[184:185]
	s_waitcnt vmcnt(9) lgkmcnt(0)
	v_mul_f64 v[204:205], v[2:3], v[20:21]
	v_mul_f64 v[20:21], v[4:5], v[20:21]
	ds_load_b128 v[182:185], v1 offset:1248
	v_fma_f64 v[192:193], v[192:193], v[14:15], v[198:199]
	v_fma_f64 v[190:191], v[190:191], v[14:15], -v[16:17]
	scratch_load_b128 v[14:17], off, off offset:656
	v_add_f64 v[194:195], v[194:195], v[202:203]
	v_add_f64 v[196:197], v[196:197], v[200:201]
	v_fma_f64 v[200:201], v[4:5], v[18:19], v[204:205]
	v_fma_f64 v[202:203], v[2:3], v[18:19], -v[20:21]
	scratch_load_b128 v[18:21], off, off offset:672
	ds_load_b128 v[2:5], v1 offset:1264
	s_waitcnt vmcnt(10) lgkmcnt(1)
	v_mul_f64 v[198:199], v[182:183], v[24:25]
	v_mul_f64 v[24:25], v[184:185], v[24:25]
	s_waitcnt vmcnt(9) lgkmcnt(0)
	v_mul_f64 v[204:205], v[2:3], v[28:29]
	v_mul_f64 v[28:29], v[4:5], v[28:29]
	v_add_f64 v[194:195], v[194:195], v[190:191]
	v_add_f64 v[196:197], v[196:197], v[192:193]
	ds_load_b128 v[190:193], v1 offset:1280
	v_fma_f64 v[184:185], v[184:185], v[22:23], v[198:199]
	v_fma_f64 v[182:183], v[182:183], v[22:23], -v[24:25]
	scratch_load_b128 v[22:25], off, off offset:688
	v_add_f64 v[194:195], v[194:195], v[202:203]
	v_add_f64 v[196:197], v[196:197], v[200:201]
	v_fma_f64 v[200:201], v[4:5], v[26:27], v[204:205]
	v_fma_f64 v[202:203], v[2:3], v[26:27], -v[28:29]
	scratch_load_b128 v[26:29], off, off offset:704
	ds_load_b128 v[2:5], v1 offset:1296
	s_waitcnt vmcnt(10) lgkmcnt(1)
	v_mul_f64 v[198:199], v[190:191], v[32:33]
	v_mul_f64 v[32:33], v[192:193], v[32:33]
	s_waitcnt vmcnt(9) lgkmcnt(0)
	v_mul_f64 v[204:205], v[2:3], v[40:41]
	v_mul_f64 v[40:41], v[4:5], v[40:41]
	v_add_f64 v[194:195], v[194:195], v[182:183]
	v_add_f64 v[196:197], v[196:197], v[184:185]
	ds_load_b128 v[182:185], v1 offset:1312
	v_fma_f64 v[192:193], v[192:193], v[30:31], v[198:199]
	v_fma_f64 v[30:31], v[190:191], v[30:31], -v[32:33]
	v_add_f64 v[32:33], v[194:195], v[202:203]
	v_add_f64 v[190:191], v[196:197], v[200:201]
	s_waitcnt vmcnt(7) lgkmcnt(0)
	v_mul_f64 v[194:195], v[182:183], v[188:189]
	v_mul_f64 v[188:189], v[184:185], v[188:189]
	v_fma_f64 v[196:197], v[4:5], v[38:39], v[204:205]
	v_fma_f64 v[38:39], v[2:3], v[38:39], -v[40:41]
	v_add_f64 v[40:41], v[32:33], v[30:31]
	v_add_f64 v[190:191], v[190:191], v[192:193]
	ds_load_b128 v[2:5], v1 offset:1328
	ds_load_b128 v[30:33], v1 offset:1344
	v_fma_f64 v[184:185], v[184:185], v[186:187], v[194:195]
	v_fma_f64 v[182:183], v[182:183], v[186:187], -v[188:189]
	s_waitcnt vmcnt(6) lgkmcnt(1)
	v_mul_f64 v[192:193], v[2:3], v[36:37]
	v_mul_f64 v[36:37], v[4:5], v[36:37]
	v_add_f64 v[38:39], v[40:41], v[38:39]
	v_add_f64 v[40:41], v[190:191], v[196:197]
	s_waitcnt vmcnt(5) lgkmcnt(0)
	v_mul_f64 v[186:187], v[30:31], v[8:9]
	v_mul_f64 v[8:9], v[32:33], v[8:9]
	v_fma_f64 v[188:189], v[4:5], v[34:35], v[192:193]
	v_fma_f64 v[190:191], v[2:3], v[34:35], -v[36:37]
	ds_load_b128 v[2:5], v1 offset:1360
	ds_load_b128 v[34:37], v1 offset:1376
	v_add_f64 v[38:39], v[38:39], v[182:183]
	v_add_f64 v[40:41], v[40:41], v[184:185]
	s_waitcnt vmcnt(4) lgkmcnt(1)
	v_mul_f64 v[182:183], v[2:3], v[12:13]
	v_mul_f64 v[12:13], v[4:5], v[12:13]
	v_fma_f64 v[32:33], v[32:33], v[6:7], v[186:187]
	v_fma_f64 v[6:7], v[30:31], v[6:7], -v[8:9]
	v_add_f64 v[8:9], v[38:39], v[190:191]
	v_add_f64 v[30:31], v[40:41], v[188:189]
	s_waitcnt vmcnt(3) lgkmcnt(0)
	v_mul_f64 v[38:39], v[34:35], v[16:17]
	v_mul_f64 v[16:17], v[36:37], v[16:17]
	v_fma_f64 v[40:41], v[4:5], v[10:11], v[182:183]
	v_fma_f64 v[10:11], v[2:3], v[10:11], -v[12:13]
	v_add_f64 v[12:13], v[8:9], v[6:7]
	v_add_f64 v[30:31], v[30:31], v[32:33]
	ds_load_b128 v[2:5], v1 offset:1392
	ds_load_b128 v[6:9], v1 offset:1408
	v_fma_f64 v[36:37], v[36:37], v[14:15], v[38:39]
	v_fma_f64 v[14:15], v[34:35], v[14:15], -v[16:17]
	s_waitcnt vmcnt(2) lgkmcnt(1)
	v_mul_f64 v[32:33], v[2:3], v[20:21]
	v_mul_f64 v[20:21], v[4:5], v[20:21]
	s_waitcnt vmcnt(1) lgkmcnt(0)
	v_mul_f64 v[16:17], v[6:7], v[24:25]
	v_mul_f64 v[24:25], v[8:9], v[24:25]
	v_add_f64 v[10:11], v[12:13], v[10:11]
	v_add_f64 v[12:13], v[30:31], v[40:41]
	v_fma_f64 v[30:31], v[4:5], v[18:19], v[32:33]
	v_fma_f64 v[18:19], v[2:3], v[18:19], -v[20:21]
	ds_load_b128 v[2:5], v1 offset:1424
	v_fma_f64 v[8:9], v[8:9], v[22:23], v[16:17]
	v_fma_f64 v[6:7], v[6:7], v[22:23], -v[24:25]
	v_add_f64 v[10:11], v[10:11], v[14:15]
	v_add_f64 v[12:13], v[12:13], v[36:37]
	s_waitcnt vmcnt(0) lgkmcnt(0)
	v_mul_f64 v[14:15], v[2:3], v[28:29]
	v_mul_f64 v[20:21], v[4:5], v[28:29]
	s_delay_alu instid0(VALU_DEP_4) | instskip(NEXT) | instid1(VALU_DEP_4)
	v_add_f64 v[10:11], v[10:11], v[18:19]
	v_add_f64 v[12:13], v[12:13], v[30:31]
	s_delay_alu instid0(VALU_DEP_4) | instskip(NEXT) | instid1(VALU_DEP_4)
	v_fma_f64 v[4:5], v[4:5], v[26:27], v[14:15]
	v_fma_f64 v[2:3], v[2:3], v[26:27], -v[20:21]
	s_delay_alu instid0(VALU_DEP_4) | instskip(NEXT) | instid1(VALU_DEP_4)
	v_add_f64 v[6:7], v[10:11], v[6:7]
	v_add_f64 v[8:9], v[12:13], v[8:9]
	s_delay_alu instid0(VALU_DEP_2) | instskip(NEXT) | instid1(VALU_DEP_2)
	v_add_f64 v[2:3], v[6:7], v[2:3]
	v_add_f64 v[4:5], v[8:9], v[4:5]
	s_delay_alu instid0(VALU_DEP_2) | instskip(NEXT) | instid1(VALU_DEP_2)
	v_add_f64 v[2:3], v[42:43], -v[2:3]
	v_add_f64 v[4:5], v[44:45], -v[4:5]
	scratch_store_b128 off, v[2:5], off offset:432
	v_cmpx_lt_u32_e32 26, v136
	s_cbranch_execz .LBB44_231
; %bb.230:
	scratch_load_b128 v[5:8], v150, off
	v_mov_b32_e32 v2, v1
	v_mov_b32_e32 v3, v1
	;; [unrolled: 1-line block ×3, first 2 shown]
	scratch_store_b128 off, v[1:4], off offset:416
	s_waitcnt vmcnt(0)
	ds_store_b128 v181, v[5:8]
.LBB44_231:
	s_or_b32 exec_lo, exec_lo, s2
	s_waitcnt lgkmcnt(0)
	s_waitcnt_vscnt null, 0x0
	s_barrier
	buffer_gl0_inv
	s_clause 0x8
	scratch_load_b128 v[2:5], off, off offset:432
	scratch_load_b128 v[6:9], off, off offset:448
	;; [unrolled: 1-line block ×9, first 2 shown]
	ds_load_b128 v[38:41], v1 offset:1152
	ds_load_b128 v[42:45], v1 offset:1168
	s_clause 0x1
	scratch_load_b128 v[182:185], off, off offset:416
	scratch_load_b128 v[186:189], off, off offset:576
	s_mov_b32 s2, exec_lo
	s_waitcnt vmcnt(10) lgkmcnt(1)
	v_mul_f64 v[190:191], v[40:41], v[4:5]
	v_mul_f64 v[4:5], v[38:39], v[4:5]
	s_waitcnt vmcnt(9) lgkmcnt(0)
	v_mul_f64 v[194:195], v[42:43], v[8:9]
	v_mul_f64 v[8:9], v[44:45], v[8:9]
	s_delay_alu instid0(VALU_DEP_4) | instskip(NEXT) | instid1(VALU_DEP_4)
	v_fma_f64 v[196:197], v[38:39], v[2:3], -v[190:191]
	v_fma_f64 v[198:199], v[40:41], v[2:3], v[4:5]
	ds_load_b128 v[2:5], v1 offset:1184
	ds_load_b128 v[190:193], v1 offset:1200
	scratch_load_b128 v[38:41], off, off offset:592
	v_fma_f64 v[44:45], v[44:45], v[6:7], v[194:195]
	v_fma_f64 v[42:43], v[42:43], v[6:7], -v[8:9]
	scratch_load_b128 v[6:9], off, off offset:608
	s_waitcnt vmcnt(10) lgkmcnt(1)
	v_mul_f64 v[200:201], v[2:3], v[12:13]
	v_mul_f64 v[12:13], v[4:5], v[12:13]
	v_add_f64 v[194:195], v[196:197], 0
	v_add_f64 v[196:197], v[198:199], 0
	s_waitcnt vmcnt(9) lgkmcnt(0)
	v_mul_f64 v[198:199], v[190:191], v[16:17]
	v_mul_f64 v[16:17], v[192:193], v[16:17]
	v_fma_f64 v[200:201], v[4:5], v[10:11], v[200:201]
	v_fma_f64 v[202:203], v[2:3], v[10:11], -v[12:13]
	ds_load_b128 v[2:5], v1 offset:1216
	scratch_load_b128 v[10:13], off, off offset:624
	v_add_f64 v[194:195], v[194:195], v[42:43]
	v_add_f64 v[196:197], v[196:197], v[44:45]
	ds_load_b128 v[42:45], v1 offset:1232
	v_fma_f64 v[192:193], v[192:193], v[14:15], v[198:199]
	v_fma_f64 v[190:191], v[190:191], v[14:15], -v[16:17]
	scratch_load_b128 v[14:17], off, off offset:640
	s_waitcnt vmcnt(10) lgkmcnt(1)
	v_mul_f64 v[204:205], v[2:3], v[20:21]
	v_mul_f64 v[20:21], v[4:5], v[20:21]
	s_waitcnt vmcnt(9) lgkmcnt(0)
	v_mul_f64 v[198:199], v[42:43], v[24:25]
	v_mul_f64 v[24:25], v[44:45], v[24:25]
	v_add_f64 v[194:195], v[194:195], v[202:203]
	v_add_f64 v[196:197], v[196:197], v[200:201]
	v_fma_f64 v[200:201], v[4:5], v[18:19], v[204:205]
	v_fma_f64 v[202:203], v[2:3], v[18:19], -v[20:21]
	ds_load_b128 v[2:5], v1 offset:1248
	scratch_load_b128 v[18:21], off, off offset:656
	v_fma_f64 v[44:45], v[44:45], v[22:23], v[198:199]
	v_fma_f64 v[42:43], v[42:43], v[22:23], -v[24:25]
	scratch_load_b128 v[22:25], off, off offset:672
	v_add_f64 v[194:195], v[194:195], v[190:191]
	v_add_f64 v[196:197], v[196:197], v[192:193]
	ds_load_b128 v[190:193], v1 offset:1264
	s_waitcnt vmcnt(10) lgkmcnt(1)
	v_mul_f64 v[204:205], v[2:3], v[28:29]
	v_mul_f64 v[28:29], v[4:5], v[28:29]
	s_waitcnt vmcnt(9) lgkmcnt(0)
	v_mul_f64 v[198:199], v[190:191], v[32:33]
	v_mul_f64 v[32:33], v[192:193], v[32:33]
	v_add_f64 v[194:195], v[194:195], v[202:203]
	v_add_f64 v[196:197], v[196:197], v[200:201]
	v_fma_f64 v[200:201], v[4:5], v[26:27], v[204:205]
	v_fma_f64 v[202:203], v[2:3], v[26:27], -v[28:29]
	ds_load_b128 v[2:5], v1 offset:1280
	scratch_load_b128 v[26:29], off, off offset:688
	v_fma_f64 v[192:193], v[192:193], v[30:31], v[198:199]
	v_fma_f64 v[190:191], v[190:191], v[30:31], -v[32:33]
	scratch_load_b128 v[30:33], off, off offset:704
	v_add_f64 v[194:195], v[194:195], v[42:43]
	v_add_f64 v[196:197], v[196:197], v[44:45]
	ds_load_b128 v[42:45], v1 offset:1296
	s_waitcnt vmcnt(10) lgkmcnt(1)
	v_mul_f64 v[204:205], v[2:3], v[36:37]
	v_mul_f64 v[36:37], v[4:5], v[36:37]
	s_waitcnt vmcnt(8) lgkmcnt(0)
	v_mul_f64 v[198:199], v[42:43], v[188:189]
	v_mul_f64 v[188:189], v[44:45], v[188:189]
	v_add_f64 v[194:195], v[194:195], v[202:203]
	v_add_f64 v[196:197], v[196:197], v[200:201]
	v_fma_f64 v[200:201], v[4:5], v[34:35], v[204:205]
	v_fma_f64 v[202:203], v[2:3], v[34:35], -v[36:37]
	ds_load_b128 v[2:5], v1 offset:1312
	ds_load_b128 v[34:37], v1 offset:1328
	v_fma_f64 v[44:45], v[44:45], v[186:187], v[198:199]
	v_fma_f64 v[42:43], v[42:43], v[186:187], -v[188:189]
	v_add_f64 v[190:191], v[194:195], v[190:191]
	v_add_f64 v[192:193], v[196:197], v[192:193]
	s_waitcnt vmcnt(7) lgkmcnt(1)
	v_mul_f64 v[194:195], v[2:3], v[40:41]
	v_mul_f64 v[40:41], v[4:5], v[40:41]
	s_delay_alu instid0(VALU_DEP_4) | instskip(NEXT) | instid1(VALU_DEP_4)
	v_add_f64 v[186:187], v[190:191], v[202:203]
	v_add_f64 v[188:189], v[192:193], v[200:201]
	s_waitcnt vmcnt(6) lgkmcnt(0)
	v_mul_f64 v[190:191], v[34:35], v[8:9]
	v_mul_f64 v[8:9], v[36:37], v[8:9]
	v_fma_f64 v[192:193], v[4:5], v[38:39], v[194:195]
	v_fma_f64 v[194:195], v[2:3], v[38:39], -v[40:41]
	ds_load_b128 v[2:5], v1 offset:1344
	ds_load_b128 v[38:41], v1 offset:1360
	v_add_f64 v[42:43], v[186:187], v[42:43]
	v_add_f64 v[44:45], v[188:189], v[44:45]
	v_fma_f64 v[36:37], v[36:37], v[6:7], v[190:191]
	s_waitcnt vmcnt(5) lgkmcnt(1)
	v_mul_f64 v[186:187], v[2:3], v[12:13]
	v_mul_f64 v[12:13], v[4:5], v[12:13]
	v_fma_f64 v[6:7], v[34:35], v[6:7], -v[8:9]
	v_add_f64 v[8:9], v[42:43], v[194:195]
	v_add_f64 v[34:35], v[44:45], v[192:193]
	s_waitcnt vmcnt(4) lgkmcnt(0)
	v_mul_f64 v[42:43], v[38:39], v[16:17]
	v_mul_f64 v[16:17], v[40:41], v[16:17]
	v_fma_f64 v[44:45], v[4:5], v[10:11], v[186:187]
	v_fma_f64 v[10:11], v[2:3], v[10:11], -v[12:13]
	v_add_f64 v[12:13], v[8:9], v[6:7]
	v_add_f64 v[34:35], v[34:35], v[36:37]
	ds_load_b128 v[2:5], v1 offset:1376
	ds_load_b128 v[6:9], v1 offset:1392
	v_fma_f64 v[40:41], v[40:41], v[14:15], v[42:43]
	v_fma_f64 v[14:15], v[38:39], v[14:15], -v[16:17]
	s_waitcnt vmcnt(3) lgkmcnt(1)
	v_mul_f64 v[36:37], v[2:3], v[20:21]
	v_mul_f64 v[20:21], v[4:5], v[20:21]
	s_waitcnt vmcnt(2) lgkmcnt(0)
	v_mul_f64 v[16:17], v[6:7], v[24:25]
	v_mul_f64 v[24:25], v[8:9], v[24:25]
	v_add_f64 v[10:11], v[12:13], v[10:11]
	v_add_f64 v[12:13], v[34:35], v[44:45]
	v_fma_f64 v[34:35], v[4:5], v[18:19], v[36:37]
	v_fma_f64 v[18:19], v[2:3], v[18:19], -v[20:21]
	v_fma_f64 v[8:9], v[8:9], v[22:23], v[16:17]
	v_fma_f64 v[6:7], v[6:7], v[22:23], -v[24:25]
	v_add_f64 v[14:15], v[10:11], v[14:15]
	v_add_f64 v[20:21], v[12:13], v[40:41]
	ds_load_b128 v[2:5], v1 offset:1408
	ds_load_b128 v[10:13], v1 offset:1424
	s_waitcnt vmcnt(1) lgkmcnt(1)
	v_mul_f64 v[36:37], v[2:3], v[28:29]
	v_mul_f64 v[28:29], v[4:5], v[28:29]
	v_add_f64 v[14:15], v[14:15], v[18:19]
	v_add_f64 v[16:17], v[20:21], v[34:35]
	s_waitcnt vmcnt(0) lgkmcnt(0)
	v_mul_f64 v[18:19], v[10:11], v[32:33]
	v_mul_f64 v[20:21], v[12:13], v[32:33]
	v_fma_f64 v[4:5], v[4:5], v[26:27], v[36:37]
	v_fma_f64 v[1:2], v[2:3], v[26:27], -v[28:29]
	v_add_f64 v[6:7], v[14:15], v[6:7]
	v_add_f64 v[8:9], v[16:17], v[8:9]
	v_fma_f64 v[12:13], v[12:13], v[30:31], v[18:19]
	v_fma_f64 v[10:11], v[10:11], v[30:31], -v[20:21]
	s_delay_alu instid0(VALU_DEP_4) | instskip(NEXT) | instid1(VALU_DEP_4)
	v_add_f64 v[1:2], v[6:7], v[1:2]
	v_add_f64 v[3:4], v[8:9], v[4:5]
	s_delay_alu instid0(VALU_DEP_2) | instskip(NEXT) | instid1(VALU_DEP_2)
	v_add_f64 v[1:2], v[1:2], v[10:11]
	v_add_f64 v[3:4], v[3:4], v[12:13]
	s_delay_alu instid0(VALU_DEP_2) | instskip(NEXT) | instid1(VALU_DEP_2)
	v_add_f64 v[1:2], v[182:183], -v[1:2]
	v_add_f64 v[3:4], v[184:185], -v[3:4]
	scratch_store_b128 off, v[1:4], off offset:416
	v_cmpx_lt_u32_e32 25, v136
	s_cbranch_execz .LBB44_233
; %bb.232:
	scratch_load_b128 v[1:4], v151, off
	v_mov_b32_e32 v5, 0
	s_delay_alu instid0(VALU_DEP_1)
	v_mov_b32_e32 v6, v5
	v_mov_b32_e32 v7, v5
	;; [unrolled: 1-line block ×3, first 2 shown]
	scratch_store_b128 off, v[5:8], off offset:400
	s_waitcnt vmcnt(0)
	ds_store_b128 v181, v[1:4]
.LBB44_233:
	s_or_b32 exec_lo, exec_lo, s2
	s_waitcnt lgkmcnt(0)
	s_waitcnt_vscnt null, 0x0
	s_barrier
	buffer_gl0_inv
	s_clause 0x7
	scratch_load_b128 v[2:5], off, off offset:416
	scratch_load_b128 v[6:9], off, off offset:432
	;; [unrolled: 1-line block ×8, first 2 shown]
	v_mov_b32_e32 v1, 0
	s_mov_b32 s2, exec_lo
	ds_load_b128 v[34:37], v1 offset:1136
	s_clause 0x1
	scratch_load_b128 v[38:41], off, off offset:544
	scratch_load_b128 v[42:45], off, off offset:400
	ds_load_b128 v[182:185], v1 offset:1152
	scratch_load_b128 v[186:189], off, off offset:560
	s_waitcnt vmcnt(10) lgkmcnt(1)
	v_mul_f64 v[190:191], v[36:37], v[4:5]
	v_mul_f64 v[4:5], v[34:35], v[4:5]
	s_delay_alu instid0(VALU_DEP_2) | instskip(NEXT) | instid1(VALU_DEP_2)
	v_fma_f64 v[196:197], v[34:35], v[2:3], -v[190:191]
	v_fma_f64 v[198:199], v[36:37], v[2:3], v[4:5]
	scratch_load_b128 v[34:37], off, off offset:576
	ds_load_b128 v[2:5], v1 offset:1168
	s_waitcnt vmcnt(10) lgkmcnt(1)
	v_mul_f64 v[194:195], v[182:183], v[8:9]
	v_mul_f64 v[8:9], v[184:185], v[8:9]
	ds_load_b128 v[190:193], v1 offset:1184
	s_waitcnt vmcnt(9) lgkmcnt(1)
	v_mul_f64 v[200:201], v[2:3], v[12:13]
	v_mul_f64 v[12:13], v[4:5], v[12:13]
	v_fma_f64 v[184:185], v[184:185], v[6:7], v[194:195]
	v_fma_f64 v[182:183], v[182:183], v[6:7], -v[8:9]
	v_add_f64 v[194:195], v[196:197], 0
	v_add_f64 v[196:197], v[198:199], 0
	scratch_load_b128 v[6:9], off, off offset:592
	v_fma_f64 v[200:201], v[4:5], v[10:11], v[200:201]
	v_fma_f64 v[202:203], v[2:3], v[10:11], -v[12:13]
	scratch_load_b128 v[10:13], off, off offset:608
	ds_load_b128 v[2:5], v1 offset:1200
	s_waitcnt vmcnt(10) lgkmcnt(1)
	v_mul_f64 v[198:199], v[190:191], v[16:17]
	v_mul_f64 v[16:17], v[192:193], v[16:17]
	v_add_f64 v[194:195], v[194:195], v[182:183]
	v_add_f64 v[196:197], v[196:197], v[184:185]
	s_waitcnt vmcnt(9) lgkmcnt(0)
	v_mul_f64 v[204:205], v[2:3], v[20:21]
	v_mul_f64 v[20:21], v[4:5], v[20:21]
	ds_load_b128 v[182:185], v1 offset:1216
	v_fma_f64 v[192:193], v[192:193], v[14:15], v[198:199]
	v_fma_f64 v[190:191], v[190:191], v[14:15], -v[16:17]
	scratch_load_b128 v[14:17], off, off offset:624
	v_add_f64 v[194:195], v[194:195], v[202:203]
	v_add_f64 v[196:197], v[196:197], v[200:201]
	v_fma_f64 v[200:201], v[4:5], v[18:19], v[204:205]
	v_fma_f64 v[202:203], v[2:3], v[18:19], -v[20:21]
	scratch_load_b128 v[18:21], off, off offset:640
	ds_load_b128 v[2:5], v1 offset:1232
	s_waitcnt vmcnt(10) lgkmcnt(1)
	v_mul_f64 v[198:199], v[182:183], v[24:25]
	v_mul_f64 v[24:25], v[184:185], v[24:25]
	s_waitcnt vmcnt(9) lgkmcnt(0)
	v_mul_f64 v[204:205], v[2:3], v[28:29]
	v_mul_f64 v[28:29], v[4:5], v[28:29]
	v_add_f64 v[194:195], v[194:195], v[190:191]
	v_add_f64 v[196:197], v[196:197], v[192:193]
	ds_load_b128 v[190:193], v1 offset:1248
	v_fma_f64 v[184:185], v[184:185], v[22:23], v[198:199]
	v_fma_f64 v[182:183], v[182:183], v[22:23], -v[24:25]
	scratch_load_b128 v[22:25], off, off offset:656
	v_add_f64 v[194:195], v[194:195], v[202:203]
	v_add_f64 v[196:197], v[196:197], v[200:201]
	v_fma_f64 v[200:201], v[4:5], v[26:27], v[204:205]
	v_fma_f64 v[202:203], v[2:3], v[26:27], -v[28:29]
	scratch_load_b128 v[26:29], off, off offset:672
	ds_load_b128 v[2:5], v1 offset:1264
	s_waitcnt vmcnt(10) lgkmcnt(1)
	v_mul_f64 v[198:199], v[190:191], v[32:33]
	v_mul_f64 v[32:33], v[192:193], v[32:33]
	s_waitcnt vmcnt(9) lgkmcnt(0)
	v_mul_f64 v[204:205], v[2:3], v[40:41]
	v_mul_f64 v[40:41], v[4:5], v[40:41]
	v_add_f64 v[194:195], v[194:195], v[182:183]
	v_add_f64 v[196:197], v[196:197], v[184:185]
	ds_load_b128 v[182:185], v1 offset:1280
	v_fma_f64 v[192:193], v[192:193], v[30:31], v[198:199]
	v_fma_f64 v[190:191], v[190:191], v[30:31], -v[32:33]
	scratch_load_b128 v[30:33], off, off offset:688
	v_add_f64 v[194:195], v[194:195], v[202:203]
	v_add_f64 v[196:197], v[196:197], v[200:201]
	v_fma_f64 v[202:203], v[4:5], v[38:39], v[204:205]
	v_fma_f64 v[204:205], v[2:3], v[38:39], -v[40:41]
	scratch_load_b128 v[38:41], off, off offset:704
	ds_load_b128 v[2:5], v1 offset:1296
	s_waitcnt vmcnt(9) lgkmcnt(1)
	v_mul_f64 v[198:199], v[182:183], v[188:189]
	v_mul_f64 v[200:201], v[184:185], v[188:189]
	v_add_f64 v[194:195], v[194:195], v[190:191]
	v_add_f64 v[192:193], v[196:197], v[192:193]
	ds_load_b128 v[188:191], v1 offset:1312
	v_fma_f64 v[184:185], v[184:185], v[186:187], v[198:199]
	v_fma_f64 v[182:183], v[182:183], v[186:187], -v[200:201]
	s_waitcnt vmcnt(8) lgkmcnt(1)
	v_mul_f64 v[196:197], v[2:3], v[36:37]
	v_mul_f64 v[36:37], v[4:5], v[36:37]
	v_add_f64 v[186:187], v[194:195], v[204:205]
	v_add_f64 v[192:193], v[192:193], v[202:203]
	s_delay_alu instid0(VALU_DEP_4) | instskip(NEXT) | instid1(VALU_DEP_4)
	v_fma_f64 v[196:197], v[4:5], v[34:35], v[196:197]
	v_fma_f64 v[198:199], v[2:3], v[34:35], -v[36:37]
	ds_load_b128 v[2:5], v1 offset:1328
	ds_load_b128 v[34:37], v1 offset:1344
	s_waitcnt vmcnt(7) lgkmcnt(2)
	v_mul_f64 v[194:195], v[188:189], v[8:9]
	v_mul_f64 v[8:9], v[190:191], v[8:9]
	v_add_f64 v[182:183], v[186:187], v[182:183]
	v_add_f64 v[184:185], v[192:193], v[184:185]
	s_waitcnt vmcnt(6) lgkmcnt(1)
	v_mul_f64 v[186:187], v[2:3], v[12:13]
	v_mul_f64 v[12:13], v[4:5], v[12:13]
	v_fma_f64 v[190:191], v[190:191], v[6:7], v[194:195]
	v_fma_f64 v[6:7], v[188:189], v[6:7], -v[8:9]
	v_add_f64 v[8:9], v[182:183], v[198:199]
	v_add_f64 v[182:183], v[184:185], v[196:197]
	s_waitcnt vmcnt(5) lgkmcnt(0)
	v_mul_f64 v[184:185], v[34:35], v[16:17]
	v_mul_f64 v[16:17], v[36:37], v[16:17]
	v_fma_f64 v[186:187], v[4:5], v[10:11], v[186:187]
	v_fma_f64 v[10:11], v[2:3], v[10:11], -v[12:13]
	v_add_f64 v[12:13], v[8:9], v[6:7]
	v_add_f64 v[182:183], v[182:183], v[190:191]
	ds_load_b128 v[2:5], v1 offset:1360
	ds_load_b128 v[6:9], v1 offset:1376
	v_fma_f64 v[36:37], v[36:37], v[14:15], v[184:185]
	v_fma_f64 v[14:15], v[34:35], v[14:15], -v[16:17]
	s_waitcnt vmcnt(4) lgkmcnt(1)
	v_mul_f64 v[188:189], v[2:3], v[20:21]
	v_mul_f64 v[20:21], v[4:5], v[20:21]
	s_waitcnt vmcnt(3) lgkmcnt(0)
	v_mul_f64 v[16:17], v[6:7], v[24:25]
	v_mul_f64 v[24:25], v[8:9], v[24:25]
	v_add_f64 v[10:11], v[12:13], v[10:11]
	v_add_f64 v[12:13], v[182:183], v[186:187]
	v_fma_f64 v[34:35], v[4:5], v[18:19], v[188:189]
	v_fma_f64 v[18:19], v[2:3], v[18:19], -v[20:21]
	v_fma_f64 v[8:9], v[8:9], v[22:23], v[16:17]
	v_fma_f64 v[6:7], v[6:7], v[22:23], -v[24:25]
	v_add_f64 v[14:15], v[10:11], v[14:15]
	v_add_f64 v[20:21], v[12:13], v[36:37]
	ds_load_b128 v[2:5], v1 offset:1392
	ds_load_b128 v[10:13], v1 offset:1408
	s_waitcnt vmcnt(2) lgkmcnt(1)
	v_mul_f64 v[36:37], v[2:3], v[28:29]
	v_mul_f64 v[28:29], v[4:5], v[28:29]
	v_add_f64 v[14:15], v[14:15], v[18:19]
	v_add_f64 v[16:17], v[20:21], v[34:35]
	s_waitcnt vmcnt(1) lgkmcnt(0)
	v_mul_f64 v[18:19], v[10:11], v[32:33]
	v_mul_f64 v[20:21], v[12:13], v[32:33]
	v_fma_f64 v[22:23], v[4:5], v[26:27], v[36:37]
	v_fma_f64 v[24:25], v[2:3], v[26:27], -v[28:29]
	ds_load_b128 v[2:5], v1 offset:1424
	v_add_f64 v[6:7], v[14:15], v[6:7]
	v_add_f64 v[8:9], v[16:17], v[8:9]
	v_fma_f64 v[12:13], v[12:13], v[30:31], v[18:19]
	v_fma_f64 v[10:11], v[10:11], v[30:31], -v[20:21]
	s_waitcnt vmcnt(0) lgkmcnt(0)
	v_mul_f64 v[14:15], v[2:3], v[40:41]
	v_mul_f64 v[16:17], v[4:5], v[40:41]
	v_add_f64 v[6:7], v[6:7], v[24:25]
	v_add_f64 v[8:9], v[8:9], v[22:23]
	s_delay_alu instid0(VALU_DEP_4) | instskip(NEXT) | instid1(VALU_DEP_4)
	v_fma_f64 v[4:5], v[4:5], v[38:39], v[14:15]
	v_fma_f64 v[2:3], v[2:3], v[38:39], -v[16:17]
	s_delay_alu instid0(VALU_DEP_4) | instskip(NEXT) | instid1(VALU_DEP_4)
	v_add_f64 v[6:7], v[6:7], v[10:11]
	v_add_f64 v[8:9], v[8:9], v[12:13]
	s_delay_alu instid0(VALU_DEP_2) | instskip(NEXT) | instid1(VALU_DEP_2)
	v_add_f64 v[2:3], v[6:7], v[2:3]
	v_add_f64 v[4:5], v[8:9], v[4:5]
	s_delay_alu instid0(VALU_DEP_2) | instskip(NEXT) | instid1(VALU_DEP_2)
	v_add_f64 v[2:3], v[42:43], -v[2:3]
	v_add_f64 v[4:5], v[44:45], -v[4:5]
	scratch_store_b128 off, v[2:5], off offset:400
	v_cmpx_lt_u32_e32 24, v136
	s_cbranch_execz .LBB44_235
; %bb.234:
	scratch_load_b128 v[5:8], v153, off
	v_mov_b32_e32 v2, v1
	v_mov_b32_e32 v3, v1
	;; [unrolled: 1-line block ×3, first 2 shown]
	scratch_store_b128 off, v[1:4], off offset:384
	s_waitcnt vmcnt(0)
	ds_store_b128 v181, v[5:8]
.LBB44_235:
	s_or_b32 exec_lo, exec_lo, s2
	s_waitcnt lgkmcnt(0)
	s_waitcnt_vscnt null, 0x0
	s_barrier
	buffer_gl0_inv
	s_clause 0x8
	scratch_load_b128 v[2:5], off, off offset:400
	scratch_load_b128 v[6:9], off, off offset:416
	;; [unrolled: 1-line block ×9, first 2 shown]
	ds_load_b128 v[38:41], v1 offset:1120
	ds_load_b128 v[42:45], v1 offset:1136
	s_clause 0x1
	scratch_load_b128 v[182:185], off, off offset:384
	scratch_load_b128 v[186:189], off, off offset:544
	s_mov_b32 s2, exec_lo
	s_waitcnt vmcnt(10) lgkmcnt(1)
	v_mul_f64 v[190:191], v[40:41], v[4:5]
	v_mul_f64 v[4:5], v[38:39], v[4:5]
	s_waitcnt vmcnt(9) lgkmcnt(0)
	v_mul_f64 v[194:195], v[42:43], v[8:9]
	v_mul_f64 v[8:9], v[44:45], v[8:9]
	s_delay_alu instid0(VALU_DEP_4) | instskip(NEXT) | instid1(VALU_DEP_4)
	v_fma_f64 v[196:197], v[38:39], v[2:3], -v[190:191]
	v_fma_f64 v[198:199], v[40:41], v[2:3], v[4:5]
	ds_load_b128 v[2:5], v1 offset:1152
	ds_load_b128 v[190:193], v1 offset:1168
	scratch_load_b128 v[38:41], off, off offset:560
	v_fma_f64 v[44:45], v[44:45], v[6:7], v[194:195]
	v_fma_f64 v[42:43], v[42:43], v[6:7], -v[8:9]
	scratch_load_b128 v[6:9], off, off offset:576
	s_waitcnt vmcnt(10) lgkmcnt(1)
	v_mul_f64 v[200:201], v[2:3], v[12:13]
	v_mul_f64 v[12:13], v[4:5], v[12:13]
	v_add_f64 v[194:195], v[196:197], 0
	v_add_f64 v[196:197], v[198:199], 0
	s_waitcnt vmcnt(9) lgkmcnt(0)
	v_mul_f64 v[198:199], v[190:191], v[16:17]
	v_mul_f64 v[16:17], v[192:193], v[16:17]
	v_fma_f64 v[200:201], v[4:5], v[10:11], v[200:201]
	v_fma_f64 v[202:203], v[2:3], v[10:11], -v[12:13]
	ds_load_b128 v[2:5], v1 offset:1184
	scratch_load_b128 v[10:13], off, off offset:592
	v_add_f64 v[194:195], v[194:195], v[42:43]
	v_add_f64 v[196:197], v[196:197], v[44:45]
	ds_load_b128 v[42:45], v1 offset:1200
	v_fma_f64 v[192:193], v[192:193], v[14:15], v[198:199]
	v_fma_f64 v[190:191], v[190:191], v[14:15], -v[16:17]
	scratch_load_b128 v[14:17], off, off offset:608
	s_waitcnt vmcnt(10) lgkmcnt(1)
	v_mul_f64 v[204:205], v[2:3], v[20:21]
	v_mul_f64 v[20:21], v[4:5], v[20:21]
	s_waitcnt vmcnt(9) lgkmcnt(0)
	v_mul_f64 v[198:199], v[42:43], v[24:25]
	v_mul_f64 v[24:25], v[44:45], v[24:25]
	v_add_f64 v[194:195], v[194:195], v[202:203]
	v_add_f64 v[196:197], v[196:197], v[200:201]
	v_fma_f64 v[200:201], v[4:5], v[18:19], v[204:205]
	v_fma_f64 v[202:203], v[2:3], v[18:19], -v[20:21]
	ds_load_b128 v[2:5], v1 offset:1216
	scratch_load_b128 v[18:21], off, off offset:624
	v_fma_f64 v[44:45], v[44:45], v[22:23], v[198:199]
	v_fma_f64 v[42:43], v[42:43], v[22:23], -v[24:25]
	scratch_load_b128 v[22:25], off, off offset:640
	v_add_f64 v[194:195], v[194:195], v[190:191]
	v_add_f64 v[196:197], v[196:197], v[192:193]
	ds_load_b128 v[190:193], v1 offset:1232
	s_waitcnt vmcnt(10) lgkmcnt(1)
	v_mul_f64 v[204:205], v[2:3], v[28:29]
	v_mul_f64 v[28:29], v[4:5], v[28:29]
	s_waitcnt vmcnt(9) lgkmcnt(0)
	v_mul_f64 v[198:199], v[190:191], v[32:33]
	v_mul_f64 v[32:33], v[192:193], v[32:33]
	v_add_f64 v[194:195], v[194:195], v[202:203]
	v_add_f64 v[196:197], v[196:197], v[200:201]
	v_fma_f64 v[200:201], v[4:5], v[26:27], v[204:205]
	v_fma_f64 v[202:203], v[2:3], v[26:27], -v[28:29]
	ds_load_b128 v[2:5], v1 offset:1248
	scratch_load_b128 v[26:29], off, off offset:656
	v_fma_f64 v[192:193], v[192:193], v[30:31], v[198:199]
	v_fma_f64 v[190:191], v[190:191], v[30:31], -v[32:33]
	scratch_load_b128 v[30:33], off, off offset:672
	v_add_f64 v[194:195], v[194:195], v[42:43]
	v_add_f64 v[196:197], v[196:197], v[44:45]
	ds_load_b128 v[42:45], v1 offset:1264
	s_waitcnt vmcnt(10) lgkmcnt(1)
	v_mul_f64 v[204:205], v[2:3], v[36:37]
	v_mul_f64 v[36:37], v[4:5], v[36:37]
	s_waitcnt vmcnt(8) lgkmcnt(0)
	v_mul_f64 v[198:199], v[42:43], v[188:189]
	v_add_f64 v[194:195], v[194:195], v[202:203]
	v_add_f64 v[196:197], v[196:197], v[200:201]
	v_mul_f64 v[200:201], v[44:45], v[188:189]
	v_fma_f64 v[202:203], v[4:5], v[34:35], v[204:205]
	v_fma_f64 v[204:205], v[2:3], v[34:35], -v[36:37]
	ds_load_b128 v[2:5], v1 offset:1280
	scratch_load_b128 v[34:37], off, off offset:688
	v_fma_f64 v[44:45], v[44:45], v[186:187], v[198:199]
	v_add_f64 v[194:195], v[194:195], v[190:191]
	v_add_f64 v[192:193], v[196:197], v[192:193]
	ds_load_b128 v[188:191], v1 offset:1296
	v_fma_f64 v[186:187], v[42:43], v[186:187], -v[200:201]
	s_waitcnt vmcnt(8) lgkmcnt(1)
	v_mul_f64 v[196:197], v[2:3], v[40:41]
	v_mul_f64 v[206:207], v[4:5], v[40:41]
	scratch_load_b128 v[40:43], off, off offset:704
	s_waitcnt vmcnt(8) lgkmcnt(0)
	v_mul_f64 v[198:199], v[188:189], v[8:9]
	v_mul_f64 v[8:9], v[190:191], v[8:9]
	v_add_f64 v[194:195], v[194:195], v[204:205]
	v_add_f64 v[192:193], v[192:193], v[202:203]
	v_fma_f64 v[196:197], v[4:5], v[38:39], v[196:197]
	v_fma_f64 v[38:39], v[2:3], v[38:39], -v[206:207]
	v_fma_f64 v[190:191], v[190:191], v[6:7], v[198:199]
	v_fma_f64 v[6:7], v[188:189], v[6:7], -v[8:9]
	v_add_f64 v[186:187], v[194:195], v[186:187]
	v_add_f64 v[44:45], v[192:193], v[44:45]
	ds_load_b128 v[2:5], v1 offset:1312
	ds_load_b128 v[192:195], v1 offset:1328
	s_waitcnt vmcnt(7) lgkmcnt(1)
	v_mul_f64 v[200:201], v[2:3], v[12:13]
	v_mul_f64 v[12:13], v[4:5], v[12:13]
	v_add_f64 v[8:9], v[186:187], v[38:39]
	v_add_f64 v[38:39], v[44:45], v[196:197]
	s_waitcnt vmcnt(6) lgkmcnt(0)
	v_mul_f64 v[44:45], v[192:193], v[16:17]
	v_mul_f64 v[16:17], v[194:195], v[16:17]
	v_fma_f64 v[186:187], v[4:5], v[10:11], v[200:201]
	v_fma_f64 v[10:11], v[2:3], v[10:11], -v[12:13]
	v_add_f64 v[12:13], v[8:9], v[6:7]
	v_add_f64 v[38:39], v[38:39], v[190:191]
	ds_load_b128 v[2:5], v1 offset:1344
	ds_load_b128 v[6:9], v1 offset:1360
	v_fma_f64 v[44:45], v[194:195], v[14:15], v[44:45]
	v_fma_f64 v[14:15], v[192:193], v[14:15], -v[16:17]
	s_waitcnt vmcnt(5) lgkmcnt(1)
	v_mul_f64 v[188:189], v[2:3], v[20:21]
	v_mul_f64 v[20:21], v[4:5], v[20:21]
	s_waitcnt vmcnt(4) lgkmcnt(0)
	v_mul_f64 v[16:17], v[6:7], v[24:25]
	v_mul_f64 v[24:25], v[8:9], v[24:25]
	v_add_f64 v[10:11], v[12:13], v[10:11]
	v_add_f64 v[12:13], v[38:39], v[186:187]
	v_fma_f64 v[38:39], v[4:5], v[18:19], v[188:189]
	v_fma_f64 v[18:19], v[2:3], v[18:19], -v[20:21]
	v_fma_f64 v[8:9], v[8:9], v[22:23], v[16:17]
	v_fma_f64 v[6:7], v[6:7], v[22:23], -v[24:25]
	v_add_f64 v[14:15], v[10:11], v[14:15]
	v_add_f64 v[20:21], v[12:13], v[44:45]
	ds_load_b128 v[2:5], v1 offset:1376
	ds_load_b128 v[10:13], v1 offset:1392
	s_waitcnt vmcnt(3) lgkmcnt(1)
	v_mul_f64 v[44:45], v[2:3], v[28:29]
	v_mul_f64 v[28:29], v[4:5], v[28:29]
	v_add_f64 v[14:15], v[14:15], v[18:19]
	v_add_f64 v[16:17], v[20:21], v[38:39]
	s_waitcnt vmcnt(2) lgkmcnt(0)
	v_mul_f64 v[18:19], v[10:11], v[32:33]
	v_mul_f64 v[20:21], v[12:13], v[32:33]
	v_fma_f64 v[22:23], v[4:5], v[26:27], v[44:45]
	v_fma_f64 v[24:25], v[2:3], v[26:27], -v[28:29]
	v_add_f64 v[14:15], v[14:15], v[6:7]
	v_add_f64 v[16:17], v[16:17], v[8:9]
	ds_load_b128 v[2:5], v1 offset:1408
	ds_load_b128 v[6:9], v1 offset:1424
	v_fma_f64 v[12:13], v[12:13], v[30:31], v[18:19]
	v_fma_f64 v[10:11], v[10:11], v[30:31], -v[20:21]
	s_waitcnt vmcnt(1) lgkmcnt(1)
	v_mul_f64 v[26:27], v[2:3], v[36:37]
	v_mul_f64 v[28:29], v[4:5], v[36:37]
	s_waitcnt vmcnt(0) lgkmcnt(0)
	v_mul_f64 v[18:19], v[6:7], v[42:43]
	v_add_f64 v[14:15], v[14:15], v[24:25]
	v_add_f64 v[16:17], v[16:17], v[22:23]
	v_mul_f64 v[20:21], v[8:9], v[42:43]
	v_fma_f64 v[4:5], v[4:5], v[34:35], v[26:27]
	v_fma_f64 v[1:2], v[2:3], v[34:35], -v[28:29]
	v_fma_f64 v[8:9], v[8:9], v[40:41], v[18:19]
	v_add_f64 v[10:11], v[14:15], v[10:11]
	v_add_f64 v[12:13], v[16:17], v[12:13]
	v_fma_f64 v[6:7], v[6:7], v[40:41], -v[20:21]
	s_delay_alu instid0(VALU_DEP_3) | instskip(NEXT) | instid1(VALU_DEP_3)
	v_add_f64 v[1:2], v[10:11], v[1:2]
	v_add_f64 v[3:4], v[12:13], v[4:5]
	s_delay_alu instid0(VALU_DEP_2) | instskip(NEXT) | instid1(VALU_DEP_2)
	v_add_f64 v[1:2], v[1:2], v[6:7]
	v_add_f64 v[3:4], v[3:4], v[8:9]
	s_delay_alu instid0(VALU_DEP_2) | instskip(NEXT) | instid1(VALU_DEP_2)
	v_add_f64 v[1:2], v[182:183], -v[1:2]
	v_add_f64 v[3:4], v[184:185], -v[3:4]
	scratch_store_b128 off, v[1:4], off offset:384
	v_cmpx_lt_u32_e32 23, v136
	s_cbranch_execz .LBB44_237
; %bb.236:
	scratch_load_b128 v[1:4], v155, off
	v_mov_b32_e32 v5, 0
	s_delay_alu instid0(VALU_DEP_1)
	v_mov_b32_e32 v6, v5
	v_mov_b32_e32 v7, v5
	v_mov_b32_e32 v8, v5
	scratch_store_b128 off, v[5:8], off offset:368
	s_waitcnt vmcnt(0)
	ds_store_b128 v181, v[1:4]
.LBB44_237:
	s_or_b32 exec_lo, exec_lo, s2
	s_waitcnt lgkmcnt(0)
	s_waitcnt_vscnt null, 0x0
	s_barrier
	buffer_gl0_inv
	s_clause 0x7
	scratch_load_b128 v[2:5], off, off offset:384
	scratch_load_b128 v[6:9], off, off offset:400
	;; [unrolled: 1-line block ×8, first 2 shown]
	v_mov_b32_e32 v1, 0
	s_mov_b32 s2, exec_lo
	ds_load_b128 v[34:37], v1 offset:1104
	s_clause 0x1
	scratch_load_b128 v[38:41], off, off offset:512
	scratch_load_b128 v[42:45], off, off offset:368
	ds_load_b128 v[182:185], v1 offset:1120
	scratch_load_b128 v[186:189], off, off offset:528
	s_waitcnt vmcnt(10) lgkmcnt(1)
	v_mul_f64 v[190:191], v[36:37], v[4:5]
	v_mul_f64 v[4:5], v[34:35], v[4:5]
	s_delay_alu instid0(VALU_DEP_2) | instskip(NEXT) | instid1(VALU_DEP_2)
	v_fma_f64 v[196:197], v[34:35], v[2:3], -v[190:191]
	v_fma_f64 v[198:199], v[36:37], v[2:3], v[4:5]
	scratch_load_b128 v[34:37], off, off offset:544
	ds_load_b128 v[2:5], v1 offset:1136
	s_waitcnt vmcnt(10) lgkmcnt(1)
	v_mul_f64 v[194:195], v[182:183], v[8:9]
	v_mul_f64 v[8:9], v[184:185], v[8:9]
	ds_load_b128 v[190:193], v1 offset:1152
	s_waitcnt vmcnt(9) lgkmcnt(1)
	v_mul_f64 v[200:201], v[2:3], v[12:13]
	v_mul_f64 v[12:13], v[4:5], v[12:13]
	v_fma_f64 v[184:185], v[184:185], v[6:7], v[194:195]
	v_fma_f64 v[182:183], v[182:183], v[6:7], -v[8:9]
	v_add_f64 v[194:195], v[196:197], 0
	v_add_f64 v[196:197], v[198:199], 0
	scratch_load_b128 v[6:9], off, off offset:560
	v_fma_f64 v[200:201], v[4:5], v[10:11], v[200:201]
	v_fma_f64 v[202:203], v[2:3], v[10:11], -v[12:13]
	scratch_load_b128 v[10:13], off, off offset:576
	ds_load_b128 v[2:5], v1 offset:1168
	s_waitcnt vmcnt(10) lgkmcnt(1)
	v_mul_f64 v[198:199], v[190:191], v[16:17]
	v_mul_f64 v[16:17], v[192:193], v[16:17]
	v_add_f64 v[194:195], v[194:195], v[182:183]
	v_add_f64 v[196:197], v[196:197], v[184:185]
	s_waitcnt vmcnt(9) lgkmcnt(0)
	v_mul_f64 v[204:205], v[2:3], v[20:21]
	v_mul_f64 v[20:21], v[4:5], v[20:21]
	ds_load_b128 v[182:185], v1 offset:1184
	v_fma_f64 v[192:193], v[192:193], v[14:15], v[198:199]
	v_fma_f64 v[190:191], v[190:191], v[14:15], -v[16:17]
	scratch_load_b128 v[14:17], off, off offset:592
	v_add_f64 v[194:195], v[194:195], v[202:203]
	v_add_f64 v[196:197], v[196:197], v[200:201]
	v_fma_f64 v[200:201], v[4:5], v[18:19], v[204:205]
	v_fma_f64 v[202:203], v[2:3], v[18:19], -v[20:21]
	scratch_load_b128 v[18:21], off, off offset:608
	ds_load_b128 v[2:5], v1 offset:1200
	s_waitcnt vmcnt(10) lgkmcnt(1)
	v_mul_f64 v[198:199], v[182:183], v[24:25]
	v_mul_f64 v[24:25], v[184:185], v[24:25]
	s_waitcnt vmcnt(9) lgkmcnt(0)
	v_mul_f64 v[204:205], v[2:3], v[28:29]
	v_mul_f64 v[28:29], v[4:5], v[28:29]
	v_add_f64 v[194:195], v[194:195], v[190:191]
	v_add_f64 v[196:197], v[196:197], v[192:193]
	ds_load_b128 v[190:193], v1 offset:1216
	v_fma_f64 v[184:185], v[184:185], v[22:23], v[198:199]
	v_fma_f64 v[182:183], v[182:183], v[22:23], -v[24:25]
	scratch_load_b128 v[22:25], off, off offset:624
	v_add_f64 v[194:195], v[194:195], v[202:203]
	v_add_f64 v[196:197], v[196:197], v[200:201]
	v_fma_f64 v[200:201], v[4:5], v[26:27], v[204:205]
	v_fma_f64 v[202:203], v[2:3], v[26:27], -v[28:29]
	scratch_load_b128 v[26:29], off, off offset:640
	ds_load_b128 v[2:5], v1 offset:1232
	s_waitcnt vmcnt(10) lgkmcnt(1)
	v_mul_f64 v[198:199], v[190:191], v[32:33]
	v_mul_f64 v[32:33], v[192:193], v[32:33]
	s_waitcnt vmcnt(9) lgkmcnt(0)
	v_mul_f64 v[204:205], v[2:3], v[40:41]
	v_mul_f64 v[40:41], v[4:5], v[40:41]
	v_add_f64 v[194:195], v[194:195], v[182:183]
	v_add_f64 v[196:197], v[196:197], v[184:185]
	ds_load_b128 v[182:185], v1 offset:1248
	v_fma_f64 v[192:193], v[192:193], v[30:31], v[198:199]
	v_fma_f64 v[190:191], v[190:191], v[30:31], -v[32:33]
	scratch_load_b128 v[30:33], off, off offset:656
	v_add_f64 v[194:195], v[194:195], v[202:203]
	v_add_f64 v[196:197], v[196:197], v[200:201]
	v_fma_f64 v[202:203], v[4:5], v[38:39], v[204:205]
	v_fma_f64 v[204:205], v[2:3], v[38:39], -v[40:41]
	scratch_load_b128 v[38:41], off, off offset:672
	ds_load_b128 v[2:5], v1 offset:1264
	s_waitcnt vmcnt(9) lgkmcnt(1)
	v_mul_f64 v[198:199], v[182:183], v[188:189]
	v_mul_f64 v[200:201], v[184:185], v[188:189]
	v_add_f64 v[194:195], v[194:195], v[190:191]
	v_add_f64 v[192:193], v[196:197], v[192:193]
	ds_load_b128 v[188:191], v1 offset:1280
	v_fma_f64 v[198:199], v[184:185], v[186:187], v[198:199]
	v_fma_f64 v[186:187], v[182:183], v[186:187], -v[200:201]
	scratch_load_b128 v[182:185], off, off offset:688
	s_waitcnt vmcnt(9) lgkmcnt(1)
	v_mul_f64 v[196:197], v[2:3], v[36:37]
	v_mul_f64 v[36:37], v[4:5], v[36:37]
	v_add_f64 v[194:195], v[194:195], v[204:205]
	v_add_f64 v[192:193], v[192:193], v[202:203]
	s_delay_alu instid0(VALU_DEP_4) | instskip(NEXT) | instid1(VALU_DEP_4)
	v_fma_f64 v[196:197], v[4:5], v[34:35], v[196:197]
	v_fma_f64 v[202:203], v[2:3], v[34:35], -v[36:37]
	scratch_load_b128 v[34:37], off, off offset:704
	ds_load_b128 v[2:5], v1 offset:1296
	s_waitcnt vmcnt(9) lgkmcnt(1)
	v_mul_f64 v[200:201], v[188:189], v[8:9]
	v_mul_f64 v[8:9], v[190:191], v[8:9]
	s_waitcnt vmcnt(8) lgkmcnt(0)
	v_mul_f64 v[204:205], v[2:3], v[12:13]
	v_mul_f64 v[12:13], v[4:5], v[12:13]
	v_add_f64 v[186:187], v[194:195], v[186:187]
	v_add_f64 v[198:199], v[192:193], v[198:199]
	ds_load_b128 v[192:195], v1 offset:1312
	v_fma_f64 v[190:191], v[190:191], v[6:7], v[200:201]
	v_fma_f64 v[6:7], v[188:189], v[6:7], -v[8:9]
	v_add_f64 v[8:9], v[186:187], v[202:203]
	v_add_f64 v[186:187], v[198:199], v[196:197]
	s_waitcnt vmcnt(7) lgkmcnt(0)
	v_mul_f64 v[188:189], v[192:193], v[16:17]
	v_mul_f64 v[16:17], v[194:195], v[16:17]
	v_fma_f64 v[196:197], v[4:5], v[10:11], v[204:205]
	v_fma_f64 v[10:11], v[2:3], v[10:11], -v[12:13]
	v_add_f64 v[12:13], v[8:9], v[6:7]
	v_add_f64 v[186:187], v[186:187], v[190:191]
	ds_load_b128 v[2:5], v1 offset:1328
	ds_load_b128 v[6:9], v1 offset:1344
	v_fma_f64 v[188:189], v[194:195], v[14:15], v[188:189]
	v_fma_f64 v[14:15], v[192:193], v[14:15], -v[16:17]
	s_waitcnt vmcnt(6) lgkmcnt(1)
	v_mul_f64 v[190:191], v[2:3], v[20:21]
	v_mul_f64 v[20:21], v[4:5], v[20:21]
	s_waitcnt vmcnt(5) lgkmcnt(0)
	v_mul_f64 v[16:17], v[6:7], v[24:25]
	v_mul_f64 v[24:25], v[8:9], v[24:25]
	v_add_f64 v[10:11], v[12:13], v[10:11]
	v_add_f64 v[12:13], v[186:187], v[196:197]
	v_fma_f64 v[186:187], v[4:5], v[18:19], v[190:191]
	v_fma_f64 v[18:19], v[2:3], v[18:19], -v[20:21]
	v_fma_f64 v[8:9], v[8:9], v[22:23], v[16:17]
	v_fma_f64 v[6:7], v[6:7], v[22:23], -v[24:25]
	v_add_f64 v[14:15], v[10:11], v[14:15]
	v_add_f64 v[20:21], v[12:13], v[188:189]
	ds_load_b128 v[2:5], v1 offset:1360
	ds_load_b128 v[10:13], v1 offset:1376
	s_waitcnt vmcnt(4) lgkmcnt(1)
	v_mul_f64 v[188:189], v[2:3], v[28:29]
	v_mul_f64 v[28:29], v[4:5], v[28:29]
	v_add_f64 v[14:15], v[14:15], v[18:19]
	v_add_f64 v[16:17], v[20:21], v[186:187]
	s_waitcnt vmcnt(3) lgkmcnt(0)
	v_mul_f64 v[18:19], v[10:11], v[32:33]
	v_mul_f64 v[20:21], v[12:13], v[32:33]
	v_fma_f64 v[22:23], v[4:5], v[26:27], v[188:189]
	v_fma_f64 v[24:25], v[2:3], v[26:27], -v[28:29]
	v_add_f64 v[14:15], v[14:15], v[6:7]
	v_add_f64 v[16:17], v[16:17], v[8:9]
	ds_load_b128 v[2:5], v1 offset:1392
	ds_load_b128 v[6:9], v1 offset:1408
	v_fma_f64 v[12:13], v[12:13], v[30:31], v[18:19]
	v_fma_f64 v[10:11], v[10:11], v[30:31], -v[20:21]
	s_waitcnt vmcnt(2) lgkmcnt(1)
	v_mul_f64 v[26:27], v[2:3], v[40:41]
	v_mul_f64 v[28:29], v[4:5], v[40:41]
	s_waitcnt vmcnt(1) lgkmcnt(0)
	v_mul_f64 v[18:19], v[6:7], v[184:185]
	v_mul_f64 v[20:21], v[8:9], v[184:185]
	v_add_f64 v[14:15], v[14:15], v[24:25]
	v_add_f64 v[16:17], v[16:17], v[22:23]
	v_fma_f64 v[22:23], v[4:5], v[38:39], v[26:27]
	v_fma_f64 v[24:25], v[2:3], v[38:39], -v[28:29]
	ds_load_b128 v[2:5], v1 offset:1424
	v_fma_f64 v[8:9], v[8:9], v[182:183], v[18:19]
	v_fma_f64 v[6:7], v[6:7], v[182:183], -v[20:21]
	v_add_f64 v[10:11], v[14:15], v[10:11]
	v_add_f64 v[12:13], v[16:17], v[12:13]
	s_waitcnt vmcnt(0) lgkmcnt(0)
	v_mul_f64 v[14:15], v[2:3], v[36:37]
	v_mul_f64 v[16:17], v[4:5], v[36:37]
	s_delay_alu instid0(VALU_DEP_4) | instskip(NEXT) | instid1(VALU_DEP_4)
	v_add_f64 v[10:11], v[10:11], v[24:25]
	v_add_f64 v[12:13], v[12:13], v[22:23]
	s_delay_alu instid0(VALU_DEP_4) | instskip(NEXT) | instid1(VALU_DEP_4)
	v_fma_f64 v[4:5], v[4:5], v[34:35], v[14:15]
	v_fma_f64 v[2:3], v[2:3], v[34:35], -v[16:17]
	s_delay_alu instid0(VALU_DEP_4) | instskip(NEXT) | instid1(VALU_DEP_4)
	v_add_f64 v[6:7], v[10:11], v[6:7]
	v_add_f64 v[8:9], v[12:13], v[8:9]
	s_delay_alu instid0(VALU_DEP_2) | instskip(NEXT) | instid1(VALU_DEP_2)
	v_add_f64 v[2:3], v[6:7], v[2:3]
	v_add_f64 v[4:5], v[8:9], v[4:5]
	s_delay_alu instid0(VALU_DEP_2) | instskip(NEXT) | instid1(VALU_DEP_2)
	v_add_f64 v[2:3], v[42:43], -v[2:3]
	v_add_f64 v[4:5], v[44:45], -v[4:5]
	scratch_store_b128 off, v[2:5], off offset:368
	v_cmpx_lt_u32_e32 22, v136
	s_cbranch_execz .LBB44_239
; %bb.238:
	scratch_load_b128 v[5:8], v156, off
	v_mov_b32_e32 v2, v1
	v_mov_b32_e32 v3, v1
	;; [unrolled: 1-line block ×3, first 2 shown]
	scratch_store_b128 off, v[1:4], off offset:352
	s_waitcnt vmcnt(0)
	ds_store_b128 v181, v[5:8]
.LBB44_239:
	s_or_b32 exec_lo, exec_lo, s2
	s_waitcnt lgkmcnt(0)
	s_waitcnt_vscnt null, 0x0
	s_barrier
	buffer_gl0_inv
	s_clause 0x8
	scratch_load_b128 v[2:5], off, off offset:368
	scratch_load_b128 v[6:9], off, off offset:384
	scratch_load_b128 v[10:13], off, off offset:400
	scratch_load_b128 v[14:17], off, off offset:416
	scratch_load_b128 v[18:21], off, off offset:432
	scratch_load_b128 v[22:25], off, off offset:448
	scratch_load_b128 v[26:29], off, off offset:464
	scratch_load_b128 v[30:33], off, off offset:480
	scratch_load_b128 v[34:37], off, off offset:496
	ds_load_b128 v[38:41], v1 offset:1088
	ds_load_b128 v[42:45], v1 offset:1104
	s_clause 0x1
	scratch_load_b128 v[182:185], off, off offset:352
	scratch_load_b128 v[186:189], off, off offset:512
	s_mov_b32 s2, exec_lo
	s_waitcnt vmcnt(10) lgkmcnt(1)
	v_mul_f64 v[190:191], v[40:41], v[4:5]
	v_mul_f64 v[4:5], v[38:39], v[4:5]
	s_waitcnt vmcnt(9) lgkmcnt(0)
	v_mul_f64 v[194:195], v[42:43], v[8:9]
	v_mul_f64 v[8:9], v[44:45], v[8:9]
	s_delay_alu instid0(VALU_DEP_4) | instskip(NEXT) | instid1(VALU_DEP_4)
	v_fma_f64 v[196:197], v[38:39], v[2:3], -v[190:191]
	v_fma_f64 v[198:199], v[40:41], v[2:3], v[4:5]
	ds_load_b128 v[2:5], v1 offset:1120
	ds_load_b128 v[190:193], v1 offset:1136
	scratch_load_b128 v[38:41], off, off offset:528
	v_fma_f64 v[44:45], v[44:45], v[6:7], v[194:195]
	v_fma_f64 v[42:43], v[42:43], v[6:7], -v[8:9]
	scratch_load_b128 v[6:9], off, off offset:544
	s_waitcnt vmcnt(10) lgkmcnt(1)
	v_mul_f64 v[200:201], v[2:3], v[12:13]
	v_mul_f64 v[12:13], v[4:5], v[12:13]
	v_add_f64 v[194:195], v[196:197], 0
	v_add_f64 v[196:197], v[198:199], 0
	s_waitcnt vmcnt(9) lgkmcnt(0)
	v_mul_f64 v[198:199], v[190:191], v[16:17]
	v_mul_f64 v[16:17], v[192:193], v[16:17]
	v_fma_f64 v[200:201], v[4:5], v[10:11], v[200:201]
	v_fma_f64 v[202:203], v[2:3], v[10:11], -v[12:13]
	ds_load_b128 v[2:5], v1 offset:1152
	scratch_load_b128 v[10:13], off, off offset:560
	v_add_f64 v[194:195], v[194:195], v[42:43]
	v_add_f64 v[196:197], v[196:197], v[44:45]
	ds_load_b128 v[42:45], v1 offset:1168
	v_fma_f64 v[192:193], v[192:193], v[14:15], v[198:199]
	v_fma_f64 v[190:191], v[190:191], v[14:15], -v[16:17]
	scratch_load_b128 v[14:17], off, off offset:576
	s_waitcnt vmcnt(10) lgkmcnt(1)
	v_mul_f64 v[204:205], v[2:3], v[20:21]
	v_mul_f64 v[20:21], v[4:5], v[20:21]
	s_waitcnt vmcnt(9) lgkmcnt(0)
	v_mul_f64 v[198:199], v[42:43], v[24:25]
	v_mul_f64 v[24:25], v[44:45], v[24:25]
	v_add_f64 v[194:195], v[194:195], v[202:203]
	v_add_f64 v[196:197], v[196:197], v[200:201]
	v_fma_f64 v[200:201], v[4:5], v[18:19], v[204:205]
	v_fma_f64 v[202:203], v[2:3], v[18:19], -v[20:21]
	ds_load_b128 v[2:5], v1 offset:1184
	scratch_load_b128 v[18:21], off, off offset:592
	v_fma_f64 v[44:45], v[44:45], v[22:23], v[198:199]
	v_fma_f64 v[42:43], v[42:43], v[22:23], -v[24:25]
	scratch_load_b128 v[22:25], off, off offset:608
	v_add_f64 v[194:195], v[194:195], v[190:191]
	v_add_f64 v[196:197], v[196:197], v[192:193]
	ds_load_b128 v[190:193], v1 offset:1200
	s_waitcnt vmcnt(10) lgkmcnt(1)
	v_mul_f64 v[204:205], v[2:3], v[28:29]
	v_mul_f64 v[28:29], v[4:5], v[28:29]
	s_waitcnt vmcnt(9) lgkmcnt(0)
	v_mul_f64 v[198:199], v[190:191], v[32:33]
	v_mul_f64 v[32:33], v[192:193], v[32:33]
	v_add_f64 v[194:195], v[194:195], v[202:203]
	v_add_f64 v[196:197], v[196:197], v[200:201]
	v_fma_f64 v[200:201], v[4:5], v[26:27], v[204:205]
	v_fma_f64 v[202:203], v[2:3], v[26:27], -v[28:29]
	ds_load_b128 v[2:5], v1 offset:1216
	scratch_load_b128 v[26:29], off, off offset:624
	v_fma_f64 v[192:193], v[192:193], v[30:31], v[198:199]
	v_fma_f64 v[190:191], v[190:191], v[30:31], -v[32:33]
	scratch_load_b128 v[30:33], off, off offset:640
	v_add_f64 v[194:195], v[194:195], v[42:43]
	v_add_f64 v[196:197], v[196:197], v[44:45]
	ds_load_b128 v[42:45], v1 offset:1232
	s_waitcnt vmcnt(10) lgkmcnt(1)
	v_mul_f64 v[204:205], v[2:3], v[36:37]
	v_mul_f64 v[36:37], v[4:5], v[36:37]
	s_waitcnt vmcnt(8) lgkmcnt(0)
	v_mul_f64 v[198:199], v[42:43], v[188:189]
	v_add_f64 v[194:195], v[194:195], v[202:203]
	v_add_f64 v[196:197], v[196:197], v[200:201]
	v_mul_f64 v[200:201], v[44:45], v[188:189]
	v_fma_f64 v[202:203], v[4:5], v[34:35], v[204:205]
	v_fma_f64 v[204:205], v[2:3], v[34:35], -v[36:37]
	ds_load_b128 v[2:5], v1 offset:1248
	scratch_load_b128 v[34:37], off, off offset:656
	v_fma_f64 v[44:45], v[44:45], v[186:187], v[198:199]
	v_add_f64 v[194:195], v[194:195], v[190:191]
	v_add_f64 v[192:193], v[196:197], v[192:193]
	ds_load_b128 v[188:191], v1 offset:1264
	v_fma_f64 v[186:187], v[42:43], v[186:187], -v[200:201]
	s_waitcnt vmcnt(8) lgkmcnt(1)
	v_mul_f64 v[196:197], v[2:3], v[40:41]
	v_mul_f64 v[206:207], v[4:5], v[40:41]
	scratch_load_b128 v[40:43], off, off offset:672
	s_waitcnt vmcnt(8) lgkmcnt(0)
	v_mul_f64 v[200:201], v[188:189], v[8:9]
	v_mul_f64 v[8:9], v[190:191], v[8:9]
	v_add_f64 v[194:195], v[194:195], v[204:205]
	v_add_f64 v[192:193], v[192:193], v[202:203]
	v_fma_f64 v[202:203], v[4:5], v[38:39], v[196:197]
	v_fma_f64 v[38:39], v[2:3], v[38:39], -v[206:207]
	ds_load_b128 v[2:5], v1 offset:1280
	ds_load_b128 v[196:199], v1 offset:1296
	v_fma_f64 v[190:191], v[190:191], v[6:7], v[200:201]
	v_fma_f64 v[188:189], v[188:189], v[6:7], -v[8:9]
	scratch_load_b128 v[6:9], off, off offset:704
	v_add_f64 v[186:187], v[194:195], v[186:187]
	v_add_f64 v[44:45], v[192:193], v[44:45]
	scratch_load_b128 v[192:195], off, off offset:688
	s_waitcnt vmcnt(9) lgkmcnt(1)
	v_mul_f64 v[204:205], v[2:3], v[12:13]
	v_mul_f64 v[12:13], v[4:5], v[12:13]
	v_add_f64 v[38:39], v[186:187], v[38:39]
	v_add_f64 v[44:45], v[44:45], v[202:203]
	s_waitcnt vmcnt(8) lgkmcnt(0)
	v_mul_f64 v[186:187], v[196:197], v[16:17]
	v_mul_f64 v[16:17], v[198:199], v[16:17]
	v_fma_f64 v[200:201], v[4:5], v[10:11], v[204:205]
	v_fma_f64 v[202:203], v[2:3], v[10:11], -v[12:13]
	ds_load_b128 v[2:5], v1 offset:1312
	ds_load_b128 v[10:13], v1 offset:1328
	v_add_f64 v[38:39], v[38:39], v[188:189]
	v_add_f64 v[44:45], v[44:45], v[190:191]
	s_waitcnt vmcnt(7) lgkmcnt(1)
	v_mul_f64 v[188:189], v[2:3], v[20:21]
	v_mul_f64 v[20:21], v[4:5], v[20:21]
	v_fma_f64 v[186:187], v[198:199], v[14:15], v[186:187]
	v_fma_f64 v[14:15], v[196:197], v[14:15], -v[16:17]
	v_add_f64 v[16:17], v[38:39], v[202:203]
	v_add_f64 v[38:39], v[44:45], v[200:201]
	s_waitcnt vmcnt(6) lgkmcnt(0)
	v_mul_f64 v[44:45], v[10:11], v[24:25]
	v_mul_f64 v[24:25], v[12:13], v[24:25]
	v_fma_f64 v[188:189], v[4:5], v[18:19], v[188:189]
	v_fma_f64 v[18:19], v[2:3], v[18:19], -v[20:21]
	v_add_f64 v[20:21], v[16:17], v[14:15]
	v_add_f64 v[38:39], v[38:39], v[186:187]
	ds_load_b128 v[2:5], v1 offset:1344
	ds_load_b128 v[14:17], v1 offset:1360
	v_fma_f64 v[12:13], v[12:13], v[22:23], v[44:45]
	v_fma_f64 v[10:11], v[10:11], v[22:23], -v[24:25]
	s_waitcnt vmcnt(5) lgkmcnt(1)
	v_mul_f64 v[186:187], v[2:3], v[28:29]
	v_mul_f64 v[28:29], v[4:5], v[28:29]
	s_waitcnt vmcnt(4) lgkmcnt(0)
	v_mul_f64 v[22:23], v[14:15], v[32:33]
	v_mul_f64 v[24:25], v[16:17], v[32:33]
	v_add_f64 v[18:19], v[20:21], v[18:19]
	v_add_f64 v[20:21], v[38:39], v[188:189]
	v_fma_f64 v[32:33], v[4:5], v[26:27], v[186:187]
	v_fma_f64 v[26:27], v[2:3], v[26:27], -v[28:29]
	v_fma_f64 v[16:17], v[16:17], v[30:31], v[22:23]
	v_fma_f64 v[14:15], v[14:15], v[30:31], -v[24:25]
	v_add_f64 v[18:19], v[18:19], v[10:11]
	v_add_f64 v[20:21], v[20:21], v[12:13]
	ds_load_b128 v[2:5], v1 offset:1376
	ds_load_b128 v[10:13], v1 offset:1392
	s_waitcnt vmcnt(3) lgkmcnt(1)
	v_mul_f64 v[28:29], v[2:3], v[36:37]
	v_mul_f64 v[36:37], v[4:5], v[36:37]
	s_waitcnt vmcnt(2) lgkmcnt(0)
	v_mul_f64 v[22:23], v[10:11], v[42:43]
	v_add_f64 v[18:19], v[18:19], v[26:27]
	v_add_f64 v[20:21], v[20:21], v[32:33]
	v_mul_f64 v[24:25], v[12:13], v[42:43]
	v_fma_f64 v[26:27], v[4:5], v[34:35], v[28:29]
	v_fma_f64 v[28:29], v[2:3], v[34:35], -v[36:37]
	v_fma_f64 v[12:13], v[12:13], v[40:41], v[22:23]
	v_add_f64 v[18:19], v[18:19], v[14:15]
	v_add_f64 v[20:21], v[20:21], v[16:17]
	ds_load_b128 v[2:5], v1 offset:1408
	ds_load_b128 v[14:17], v1 offset:1424
	v_fma_f64 v[10:11], v[10:11], v[40:41], -v[24:25]
	s_waitcnt vmcnt(0) lgkmcnt(1)
	v_mul_f64 v[30:31], v[2:3], v[194:195]
	v_mul_f64 v[32:33], v[4:5], v[194:195]
	s_waitcnt lgkmcnt(0)
	v_mul_f64 v[22:23], v[14:15], v[8:9]
	v_mul_f64 v[8:9], v[16:17], v[8:9]
	v_add_f64 v[18:19], v[18:19], v[28:29]
	v_add_f64 v[20:21], v[20:21], v[26:27]
	v_fma_f64 v[4:5], v[4:5], v[192:193], v[30:31]
	v_fma_f64 v[1:2], v[2:3], v[192:193], -v[32:33]
	v_fma_f64 v[16:17], v[16:17], v[6:7], v[22:23]
	v_fma_f64 v[6:7], v[14:15], v[6:7], -v[8:9]
	v_add_f64 v[10:11], v[18:19], v[10:11]
	v_add_f64 v[12:13], v[20:21], v[12:13]
	s_delay_alu instid0(VALU_DEP_2) | instskip(NEXT) | instid1(VALU_DEP_2)
	v_add_f64 v[1:2], v[10:11], v[1:2]
	v_add_f64 v[3:4], v[12:13], v[4:5]
	s_delay_alu instid0(VALU_DEP_2) | instskip(NEXT) | instid1(VALU_DEP_2)
	;; [unrolled: 3-line block ×3, first 2 shown]
	v_add_f64 v[1:2], v[182:183], -v[1:2]
	v_add_f64 v[3:4], v[184:185], -v[3:4]
	scratch_store_b128 off, v[1:4], off offset:352
	v_cmpx_lt_u32_e32 21, v136
	s_cbranch_execz .LBB44_241
; %bb.240:
	scratch_load_b128 v[1:4], v158, off
	v_mov_b32_e32 v5, 0
	s_delay_alu instid0(VALU_DEP_1)
	v_mov_b32_e32 v6, v5
	v_mov_b32_e32 v7, v5
	;; [unrolled: 1-line block ×3, first 2 shown]
	scratch_store_b128 off, v[5:8], off offset:336
	s_waitcnt vmcnt(0)
	ds_store_b128 v181, v[1:4]
.LBB44_241:
	s_or_b32 exec_lo, exec_lo, s2
	s_waitcnt lgkmcnt(0)
	s_waitcnt_vscnt null, 0x0
	s_barrier
	buffer_gl0_inv
	s_clause 0x7
	scratch_load_b128 v[2:5], off, off offset:352
	scratch_load_b128 v[6:9], off, off offset:368
	;; [unrolled: 1-line block ×8, first 2 shown]
	v_mov_b32_e32 v1, 0
	s_mov_b32 s2, exec_lo
	ds_load_b128 v[34:37], v1 offset:1072
	s_clause 0x1
	scratch_load_b128 v[38:41], off, off offset:480
	scratch_load_b128 v[42:45], off, off offset:336
	ds_load_b128 v[182:185], v1 offset:1088
	scratch_load_b128 v[186:189], off, off offset:496
	s_waitcnt vmcnt(10) lgkmcnt(1)
	v_mul_f64 v[190:191], v[36:37], v[4:5]
	v_mul_f64 v[4:5], v[34:35], v[4:5]
	s_delay_alu instid0(VALU_DEP_2) | instskip(NEXT) | instid1(VALU_DEP_2)
	v_fma_f64 v[196:197], v[34:35], v[2:3], -v[190:191]
	v_fma_f64 v[198:199], v[36:37], v[2:3], v[4:5]
	scratch_load_b128 v[34:37], off, off offset:512
	ds_load_b128 v[2:5], v1 offset:1104
	s_waitcnt vmcnt(10) lgkmcnt(1)
	v_mul_f64 v[194:195], v[182:183], v[8:9]
	v_mul_f64 v[8:9], v[184:185], v[8:9]
	ds_load_b128 v[190:193], v1 offset:1120
	s_waitcnt vmcnt(9) lgkmcnt(1)
	v_mul_f64 v[200:201], v[2:3], v[12:13]
	v_mul_f64 v[12:13], v[4:5], v[12:13]
	v_fma_f64 v[184:185], v[184:185], v[6:7], v[194:195]
	v_fma_f64 v[182:183], v[182:183], v[6:7], -v[8:9]
	v_add_f64 v[194:195], v[196:197], 0
	v_add_f64 v[196:197], v[198:199], 0
	scratch_load_b128 v[6:9], off, off offset:528
	v_fma_f64 v[200:201], v[4:5], v[10:11], v[200:201]
	v_fma_f64 v[202:203], v[2:3], v[10:11], -v[12:13]
	scratch_load_b128 v[10:13], off, off offset:544
	ds_load_b128 v[2:5], v1 offset:1136
	s_waitcnt vmcnt(10) lgkmcnt(1)
	v_mul_f64 v[198:199], v[190:191], v[16:17]
	v_mul_f64 v[16:17], v[192:193], v[16:17]
	v_add_f64 v[194:195], v[194:195], v[182:183]
	v_add_f64 v[196:197], v[196:197], v[184:185]
	s_waitcnt vmcnt(9) lgkmcnt(0)
	v_mul_f64 v[204:205], v[2:3], v[20:21]
	v_mul_f64 v[20:21], v[4:5], v[20:21]
	ds_load_b128 v[182:185], v1 offset:1152
	v_fma_f64 v[192:193], v[192:193], v[14:15], v[198:199]
	v_fma_f64 v[190:191], v[190:191], v[14:15], -v[16:17]
	scratch_load_b128 v[14:17], off, off offset:560
	v_add_f64 v[194:195], v[194:195], v[202:203]
	v_add_f64 v[196:197], v[196:197], v[200:201]
	v_fma_f64 v[200:201], v[4:5], v[18:19], v[204:205]
	v_fma_f64 v[202:203], v[2:3], v[18:19], -v[20:21]
	scratch_load_b128 v[18:21], off, off offset:576
	ds_load_b128 v[2:5], v1 offset:1168
	s_waitcnt vmcnt(10) lgkmcnt(1)
	v_mul_f64 v[198:199], v[182:183], v[24:25]
	v_mul_f64 v[24:25], v[184:185], v[24:25]
	s_waitcnt vmcnt(9) lgkmcnt(0)
	v_mul_f64 v[204:205], v[2:3], v[28:29]
	v_mul_f64 v[28:29], v[4:5], v[28:29]
	v_add_f64 v[194:195], v[194:195], v[190:191]
	v_add_f64 v[196:197], v[196:197], v[192:193]
	ds_load_b128 v[190:193], v1 offset:1184
	v_fma_f64 v[184:185], v[184:185], v[22:23], v[198:199]
	v_fma_f64 v[182:183], v[182:183], v[22:23], -v[24:25]
	scratch_load_b128 v[22:25], off, off offset:592
	v_add_f64 v[194:195], v[194:195], v[202:203]
	v_add_f64 v[196:197], v[196:197], v[200:201]
	v_fma_f64 v[200:201], v[4:5], v[26:27], v[204:205]
	v_fma_f64 v[202:203], v[2:3], v[26:27], -v[28:29]
	scratch_load_b128 v[26:29], off, off offset:608
	ds_load_b128 v[2:5], v1 offset:1200
	s_waitcnt vmcnt(10) lgkmcnt(1)
	v_mul_f64 v[198:199], v[190:191], v[32:33]
	v_mul_f64 v[32:33], v[192:193], v[32:33]
	s_waitcnt vmcnt(9) lgkmcnt(0)
	v_mul_f64 v[204:205], v[2:3], v[40:41]
	v_mul_f64 v[40:41], v[4:5], v[40:41]
	v_add_f64 v[194:195], v[194:195], v[182:183]
	v_add_f64 v[196:197], v[196:197], v[184:185]
	ds_load_b128 v[182:185], v1 offset:1216
	v_fma_f64 v[192:193], v[192:193], v[30:31], v[198:199]
	v_fma_f64 v[190:191], v[190:191], v[30:31], -v[32:33]
	scratch_load_b128 v[30:33], off, off offset:624
	v_add_f64 v[194:195], v[194:195], v[202:203]
	v_add_f64 v[196:197], v[196:197], v[200:201]
	v_fma_f64 v[202:203], v[4:5], v[38:39], v[204:205]
	v_fma_f64 v[204:205], v[2:3], v[38:39], -v[40:41]
	scratch_load_b128 v[38:41], off, off offset:640
	ds_load_b128 v[2:5], v1 offset:1232
	s_waitcnt vmcnt(9) lgkmcnt(1)
	v_mul_f64 v[198:199], v[182:183], v[188:189]
	v_mul_f64 v[200:201], v[184:185], v[188:189]
	v_add_f64 v[194:195], v[194:195], v[190:191]
	v_add_f64 v[192:193], v[196:197], v[192:193]
	ds_load_b128 v[188:191], v1 offset:1248
	v_fma_f64 v[198:199], v[184:185], v[186:187], v[198:199]
	v_fma_f64 v[186:187], v[182:183], v[186:187], -v[200:201]
	scratch_load_b128 v[182:185], off, off offset:656
	s_waitcnt vmcnt(9) lgkmcnt(1)
	v_mul_f64 v[196:197], v[2:3], v[36:37]
	v_mul_f64 v[36:37], v[4:5], v[36:37]
	v_add_f64 v[194:195], v[194:195], v[204:205]
	v_add_f64 v[192:193], v[192:193], v[202:203]
	s_delay_alu instid0(VALU_DEP_4) | instskip(NEXT) | instid1(VALU_DEP_4)
	v_fma_f64 v[196:197], v[4:5], v[34:35], v[196:197]
	v_fma_f64 v[202:203], v[2:3], v[34:35], -v[36:37]
	scratch_load_b128 v[34:37], off, off offset:672
	ds_load_b128 v[2:5], v1 offset:1264
	s_waitcnt vmcnt(9) lgkmcnt(1)
	v_mul_f64 v[200:201], v[188:189], v[8:9]
	v_mul_f64 v[8:9], v[190:191], v[8:9]
	s_waitcnt vmcnt(8) lgkmcnt(0)
	v_mul_f64 v[204:205], v[2:3], v[12:13]
	v_mul_f64 v[12:13], v[4:5], v[12:13]
	v_add_f64 v[186:187], v[194:195], v[186:187]
	v_add_f64 v[198:199], v[192:193], v[198:199]
	ds_load_b128 v[192:195], v1 offset:1280
	v_fma_f64 v[190:191], v[190:191], v[6:7], v[200:201]
	v_fma_f64 v[188:189], v[188:189], v[6:7], -v[8:9]
	scratch_load_b128 v[6:9], off, off offset:688
	v_fma_f64 v[200:201], v[4:5], v[10:11], v[204:205]
	v_add_f64 v[186:187], v[186:187], v[202:203]
	v_add_f64 v[196:197], v[198:199], v[196:197]
	v_fma_f64 v[202:203], v[2:3], v[10:11], -v[12:13]
	scratch_load_b128 v[10:13], off, off offset:704
	ds_load_b128 v[2:5], v1 offset:1296
	s_waitcnt vmcnt(9) lgkmcnt(1)
	v_mul_f64 v[198:199], v[192:193], v[16:17]
	v_mul_f64 v[16:17], v[194:195], v[16:17]
	v_add_f64 v[204:205], v[186:187], v[188:189]
	v_add_f64 v[190:191], v[196:197], v[190:191]
	s_waitcnt vmcnt(8) lgkmcnt(0)
	v_mul_f64 v[196:197], v[2:3], v[20:21]
	v_mul_f64 v[20:21], v[4:5], v[20:21]
	ds_load_b128 v[186:189], v1 offset:1312
	v_fma_f64 v[194:195], v[194:195], v[14:15], v[198:199]
	v_fma_f64 v[14:15], v[192:193], v[14:15], -v[16:17]
	s_waitcnt vmcnt(7) lgkmcnt(0)
	v_mul_f64 v[192:193], v[186:187], v[24:25]
	v_mul_f64 v[24:25], v[188:189], v[24:25]
	v_add_f64 v[16:17], v[204:205], v[202:203]
	v_add_f64 v[190:191], v[190:191], v[200:201]
	v_fma_f64 v[196:197], v[4:5], v[18:19], v[196:197]
	v_fma_f64 v[18:19], v[2:3], v[18:19], -v[20:21]
	v_fma_f64 v[188:189], v[188:189], v[22:23], v[192:193]
	v_fma_f64 v[22:23], v[186:187], v[22:23], -v[24:25]
	v_add_f64 v[20:21], v[16:17], v[14:15]
	v_add_f64 v[190:191], v[190:191], v[194:195]
	ds_load_b128 v[2:5], v1 offset:1328
	ds_load_b128 v[14:17], v1 offset:1344
	s_waitcnt vmcnt(6) lgkmcnt(1)
	v_mul_f64 v[194:195], v[2:3], v[28:29]
	v_mul_f64 v[28:29], v[4:5], v[28:29]
	s_waitcnt vmcnt(5) lgkmcnt(0)
	v_mul_f64 v[24:25], v[14:15], v[32:33]
	v_mul_f64 v[32:33], v[16:17], v[32:33]
	v_add_f64 v[18:19], v[20:21], v[18:19]
	v_add_f64 v[20:21], v[190:191], v[196:197]
	v_fma_f64 v[186:187], v[4:5], v[26:27], v[194:195]
	v_fma_f64 v[26:27], v[2:3], v[26:27], -v[28:29]
	v_fma_f64 v[16:17], v[16:17], v[30:31], v[24:25]
	v_fma_f64 v[14:15], v[14:15], v[30:31], -v[32:33]
	v_add_f64 v[22:23], v[18:19], v[22:23]
	v_add_f64 v[28:29], v[20:21], v[188:189]
	ds_load_b128 v[2:5], v1 offset:1360
	ds_load_b128 v[18:21], v1 offset:1376
	s_waitcnt vmcnt(4) lgkmcnt(1)
	v_mul_f64 v[188:189], v[2:3], v[40:41]
	v_mul_f64 v[40:41], v[4:5], v[40:41]
	v_add_f64 v[22:23], v[22:23], v[26:27]
	v_add_f64 v[24:25], v[28:29], v[186:187]
	s_waitcnt vmcnt(3) lgkmcnt(0)
	v_mul_f64 v[26:27], v[18:19], v[184:185]
	v_mul_f64 v[28:29], v[20:21], v[184:185]
	v_fma_f64 v[30:31], v[4:5], v[38:39], v[188:189]
	v_fma_f64 v[32:33], v[2:3], v[38:39], -v[40:41]
	v_add_f64 v[22:23], v[22:23], v[14:15]
	v_add_f64 v[24:25], v[24:25], v[16:17]
	ds_load_b128 v[2:5], v1 offset:1392
	ds_load_b128 v[14:17], v1 offset:1408
	v_fma_f64 v[20:21], v[20:21], v[182:183], v[26:27]
	v_fma_f64 v[18:19], v[18:19], v[182:183], -v[28:29]
	s_waitcnt vmcnt(2) lgkmcnt(1)
	v_mul_f64 v[38:39], v[2:3], v[36:37]
	v_mul_f64 v[36:37], v[4:5], v[36:37]
	s_waitcnt vmcnt(1) lgkmcnt(0)
	v_mul_f64 v[26:27], v[14:15], v[8:9]
	v_mul_f64 v[8:9], v[16:17], v[8:9]
	v_add_f64 v[22:23], v[22:23], v[32:33]
	v_add_f64 v[24:25], v[24:25], v[30:31]
	v_fma_f64 v[28:29], v[4:5], v[34:35], v[38:39]
	v_fma_f64 v[30:31], v[2:3], v[34:35], -v[36:37]
	ds_load_b128 v[2:5], v1 offset:1424
	v_fma_f64 v[16:17], v[16:17], v[6:7], v[26:27]
	v_fma_f64 v[6:7], v[14:15], v[6:7], -v[8:9]
	v_add_f64 v[18:19], v[22:23], v[18:19]
	v_add_f64 v[20:21], v[24:25], v[20:21]
	s_waitcnt vmcnt(0) lgkmcnt(0)
	v_mul_f64 v[22:23], v[2:3], v[12:13]
	v_mul_f64 v[12:13], v[4:5], v[12:13]
	s_delay_alu instid0(VALU_DEP_4) | instskip(NEXT) | instid1(VALU_DEP_4)
	v_add_f64 v[8:9], v[18:19], v[30:31]
	v_add_f64 v[14:15], v[20:21], v[28:29]
	s_delay_alu instid0(VALU_DEP_4) | instskip(NEXT) | instid1(VALU_DEP_4)
	v_fma_f64 v[4:5], v[4:5], v[10:11], v[22:23]
	v_fma_f64 v[2:3], v[2:3], v[10:11], -v[12:13]
	s_delay_alu instid0(VALU_DEP_4) | instskip(NEXT) | instid1(VALU_DEP_4)
	v_add_f64 v[6:7], v[8:9], v[6:7]
	v_add_f64 v[8:9], v[14:15], v[16:17]
	s_delay_alu instid0(VALU_DEP_2) | instskip(NEXT) | instid1(VALU_DEP_2)
	v_add_f64 v[2:3], v[6:7], v[2:3]
	v_add_f64 v[4:5], v[8:9], v[4:5]
	s_delay_alu instid0(VALU_DEP_2) | instskip(NEXT) | instid1(VALU_DEP_2)
	v_add_f64 v[2:3], v[42:43], -v[2:3]
	v_add_f64 v[4:5], v[44:45], -v[4:5]
	scratch_store_b128 off, v[2:5], off offset:336
	v_cmpx_lt_u32_e32 20, v136
	s_cbranch_execz .LBB44_243
; %bb.242:
	scratch_load_b128 v[5:8], v159, off
	v_mov_b32_e32 v2, v1
	v_mov_b32_e32 v3, v1
	;; [unrolled: 1-line block ×3, first 2 shown]
	scratch_store_b128 off, v[1:4], off offset:320
	s_waitcnt vmcnt(0)
	ds_store_b128 v181, v[5:8]
.LBB44_243:
	s_or_b32 exec_lo, exec_lo, s2
	s_waitcnt lgkmcnt(0)
	s_waitcnt_vscnt null, 0x0
	s_barrier
	buffer_gl0_inv
	s_clause 0x8
	scratch_load_b128 v[2:5], off, off offset:336
	scratch_load_b128 v[6:9], off, off offset:352
	scratch_load_b128 v[10:13], off, off offset:368
	scratch_load_b128 v[14:17], off, off offset:384
	scratch_load_b128 v[18:21], off, off offset:400
	scratch_load_b128 v[22:25], off, off offset:416
	scratch_load_b128 v[26:29], off, off offset:432
	scratch_load_b128 v[30:33], off, off offset:448
	scratch_load_b128 v[34:37], off, off offset:464
	ds_load_b128 v[38:41], v1 offset:1056
	ds_load_b128 v[42:45], v1 offset:1072
	s_clause 0x1
	scratch_load_b128 v[182:185], off, off offset:320
	scratch_load_b128 v[186:189], off, off offset:480
	s_mov_b32 s2, exec_lo
	s_waitcnt vmcnt(10) lgkmcnt(1)
	v_mul_f64 v[190:191], v[40:41], v[4:5]
	v_mul_f64 v[4:5], v[38:39], v[4:5]
	s_waitcnt vmcnt(9) lgkmcnt(0)
	v_mul_f64 v[194:195], v[42:43], v[8:9]
	v_mul_f64 v[8:9], v[44:45], v[8:9]
	s_delay_alu instid0(VALU_DEP_4) | instskip(NEXT) | instid1(VALU_DEP_4)
	v_fma_f64 v[196:197], v[38:39], v[2:3], -v[190:191]
	v_fma_f64 v[198:199], v[40:41], v[2:3], v[4:5]
	ds_load_b128 v[2:5], v1 offset:1088
	ds_load_b128 v[190:193], v1 offset:1104
	scratch_load_b128 v[38:41], off, off offset:496
	v_fma_f64 v[44:45], v[44:45], v[6:7], v[194:195]
	v_fma_f64 v[42:43], v[42:43], v[6:7], -v[8:9]
	scratch_load_b128 v[6:9], off, off offset:512
	s_waitcnt vmcnt(10) lgkmcnt(1)
	v_mul_f64 v[200:201], v[2:3], v[12:13]
	v_mul_f64 v[12:13], v[4:5], v[12:13]
	v_add_f64 v[194:195], v[196:197], 0
	v_add_f64 v[196:197], v[198:199], 0
	s_waitcnt vmcnt(9) lgkmcnt(0)
	v_mul_f64 v[198:199], v[190:191], v[16:17]
	v_mul_f64 v[16:17], v[192:193], v[16:17]
	v_fma_f64 v[200:201], v[4:5], v[10:11], v[200:201]
	v_fma_f64 v[202:203], v[2:3], v[10:11], -v[12:13]
	ds_load_b128 v[2:5], v1 offset:1120
	scratch_load_b128 v[10:13], off, off offset:528
	v_add_f64 v[194:195], v[194:195], v[42:43]
	v_add_f64 v[196:197], v[196:197], v[44:45]
	ds_load_b128 v[42:45], v1 offset:1136
	v_fma_f64 v[192:193], v[192:193], v[14:15], v[198:199]
	v_fma_f64 v[190:191], v[190:191], v[14:15], -v[16:17]
	scratch_load_b128 v[14:17], off, off offset:544
	s_waitcnt vmcnt(10) lgkmcnt(1)
	v_mul_f64 v[204:205], v[2:3], v[20:21]
	v_mul_f64 v[20:21], v[4:5], v[20:21]
	s_waitcnt vmcnt(9) lgkmcnt(0)
	v_mul_f64 v[198:199], v[42:43], v[24:25]
	v_mul_f64 v[24:25], v[44:45], v[24:25]
	v_add_f64 v[194:195], v[194:195], v[202:203]
	v_add_f64 v[196:197], v[196:197], v[200:201]
	v_fma_f64 v[200:201], v[4:5], v[18:19], v[204:205]
	v_fma_f64 v[202:203], v[2:3], v[18:19], -v[20:21]
	ds_load_b128 v[2:5], v1 offset:1152
	scratch_load_b128 v[18:21], off, off offset:560
	v_fma_f64 v[44:45], v[44:45], v[22:23], v[198:199]
	v_fma_f64 v[42:43], v[42:43], v[22:23], -v[24:25]
	scratch_load_b128 v[22:25], off, off offset:576
	v_add_f64 v[194:195], v[194:195], v[190:191]
	v_add_f64 v[196:197], v[196:197], v[192:193]
	ds_load_b128 v[190:193], v1 offset:1168
	s_waitcnt vmcnt(10) lgkmcnt(1)
	v_mul_f64 v[204:205], v[2:3], v[28:29]
	v_mul_f64 v[28:29], v[4:5], v[28:29]
	s_waitcnt vmcnt(9) lgkmcnt(0)
	v_mul_f64 v[198:199], v[190:191], v[32:33]
	v_mul_f64 v[32:33], v[192:193], v[32:33]
	v_add_f64 v[194:195], v[194:195], v[202:203]
	v_add_f64 v[196:197], v[196:197], v[200:201]
	v_fma_f64 v[200:201], v[4:5], v[26:27], v[204:205]
	v_fma_f64 v[202:203], v[2:3], v[26:27], -v[28:29]
	ds_load_b128 v[2:5], v1 offset:1184
	scratch_load_b128 v[26:29], off, off offset:592
	v_fma_f64 v[192:193], v[192:193], v[30:31], v[198:199]
	v_fma_f64 v[190:191], v[190:191], v[30:31], -v[32:33]
	scratch_load_b128 v[30:33], off, off offset:608
	v_add_f64 v[194:195], v[194:195], v[42:43]
	v_add_f64 v[196:197], v[196:197], v[44:45]
	ds_load_b128 v[42:45], v1 offset:1200
	s_waitcnt vmcnt(10) lgkmcnt(1)
	v_mul_f64 v[204:205], v[2:3], v[36:37]
	v_mul_f64 v[36:37], v[4:5], v[36:37]
	s_waitcnt vmcnt(8) lgkmcnt(0)
	v_mul_f64 v[198:199], v[42:43], v[188:189]
	v_add_f64 v[194:195], v[194:195], v[202:203]
	v_add_f64 v[196:197], v[196:197], v[200:201]
	v_mul_f64 v[200:201], v[44:45], v[188:189]
	v_fma_f64 v[202:203], v[4:5], v[34:35], v[204:205]
	v_fma_f64 v[204:205], v[2:3], v[34:35], -v[36:37]
	ds_load_b128 v[2:5], v1 offset:1216
	scratch_load_b128 v[34:37], off, off offset:624
	v_fma_f64 v[44:45], v[44:45], v[186:187], v[198:199]
	v_add_f64 v[194:195], v[194:195], v[190:191]
	v_add_f64 v[192:193], v[196:197], v[192:193]
	ds_load_b128 v[188:191], v1 offset:1232
	v_fma_f64 v[186:187], v[42:43], v[186:187], -v[200:201]
	s_waitcnt vmcnt(8) lgkmcnt(1)
	v_mul_f64 v[196:197], v[2:3], v[40:41]
	v_mul_f64 v[206:207], v[4:5], v[40:41]
	scratch_load_b128 v[40:43], off, off offset:640
	s_waitcnt vmcnt(8) lgkmcnt(0)
	v_mul_f64 v[200:201], v[188:189], v[8:9]
	v_mul_f64 v[8:9], v[190:191], v[8:9]
	v_add_f64 v[194:195], v[194:195], v[204:205]
	v_add_f64 v[192:193], v[192:193], v[202:203]
	v_fma_f64 v[202:203], v[4:5], v[38:39], v[196:197]
	v_fma_f64 v[38:39], v[2:3], v[38:39], -v[206:207]
	ds_load_b128 v[2:5], v1 offset:1248
	ds_load_b128 v[196:199], v1 offset:1264
	v_fma_f64 v[190:191], v[190:191], v[6:7], v[200:201]
	v_fma_f64 v[188:189], v[188:189], v[6:7], -v[8:9]
	scratch_load_b128 v[6:9], off, off offset:672
	v_add_f64 v[186:187], v[194:195], v[186:187]
	v_add_f64 v[44:45], v[192:193], v[44:45]
	scratch_load_b128 v[192:195], off, off offset:656
	s_waitcnt vmcnt(9) lgkmcnt(1)
	v_mul_f64 v[204:205], v[2:3], v[12:13]
	v_mul_f64 v[12:13], v[4:5], v[12:13]
	s_waitcnt vmcnt(8) lgkmcnt(0)
	v_mul_f64 v[200:201], v[196:197], v[16:17]
	v_mul_f64 v[16:17], v[198:199], v[16:17]
	v_add_f64 v[38:39], v[186:187], v[38:39]
	v_add_f64 v[44:45], v[44:45], v[202:203]
	v_fma_f64 v[202:203], v[4:5], v[10:11], v[204:205]
	v_fma_f64 v[204:205], v[2:3], v[10:11], -v[12:13]
	ds_load_b128 v[2:5], v1 offset:1280
	scratch_load_b128 v[10:13], off, off offset:688
	v_fma_f64 v[198:199], v[198:199], v[14:15], v[200:201]
	v_fma_f64 v[196:197], v[196:197], v[14:15], -v[16:17]
	scratch_load_b128 v[14:17], off, off offset:704
	v_add_f64 v[38:39], v[38:39], v[188:189]
	v_add_f64 v[44:45], v[44:45], v[190:191]
	ds_load_b128 v[186:189], v1 offset:1296
	s_waitcnt vmcnt(9) lgkmcnt(1)
	v_mul_f64 v[190:191], v[2:3], v[20:21]
	v_mul_f64 v[20:21], v[4:5], v[20:21]
	s_waitcnt vmcnt(8) lgkmcnt(0)
	v_mul_f64 v[200:201], v[186:187], v[24:25]
	v_mul_f64 v[24:25], v[188:189], v[24:25]
	v_add_f64 v[38:39], v[38:39], v[204:205]
	v_add_f64 v[44:45], v[44:45], v[202:203]
	v_fma_f64 v[190:191], v[4:5], v[18:19], v[190:191]
	v_fma_f64 v[202:203], v[2:3], v[18:19], -v[20:21]
	ds_load_b128 v[2:5], v1 offset:1312
	ds_load_b128 v[18:21], v1 offset:1328
	v_fma_f64 v[188:189], v[188:189], v[22:23], v[200:201]
	v_fma_f64 v[22:23], v[186:187], v[22:23], -v[24:25]
	v_add_f64 v[38:39], v[38:39], v[196:197]
	v_add_f64 v[44:45], v[44:45], v[198:199]
	s_waitcnt vmcnt(7) lgkmcnt(1)
	v_mul_f64 v[196:197], v[2:3], v[28:29]
	v_mul_f64 v[28:29], v[4:5], v[28:29]
	s_delay_alu instid0(VALU_DEP_4) | instskip(NEXT) | instid1(VALU_DEP_4)
	v_add_f64 v[24:25], v[38:39], v[202:203]
	v_add_f64 v[38:39], v[44:45], v[190:191]
	s_waitcnt vmcnt(6) lgkmcnt(0)
	v_mul_f64 v[44:45], v[18:19], v[32:33]
	v_mul_f64 v[32:33], v[20:21], v[32:33]
	v_fma_f64 v[186:187], v[4:5], v[26:27], v[196:197]
	v_fma_f64 v[26:27], v[2:3], v[26:27], -v[28:29]
	v_add_f64 v[28:29], v[24:25], v[22:23]
	v_add_f64 v[38:39], v[38:39], v[188:189]
	ds_load_b128 v[2:5], v1 offset:1344
	ds_load_b128 v[22:25], v1 offset:1360
	v_fma_f64 v[20:21], v[20:21], v[30:31], v[44:45]
	v_fma_f64 v[18:19], v[18:19], v[30:31], -v[32:33]
	s_waitcnt vmcnt(5) lgkmcnt(1)
	v_mul_f64 v[188:189], v[2:3], v[36:37]
	v_mul_f64 v[36:37], v[4:5], v[36:37]
	s_waitcnt vmcnt(4) lgkmcnt(0)
	v_mul_f64 v[30:31], v[22:23], v[42:43]
	v_add_f64 v[26:27], v[28:29], v[26:27]
	v_add_f64 v[28:29], v[38:39], v[186:187]
	v_mul_f64 v[32:33], v[24:25], v[42:43]
	v_fma_f64 v[38:39], v[4:5], v[34:35], v[188:189]
	v_fma_f64 v[34:35], v[2:3], v[34:35], -v[36:37]
	v_fma_f64 v[24:25], v[24:25], v[40:41], v[30:31]
	v_add_f64 v[26:27], v[26:27], v[18:19]
	v_add_f64 v[28:29], v[28:29], v[20:21]
	ds_load_b128 v[2:5], v1 offset:1376
	ds_load_b128 v[18:21], v1 offset:1392
	v_fma_f64 v[22:23], v[22:23], v[40:41], -v[32:33]
	s_waitcnt vmcnt(2) lgkmcnt(1)
	v_mul_f64 v[36:37], v[2:3], v[194:195]
	v_mul_f64 v[42:43], v[4:5], v[194:195]
	s_waitcnt lgkmcnt(0)
	v_mul_f64 v[30:31], v[18:19], v[8:9]
	v_mul_f64 v[8:9], v[20:21], v[8:9]
	v_add_f64 v[26:27], v[26:27], v[34:35]
	v_add_f64 v[28:29], v[28:29], v[38:39]
	v_fma_f64 v[32:33], v[4:5], v[192:193], v[36:37]
	v_fma_f64 v[34:35], v[2:3], v[192:193], -v[42:43]
	v_fma_f64 v[20:21], v[20:21], v[6:7], v[30:31]
	v_fma_f64 v[6:7], v[18:19], v[6:7], -v[8:9]
	v_add_f64 v[26:27], v[26:27], v[22:23]
	v_add_f64 v[28:29], v[28:29], v[24:25]
	ds_load_b128 v[2:5], v1 offset:1408
	ds_load_b128 v[22:25], v1 offset:1424
	s_waitcnt vmcnt(1) lgkmcnt(1)
	v_mul_f64 v[36:37], v[2:3], v[12:13]
	v_mul_f64 v[12:13], v[4:5], v[12:13]
	v_add_f64 v[8:9], v[26:27], v[34:35]
	v_add_f64 v[18:19], v[28:29], v[32:33]
	s_waitcnt vmcnt(0) lgkmcnt(0)
	v_mul_f64 v[26:27], v[22:23], v[16:17]
	v_mul_f64 v[16:17], v[24:25], v[16:17]
	v_fma_f64 v[4:5], v[4:5], v[10:11], v[36:37]
	v_fma_f64 v[1:2], v[2:3], v[10:11], -v[12:13]
	v_add_f64 v[6:7], v[8:9], v[6:7]
	v_add_f64 v[8:9], v[18:19], v[20:21]
	v_fma_f64 v[10:11], v[24:25], v[14:15], v[26:27]
	v_fma_f64 v[12:13], v[22:23], v[14:15], -v[16:17]
	s_delay_alu instid0(VALU_DEP_4) | instskip(NEXT) | instid1(VALU_DEP_4)
	v_add_f64 v[1:2], v[6:7], v[1:2]
	v_add_f64 v[3:4], v[8:9], v[4:5]
	s_delay_alu instid0(VALU_DEP_2) | instskip(NEXT) | instid1(VALU_DEP_2)
	v_add_f64 v[1:2], v[1:2], v[12:13]
	v_add_f64 v[3:4], v[3:4], v[10:11]
	s_delay_alu instid0(VALU_DEP_2) | instskip(NEXT) | instid1(VALU_DEP_2)
	v_add_f64 v[1:2], v[182:183], -v[1:2]
	v_add_f64 v[3:4], v[184:185], -v[3:4]
	scratch_store_b128 off, v[1:4], off offset:320
	v_cmpx_lt_u32_e32 19, v136
	s_cbranch_execz .LBB44_245
; %bb.244:
	scratch_load_b128 v[1:4], v161, off
	v_mov_b32_e32 v5, 0
	s_delay_alu instid0(VALU_DEP_1)
	v_mov_b32_e32 v6, v5
	v_mov_b32_e32 v7, v5
	;; [unrolled: 1-line block ×3, first 2 shown]
	scratch_store_b128 off, v[5:8], off offset:304
	s_waitcnt vmcnt(0)
	ds_store_b128 v181, v[1:4]
.LBB44_245:
	s_or_b32 exec_lo, exec_lo, s2
	s_waitcnt lgkmcnt(0)
	s_waitcnt_vscnt null, 0x0
	s_barrier
	buffer_gl0_inv
	s_clause 0x7
	scratch_load_b128 v[2:5], off, off offset:320
	scratch_load_b128 v[6:9], off, off offset:336
	;; [unrolled: 1-line block ×8, first 2 shown]
	v_mov_b32_e32 v1, 0
	s_mov_b32 s2, exec_lo
	ds_load_b128 v[34:37], v1 offset:1040
	s_clause 0x1
	scratch_load_b128 v[38:41], off, off offset:448
	scratch_load_b128 v[42:45], off, off offset:304
	ds_load_b128 v[182:185], v1 offset:1056
	scratch_load_b128 v[186:189], off, off offset:464
	s_waitcnt vmcnt(10) lgkmcnt(1)
	v_mul_f64 v[190:191], v[36:37], v[4:5]
	v_mul_f64 v[4:5], v[34:35], v[4:5]
	s_delay_alu instid0(VALU_DEP_2) | instskip(NEXT) | instid1(VALU_DEP_2)
	v_fma_f64 v[196:197], v[34:35], v[2:3], -v[190:191]
	v_fma_f64 v[198:199], v[36:37], v[2:3], v[4:5]
	scratch_load_b128 v[34:37], off, off offset:480
	ds_load_b128 v[2:5], v1 offset:1072
	s_waitcnt vmcnt(10) lgkmcnt(1)
	v_mul_f64 v[194:195], v[182:183], v[8:9]
	v_mul_f64 v[8:9], v[184:185], v[8:9]
	ds_load_b128 v[190:193], v1 offset:1088
	s_waitcnt vmcnt(9) lgkmcnt(1)
	v_mul_f64 v[200:201], v[2:3], v[12:13]
	v_mul_f64 v[12:13], v[4:5], v[12:13]
	v_fma_f64 v[184:185], v[184:185], v[6:7], v[194:195]
	v_fma_f64 v[182:183], v[182:183], v[6:7], -v[8:9]
	v_add_f64 v[194:195], v[196:197], 0
	v_add_f64 v[196:197], v[198:199], 0
	scratch_load_b128 v[6:9], off, off offset:496
	v_fma_f64 v[200:201], v[4:5], v[10:11], v[200:201]
	v_fma_f64 v[202:203], v[2:3], v[10:11], -v[12:13]
	scratch_load_b128 v[10:13], off, off offset:512
	ds_load_b128 v[2:5], v1 offset:1104
	s_waitcnt vmcnt(10) lgkmcnt(1)
	v_mul_f64 v[198:199], v[190:191], v[16:17]
	v_mul_f64 v[16:17], v[192:193], v[16:17]
	v_add_f64 v[194:195], v[194:195], v[182:183]
	v_add_f64 v[196:197], v[196:197], v[184:185]
	s_waitcnt vmcnt(9) lgkmcnt(0)
	v_mul_f64 v[204:205], v[2:3], v[20:21]
	v_mul_f64 v[20:21], v[4:5], v[20:21]
	ds_load_b128 v[182:185], v1 offset:1120
	v_fma_f64 v[192:193], v[192:193], v[14:15], v[198:199]
	v_fma_f64 v[190:191], v[190:191], v[14:15], -v[16:17]
	scratch_load_b128 v[14:17], off, off offset:528
	v_add_f64 v[194:195], v[194:195], v[202:203]
	v_add_f64 v[196:197], v[196:197], v[200:201]
	v_fma_f64 v[200:201], v[4:5], v[18:19], v[204:205]
	v_fma_f64 v[202:203], v[2:3], v[18:19], -v[20:21]
	scratch_load_b128 v[18:21], off, off offset:544
	ds_load_b128 v[2:5], v1 offset:1136
	s_waitcnt vmcnt(10) lgkmcnt(1)
	v_mul_f64 v[198:199], v[182:183], v[24:25]
	v_mul_f64 v[24:25], v[184:185], v[24:25]
	s_waitcnt vmcnt(9) lgkmcnt(0)
	v_mul_f64 v[204:205], v[2:3], v[28:29]
	v_mul_f64 v[28:29], v[4:5], v[28:29]
	v_add_f64 v[194:195], v[194:195], v[190:191]
	v_add_f64 v[196:197], v[196:197], v[192:193]
	ds_load_b128 v[190:193], v1 offset:1152
	v_fma_f64 v[184:185], v[184:185], v[22:23], v[198:199]
	v_fma_f64 v[182:183], v[182:183], v[22:23], -v[24:25]
	scratch_load_b128 v[22:25], off, off offset:560
	v_add_f64 v[194:195], v[194:195], v[202:203]
	v_add_f64 v[196:197], v[196:197], v[200:201]
	v_fma_f64 v[200:201], v[4:5], v[26:27], v[204:205]
	v_fma_f64 v[202:203], v[2:3], v[26:27], -v[28:29]
	scratch_load_b128 v[26:29], off, off offset:576
	ds_load_b128 v[2:5], v1 offset:1168
	s_waitcnt vmcnt(10) lgkmcnt(1)
	v_mul_f64 v[198:199], v[190:191], v[32:33]
	v_mul_f64 v[32:33], v[192:193], v[32:33]
	s_waitcnt vmcnt(9) lgkmcnt(0)
	v_mul_f64 v[204:205], v[2:3], v[40:41]
	v_mul_f64 v[40:41], v[4:5], v[40:41]
	v_add_f64 v[194:195], v[194:195], v[182:183]
	v_add_f64 v[196:197], v[196:197], v[184:185]
	ds_load_b128 v[182:185], v1 offset:1184
	v_fma_f64 v[192:193], v[192:193], v[30:31], v[198:199]
	v_fma_f64 v[190:191], v[190:191], v[30:31], -v[32:33]
	scratch_load_b128 v[30:33], off, off offset:592
	v_add_f64 v[194:195], v[194:195], v[202:203]
	v_add_f64 v[196:197], v[196:197], v[200:201]
	v_fma_f64 v[202:203], v[4:5], v[38:39], v[204:205]
	v_fma_f64 v[204:205], v[2:3], v[38:39], -v[40:41]
	scratch_load_b128 v[38:41], off, off offset:608
	ds_load_b128 v[2:5], v1 offset:1200
	s_waitcnt vmcnt(9) lgkmcnt(1)
	v_mul_f64 v[198:199], v[182:183], v[188:189]
	v_mul_f64 v[200:201], v[184:185], v[188:189]
	v_add_f64 v[194:195], v[194:195], v[190:191]
	v_add_f64 v[192:193], v[196:197], v[192:193]
	ds_load_b128 v[188:191], v1 offset:1216
	v_fma_f64 v[198:199], v[184:185], v[186:187], v[198:199]
	v_fma_f64 v[186:187], v[182:183], v[186:187], -v[200:201]
	scratch_load_b128 v[182:185], off, off offset:624
	s_waitcnt vmcnt(9) lgkmcnt(1)
	v_mul_f64 v[196:197], v[2:3], v[36:37]
	v_mul_f64 v[36:37], v[4:5], v[36:37]
	v_add_f64 v[194:195], v[194:195], v[204:205]
	v_add_f64 v[192:193], v[192:193], v[202:203]
	s_delay_alu instid0(VALU_DEP_4) | instskip(NEXT) | instid1(VALU_DEP_4)
	v_fma_f64 v[196:197], v[4:5], v[34:35], v[196:197]
	v_fma_f64 v[202:203], v[2:3], v[34:35], -v[36:37]
	scratch_load_b128 v[34:37], off, off offset:640
	ds_load_b128 v[2:5], v1 offset:1232
	s_waitcnt vmcnt(9) lgkmcnt(1)
	v_mul_f64 v[200:201], v[188:189], v[8:9]
	v_mul_f64 v[8:9], v[190:191], v[8:9]
	s_waitcnt vmcnt(8) lgkmcnt(0)
	v_mul_f64 v[204:205], v[2:3], v[12:13]
	v_mul_f64 v[12:13], v[4:5], v[12:13]
	v_add_f64 v[186:187], v[194:195], v[186:187]
	v_add_f64 v[198:199], v[192:193], v[198:199]
	ds_load_b128 v[192:195], v1 offset:1248
	v_fma_f64 v[190:191], v[190:191], v[6:7], v[200:201]
	v_fma_f64 v[188:189], v[188:189], v[6:7], -v[8:9]
	scratch_load_b128 v[6:9], off, off offset:656
	v_fma_f64 v[200:201], v[4:5], v[10:11], v[204:205]
	v_add_f64 v[186:187], v[186:187], v[202:203]
	v_add_f64 v[196:197], v[198:199], v[196:197]
	v_fma_f64 v[202:203], v[2:3], v[10:11], -v[12:13]
	scratch_load_b128 v[10:13], off, off offset:672
	ds_load_b128 v[2:5], v1 offset:1264
	s_waitcnt vmcnt(9) lgkmcnt(1)
	v_mul_f64 v[198:199], v[192:193], v[16:17]
	v_mul_f64 v[16:17], v[194:195], v[16:17]
	v_add_f64 v[204:205], v[186:187], v[188:189]
	v_add_f64 v[190:191], v[196:197], v[190:191]
	s_waitcnt vmcnt(8) lgkmcnt(0)
	v_mul_f64 v[196:197], v[2:3], v[20:21]
	v_mul_f64 v[20:21], v[4:5], v[20:21]
	ds_load_b128 v[186:189], v1 offset:1280
	v_fma_f64 v[194:195], v[194:195], v[14:15], v[198:199]
	v_fma_f64 v[192:193], v[192:193], v[14:15], -v[16:17]
	scratch_load_b128 v[14:17], off, off offset:688
	v_add_f64 v[198:199], v[204:205], v[202:203]
	v_add_f64 v[190:191], v[190:191], v[200:201]
	v_fma_f64 v[196:197], v[4:5], v[18:19], v[196:197]
	v_fma_f64 v[202:203], v[2:3], v[18:19], -v[20:21]
	scratch_load_b128 v[18:21], off, off offset:704
	ds_load_b128 v[2:5], v1 offset:1296
	s_waitcnt vmcnt(9) lgkmcnt(1)
	v_mul_f64 v[200:201], v[186:187], v[24:25]
	v_mul_f64 v[24:25], v[188:189], v[24:25]
	s_waitcnt vmcnt(8) lgkmcnt(0)
	v_mul_f64 v[204:205], v[2:3], v[28:29]
	v_mul_f64 v[28:29], v[4:5], v[28:29]
	v_add_f64 v[198:199], v[198:199], v[192:193]
	v_add_f64 v[194:195], v[190:191], v[194:195]
	ds_load_b128 v[190:193], v1 offset:1312
	v_fma_f64 v[188:189], v[188:189], v[22:23], v[200:201]
	v_fma_f64 v[22:23], v[186:187], v[22:23], -v[24:25]
	v_add_f64 v[24:25], v[198:199], v[202:203]
	v_add_f64 v[186:187], v[194:195], v[196:197]
	s_waitcnt vmcnt(7) lgkmcnt(0)
	v_mul_f64 v[194:195], v[190:191], v[32:33]
	v_mul_f64 v[32:33], v[192:193], v[32:33]
	v_fma_f64 v[196:197], v[4:5], v[26:27], v[204:205]
	v_fma_f64 v[26:27], v[2:3], v[26:27], -v[28:29]
	v_add_f64 v[28:29], v[24:25], v[22:23]
	v_add_f64 v[186:187], v[186:187], v[188:189]
	ds_load_b128 v[2:5], v1 offset:1328
	ds_load_b128 v[22:25], v1 offset:1344
	v_fma_f64 v[192:193], v[192:193], v[30:31], v[194:195]
	v_fma_f64 v[30:31], v[190:191], v[30:31], -v[32:33]
	s_waitcnt vmcnt(6) lgkmcnt(1)
	v_mul_f64 v[188:189], v[2:3], v[40:41]
	v_mul_f64 v[40:41], v[4:5], v[40:41]
	s_waitcnt vmcnt(5) lgkmcnt(0)
	v_mul_f64 v[32:33], v[22:23], v[184:185]
	v_mul_f64 v[184:185], v[24:25], v[184:185]
	v_add_f64 v[26:27], v[28:29], v[26:27]
	v_add_f64 v[28:29], v[186:187], v[196:197]
	v_fma_f64 v[186:187], v[4:5], v[38:39], v[188:189]
	v_fma_f64 v[38:39], v[2:3], v[38:39], -v[40:41]
	v_fma_f64 v[24:25], v[24:25], v[182:183], v[32:33]
	v_fma_f64 v[22:23], v[22:23], v[182:183], -v[184:185]
	v_add_f64 v[30:31], v[26:27], v[30:31]
	v_add_f64 v[40:41], v[28:29], v[192:193]
	ds_load_b128 v[2:5], v1 offset:1360
	ds_load_b128 v[26:29], v1 offset:1376
	s_waitcnt vmcnt(4) lgkmcnt(1)
	v_mul_f64 v[188:189], v[2:3], v[36:37]
	v_mul_f64 v[36:37], v[4:5], v[36:37]
	v_add_f64 v[30:31], v[30:31], v[38:39]
	v_add_f64 v[32:33], v[40:41], v[186:187]
	s_waitcnt vmcnt(3) lgkmcnt(0)
	v_mul_f64 v[38:39], v[26:27], v[8:9]
	v_mul_f64 v[8:9], v[28:29], v[8:9]
	v_fma_f64 v[40:41], v[4:5], v[34:35], v[188:189]
	v_fma_f64 v[34:35], v[2:3], v[34:35], -v[36:37]
	v_add_f64 v[30:31], v[30:31], v[22:23]
	v_add_f64 v[32:33], v[32:33], v[24:25]
	ds_load_b128 v[2:5], v1 offset:1392
	ds_load_b128 v[22:25], v1 offset:1408
	v_fma_f64 v[28:29], v[28:29], v[6:7], v[38:39]
	v_fma_f64 v[6:7], v[26:27], v[6:7], -v[8:9]
	s_waitcnt vmcnt(2) lgkmcnt(1)
	v_mul_f64 v[36:37], v[2:3], v[12:13]
	v_mul_f64 v[12:13], v[4:5], v[12:13]
	v_add_f64 v[8:9], v[30:31], v[34:35]
	v_add_f64 v[26:27], v[32:33], v[40:41]
	s_waitcnt vmcnt(1) lgkmcnt(0)
	v_mul_f64 v[30:31], v[22:23], v[16:17]
	v_mul_f64 v[16:17], v[24:25], v[16:17]
	v_fma_f64 v[32:33], v[4:5], v[10:11], v[36:37]
	v_fma_f64 v[10:11], v[2:3], v[10:11], -v[12:13]
	ds_load_b128 v[2:5], v1 offset:1424
	v_add_f64 v[6:7], v[8:9], v[6:7]
	v_add_f64 v[8:9], v[26:27], v[28:29]
	v_fma_f64 v[24:25], v[24:25], v[14:15], v[30:31]
	v_fma_f64 v[14:15], v[22:23], v[14:15], -v[16:17]
	s_waitcnt vmcnt(0) lgkmcnt(0)
	v_mul_f64 v[12:13], v[2:3], v[20:21]
	v_mul_f64 v[20:21], v[4:5], v[20:21]
	v_add_f64 v[6:7], v[6:7], v[10:11]
	v_add_f64 v[8:9], v[8:9], v[32:33]
	s_delay_alu instid0(VALU_DEP_4) | instskip(NEXT) | instid1(VALU_DEP_4)
	v_fma_f64 v[4:5], v[4:5], v[18:19], v[12:13]
	v_fma_f64 v[2:3], v[2:3], v[18:19], -v[20:21]
	s_delay_alu instid0(VALU_DEP_4) | instskip(NEXT) | instid1(VALU_DEP_4)
	v_add_f64 v[6:7], v[6:7], v[14:15]
	v_add_f64 v[8:9], v[8:9], v[24:25]
	s_delay_alu instid0(VALU_DEP_2) | instskip(NEXT) | instid1(VALU_DEP_2)
	v_add_f64 v[2:3], v[6:7], v[2:3]
	v_add_f64 v[4:5], v[8:9], v[4:5]
	s_delay_alu instid0(VALU_DEP_2) | instskip(NEXT) | instid1(VALU_DEP_2)
	v_add_f64 v[2:3], v[42:43], -v[2:3]
	v_add_f64 v[4:5], v[44:45], -v[4:5]
	scratch_store_b128 off, v[2:5], off offset:304
	v_cmpx_lt_u32_e32 18, v136
	s_cbranch_execz .LBB44_247
; %bb.246:
	scratch_load_b128 v[5:8], v162, off
	v_mov_b32_e32 v2, v1
	v_mov_b32_e32 v3, v1
	;; [unrolled: 1-line block ×3, first 2 shown]
	scratch_store_b128 off, v[1:4], off offset:288
	s_waitcnt vmcnt(0)
	ds_store_b128 v181, v[5:8]
.LBB44_247:
	s_or_b32 exec_lo, exec_lo, s2
	s_waitcnt lgkmcnt(0)
	s_waitcnt_vscnt null, 0x0
	s_barrier
	buffer_gl0_inv
	s_clause 0x8
	scratch_load_b128 v[2:5], off, off offset:304
	scratch_load_b128 v[6:9], off, off offset:320
	;; [unrolled: 1-line block ×9, first 2 shown]
	ds_load_b128 v[38:41], v1 offset:1024
	ds_load_b128 v[42:45], v1 offset:1040
	s_clause 0x1
	scratch_load_b128 v[182:185], off, off offset:288
	scratch_load_b128 v[186:189], off, off offset:448
	s_mov_b32 s2, exec_lo
	s_waitcnt vmcnt(10) lgkmcnt(1)
	v_mul_f64 v[190:191], v[40:41], v[4:5]
	v_mul_f64 v[4:5], v[38:39], v[4:5]
	s_waitcnt vmcnt(9) lgkmcnt(0)
	v_mul_f64 v[194:195], v[42:43], v[8:9]
	v_mul_f64 v[8:9], v[44:45], v[8:9]
	s_delay_alu instid0(VALU_DEP_4) | instskip(NEXT) | instid1(VALU_DEP_4)
	v_fma_f64 v[196:197], v[38:39], v[2:3], -v[190:191]
	v_fma_f64 v[198:199], v[40:41], v[2:3], v[4:5]
	ds_load_b128 v[2:5], v1 offset:1056
	ds_load_b128 v[190:193], v1 offset:1072
	scratch_load_b128 v[38:41], off, off offset:464
	v_fma_f64 v[44:45], v[44:45], v[6:7], v[194:195]
	v_fma_f64 v[42:43], v[42:43], v[6:7], -v[8:9]
	scratch_load_b128 v[6:9], off, off offset:480
	s_waitcnt vmcnt(10) lgkmcnt(1)
	v_mul_f64 v[200:201], v[2:3], v[12:13]
	v_mul_f64 v[12:13], v[4:5], v[12:13]
	v_add_f64 v[194:195], v[196:197], 0
	v_add_f64 v[196:197], v[198:199], 0
	s_waitcnt vmcnt(9) lgkmcnt(0)
	v_mul_f64 v[198:199], v[190:191], v[16:17]
	v_mul_f64 v[16:17], v[192:193], v[16:17]
	v_fma_f64 v[200:201], v[4:5], v[10:11], v[200:201]
	v_fma_f64 v[202:203], v[2:3], v[10:11], -v[12:13]
	ds_load_b128 v[2:5], v1 offset:1088
	scratch_load_b128 v[10:13], off, off offset:496
	v_add_f64 v[194:195], v[194:195], v[42:43]
	v_add_f64 v[196:197], v[196:197], v[44:45]
	ds_load_b128 v[42:45], v1 offset:1104
	v_fma_f64 v[192:193], v[192:193], v[14:15], v[198:199]
	v_fma_f64 v[190:191], v[190:191], v[14:15], -v[16:17]
	scratch_load_b128 v[14:17], off, off offset:512
	s_waitcnt vmcnt(10) lgkmcnt(1)
	v_mul_f64 v[204:205], v[2:3], v[20:21]
	v_mul_f64 v[20:21], v[4:5], v[20:21]
	s_waitcnt vmcnt(9) lgkmcnt(0)
	v_mul_f64 v[198:199], v[42:43], v[24:25]
	v_mul_f64 v[24:25], v[44:45], v[24:25]
	v_add_f64 v[194:195], v[194:195], v[202:203]
	v_add_f64 v[196:197], v[196:197], v[200:201]
	v_fma_f64 v[200:201], v[4:5], v[18:19], v[204:205]
	v_fma_f64 v[202:203], v[2:3], v[18:19], -v[20:21]
	ds_load_b128 v[2:5], v1 offset:1120
	scratch_load_b128 v[18:21], off, off offset:528
	v_fma_f64 v[44:45], v[44:45], v[22:23], v[198:199]
	v_fma_f64 v[42:43], v[42:43], v[22:23], -v[24:25]
	scratch_load_b128 v[22:25], off, off offset:544
	v_add_f64 v[194:195], v[194:195], v[190:191]
	v_add_f64 v[196:197], v[196:197], v[192:193]
	ds_load_b128 v[190:193], v1 offset:1136
	s_waitcnt vmcnt(10) lgkmcnt(1)
	v_mul_f64 v[204:205], v[2:3], v[28:29]
	v_mul_f64 v[28:29], v[4:5], v[28:29]
	s_waitcnt vmcnt(9) lgkmcnt(0)
	v_mul_f64 v[198:199], v[190:191], v[32:33]
	v_mul_f64 v[32:33], v[192:193], v[32:33]
	v_add_f64 v[194:195], v[194:195], v[202:203]
	v_add_f64 v[196:197], v[196:197], v[200:201]
	v_fma_f64 v[200:201], v[4:5], v[26:27], v[204:205]
	v_fma_f64 v[202:203], v[2:3], v[26:27], -v[28:29]
	ds_load_b128 v[2:5], v1 offset:1152
	scratch_load_b128 v[26:29], off, off offset:560
	v_fma_f64 v[192:193], v[192:193], v[30:31], v[198:199]
	v_fma_f64 v[190:191], v[190:191], v[30:31], -v[32:33]
	scratch_load_b128 v[30:33], off, off offset:576
	v_add_f64 v[194:195], v[194:195], v[42:43]
	v_add_f64 v[196:197], v[196:197], v[44:45]
	ds_load_b128 v[42:45], v1 offset:1168
	s_waitcnt vmcnt(10) lgkmcnt(1)
	v_mul_f64 v[204:205], v[2:3], v[36:37]
	v_mul_f64 v[36:37], v[4:5], v[36:37]
	s_waitcnt vmcnt(8) lgkmcnt(0)
	v_mul_f64 v[198:199], v[42:43], v[188:189]
	v_add_f64 v[194:195], v[194:195], v[202:203]
	v_add_f64 v[196:197], v[196:197], v[200:201]
	v_mul_f64 v[200:201], v[44:45], v[188:189]
	v_fma_f64 v[202:203], v[4:5], v[34:35], v[204:205]
	v_fma_f64 v[204:205], v[2:3], v[34:35], -v[36:37]
	ds_load_b128 v[2:5], v1 offset:1184
	scratch_load_b128 v[34:37], off, off offset:592
	v_fma_f64 v[44:45], v[44:45], v[186:187], v[198:199]
	v_add_f64 v[194:195], v[194:195], v[190:191]
	v_add_f64 v[192:193], v[196:197], v[192:193]
	ds_load_b128 v[188:191], v1 offset:1200
	v_fma_f64 v[186:187], v[42:43], v[186:187], -v[200:201]
	s_waitcnt vmcnt(8) lgkmcnt(1)
	v_mul_f64 v[196:197], v[2:3], v[40:41]
	v_mul_f64 v[206:207], v[4:5], v[40:41]
	scratch_load_b128 v[40:43], off, off offset:608
	s_waitcnt vmcnt(8) lgkmcnt(0)
	v_mul_f64 v[200:201], v[188:189], v[8:9]
	v_mul_f64 v[8:9], v[190:191], v[8:9]
	v_add_f64 v[194:195], v[194:195], v[204:205]
	v_add_f64 v[192:193], v[192:193], v[202:203]
	v_fma_f64 v[202:203], v[4:5], v[38:39], v[196:197]
	v_fma_f64 v[38:39], v[2:3], v[38:39], -v[206:207]
	ds_load_b128 v[2:5], v1 offset:1216
	ds_load_b128 v[196:199], v1 offset:1232
	v_fma_f64 v[190:191], v[190:191], v[6:7], v[200:201]
	v_fma_f64 v[188:189], v[188:189], v[6:7], -v[8:9]
	scratch_load_b128 v[6:9], off, off offset:640
	v_add_f64 v[186:187], v[194:195], v[186:187]
	v_add_f64 v[44:45], v[192:193], v[44:45]
	scratch_load_b128 v[192:195], off, off offset:624
	s_waitcnt vmcnt(9) lgkmcnt(1)
	v_mul_f64 v[204:205], v[2:3], v[12:13]
	v_mul_f64 v[12:13], v[4:5], v[12:13]
	s_waitcnt vmcnt(8) lgkmcnt(0)
	v_mul_f64 v[200:201], v[196:197], v[16:17]
	v_mul_f64 v[16:17], v[198:199], v[16:17]
	v_add_f64 v[38:39], v[186:187], v[38:39]
	v_add_f64 v[44:45], v[44:45], v[202:203]
	v_fma_f64 v[202:203], v[4:5], v[10:11], v[204:205]
	v_fma_f64 v[204:205], v[2:3], v[10:11], -v[12:13]
	ds_load_b128 v[2:5], v1 offset:1248
	scratch_load_b128 v[10:13], off, off offset:656
	v_fma_f64 v[198:199], v[198:199], v[14:15], v[200:201]
	v_fma_f64 v[196:197], v[196:197], v[14:15], -v[16:17]
	scratch_load_b128 v[14:17], off, off offset:672
	v_add_f64 v[38:39], v[38:39], v[188:189]
	v_add_f64 v[44:45], v[44:45], v[190:191]
	ds_load_b128 v[186:189], v1 offset:1264
	s_waitcnt vmcnt(9) lgkmcnt(1)
	v_mul_f64 v[190:191], v[2:3], v[20:21]
	v_mul_f64 v[20:21], v[4:5], v[20:21]
	s_waitcnt vmcnt(8) lgkmcnt(0)
	v_mul_f64 v[200:201], v[186:187], v[24:25]
	v_mul_f64 v[24:25], v[188:189], v[24:25]
	v_add_f64 v[38:39], v[38:39], v[204:205]
	v_add_f64 v[44:45], v[44:45], v[202:203]
	v_fma_f64 v[190:191], v[4:5], v[18:19], v[190:191]
	v_fma_f64 v[202:203], v[2:3], v[18:19], -v[20:21]
	ds_load_b128 v[2:5], v1 offset:1280
	scratch_load_b128 v[18:21], off, off offset:688
	v_fma_f64 v[188:189], v[188:189], v[22:23], v[200:201]
	v_fma_f64 v[186:187], v[186:187], v[22:23], -v[24:25]
	scratch_load_b128 v[22:25], off, off offset:704
	v_add_f64 v[38:39], v[38:39], v[196:197]
	v_add_f64 v[44:45], v[44:45], v[198:199]
	ds_load_b128 v[196:199], v1 offset:1296
	s_waitcnt vmcnt(9) lgkmcnt(1)
	v_mul_f64 v[204:205], v[2:3], v[28:29]
	v_mul_f64 v[28:29], v[4:5], v[28:29]
	v_add_f64 v[38:39], v[38:39], v[202:203]
	v_add_f64 v[44:45], v[44:45], v[190:191]
	s_waitcnt vmcnt(8) lgkmcnt(0)
	v_mul_f64 v[190:191], v[196:197], v[32:33]
	v_mul_f64 v[32:33], v[198:199], v[32:33]
	v_fma_f64 v[200:201], v[4:5], v[26:27], v[204:205]
	v_fma_f64 v[202:203], v[2:3], v[26:27], -v[28:29]
	ds_load_b128 v[2:5], v1 offset:1312
	ds_load_b128 v[26:29], v1 offset:1328
	v_add_f64 v[38:39], v[38:39], v[186:187]
	v_add_f64 v[44:45], v[44:45], v[188:189]
	s_waitcnt vmcnt(7) lgkmcnt(1)
	v_mul_f64 v[186:187], v[2:3], v[36:37]
	v_mul_f64 v[36:37], v[4:5], v[36:37]
	v_fma_f64 v[188:189], v[198:199], v[30:31], v[190:191]
	v_fma_f64 v[30:31], v[196:197], v[30:31], -v[32:33]
	v_add_f64 v[32:33], v[38:39], v[202:203]
	v_add_f64 v[38:39], v[44:45], v[200:201]
	s_waitcnt vmcnt(6) lgkmcnt(0)
	v_mul_f64 v[44:45], v[26:27], v[42:43]
	v_mul_f64 v[42:43], v[28:29], v[42:43]
	v_fma_f64 v[186:187], v[4:5], v[34:35], v[186:187]
	v_fma_f64 v[34:35], v[2:3], v[34:35], -v[36:37]
	v_add_f64 v[36:37], v[32:33], v[30:31]
	v_add_f64 v[38:39], v[38:39], v[188:189]
	ds_load_b128 v[2:5], v1 offset:1344
	ds_load_b128 v[30:33], v1 offset:1360
	v_fma_f64 v[28:29], v[28:29], v[40:41], v[44:45]
	v_fma_f64 v[26:27], v[26:27], v[40:41], -v[42:43]
	s_waitcnt vmcnt(4) lgkmcnt(1)
	v_mul_f64 v[188:189], v[2:3], v[194:195]
	v_mul_f64 v[190:191], v[4:5], v[194:195]
	v_add_f64 v[34:35], v[36:37], v[34:35]
	v_add_f64 v[36:37], v[38:39], v[186:187]
	s_waitcnt lgkmcnt(0)
	v_mul_f64 v[38:39], v[30:31], v[8:9]
	v_mul_f64 v[8:9], v[32:33], v[8:9]
	v_fma_f64 v[40:41], v[4:5], v[192:193], v[188:189]
	v_fma_f64 v[42:43], v[2:3], v[192:193], -v[190:191]
	v_add_f64 v[34:35], v[34:35], v[26:27]
	v_add_f64 v[36:37], v[36:37], v[28:29]
	ds_load_b128 v[2:5], v1 offset:1376
	ds_load_b128 v[26:29], v1 offset:1392
	v_fma_f64 v[32:33], v[32:33], v[6:7], v[38:39]
	v_fma_f64 v[6:7], v[30:31], v[6:7], -v[8:9]
	s_waitcnt vmcnt(3) lgkmcnt(1)
	v_mul_f64 v[44:45], v[2:3], v[12:13]
	v_mul_f64 v[12:13], v[4:5], v[12:13]
	v_add_f64 v[8:9], v[34:35], v[42:43]
	v_add_f64 v[30:31], v[36:37], v[40:41]
	s_waitcnt vmcnt(2) lgkmcnt(0)
	v_mul_f64 v[34:35], v[26:27], v[16:17]
	v_mul_f64 v[16:17], v[28:29], v[16:17]
	v_fma_f64 v[36:37], v[4:5], v[10:11], v[44:45]
	v_fma_f64 v[10:11], v[2:3], v[10:11], -v[12:13]
	v_add_f64 v[12:13], v[8:9], v[6:7]
	v_add_f64 v[30:31], v[30:31], v[32:33]
	ds_load_b128 v[2:5], v1 offset:1408
	ds_load_b128 v[6:9], v1 offset:1424
	v_fma_f64 v[28:29], v[28:29], v[14:15], v[34:35]
	v_fma_f64 v[14:15], v[26:27], v[14:15], -v[16:17]
	s_waitcnt vmcnt(1) lgkmcnt(1)
	v_mul_f64 v[32:33], v[2:3], v[20:21]
	v_mul_f64 v[20:21], v[4:5], v[20:21]
	s_waitcnt vmcnt(0) lgkmcnt(0)
	v_mul_f64 v[16:17], v[6:7], v[24:25]
	v_mul_f64 v[24:25], v[8:9], v[24:25]
	v_add_f64 v[10:11], v[12:13], v[10:11]
	v_add_f64 v[12:13], v[30:31], v[36:37]
	v_fma_f64 v[4:5], v[4:5], v[18:19], v[32:33]
	v_fma_f64 v[1:2], v[2:3], v[18:19], -v[20:21]
	v_fma_f64 v[8:9], v[8:9], v[22:23], v[16:17]
	v_fma_f64 v[6:7], v[6:7], v[22:23], -v[24:25]
	v_add_f64 v[10:11], v[10:11], v[14:15]
	v_add_f64 v[12:13], v[12:13], v[28:29]
	s_delay_alu instid0(VALU_DEP_2) | instskip(NEXT) | instid1(VALU_DEP_2)
	v_add_f64 v[1:2], v[10:11], v[1:2]
	v_add_f64 v[3:4], v[12:13], v[4:5]
	s_delay_alu instid0(VALU_DEP_2) | instskip(NEXT) | instid1(VALU_DEP_2)
	;; [unrolled: 3-line block ×3, first 2 shown]
	v_add_f64 v[1:2], v[182:183], -v[1:2]
	v_add_f64 v[3:4], v[184:185], -v[3:4]
	scratch_store_b128 off, v[1:4], off offset:288
	v_cmpx_lt_u32_e32 17, v136
	s_cbranch_execz .LBB44_249
; %bb.248:
	scratch_load_b128 v[1:4], v164, off
	v_mov_b32_e32 v5, 0
	s_delay_alu instid0(VALU_DEP_1)
	v_mov_b32_e32 v6, v5
	v_mov_b32_e32 v7, v5
	;; [unrolled: 1-line block ×3, first 2 shown]
	scratch_store_b128 off, v[5:8], off offset:272
	s_waitcnt vmcnt(0)
	ds_store_b128 v181, v[1:4]
.LBB44_249:
	s_or_b32 exec_lo, exec_lo, s2
	s_waitcnt lgkmcnt(0)
	s_waitcnt_vscnt null, 0x0
	s_barrier
	buffer_gl0_inv
	s_clause 0x7
	scratch_load_b128 v[2:5], off, off offset:288
	scratch_load_b128 v[6:9], off, off offset:304
	;; [unrolled: 1-line block ×8, first 2 shown]
	v_mov_b32_e32 v1, 0
	s_mov_b32 s2, exec_lo
	ds_load_b128 v[38:41], v1 offset:1008
	s_clause 0x1
	scratch_load_b128 v[34:37], off, off offset:416
	scratch_load_b128 v[42:45], off, off offset:272
	ds_load_b128 v[182:185], v1 offset:1024
	scratch_load_b128 v[186:189], off, off offset:432
	s_waitcnt vmcnt(10) lgkmcnt(1)
	v_mul_f64 v[190:191], v[40:41], v[4:5]
	v_mul_f64 v[4:5], v[38:39], v[4:5]
	s_delay_alu instid0(VALU_DEP_2) | instskip(NEXT) | instid1(VALU_DEP_2)
	v_fma_f64 v[196:197], v[38:39], v[2:3], -v[190:191]
	v_fma_f64 v[198:199], v[40:41], v[2:3], v[4:5]
	scratch_load_b128 v[38:41], off, off offset:448
	ds_load_b128 v[2:5], v1 offset:1040
	s_waitcnt vmcnt(10) lgkmcnt(1)
	v_mul_f64 v[194:195], v[182:183], v[8:9]
	v_mul_f64 v[8:9], v[184:185], v[8:9]
	ds_load_b128 v[190:193], v1 offset:1056
	s_waitcnt vmcnt(9) lgkmcnt(1)
	v_mul_f64 v[200:201], v[2:3], v[12:13]
	v_mul_f64 v[12:13], v[4:5], v[12:13]
	v_fma_f64 v[184:185], v[184:185], v[6:7], v[194:195]
	v_fma_f64 v[182:183], v[182:183], v[6:7], -v[8:9]
	v_add_f64 v[194:195], v[196:197], 0
	v_add_f64 v[196:197], v[198:199], 0
	scratch_load_b128 v[6:9], off, off offset:464
	v_fma_f64 v[200:201], v[4:5], v[10:11], v[200:201]
	v_fma_f64 v[202:203], v[2:3], v[10:11], -v[12:13]
	scratch_load_b128 v[10:13], off, off offset:480
	ds_load_b128 v[2:5], v1 offset:1072
	s_waitcnt vmcnt(10) lgkmcnt(1)
	v_mul_f64 v[198:199], v[190:191], v[16:17]
	v_mul_f64 v[16:17], v[192:193], v[16:17]
	v_add_f64 v[194:195], v[194:195], v[182:183]
	v_add_f64 v[196:197], v[196:197], v[184:185]
	s_waitcnt vmcnt(9) lgkmcnt(0)
	v_mul_f64 v[204:205], v[2:3], v[20:21]
	v_mul_f64 v[20:21], v[4:5], v[20:21]
	ds_load_b128 v[182:185], v1 offset:1088
	v_fma_f64 v[192:193], v[192:193], v[14:15], v[198:199]
	v_fma_f64 v[190:191], v[190:191], v[14:15], -v[16:17]
	scratch_load_b128 v[14:17], off, off offset:496
	v_add_f64 v[194:195], v[194:195], v[202:203]
	v_add_f64 v[196:197], v[196:197], v[200:201]
	v_fma_f64 v[200:201], v[4:5], v[18:19], v[204:205]
	v_fma_f64 v[202:203], v[2:3], v[18:19], -v[20:21]
	scratch_load_b128 v[18:21], off, off offset:512
	ds_load_b128 v[2:5], v1 offset:1104
	s_waitcnt vmcnt(10) lgkmcnt(1)
	v_mul_f64 v[198:199], v[182:183], v[24:25]
	v_mul_f64 v[24:25], v[184:185], v[24:25]
	s_waitcnt vmcnt(9) lgkmcnt(0)
	v_mul_f64 v[204:205], v[2:3], v[28:29]
	v_mul_f64 v[28:29], v[4:5], v[28:29]
	v_add_f64 v[194:195], v[194:195], v[190:191]
	v_add_f64 v[196:197], v[196:197], v[192:193]
	ds_load_b128 v[190:193], v1 offset:1120
	v_fma_f64 v[184:185], v[184:185], v[22:23], v[198:199]
	v_fma_f64 v[182:183], v[182:183], v[22:23], -v[24:25]
	scratch_load_b128 v[22:25], off, off offset:528
	v_add_f64 v[194:195], v[194:195], v[202:203]
	v_add_f64 v[196:197], v[196:197], v[200:201]
	v_fma_f64 v[200:201], v[4:5], v[26:27], v[204:205]
	v_fma_f64 v[202:203], v[2:3], v[26:27], -v[28:29]
	scratch_load_b128 v[26:29], off, off offset:544
	ds_load_b128 v[2:5], v1 offset:1136
	s_waitcnt vmcnt(10) lgkmcnt(1)
	v_mul_f64 v[198:199], v[190:191], v[32:33]
	v_mul_f64 v[32:33], v[192:193], v[32:33]
	s_waitcnt vmcnt(9) lgkmcnt(0)
	v_mul_f64 v[204:205], v[2:3], v[36:37]
	v_mul_f64 v[36:37], v[4:5], v[36:37]
	v_add_f64 v[194:195], v[194:195], v[182:183]
	v_add_f64 v[196:197], v[196:197], v[184:185]
	ds_load_b128 v[182:185], v1 offset:1152
	v_fma_f64 v[192:193], v[192:193], v[30:31], v[198:199]
	v_fma_f64 v[190:191], v[190:191], v[30:31], -v[32:33]
	scratch_load_b128 v[30:33], off, off offset:560
	v_add_f64 v[194:195], v[194:195], v[202:203]
	v_add_f64 v[196:197], v[196:197], v[200:201]
	v_fma_f64 v[202:203], v[4:5], v[34:35], v[204:205]
	v_fma_f64 v[204:205], v[2:3], v[34:35], -v[36:37]
	scratch_load_b128 v[34:37], off, off offset:576
	ds_load_b128 v[2:5], v1 offset:1168
	s_waitcnt vmcnt(9) lgkmcnt(1)
	v_mul_f64 v[198:199], v[182:183], v[188:189]
	v_mul_f64 v[200:201], v[184:185], v[188:189]
	v_add_f64 v[194:195], v[194:195], v[190:191]
	v_add_f64 v[192:193], v[196:197], v[192:193]
	ds_load_b128 v[188:191], v1 offset:1184
	v_fma_f64 v[198:199], v[184:185], v[186:187], v[198:199]
	v_fma_f64 v[186:187], v[182:183], v[186:187], -v[200:201]
	scratch_load_b128 v[182:185], off, off offset:592
	s_waitcnt vmcnt(9) lgkmcnt(1)
	v_mul_f64 v[196:197], v[2:3], v[40:41]
	v_mul_f64 v[40:41], v[4:5], v[40:41]
	v_add_f64 v[194:195], v[194:195], v[204:205]
	v_add_f64 v[192:193], v[192:193], v[202:203]
	s_delay_alu instid0(VALU_DEP_4) | instskip(NEXT) | instid1(VALU_DEP_4)
	v_fma_f64 v[196:197], v[4:5], v[38:39], v[196:197]
	v_fma_f64 v[202:203], v[2:3], v[38:39], -v[40:41]
	scratch_load_b128 v[38:41], off, off offset:608
	ds_load_b128 v[2:5], v1 offset:1200
	s_waitcnt vmcnt(9) lgkmcnt(1)
	v_mul_f64 v[200:201], v[188:189], v[8:9]
	v_mul_f64 v[8:9], v[190:191], v[8:9]
	s_waitcnt vmcnt(8) lgkmcnt(0)
	v_mul_f64 v[204:205], v[2:3], v[12:13]
	v_mul_f64 v[12:13], v[4:5], v[12:13]
	v_add_f64 v[186:187], v[194:195], v[186:187]
	v_add_f64 v[198:199], v[192:193], v[198:199]
	ds_load_b128 v[192:195], v1 offset:1216
	v_fma_f64 v[190:191], v[190:191], v[6:7], v[200:201]
	v_fma_f64 v[188:189], v[188:189], v[6:7], -v[8:9]
	scratch_load_b128 v[6:9], off, off offset:624
	v_fma_f64 v[200:201], v[4:5], v[10:11], v[204:205]
	v_add_f64 v[186:187], v[186:187], v[202:203]
	v_add_f64 v[196:197], v[198:199], v[196:197]
	v_fma_f64 v[202:203], v[2:3], v[10:11], -v[12:13]
	scratch_load_b128 v[10:13], off, off offset:640
	ds_load_b128 v[2:5], v1 offset:1232
	s_waitcnt vmcnt(9) lgkmcnt(1)
	v_mul_f64 v[198:199], v[192:193], v[16:17]
	v_mul_f64 v[16:17], v[194:195], v[16:17]
	v_add_f64 v[204:205], v[186:187], v[188:189]
	v_add_f64 v[190:191], v[196:197], v[190:191]
	s_waitcnt vmcnt(8) lgkmcnt(0)
	v_mul_f64 v[196:197], v[2:3], v[20:21]
	v_mul_f64 v[20:21], v[4:5], v[20:21]
	ds_load_b128 v[186:189], v1 offset:1248
	v_fma_f64 v[194:195], v[194:195], v[14:15], v[198:199]
	v_fma_f64 v[192:193], v[192:193], v[14:15], -v[16:17]
	scratch_load_b128 v[14:17], off, off offset:656
	v_add_f64 v[198:199], v[204:205], v[202:203]
	v_add_f64 v[190:191], v[190:191], v[200:201]
	v_fma_f64 v[196:197], v[4:5], v[18:19], v[196:197]
	v_fma_f64 v[202:203], v[2:3], v[18:19], -v[20:21]
	scratch_load_b128 v[18:21], off, off offset:672
	ds_load_b128 v[2:5], v1 offset:1264
	s_waitcnt vmcnt(9) lgkmcnt(1)
	v_mul_f64 v[200:201], v[186:187], v[24:25]
	v_mul_f64 v[24:25], v[188:189], v[24:25]
	s_waitcnt vmcnt(8) lgkmcnt(0)
	v_mul_f64 v[204:205], v[2:3], v[28:29]
	v_mul_f64 v[28:29], v[4:5], v[28:29]
	v_add_f64 v[198:199], v[198:199], v[192:193]
	v_add_f64 v[194:195], v[190:191], v[194:195]
	ds_load_b128 v[190:193], v1 offset:1280
	v_fma_f64 v[188:189], v[188:189], v[22:23], v[200:201]
	v_fma_f64 v[186:187], v[186:187], v[22:23], -v[24:25]
	scratch_load_b128 v[22:25], off, off offset:688
	v_fma_f64 v[200:201], v[4:5], v[26:27], v[204:205]
	v_add_f64 v[198:199], v[198:199], v[202:203]
	v_add_f64 v[194:195], v[194:195], v[196:197]
	v_fma_f64 v[202:203], v[2:3], v[26:27], -v[28:29]
	scratch_load_b128 v[26:29], off, off offset:704
	ds_load_b128 v[2:5], v1 offset:1296
	s_waitcnt vmcnt(9) lgkmcnt(1)
	v_mul_f64 v[196:197], v[190:191], v[32:33]
	v_mul_f64 v[32:33], v[192:193], v[32:33]
	s_waitcnt vmcnt(8) lgkmcnt(0)
	v_mul_f64 v[204:205], v[2:3], v[36:37]
	v_mul_f64 v[36:37], v[4:5], v[36:37]
	v_add_f64 v[198:199], v[198:199], v[186:187]
	v_add_f64 v[194:195], v[194:195], v[188:189]
	ds_load_b128 v[186:189], v1 offset:1312
	v_fma_f64 v[192:193], v[192:193], v[30:31], v[196:197]
	v_fma_f64 v[30:31], v[190:191], v[30:31], -v[32:33]
	v_fma_f64 v[196:197], v[4:5], v[34:35], v[204:205]
	v_fma_f64 v[34:35], v[2:3], v[34:35], -v[36:37]
	v_add_f64 v[32:33], v[198:199], v[202:203]
	v_add_f64 v[190:191], v[194:195], v[200:201]
	s_waitcnt vmcnt(7) lgkmcnt(0)
	v_mul_f64 v[194:195], v[186:187], v[184:185]
	v_mul_f64 v[184:185], v[188:189], v[184:185]
	s_delay_alu instid0(VALU_DEP_4) | instskip(NEXT) | instid1(VALU_DEP_4)
	v_add_f64 v[36:37], v[32:33], v[30:31]
	v_add_f64 v[190:191], v[190:191], v[192:193]
	ds_load_b128 v[2:5], v1 offset:1328
	ds_load_b128 v[30:33], v1 offset:1344
	v_fma_f64 v[188:189], v[188:189], v[182:183], v[194:195]
	v_fma_f64 v[182:183], v[186:187], v[182:183], -v[184:185]
	s_waitcnt vmcnt(6) lgkmcnt(1)
	v_mul_f64 v[192:193], v[2:3], v[40:41]
	v_mul_f64 v[40:41], v[4:5], v[40:41]
	s_waitcnt vmcnt(5) lgkmcnt(0)
	v_mul_f64 v[184:185], v[30:31], v[8:9]
	v_mul_f64 v[8:9], v[32:33], v[8:9]
	v_add_f64 v[34:35], v[36:37], v[34:35]
	v_add_f64 v[36:37], v[190:191], v[196:197]
	v_fma_f64 v[186:187], v[4:5], v[38:39], v[192:193]
	v_fma_f64 v[38:39], v[2:3], v[38:39], -v[40:41]
	v_fma_f64 v[32:33], v[32:33], v[6:7], v[184:185]
	v_fma_f64 v[6:7], v[30:31], v[6:7], -v[8:9]
	v_add_f64 v[40:41], v[34:35], v[182:183]
	v_add_f64 v[182:183], v[36:37], v[188:189]
	ds_load_b128 v[2:5], v1 offset:1360
	ds_load_b128 v[34:37], v1 offset:1376
	s_waitcnt vmcnt(4) lgkmcnt(1)
	v_mul_f64 v[188:189], v[2:3], v[12:13]
	v_mul_f64 v[12:13], v[4:5], v[12:13]
	v_add_f64 v[8:9], v[40:41], v[38:39]
	v_add_f64 v[30:31], v[182:183], v[186:187]
	s_waitcnt vmcnt(3) lgkmcnt(0)
	v_mul_f64 v[38:39], v[34:35], v[16:17]
	v_mul_f64 v[16:17], v[36:37], v[16:17]
	v_fma_f64 v[40:41], v[4:5], v[10:11], v[188:189]
	v_fma_f64 v[10:11], v[2:3], v[10:11], -v[12:13]
	v_add_f64 v[12:13], v[8:9], v[6:7]
	v_add_f64 v[30:31], v[30:31], v[32:33]
	ds_load_b128 v[2:5], v1 offset:1392
	ds_load_b128 v[6:9], v1 offset:1408
	v_fma_f64 v[36:37], v[36:37], v[14:15], v[38:39]
	v_fma_f64 v[14:15], v[34:35], v[14:15], -v[16:17]
	s_waitcnt vmcnt(2) lgkmcnt(1)
	v_mul_f64 v[32:33], v[2:3], v[20:21]
	v_mul_f64 v[20:21], v[4:5], v[20:21]
	s_waitcnt vmcnt(1) lgkmcnt(0)
	v_mul_f64 v[16:17], v[6:7], v[24:25]
	v_mul_f64 v[24:25], v[8:9], v[24:25]
	v_add_f64 v[10:11], v[12:13], v[10:11]
	v_add_f64 v[12:13], v[30:31], v[40:41]
	v_fma_f64 v[30:31], v[4:5], v[18:19], v[32:33]
	v_fma_f64 v[18:19], v[2:3], v[18:19], -v[20:21]
	ds_load_b128 v[2:5], v1 offset:1424
	v_fma_f64 v[8:9], v[8:9], v[22:23], v[16:17]
	v_fma_f64 v[6:7], v[6:7], v[22:23], -v[24:25]
	v_add_f64 v[10:11], v[10:11], v[14:15]
	v_add_f64 v[12:13], v[12:13], v[36:37]
	s_waitcnt vmcnt(0) lgkmcnt(0)
	v_mul_f64 v[14:15], v[2:3], v[28:29]
	v_mul_f64 v[20:21], v[4:5], v[28:29]
	s_delay_alu instid0(VALU_DEP_4) | instskip(NEXT) | instid1(VALU_DEP_4)
	v_add_f64 v[10:11], v[10:11], v[18:19]
	v_add_f64 v[12:13], v[12:13], v[30:31]
	s_delay_alu instid0(VALU_DEP_4) | instskip(NEXT) | instid1(VALU_DEP_4)
	v_fma_f64 v[4:5], v[4:5], v[26:27], v[14:15]
	v_fma_f64 v[2:3], v[2:3], v[26:27], -v[20:21]
	s_delay_alu instid0(VALU_DEP_4) | instskip(NEXT) | instid1(VALU_DEP_4)
	v_add_f64 v[6:7], v[10:11], v[6:7]
	v_add_f64 v[8:9], v[12:13], v[8:9]
	s_delay_alu instid0(VALU_DEP_2) | instskip(NEXT) | instid1(VALU_DEP_2)
	v_add_f64 v[2:3], v[6:7], v[2:3]
	v_add_f64 v[4:5], v[8:9], v[4:5]
	s_delay_alu instid0(VALU_DEP_2) | instskip(NEXT) | instid1(VALU_DEP_2)
	v_add_f64 v[2:3], v[42:43], -v[2:3]
	v_add_f64 v[4:5], v[44:45], -v[4:5]
	scratch_store_b128 off, v[2:5], off offset:272
	v_cmpx_lt_u32_e32 16, v136
	s_cbranch_execz .LBB44_251
; %bb.250:
	scratch_load_b128 v[5:8], v165, off
	v_mov_b32_e32 v2, v1
	v_mov_b32_e32 v3, v1
	;; [unrolled: 1-line block ×3, first 2 shown]
	scratch_store_b128 off, v[1:4], off offset:256
	s_waitcnt vmcnt(0)
	ds_store_b128 v181, v[5:8]
.LBB44_251:
	s_or_b32 exec_lo, exec_lo, s2
	s_waitcnt lgkmcnt(0)
	s_waitcnt_vscnt null, 0x0
	s_barrier
	buffer_gl0_inv
	s_clause 0x8
	scratch_load_b128 v[2:5], off, off offset:272
	scratch_load_b128 v[6:9], off, off offset:288
	;; [unrolled: 1-line block ×9, first 2 shown]
	ds_load_b128 v[42:45], v1 offset:992
	ds_load_b128 v[38:41], v1 offset:1008
	s_clause 0x1
	scratch_load_b128 v[182:185], off, off offset:256
	scratch_load_b128 v[186:189], off, off offset:416
	s_mov_b32 s2, exec_lo
	s_waitcnt vmcnt(10) lgkmcnt(1)
	v_mul_f64 v[190:191], v[44:45], v[4:5]
	v_mul_f64 v[4:5], v[42:43], v[4:5]
	s_waitcnt vmcnt(9) lgkmcnt(0)
	v_mul_f64 v[194:195], v[38:39], v[8:9]
	v_mul_f64 v[8:9], v[40:41], v[8:9]
	s_delay_alu instid0(VALU_DEP_4) | instskip(NEXT) | instid1(VALU_DEP_4)
	v_fma_f64 v[196:197], v[42:43], v[2:3], -v[190:191]
	v_fma_f64 v[198:199], v[44:45], v[2:3], v[4:5]
	ds_load_b128 v[2:5], v1 offset:1024
	ds_load_b128 v[190:193], v1 offset:1040
	scratch_load_b128 v[42:45], off, off offset:432
	v_fma_f64 v[40:41], v[40:41], v[6:7], v[194:195]
	v_fma_f64 v[38:39], v[38:39], v[6:7], -v[8:9]
	scratch_load_b128 v[6:9], off, off offset:448
	s_waitcnt vmcnt(10) lgkmcnt(1)
	v_mul_f64 v[200:201], v[2:3], v[12:13]
	v_mul_f64 v[12:13], v[4:5], v[12:13]
	v_add_f64 v[194:195], v[196:197], 0
	v_add_f64 v[196:197], v[198:199], 0
	s_waitcnt vmcnt(9) lgkmcnt(0)
	v_mul_f64 v[198:199], v[190:191], v[16:17]
	v_mul_f64 v[16:17], v[192:193], v[16:17]
	v_fma_f64 v[200:201], v[4:5], v[10:11], v[200:201]
	v_fma_f64 v[202:203], v[2:3], v[10:11], -v[12:13]
	ds_load_b128 v[2:5], v1 offset:1056
	scratch_load_b128 v[10:13], off, off offset:464
	v_add_f64 v[194:195], v[194:195], v[38:39]
	v_add_f64 v[196:197], v[196:197], v[40:41]
	ds_load_b128 v[38:41], v1 offset:1072
	v_fma_f64 v[192:193], v[192:193], v[14:15], v[198:199]
	v_fma_f64 v[190:191], v[190:191], v[14:15], -v[16:17]
	scratch_load_b128 v[14:17], off, off offset:480
	s_waitcnt vmcnt(10) lgkmcnt(1)
	v_mul_f64 v[204:205], v[2:3], v[20:21]
	v_mul_f64 v[20:21], v[4:5], v[20:21]
	s_waitcnt vmcnt(9) lgkmcnt(0)
	v_mul_f64 v[198:199], v[38:39], v[24:25]
	v_mul_f64 v[24:25], v[40:41], v[24:25]
	v_add_f64 v[194:195], v[194:195], v[202:203]
	v_add_f64 v[196:197], v[196:197], v[200:201]
	v_fma_f64 v[200:201], v[4:5], v[18:19], v[204:205]
	v_fma_f64 v[202:203], v[2:3], v[18:19], -v[20:21]
	ds_load_b128 v[2:5], v1 offset:1088
	scratch_load_b128 v[18:21], off, off offset:496
	v_fma_f64 v[40:41], v[40:41], v[22:23], v[198:199]
	v_fma_f64 v[38:39], v[38:39], v[22:23], -v[24:25]
	scratch_load_b128 v[22:25], off, off offset:512
	v_add_f64 v[194:195], v[194:195], v[190:191]
	v_add_f64 v[196:197], v[196:197], v[192:193]
	ds_load_b128 v[190:193], v1 offset:1104
	s_waitcnt vmcnt(10) lgkmcnt(1)
	v_mul_f64 v[204:205], v[2:3], v[28:29]
	v_mul_f64 v[28:29], v[4:5], v[28:29]
	s_waitcnt vmcnt(9) lgkmcnt(0)
	v_mul_f64 v[198:199], v[190:191], v[32:33]
	v_mul_f64 v[32:33], v[192:193], v[32:33]
	v_add_f64 v[194:195], v[194:195], v[202:203]
	v_add_f64 v[196:197], v[196:197], v[200:201]
	v_fma_f64 v[200:201], v[4:5], v[26:27], v[204:205]
	v_fma_f64 v[202:203], v[2:3], v[26:27], -v[28:29]
	ds_load_b128 v[2:5], v1 offset:1120
	scratch_load_b128 v[26:29], off, off offset:528
	v_fma_f64 v[192:193], v[192:193], v[30:31], v[198:199]
	v_fma_f64 v[190:191], v[190:191], v[30:31], -v[32:33]
	scratch_load_b128 v[30:33], off, off offset:544
	v_add_f64 v[194:195], v[194:195], v[38:39]
	v_add_f64 v[196:197], v[196:197], v[40:41]
	ds_load_b128 v[38:41], v1 offset:1136
	s_waitcnt vmcnt(10) lgkmcnt(1)
	v_mul_f64 v[204:205], v[2:3], v[36:37]
	v_mul_f64 v[36:37], v[4:5], v[36:37]
	s_waitcnt vmcnt(8) lgkmcnt(0)
	v_mul_f64 v[198:199], v[38:39], v[188:189]
	v_add_f64 v[194:195], v[194:195], v[202:203]
	v_add_f64 v[196:197], v[196:197], v[200:201]
	v_mul_f64 v[200:201], v[40:41], v[188:189]
	v_fma_f64 v[202:203], v[4:5], v[34:35], v[204:205]
	v_fma_f64 v[204:205], v[2:3], v[34:35], -v[36:37]
	ds_load_b128 v[2:5], v1 offset:1152
	scratch_load_b128 v[34:37], off, off offset:560
	v_fma_f64 v[198:199], v[40:41], v[186:187], v[198:199]
	v_add_f64 v[194:195], v[194:195], v[190:191]
	v_add_f64 v[192:193], v[196:197], v[192:193]
	ds_load_b128 v[188:191], v1 offset:1168
	v_fma_f64 v[186:187], v[38:39], v[186:187], -v[200:201]
	scratch_load_b128 v[38:41], off, off offset:576
	s_waitcnt vmcnt(9) lgkmcnt(1)
	v_mul_f64 v[196:197], v[2:3], v[44:45]
	v_mul_f64 v[44:45], v[4:5], v[44:45]
	s_waitcnt vmcnt(8) lgkmcnt(0)
	v_mul_f64 v[200:201], v[188:189], v[8:9]
	v_mul_f64 v[8:9], v[190:191], v[8:9]
	v_add_f64 v[194:195], v[194:195], v[204:205]
	v_add_f64 v[192:193], v[192:193], v[202:203]
	v_fma_f64 v[196:197], v[4:5], v[42:43], v[196:197]
	v_fma_f64 v[202:203], v[2:3], v[42:43], -v[44:45]
	ds_load_b128 v[2:5], v1 offset:1184
	scratch_load_b128 v[42:45], off, off offset:592
	v_fma_f64 v[190:191], v[190:191], v[6:7], v[200:201]
	v_fma_f64 v[188:189], v[188:189], v[6:7], -v[8:9]
	scratch_load_b128 v[6:9], off, off offset:608
	v_add_f64 v[186:187], v[194:195], v[186:187]
	v_add_f64 v[198:199], v[192:193], v[198:199]
	ds_load_b128 v[192:195], v1 offset:1200
	s_waitcnt vmcnt(9) lgkmcnt(1)
	v_mul_f64 v[204:205], v[2:3], v[12:13]
	v_mul_f64 v[12:13], v[4:5], v[12:13]
	v_add_f64 v[186:187], v[186:187], v[202:203]
	v_add_f64 v[196:197], v[198:199], v[196:197]
	s_waitcnt vmcnt(8) lgkmcnt(0)
	v_mul_f64 v[198:199], v[192:193], v[16:17]
	v_mul_f64 v[16:17], v[194:195], v[16:17]
	v_fma_f64 v[200:201], v[4:5], v[10:11], v[204:205]
	v_fma_f64 v[202:203], v[2:3], v[10:11], -v[12:13]
	ds_load_b128 v[2:5], v1 offset:1216
	scratch_load_b128 v[10:13], off, off offset:624
	v_add_f64 v[204:205], v[186:187], v[188:189]
	v_add_f64 v[190:191], v[196:197], v[190:191]
	ds_load_b128 v[186:189], v1 offset:1232
	s_waitcnt vmcnt(8) lgkmcnt(1)
	v_mul_f64 v[196:197], v[2:3], v[20:21]
	v_mul_f64 v[20:21], v[4:5], v[20:21]
	v_fma_f64 v[194:195], v[194:195], v[14:15], v[198:199]
	v_fma_f64 v[192:193], v[192:193], v[14:15], -v[16:17]
	scratch_load_b128 v[14:17], off, off offset:640
	v_add_f64 v[198:199], v[204:205], v[202:203]
	v_add_f64 v[190:191], v[190:191], v[200:201]
	s_waitcnt vmcnt(8) lgkmcnt(0)
	v_mul_f64 v[200:201], v[186:187], v[24:25]
	v_mul_f64 v[24:25], v[188:189], v[24:25]
	v_fma_f64 v[196:197], v[4:5], v[18:19], v[196:197]
	v_fma_f64 v[202:203], v[2:3], v[18:19], -v[20:21]
	ds_load_b128 v[2:5], v1 offset:1248
	scratch_load_b128 v[18:21], off, off offset:656
	v_add_f64 v[198:199], v[198:199], v[192:193]
	v_add_f64 v[194:195], v[190:191], v[194:195]
	ds_load_b128 v[190:193], v1 offset:1264
	s_waitcnt vmcnt(8) lgkmcnt(1)
	v_mul_f64 v[204:205], v[2:3], v[28:29]
	v_mul_f64 v[28:29], v[4:5], v[28:29]
	v_fma_f64 v[188:189], v[188:189], v[22:23], v[200:201]
	v_fma_f64 v[186:187], v[186:187], v[22:23], -v[24:25]
	scratch_load_b128 v[22:25], off, off offset:672
	;; [unrolled: 18-line block ×3, first 2 shown]
	v_add_f64 v[196:197], v[198:199], v[202:203]
	v_add_f64 v[194:195], v[194:195], v[200:201]
	s_waitcnt vmcnt(8) lgkmcnt(0)
	v_mul_f64 v[198:199], v[186:187], v[40:41]
	v_mul_f64 v[40:41], v[188:189], v[40:41]
	v_fma_f64 v[200:201], v[4:5], v[34:35], v[204:205]
	v_fma_f64 v[202:203], v[2:3], v[34:35], -v[36:37]
	ds_load_b128 v[2:5], v1 offset:1312
	ds_load_b128 v[34:37], v1 offset:1328
	v_add_f64 v[190:191], v[196:197], v[190:191]
	v_add_f64 v[192:193], v[194:195], v[192:193]
	s_waitcnt vmcnt(7) lgkmcnt(1)
	v_mul_f64 v[194:195], v[2:3], v[44:45]
	v_mul_f64 v[44:45], v[4:5], v[44:45]
	v_fma_f64 v[188:189], v[188:189], v[38:39], v[198:199]
	v_fma_f64 v[38:39], v[186:187], v[38:39], -v[40:41]
	v_add_f64 v[40:41], v[190:191], v[202:203]
	v_add_f64 v[186:187], v[192:193], v[200:201]
	s_waitcnt vmcnt(6) lgkmcnt(0)
	v_mul_f64 v[190:191], v[34:35], v[8:9]
	v_mul_f64 v[8:9], v[36:37], v[8:9]
	v_fma_f64 v[192:193], v[4:5], v[42:43], v[194:195]
	v_fma_f64 v[42:43], v[2:3], v[42:43], -v[44:45]
	v_add_f64 v[44:45], v[40:41], v[38:39]
	v_add_f64 v[186:187], v[186:187], v[188:189]
	ds_load_b128 v[2:5], v1 offset:1344
	ds_load_b128 v[38:41], v1 offset:1360
	v_fma_f64 v[36:37], v[36:37], v[6:7], v[190:191]
	v_fma_f64 v[6:7], v[34:35], v[6:7], -v[8:9]
	s_waitcnt vmcnt(5) lgkmcnt(1)
	v_mul_f64 v[188:189], v[2:3], v[12:13]
	v_mul_f64 v[12:13], v[4:5], v[12:13]
	v_add_f64 v[8:9], v[44:45], v[42:43]
	v_add_f64 v[34:35], v[186:187], v[192:193]
	s_waitcnt vmcnt(4) lgkmcnt(0)
	v_mul_f64 v[42:43], v[38:39], v[16:17]
	v_mul_f64 v[16:17], v[40:41], v[16:17]
	v_fma_f64 v[44:45], v[4:5], v[10:11], v[188:189]
	v_fma_f64 v[10:11], v[2:3], v[10:11], -v[12:13]
	v_add_f64 v[12:13], v[8:9], v[6:7]
	v_add_f64 v[34:35], v[34:35], v[36:37]
	ds_load_b128 v[2:5], v1 offset:1376
	ds_load_b128 v[6:9], v1 offset:1392
	v_fma_f64 v[40:41], v[40:41], v[14:15], v[42:43]
	v_fma_f64 v[14:15], v[38:39], v[14:15], -v[16:17]
	s_waitcnt vmcnt(3) lgkmcnt(1)
	v_mul_f64 v[36:37], v[2:3], v[20:21]
	v_mul_f64 v[20:21], v[4:5], v[20:21]
	s_waitcnt vmcnt(2) lgkmcnt(0)
	v_mul_f64 v[16:17], v[6:7], v[24:25]
	v_mul_f64 v[24:25], v[8:9], v[24:25]
	v_add_f64 v[10:11], v[12:13], v[10:11]
	v_add_f64 v[12:13], v[34:35], v[44:45]
	v_fma_f64 v[34:35], v[4:5], v[18:19], v[36:37]
	v_fma_f64 v[18:19], v[2:3], v[18:19], -v[20:21]
	v_fma_f64 v[8:9], v[8:9], v[22:23], v[16:17]
	v_fma_f64 v[6:7], v[6:7], v[22:23], -v[24:25]
	v_add_f64 v[14:15], v[10:11], v[14:15]
	v_add_f64 v[20:21], v[12:13], v[40:41]
	ds_load_b128 v[2:5], v1 offset:1408
	ds_load_b128 v[10:13], v1 offset:1424
	s_waitcnt vmcnt(1) lgkmcnt(1)
	v_mul_f64 v[36:37], v[2:3], v[28:29]
	v_mul_f64 v[28:29], v[4:5], v[28:29]
	v_add_f64 v[14:15], v[14:15], v[18:19]
	v_add_f64 v[16:17], v[20:21], v[34:35]
	s_waitcnt vmcnt(0) lgkmcnt(0)
	v_mul_f64 v[18:19], v[10:11], v[32:33]
	v_mul_f64 v[20:21], v[12:13], v[32:33]
	v_fma_f64 v[4:5], v[4:5], v[26:27], v[36:37]
	v_fma_f64 v[1:2], v[2:3], v[26:27], -v[28:29]
	v_add_f64 v[6:7], v[14:15], v[6:7]
	v_add_f64 v[8:9], v[16:17], v[8:9]
	v_fma_f64 v[12:13], v[12:13], v[30:31], v[18:19]
	v_fma_f64 v[10:11], v[10:11], v[30:31], -v[20:21]
	s_delay_alu instid0(VALU_DEP_4) | instskip(NEXT) | instid1(VALU_DEP_4)
	v_add_f64 v[1:2], v[6:7], v[1:2]
	v_add_f64 v[3:4], v[8:9], v[4:5]
	s_delay_alu instid0(VALU_DEP_2) | instskip(NEXT) | instid1(VALU_DEP_2)
	v_add_f64 v[1:2], v[1:2], v[10:11]
	v_add_f64 v[3:4], v[3:4], v[12:13]
	s_delay_alu instid0(VALU_DEP_2) | instskip(NEXT) | instid1(VALU_DEP_2)
	v_add_f64 v[1:2], v[182:183], -v[1:2]
	v_add_f64 v[3:4], v[184:185], -v[3:4]
	scratch_store_b128 off, v[1:4], off offset:256
	v_cmpx_lt_u32_e32 15, v136
	s_cbranch_execz .LBB44_253
; %bb.252:
	scratch_load_b128 v[1:4], v166, off
	v_mov_b32_e32 v5, 0
	s_delay_alu instid0(VALU_DEP_1)
	v_mov_b32_e32 v6, v5
	v_mov_b32_e32 v7, v5
	v_mov_b32_e32 v8, v5
	scratch_store_b128 off, v[5:8], off offset:240
	s_waitcnt vmcnt(0)
	ds_store_b128 v181, v[1:4]
.LBB44_253:
	s_or_b32 exec_lo, exec_lo, s2
	s_waitcnt lgkmcnt(0)
	s_waitcnt_vscnt null, 0x0
	s_barrier
	buffer_gl0_inv
	s_clause 0x7
	scratch_load_b128 v[2:5], off, off offset:256
	scratch_load_b128 v[6:9], off, off offset:272
	;; [unrolled: 1-line block ×8, first 2 shown]
	v_mov_b32_e32 v1, 0
	s_mov_b32 s2, exec_lo
	ds_load_b128 v[38:41], v1 offset:976
	s_clause 0x1
	scratch_load_b128 v[34:37], off, off offset:384
	scratch_load_b128 v[42:45], off, off offset:240
	ds_load_b128 v[182:185], v1 offset:992
	scratch_load_b128 v[186:189], off, off offset:400
	s_waitcnt vmcnt(10) lgkmcnt(1)
	v_mul_f64 v[190:191], v[40:41], v[4:5]
	v_mul_f64 v[4:5], v[38:39], v[4:5]
	s_delay_alu instid0(VALU_DEP_2) | instskip(NEXT) | instid1(VALU_DEP_2)
	v_fma_f64 v[196:197], v[38:39], v[2:3], -v[190:191]
	v_fma_f64 v[198:199], v[40:41], v[2:3], v[4:5]
	scratch_load_b128 v[38:41], off, off offset:416
	ds_load_b128 v[2:5], v1 offset:1008
	s_waitcnt vmcnt(10) lgkmcnt(1)
	v_mul_f64 v[194:195], v[182:183], v[8:9]
	v_mul_f64 v[8:9], v[184:185], v[8:9]
	ds_load_b128 v[190:193], v1 offset:1024
	s_waitcnt vmcnt(9) lgkmcnt(1)
	v_mul_f64 v[200:201], v[2:3], v[12:13]
	v_mul_f64 v[12:13], v[4:5], v[12:13]
	v_fma_f64 v[184:185], v[184:185], v[6:7], v[194:195]
	v_fma_f64 v[182:183], v[182:183], v[6:7], -v[8:9]
	v_add_f64 v[194:195], v[196:197], 0
	v_add_f64 v[196:197], v[198:199], 0
	scratch_load_b128 v[6:9], off, off offset:432
	v_fma_f64 v[200:201], v[4:5], v[10:11], v[200:201]
	v_fma_f64 v[202:203], v[2:3], v[10:11], -v[12:13]
	scratch_load_b128 v[10:13], off, off offset:448
	ds_load_b128 v[2:5], v1 offset:1040
	s_waitcnt vmcnt(10) lgkmcnt(1)
	v_mul_f64 v[198:199], v[190:191], v[16:17]
	v_mul_f64 v[16:17], v[192:193], v[16:17]
	v_add_f64 v[194:195], v[194:195], v[182:183]
	v_add_f64 v[196:197], v[196:197], v[184:185]
	s_waitcnt vmcnt(9) lgkmcnt(0)
	v_mul_f64 v[204:205], v[2:3], v[20:21]
	v_mul_f64 v[20:21], v[4:5], v[20:21]
	ds_load_b128 v[182:185], v1 offset:1056
	v_fma_f64 v[192:193], v[192:193], v[14:15], v[198:199]
	v_fma_f64 v[190:191], v[190:191], v[14:15], -v[16:17]
	scratch_load_b128 v[14:17], off, off offset:464
	v_add_f64 v[194:195], v[194:195], v[202:203]
	v_add_f64 v[196:197], v[196:197], v[200:201]
	v_fma_f64 v[200:201], v[4:5], v[18:19], v[204:205]
	v_fma_f64 v[202:203], v[2:3], v[18:19], -v[20:21]
	scratch_load_b128 v[18:21], off, off offset:480
	ds_load_b128 v[2:5], v1 offset:1072
	s_waitcnt vmcnt(10) lgkmcnt(1)
	v_mul_f64 v[198:199], v[182:183], v[24:25]
	v_mul_f64 v[24:25], v[184:185], v[24:25]
	s_waitcnt vmcnt(9) lgkmcnt(0)
	v_mul_f64 v[204:205], v[2:3], v[28:29]
	v_mul_f64 v[28:29], v[4:5], v[28:29]
	v_add_f64 v[194:195], v[194:195], v[190:191]
	v_add_f64 v[196:197], v[196:197], v[192:193]
	ds_load_b128 v[190:193], v1 offset:1088
	v_fma_f64 v[184:185], v[184:185], v[22:23], v[198:199]
	v_fma_f64 v[182:183], v[182:183], v[22:23], -v[24:25]
	scratch_load_b128 v[22:25], off, off offset:496
	v_add_f64 v[194:195], v[194:195], v[202:203]
	v_add_f64 v[196:197], v[196:197], v[200:201]
	v_fma_f64 v[200:201], v[4:5], v[26:27], v[204:205]
	v_fma_f64 v[202:203], v[2:3], v[26:27], -v[28:29]
	scratch_load_b128 v[26:29], off, off offset:512
	ds_load_b128 v[2:5], v1 offset:1104
	s_waitcnt vmcnt(10) lgkmcnt(1)
	v_mul_f64 v[198:199], v[190:191], v[32:33]
	v_mul_f64 v[32:33], v[192:193], v[32:33]
	s_waitcnt vmcnt(9) lgkmcnt(0)
	v_mul_f64 v[204:205], v[2:3], v[36:37]
	v_mul_f64 v[36:37], v[4:5], v[36:37]
	v_add_f64 v[194:195], v[194:195], v[182:183]
	v_add_f64 v[196:197], v[196:197], v[184:185]
	ds_load_b128 v[182:185], v1 offset:1120
	v_fma_f64 v[192:193], v[192:193], v[30:31], v[198:199]
	v_fma_f64 v[190:191], v[190:191], v[30:31], -v[32:33]
	scratch_load_b128 v[30:33], off, off offset:528
	v_add_f64 v[194:195], v[194:195], v[202:203]
	v_add_f64 v[196:197], v[196:197], v[200:201]
	v_fma_f64 v[202:203], v[4:5], v[34:35], v[204:205]
	v_fma_f64 v[204:205], v[2:3], v[34:35], -v[36:37]
	scratch_load_b128 v[34:37], off, off offset:544
	ds_load_b128 v[2:5], v1 offset:1136
	s_waitcnt vmcnt(9) lgkmcnt(1)
	v_mul_f64 v[198:199], v[182:183], v[188:189]
	v_mul_f64 v[200:201], v[184:185], v[188:189]
	v_add_f64 v[194:195], v[194:195], v[190:191]
	v_add_f64 v[192:193], v[196:197], v[192:193]
	ds_load_b128 v[188:191], v1 offset:1152
	v_fma_f64 v[198:199], v[184:185], v[186:187], v[198:199]
	v_fma_f64 v[186:187], v[182:183], v[186:187], -v[200:201]
	scratch_load_b128 v[182:185], off, off offset:560
	s_waitcnt vmcnt(9) lgkmcnt(1)
	v_mul_f64 v[196:197], v[2:3], v[40:41]
	v_mul_f64 v[40:41], v[4:5], v[40:41]
	v_add_f64 v[194:195], v[194:195], v[204:205]
	v_add_f64 v[192:193], v[192:193], v[202:203]
	s_delay_alu instid0(VALU_DEP_4) | instskip(NEXT) | instid1(VALU_DEP_4)
	v_fma_f64 v[196:197], v[4:5], v[38:39], v[196:197]
	v_fma_f64 v[202:203], v[2:3], v[38:39], -v[40:41]
	scratch_load_b128 v[38:41], off, off offset:576
	ds_load_b128 v[2:5], v1 offset:1168
	s_waitcnt vmcnt(9) lgkmcnt(1)
	v_mul_f64 v[200:201], v[188:189], v[8:9]
	v_mul_f64 v[8:9], v[190:191], v[8:9]
	s_waitcnt vmcnt(8) lgkmcnt(0)
	v_mul_f64 v[204:205], v[2:3], v[12:13]
	v_mul_f64 v[12:13], v[4:5], v[12:13]
	v_add_f64 v[186:187], v[194:195], v[186:187]
	v_add_f64 v[198:199], v[192:193], v[198:199]
	ds_load_b128 v[192:195], v1 offset:1184
	v_fma_f64 v[190:191], v[190:191], v[6:7], v[200:201]
	v_fma_f64 v[188:189], v[188:189], v[6:7], -v[8:9]
	scratch_load_b128 v[6:9], off, off offset:592
	v_fma_f64 v[200:201], v[4:5], v[10:11], v[204:205]
	v_add_f64 v[186:187], v[186:187], v[202:203]
	v_add_f64 v[196:197], v[198:199], v[196:197]
	v_fma_f64 v[202:203], v[2:3], v[10:11], -v[12:13]
	scratch_load_b128 v[10:13], off, off offset:608
	ds_load_b128 v[2:5], v1 offset:1200
	s_waitcnt vmcnt(9) lgkmcnt(1)
	v_mul_f64 v[198:199], v[192:193], v[16:17]
	v_mul_f64 v[16:17], v[194:195], v[16:17]
	v_add_f64 v[204:205], v[186:187], v[188:189]
	v_add_f64 v[190:191], v[196:197], v[190:191]
	s_waitcnt vmcnt(8) lgkmcnt(0)
	v_mul_f64 v[196:197], v[2:3], v[20:21]
	v_mul_f64 v[20:21], v[4:5], v[20:21]
	ds_load_b128 v[186:189], v1 offset:1216
	v_fma_f64 v[194:195], v[194:195], v[14:15], v[198:199]
	v_fma_f64 v[192:193], v[192:193], v[14:15], -v[16:17]
	scratch_load_b128 v[14:17], off, off offset:624
	v_add_f64 v[198:199], v[204:205], v[202:203]
	v_add_f64 v[190:191], v[190:191], v[200:201]
	v_fma_f64 v[196:197], v[4:5], v[18:19], v[196:197]
	v_fma_f64 v[202:203], v[2:3], v[18:19], -v[20:21]
	scratch_load_b128 v[18:21], off, off offset:640
	ds_load_b128 v[2:5], v1 offset:1232
	s_waitcnt vmcnt(9) lgkmcnt(1)
	v_mul_f64 v[200:201], v[186:187], v[24:25]
	v_mul_f64 v[24:25], v[188:189], v[24:25]
	s_waitcnt vmcnt(8) lgkmcnt(0)
	v_mul_f64 v[204:205], v[2:3], v[28:29]
	v_mul_f64 v[28:29], v[4:5], v[28:29]
	v_add_f64 v[198:199], v[198:199], v[192:193]
	v_add_f64 v[194:195], v[190:191], v[194:195]
	ds_load_b128 v[190:193], v1 offset:1248
	v_fma_f64 v[188:189], v[188:189], v[22:23], v[200:201]
	v_fma_f64 v[186:187], v[186:187], v[22:23], -v[24:25]
	scratch_load_b128 v[22:25], off, off offset:656
	v_fma_f64 v[200:201], v[4:5], v[26:27], v[204:205]
	v_add_f64 v[198:199], v[198:199], v[202:203]
	v_add_f64 v[194:195], v[194:195], v[196:197]
	v_fma_f64 v[202:203], v[2:3], v[26:27], -v[28:29]
	scratch_load_b128 v[26:29], off, off offset:672
	ds_load_b128 v[2:5], v1 offset:1264
	s_waitcnt vmcnt(9) lgkmcnt(1)
	v_mul_f64 v[196:197], v[190:191], v[32:33]
	v_mul_f64 v[32:33], v[192:193], v[32:33]
	s_waitcnt vmcnt(8) lgkmcnt(0)
	v_mul_f64 v[204:205], v[2:3], v[36:37]
	v_mul_f64 v[36:37], v[4:5], v[36:37]
	v_add_f64 v[198:199], v[198:199], v[186:187]
	v_add_f64 v[194:195], v[194:195], v[188:189]
	ds_load_b128 v[186:189], v1 offset:1280
	v_fma_f64 v[192:193], v[192:193], v[30:31], v[196:197]
	v_fma_f64 v[190:191], v[190:191], v[30:31], -v[32:33]
	scratch_load_b128 v[30:33], off, off offset:688
	v_add_f64 v[196:197], v[198:199], v[202:203]
	v_add_f64 v[194:195], v[194:195], v[200:201]
	v_fma_f64 v[200:201], v[4:5], v[34:35], v[204:205]
	v_fma_f64 v[202:203], v[2:3], v[34:35], -v[36:37]
	scratch_load_b128 v[34:37], off, off offset:704
	ds_load_b128 v[2:5], v1 offset:1296
	s_waitcnt vmcnt(9) lgkmcnt(1)
	v_mul_f64 v[198:199], v[186:187], v[184:185]
	v_mul_f64 v[184:185], v[188:189], v[184:185]
	s_waitcnt vmcnt(8) lgkmcnt(0)
	v_mul_f64 v[204:205], v[2:3], v[40:41]
	v_mul_f64 v[40:41], v[4:5], v[40:41]
	v_add_f64 v[196:197], v[196:197], v[190:191]
	v_add_f64 v[194:195], v[194:195], v[192:193]
	ds_load_b128 v[190:193], v1 offset:1312
	v_fma_f64 v[188:189], v[188:189], v[182:183], v[198:199]
	v_fma_f64 v[182:183], v[186:187], v[182:183], -v[184:185]
	v_fma_f64 v[198:199], v[2:3], v[38:39], -v[40:41]
	v_add_f64 v[184:185], v[196:197], v[202:203]
	v_add_f64 v[186:187], v[194:195], v[200:201]
	s_waitcnt vmcnt(7) lgkmcnt(0)
	v_mul_f64 v[194:195], v[190:191], v[8:9]
	v_mul_f64 v[8:9], v[192:193], v[8:9]
	v_fma_f64 v[196:197], v[4:5], v[38:39], v[204:205]
	ds_load_b128 v[2:5], v1 offset:1328
	ds_load_b128 v[38:41], v1 offset:1344
	v_add_f64 v[182:183], v[184:185], v[182:183]
	v_add_f64 v[184:185], v[186:187], v[188:189]
	s_waitcnt vmcnt(6) lgkmcnt(1)
	v_mul_f64 v[186:187], v[2:3], v[12:13]
	v_mul_f64 v[12:13], v[4:5], v[12:13]
	v_fma_f64 v[188:189], v[192:193], v[6:7], v[194:195]
	v_fma_f64 v[6:7], v[190:191], v[6:7], -v[8:9]
	v_add_f64 v[8:9], v[182:183], v[198:199]
	v_add_f64 v[182:183], v[184:185], v[196:197]
	s_waitcnt vmcnt(5) lgkmcnt(0)
	v_mul_f64 v[184:185], v[38:39], v[16:17]
	v_mul_f64 v[16:17], v[40:41], v[16:17]
	v_fma_f64 v[186:187], v[4:5], v[10:11], v[186:187]
	v_fma_f64 v[10:11], v[2:3], v[10:11], -v[12:13]
	v_add_f64 v[12:13], v[8:9], v[6:7]
	v_add_f64 v[182:183], v[182:183], v[188:189]
	ds_load_b128 v[2:5], v1 offset:1360
	ds_load_b128 v[6:9], v1 offset:1376
	v_fma_f64 v[40:41], v[40:41], v[14:15], v[184:185]
	v_fma_f64 v[14:15], v[38:39], v[14:15], -v[16:17]
	s_waitcnt vmcnt(4) lgkmcnt(1)
	v_mul_f64 v[188:189], v[2:3], v[20:21]
	v_mul_f64 v[20:21], v[4:5], v[20:21]
	s_waitcnt vmcnt(3) lgkmcnt(0)
	v_mul_f64 v[16:17], v[6:7], v[24:25]
	v_mul_f64 v[24:25], v[8:9], v[24:25]
	v_add_f64 v[10:11], v[12:13], v[10:11]
	v_add_f64 v[12:13], v[182:183], v[186:187]
	v_fma_f64 v[38:39], v[4:5], v[18:19], v[188:189]
	v_fma_f64 v[18:19], v[2:3], v[18:19], -v[20:21]
	v_fma_f64 v[8:9], v[8:9], v[22:23], v[16:17]
	v_fma_f64 v[6:7], v[6:7], v[22:23], -v[24:25]
	v_add_f64 v[14:15], v[10:11], v[14:15]
	v_add_f64 v[20:21], v[12:13], v[40:41]
	ds_load_b128 v[2:5], v1 offset:1392
	ds_load_b128 v[10:13], v1 offset:1408
	s_waitcnt vmcnt(2) lgkmcnt(1)
	v_mul_f64 v[40:41], v[2:3], v[28:29]
	v_mul_f64 v[28:29], v[4:5], v[28:29]
	v_add_f64 v[14:15], v[14:15], v[18:19]
	v_add_f64 v[16:17], v[20:21], v[38:39]
	s_waitcnt vmcnt(1) lgkmcnt(0)
	v_mul_f64 v[18:19], v[10:11], v[32:33]
	v_mul_f64 v[20:21], v[12:13], v[32:33]
	v_fma_f64 v[22:23], v[4:5], v[26:27], v[40:41]
	v_fma_f64 v[24:25], v[2:3], v[26:27], -v[28:29]
	ds_load_b128 v[2:5], v1 offset:1424
	v_add_f64 v[6:7], v[14:15], v[6:7]
	v_add_f64 v[8:9], v[16:17], v[8:9]
	v_fma_f64 v[12:13], v[12:13], v[30:31], v[18:19]
	v_fma_f64 v[10:11], v[10:11], v[30:31], -v[20:21]
	s_waitcnt vmcnt(0) lgkmcnt(0)
	v_mul_f64 v[14:15], v[2:3], v[36:37]
	v_mul_f64 v[16:17], v[4:5], v[36:37]
	v_add_f64 v[6:7], v[6:7], v[24:25]
	v_add_f64 v[8:9], v[8:9], v[22:23]
	s_delay_alu instid0(VALU_DEP_4) | instskip(NEXT) | instid1(VALU_DEP_4)
	v_fma_f64 v[4:5], v[4:5], v[34:35], v[14:15]
	v_fma_f64 v[2:3], v[2:3], v[34:35], -v[16:17]
	s_delay_alu instid0(VALU_DEP_4) | instskip(NEXT) | instid1(VALU_DEP_4)
	v_add_f64 v[6:7], v[6:7], v[10:11]
	v_add_f64 v[8:9], v[8:9], v[12:13]
	s_delay_alu instid0(VALU_DEP_2) | instskip(NEXT) | instid1(VALU_DEP_2)
	v_add_f64 v[2:3], v[6:7], v[2:3]
	v_add_f64 v[4:5], v[8:9], v[4:5]
	s_delay_alu instid0(VALU_DEP_2) | instskip(NEXT) | instid1(VALU_DEP_2)
	v_add_f64 v[2:3], v[42:43], -v[2:3]
	v_add_f64 v[4:5], v[44:45], -v[4:5]
	scratch_store_b128 off, v[2:5], off offset:240
	v_cmpx_lt_u32_e32 14, v136
	s_cbranch_execz .LBB44_255
; %bb.254:
	scratch_load_b128 v[5:8], v167, off
	v_mov_b32_e32 v2, v1
	v_mov_b32_e32 v3, v1
	;; [unrolled: 1-line block ×3, first 2 shown]
	scratch_store_b128 off, v[1:4], off offset:224
	s_waitcnt vmcnt(0)
	ds_store_b128 v181, v[5:8]
.LBB44_255:
	s_or_b32 exec_lo, exec_lo, s2
	s_waitcnt lgkmcnt(0)
	s_waitcnt_vscnt null, 0x0
	s_barrier
	buffer_gl0_inv
	s_clause 0x8
	scratch_load_b128 v[2:5], off, off offset:240
	scratch_load_b128 v[6:9], off, off offset:256
	;; [unrolled: 1-line block ×9, first 2 shown]
	ds_load_b128 v[42:45], v1 offset:960
	ds_load_b128 v[38:41], v1 offset:976
	s_clause 0x1
	scratch_load_b128 v[182:185], off, off offset:224
	scratch_load_b128 v[186:189], off, off offset:384
	s_mov_b32 s2, exec_lo
	s_waitcnt vmcnt(10) lgkmcnt(1)
	v_mul_f64 v[190:191], v[44:45], v[4:5]
	v_mul_f64 v[4:5], v[42:43], v[4:5]
	s_waitcnt vmcnt(9) lgkmcnt(0)
	v_mul_f64 v[194:195], v[38:39], v[8:9]
	v_mul_f64 v[8:9], v[40:41], v[8:9]
	s_delay_alu instid0(VALU_DEP_4) | instskip(NEXT) | instid1(VALU_DEP_4)
	v_fma_f64 v[196:197], v[42:43], v[2:3], -v[190:191]
	v_fma_f64 v[198:199], v[44:45], v[2:3], v[4:5]
	ds_load_b128 v[2:5], v1 offset:992
	ds_load_b128 v[190:193], v1 offset:1008
	scratch_load_b128 v[42:45], off, off offset:400
	v_fma_f64 v[40:41], v[40:41], v[6:7], v[194:195]
	v_fma_f64 v[38:39], v[38:39], v[6:7], -v[8:9]
	scratch_load_b128 v[6:9], off, off offset:416
	s_waitcnt vmcnt(10) lgkmcnt(1)
	v_mul_f64 v[200:201], v[2:3], v[12:13]
	v_mul_f64 v[12:13], v[4:5], v[12:13]
	v_add_f64 v[194:195], v[196:197], 0
	v_add_f64 v[196:197], v[198:199], 0
	s_waitcnt vmcnt(9) lgkmcnt(0)
	v_mul_f64 v[198:199], v[190:191], v[16:17]
	v_mul_f64 v[16:17], v[192:193], v[16:17]
	v_fma_f64 v[200:201], v[4:5], v[10:11], v[200:201]
	v_fma_f64 v[202:203], v[2:3], v[10:11], -v[12:13]
	ds_load_b128 v[2:5], v1 offset:1024
	scratch_load_b128 v[10:13], off, off offset:432
	v_add_f64 v[194:195], v[194:195], v[38:39]
	v_add_f64 v[196:197], v[196:197], v[40:41]
	ds_load_b128 v[38:41], v1 offset:1040
	v_fma_f64 v[192:193], v[192:193], v[14:15], v[198:199]
	v_fma_f64 v[190:191], v[190:191], v[14:15], -v[16:17]
	scratch_load_b128 v[14:17], off, off offset:448
	s_waitcnt vmcnt(10) lgkmcnt(1)
	v_mul_f64 v[204:205], v[2:3], v[20:21]
	v_mul_f64 v[20:21], v[4:5], v[20:21]
	s_waitcnt vmcnt(9) lgkmcnt(0)
	v_mul_f64 v[198:199], v[38:39], v[24:25]
	v_mul_f64 v[24:25], v[40:41], v[24:25]
	v_add_f64 v[194:195], v[194:195], v[202:203]
	v_add_f64 v[196:197], v[196:197], v[200:201]
	v_fma_f64 v[200:201], v[4:5], v[18:19], v[204:205]
	v_fma_f64 v[202:203], v[2:3], v[18:19], -v[20:21]
	ds_load_b128 v[2:5], v1 offset:1056
	scratch_load_b128 v[18:21], off, off offset:464
	v_fma_f64 v[40:41], v[40:41], v[22:23], v[198:199]
	v_fma_f64 v[38:39], v[38:39], v[22:23], -v[24:25]
	scratch_load_b128 v[22:25], off, off offset:480
	v_add_f64 v[194:195], v[194:195], v[190:191]
	v_add_f64 v[196:197], v[196:197], v[192:193]
	ds_load_b128 v[190:193], v1 offset:1072
	s_waitcnt vmcnt(10) lgkmcnt(1)
	v_mul_f64 v[204:205], v[2:3], v[28:29]
	v_mul_f64 v[28:29], v[4:5], v[28:29]
	s_waitcnt vmcnt(9) lgkmcnt(0)
	v_mul_f64 v[198:199], v[190:191], v[32:33]
	v_mul_f64 v[32:33], v[192:193], v[32:33]
	v_add_f64 v[194:195], v[194:195], v[202:203]
	v_add_f64 v[196:197], v[196:197], v[200:201]
	v_fma_f64 v[200:201], v[4:5], v[26:27], v[204:205]
	v_fma_f64 v[202:203], v[2:3], v[26:27], -v[28:29]
	ds_load_b128 v[2:5], v1 offset:1088
	scratch_load_b128 v[26:29], off, off offset:496
	v_fma_f64 v[192:193], v[192:193], v[30:31], v[198:199]
	v_fma_f64 v[190:191], v[190:191], v[30:31], -v[32:33]
	scratch_load_b128 v[30:33], off, off offset:512
	v_add_f64 v[194:195], v[194:195], v[38:39]
	v_add_f64 v[196:197], v[196:197], v[40:41]
	ds_load_b128 v[38:41], v1 offset:1104
	s_waitcnt vmcnt(10) lgkmcnt(1)
	v_mul_f64 v[204:205], v[2:3], v[36:37]
	v_mul_f64 v[36:37], v[4:5], v[36:37]
	s_waitcnt vmcnt(8) lgkmcnt(0)
	v_mul_f64 v[198:199], v[38:39], v[188:189]
	v_add_f64 v[194:195], v[194:195], v[202:203]
	v_add_f64 v[196:197], v[196:197], v[200:201]
	v_mul_f64 v[200:201], v[40:41], v[188:189]
	v_fma_f64 v[202:203], v[4:5], v[34:35], v[204:205]
	v_fma_f64 v[204:205], v[2:3], v[34:35], -v[36:37]
	ds_load_b128 v[2:5], v1 offset:1120
	scratch_load_b128 v[34:37], off, off offset:528
	v_fma_f64 v[198:199], v[40:41], v[186:187], v[198:199]
	v_add_f64 v[194:195], v[194:195], v[190:191]
	v_add_f64 v[192:193], v[196:197], v[192:193]
	ds_load_b128 v[188:191], v1 offset:1136
	v_fma_f64 v[186:187], v[38:39], v[186:187], -v[200:201]
	scratch_load_b128 v[38:41], off, off offset:544
	s_waitcnt vmcnt(9) lgkmcnt(1)
	v_mul_f64 v[196:197], v[2:3], v[44:45]
	v_mul_f64 v[44:45], v[4:5], v[44:45]
	s_waitcnt vmcnt(8) lgkmcnt(0)
	v_mul_f64 v[200:201], v[188:189], v[8:9]
	v_mul_f64 v[8:9], v[190:191], v[8:9]
	v_add_f64 v[194:195], v[194:195], v[204:205]
	v_add_f64 v[192:193], v[192:193], v[202:203]
	v_fma_f64 v[196:197], v[4:5], v[42:43], v[196:197]
	v_fma_f64 v[202:203], v[2:3], v[42:43], -v[44:45]
	ds_load_b128 v[2:5], v1 offset:1152
	scratch_load_b128 v[42:45], off, off offset:560
	v_fma_f64 v[190:191], v[190:191], v[6:7], v[200:201]
	v_fma_f64 v[188:189], v[188:189], v[6:7], -v[8:9]
	scratch_load_b128 v[6:9], off, off offset:576
	v_add_f64 v[186:187], v[194:195], v[186:187]
	v_add_f64 v[198:199], v[192:193], v[198:199]
	ds_load_b128 v[192:195], v1 offset:1168
	s_waitcnt vmcnt(9) lgkmcnt(1)
	v_mul_f64 v[204:205], v[2:3], v[12:13]
	v_mul_f64 v[12:13], v[4:5], v[12:13]
	v_add_f64 v[186:187], v[186:187], v[202:203]
	v_add_f64 v[196:197], v[198:199], v[196:197]
	s_waitcnt vmcnt(8) lgkmcnt(0)
	v_mul_f64 v[198:199], v[192:193], v[16:17]
	v_mul_f64 v[16:17], v[194:195], v[16:17]
	v_fma_f64 v[200:201], v[4:5], v[10:11], v[204:205]
	v_fma_f64 v[202:203], v[2:3], v[10:11], -v[12:13]
	ds_load_b128 v[2:5], v1 offset:1184
	scratch_load_b128 v[10:13], off, off offset:592
	v_add_f64 v[204:205], v[186:187], v[188:189]
	v_add_f64 v[190:191], v[196:197], v[190:191]
	ds_load_b128 v[186:189], v1 offset:1200
	s_waitcnt vmcnt(8) lgkmcnt(1)
	v_mul_f64 v[196:197], v[2:3], v[20:21]
	v_mul_f64 v[20:21], v[4:5], v[20:21]
	v_fma_f64 v[194:195], v[194:195], v[14:15], v[198:199]
	v_fma_f64 v[192:193], v[192:193], v[14:15], -v[16:17]
	scratch_load_b128 v[14:17], off, off offset:608
	v_add_f64 v[198:199], v[204:205], v[202:203]
	v_add_f64 v[190:191], v[190:191], v[200:201]
	s_waitcnt vmcnt(8) lgkmcnt(0)
	v_mul_f64 v[200:201], v[186:187], v[24:25]
	v_mul_f64 v[24:25], v[188:189], v[24:25]
	v_fma_f64 v[196:197], v[4:5], v[18:19], v[196:197]
	v_fma_f64 v[202:203], v[2:3], v[18:19], -v[20:21]
	ds_load_b128 v[2:5], v1 offset:1216
	scratch_load_b128 v[18:21], off, off offset:624
	v_add_f64 v[198:199], v[198:199], v[192:193]
	v_add_f64 v[194:195], v[190:191], v[194:195]
	ds_load_b128 v[190:193], v1 offset:1232
	s_waitcnt vmcnt(8) lgkmcnt(1)
	v_mul_f64 v[204:205], v[2:3], v[28:29]
	v_mul_f64 v[28:29], v[4:5], v[28:29]
	v_fma_f64 v[188:189], v[188:189], v[22:23], v[200:201]
	v_fma_f64 v[186:187], v[186:187], v[22:23], -v[24:25]
	scratch_load_b128 v[22:25], off, off offset:640
	;; [unrolled: 18-line block ×4, first 2 shown]
	s_waitcnt vmcnt(8) lgkmcnt(0)
	v_mul_f64 v[198:199], v[190:191], v[8:9]
	v_mul_f64 v[8:9], v[192:193], v[8:9]
	v_add_f64 v[196:197], v[196:197], v[202:203]
	v_add_f64 v[194:195], v[194:195], v[200:201]
	v_fma_f64 v[200:201], v[4:5], v[42:43], v[204:205]
	v_fma_f64 v[202:203], v[2:3], v[42:43], -v[44:45]
	ds_load_b128 v[2:5], v1 offset:1312
	ds_load_b128 v[42:45], v1 offset:1328
	v_fma_f64 v[192:193], v[192:193], v[6:7], v[198:199]
	v_fma_f64 v[6:7], v[190:191], v[6:7], -v[8:9]
	v_add_f64 v[186:187], v[196:197], v[186:187]
	v_add_f64 v[188:189], v[194:195], v[188:189]
	s_waitcnt vmcnt(7) lgkmcnt(1)
	v_mul_f64 v[194:195], v[2:3], v[12:13]
	v_mul_f64 v[12:13], v[4:5], v[12:13]
	s_delay_alu instid0(VALU_DEP_4) | instskip(NEXT) | instid1(VALU_DEP_4)
	v_add_f64 v[8:9], v[186:187], v[202:203]
	v_add_f64 v[186:187], v[188:189], v[200:201]
	s_waitcnt vmcnt(6) lgkmcnt(0)
	v_mul_f64 v[188:189], v[42:43], v[16:17]
	v_mul_f64 v[16:17], v[44:45], v[16:17]
	v_fma_f64 v[190:191], v[4:5], v[10:11], v[194:195]
	v_fma_f64 v[10:11], v[2:3], v[10:11], -v[12:13]
	v_add_f64 v[12:13], v[8:9], v[6:7]
	v_add_f64 v[186:187], v[186:187], v[192:193]
	ds_load_b128 v[2:5], v1 offset:1344
	ds_load_b128 v[6:9], v1 offset:1360
	v_fma_f64 v[44:45], v[44:45], v[14:15], v[188:189]
	v_fma_f64 v[14:15], v[42:43], v[14:15], -v[16:17]
	s_waitcnt vmcnt(5) lgkmcnt(1)
	v_mul_f64 v[192:193], v[2:3], v[20:21]
	v_mul_f64 v[20:21], v[4:5], v[20:21]
	s_waitcnt vmcnt(4) lgkmcnt(0)
	v_mul_f64 v[16:17], v[6:7], v[24:25]
	v_mul_f64 v[24:25], v[8:9], v[24:25]
	v_add_f64 v[10:11], v[12:13], v[10:11]
	v_add_f64 v[12:13], v[186:187], v[190:191]
	v_fma_f64 v[42:43], v[4:5], v[18:19], v[192:193]
	v_fma_f64 v[18:19], v[2:3], v[18:19], -v[20:21]
	v_fma_f64 v[8:9], v[8:9], v[22:23], v[16:17]
	v_fma_f64 v[6:7], v[6:7], v[22:23], -v[24:25]
	v_add_f64 v[14:15], v[10:11], v[14:15]
	v_add_f64 v[20:21], v[12:13], v[44:45]
	ds_load_b128 v[2:5], v1 offset:1376
	ds_load_b128 v[10:13], v1 offset:1392
	s_waitcnt vmcnt(3) lgkmcnt(1)
	v_mul_f64 v[44:45], v[2:3], v[28:29]
	v_mul_f64 v[28:29], v[4:5], v[28:29]
	v_add_f64 v[14:15], v[14:15], v[18:19]
	v_add_f64 v[16:17], v[20:21], v[42:43]
	s_waitcnt vmcnt(2) lgkmcnt(0)
	v_mul_f64 v[18:19], v[10:11], v[32:33]
	v_mul_f64 v[20:21], v[12:13], v[32:33]
	v_fma_f64 v[22:23], v[4:5], v[26:27], v[44:45]
	v_fma_f64 v[24:25], v[2:3], v[26:27], -v[28:29]
	v_add_f64 v[14:15], v[14:15], v[6:7]
	v_add_f64 v[16:17], v[16:17], v[8:9]
	ds_load_b128 v[2:5], v1 offset:1408
	ds_load_b128 v[6:9], v1 offset:1424
	v_fma_f64 v[12:13], v[12:13], v[30:31], v[18:19]
	v_fma_f64 v[10:11], v[10:11], v[30:31], -v[20:21]
	s_waitcnt vmcnt(1) lgkmcnt(1)
	v_mul_f64 v[26:27], v[2:3], v[36:37]
	v_mul_f64 v[28:29], v[4:5], v[36:37]
	s_waitcnt vmcnt(0) lgkmcnt(0)
	v_mul_f64 v[18:19], v[6:7], v[40:41]
	v_mul_f64 v[20:21], v[8:9], v[40:41]
	v_add_f64 v[14:15], v[14:15], v[24:25]
	v_add_f64 v[16:17], v[16:17], v[22:23]
	v_fma_f64 v[4:5], v[4:5], v[34:35], v[26:27]
	v_fma_f64 v[1:2], v[2:3], v[34:35], -v[28:29]
	v_fma_f64 v[8:9], v[8:9], v[38:39], v[18:19]
	v_fma_f64 v[6:7], v[6:7], v[38:39], -v[20:21]
	v_add_f64 v[10:11], v[14:15], v[10:11]
	v_add_f64 v[12:13], v[16:17], v[12:13]
	s_delay_alu instid0(VALU_DEP_2) | instskip(NEXT) | instid1(VALU_DEP_2)
	v_add_f64 v[1:2], v[10:11], v[1:2]
	v_add_f64 v[3:4], v[12:13], v[4:5]
	s_delay_alu instid0(VALU_DEP_2) | instskip(NEXT) | instid1(VALU_DEP_2)
	;; [unrolled: 3-line block ×3, first 2 shown]
	v_add_f64 v[1:2], v[182:183], -v[1:2]
	v_add_f64 v[3:4], v[184:185], -v[3:4]
	scratch_store_b128 off, v[1:4], off offset:224
	v_cmpx_lt_u32_e32 13, v136
	s_cbranch_execz .LBB44_257
; %bb.256:
	scratch_load_b128 v[1:4], v168, off
	v_mov_b32_e32 v5, 0
	s_delay_alu instid0(VALU_DEP_1)
	v_mov_b32_e32 v6, v5
	v_mov_b32_e32 v7, v5
	;; [unrolled: 1-line block ×3, first 2 shown]
	scratch_store_b128 off, v[5:8], off offset:208
	s_waitcnt vmcnt(0)
	ds_store_b128 v181, v[1:4]
.LBB44_257:
	s_or_b32 exec_lo, exec_lo, s2
	s_waitcnt lgkmcnt(0)
	s_waitcnt_vscnt null, 0x0
	s_barrier
	buffer_gl0_inv
	s_clause 0x7
	scratch_load_b128 v[2:5], off, off offset:224
	scratch_load_b128 v[6:9], off, off offset:240
	;; [unrolled: 1-line block ×8, first 2 shown]
	v_mov_b32_e32 v1, 0
	s_mov_b32 s2, exec_lo
	ds_load_b128 v[38:41], v1 offset:944
	s_clause 0x1
	scratch_load_b128 v[34:37], off, off offset:352
	scratch_load_b128 v[42:45], off, off offset:208
	ds_load_b128 v[182:185], v1 offset:960
	scratch_load_b128 v[186:189], off, off offset:368
	s_waitcnt vmcnt(10) lgkmcnt(1)
	v_mul_f64 v[190:191], v[40:41], v[4:5]
	v_mul_f64 v[4:5], v[38:39], v[4:5]
	s_delay_alu instid0(VALU_DEP_2) | instskip(NEXT) | instid1(VALU_DEP_2)
	v_fma_f64 v[196:197], v[38:39], v[2:3], -v[190:191]
	v_fma_f64 v[198:199], v[40:41], v[2:3], v[4:5]
	scratch_load_b128 v[38:41], off, off offset:384
	ds_load_b128 v[2:5], v1 offset:976
	s_waitcnt vmcnt(10) lgkmcnt(1)
	v_mul_f64 v[194:195], v[182:183], v[8:9]
	v_mul_f64 v[8:9], v[184:185], v[8:9]
	ds_load_b128 v[190:193], v1 offset:992
	s_waitcnt vmcnt(9) lgkmcnt(1)
	v_mul_f64 v[200:201], v[2:3], v[12:13]
	v_mul_f64 v[12:13], v[4:5], v[12:13]
	v_fma_f64 v[184:185], v[184:185], v[6:7], v[194:195]
	v_fma_f64 v[182:183], v[182:183], v[6:7], -v[8:9]
	v_add_f64 v[194:195], v[196:197], 0
	v_add_f64 v[196:197], v[198:199], 0
	scratch_load_b128 v[6:9], off, off offset:400
	v_fma_f64 v[200:201], v[4:5], v[10:11], v[200:201]
	v_fma_f64 v[202:203], v[2:3], v[10:11], -v[12:13]
	scratch_load_b128 v[10:13], off, off offset:416
	ds_load_b128 v[2:5], v1 offset:1008
	s_waitcnt vmcnt(10) lgkmcnt(1)
	v_mul_f64 v[198:199], v[190:191], v[16:17]
	v_mul_f64 v[16:17], v[192:193], v[16:17]
	v_add_f64 v[194:195], v[194:195], v[182:183]
	v_add_f64 v[196:197], v[196:197], v[184:185]
	s_waitcnt vmcnt(9) lgkmcnt(0)
	v_mul_f64 v[204:205], v[2:3], v[20:21]
	v_mul_f64 v[20:21], v[4:5], v[20:21]
	ds_load_b128 v[182:185], v1 offset:1024
	v_fma_f64 v[192:193], v[192:193], v[14:15], v[198:199]
	v_fma_f64 v[190:191], v[190:191], v[14:15], -v[16:17]
	scratch_load_b128 v[14:17], off, off offset:432
	v_add_f64 v[194:195], v[194:195], v[202:203]
	v_add_f64 v[196:197], v[196:197], v[200:201]
	v_fma_f64 v[200:201], v[4:5], v[18:19], v[204:205]
	v_fma_f64 v[202:203], v[2:3], v[18:19], -v[20:21]
	scratch_load_b128 v[18:21], off, off offset:448
	ds_load_b128 v[2:5], v1 offset:1040
	s_waitcnt vmcnt(10) lgkmcnt(1)
	v_mul_f64 v[198:199], v[182:183], v[24:25]
	v_mul_f64 v[24:25], v[184:185], v[24:25]
	s_waitcnt vmcnt(9) lgkmcnt(0)
	v_mul_f64 v[204:205], v[2:3], v[28:29]
	v_mul_f64 v[28:29], v[4:5], v[28:29]
	v_add_f64 v[194:195], v[194:195], v[190:191]
	v_add_f64 v[196:197], v[196:197], v[192:193]
	ds_load_b128 v[190:193], v1 offset:1056
	v_fma_f64 v[184:185], v[184:185], v[22:23], v[198:199]
	v_fma_f64 v[182:183], v[182:183], v[22:23], -v[24:25]
	scratch_load_b128 v[22:25], off, off offset:464
	v_add_f64 v[194:195], v[194:195], v[202:203]
	v_add_f64 v[196:197], v[196:197], v[200:201]
	v_fma_f64 v[200:201], v[4:5], v[26:27], v[204:205]
	v_fma_f64 v[202:203], v[2:3], v[26:27], -v[28:29]
	scratch_load_b128 v[26:29], off, off offset:480
	ds_load_b128 v[2:5], v1 offset:1072
	s_waitcnt vmcnt(10) lgkmcnt(1)
	v_mul_f64 v[198:199], v[190:191], v[32:33]
	v_mul_f64 v[32:33], v[192:193], v[32:33]
	s_waitcnt vmcnt(9) lgkmcnt(0)
	v_mul_f64 v[204:205], v[2:3], v[36:37]
	v_mul_f64 v[36:37], v[4:5], v[36:37]
	v_add_f64 v[194:195], v[194:195], v[182:183]
	v_add_f64 v[196:197], v[196:197], v[184:185]
	ds_load_b128 v[182:185], v1 offset:1088
	v_fma_f64 v[192:193], v[192:193], v[30:31], v[198:199]
	v_fma_f64 v[190:191], v[190:191], v[30:31], -v[32:33]
	scratch_load_b128 v[30:33], off, off offset:496
	v_add_f64 v[194:195], v[194:195], v[202:203]
	v_add_f64 v[196:197], v[196:197], v[200:201]
	v_fma_f64 v[202:203], v[4:5], v[34:35], v[204:205]
	v_fma_f64 v[204:205], v[2:3], v[34:35], -v[36:37]
	scratch_load_b128 v[34:37], off, off offset:512
	ds_load_b128 v[2:5], v1 offset:1104
	s_waitcnt vmcnt(9) lgkmcnt(1)
	v_mul_f64 v[198:199], v[182:183], v[188:189]
	v_mul_f64 v[200:201], v[184:185], v[188:189]
	v_add_f64 v[194:195], v[194:195], v[190:191]
	v_add_f64 v[192:193], v[196:197], v[192:193]
	ds_load_b128 v[188:191], v1 offset:1120
	v_fma_f64 v[198:199], v[184:185], v[186:187], v[198:199]
	v_fma_f64 v[186:187], v[182:183], v[186:187], -v[200:201]
	scratch_load_b128 v[182:185], off, off offset:528
	s_waitcnt vmcnt(9) lgkmcnt(1)
	v_mul_f64 v[196:197], v[2:3], v[40:41]
	v_mul_f64 v[40:41], v[4:5], v[40:41]
	v_add_f64 v[194:195], v[194:195], v[204:205]
	v_add_f64 v[192:193], v[192:193], v[202:203]
	s_delay_alu instid0(VALU_DEP_4) | instskip(NEXT) | instid1(VALU_DEP_4)
	v_fma_f64 v[196:197], v[4:5], v[38:39], v[196:197]
	v_fma_f64 v[202:203], v[2:3], v[38:39], -v[40:41]
	scratch_load_b128 v[38:41], off, off offset:544
	ds_load_b128 v[2:5], v1 offset:1136
	s_waitcnt vmcnt(9) lgkmcnt(1)
	v_mul_f64 v[200:201], v[188:189], v[8:9]
	v_mul_f64 v[8:9], v[190:191], v[8:9]
	s_waitcnt vmcnt(8) lgkmcnt(0)
	v_mul_f64 v[204:205], v[2:3], v[12:13]
	v_mul_f64 v[12:13], v[4:5], v[12:13]
	v_add_f64 v[186:187], v[194:195], v[186:187]
	v_add_f64 v[198:199], v[192:193], v[198:199]
	ds_load_b128 v[192:195], v1 offset:1152
	v_fma_f64 v[190:191], v[190:191], v[6:7], v[200:201]
	v_fma_f64 v[188:189], v[188:189], v[6:7], -v[8:9]
	scratch_load_b128 v[6:9], off, off offset:560
	v_fma_f64 v[200:201], v[4:5], v[10:11], v[204:205]
	v_add_f64 v[186:187], v[186:187], v[202:203]
	v_add_f64 v[196:197], v[198:199], v[196:197]
	v_fma_f64 v[202:203], v[2:3], v[10:11], -v[12:13]
	scratch_load_b128 v[10:13], off, off offset:576
	ds_load_b128 v[2:5], v1 offset:1168
	s_waitcnt vmcnt(9) lgkmcnt(1)
	v_mul_f64 v[198:199], v[192:193], v[16:17]
	v_mul_f64 v[16:17], v[194:195], v[16:17]
	v_add_f64 v[204:205], v[186:187], v[188:189]
	v_add_f64 v[190:191], v[196:197], v[190:191]
	s_waitcnt vmcnt(8) lgkmcnt(0)
	v_mul_f64 v[196:197], v[2:3], v[20:21]
	v_mul_f64 v[20:21], v[4:5], v[20:21]
	ds_load_b128 v[186:189], v1 offset:1184
	v_fma_f64 v[194:195], v[194:195], v[14:15], v[198:199]
	v_fma_f64 v[192:193], v[192:193], v[14:15], -v[16:17]
	scratch_load_b128 v[14:17], off, off offset:592
	v_add_f64 v[198:199], v[204:205], v[202:203]
	v_add_f64 v[190:191], v[190:191], v[200:201]
	v_fma_f64 v[196:197], v[4:5], v[18:19], v[196:197]
	v_fma_f64 v[202:203], v[2:3], v[18:19], -v[20:21]
	scratch_load_b128 v[18:21], off, off offset:608
	ds_load_b128 v[2:5], v1 offset:1200
	s_waitcnt vmcnt(9) lgkmcnt(1)
	v_mul_f64 v[200:201], v[186:187], v[24:25]
	v_mul_f64 v[24:25], v[188:189], v[24:25]
	s_waitcnt vmcnt(8) lgkmcnt(0)
	v_mul_f64 v[204:205], v[2:3], v[28:29]
	v_mul_f64 v[28:29], v[4:5], v[28:29]
	v_add_f64 v[198:199], v[198:199], v[192:193]
	v_add_f64 v[194:195], v[190:191], v[194:195]
	ds_load_b128 v[190:193], v1 offset:1216
	v_fma_f64 v[188:189], v[188:189], v[22:23], v[200:201]
	v_fma_f64 v[186:187], v[186:187], v[22:23], -v[24:25]
	scratch_load_b128 v[22:25], off, off offset:624
	v_fma_f64 v[200:201], v[4:5], v[26:27], v[204:205]
	v_add_f64 v[198:199], v[198:199], v[202:203]
	v_add_f64 v[194:195], v[194:195], v[196:197]
	v_fma_f64 v[202:203], v[2:3], v[26:27], -v[28:29]
	scratch_load_b128 v[26:29], off, off offset:640
	ds_load_b128 v[2:5], v1 offset:1232
	s_waitcnt vmcnt(9) lgkmcnt(1)
	v_mul_f64 v[196:197], v[190:191], v[32:33]
	v_mul_f64 v[32:33], v[192:193], v[32:33]
	s_waitcnt vmcnt(8) lgkmcnt(0)
	v_mul_f64 v[204:205], v[2:3], v[36:37]
	v_mul_f64 v[36:37], v[4:5], v[36:37]
	v_add_f64 v[198:199], v[198:199], v[186:187]
	v_add_f64 v[194:195], v[194:195], v[188:189]
	ds_load_b128 v[186:189], v1 offset:1248
	v_fma_f64 v[192:193], v[192:193], v[30:31], v[196:197]
	v_fma_f64 v[190:191], v[190:191], v[30:31], -v[32:33]
	scratch_load_b128 v[30:33], off, off offset:656
	v_add_f64 v[196:197], v[198:199], v[202:203]
	v_add_f64 v[194:195], v[194:195], v[200:201]
	v_fma_f64 v[200:201], v[4:5], v[34:35], v[204:205]
	v_fma_f64 v[202:203], v[2:3], v[34:35], -v[36:37]
	scratch_load_b128 v[34:37], off, off offset:672
	ds_load_b128 v[2:5], v1 offset:1264
	s_waitcnt vmcnt(9) lgkmcnt(1)
	v_mul_f64 v[198:199], v[186:187], v[184:185]
	v_mul_f64 v[184:185], v[188:189], v[184:185]
	s_waitcnt vmcnt(8) lgkmcnt(0)
	v_mul_f64 v[204:205], v[2:3], v[40:41]
	v_mul_f64 v[40:41], v[4:5], v[40:41]
	v_add_f64 v[196:197], v[196:197], v[190:191]
	v_add_f64 v[194:195], v[194:195], v[192:193]
	ds_load_b128 v[190:193], v1 offset:1280
	v_fma_f64 v[188:189], v[188:189], v[182:183], v[198:199]
	v_fma_f64 v[186:187], v[186:187], v[182:183], -v[184:185]
	scratch_load_b128 v[182:185], off, off offset:688
	v_add_f64 v[196:197], v[196:197], v[202:203]
	v_add_f64 v[194:195], v[194:195], v[200:201]
	v_fma_f64 v[200:201], v[4:5], v[38:39], v[204:205]
	v_fma_f64 v[202:203], v[2:3], v[38:39], -v[40:41]
	scratch_load_b128 v[38:41], off, off offset:704
	ds_load_b128 v[2:5], v1 offset:1296
	s_waitcnt vmcnt(9) lgkmcnt(1)
	v_mul_f64 v[198:199], v[190:191], v[8:9]
	v_mul_f64 v[8:9], v[192:193], v[8:9]
	s_waitcnt vmcnt(8) lgkmcnt(0)
	v_mul_f64 v[204:205], v[2:3], v[12:13]
	v_mul_f64 v[12:13], v[4:5], v[12:13]
	v_add_f64 v[196:197], v[196:197], v[186:187]
	v_add_f64 v[194:195], v[194:195], v[188:189]
	ds_load_b128 v[186:189], v1 offset:1312
	v_fma_f64 v[192:193], v[192:193], v[6:7], v[198:199]
	v_fma_f64 v[6:7], v[190:191], v[6:7], -v[8:9]
	v_add_f64 v[8:9], v[196:197], v[202:203]
	v_add_f64 v[190:191], v[194:195], v[200:201]
	s_waitcnt vmcnt(7) lgkmcnt(0)
	v_mul_f64 v[194:195], v[186:187], v[16:17]
	v_mul_f64 v[16:17], v[188:189], v[16:17]
	v_fma_f64 v[196:197], v[4:5], v[10:11], v[204:205]
	v_fma_f64 v[10:11], v[2:3], v[10:11], -v[12:13]
	v_add_f64 v[12:13], v[8:9], v[6:7]
	v_add_f64 v[190:191], v[190:191], v[192:193]
	ds_load_b128 v[2:5], v1 offset:1328
	ds_load_b128 v[6:9], v1 offset:1344
	v_fma_f64 v[188:189], v[188:189], v[14:15], v[194:195]
	v_fma_f64 v[14:15], v[186:187], v[14:15], -v[16:17]
	s_waitcnt vmcnt(6) lgkmcnt(1)
	v_mul_f64 v[192:193], v[2:3], v[20:21]
	v_mul_f64 v[20:21], v[4:5], v[20:21]
	s_waitcnt vmcnt(5) lgkmcnt(0)
	v_mul_f64 v[16:17], v[6:7], v[24:25]
	v_mul_f64 v[24:25], v[8:9], v[24:25]
	v_add_f64 v[10:11], v[12:13], v[10:11]
	v_add_f64 v[12:13], v[190:191], v[196:197]
	v_fma_f64 v[186:187], v[4:5], v[18:19], v[192:193]
	v_fma_f64 v[18:19], v[2:3], v[18:19], -v[20:21]
	v_fma_f64 v[8:9], v[8:9], v[22:23], v[16:17]
	v_fma_f64 v[6:7], v[6:7], v[22:23], -v[24:25]
	v_add_f64 v[14:15], v[10:11], v[14:15]
	v_add_f64 v[20:21], v[12:13], v[188:189]
	ds_load_b128 v[2:5], v1 offset:1360
	ds_load_b128 v[10:13], v1 offset:1376
	s_waitcnt vmcnt(4) lgkmcnt(1)
	v_mul_f64 v[188:189], v[2:3], v[28:29]
	v_mul_f64 v[28:29], v[4:5], v[28:29]
	v_add_f64 v[14:15], v[14:15], v[18:19]
	v_add_f64 v[16:17], v[20:21], v[186:187]
	s_waitcnt vmcnt(3) lgkmcnt(0)
	v_mul_f64 v[18:19], v[10:11], v[32:33]
	v_mul_f64 v[20:21], v[12:13], v[32:33]
	v_fma_f64 v[22:23], v[4:5], v[26:27], v[188:189]
	v_fma_f64 v[24:25], v[2:3], v[26:27], -v[28:29]
	v_add_f64 v[14:15], v[14:15], v[6:7]
	v_add_f64 v[16:17], v[16:17], v[8:9]
	ds_load_b128 v[2:5], v1 offset:1392
	ds_load_b128 v[6:9], v1 offset:1408
	v_fma_f64 v[12:13], v[12:13], v[30:31], v[18:19]
	v_fma_f64 v[10:11], v[10:11], v[30:31], -v[20:21]
	s_waitcnt vmcnt(2) lgkmcnt(1)
	v_mul_f64 v[26:27], v[2:3], v[36:37]
	v_mul_f64 v[28:29], v[4:5], v[36:37]
	s_waitcnt vmcnt(1) lgkmcnt(0)
	v_mul_f64 v[18:19], v[6:7], v[184:185]
	v_mul_f64 v[20:21], v[8:9], v[184:185]
	v_add_f64 v[14:15], v[14:15], v[24:25]
	v_add_f64 v[16:17], v[16:17], v[22:23]
	v_fma_f64 v[22:23], v[4:5], v[34:35], v[26:27]
	v_fma_f64 v[24:25], v[2:3], v[34:35], -v[28:29]
	ds_load_b128 v[2:5], v1 offset:1424
	v_fma_f64 v[8:9], v[8:9], v[182:183], v[18:19]
	v_fma_f64 v[6:7], v[6:7], v[182:183], -v[20:21]
	v_add_f64 v[10:11], v[14:15], v[10:11]
	v_add_f64 v[12:13], v[16:17], v[12:13]
	s_waitcnt vmcnt(0) lgkmcnt(0)
	v_mul_f64 v[14:15], v[2:3], v[40:41]
	v_mul_f64 v[16:17], v[4:5], v[40:41]
	s_delay_alu instid0(VALU_DEP_4) | instskip(NEXT) | instid1(VALU_DEP_4)
	v_add_f64 v[10:11], v[10:11], v[24:25]
	v_add_f64 v[12:13], v[12:13], v[22:23]
	s_delay_alu instid0(VALU_DEP_4) | instskip(NEXT) | instid1(VALU_DEP_4)
	v_fma_f64 v[4:5], v[4:5], v[38:39], v[14:15]
	v_fma_f64 v[2:3], v[2:3], v[38:39], -v[16:17]
	s_delay_alu instid0(VALU_DEP_4) | instskip(NEXT) | instid1(VALU_DEP_4)
	v_add_f64 v[6:7], v[10:11], v[6:7]
	v_add_f64 v[8:9], v[12:13], v[8:9]
	s_delay_alu instid0(VALU_DEP_2) | instskip(NEXT) | instid1(VALU_DEP_2)
	v_add_f64 v[2:3], v[6:7], v[2:3]
	v_add_f64 v[4:5], v[8:9], v[4:5]
	s_delay_alu instid0(VALU_DEP_2) | instskip(NEXT) | instid1(VALU_DEP_2)
	v_add_f64 v[2:3], v[42:43], -v[2:3]
	v_add_f64 v[4:5], v[44:45], -v[4:5]
	scratch_store_b128 off, v[2:5], off offset:208
	v_cmpx_lt_u32_e32 12, v136
	s_cbranch_execz .LBB44_259
; %bb.258:
	scratch_load_b128 v[5:8], v169, off
	v_mov_b32_e32 v2, v1
	v_mov_b32_e32 v3, v1
	v_mov_b32_e32 v4, v1
	scratch_store_b128 off, v[1:4], off offset:192
	s_waitcnt vmcnt(0)
	ds_store_b128 v181, v[5:8]
.LBB44_259:
	s_or_b32 exec_lo, exec_lo, s2
	s_waitcnt lgkmcnt(0)
	s_waitcnt_vscnt null, 0x0
	s_barrier
	buffer_gl0_inv
	s_clause 0x8
	scratch_load_b128 v[2:5], off, off offset:208
	scratch_load_b128 v[6:9], off, off offset:224
	;; [unrolled: 1-line block ×9, first 2 shown]
	ds_load_b128 v[42:45], v1 offset:928
	ds_load_b128 v[38:41], v1 offset:944
	s_clause 0x1
	scratch_load_b128 v[182:185], off, off offset:192
	scratch_load_b128 v[186:189], off, off offset:352
	s_mov_b32 s2, exec_lo
	s_waitcnt vmcnt(10) lgkmcnt(1)
	v_mul_f64 v[190:191], v[44:45], v[4:5]
	v_mul_f64 v[4:5], v[42:43], v[4:5]
	s_waitcnt vmcnt(9) lgkmcnt(0)
	v_mul_f64 v[194:195], v[38:39], v[8:9]
	v_mul_f64 v[8:9], v[40:41], v[8:9]
	s_delay_alu instid0(VALU_DEP_4) | instskip(NEXT) | instid1(VALU_DEP_4)
	v_fma_f64 v[196:197], v[42:43], v[2:3], -v[190:191]
	v_fma_f64 v[198:199], v[44:45], v[2:3], v[4:5]
	ds_load_b128 v[2:5], v1 offset:960
	ds_load_b128 v[190:193], v1 offset:976
	scratch_load_b128 v[42:45], off, off offset:368
	v_fma_f64 v[40:41], v[40:41], v[6:7], v[194:195]
	v_fma_f64 v[38:39], v[38:39], v[6:7], -v[8:9]
	scratch_load_b128 v[6:9], off, off offset:384
	s_waitcnt vmcnt(10) lgkmcnt(1)
	v_mul_f64 v[200:201], v[2:3], v[12:13]
	v_mul_f64 v[12:13], v[4:5], v[12:13]
	v_add_f64 v[194:195], v[196:197], 0
	v_add_f64 v[196:197], v[198:199], 0
	s_waitcnt vmcnt(9) lgkmcnt(0)
	v_mul_f64 v[198:199], v[190:191], v[16:17]
	v_mul_f64 v[16:17], v[192:193], v[16:17]
	v_fma_f64 v[200:201], v[4:5], v[10:11], v[200:201]
	v_fma_f64 v[202:203], v[2:3], v[10:11], -v[12:13]
	ds_load_b128 v[2:5], v1 offset:992
	scratch_load_b128 v[10:13], off, off offset:400
	v_add_f64 v[194:195], v[194:195], v[38:39]
	v_add_f64 v[196:197], v[196:197], v[40:41]
	ds_load_b128 v[38:41], v1 offset:1008
	v_fma_f64 v[192:193], v[192:193], v[14:15], v[198:199]
	v_fma_f64 v[190:191], v[190:191], v[14:15], -v[16:17]
	scratch_load_b128 v[14:17], off, off offset:416
	s_waitcnt vmcnt(10) lgkmcnt(1)
	v_mul_f64 v[204:205], v[2:3], v[20:21]
	v_mul_f64 v[20:21], v[4:5], v[20:21]
	s_waitcnt vmcnt(9) lgkmcnt(0)
	v_mul_f64 v[198:199], v[38:39], v[24:25]
	v_mul_f64 v[24:25], v[40:41], v[24:25]
	v_add_f64 v[194:195], v[194:195], v[202:203]
	v_add_f64 v[196:197], v[196:197], v[200:201]
	v_fma_f64 v[200:201], v[4:5], v[18:19], v[204:205]
	v_fma_f64 v[202:203], v[2:3], v[18:19], -v[20:21]
	ds_load_b128 v[2:5], v1 offset:1024
	scratch_load_b128 v[18:21], off, off offset:432
	v_fma_f64 v[40:41], v[40:41], v[22:23], v[198:199]
	v_fma_f64 v[38:39], v[38:39], v[22:23], -v[24:25]
	scratch_load_b128 v[22:25], off, off offset:448
	v_add_f64 v[194:195], v[194:195], v[190:191]
	v_add_f64 v[196:197], v[196:197], v[192:193]
	ds_load_b128 v[190:193], v1 offset:1040
	s_waitcnt vmcnt(10) lgkmcnt(1)
	v_mul_f64 v[204:205], v[2:3], v[28:29]
	v_mul_f64 v[28:29], v[4:5], v[28:29]
	s_waitcnt vmcnt(9) lgkmcnt(0)
	v_mul_f64 v[198:199], v[190:191], v[32:33]
	v_mul_f64 v[32:33], v[192:193], v[32:33]
	v_add_f64 v[194:195], v[194:195], v[202:203]
	v_add_f64 v[196:197], v[196:197], v[200:201]
	v_fma_f64 v[200:201], v[4:5], v[26:27], v[204:205]
	v_fma_f64 v[202:203], v[2:3], v[26:27], -v[28:29]
	ds_load_b128 v[2:5], v1 offset:1056
	scratch_load_b128 v[26:29], off, off offset:464
	v_fma_f64 v[192:193], v[192:193], v[30:31], v[198:199]
	v_fma_f64 v[190:191], v[190:191], v[30:31], -v[32:33]
	scratch_load_b128 v[30:33], off, off offset:480
	v_add_f64 v[194:195], v[194:195], v[38:39]
	v_add_f64 v[196:197], v[196:197], v[40:41]
	ds_load_b128 v[38:41], v1 offset:1072
	s_waitcnt vmcnt(10) lgkmcnt(1)
	v_mul_f64 v[204:205], v[2:3], v[36:37]
	v_mul_f64 v[36:37], v[4:5], v[36:37]
	s_waitcnt vmcnt(8) lgkmcnt(0)
	v_mul_f64 v[198:199], v[38:39], v[188:189]
	v_add_f64 v[194:195], v[194:195], v[202:203]
	v_add_f64 v[196:197], v[196:197], v[200:201]
	v_mul_f64 v[200:201], v[40:41], v[188:189]
	v_fma_f64 v[202:203], v[4:5], v[34:35], v[204:205]
	v_fma_f64 v[204:205], v[2:3], v[34:35], -v[36:37]
	ds_load_b128 v[2:5], v1 offset:1088
	scratch_load_b128 v[34:37], off, off offset:496
	v_fma_f64 v[198:199], v[40:41], v[186:187], v[198:199]
	v_add_f64 v[194:195], v[194:195], v[190:191]
	v_add_f64 v[192:193], v[196:197], v[192:193]
	ds_load_b128 v[188:191], v1 offset:1104
	v_fma_f64 v[186:187], v[38:39], v[186:187], -v[200:201]
	scratch_load_b128 v[38:41], off, off offset:512
	s_waitcnt vmcnt(9) lgkmcnt(1)
	v_mul_f64 v[196:197], v[2:3], v[44:45]
	v_mul_f64 v[44:45], v[4:5], v[44:45]
	s_waitcnt vmcnt(8) lgkmcnt(0)
	v_mul_f64 v[200:201], v[188:189], v[8:9]
	v_mul_f64 v[8:9], v[190:191], v[8:9]
	v_add_f64 v[194:195], v[194:195], v[204:205]
	v_add_f64 v[192:193], v[192:193], v[202:203]
	v_fma_f64 v[196:197], v[4:5], v[42:43], v[196:197]
	v_fma_f64 v[202:203], v[2:3], v[42:43], -v[44:45]
	ds_load_b128 v[2:5], v1 offset:1120
	scratch_load_b128 v[42:45], off, off offset:528
	v_fma_f64 v[190:191], v[190:191], v[6:7], v[200:201]
	v_fma_f64 v[188:189], v[188:189], v[6:7], -v[8:9]
	scratch_load_b128 v[6:9], off, off offset:544
	v_add_f64 v[186:187], v[194:195], v[186:187]
	v_add_f64 v[198:199], v[192:193], v[198:199]
	ds_load_b128 v[192:195], v1 offset:1136
	s_waitcnt vmcnt(9) lgkmcnt(1)
	v_mul_f64 v[204:205], v[2:3], v[12:13]
	v_mul_f64 v[12:13], v[4:5], v[12:13]
	v_add_f64 v[186:187], v[186:187], v[202:203]
	v_add_f64 v[196:197], v[198:199], v[196:197]
	s_waitcnt vmcnt(8) lgkmcnt(0)
	v_mul_f64 v[198:199], v[192:193], v[16:17]
	v_mul_f64 v[16:17], v[194:195], v[16:17]
	v_fma_f64 v[200:201], v[4:5], v[10:11], v[204:205]
	v_fma_f64 v[202:203], v[2:3], v[10:11], -v[12:13]
	ds_load_b128 v[2:5], v1 offset:1152
	scratch_load_b128 v[10:13], off, off offset:560
	v_add_f64 v[204:205], v[186:187], v[188:189]
	v_add_f64 v[190:191], v[196:197], v[190:191]
	ds_load_b128 v[186:189], v1 offset:1168
	s_waitcnt vmcnt(8) lgkmcnt(1)
	v_mul_f64 v[196:197], v[2:3], v[20:21]
	v_mul_f64 v[20:21], v[4:5], v[20:21]
	v_fma_f64 v[194:195], v[194:195], v[14:15], v[198:199]
	v_fma_f64 v[192:193], v[192:193], v[14:15], -v[16:17]
	scratch_load_b128 v[14:17], off, off offset:576
	v_add_f64 v[198:199], v[204:205], v[202:203]
	v_add_f64 v[190:191], v[190:191], v[200:201]
	s_waitcnt vmcnt(8) lgkmcnt(0)
	v_mul_f64 v[200:201], v[186:187], v[24:25]
	v_mul_f64 v[24:25], v[188:189], v[24:25]
	v_fma_f64 v[196:197], v[4:5], v[18:19], v[196:197]
	v_fma_f64 v[202:203], v[2:3], v[18:19], -v[20:21]
	ds_load_b128 v[2:5], v1 offset:1184
	scratch_load_b128 v[18:21], off, off offset:592
	v_add_f64 v[198:199], v[198:199], v[192:193]
	v_add_f64 v[194:195], v[190:191], v[194:195]
	ds_load_b128 v[190:193], v1 offset:1200
	s_waitcnt vmcnt(8) lgkmcnt(1)
	v_mul_f64 v[204:205], v[2:3], v[28:29]
	v_mul_f64 v[28:29], v[4:5], v[28:29]
	v_fma_f64 v[188:189], v[188:189], v[22:23], v[200:201]
	v_fma_f64 v[186:187], v[186:187], v[22:23], -v[24:25]
	scratch_load_b128 v[22:25], off, off offset:608
	v_add_f64 v[198:199], v[198:199], v[202:203]
	v_add_f64 v[194:195], v[194:195], v[196:197]
	s_waitcnt vmcnt(8) lgkmcnt(0)
	v_mul_f64 v[196:197], v[190:191], v[32:33]
	v_mul_f64 v[32:33], v[192:193], v[32:33]
	v_fma_f64 v[200:201], v[4:5], v[26:27], v[204:205]
	v_fma_f64 v[202:203], v[2:3], v[26:27], -v[28:29]
	ds_load_b128 v[2:5], v1 offset:1216
	scratch_load_b128 v[26:29], off, off offset:624
	v_add_f64 v[198:199], v[198:199], v[186:187]
	v_add_f64 v[194:195], v[194:195], v[188:189]
	ds_load_b128 v[186:189], v1 offset:1232
	s_waitcnt vmcnt(8) lgkmcnt(1)
	v_mul_f64 v[204:205], v[2:3], v[36:37]
	v_mul_f64 v[36:37], v[4:5], v[36:37]
	v_fma_f64 v[192:193], v[192:193], v[30:31], v[196:197]
	v_fma_f64 v[190:191], v[190:191], v[30:31], -v[32:33]
	scratch_load_b128 v[30:33], off, off offset:640
	v_add_f64 v[196:197], v[198:199], v[202:203]
	v_add_f64 v[194:195], v[194:195], v[200:201]
	s_waitcnt vmcnt(8) lgkmcnt(0)
	v_mul_f64 v[198:199], v[186:187], v[40:41]
	v_mul_f64 v[40:41], v[188:189], v[40:41]
	v_fma_f64 v[200:201], v[4:5], v[34:35], v[204:205]
	v_fma_f64 v[202:203], v[2:3], v[34:35], -v[36:37]
	ds_load_b128 v[2:5], v1 offset:1248
	scratch_load_b128 v[34:37], off, off offset:656
	v_add_f64 v[196:197], v[196:197], v[190:191]
	v_add_f64 v[194:195], v[194:195], v[192:193]
	ds_load_b128 v[190:193], v1 offset:1264
	s_waitcnt vmcnt(8) lgkmcnt(1)
	v_mul_f64 v[204:205], v[2:3], v[44:45]
	v_mul_f64 v[44:45], v[4:5], v[44:45]
	v_fma_f64 v[188:189], v[188:189], v[38:39], v[198:199]
	v_fma_f64 v[186:187], v[186:187], v[38:39], -v[40:41]
	scratch_load_b128 v[38:41], off, off offset:672
	s_waitcnt vmcnt(8) lgkmcnt(0)
	v_mul_f64 v[198:199], v[190:191], v[8:9]
	v_mul_f64 v[8:9], v[192:193], v[8:9]
	v_add_f64 v[196:197], v[196:197], v[202:203]
	v_add_f64 v[194:195], v[194:195], v[200:201]
	v_fma_f64 v[200:201], v[4:5], v[42:43], v[204:205]
	v_fma_f64 v[202:203], v[2:3], v[42:43], -v[44:45]
	ds_load_b128 v[2:5], v1 offset:1280
	scratch_load_b128 v[42:45], off, off offset:688
	v_fma_f64 v[192:193], v[192:193], v[6:7], v[198:199]
	v_fma_f64 v[190:191], v[190:191], v[6:7], -v[8:9]
	scratch_load_b128 v[6:9], off, off offset:704
	v_add_f64 v[196:197], v[196:197], v[186:187]
	v_add_f64 v[194:195], v[194:195], v[188:189]
	ds_load_b128 v[186:189], v1 offset:1296
	s_waitcnt vmcnt(9) lgkmcnt(1)
	v_mul_f64 v[204:205], v[2:3], v[12:13]
	v_mul_f64 v[12:13], v[4:5], v[12:13]
	s_waitcnt vmcnt(8) lgkmcnt(0)
	v_mul_f64 v[198:199], v[186:187], v[16:17]
	v_mul_f64 v[16:17], v[188:189], v[16:17]
	v_add_f64 v[196:197], v[196:197], v[202:203]
	v_add_f64 v[194:195], v[194:195], v[200:201]
	v_fma_f64 v[200:201], v[4:5], v[10:11], v[204:205]
	v_fma_f64 v[202:203], v[2:3], v[10:11], -v[12:13]
	ds_load_b128 v[2:5], v1 offset:1312
	ds_load_b128 v[10:13], v1 offset:1328
	v_fma_f64 v[188:189], v[188:189], v[14:15], v[198:199]
	v_fma_f64 v[14:15], v[186:187], v[14:15], -v[16:17]
	v_add_f64 v[190:191], v[196:197], v[190:191]
	v_add_f64 v[192:193], v[194:195], v[192:193]
	s_waitcnt vmcnt(7) lgkmcnt(1)
	v_mul_f64 v[194:195], v[2:3], v[20:21]
	v_mul_f64 v[20:21], v[4:5], v[20:21]
	s_delay_alu instid0(VALU_DEP_4) | instskip(NEXT) | instid1(VALU_DEP_4)
	v_add_f64 v[16:17], v[190:191], v[202:203]
	v_add_f64 v[186:187], v[192:193], v[200:201]
	s_waitcnt vmcnt(6) lgkmcnt(0)
	v_mul_f64 v[190:191], v[10:11], v[24:25]
	v_mul_f64 v[24:25], v[12:13], v[24:25]
	v_fma_f64 v[192:193], v[4:5], v[18:19], v[194:195]
	v_fma_f64 v[18:19], v[2:3], v[18:19], -v[20:21]
	v_add_f64 v[20:21], v[16:17], v[14:15]
	v_add_f64 v[186:187], v[186:187], v[188:189]
	ds_load_b128 v[2:5], v1 offset:1344
	ds_load_b128 v[14:17], v1 offset:1360
	v_fma_f64 v[12:13], v[12:13], v[22:23], v[190:191]
	v_fma_f64 v[10:11], v[10:11], v[22:23], -v[24:25]
	s_waitcnt vmcnt(5) lgkmcnt(1)
	v_mul_f64 v[188:189], v[2:3], v[28:29]
	v_mul_f64 v[28:29], v[4:5], v[28:29]
	s_waitcnt vmcnt(4) lgkmcnt(0)
	v_mul_f64 v[22:23], v[14:15], v[32:33]
	v_mul_f64 v[24:25], v[16:17], v[32:33]
	v_add_f64 v[18:19], v[20:21], v[18:19]
	v_add_f64 v[20:21], v[186:187], v[192:193]
	v_fma_f64 v[32:33], v[4:5], v[26:27], v[188:189]
	v_fma_f64 v[26:27], v[2:3], v[26:27], -v[28:29]
	v_fma_f64 v[16:17], v[16:17], v[30:31], v[22:23]
	v_fma_f64 v[14:15], v[14:15], v[30:31], -v[24:25]
	v_add_f64 v[18:19], v[18:19], v[10:11]
	v_add_f64 v[20:21], v[20:21], v[12:13]
	ds_load_b128 v[2:5], v1 offset:1376
	ds_load_b128 v[10:13], v1 offset:1392
	s_waitcnt vmcnt(3) lgkmcnt(1)
	v_mul_f64 v[28:29], v[2:3], v[36:37]
	v_mul_f64 v[36:37], v[4:5], v[36:37]
	s_waitcnt vmcnt(2) lgkmcnt(0)
	v_mul_f64 v[22:23], v[10:11], v[40:41]
	v_mul_f64 v[24:25], v[12:13], v[40:41]
	v_add_f64 v[18:19], v[18:19], v[26:27]
	v_add_f64 v[20:21], v[20:21], v[32:33]
	v_fma_f64 v[26:27], v[4:5], v[34:35], v[28:29]
	v_fma_f64 v[28:29], v[2:3], v[34:35], -v[36:37]
	v_fma_f64 v[12:13], v[12:13], v[38:39], v[22:23]
	v_fma_f64 v[10:11], v[10:11], v[38:39], -v[24:25]
	v_add_f64 v[18:19], v[18:19], v[14:15]
	v_add_f64 v[20:21], v[20:21], v[16:17]
	ds_load_b128 v[2:5], v1 offset:1408
	ds_load_b128 v[14:17], v1 offset:1424
	s_waitcnt vmcnt(1) lgkmcnt(1)
	v_mul_f64 v[30:31], v[2:3], v[44:45]
	v_mul_f64 v[32:33], v[4:5], v[44:45]
	s_waitcnt vmcnt(0) lgkmcnt(0)
	v_mul_f64 v[22:23], v[14:15], v[8:9]
	v_mul_f64 v[8:9], v[16:17], v[8:9]
	v_add_f64 v[18:19], v[18:19], v[28:29]
	v_add_f64 v[20:21], v[20:21], v[26:27]
	v_fma_f64 v[4:5], v[4:5], v[42:43], v[30:31]
	v_fma_f64 v[1:2], v[2:3], v[42:43], -v[32:33]
	v_fma_f64 v[16:17], v[16:17], v[6:7], v[22:23]
	v_fma_f64 v[6:7], v[14:15], v[6:7], -v[8:9]
	v_add_f64 v[10:11], v[18:19], v[10:11]
	v_add_f64 v[12:13], v[20:21], v[12:13]
	s_delay_alu instid0(VALU_DEP_2) | instskip(NEXT) | instid1(VALU_DEP_2)
	v_add_f64 v[1:2], v[10:11], v[1:2]
	v_add_f64 v[3:4], v[12:13], v[4:5]
	s_delay_alu instid0(VALU_DEP_2) | instskip(NEXT) | instid1(VALU_DEP_2)
	;; [unrolled: 3-line block ×3, first 2 shown]
	v_add_f64 v[1:2], v[182:183], -v[1:2]
	v_add_f64 v[3:4], v[184:185], -v[3:4]
	scratch_store_b128 off, v[1:4], off offset:192
	v_cmpx_lt_u32_e32 11, v136
	s_cbranch_execz .LBB44_261
; %bb.260:
	scratch_load_b128 v[1:4], v170, off
	v_mov_b32_e32 v5, 0
	s_delay_alu instid0(VALU_DEP_1)
	v_mov_b32_e32 v6, v5
	v_mov_b32_e32 v7, v5
	;; [unrolled: 1-line block ×3, first 2 shown]
	scratch_store_b128 off, v[5:8], off offset:176
	s_waitcnt vmcnt(0)
	ds_store_b128 v181, v[1:4]
.LBB44_261:
	s_or_b32 exec_lo, exec_lo, s2
	s_waitcnt lgkmcnt(0)
	s_waitcnt_vscnt null, 0x0
	s_barrier
	buffer_gl0_inv
	s_clause 0x7
	scratch_load_b128 v[2:5], off, off offset:192
	scratch_load_b128 v[6:9], off, off offset:208
	scratch_load_b128 v[10:13], off, off offset:224
	scratch_load_b128 v[14:17], off, off offset:240
	scratch_load_b128 v[18:21], off, off offset:256
	scratch_load_b128 v[22:25], off, off offset:272
	scratch_load_b128 v[26:29], off, off offset:288
	scratch_load_b128 v[30:33], off, off offset:304
	v_mov_b32_e32 v1, 0
	s_mov_b32 s2, exec_lo
	ds_load_b128 v[38:41], v1 offset:912
	s_clause 0x1
	scratch_load_b128 v[34:37], off, off offset:320
	scratch_load_b128 v[42:45], off, off offset:176
	ds_load_b128 v[182:185], v1 offset:928
	scratch_load_b128 v[186:189], off, off offset:336
	s_waitcnt vmcnt(10) lgkmcnt(1)
	v_mul_f64 v[190:191], v[40:41], v[4:5]
	v_mul_f64 v[4:5], v[38:39], v[4:5]
	s_delay_alu instid0(VALU_DEP_2) | instskip(NEXT) | instid1(VALU_DEP_2)
	v_fma_f64 v[196:197], v[38:39], v[2:3], -v[190:191]
	v_fma_f64 v[198:199], v[40:41], v[2:3], v[4:5]
	scratch_load_b128 v[38:41], off, off offset:352
	ds_load_b128 v[2:5], v1 offset:944
	s_waitcnt vmcnt(10) lgkmcnt(1)
	v_mul_f64 v[194:195], v[182:183], v[8:9]
	v_mul_f64 v[8:9], v[184:185], v[8:9]
	ds_load_b128 v[190:193], v1 offset:960
	s_waitcnt vmcnt(9) lgkmcnt(1)
	v_mul_f64 v[200:201], v[2:3], v[12:13]
	v_mul_f64 v[12:13], v[4:5], v[12:13]
	v_fma_f64 v[184:185], v[184:185], v[6:7], v[194:195]
	v_fma_f64 v[182:183], v[182:183], v[6:7], -v[8:9]
	v_add_f64 v[194:195], v[196:197], 0
	v_add_f64 v[196:197], v[198:199], 0
	scratch_load_b128 v[6:9], off, off offset:368
	v_fma_f64 v[200:201], v[4:5], v[10:11], v[200:201]
	v_fma_f64 v[202:203], v[2:3], v[10:11], -v[12:13]
	scratch_load_b128 v[10:13], off, off offset:384
	ds_load_b128 v[2:5], v1 offset:976
	s_waitcnt vmcnt(10) lgkmcnt(1)
	v_mul_f64 v[198:199], v[190:191], v[16:17]
	v_mul_f64 v[16:17], v[192:193], v[16:17]
	v_add_f64 v[194:195], v[194:195], v[182:183]
	v_add_f64 v[196:197], v[196:197], v[184:185]
	s_waitcnt vmcnt(9) lgkmcnt(0)
	v_mul_f64 v[204:205], v[2:3], v[20:21]
	v_mul_f64 v[20:21], v[4:5], v[20:21]
	ds_load_b128 v[182:185], v1 offset:992
	v_fma_f64 v[192:193], v[192:193], v[14:15], v[198:199]
	v_fma_f64 v[190:191], v[190:191], v[14:15], -v[16:17]
	scratch_load_b128 v[14:17], off, off offset:400
	v_add_f64 v[194:195], v[194:195], v[202:203]
	v_add_f64 v[196:197], v[196:197], v[200:201]
	v_fma_f64 v[200:201], v[4:5], v[18:19], v[204:205]
	v_fma_f64 v[202:203], v[2:3], v[18:19], -v[20:21]
	scratch_load_b128 v[18:21], off, off offset:416
	ds_load_b128 v[2:5], v1 offset:1008
	s_waitcnt vmcnt(10) lgkmcnt(1)
	v_mul_f64 v[198:199], v[182:183], v[24:25]
	v_mul_f64 v[24:25], v[184:185], v[24:25]
	s_waitcnt vmcnt(9) lgkmcnt(0)
	v_mul_f64 v[204:205], v[2:3], v[28:29]
	v_mul_f64 v[28:29], v[4:5], v[28:29]
	v_add_f64 v[194:195], v[194:195], v[190:191]
	v_add_f64 v[196:197], v[196:197], v[192:193]
	ds_load_b128 v[190:193], v1 offset:1024
	v_fma_f64 v[184:185], v[184:185], v[22:23], v[198:199]
	v_fma_f64 v[182:183], v[182:183], v[22:23], -v[24:25]
	scratch_load_b128 v[22:25], off, off offset:432
	v_add_f64 v[194:195], v[194:195], v[202:203]
	v_add_f64 v[196:197], v[196:197], v[200:201]
	v_fma_f64 v[200:201], v[4:5], v[26:27], v[204:205]
	v_fma_f64 v[202:203], v[2:3], v[26:27], -v[28:29]
	scratch_load_b128 v[26:29], off, off offset:448
	ds_load_b128 v[2:5], v1 offset:1040
	s_waitcnt vmcnt(10) lgkmcnt(1)
	v_mul_f64 v[198:199], v[190:191], v[32:33]
	v_mul_f64 v[32:33], v[192:193], v[32:33]
	s_waitcnt vmcnt(9) lgkmcnt(0)
	v_mul_f64 v[204:205], v[2:3], v[36:37]
	v_mul_f64 v[36:37], v[4:5], v[36:37]
	v_add_f64 v[194:195], v[194:195], v[182:183]
	v_add_f64 v[196:197], v[196:197], v[184:185]
	ds_load_b128 v[182:185], v1 offset:1056
	v_fma_f64 v[192:193], v[192:193], v[30:31], v[198:199]
	v_fma_f64 v[190:191], v[190:191], v[30:31], -v[32:33]
	scratch_load_b128 v[30:33], off, off offset:464
	v_add_f64 v[194:195], v[194:195], v[202:203]
	v_add_f64 v[196:197], v[196:197], v[200:201]
	v_fma_f64 v[202:203], v[4:5], v[34:35], v[204:205]
	v_fma_f64 v[204:205], v[2:3], v[34:35], -v[36:37]
	scratch_load_b128 v[34:37], off, off offset:480
	ds_load_b128 v[2:5], v1 offset:1072
	s_waitcnt vmcnt(9) lgkmcnt(1)
	v_mul_f64 v[198:199], v[182:183], v[188:189]
	v_mul_f64 v[200:201], v[184:185], v[188:189]
	v_add_f64 v[194:195], v[194:195], v[190:191]
	v_add_f64 v[192:193], v[196:197], v[192:193]
	ds_load_b128 v[188:191], v1 offset:1088
	v_fma_f64 v[198:199], v[184:185], v[186:187], v[198:199]
	v_fma_f64 v[186:187], v[182:183], v[186:187], -v[200:201]
	scratch_load_b128 v[182:185], off, off offset:496
	s_waitcnt vmcnt(9) lgkmcnt(1)
	v_mul_f64 v[196:197], v[2:3], v[40:41]
	v_mul_f64 v[40:41], v[4:5], v[40:41]
	v_add_f64 v[194:195], v[194:195], v[204:205]
	v_add_f64 v[192:193], v[192:193], v[202:203]
	s_delay_alu instid0(VALU_DEP_4) | instskip(NEXT) | instid1(VALU_DEP_4)
	v_fma_f64 v[196:197], v[4:5], v[38:39], v[196:197]
	v_fma_f64 v[202:203], v[2:3], v[38:39], -v[40:41]
	scratch_load_b128 v[38:41], off, off offset:512
	ds_load_b128 v[2:5], v1 offset:1104
	s_waitcnt vmcnt(9) lgkmcnt(1)
	v_mul_f64 v[200:201], v[188:189], v[8:9]
	v_mul_f64 v[8:9], v[190:191], v[8:9]
	s_waitcnt vmcnt(8) lgkmcnt(0)
	v_mul_f64 v[204:205], v[2:3], v[12:13]
	v_mul_f64 v[12:13], v[4:5], v[12:13]
	v_add_f64 v[186:187], v[194:195], v[186:187]
	v_add_f64 v[198:199], v[192:193], v[198:199]
	ds_load_b128 v[192:195], v1 offset:1120
	v_fma_f64 v[190:191], v[190:191], v[6:7], v[200:201]
	v_fma_f64 v[188:189], v[188:189], v[6:7], -v[8:9]
	scratch_load_b128 v[6:9], off, off offset:528
	v_fma_f64 v[200:201], v[4:5], v[10:11], v[204:205]
	v_add_f64 v[186:187], v[186:187], v[202:203]
	v_add_f64 v[196:197], v[198:199], v[196:197]
	v_fma_f64 v[202:203], v[2:3], v[10:11], -v[12:13]
	scratch_load_b128 v[10:13], off, off offset:544
	ds_load_b128 v[2:5], v1 offset:1136
	s_waitcnt vmcnt(9) lgkmcnt(1)
	v_mul_f64 v[198:199], v[192:193], v[16:17]
	v_mul_f64 v[16:17], v[194:195], v[16:17]
	v_add_f64 v[204:205], v[186:187], v[188:189]
	v_add_f64 v[190:191], v[196:197], v[190:191]
	s_waitcnt vmcnt(8) lgkmcnt(0)
	v_mul_f64 v[196:197], v[2:3], v[20:21]
	v_mul_f64 v[20:21], v[4:5], v[20:21]
	ds_load_b128 v[186:189], v1 offset:1152
	v_fma_f64 v[194:195], v[194:195], v[14:15], v[198:199]
	v_fma_f64 v[192:193], v[192:193], v[14:15], -v[16:17]
	scratch_load_b128 v[14:17], off, off offset:560
	v_add_f64 v[198:199], v[204:205], v[202:203]
	v_add_f64 v[190:191], v[190:191], v[200:201]
	v_fma_f64 v[196:197], v[4:5], v[18:19], v[196:197]
	v_fma_f64 v[202:203], v[2:3], v[18:19], -v[20:21]
	scratch_load_b128 v[18:21], off, off offset:576
	ds_load_b128 v[2:5], v1 offset:1168
	s_waitcnt vmcnt(9) lgkmcnt(1)
	v_mul_f64 v[200:201], v[186:187], v[24:25]
	v_mul_f64 v[24:25], v[188:189], v[24:25]
	s_waitcnt vmcnt(8) lgkmcnt(0)
	v_mul_f64 v[204:205], v[2:3], v[28:29]
	v_mul_f64 v[28:29], v[4:5], v[28:29]
	v_add_f64 v[198:199], v[198:199], v[192:193]
	v_add_f64 v[194:195], v[190:191], v[194:195]
	ds_load_b128 v[190:193], v1 offset:1184
	v_fma_f64 v[188:189], v[188:189], v[22:23], v[200:201]
	v_fma_f64 v[186:187], v[186:187], v[22:23], -v[24:25]
	scratch_load_b128 v[22:25], off, off offset:592
	v_fma_f64 v[200:201], v[4:5], v[26:27], v[204:205]
	v_add_f64 v[198:199], v[198:199], v[202:203]
	v_add_f64 v[194:195], v[194:195], v[196:197]
	v_fma_f64 v[202:203], v[2:3], v[26:27], -v[28:29]
	scratch_load_b128 v[26:29], off, off offset:608
	ds_load_b128 v[2:5], v1 offset:1200
	s_waitcnt vmcnt(9) lgkmcnt(1)
	v_mul_f64 v[196:197], v[190:191], v[32:33]
	v_mul_f64 v[32:33], v[192:193], v[32:33]
	s_waitcnt vmcnt(8) lgkmcnt(0)
	v_mul_f64 v[204:205], v[2:3], v[36:37]
	v_mul_f64 v[36:37], v[4:5], v[36:37]
	v_add_f64 v[198:199], v[198:199], v[186:187]
	v_add_f64 v[194:195], v[194:195], v[188:189]
	ds_load_b128 v[186:189], v1 offset:1216
	v_fma_f64 v[192:193], v[192:193], v[30:31], v[196:197]
	v_fma_f64 v[190:191], v[190:191], v[30:31], -v[32:33]
	scratch_load_b128 v[30:33], off, off offset:624
	v_add_f64 v[196:197], v[198:199], v[202:203]
	v_add_f64 v[194:195], v[194:195], v[200:201]
	v_fma_f64 v[200:201], v[4:5], v[34:35], v[204:205]
	v_fma_f64 v[202:203], v[2:3], v[34:35], -v[36:37]
	scratch_load_b128 v[34:37], off, off offset:640
	ds_load_b128 v[2:5], v1 offset:1232
	s_waitcnt vmcnt(9) lgkmcnt(1)
	v_mul_f64 v[198:199], v[186:187], v[184:185]
	v_mul_f64 v[184:185], v[188:189], v[184:185]
	s_waitcnt vmcnt(8) lgkmcnt(0)
	v_mul_f64 v[204:205], v[2:3], v[40:41]
	v_mul_f64 v[40:41], v[4:5], v[40:41]
	v_add_f64 v[196:197], v[196:197], v[190:191]
	v_add_f64 v[194:195], v[194:195], v[192:193]
	ds_load_b128 v[190:193], v1 offset:1248
	v_fma_f64 v[188:189], v[188:189], v[182:183], v[198:199]
	v_fma_f64 v[186:187], v[186:187], v[182:183], -v[184:185]
	scratch_load_b128 v[182:185], off, off offset:656
	v_add_f64 v[196:197], v[196:197], v[202:203]
	v_add_f64 v[194:195], v[194:195], v[200:201]
	v_fma_f64 v[200:201], v[4:5], v[38:39], v[204:205]
	;; [unrolled: 18-line block ×3, first 2 shown]
	v_fma_f64 v[202:203], v[2:3], v[10:11], -v[12:13]
	scratch_load_b128 v[10:13], off, off offset:704
	ds_load_b128 v[2:5], v1 offset:1296
	s_waitcnt vmcnt(9) lgkmcnt(1)
	v_mul_f64 v[198:199], v[186:187], v[16:17]
	v_mul_f64 v[16:17], v[188:189], v[16:17]
	s_waitcnt vmcnt(8) lgkmcnt(0)
	v_mul_f64 v[204:205], v[2:3], v[20:21]
	v_mul_f64 v[20:21], v[4:5], v[20:21]
	v_add_f64 v[196:197], v[196:197], v[190:191]
	v_add_f64 v[194:195], v[194:195], v[192:193]
	ds_load_b128 v[190:193], v1 offset:1312
	v_fma_f64 v[188:189], v[188:189], v[14:15], v[198:199]
	v_fma_f64 v[14:15], v[186:187], v[14:15], -v[16:17]
	v_add_f64 v[16:17], v[196:197], v[202:203]
	v_add_f64 v[186:187], v[194:195], v[200:201]
	s_waitcnt vmcnt(7) lgkmcnt(0)
	v_mul_f64 v[194:195], v[190:191], v[24:25]
	v_mul_f64 v[24:25], v[192:193], v[24:25]
	v_fma_f64 v[196:197], v[4:5], v[18:19], v[204:205]
	v_fma_f64 v[18:19], v[2:3], v[18:19], -v[20:21]
	v_add_f64 v[20:21], v[16:17], v[14:15]
	v_add_f64 v[186:187], v[186:187], v[188:189]
	ds_load_b128 v[2:5], v1 offset:1328
	ds_load_b128 v[14:17], v1 offset:1344
	v_fma_f64 v[192:193], v[192:193], v[22:23], v[194:195]
	v_fma_f64 v[22:23], v[190:191], v[22:23], -v[24:25]
	s_waitcnt vmcnt(6) lgkmcnt(1)
	v_mul_f64 v[188:189], v[2:3], v[28:29]
	v_mul_f64 v[28:29], v[4:5], v[28:29]
	s_waitcnt vmcnt(5) lgkmcnt(0)
	v_mul_f64 v[24:25], v[14:15], v[32:33]
	v_mul_f64 v[32:33], v[16:17], v[32:33]
	v_add_f64 v[18:19], v[20:21], v[18:19]
	v_add_f64 v[20:21], v[186:187], v[196:197]
	v_fma_f64 v[186:187], v[4:5], v[26:27], v[188:189]
	v_fma_f64 v[26:27], v[2:3], v[26:27], -v[28:29]
	v_fma_f64 v[16:17], v[16:17], v[30:31], v[24:25]
	v_fma_f64 v[14:15], v[14:15], v[30:31], -v[32:33]
	v_add_f64 v[22:23], v[18:19], v[22:23]
	v_add_f64 v[28:29], v[20:21], v[192:193]
	ds_load_b128 v[2:5], v1 offset:1360
	ds_load_b128 v[18:21], v1 offset:1376
	s_waitcnt vmcnt(4) lgkmcnt(1)
	v_mul_f64 v[188:189], v[2:3], v[36:37]
	v_mul_f64 v[36:37], v[4:5], v[36:37]
	v_add_f64 v[22:23], v[22:23], v[26:27]
	v_add_f64 v[24:25], v[28:29], v[186:187]
	s_waitcnt vmcnt(3) lgkmcnt(0)
	v_mul_f64 v[26:27], v[18:19], v[184:185]
	v_mul_f64 v[28:29], v[20:21], v[184:185]
	v_fma_f64 v[30:31], v[4:5], v[34:35], v[188:189]
	v_fma_f64 v[32:33], v[2:3], v[34:35], -v[36:37]
	v_add_f64 v[22:23], v[22:23], v[14:15]
	v_add_f64 v[24:25], v[24:25], v[16:17]
	ds_load_b128 v[2:5], v1 offset:1392
	ds_load_b128 v[14:17], v1 offset:1408
	v_fma_f64 v[20:21], v[20:21], v[182:183], v[26:27]
	v_fma_f64 v[18:19], v[18:19], v[182:183], -v[28:29]
	s_waitcnt vmcnt(2) lgkmcnt(1)
	v_mul_f64 v[34:35], v[2:3], v[40:41]
	v_mul_f64 v[36:37], v[4:5], v[40:41]
	s_waitcnt vmcnt(1) lgkmcnt(0)
	v_mul_f64 v[26:27], v[14:15], v[8:9]
	v_mul_f64 v[8:9], v[16:17], v[8:9]
	v_add_f64 v[22:23], v[22:23], v[32:33]
	v_add_f64 v[24:25], v[24:25], v[30:31]
	v_fma_f64 v[28:29], v[4:5], v[38:39], v[34:35]
	v_fma_f64 v[30:31], v[2:3], v[38:39], -v[36:37]
	ds_load_b128 v[2:5], v1 offset:1424
	v_fma_f64 v[16:17], v[16:17], v[6:7], v[26:27]
	v_fma_f64 v[6:7], v[14:15], v[6:7], -v[8:9]
	v_add_f64 v[18:19], v[22:23], v[18:19]
	v_add_f64 v[20:21], v[24:25], v[20:21]
	s_waitcnt vmcnt(0) lgkmcnt(0)
	v_mul_f64 v[22:23], v[2:3], v[12:13]
	v_mul_f64 v[12:13], v[4:5], v[12:13]
	s_delay_alu instid0(VALU_DEP_4) | instskip(NEXT) | instid1(VALU_DEP_4)
	v_add_f64 v[8:9], v[18:19], v[30:31]
	v_add_f64 v[14:15], v[20:21], v[28:29]
	s_delay_alu instid0(VALU_DEP_4) | instskip(NEXT) | instid1(VALU_DEP_4)
	v_fma_f64 v[4:5], v[4:5], v[10:11], v[22:23]
	v_fma_f64 v[2:3], v[2:3], v[10:11], -v[12:13]
	s_delay_alu instid0(VALU_DEP_4) | instskip(NEXT) | instid1(VALU_DEP_4)
	v_add_f64 v[6:7], v[8:9], v[6:7]
	v_add_f64 v[8:9], v[14:15], v[16:17]
	s_delay_alu instid0(VALU_DEP_2) | instskip(NEXT) | instid1(VALU_DEP_2)
	v_add_f64 v[2:3], v[6:7], v[2:3]
	v_add_f64 v[4:5], v[8:9], v[4:5]
	s_delay_alu instid0(VALU_DEP_2) | instskip(NEXT) | instid1(VALU_DEP_2)
	v_add_f64 v[2:3], v[42:43], -v[2:3]
	v_add_f64 v[4:5], v[44:45], -v[4:5]
	scratch_store_b128 off, v[2:5], off offset:176
	v_cmpx_lt_u32_e32 10, v136
	s_cbranch_execz .LBB44_263
; %bb.262:
	scratch_load_b128 v[5:8], v171, off
	v_mov_b32_e32 v2, v1
	v_mov_b32_e32 v3, v1
	;; [unrolled: 1-line block ×3, first 2 shown]
	scratch_store_b128 off, v[1:4], off offset:160
	s_waitcnt vmcnt(0)
	ds_store_b128 v181, v[5:8]
.LBB44_263:
	s_or_b32 exec_lo, exec_lo, s2
	s_waitcnt lgkmcnt(0)
	s_waitcnt_vscnt null, 0x0
	s_barrier
	buffer_gl0_inv
	s_clause 0x8
	scratch_load_b128 v[2:5], off, off offset:176
	scratch_load_b128 v[6:9], off, off offset:192
	;; [unrolled: 1-line block ×9, first 2 shown]
	ds_load_b128 v[42:45], v1 offset:896
	ds_load_b128 v[38:41], v1 offset:912
	s_clause 0x1
	scratch_load_b128 v[182:185], off, off offset:160
	scratch_load_b128 v[186:189], off, off offset:320
	s_mov_b32 s2, exec_lo
	s_waitcnt vmcnt(10) lgkmcnt(1)
	v_mul_f64 v[190:191], v[44:45], v[4:5]
	v_mul_f64 v[4:5], v[42:43], v[4:5]
	s_waitcnt vmcnt(9) lgkmcnt(0)
	v_mul_f64 v[194:195], v[38:39], v[8:9]
	v_mul_f64 v[8:9], v[40:41], v[8:9]
	s_delay_alu instid0(VALU_DEP_4) | instskip(NEXT) | instid1(VALU_DEP_4)
	v_fma_f64 v[196:197], v[42:43], v[2:3], -v[190:191]
	v_fma_f64 v[198:199], v[44:45], v[2:3], v[4:5]
	ds_load_b128 v[2:5], v1 offset:928
	ds_load_b128 v[190:193], v1 offset:944
	scratch_load_b128 v[42:45], off, off offset:336
	v_fma_f64 v[40:41], v[40:41], v[6:7], v[194:195]
	v_fma_f64 v[38:39], v[38:39], v[6:7], -v[8:9]
	scratch_load_b128 v[6:9], off, off offset:352
	s_waitcnt vmcnt(10) lgkmcnt(1)
	v_mul_f64 v[200:201], v[2:3], v[12:13]
	v_mul_f64 v[12:13], v[4:5], v[12:13]
	v_add_f64 v[194:195], v[196:197], 0
	v_add_f64 v[196:197], v[198:199], 0
	s_waitcnt vmcnt(9) lgkmcnt(0)
	v_mul_f64 v[198:199], v[190:191], v[16:17]
	v_mul_f64 v[16:17], v[192:193], v[16:17]
	v_fma_f64 v[200:201], v[4:5], v[10:11], v[200:201]
	v_fma_f64 v[202:203], v[2:3], v[10:11], -v[12:13]
	ds_load_b128 v[2:5], v1 offset:960
	scratch_load_b128 v[10:13], off, off offset:368
	v_add_f64 v[194:195], v[194:195], v[38:39]
	v_add_f64 v[196:197], v[196:197], v[40:41]
	ds_load_b128 v[38:41], v1 offset:976
	v_fma_f64 v[192:193], v[192:193], v[14:15], v[198:199]
	v_fma_f64 v[190:191], v[190:191], v[14:15], -v[16:17]
	scratch_load_b128 v[14:17], off, off offset:384
	s_waitcnt vmcnt(10) lgkmcnt(1)
	v_mul_f64 v[204:205], v[2:3], v[20:21]
	v_mul_f64 v[20:21], v[4:5], v[20:21]
	s_waitcnt vmcnt(9) lgkmcnt(0)
	v_mul_f64 v[198:199], v[38:39], v[24:25]
	v_mul_f64 v[24:25], v[40:41], v[24:25]
	v_add_f64 v[194:195], v[194:195], v[202:203]
	v_add_f64 v[196:197], v[196:197], v[200:201]
	v_fma_f64 v[200:201], v[4:5], v[18:19], v[204:205]
	v_fma_f64 v[202:203], v[2:3], v[18:19], -v[20:21]
	ds_load_b128 v[2:5], v1 offset:992
	scratch_load_b128 v[18:21], off, off offset:400
	v_fma_f64 v[40:41], v[40:41], v[22:23], v[198:199]
	v_fma_f64 v[38:39], v[38:39], v[22:23], -v[24:25]
	scratch_load_b128 v[22:25], off, off offset:416
	v_add_f64 v[194:195], v[194:195], v[190:191]
	v_add_f64 v[196:197], v[196:197], v[192:193]
	ds_load_b128 v[190:193], v1 offset:1008
	s_waitcnt vmcnt(10) lgkmcnt(1)
	v_mul_f64 v[204:205], v[2:3], v[28:29]
	v_mul_f64 v[28:29], v[4:5], v[28:29]
	s_waitcnt vmcnt(9) lgkmcnt(0)
	v_mul_f64 v[198:199], v[190:191], v[32:33]
	v_mul_f64 v[32:33], v[192:193], v[32:33]
	v_add_f64 v[194:195], v[194:195], v[202:203]
	v_add_f64 v[196:197], v[196:197], v[200:201]
	v_fma_f64 v[200:201], v[4:5], v[26:27], v[204:205]
	v_fma_f64 v[202:203], v[2:3], v[26:27], -v[28:29]
	ds_load_b128 v[2:5], v1 offset:1024
	scratch_load_b128 v[26:29], off, off offset:432
	v_fma_f64 v[192:193], v[192:193], v[30:31], v[198:199]
	v_fma_f64 v[190:191], v[190:191], v[30:31], -v[32:33]
	scratch_load_b128 v[30:33], off, off offset:448
	v_add_f64 v[194:195], v[194:195], v[38:39]
	v_add_f64 v[196:197], v[196:197], v[40:41]
	ds_load_b128 v[38:41], v1 offset:1040
	s_waitcnt vmcnt(10) lgkmcnt(1)
	v_mul_f64 v[204:205], v[2:3], v[36:37]
	v_mul_f64 v[36:37], v[4:5], v[36:37]
	s_waitcnt vmcnt(8) lgkmcnt(0)
	v_mul_f64 v[198:199], v[38:39], v[188:189]
	v_add_f64 v[194:195], v[194:195], v[202:203]
	v_add_f64 v[196:197], v[196:197], v[200:201]
	v_mul_f64 v[200:201], v[40:41], v[188:189]
	v_fma_f64 v[202:203], v[4:5], v[34:35], v[204:205]
	v_fma_f64 v[204:205], v[2:3], v[34:35], -v[36:37]
	ds_load_b128 v[2:5], v1 offset:1056
	scratch_load_b128 v[34:37], off, off offset:464
	v_fma_f64 v[198:199], v[40:41], v[186:187], v[198:199]
	v_add_f64 v[194:195], v[194:195], v[190:191]
	v_add_f64 v[192:193], v[196:197], v[192:193]
	ds_load_b128 v[188:191], v1 offset:1072
	v_fma_f64 v[186:187], v[38:39], v[186:187], -v[200:201]
	scratch_load_b128 v[38:41], off, off offset:480
	s_waitcnt vmcnt(9) lgkmcnt(1)
	v_mul_f64 v[196:197], v[2:3], v[44:45]
	v_mul_f64 v[44:45], v[4:5], v[44:45]
	s_waitcnt vmcnt(8) lgkmcnt(0)
	v_mul_f64 v[200:201], v[188:189], v[8:9]
	v_mul_f64 v[8:9], v[190:191], v[8:9]
	v_add_f64 v[194:195], v[194:195], v[204:205]
	v_add_f64 v[192:193], v[192:193], v[202:203]
	v_fma_f64 v[196:197], v[4:5], v[42:43], v[196:197]
	v_fma_f64 v[202:203], v[2:3], v[42:43], -v[44:45]
	ds_load_b128 v[2:5], v1 offset:1088
	scratch_load_b128 v[42:45], off, off offset:496
	v_fma_f64 v[190:191], v[190:191], v[6:7], v[200:201]
	v_fma_f64 v[188:189], v[188:189], v[6:7], -v[8:9]
	scratch_load_b128 v[6:9], off, off offset:512
	v_add_f64 v[186:187], v[194:195], v[186:187]
	v_add_f64 v[198:199], v[192:193], v[198:199]
	ds_load_b128 v[192:195], v1 offset:1104
	s_waitcnt vmcnt(9) lgkmcnt(1)
	v_mul_f64 v[204:205], v[2:3], v[12:13]
	v_mul_f64 v[12:13], v[4:5], v[12:13]
	v_add_f64 v[186:187], v[186:187], v[202:203]
	v_add_f64 v[196:197], v[198:199], v[196:197]
	s_waitcnt vmcnt(8) lgkmcnt(0)
	v_mul_f64 v[198:199], v[192:193], v[16:17]
	v_mul_f64 v[16:17], v[194:195], v[16:17]
	v_fma_f64 v[200:201], v[4:5], v[10:11], v[204:205]
	v_fma_f64 v[202:203], v[2:3], v[10:11], -v[12:13]
	ds_load_b128 v[2:5], v1 offset:1120
	scratch_load_b128 v[10:13], off, off offset:528
	v_add_f64 v[204:205], v[186:187], v[188:189]
	v_add_f64 v[190:191], v[196:197], v[190:191]
	ds_load_b128 v[186:189], v1 offset:1136
	s_waitcnt vmcnt(8) lgkmcnt(1)
	v_mul_f64 v[196:197], v[2:3], v[20:21]
	v_mul_f64 v[20:21], v[4:5], v[20:21]
	v_fma_f64 v[194:195], v[194:195], v[14:15], v[198:199]
	v_fma_f64 v[192:193], v[192:193], v[14:15], -v[16:17]
	scratch_load_b128 v[14:17], off, off offset:544
	v_add_f64 v[198:199], v[204:205], v[202:203]
	v_add_f64 v[190:191], v[190:191], v[200:201]
	s_waitcnt vmcnt(8) lgkmcnt(0)
	v_mul_f64 v[200:201], v[186:187], v[24:25]
	v_mul_f64 v[24:25], v[188:189], v[24:25]
	v_fma_f64 v[196:197], v[4:5], v[18:19], v[196:197]
	v_fma_f64 v[202:203], v[2:3], v[18:19], -v[20:21]
	ds_load_b128 v[2:5], v1 offset:1152
	scratch_load_b128 v[18:21], off, off offset:560
	v_add_f64 v[198:199], v[198:199], v[192:193]
	v_add_f64 v[194:195], v[190:191], v[194:195]
	ds_load_b128 v[190:193], v1 offset:1168
	s_waitcnt vmcnt(8) lgkmcnt(1)
	v_mul_f64 v[204:205], v[2:3], v[28:29]
	v_mul_f64 v[28:29], v[4:5], v[28:29]
	v_fma_f64 v[188:189], v[188:189], v[22:23], v[200:201]
	v_fma_f64 v[186:187], v[186:187], v[22:23], -v[24:25]
	scratch_load_b128 v[22:25], off, off offset:576
	;; [unrolled: 18-line block ×4, first 2 shown]
	s_waitcnt vmcnt(8) lgkmcnt(0)
	v_mul_f64 v[198:199], v[190:191], v[8:9]
	v_mul_f64 v[8:9], v[192:193], v[8:9]
	v_add_f64 v[196:197], v[196:197], v[202:203]
	v_add_f64 v[194:195], v[194:195], v[200:201]
	v_fma_f64 v[200:201], v[4:5], v[42:43], v[204:205]
	v_fma_f64 v[202:203], v[2:3], v[42:43], -v[44:45]
	ds_load_b128 v[2:5], v1 offset:1248
	scratch_load_b128 v[42:45], off, off offset:656
	v_fma_f64 v[192:193], v[192:193], v[6:7], v[198:199]
	v_fma_f64 v[190:191], v[190:191], v[6:7], -v[8:9]
	scratch_load_b128 v[6:9], off, off offset:672
	v_add_f64 v[196:197], v[196:197], v[186:187]
	v_add_f64 v[194:195], v[194:195], v[188:189]
	ds_load_b128 v[186:189], v1 offset:1264
	s_waitcnt vmcnt(9) lgkmcnt(1)
	v_mul_f64 v[204:205], v[2:3], v[12:13]
	v_mul_f64 v[12:13], v[4:5], v[12:13]
	s_waitcnt vmcnt(8) lgkmcnt(0)
	v_mul_f64 v[198:199], v[186:187], v[16:17]
	v_mul_f64 v[16:17], v[188:189], v[16:17]
	v_add_f64 v[196:197], v[196:197], v[202:203]
	v_add_f64 v[194:195], v[194:195], v[200:201]
	v_fma_f64 v[200:201], v[4:5], v[10:11], v[204:205]
	v_fma_f64 v[202:203], v[2:3], v[10:11], -v[12:13]
	ds_load_b128 v[2:5], v1 offset:1280
	scratch_load_b128 v[10:13], off, off offset:688
	v_fma_f64 v[188:189], v[188:189], v[14:15], v[198:199]
	v_fma_f64 v[186:187], v[186:187], v[14:15], -v[16:17]
	scratch_load_b128 v[14:17], off, off offset:704
	v_add_f64 v[196:197], v[196:197], v[190:191]
	v_add_f64 v[194:195], v[194:195], v[192:193]
	ds_load_b128 v[190:193], v1 offset:1296
	s_waitcnt vmcnt(9) lgkmcnt(1)
	v_mul_f64 v[204:205], v[2:3], v[20:21]
	v_mul_f64 v[20:21], v[4:5], v[20:21]
	s_waitcnt vmcnt(8) lgkmcnt(0)
	v_mul_f64 v[198:199], v[190:191], v[24:25]
	v_mul_f64 v[24:25], v[192:193], v[24:25]
	v_add_f64 v[196:197], v[196:197], v[202:203]
	v_add_f64 v[194:195], v[194:195], v[200:201]
	v_fma_f64 v[200:201], v[4:5], v[18:19], v[204:205]
	v_fma_f64 v[202:203], v[2:3], v[18:19], -v[20:21]
	ds_load_b128 v[2:5], v1 offset:1312
	ds_load_b128 v[18:21], v1 offset:1328
	v_fma_f64 v[192:193], v[192:193], v[22:23], v[198:199]
	v_fma_f64 v[22:23], v[190:191], v[22:23], -v[24:25]
	v_add_f64 v[186:187], v[196:197], v[186:187]
	v_add_f64 v[188:189], v[194:195], v[188:189]
	s_waitcnt vmcnt(7) lgkmcnt(1)
	v_mul_f64 v[194:195], v[2:3], v[28:29]
	v_mul_f64 v[28:29], v[4:5], v[28:29]
	s_delay_alu instid0(VALU_DEP_4) | instskip(NEXT) | instid1(VALU_DEP_4)
	v_add_f64 v[24:25], v[186:187], v[202:203]
	v_add_f64 v[186:187], v[188:189], v[200:201]
	s_waitcnt vmcnt(6) lgkmcnt(0)
	v_mul_f64 v[188:189], v[18:19], v[32:33]
	v_mul_f64 v[32:33], v[20:21], v[32:33]
	v_fma_f64 v[190:191], v[4:5], v[26:27], v[194:195]
	v_fma_f64 v[26:27], v[2:3], v[26:27], -v[28:29]
	v_add_f64 v[28:29], v[24:25], v[22:23]
	v_add_f64 v[186:187], v[186:187], v[192:193]
	ds_load_b128 v[2:5], v1 offset:1344
	ds_load_b128 v[22:25], v1 offset:1360
	v_fma_f64 v[20:21], v[20:21], v[30:31], v[188:189]
	v_fma_f64 v[18:19], v[18:19], v[30:31], -v[32:33]
	s_waitcnt vmcnt(5) lgkmcnt(1)
	v_mul_f64 v[192:193], v[2:3], v[36:37]
	v_mul_f64 v[36:37], v[4:5], v[36:37]
	s_waitcnt vmcnt(4) lgkmcnt(0)
	v_mul_f64 v[30:31], v[22:23], v[40:41]
	v_mul_f64 v[32:33], v[24:25], v[40:41]
	v_add_f64 v[26:27], v[28:29], v[26:27]
	v_add_f64 v[28:29], v[186:187], v[190:191]
	v_fma_f64 v[40:41], v[4:5], v[34:35], v[192:193]
	v_fma_f64 v[34:35], v[2:3], v[34:35], -v[36:37]
	v_fma_f64 v[24:25], v[24:25], v[38:39], v[30:31]
	v_fma_f64 v[22:23], v[22:23], v[38:39], -v[32:33]
	v_add_f64 v[26:27], v[26:27], v[18:19]
	v_add_f64 v[28:29], v[28:29], v[20:21]
	ds_load_b128 v[2:5], v1 offset:1376
	ds_load_b128 v[18:21], v1 offset:1392
	s_waitcnt vmcnt(3) lgkmcnt(1)
	v_mul_f64 v[36:37], v[2:3], v[44:45]
	v_mul_f64 v[44:45], v[4:5], v[44:45]
	s_waitcnt vmcnt(2) lgkmcnt(0)
	v_mul_f64 v[30:31], v[18:19], v[8:9]
	v_mul_f64 v[8:9], v[20:21], v[8:9]
	v_add_f64 v[26:27], v[26:27], v[34:35]
	v_add_f64 v[28:29], v[28:29], v[40:41]
	v_fma_f64 v[32:33], v[4:5], v[42:43], v[36:37]
	v_fma_f64 v[34:35], v[2:3], v[42:43], -v[44:45]
	v_fma_f64 v[20:21], v[20:21], v[6:7], v[30:31]
	v_fma_f64 v[6:7], v[18:19], v[6:7], -v[8:9]
	v_add_f64 v[26:27], v[26:27], v[22:23]
	v_add_f64 v[28:29], v[28:29], v[24:25]
	ds_load_b128 v[2:5], v1 offset:1408
	ds_load_b128 v[22:25], v1 offset:1424
	s_waitcnt vmcnt(1) lgkmcnt(1)
	v_mul_f64 v[36:37], v[2:3], v[12:13]
	v_mul_f64 v[12:13], v[4:5], v[12:13]
	v_add_f64 v[8:9], v[26:27], v[34:35]
	v_add_f64 v[18:19], v[28:29], v[32:33]
	s_waitcnt vmcnt(0) lgkmcnt(0)
	v_mul_f64 v[26:27], v[22:23], v[16:17]
	v_mul_f64 v[16:17], v[24:25], v[16:17]
	v_fma_f64 v[4:5], v[4:5], v[10:11], v[36:37]
	v_fma_f64 v[1:2], v[2:3], v[10:11], -v[12:13]
	v_add_f64 v[6:7], v[8:9], v[6:7]
	v_add_f64 v[8:9], v[18:19], v[20:21]
	v_fma_f64 v[10:11], v[24:25], v[14:15], v[26:27]
	v_fma_f64 v[12:13], v[22:23], v[14:15], -v[16:17]
	s_delay_alu instid0(VALU_DEP_4) | instskip(NEXT) | instid1(VALU_DEP_4)
	v_add_f64 v[1:2], v[6:7], v[1:2]
	v_add_f64 v[3:4], v[8:9], v[4:5]
	s_delay_alu instid0(VALU_DEP_2) | instskip(NEXT) | instid1(VALU_DEP_2)
	v_add_f64 v[1:2], v[1:2], v[12:13]
	v_add_f64 v[3:4], v[3:4], v[10:11]
	s_delay_alu instid0(VALU_DEP_2) | instskip(NEXT) | instid1(VALU_DEP_2)
	v_add_f64 v[1:2], v[182:183], -v[1:2]
	v_add_f64 v[3:4], v[184:185], -v[3:4]
	scratch_store_b128 off, v[1:4], off offset:160
	v_cmpx_lt_u32_e32 9, v136
	s_cbranch_execz .LBB44_265
; %bb.264:
	scratch_load_b128 v[1:4], v172, off
	v_mov_b32_e32 v5, 0
	s_delay_alu instid0(VALU_DEP_1)
	v_mov_b32_e32 v6, v5
	v_mov_b32_e32 v7, v5
	;; [unrolled: 1-line block ×3, first 2 shown]
	scratch_store_b128 off, v[5:8], off offset:144
	s_waitcnt vmcnt(0)
	ds_store_b128 v181, v[1:4]
.LBB44_265:
	s_or_b32 exec_lo, exec_lo, s2
	s_waitcnt lgkmcnt(0)
	s_waitcnt_vscnt null, 0x0
	s_barrier
	buffer_gl0_inv
	s_clause 0x7
	scratch_load_b128 v[2:5], off, off offset:160
	scratch_load_b128 v[6:9], off, off offset:176
	;; [unrolled: 1-line block ×8, first 2 shown]
	v_mov_b32_e32 v1, 0
	s_mov_b32 s2, exec_lo
	ds_load_b128 v[38:41], v1 offset:880
	s_clause 0x1
	scratch_load_b128 v[34:37], off, off offset:288
	scratch_load_b128 v[42:45], off, off offset:144
	ds_load_b128 v[182:185], v1 offset:896
	scratch_load_b128 v[186:189], off, off offset:304
	s_waitcnt vmcnt(10) lgkmcnt(1)
	v_mul_f64 v[190:191], v[40:41], v[4:5]
	v_mul_f64 v[4:5], v[38:39], v[4:5]
	s_delay_alu instid0(VALU_DEP_2) | instskip(NEXT) | instid1(VALU_DEP_2)
	v_fma_f64 v[196:197], v[38:39], v[2:3], -v[190:191]
	v_fma_f64 v[198:199], v[40:41], v[2:3], v[4:5]
	scratch_load_b128 v[38:41], off, off offset:320
	ds_load_b128 v[2:5], v1 offset:912
	s_waitcnt vmcnt(10) lgkmcnt(1)
	v_mul_f64 v[194:195], v[182:183], v[8:9]
	v_mul_f64 v[8:9], v[184:185], v[8:9]
	ds_load_b128 v[190:193], v1 offset:928
	s_waitcnt vmcnt(9) lgkmcnt(1)
	v_mul_f64 v[200:201], v[2:3], v[12:13]
	v_mul_f64 v[12:13], v[4:5], v[12:13]
	v_fma_f64 v[184:185], v[184:185], v[6:7], v[194:195]
	v_fma_f64 v[182:183], v[182:183], v[6:7], -v[8:9]
	v_add_f64 v[194:195], v[196:197], 0
	v_add_f64 v[196:197], v[198:199], 0
	scratch_load_b128 v[6:9], off, off offset:336
	v_fma_f64 v[200:201], v[4:5], v[10:11], v[200:201]
	v_fma_f64 v[202:203], v[2:3], v[10:11], -v[12:13]
	scratch_load_b128 v[10:13], off, off offset:352
	ds_load_b128 v[2:5], v1 offset:944
	s_waitcnt vmcnt(10) lgkmcnt(1)
	v_mul_f64 v[198:199], v[190:191], v[16:17]
	v_mul_f64 v[16:17], v[192:193], v[16:17]
	v_add_f64 v[194:195], v[194:195], v[182:183]
	v_add_f64 v[196:197], v[196:197], v[184:185]
	s_waitcnt vmcnt(9) lgkmcnt(0)
	v_mul_f64 v[204:205], v[2:3], v[20:21]
	v_mul_f64 v[20:21], v[4:5], v[20:21]
	ds_load_b128 v[182:185], v1 offset:960
	v_fma_f64 v[192:193], v[192:193], v[14:15], v[198:199]
	v_fma_f64 v[190:191], v[190:191], v[14:15], -v[16:17]
	scratch_load_b128 v[14:17], off, off offset:368
	v_add_f64 v[194:195], v[194:195], v[202:203]
	v_add_f64 v[196:197], v[196:197], v[200:201]
	v_fma_f64 v[200:201], v[4:5], v[18:19], v[204:205]
	v_fma_f64 v[202:203], v[2:3], v[18:19], -v[20:21]
	scratch_load_b128 v[18:21], off, off offset:384
	ds_load_b128 v[2:5], v1 offset:976
	s_waitcnt vmcnt(10) lgkmcnt(1)
	v_mul_f64 v[198:199], v[182:183], v[24:25]
	v_mul_f64 v[24:25], v[184:185], v[24:25]
	s_waitcnt vmcnt(9) lgkmcnt(0)
	v_mul_f64 v[204:205], v[2:3], v[28:29]
	v_mul_f64 v[28:29], v[4:5], v[28:29]
	v_add_f64 v[194:195], v[194:195], v[190:191]
	v_add_f64 v[196:197], v[196:197], v[192:193]
	ds_load_b128 v[190:193], v1 offset:992
	v_fma_f64 v[184:185], v[184:185], v[22:23], v[198:199]
	v_fma_f64 v[182:183], v[182:183], v[22:23], -v[24:25]
	scratch_load_b128 v[22:25], off, off offset:400
	v_add_f64 v[194:195], v[194:195], v[202:203]
	v_add_f64 v[196:197], v[196:197], v[200:201]
	v_fma_f64 v[200:201], v[4:5], v[26:27], v[204:205]
	v_fma_f64 v[202:203], v[2:3], v[26:27], -v[28:29]
	scratch_load_b128 v[26:29], off, off offset:416
	ds_load_b128 v[2:5], v1 offset:1008
	s_waitcnt vmcnt(10) lgkmcnt(1)
	v_mul_f64 v[198:199], v[190:191], v[32:33]
	v_mul_f64 v[32:33], v[192:193], v[32:33]
	s_waitcnt vmcnt(9) lgkmcnt(0)
	v_mul_f64 v[204:205], v[2:3], v[36:37]
	v_mul_f64 v[36:37], v[4:5], v[36:37]
	v_add_f64 v[194:195], v[194:195], v[182:183]
	v_add_f64 v[196:197], v[196:197], v[184:185]
	ds_load_b128 v[182:185], v1 offset:1024
	v_fma_f64 v[192:193], v[192:193], v[30:31], v[198:199]
	v_fma_f64 v[190:191], v[190:191], v[30:31], -v[32:33]
	scratch_load_b128 v[30:33], off, off offset:432
	v_add_f64 v[194:195], v[194:195], v[202:203]
	v_add_f64 v[196:197], v[196:197], v[200:201]
	v_fma_f64 v[202:203], v[4:5], v[34:35], v[204:205]
	v_fma_f64 v[204:205], v[2:3], v[34:35], -v[36:37]
	scratch_load_b128 v[34:37], off, off offset:448
	ds_load_b128 v[2:5], v1 offset:1040
	s_waitcnt vmcnt(9) lgkmcnt(1)
	v_mul_f64 v[198:199], v[182:183], v[188:189]
	v_mul_f64 v[200:201], v[184:185], v[188:189]
	v_add_f64 v[194:195], v[194:195], v[190:191]
	v_add_f64 v[192:193], v[196:197], v[192:193]
	ds_load_b128 v[188:191], v1 offset:1056
	v_fma_f64 v[198:199], v[184:185], v[186:187], v[198:199]
	v_fma_f64 v[186:187], v[182:183], v[186:187], -v[200:201]
	scratch_load_b128 v[182:185], off, off offset:464
	s_waitcnt vmcnt(9) lgkmcnt(1)
	v_mul_f64 v[196:197], v[2:3], v[40:41]
	v_mul_f64 v[40:41], v[4:5], v[40:41]
	v_add_f64 v[194:195], v[194:195], v[204:205]
	v_add_f64 v[192:193], v[192:193], v[202:203]
	s_delay_alu instid0(VALU_DEP_4) | instskip(NEXT) | instid1(VALU_DEP_4)
	v_fma_f64 v[196:197], v[4:5], v[38:39], v[196:197]
	v_fma_f64 v[202:203], v[2:3], v[38:39], -v[40:41]
	scratch_load_b128 v[38:41], off, off offset:480
	ds_load_b128 v[2:5], v1 offset:1072
	s_waitcnt vmcnt(9) lgkmcnt(1)
	v_mul_f64 v[200:201], v[188:189], v[8:9]
	v_mul_f64 v[8:9], v[190:191], v[8:9]
	s_waitcnt vmcnt(8) lgkmcnt(0)
	v_mul_f64 v[204:205], v[2:3], v[12:13]
	v_mul_f64 v[12:13], v[4:5], v[12:13]
	v_add_f64 v[186:187], v[194:195], v[186:187]
	v_add_f64 v[198:199], v[192:193], v[198:199]
	ds_load_b128 v[192:195], v1 offset:1088
	v_fma_f64 v[190:191], v[190:191], v[6:7], v[200:201]
	v_fma_f64 v[188:189], v[188:189], v[6:7], -v[8:9]
	scratch_load_b128 v[6:9], off, off offset:496
	v_fma_f64 v[200:201], v[4:5], v[10:11], v[204:205]
	v_add_f64 v[186:187], v[186:187], v[202:203]
	v_add_f64 v[196:197], v[198:199], v[196:197]
	v_fma_f64 v[202:203], v[2:3], v[10:11], -v[12:13]
	scratch_load_b128 v[10:13], off, off offset:512
	ds_load_b128 v[2:5], v1 offset:1104
	s_waitcnt vmcnt(9) lgkmcnt(1)
	v_mul_f64 v[198:199], v[192:193], v[16:17]
	v_mul_f64 v[16:17], v[194:195], v[16:17]
	v_add_f64 v[204:205], v[186:187], v[188:189]
	v_add_f64 v[190:191], v[196:197], v[190:191]
	s_waitcnt vmcnt(8) lgkmcnt(0)
	v_mul_f64 v[196:197], v[2:3], v[20:21]
	v_mul_f64 v[20:21], v[4:5], v[20:21]
	ds_load_b128 v[186:189], v1 offset:1120
	v_fma_f64 v[194:195], v[194:195], v[14:15], v[198:199]
	v_fma_f64 v[192:193], v[192:193], v[14:15], -v[16:17]
	scratch_load_b128 v[14:17], off, off offset:528
	v_add_f64 v[198:199], v[204:205], v[202:203]
	v_add_f64 v[190:191], v[190:191], v[200:201]
	v_fma_f64 v[196:197], v[4:5], v[18:19], v[196:197]
	v_fma_f64 v[202:203], v[2:3], v[18:19], -v[20:21]
	scratch_load_b128 v[18:21], off, off offset:544
	ds_load_b128 v[2:5], v1 offset:1136
	s_waitcnt vmcnt(9) lgkmcnt(1)
	v_mul_f64 v[200:201], v[186:187], v[24:25]
	v_mul_f64 v[24:25], v[188:189], v[24:25]
	s_waitcnt vmcnt(8) lgkmcnt(0)
	v_mul_f64 v[204:205], v[2:3], v[28:29]
	v_mul_f64 v[28:29], v[4:5], v[28:29]
	v_add_f64 v[198:199], v[198:199], v[192:193]
	v_add_f64 v[194:195], v[190:191], v[194:195]
	ds_load_b128 v[190:193], v1 offset:1152
	v_fma_f64 v[188:189], v[188:189], v[22:23], v[200:201]
	v_fma_f64 v[186:187], v[186:187], v[22:23], -v[24:25]
	scratch_load_b128 v[22:25], off, off offset:560
	v_fma_f64 v[200:201], v[4:5], v[26:27], v[204:205]
	v_add_f64 v[198:199], v[198:199], v[202:203]
	v_add_f64 v[194:195], v[194:195], v[196:197]
	v_fma_f64 v[202:203], v[2:3], v[26:27], -v[28:29]
	scratch_load_b128 v[26:29], off, off offset:576
	ds_load_b128 v[2:5], v1 offset:1168
	s_waitcnt vmcnt(9) lgkmcnt(1)
	v_mul_f64 v[196:197], v[190:191], v[32:33]
	v_mul_f64 v[32:33], v[192:193], v[32:33]
	s_waitcnt vmcnt(8) lgkmcnt(0)
	v_mul_f64 v[204:205], v[2:3], v[36:37]
	v_mul_f64 v[36:37], v[4:5], v[36:37]
	v_add_f64 v[198:199], v[198:199], v[186:187]
	v_add_f64 v[194:195], v[194:195], v[188:189]
	ds_load_b128 v[186:189], v1 offset:1184
	v_fma_f64 v[192:193], v[192:193], v[30:31], v[196:197]
	v_fma_f64 v[190:191], v[190:191], v[30:31], -v[32:33]
	scratch_load_b128 v[30:33], off, off offset:592
	v_add_f64 v[196:197], v[198:199], v[202:203]
	v_add_f64 v[194:195], v[194:195], v[200:201]
	v_fma_f64 v[200:201], v[4:5], v[34:35], v[204:205]
	v_fma_f64 v[202:203], v[2:3], v[34:35], -v[36:37]
	scratch_load_b128 v[34:37], off, off offset:608
	ds_load_b128 v[2:5], v1 offset:1200
	s_waitcnt vmcnt(9) lgkmcnt(1)
	v_mul_f64 v[198:199], v[186:187], v[184:185]
	v_mul_f64 v[184:185], v[188:189], v[184:185]
	s_waitcnt vmcnt(8) lgkmcnt(0)
	v_mul_f64 v[204:205], v[2:3], v[40:41]
	v_mul_f64 v[40:41], v[4:5], v[40:41]
	v_add_f64 v[196:197], v[196:197], v[190:191]
	v_add_f64 v[194:195], v[194:195], v[192:193]
	ds_load_b128 v[190:193], v1 offset:1216
	v_fma_f64 v[188:189], v[188:189], v[182:183], v[198:199]
	v_fma_f64 v[186:187], v[186:187], v[182:183], -v[184:185]
	scratch_load_b128 v[182:185], off, off offset:624
	v_add_f64 v[196:197], v[196:197], v[202:203]
	v_add_f64 v[194:195], v[194:195], v[200:201]
	v_fma_f64 v[200:201], v[4:5], v[38:39], v[204:205]
	;; [unrolled: 18-line block ×4, first 2 shown]
	v_fma_f64 v[202:203], v[2:3], v[18:19], -v[20:21]
	scratch_load_b128 v[18:21], off, off offset:704
	ds_load_b128 v[2:5], v1 offset:1296
	s_waitcnt vmcnt(9) lgkmcnt(1)
	v_mul_f64 v[198:199], v[190:191], v[24:25]
	v_mul_f64 v[24:25], v[192:193], v[24:25]
	s_waitcnt vmcnt(8) lgkmcnt(0)
	v_mul_f64 v[204:205], v[2:3], v[28:29]
	v_mul_f64 v[28:29], v[4:5], v[28:29]
	v_add_f64 v[196:197], v[196:197], v[186:187]
	v_add_f64 v[194:195], v[194:195], v[188:189]
	ds_load_b128 v[186:189], v1 offset:1312
	v_fma_f64 v[192:193], v[192:193], v[22:23], v[198:199]
	v_fma_f64 v[22:23], v[190:191], v[22:23], -v[24:25]
	v_add_f64 v[24:25], v[196:197], v[202:203]
	v_add_f64 v[190:191], v[194:195], v[200:201]
	s_waitcnt vmcnt(7) lgkmcnt(0)
	v_mul_f64 v[194:195], v[186:187], v[32:33]
	v_mul_f64 v[32:33], v[188:189], v[32:33]
	v_fma_f64 v[196:197], v[4:5], v[26:27], v[204:205]
	v_fma_f64 v[26:27], v[2:3], v[26:27], -v[28:29]
	v_add_f64 v[28:29], v[24:25], v[22:23]
	v_add_f64 v[190:191], v[190:191], v[192:193]
	ds_load_b128 v[2:5], v1 offset:1328
	ds_load_b128 v[22:25], v1 offset:1344
	v_fma_f64 v[188:189], v[188:189], v[30:31], v[194:195]
	v_fma_f64 v[30:31], v[186:187], v[30:31], -v[32:33]
	s_waitcnt vmcnt(6) lgkmcnt(1)
	v_mul_f64 v[192:193], v[2:3], v[36:37]
	v_mul_f64 v[36:37], v[4:5], v[36:37]
	s_waitcnt vmcnt(5) lgkmcnt(0)
	v_mul_f64 v[32:33], v[22:23], v[184:185]
	v_mul_f64 v[184:185], v[24:25], v[184:185]
	v_add_f64 v[26:27], v[28:29], v[26:27]
	v_add_f64 v[28:29], v[190:191], v[196:197]
	v_fma_f64 v[186:187], v[4:5], v[34:35], v[192:193]
	v_fma_f64 v[34:35], v[2:3], v[34:35], -v[36:37]
	v_fma_f64 v[24:25], v[24:25], v[182:183], v[32:33]
	v_fma_f64 v[22:23], v[22:23], v[182:183], -v[184:185]
	v_add_f64 v[30:31], v[26:27], v[30:31]
	v_add_f64 v[36:37], v[28:29], v[188:189]
	ds_load_b128 v[2:5], v1 offset:1360
	ds_load_b128 v[26:29], v1 offset:1376
	s_waitcnt vmcnt(4) lgkmcnt(1)
	v_mul_f64 v[188:189], v[2:3], v[40:41]
	v_mul_f64 v[40:41], v[4:5], v[40:41]
	v_add_f64 v[30:31], v[30:31], v[34:35]
	v_add_f64 v[32:33], v[36:37], v[186:187]
	s_waitcnt vmcnt(3) lgkmcnt(0)
	v_mul_f64 v[34:35], v[26:27], v[8:9]
	v_mul_f64 v[8:9], v[28:29], v[8:9]
	v_fma_f64 v[36:37], v[4:5], v[38:39], v[188:189]
	v_fma_f64 v[38:39], v[2:3], v[38:39], -v[40:41]
	v_add_f64 v[30:31], v[30:31], v[22:23]
	v_add_f64 v[32:33], v[32:33], v[24:25]
	ds_load_b128 v[2:5], v1 offset:1392
	ds_load_b128 v[22:25], v1 offset:1408
	v_fma_f64 v[28:29], v[28:29], v[6:7], v[34:35]
	v_fma_f64 v[6:7], v[26:27], v[6:7], -v[8:9]
	s_waitcnt vmcnt(2) lgkmcnt(1)
	v_mul_f64 v[40:41], v[2:3], v[12:13]
	v_mul_f64 v[12:13], v[4:5], v[12:13]
	v_add_f64 v[8:9], v[30:31], v[38:39]
	v_add_f64 v[26:27], v[32:33], v[36:37]
	s_waitcnt vmcnt(1) lgkmcnt(0)
	v_mul_f64 v[30:31], v[22:23], v[16:17]
	v_mul_f64 v[16:17], v[24:25], v[16:17]
	v_fma_f64 v[32:33], v[4:5], v[10:11], v[40:41]
	v_fma_f64 v[10:11], v[2:3], v[10:11], -v[12:13]
	ds_load_b128 v[2:5], v1 offset:1424
	v_add_f64 v[6:7], v[8:9], v[6:7]
	v_add_f64 v[8:9], v[26:27], v[28:29]
	v_fma_f64 v[24:25], v[24:25], v[14:15], v[30:31]
	v_fma_f64 v[14:15], v[22:23], v[14:15], -v[16:17]
	s_waitcnt vmcnt(0) lgkmcnt(0)
	v_mul_f64 v[12:13], v[2:3], v[20:21]
	v_mul_f64 v[20:21], v[4:5], v[20:21]
	v_add_f64 v[6:7], v[6:7], v[10:11]
	v_add_f64 v[8:9], v[8:9], v[32:33]
	s_delay_alu instid0(VALU_DEP_4) | instskip(NEXT) | instid1(VALU_DEP_4)
	v_fma_f64 v[4:5], v[4:5], v[18:19], v[12:13]
	v_fma_f64 v[2:3], v[2:3], v[18:19], -v[20:21]
	s_delay_alu instid0(VALU_DEP_4) | instskip(NEXT) | instid1(VALU_DEP_4)
	v_add_f64 v[6:7], v[6:7], v[14:15]
	v_add_f64 v[8:9], v[8:9], v[24:25]
	s_delay_alu instid0(VALU_DEP_2) | instskip(NEXT) | instid1(VALU_DEP_2)
	v_add_f64 v[2:3], v[6:7], v[2:3]
	v_add_f64 v[4:5], v[8:9], v[4:5]
	s_delay_alu instid0(VALU_DEP_2) | instskip(NEXT) | instid1(VALU_DEP_2)
	v_add_f64 v[2:3], v[42:43], -v[2:3]
	v_add_f64 v[4:5], v[44:45], -v[4:5]
	scratch_store_b128 off, v[2:5], off offset:144
	v_cmpx_lt_u32_e32 8, v136
	s_cbranch_execz .LBB44_267
; %bb.266:
	scratch_load_b128 v[5:8], v173, off
	v_mov_b32_e32 v2, v1
	v_mov_b32_e32 v3, v1
	;; [unrolled: 1-line block ×3, first 2 shown]
	scratch_store_b128 off, v[1:4], off offset:128
	s_waitcnt vmcnt(0)
	ds_store_b128 v181, v[5:8]
.LBB44_267:
	s_or_b32 exec_lo, exec_lo, s2
	s_waitcnt lgkmcnt(0)
	s_waitcnt_vscnt null, 0x0
	s_barrier
	buffer_gl0_inv
	s_clause 0x8
	scratch_load_b128 v[2:5], off, off offset:144
	scratch_load_b128 v[6:9], off, off offset:160
	;; [unrolled: 1-line block ×9, first 2 shown]
	ds_load_b128 v[42:45], v1 offset:864
	ds_load_b128 v[38:41], v1 offset:880
	s_clause 0x1
	scratch_load_b128 v[182:185], off, off offset:128
	scratch_load_b128 v[186:189], off, off offset:288
	s_mov_b32 s2, exec_lo
	s_waitcnt vmcnt(10) lgkmcnt(1)
	v_mul_f64 v[190:191], v[44:45], v[4:5]
	v_mul_f64 v[4:5], v[42:43], v[4:5]
	s_waitcnt vmcnt(9) lgkmcnt(0)
	v_mul_f64 v[194:195], v[38:39], v[8:9]
	v_mul_f64 v[8:9], v[40:41], v[8:9]
	s_delay_alu instid0(VALU_DEP_4) | instskip(NEXT) | instid1(VALU_DEP_4)
	v_fma_f64 v[196:197], v[42:43], v[2:3], -v[190:191]
	v_fma_f64 v[198:199], v[44:45], v[2:3], v[4:5]
	ds_load_b128 v[2:5], v1 offset:896
	ds_load_b128 v[190:193], v1 offset:912
	scratch_load_b128 v[42:45], off, off offset:304
	v_fma_f64 v[40:41], v[40:41], v[6:7], v[194:195]
	v_fma_f64 v[38:39], v[38:39], v[6:7], -v[8:9]
	scratch_load_b128 v[6:9], off, off offset:320
	s_waitcnt vmcnt(10) lgkmcnt(1)
	v_mul_f64 v[200:201], v[2:3], v[12:13]
	v_mul_f64 v[12:13], v[4:5], v[12:13]
	v_add_f64 v[194:195], v[196:197], 0
	v_add_f64 v[196:197], v[198:199], 0
	s_waitcnt vmcnt(9) lgkmcnt(0)
	v_mul_f64 v[198:199], v[190:191], v[16:17]
	v_mul_f64 v[16:17], v[192:193], v[16:17]
	v_fma_f64 v[200:201], v[4:5], v[10:11], v[200:201]
	v_fma_f64 v[202:203], v[2:3], v[10:11], -v[12:13]
	ds_load_b128 v[2:5], v1 offset:928
	scratch_load_b128 v[10:13], off, off offset:336
	v_add_f64 v[194:195], v[194:195], v[38:39]
	v_add_f64 v[196:197], v[196:197], v[40:41]
	ds_load_b128 v[38:41], v1 offset:944
	v_fma_f64 v[192:193], v[192:193], v[14:15], v[198:199]
	v_fma_f64 v[190:191], v[190:191], v[14:15], -v[16:17]
	scratch_load_b128 v[14:17], off, off offset:352
	s_waitcnt vmcnt(10) lgkmcnt(1)
	v_mul_f64 v[204:205], v[2:3], v[20:21]
	v_mul_f64 v[20:21], v[4:5], v[20:21]
	s_waitcnt vmcnt(9) lgkmcnt(0)
	v_mul_f64 v[198:199], v[38:39], v[24:25]
	v_mul_f64 v[24:25], v[40:41], v[24:25]
	v_add_f64 v[194:195], v[194:195], v[202:203]
	v_add_f64 v[196:197], v[196:197], v[200:201]
	v_fma_f64 v[200:201], v[4:5], v[18:19], v[204:205]
	v_fma_f64 v[202:203], v[2:3], v[18:19], -v[20:21]
	ds_load_b128 v[2:5], v1 offset:960
	scratch_load_b128 v[18:21], off, off offset:368
	v_fma_f64 v[40:41], v[40:41], v[22:23], v[198:199]
	v_fma_f64 v[38:39], v[38:39], v[22:23], -v[24:25]
	scratch_load_b128 v[22:25], off, off offset:384
	v_add_f64 v[194:195], v[194:195], v[190:191]
	v_add_f64 v[196:197], v[196:197], v[192:193]
	ds_load_b128 v[190:193], v1 offset:976
	s_waitcnt vmcnt(10) lgkmcnt(1)
	v_mul_f64 v[204:205], v[2:3], v[28:29]
	v_mul_f64 v[28:29], v[4:5], v[28:29]
	s_waitcnt vmcnt(9) lgkmcnt(0)
	v_mul_f64 v[198:199], v[190:191], v[32:33]
	v_mul_f64 v[32:33], v[192:193], v[32:33]
	v_add_f64 v[194:195], v[194:195], v[202:203]
	v_add_f64 v[196:197], v[196:197], v[200:201]
	v_fma_f64 v[200:201], v[4:5], v[26:27], v[204:205]
	v_fma_f64 v[202:203], v[2:3], v[26:27], -v[28:29]
	ds_load_b128 v[2:5], v1 offset:992
	scratch_load_b128 v[26:29], off, off offset:400
	v_fma_f64 v[192:193], v[192:193], v[30:31], v[198:199]
	v_fma_f64 v[190:191], v[190:191], v[30:31], -v[32:33]
	scratch_load_b128 v[30:33], off, off offset:416
	v_add_f64 v[194:195], v[194:195], v[38:39]
	v_add_f64 v[196:197], v[196:197], v[40:41]
	ds_load_b128 v[38:41], v1 offset:1008
	s_waitcnt vmcnt(10) lgkmcnt(1)
	v_mul_f64 v[204:205], v[2:3], v[36:37]
	v_mul_f64 v[36:37], v[4:5], v[36:37]
	s_waitcnt vmcnt(8) lgkmcnt(0)
	v_mul_f64 v[198:199], v[38:39], v[188:189]
	v_add_f64 v[194:195], v[194:195], v[202:203]
	v_add_f64 v[196:197], v[196:197], v[200:201]
	v_mul_f64 v[200:201], v[40:41], v[188:189]
	v_fma_f64 v[202:203], v[4:5], v[34:35], v[204:205]
	v_fma_f64 v[204:205], v[2:3], v[34:35], -v[36:37]
	ds_load_b128 v[2:5], v1 offset:1024
	scratch_load_b128 v[34:37], off, off offset:432
	v_fma_f64 v[198:199], v[40:41], v[186:187], v[198:199]
	v_add_f64 v[194:195], v[194:195], v[190:191]
	v_add_f64 v[192:193], v[196:197], v[192:193]
	ds_load_b128 v[188:191], v1 offset:1040
	v_fma_f64 v[186:187], v[38:39], v[186:187], -v[200:201]
	scratch_load_b128 v[38:41], off, off offset:448
	s_waitcnt vmcnt(9) lgkmcnt(1)
	v_mul_f64 v[196:197], v[2:3], v[44:45]
	v_mul_f64 v[44:45], v[4:5], v[44:45]
	s_waitcnt vmcnt(8) lgkmcnt(0)
	v_mul_f64 v[200:201], v[188:189], v[8:9]
	v_mul_f64 v[8:9], v[190:191], v[8:9]
	v_add_f64 v[194:195], v[194:195], v[204:205]
	v_add_f64 v[192:193], v[192:193], v[202:203]
	v_fma_f64 v[196:197], v[4:5], v[42:43], v[196:197]
	v_fma_f64 v[202:203], v[2:3], v[42:43], -v[44:45]
	ds_load_b128 v[2:5], v1 offset:1056
	scratch_load_b128 v[42:45], off, off offset:464
	v_fma_f64 v[190:191], v[190:191], v[6:7], v[200:201]
	v_fma_f64 v[188:189], v[188:189], v[6:7], -v[8:9]
	scratch_load_b128 v[6:9], off, off offset:480
	v_add_f64 v[186:187], v[194:195], v[186:187]
	v_add_f64 v[198:199], v[192:193], v[198:199]
	ds_load_b128 v[192:195], v1 offset:1072
	s_waitcnt vmcnt(9) lgkmcnt(1)
	v_mul_f64 v[204:205], v[2:3], v[12:13]
	v_mul_f64 v[12:13], v[4:5], v[12:13]
	v_add_f64 v[186:187], v[186:187], v[202:203]
	v_add_f64 v[196:197], v[198:199], v[196:197]
	s_waitcnt vmcnt(8) lgkmcnt(0)
	v_mul_f64 v[198:199], v[192:193], v[16:17]
	v_mul_f64 v[16:17], v[194:195], v[16:17]
	v_fma_f64 v[200:201], v[4:5], v[10:11], v[204:205]
	v_fma_f64 v[202:203], v[2:3], v[10:11], -v[12:13]
	ds_load_b128 v[2:5], v1 offset:1088
	scratch_load_b128 v[10:13], off, off offset:496
	v_add_f64 v[204:205], v[186:187], v[188:189]
	v_add_f64 v[190:191], v[196:197], v[190:191]
	ds_load_b128 v[186:189], v1 offset:1104
	s_waitcnt vmcnt(8) lgkmcnt(1)
	v_mul_f64 v[196:197], v[2:3], v[20:21]
	v_mul_f64 v[20:21], v[4:5], v[20:21]
	v_fma_f64 v[194:195], v[194:195], v[14:15], v[198:199]
	v_fma_f64 v[192:193], v[192:193], v[14:15], -v[16:17]
	scratch_load_b128 v[14:17], off, off offset:512
	v_add_f64 v[198:199], v[204:205], v[202:203]
	v_add_f64 v[190:191], v[190:191], v[200:201]
	s_waitcnt vmcnt(8) lgkmcnt(0)
	v_mul_f64 v[200:201], v[186:187], v[24:25]
	v_mul_f64 v[24:25], v[188:189], v[24:25]
	v_fma_f64 v[196:197], v[4:5], v[18:19], v[196:197]
	v_fma_f64 v[202:203], v[2:3], v[18:19], -v[20:21]
	ds_load_b128 v[2:5], v1 offset:1120
	scratch_load_b128 v[18:21], off, off offset:528
	v_add_f64 v[198:199], v[198:199], v[192:193]
	v_add_f64 v[194:195], v[190:191], v[194:195]
	ds_load_b128 v[190:193], v1 offset:1136
	s_waitcnt vmcnt(8) lgkmcnt(1)
	v_mul_f64 v[204:205], v[2:3], v[28:29]
	v_mul_f64 v[28:29], v[4:5], v[28:29]
	v_fma_f64 v[188:189], v[188:189], v[22:23], v[200:201]
	v_fma_f64 v[186:187], v[186:187], v[22:23], -v[24:25]
	scratch_load_b128 v[22:25], off, off offset:544
	;; [unrolled: 18-line block ×4, first 2 shown]
	s_waitcnt vmcnt(8) lgkmcnt(0)
	v_mul_f64 v[198:199], v[190:191], v[8:9]
	v_mul_f64 v[8:9], v[192:193], v[8:9]
	v_add_f64 v[196:197], v[196:197], v[202:203]
	v_add_f64 v[194:195], v[194:195], v[200:201]
	v_fma_f64 v[200:201], v[4:5], v[42:43], v[204:205]
	v_fma_f64 v[202:203], v[2:3], v[42:43], -v[44:45]
	ds_load_b128 v[2:5], v1 offset:1216
	scratch_load_b128 v[42:45], off, off offset:624
	v_fma_f64 v[192:193], v[192:193], v[6:7], v[198:199]
	v_fma_f64 v[190:191], v[190:191], v[6:7], -v[8:9]
	scratch_load_b128 v[6:9], off, off offset:640
	v_add_f64 v[196:197], v[196:197], v[186:187]
	v_add_f64 v[194:195], v[194:195], v[188:189]
	ds_load_b128 v[186:189], v1 offset:1232
	s_waitcnt vmcnt(9) lgkmcnt(1)
	v_mul_f64 v[204:205], v[2:3], v[12:13]
	v_mul_f64 v[12:13], v[4:5], v[12:13]
	s_waitcnt vmcnt(8) lgkmcnt(0)
	v_mul_f64 v[198:199], v[186:187], v[16:17]
	v_mul_f64 v[16:17], v[188:189], v[16:17]
	v_add_f64 v[196:197], v[196:197], v[202:203]
	v_add_f64 v[194:195], v[194:195], v[200:201]
	v_fma_f64 v[200:201], v[4:5], v[10:11], v[204:205]
	v_fma_f64 v[202:203], v[2:3], v[10:11], -v[12:13]
	ds_load_b128 v[2:5], v1 offset:1248
	scratch_load_b128 v[10:13], off, off offset:656
	v_fma_f64 v[188:189], v[188:189], v[14:15], v[198:199]
	v_fma_f64 v[186:187], v[186:187], v[14:15], -v[16:17]
	scratch_load_b128 v[14:17], off, off offset:672
	v_add_f64 v[196:197], v[196:197], v[190:191]
	v_add_f64 v[194:195], v[194:195], v[192:193]
	ds_load_b128 v[190:193], v1 offset:1264
	s_waitcnt vmcnt(9) lgkmcnt(1)
	v_mul_f64 v[204:205], v[2:3], v[20:21]
	v_mul_f64 v[20:21], v[4:5], v[20:21]
	;; [unrolled: 18-line block ×3, first 2 shown]
	s_waitcnt vmcnt(8) lgkmcnt(0)
	v_mul_f64 v[198:199], v[186:187], v[32:33]
	v_mul_f64 v[32:33], v[188:189], v[32:33]
	v_add_f64 v[196:197], v[196:197], v[202:203]
	v_add_f64 v[194:195], v[194:195], v[200:201]
	v_fma_f64 v[200:201], v[4:5], v[26:27], v[204:205]
	v_fma_f64 v[202:203], v[2:3], v[26:27], -v[28:29]
	ds_load_b128 v[2:5], v1 offset:1312
	ds_load_b128 v[26:29], v1 offset:1328
	v_fma_f64 v[188:189], v[188:189], v[30:31], v[198:199]
	v_fma_f64 v[30:31], v[186:187], v[30:31], -v[32:33]
	v_add_f64 v[190:191], v[196:197], v[190:191]
	v_add_f64 v[192:193], v[194:195], v[192:193]
	s_waitcnt vmcnt(7) lgkmcnt(1)
	v_mul_f64 v[194:195], v[2:3], v[36:37]
	v_mul_f64 v[36:37], v[4:5], v[36:37]
	s_delay_alu instid0(VALU_DEP_4) | instskip(NEXT) | instid1(VALU_DEP_4)
	v_add_f64 v[32:33], v[190:191], v[202:203]
	v_add_f64 v[186:187], v[192:193], v[200:201]
	s_waitcnt vmcnt(6) lgkmcnt(0)
	v_mul_f64 v[190:191], v[26:27], v[40:41]
	v_mul_f64 v[40:41], v[28:29], v[40:41]
	v_fma_f64 v[192:193], v[4:5], v[34:35], v[194:195]
	v_fma_f64 v[34:35], v[2:3], v[34:35], -v[36:37]
	v_add_f64 v[36:37], v[32:33], v[30:31]
	v_add_f64 v[186:187], v[186:187], v[188:189]
	ds_load_b128 v[2:5], v1 offset:1344
	ds_load_b128 v[30:33], v1 offset:1360
	v_fma_f64 v[28:29], v[28:29], v[38:39], v[190:191]
	v_fma_f64 v[26:27], v[26:27], v[38:39], -v[40:41]
	s_waitcnt vmcnt(5) lgkmcnt(1)
	v_mul_f64 v[188:189], v[2:3], v[44:45]
	v_mul_f64 v[44:45], v[4:5], v[44:45]
	s_waitcnt vmcnt(4) lgkmcnt(0)
	v_mul_f64 v[38:39], v[30:31], v[8:9]
	v_mul_f64 v[8:9], v[32:33], v[8:9]
	v_add_f64 v[34:35], v[36:37], v[34:35]
	v_add_f64 v[36:37], v[186:187], v[192:193]
	v_fma_f64 v[40:41], v[4:5], v[42:43], v[188:189]
	v_fma_f64 v[42:43], v[2:3], v[42:43], -v[44:45]
	v_fma_f64 v[32:33], v[32:33], v[6:7], v[38:39]
	v_fma_f64 v[6:7], v[30:31], v[6:7], -v[8:9]
	v_add_f64 v[34:35], v[34:35], v[26:27]
	v_add_f64 v[36:37], v[36:37], v[28:29]
	ds_load_b128 v[2:5], v1 offset:1376
	ds_load_b128 v[26:29], v1 offset:1392
	s_waitcnt vmcnt(3) lgkmcnt(1)
	v_mul_f64 v[44:45], v[2:3], v[12:13]
	v_mul_f64 v[12:13], v[4:5], v[12:13]
	v_add_f64 v[8:9], v[34:35], v[42:43]
	v_add_f64 v[30:31], v[36:37], v[40:41]
	s_waitcnt vmcnt(2) lgkmcnt(0)
	v_mul_f64 v[34:35], v[26:27], v[16:17]
	v_mul_f64 v[16:17], v[28:29], v[16:17]
	v_fma_f64 v[36:37], v[4:5], v[10:11], v[44:45]
	v_fma_f64 v[10:11], v[2:3], v[10:11], -v[12:13]
	v_add_f64 v[12:13], v[8:9], v[6:7]
	v_add_f64 v[30:31], v[30:31], v[32:33]
	ds_load_b128 v[2:5], v1 offset:1408
	ds_load_b128 v[6:9], v1 offset:1424
	v_fma_f64 v[28:29], v[28:29], v[14:15], v[34:35]
	v_fma_f64 v[14:15], v[26:27], v[14:15], -v[16:17]
	s_waitcnt vmcnt(1) lgkmcnt(1)
	v_mul_f64 v[32:33], v[2:3], v[20:21]
	v_mul_f64 v[20:21], v[4:5], v[20:21]
	s_waitcnt vmcnt(0) lgkmcnt(0)
	v_mul_f64 v[16:17], v[6:7], v[24:25]
	v_mul_f64 v[24:25], v[8:9], v[24:25]
	v_add_f64 v[10:11], v[12:13], v[10:11]
	v_add_f64 v[12:13], v[30:31], v[36:37]
	v_fma_f64 v[4:5], v[4:5], v[18:19], v[32:33]
	v_fma_f64 v[1:2], v[2:3], v[18:19], -v[20:21]
	v_fma_f64 v[8:9], v[8:9], v[22:23], v[16:17]
	v_fma_f64 v[6:7], v[6:7], v[22:23], -v[24:25]
	v_add_f64 v[10:11], v[10:11], v[14:15]
	v_add_f64 v[12:13], v[12:13], v[28:29]
	s_delay_alu instid0(VALU_DEP_2) | instskip(NEXT) | instid1(VALU_DEP_2)
	v_add_f64 v[1:2], v[10:11], v[1:2]
	v_add_f64 v[3:4], v[12:13], v[4:5]
	s_delay_alu instid0(VALU_DEP_2) | instskip(NEXT) | instid1(VALU_DEP_2)
	v_add_f64 v[1:2], v[1:2], v[6:7]
	v_add_f64 v[3:4], v[3:4], v[8:9]
	s_delay_alu instid0(VALU_DEP_2) | instskip(NEXT) | instid1(VALU_DEP_2)
	v_add_f64 v[1:2], v[182:183], -v[1:2]
	v_add_f64 v[3:4], v[184:185], -v[3:4]
	scratch_store_b128 off, v[1:4], off offset:128
	v_cmpx_lt_u32_e32 7, v136
	s_cbranch_execz .LBB44_269
; %bb.268:
	scratch_load_b128 v[1:4], v174, off
	v_mov_b32_e32 v5, 0
	s_delay_alu instid0(VALU_DEP_1)
	v_mov_b32_e32 v6, v5
	v_mov_b32_e32 v7, v5
	;; [unrolled: 1-line block ×3, first 2 shown]
	scratch_store_b128 off, v[5:8], off offset:112
	s_waitcnt vmcnt(0)
	ds_store_b128 v181, v[1:4]
.LBB44_269:
	s_or_b32 exec_lo, exec_lo, s2
	s_waitcnt lgkmcnt(0)
	s_waitcnt_vscnt null, 0x0
	s_barrier
	buffer_gl0_inv
	s_clause 0x7
	scratch_load_b128 v[2:5], off, off offset:128
	scratch_load_b128 v[6:9], off, off offset:144
	;; [unrolled: 1-line block ×8, first 2 shown]
	v_mov_b32_e32 v1, 0
	s_mov_b32 s2, exec_lo
	ds_load_b128 v[38:41], v1 offset:848
	s_clause 0x1
	scratch_load_b128 v[34:37], off, off offset:256
	scratch_load_b128 v[42:45], off, off offset:112
	ds_load_b128 v[182:185], v1 offset:864
	scratch_load_b128 v[186:189], off, off offset:272
	s_waitcnt vmcnt(10) lgkmcnt(1)
	v_mul_f64 v[190:191], v[40:41], v[4:5]
	v_mul_f64 v[4:5], v[38:39], v[4:5]
	s_delay_alu instid0(VALU_DEP_2) | instskip(NEXT) | instid1(VALU_DEP_2)
	v_fma_f64 v[196:197], v[38:39], v[2:3], -v[190:191]
	v_fma_f64 v[198:199], v[40:41], v[2:3], v[4:5]
	scratch_load_b128 v[38:41], off, off offset:288
	ds_load_b128 v[2:5], v1 offset:880
	s_waitcnt vmcnt(10) lgkmcnt(1)
	v_mul_f64 v[194:195], v[182:183], v[8:9]
	v_mul_f64 v[8:9], v[184:185], v[8:9]
	ds_load_b128 v[190:193], v1 offset:896
	s_waitcnt vmcnt(9) lgkmcnt(1)
	v_mul_f64 v[200:201], v[2:3], v[12:13]
	v_mul_f64 v[12:13], v[4:5], v[12:13]
	v_fma_f64 v[184:185], v[184:185], v[6:7], v[194:195]
	v_fma_f64 v[182:183], v[182:183], v[6:7], -v[8:9]
	v_add_f64 v[194:195], v[196:197], 0
	v_add_f64 v[196:197], v[198:199], 0
	scratch_load_b128 v[6:9], off, off offset:304
	v_fma_f64 v[200:201], v[4:5], v[10:11], v[200:201]
	v_fma_f64 v[202:203], v[2:3], v[10:11], -v[12:13]
	scratch_load_b128 v[10:13], off, off offset:320
	ds_load_b128 v[2:5], v1 offset:912
	s_waitcnt vmcnt(10) lgkmcnt(1)
	v_mul_f64 v[198:199], v[190:191], v[16:17]
	v_mul_f64 v[16:17], v[192:193], v[16:17]
	v_add_f64 v[194:195], v[194:195], v[182:183]
	v_add_f64 v[196:197], v[196:197], v[184:185]
	s_waitcnt vmcnt(9) lgkmcnt(0)
	v_mul_f64 v[204:205], v[2:3], v[20:21]
	v_mul_f64 v[20:21], v[4:5], v[20:21]
	ds_load_b128 v[182:185], v1 offset:928
	v_fma_f64 v[192:193], v[192:193], v[14:15], v[198:199]
	v_fma_f64 v[190:191], v[190:191], v[14:15], -v[16:17]
	scratch_load_b128 v[14:17], off, off offset:336
	v_add_f64 v[194:195], v[194:195], v[202:203]
	v_add_f64 v[196:197], v[196:197], v[200:201]
	v_fma_f64 v[200:201], v[4:5], v[18:19], v[204:205]
	v_fma_f64 v[202:203], v[2:3], v[18:19], -v[20:21]
	scratch_load_b128 v[18:21], off, off offset:352
	ds_load_b128 v[2:5], v1 offset:944
	s_waitcnt vmcnt(10) lgkmcnt(1)
	v_mul_f64 v[198:199], v[182:183], v[24:25]
	v_mul_f64 v[24:25], v[184:185], v[24:25]
	s_waitcnt vmcnt(9) lgkmcnt(0)
	v_mul_f64 v[204:205], v[2:3], v[28:29]
	v_mul_f64 v[28:29], v[4:5], v[28:29]
	v_add_f64 v[194:195], v[194:195], v[190:191]
	v_add_f64 v[196:197], v[196:197], v[192:193]
	ds_load_b128 v[190:193], v1 offset:960
	v_fma_f64 v[184:185], v[184:185], v[22:23], v[198:199]
	v_fma_f64 v[182:183], v[182:183], v[22:23], -v[24:25]
	scratch_load_b128 v[22:25], off, off offset:368
	v_add_f64 v[194:195], v[194:195], v[202:203]
	v_add_f64 v[196:197], v[196:197], v[200:201]
	v_fma_f64 v[200:201], v[4:5], v[26:27], v[204:205]
	v_fma_f64 v[202:203], v[2:3], v[26:27], -v[28:29]
	scratch_load_b128 v[26:29], off, off offset:384
	ds_load_b128 v[2:5], v1 offset:976
	s_waitcnt vmcnt(10) lgkmcnt(1)
	v_mul_f64 v[198:199], v[190:191], v[32:33]
	v_mul_f64 v[32:33], v[192:193], v[32:33]
	s_waitcnt vmcnt(9) lgkmcnt(0)
	v_mul_f64 v[204:205], v[2:3], v[36:37]
	v_mul_f64 v[36:37], v[4:5], v[36:37]
	v_add_f64 v[194:195], v[194:195], v[182:183]
	v_add_f64 v[196:197], v[196:197], v[184:185]
	ds_load_b128 v[182:185], v1 offset:992
	v_fma_f64 v[192:193], v[192:193], v[30:31], v[198:199]
	v_fma_f64 v[190:191], v[190:191], v[30:31], -v[32:33]
	scratch_load_b128 v[30:33], off, off offset:400
	v_add_f64 v[194:195], v[194:195], v[202:203]
	v_add_f64 v[196:197], v[196:197], v[200:201]
	v_fma_f64 v[202:203], v[4:5], v[34:35], v[204:205]
	v_fma_f64 v[204:205], v[2:3], v[34:35], -v[36:37]
	scratch_load_b128 v[34:37], off, off offset:416
	ds_load_b128 v[2:5], v1 offset:1008
	s_waitcnt vmcnt(9) lgkmcnt(1)
	v_mul_f64 v[198:199], v[182:183], v[188:189]
	v_mul_f64 v[200:201], v[184:185], v[188:189]
	v_add_f64 v[194:195], v[194:195], v[190:191]
	v_add_f64 v[192:193], v[196:197], v[192:193]
	ds_load_b128 v[188:191], v1 offset:1024
	v_fma_f64 v[198:199], v[184:185], v[186:187], v[198:199]
	v_fma_f64 v[186:187], v[182:183], v[186:187], -v[200:201]
	scratch_load_b128 v[182:185], off, off offset:432
	s_waitcnt vmcnt(9) lgkmcnt(1)
	v_mul_f64 v[196:197], v[2:3], v[40:41]
	v_mul_f64 v[40:41], v[4:5], v[40:41]
	v_add_f64 v[194:195], v[194:195], v[204:205]
	v_add_f64 v[192:193], v[192:193], v[202:203]
	s_delay_alu instid0(VALU_DEP_4) | instskip(NEXT) | instid1(VALU_DEP_4)
	v_fma_f64 v[196:197], v[4:5], v[38:39], v[196:197]
	v_fma_f64 v[202:203], v[2:3], v[38:39], -v[40:41]
	scratch_load_b128 v[38:41], off, off offset:448
	ds_load_b128 v[2:5], v1 offset:1040
	s_waitcnt vmcnt(9) lgkmcnt(1)
	v_mul_f64 v[200:201], v[188:189], v[8:9]
	v_mul_f64 v[8:9], v[190:191], v[8:9]
	s_waitcnt vmcnt(8) lgkmcnt(0)
	v_mul_f64 v[204:205], v[2:3], v[12:13]
	v_mul_f64 v[12:13], v[4:5], v[12:13]
	v_add_f64 v[186:187], v[194:195], v[186:187]
	v_add_f64 v[198:199], v[192:193], v[198:199]
	ds_load_b128 v[192:195], v1 offset:1056
	v_fma_f64 v[190:191], v[190:191], v[6:7], v[200:201]
	v_fma_f64 v[188:189], v[188:189], v[6:7], -v[8:9]
	scratch_load_b128 v[6:9], off, off offset:464
	v_fma_f64 v[200:201], v[4:5], v[10:11], v[204:205]
	v_add_f64 v[186:187], v[186:187], v[202:203]
	v_add_f64 v[196:197], v[198:199], v[196:197]
	v_fma_f64 v[202:203], v[2:3], v[10:11], -v[12:13]
	scratch_load_b128 v[10:13], off, off offset:480
	ds_load_b128 v[2:5], v1 offset:1072
	s_waitcnt vmcnt(9) lgkmcnt(1)
	v_mul_f64 v[198:199], v[192:193], v[16:17]
	v_mul_f64 v[16:17], v[194:195], v[16:17]
	v_add_f64 v[204:205], v[186:187], v[188:189]
	v_add_f64 v[190:191], v[196:197], v[190:191]
	s_waitcnt vmcnt(8) lgkmcnt(0)
	v_mul_f64 v[196:197], v[2:3], v[20:21]
	v_mul_f64 v[20:21], v[4:5], v[20:21]
	ds_load_b128 v[186:189], v1 offset:1088
	v_fma_f64 v[194:195], v[194:195], v[14:15], v[198:199]
	v_fma_f64 v[192:193], v[192:193], v[14:15], -v[16:17]
	scratch_load_b128 v[14:17], off, off offset:496
	v_add_f64 v[198:199], v[204:205], v[202:203]
	v_add_f64 v[190:191], v[190:191], v[200:201]
	v_fma_f64 v[196:197], v[4:5], v[18:19], v[196:197]
	v_fma_f64 v[202:203], v[2:3], v[18:19], -v[20:21]
	scratch_load_b128 v[18:21], off, off offset:512
	ds_load_b128 v[2:5], v1 offset:1104
	s_waitcnt vmcnt(9) lgkmcnt(1)
	v_mul_f64 v[200:201], v[186:187], v[24:25]
	v_mul_f64 v[24:25], v[188:189], v[24:25]
	s_waitcnt vmcnt(8) lgkmcnt(0)
	v_mul_f64 v[204:205], v[2:3], v[28:29]
	v_mul_f64 v[28:29], v[4:5], v[28:29]
	v_add_f64 v[198:199], v[198:199], v[192:193]
	v_add_f64 v[194:195], v[190:191], v[194:195]
	ds_load_b128 v[190:193], v1 offset:1120
	v_fma_f64 v[188:189], v[188:189], v[22:23], v[200:201]
	v_fma_f64 v[186:187], v[186:187], v[22:23], -v[24:25]
	scratch_load_b128 v[22:25], off, off offset:528
	v_fma_f64 v[200:201], v[4:5], v[26:27], v[204:205]
	v_add_f64 v[198:199], v[198:199], v[202:203]
	v_add_f64 v[194:195], v[194:195], v[196:197]
	v_fma_f64 v[202:203], v[2:3], v[26:27], -v[28:29]
	scratch_load_b128 v[26:29], off, off offset:544
	ds_load_b128 v[2:5], v1 offset:1136
	s_waitcnt vmcnt(9) lgkmcnt(1)
	v_mul_f64 v[196:197], v[190:191], v[32:33]
	v_mul_f64 v[32:33], v[192:193], v[32:33]
	s_waitcnt vmcnt(8) lgkmcnt(0)
	v_mul_f64 v[204:205], v[2:3], v[36:37]
	v_mul_f64 v[36:37], v[4:5], v[36:37]
	v_add_f64 v[198:199], v[198:199], v[186:187]
	v_add_f64 v[194:195], v[194:195], v[188:189]
	ds_load_b128 v[186:189], v1 offset:1152
	v_fma_f64 v[192:193], v[192:193], v[30:31], v[196:197]
	v_fma_f64 v[190:191], v[190:191], v[30:31], -v[32:33]
	scratch_load_b128 v[30:33], off, off offset:560
	v_add_f64 v[196:197], v[198:199], v[202:203]
	v_add_f64 v[194:195], v[194:195], v[200:201]
	v_fma_f64 v[200:201], v[4:5], v[34:35], v[204:205]
	v_fma_f64 v[202:203], v[2:3], v[34:35], -v[36:37]
	scratch_load_b128 v[34:37], off, off offset:576
	ds_load_b128 v[2:5], v1 offset:1168
	s_waitcnt vmcnt(9) lgkmcnt(1)
	v_mul_f64 v[198:199], v[186:187], v[184:185]
	v_mul_f64 v[184:185], v[188:189], v[184:185]
	s_waitcnt vmcnt(8) lgkmcnt(0)
	v_mul_f64 v[204:205], v[2:3], v[40:41]
	v_mul_f64 v[40:41], v[4:5], v[40:41]
	v_add_f64 v[196:197], v[196:197], v[190:191]
	v_add_f64 v[194:195], v[194:195], v[192:193]
	ds_load_b128 v[190:193], v1 offset:1184
	v_fma_f64 v[188:189], v[188:189], v[182:183], v[198:199]
	v_fma_f64 v[186:187], v[186:187], v[182:183], -v[184:185]
	scratch_load_b128 v[182:185], off, off offset:592
	v_add_f64 v[196:197], v[196:197], v[202:203]
	v_add_f64 v[194:195], v[194:195], v[200:201]
	v_fma_f64 v[200:201], v[4:5], v[38:39], v[204:205]
	;; [unrolled: 18-line block ×5, first 2 shown]
	v_fma_f64 v[202:203], v[2:3], v[26:27], -v[28:29]
	scratch_load_b128 v[26:29], off, off offset:704
	ds_load_b128 v[2:5], v1 offset:1296
	s_waitcnt vmcnt(9) lgkmcnt(1)
	v_mul_f64 v[198:199], v[186:187], v[32:33]
	v_mul_f64 v[32:33], v[188:189], v[32:33]
	s_waitcnt vmcnt(8) lgkmcnt(0)
	v_mul_f64 v[204:205], v[2:3], v[36:37]
	v_mul_f64 v[36:37], v[4:5], v[36:37]
	v_add_f64 v[196:197], v[196:197], v[190:191]
	v_add_f64 v[194:195], v[194:195], v[192:193]
	ds_load_b128 v[190:193], v1 offset:1312
	v_fma_f64 v[188:189], v[188:189], v[30:31], v[198:199]
	v_fma_f64 v[30:31], v[186:187], v[30:31], -v[32:33]
	v_add_f64 v[32:33], v[196:197], v[202:203]
	v_add_f64 v[186:187], v[194:195], v[200:201]
	s_waitcnt vmcnt(7) lgkmcnt(0)
	v_mul_f64 v[194:195], v[190:191], v[184:185]
	v_mul_f64 v[184:185], v[192:193], v[184:185]
	v_fma_f64 v[196:197], v[4:5], v[34:35], v[204:205]
	v_fma_f64 v[34:35], v[2:3], v[34:35], -v[36:37]
	v_add_f64 v[36:37], v[32:33], v[30:31]
	v_add_f64 v[186:187], v[186:187], v[188:189]
	ds_load_b128 v[2:5], v1 offset:1328
	ds_load_b128 v[30:33], v1 offset:1344
	v_fma_f64 v[192:193], v[192:193], v[182:183], v[194:195]
	v_fma_f64 v[182:183], v[190:191], v[182:183], -v[184:185]
	s_waitcnt vmcnt(6) lgkmcnt(1)
	v_mul_f64 v[188:189], v[2:3], v[40:41]
	v_mul_f64 v[40:41], v[4:5], v[40:41]
	s_waitcnt vmcnt(5) lgkmcnt(0)
	v_mul_f64 v[184:185], v[30:31], v[8:9]
	v_mul_f64 v[8:9], v[32:33], v[8:9]
	v_add_f64 v[34:35], v[36:37], v[34:35]
	v_add_f64 v[36:37], v[186:187], v[196:197]
	v_fma_f64 v[186:187], v[4:5], v[38:39], v[188:189]
	v_fma_f64 v[38:39], v[2:3], v[38:39], -v[40:41]
	v_fma_f64 v[32:33], v[32:33], v[6:7], v[184:185]
	v_fma_f64 v[6:7], v[30:31], v[6:7], -v[8:9]
	v_add_f64 v[40:41], v[34:35], v[182:183]
	v_add_f64 v[182:183], v[36:37], v[192:193]
	ds_load_b128 v[2:5], v1 offset:1360
	ds_load_b128 v[34:37], v1 offset:1376
	s_waitcnt vmcnt(4) lgkmcnt(1)
	v_mul_f64 v[188:189], v[2:3], v[12:13]
	v_mul_f64 v[12:13], v[4:5], v[12:13]
	v_add_f64 v[8:9], v[40:41], v[38:39]
	v_add_f64 v[30:31], v[182:183], v[186:187]
	s_waitcnt vmcnt(3) lgkmcnt(0)
	v_mul_f64 v[38:39], v[34:35], v[16:17]
	v_mul_f64 v[16:17], v[36:37], v[16:17]
	v_fma_f64 v[40:41], v[4:5], v[10:11], v[188:189]
	v_fma_f64 v[10:11], v[2:3], v[10:11], -v[12:13]
	v_add_f64 v[12:13], v[8:9], v[6:7]
	v_add_f64 v[30:31], v[30:31], v[32:33]
	ds_load_b128 v[2:5], v1 offset:1392
	ds_load_b128 v[6:9], v1 offset:1408
	v_fma_f64 v[36:37], v[36:37], v[14:15], v[38:39]
	v_fma_f64 v[14:15], v[34:35], v[14:15], -v[16:17]
	s_waitcnt vmcnt(2) lgkmcnt(1)
	v_mul_f64 v[32:33], v[2:3], v[20:21]
	v_mul_f64 v[20:21], v[4:5], v[20:21]
	s_waitcnt vmcnt(1) lgkmcnt(0)
	v_mul_f64 v[16:17], v[6:7], v[24:25]
	v_mul_f64 v[24:25], v[8:9], v[24:25]
	v_add_f64 v[10:11], v[12:13], v[10:11]
	v_add_f64 v[12:13], v[30:31], v[40:41]
	v_fma_f64 v[30:31], v[4:5], v[18:19], v[32:33]
	v_fma_f64 v[18:19], v[2:3], v[18:19], -v[20:21]
	ds_load_b128 v[2:5], v1 offset:1424
	v_fma_f64 v[8:9], v[8:9], v[22:23], v[16:17]
	v_fma_f64 v[6:7], v[6:7], v[22:23], -v[24:25]
	v_add_f64 v[10:11], v[10:11], v[14:15]
	v_add_f64 v[12:13], v[12:13], v[36:37]
	s_waitcnt vmcnt(0) lgkmcnt(0)
	v_mul_f64 v[14:15], v[2:3], v[28:29]
	v_mul_f64 v[20:21], v[4:5], v[28:29]
	s_delay_alu instid0(VALU_DEP_4) | instskip(NEXT) | instid1(VALU_DEP_4)
	v_add_f64 v[10:11], v[10:11], v[18:19]
	v_add_f64 v[12:13], v[12:13], v[30:31]
	s_delay_alu instid0(VALU_DEP_4) | instskip(NEXT) | instid1(VALU_DEP_4)
	v_fma_f64 v[4:5], v[4:5], v[26:27], v[14:15]
	v_fma_f64 v[2:3], v[2:3], v[26:27], -v[20:21]
	s_delay_alu instid0(VALU_DEP_4) | instskip(NEXT) | instid1(VALU_DEP_4)
	v_add_f64 v[6:7], v[10:11], v[6:7]
	v_add_f64 v[8:9], v[12:13], v[8:9]
	s_delay_alu instid0(VALU_DEP_2) | instskip(NEXT) | instid1(VALU_DEP_2)
	v_add_f64 v[2:3], v[6:7], v[2:3]
	v_add_f64 v[4:5], v[8:9], v[4:5]
	s_delay_alu instid0(VALU_DEP_2) | instskip(NEXT) | instid1(VALU_DEP_2)
	v_add_f64 v[2:3], v[42:43], -v[2:3]
	v_add_f64 v[4:5], v[44:45], -v[4:5]
	scratch_store_b128 off, v[2:5], off offset:112
	v_cmpx_lt_u32_e32 6, v136
	s_cbranch_execz .LBB44_271
; %bb.270:
	scratch_load_b128 v[5:8], v175, off
	v_mov_b32_e32 v2, v1
	v_mov_b32_e32 v3, v1
	;; [unrolled: 1-line block ×3, first 2 shown]
	scratch_store_b128 off, v[1:4], off offset:96
	s_waitcnt vmcnt(0)
	ds_store_b128 v181, v[5:8]
.LBB44_271:
	s_or_b32 exec_lo, exec_lo, s2
	s_waitcnt lgkmcnt(0)
	s_waitcnt_vscnt null, 0x0
	s_barrier
	buffer_gl0_inv
	s_clause 0x8
	scratch_load_b128 v[2:5], off, off offset:112
	scratch_load_b128 v[6:9], off, off offset:128
	;; [unrolled: 1-line block ×9, first 2 shown]
	ds_load_b128 v[42:45], v1 offset:832
	ds_load_b128 v[38:41], v1 offset:848
	s_clause 0x1
	scratch_load_b128 v[182:185], off, off offset:96
	scratch_load_b128 v[186:189], off, off offset:256
	s_mov_b32 s2, exec_lo
	s_waitcnt vmcnt(10) lgkmcnt(1)
	v_mul_f64 v[190:191], v[44:45], v[4:5]
	v_mul_f64 v[4:5], v[42:43], v[4:5]
	s_waitcnt vmcnt(9) lgkmcnt(0)
	v_mul_f64 v[194:195], v[38:39], v[8:9]
	v_mul_f64 v[8:9], v[40:41], v[8:9]
	s_delay_alu instid0(VALU_DEP_4) | instskip(NEXT) | instid1(VALU_DEP_4)
	v_fma_f64 v[196:197], v[42:43], v[2:3], -v[190:191]
	v_fma_f64 v[198:199], v[44:45], v[2:3], v[4:5]
	ds_load_b128 v[2:5], v1 offset:864
	ds_load_b128 v[190:193], v1 offset:880
	scratch_load_b128 v[42:45], off, off offset:272
	v_fma_f64 v[40:41], v[40:41], v[6:7], v[194:195]
	v_fma_f64 v[38:39], v[38:39], v[6:7], -v[8:9]
	scratch_load_b128 v[6:9], off, off offset:288
	s_waitcnt vmcnt(10) lgkmcnt(1)
	v_mul_f64 v[200:201], v[2:3], v[12:13]
	v_mul_f64 v[12:13], v[4:5], v[12:13]
	v_add_f64 v[194:195], v[196:197], 0
	v_add_f64 v[196:197], v[198:199], 0
	s_waitcnt vmcnt(9) lgkmcnt(0)
	v_mul_f64 v[198:199], v[190:191], v[16:17]
	v_mul_f64 v[16:17], v[192:193], v[16:17]
	v_fma_f64 v[200:201], v[4:5], v[10:11], v[200:201]
	v_fma_f64 v[202:203], v[2:3], v[10:11], -v[12:13]
	ds_load_b128 v[2:5], v1 offset:896
	scratch_load_b128 v[10:13], off, off offset:304
	v_add_f64 v[194:195], v[194:195], v[38:39]
	v_add_f64 v[196:197], v[196:197], v[40:41]
	ds_load_b128 v[38:41], v1 offset:912
	v_fma_f64 v[192:193], v[192:193], v[14:15], v[198:199]
	v_fma_f64 v[190:191], v[190:191], v[14:15], -v[16:17]
	scratch_load_b128 v[14:17], off, off offset:320
	s_waitcnt vmcnt(10) lgkmcnt(1)
	v_mul_f64 v[204:205], v[2:3], v[20:21]
	v_mul_f64 v[20:21], v[4:5], v[20:21]
	s_waitcnt vmcnt(9) lgkmcnt(0)
	v_mul_f64 v[198:199], v[38:39], v[24:25]
	v_mul_f64 v[24:25], v[40:41], v[24:25]
	v_add_f64 v[194:195], v[194:195], v[202:203]
	v_add_f64 v[196:197], v[196:197], v[200:201]
	v_fma_f64 v[200:201], v[4:5], v[18:19], v[204:205]
	v_fma_f64 v[202:203], v[2:3], v[18:19], -v[20:21]
	ds_load_b128 v[2:5], v1 offset:928
	scratch_load_b128 v[18:21], off, off offset:336
	v_fma_f64 v[40:41], v[40:41], v[22:23], v[198:199]
	v_fma_f64 v[38:39], v[38:39], v[22:23], -v[24:25]
	scratch_load_b128 v[22:25], off, off offset:352
	v_add_f64 v[194:195], v[194:195], v[190:191]
	v_add_f64 v[196:197], v[196:197], v[192:193]
	ds_load_b128 v[190:193], v1 offset:944
	s_waitcnt vmcnt(10) lgkmcnt(1)
	v_mul_f64 v[204:205], v[2:3], v[28:29]
	v_mul_f64 v[28:29], v[4:5], v[28:29]
	s_waitcnt vmcnt(9) lgkmcnt(0)
	v_mul_f64 v[198:199], v[190:191], v[32:33]
	v_mul_f64 v[32:33], v[192:193], v[32:33]
	v_add_f64 v[194:195], v[194:195], v[202:203]
	v_add_f64 v[196:197], v[196:197], v[200:201]
	v_fma_f64 v[200:201], v[4:5], v[26:27], v[204:205]
	v_fma_f64 v[202:203], v[2:3], v[26:27], -v[28:29]
	ds_load_b128 v[2:5], v1 offset:960
	scratch_load_b128 v[26:29], off, off offset:368
	v_fma_f64 v[192:193], v[192:193], v[30:31], v[198:199]
	v_fma_f64 v[190:191], v[190:191], v[30:31], -v[32:33]
	scratch_load_b128 v[30:33], off, off offset:384
	v_add_f64 v[194:195], v[194:195], v[38:39]
	v_add_f64 v[196:197], v[196:197], v[40:41]
	ds_load_b128 v[38:41], v1 offset:976
	s_waitcnt vmcnt(10) lgkmcnt(1)
	v_mul_f64 v[204:205], v[2:3], v[36:37]
	v_mul_f64 v[36:37], v[4:5], v[36:37]
	s_waitcnt vmcnt(8) lgkmcnt(0)
	v_mul_f64 v[198:199], v[38:39], v[188:189]
	v_add_f64 v[194:195], v[194:195], v[202:203]
	v_add_f64 v[196:197], v[196:197], v[200:201]
	v_mul_f64 v[200:201], v[40:41], v[188:189]
	v_fma_f64 v[202:203], v[4:5], v[34:35], v[204:205]
	v_fma_f64 v[204:205], v[2:3], v[34:35], -v[36:37]
	ds_load_b128 v[2:5], v1 offset:992
	scratch_load_b128 v[34:37], off, off offset:400
	v_fma_f64 v[198:199], v[40:41], v[186:187], v[198:199]
	v_add_f64 v[194:195], v[194:195], v[190:191]
	v_add_f64 v[192:193], v[196:197], v[192:193]
	ds_load_b128 v[188:191], v1 offset:1008
	v_fma_f64 v[186:187], v[38:39], v[186:187], -v[200:201]
	scratch_load_b128 v[38:41], off, off offset:416
	s_waitcnt vmcnt(9) lgkmcnt(1)
	v_mul_f64 v[196:197], v[2:3], v[44:45]
	v_mul_f64 v[44:45], v[4:5], v[44:45]
	s_waitcnt vmcnt(8) lgkmcnt(0)
	v_mul_f64 v[200:201], v[188:189], v[8:9]
	v_mul_f64 v[8:9], v[190:191], v[8:9]
	v_add_f64 v[194:195], v[194:195], v[204:205]
	v_add_f64 v[192:193], v[192:193], v[202:203]
	v_fma_f64 v[196:197], v[4:5], v[42:43], v[196:197]
	v_fma_f64 v[202:203], v[2:3], v[42:43], -v[44:45]
	ds_load_b128 v[2:5], v1 offset:1024
	scratch_load_b128 v[42:45], off, off offset:432
	v_fma_f64 v[190:191], v[190:191], v[6:7], v[200:201]
	v_fma_f64 v[188:189], v[188:189], v[6:7], -v[8:9]
	scratch_load_b128 v[6:9], off, off offset:448
	v_add_f64 v[186:187], v[194:195], v[186:187]
	v_add_f64 v[198:199], v[192:193], v[198:199]
	ds_load_b128 v[192:195], v1 offset:1040
	s_waitcnt vmcnt(9) lgkmcnt(1)
	v_mul_f64 v[204:205], v[2:3], v[12:13]
	v_mul_f64 v[12:13], v[4:5], v[12:13]
	v_add_f64 v[186:187], v[186:187], v[202:203]
	v_add_f64 v[196:197], v[198:199], v[196:197]
	s_waitcnt vmcnt(8) lgkmcnt(0)
	v_mul_f64 v[198:199], v[192:193], v[16:17]
	v_mul_f64 v[16:17], v[194:195], v[16:17]
	v_fma_f64 v[200:201], v[4:5], v[10:11], v[204:205]
	v_fma_f64 v[202:203], v[2:3], v[10:11], -v[12:13]
	ds_load_b128 v[2:5], v1 offset:1056
	scratch_load_b128 v[10:13], off, off offset:464
	v_add_f64 v[204:205], v[186:187], v[188:189]
	v_add_f64 v[190:191], v[196:197], v[190:191]
	ds_load_b128 v[186:189], v1 offset:1072
	s_waitcnt vmcnt(8) lgkmcnt(1)
	v_mul_f64 v[196:197], v[2:3], v[20:21]
	v_mul_f64 v[20:21], v[4:5], v[20:21]
	v_fma_f64 v[194:195], v[194:195], v[14:15], v[198:199]
	v_fma_f64 v[192:193], v[192:193], v[14:15], -v[16:17]
	scratch_load_b128 v[14:17], off, off offset:480
	v_add_f64 v[198:199], v[204:205], v[202:203]
	v_add_f64 v[190:191], v[190:191], v[200:201]
	s_waitcnt vmcnt(8) lgkmcnt(0)
	v_mul_f64 v[200:201], v[186:187], v[24:25]
	v_mul_f64 v[24:25], v[188:189], v[24:25]
	v_fma_f64 v[196:197], v[4:5], v[18:19], v[196:197]
	v_fma_f64 v[202:203], v[2:3], v[18:19], -v[20:21]
	ds_load_b128 v[2:5], v1 offset:1088
	scratch_load_b128 v[18:21], off, off offset:496
	v_add_f64 v[198:199], v[198:199], v[192:193]
	v_add_f64 v[194:195], v[190:191], v[194:195]
	ds_load_b128 v[190:193], v1 offset:1104
	s_waitcnt vmcnt(8) lgkmcnt(1)
	v_mul_f64 v[204:205], v[2:3], v[28:29]
	v_mul_f64 v[28:29], v[4:5], v[28:29]
	v_fma_f64 v[188:189], v[188:189], v[22:23], v[200:201]
	v_fma_f64 v[186:187], v[186:187], v[22:23], -v[24:25]
	scratch_load_b128 v[22:25], off, off offset:512
	;; [unrolled: 18-line block ×4, first 2 shown]
	s_waitcnt vmcnt(8) lgkmcnt(0)
	v_mul_f64 v[198:199], v[190:191], v[8:9]
	v_mul_f64 v[8:9], v[192:193], v[8:9]
	v_add_f64 v[196:197], v[196:197], v[202:203]
	v_add_f64 v[194:195], v[194:195], v[200:201]
	v_fma_f64 v[200:201], v[4:5], v[42:43], v[204:205]
	v_fma_f64 v[202:203], v[2:3], v[42:43], -v[44:45]
	ds_load_b128 v[2:5], v1 offset:1184
	scratch_load_b128 v[42:45], off, off offset:592
	v_fma_f64 v[192:193], v[192:193], v[6:7], v[198:199]
	v_fma_f64 v[190:191], v[190:191], v[6:7], -v[8:9]
	scratch_load_b128 v[6:9], off, off offset:608
	v_add_f64 v[196:197], v[196:197], v[186:187]
	v_add_f64 v[194:195], v[194:195], v[188:189]
	ds_load_b128 v[186:189], v1 offset:1200
	s_waitcnt vmcnt(9) lgkmcnt(1)
	v_mul_f64 v[204:205], v[2:3], v[12:13]
	v_mul_f64 v[12:13], v[4:5], v[12:13]
	s_waitcnt vmcnt(8) lgkmcnt(0)
	v_mul_f64 v[198:199], v[186:187], v[16:17]
	v_mul_f64 v[16:17], v[188:189], v[16:17]
	v_add_f64 v[196:197], v[196:197], v[202:203]
	v_add_f64 v[194:195], v[194:195], v[200:201]
	v_fma_f64 v[200:201], v[4:5], v[10:11], v[204:205]
	v_fma_f64 v[202:203], v[2:3], v[10:11], -v[12:13]
	ds_load_b128 v[2:5], v1 offset:1216
	scratch_load_b128 v[10:13], off, off offset:624
	v_fma_f64 v[188:189], v[188:189], v[14:15], v[198:199]
	v_fma_f64 v[186:187], v[186:187], v[14:15], -v[16:17]
	scratch_load_b128 v[14:17], off, off offset:640
	v_add_f64 v[196:197], v[196:197], v[190:191]
	v_add_f64 v[194:195], v[194:195], v[192:193]
	ds_load_b128 v[190:193], v1 offset:1232
	s_waitcnt vmcnt(9) lgkmcnt(1)
	v_mul_f64 v[204:205], v[2:3], v[20:21]
	v_mul_f64 v[20:21], v[4:5], v[20:21]
	;; [unrolled: 18-line block ×4, first 2 shown]
	s_waitcnt vmcnt(8) lgkmcnt(0)
	v_mul_f64 v[198:199], v[190:191], v[40:41]
	v_mul_f64 v[40:41], v[192:193], v[40:41]
	v_add_f64 v[196:197], v[196:197], v[202:203]
	v_add_f64 v[194:195], v[194:195], v[200:201]
	v_fma_f64 v[200:201], v[4:5], v[34:35], v[204:205]
	v_fma_f64 v[202:203], v[2:3], v[34:35], -v[36:37]
	ds_load_b128 v[2:5], v1 offset:1312
	ds_load_b128 v[34:37], v1 offset:1328
	v_fma_f64 v[192:193], v[192:193], v[38:39], v[198:199]
	v_fma_f64 v[38:39], v[190:191], v[38:39], -v[40:41]
	v_add_f64 v[186:187], v[196:197], v[186:187]
	v_add_f64 v[188:189], v[194:195], v[188:189]
	s_waitcnt vmcnt(7) lgkmcnt(1)
	v_mul_f64 v[194:195], v[2:3], v[44:45]
	v_mul_f64 v[44:45], v[4:5], v[44:45]
	s_delay_alu instid0(VALU_DEP_4) | instskip(NEXT) | instid1(VALU_DEP_4)
	v_add_f64 v[40:41], v[186:187], v[202:203]
	v_add_f64 v[186:187], v[188:189], v[200:201]
	s_waitcnt vmcnt(6) lgkmcnt(0)
	v_mul_f64 v[188:189], v[34:35], v[8:9]
	v_mul_f64 v[8:9], v[36:37], v[8:9]
	v_fma_f64 v[190:191], v[4:5], v[42:43], v[194:195]
	v_fma_f64 v[42:43], v[2:3], v[42:43], -v[44:45]
	v_add_f64 v[44:45], v[40:41], v[38:39]
	v_add_f64 v[186:187], v[186:187], v[192:193]
	ds_load_b128 v[2:5], v1 offset:1344
	ds_load_b128 v[38:41], v1 offset:1360
	v_fma_f64 v[36:37], v[36:37], v[6:7], v[188:189]
	v_fma_f64 v[6:7], v[34:35], v[6:7], -v[8:9]
	s_waitcnt vmcnt(5) lgkmcnt(1)
	v_mul_f64 v[192:193], v[2:3], v[12:13]
	v_mul_f64 v[12:13], v[4:5], v[12:13]
	v_add_f64 v[8:9], v[44:45], v[42:43]
	v_add_f64 v[34:35], v[186:187], v[190:191]
	s_waitcnt vmcnt(4) lgkmcnt(0)
	v_mul_f64 v[42:43], v[38:39], v[16:17]
	v_mul_f64 v[16:17], v[40:41], v[16:17]
	v_fma_f64 v[44:45], v[4:5], v[10:11], v[192:193]
	v_fma_f64 v[10:11], v[2:3], v[10:11], -v[12:13]
	v_add_f64 v[12:13], v[8:9], v[6:7]
	v_add_f64 v[34:35], v[34:35], v[36:37]
	ds_load_b128 v[2:5], v1 offset:1376
	ds_load_b128 v[6:9], v1 offset:1392
	v_fma_f64 v[40:41], v[40:41], v[14:15], v[42:43]
	v_fma_f64 v[14:15], v[38:39], v[14:15], -v[16:17]
	s_waitcnt vmcnt(3) lgkmcnt(1)
	v_mul_f64 v[36:37], v[2:3], v[20:21]
	v_mul_f64 v[20:21], v[4:5], v[20:21]
	s_waitcnt vmcnt(2) lgkmcnt(0)
	v_mul_f64 v[16:17], v[6:7], v[24:25]
	v_mul_f64 v[24:25], v[8:9], v[24:25]
	v_add_f64 v[10:11], v[12:13], v[10:11]
	v_add_f64 v[12:13], v[34:35], v[44:45]
	v_fma_f64 v[34:35], v[4:5], v[18:19], v[36:37]
	v_fma_f64 v[18:19], v[2:3], v[18:19], -v[20:21]
	v_fma_f64 v[8:9], v[8:9], v[22:23], v[16:17]
	v_fma_f64 v[6:7], v[6:7], v[22:23], -v[24:25]
	v_add_f64 v[14:15], v[10:11], v[14:15]
	v_add_f64 v[20:21], v[12:13], v[40:41]
	ds_load_b128 v[2:5], v1 offset:1408
	ds_load_b128 v[10:13], v1 offset:1424
	s_waitcnt vmcnt(1) lgkmcnt(1)
	v_mul_f64 v[36:37], v[2:3], v[28:29]
	v_mul_f64 v[28:29], v[4:5], v[28:29]
	v_add_f64 v[14:15], v[14:15], v[18:19]
	v_add_f64 v[16:17], v[20:21], v[34:35]
	s_waitcnt vmcnt(0) lgkmcnt(0)
	v_mul_f64 v[18:19], v[10:11], v[32:33]
	v_mul_f64 v[20:21], v[12:13], v[32:33]
	v_fma_f64 v[4:5], v[4:5], v[26:27], v[36:37]
	v_fma_f64 v[1:2], v[2:3], v[26:27], -v[28:29]
	v_add_f64 v[6:7], v[14:15], v[6:7]
	v_add_f64 v[8:9], v[16:17], v[8:9]
	v_fma_f64 v[12:13], v[12:13], v[30:31], v[18:19]
	v_fma_f64 v[10:11], v[10:11], v[30:31], -v[20:21]
	s_delay_alu instid0(VALU_DEP_4) | instskip(NEXT) | instid1(VALU_DEP_4)
	v_add_f64 v[1:2], v[6:7], v[1:2]
	v_add_f64 v[3:4], v[8:9], v[4:5]
	s_delay_alu instid0(VALU_DEP_2) | instskip(NEXT) | instid1(VALU_DEP_2)
	v_add_f64 v[1:2], v[1:2], v[10:11]
	v_add_f64 v[3:4], v[3:4], v[12:13]
	s_delay_alu instid0(VALU_DEP_2) | instskip(NEXT) | instid1(VALU_DEP_2)
	v_add_f64 v[1:2], v[182:183], -v[1:2]
	v_add_f64 v[3:4], v[184:185], -v[3:4]
	scratch_store_b128 off, v[1:4], off offset:96
	v_cmpx_lt_u32_e32 5, v136
	s_cbranch_execz .LBB44_273
; %bb.272:
	scratch_load_b128 v[1:4], v176, off
	v_mov_b32_e32 v5, 0
	s_delay_alu instid0(VALU_DEP_1)
	v_mov_b32_e32 v6, v5
	v_mov_b32_e32 v7, v5
	;; [unrolled: 1-line block ×3, first 2 shown]
	scratch_store_b128 off, v[5:8], off offset:80
	s_waitcnt vmcnt(0)
	ds_store_b128 v181, v[1:4]
.LBB44_273:
	s_or_b32 exec_lo, exec_lo, s2
	s_waitcnt lgkmcnt(0)
	s_waitcnt_vscnt null, 0x0
	s_barrier
	buffer_gl0_inv
	s_clause 0x7
	scratch_load_b128 v[2:5], off, off offset:96
	scratch_load_b128 v[6:9], off, off offset:112
	;; [unrolled: 1-line block ×8, first 2 shown]
	v_mov_b32_e32 v1, 0
	s_mov_b32 s2, exec_lo
	ds_load_b128 v[38:41], v1 offset:816
	s_clause 0x1
	scratch_load_b128 v[34:37], off, off offset:224
	scratch_load_b128 v[42:45], off, off offset:80
	ds_load_b128 v[182:185], v1 offset:832
	scratch_load_b128 v[186:189], off, off offset:240
	s_waitcnt vmcnt(10) lgkmcnt(1)
	v_mul_f64 v[190:191], v[40:41], v[4:5]
	v_mul_f64 v[4:5], v[38:39], v[4:5]
	s_delay_alu instid0(VALU_DEP_2) | instskip(NEXT) | instid1(VALU_DEP_2)
	v_fma_f64 v[196:197], v[38:39], v[2:3], -v[190:191]
	v_fma_f64 v[198:199], v[40:41], v[2:3], v[4:5]
	scratch_load_b128 v[38:41], off, off offset:256
	ds_load_b128 v[2:5], v1 offset:848
	s_waitcnt vmcnt(10) lgkmcnt(1)
	v_mul_f64 v[194:195], v[182:183], v[8:9]
	v_mul_f64 v[8:9], v[184:185], v[8:9]
	ds_load_b128 v[190:193], v1 offset:864
	s_waitcnt vmcnt(9) lgkmcnt(1)
	v_mul_f64 v[200:201], v[2:3], v[12:13]
	v_mul_f64 v[12:13], v[4:5], v[12:13]
	v_fma_f64 v[184:185], v[184:185], v[6:7], v[194:195]
	v_fma_f64 v[182:183], v[182:183], v[6:7], -v[8:9]
	v_add_f64 v[194:195], v[196:197], 0
	v_add_f64 v[196:197], v[198:199], 0
	scratch_load_b128 v[6:9], off, off offset:272
	v_fma_f64 v[200:201], v[4:5], v[10:11], v[200:201]
	v_fma_f64 v[202:203], v[2:3], v[10:11], -v[12:13]
	scratch_load_b128 v[10:13], off, off offset:288
	ds_load_b128 v[2:5], v1 offset:880
	s_waitcnt vmcnt(10) lgkmcnt(1)
	v_mul_f64 v[198:199], v[190:191], v[16:17]
	v_mul_f64 v[16:17], v[192:193], v[16:17]
	v_add_f64 v[194:195], v[194:195], v[182:183]
	v_add_f64 v[196:197], v[196:197], v[184:185]
	s_waitcnt vmcnt(9) lgkmcnt(0)
	v_mul_f64 v[204:205], v[2:3], v[20:21]
	v_mul_f64 v[20:21], v[4:5], v[20:21]
	ds_load_b128 v[182:185], v1 offset:896
	v_fma_f64 v[192:193], v[192:193], v[14:15], v[198:199]
	v_fma_f64 v[190:191], v[190:191], v[14:15], -v[16:17]
	scratch_load_b128 v[14:17], off, off offset:304
	v_add_f64 v[194:195], v[194:195], v[202:203]
	v_add_f64 v[196:197], v[196:197], v[200:201]
	v_fma_f64 v[200:201], v[4:5], v[18:19], v[204:205]
	v_fma_f64 v[202:203], v[2:3], v[18:19], -v[20:21]
	scratch_load_b128 v[18:21], off, off offset:320
	ds_load_b128 v[2:5], v1 offset:912
	s_waitcnt vmcnt(10) lgkmcnt(1)
	v_mul_f64 v[198:199], v[182:183], v[24:25]
	v_mul_f64 v[24:25], v[184:185], v[24:25]
	s_waitcnt vmcnt(9) lgkmcnt(0)
	v_mul_f64 v[204:205], v[2:3], v[28:29]
	v_mul_f64 v[28:29], v[4:5], v[28:29]
	v_add_f64 v[194:195], v[194:195], v[190:191]
	v_add_f64 v[196:197], v[196:197], v[192:193]
	ds_load_b128 v[190:193], v1 offset:928
	v_fma_f64 v[184:185], v[184:185], v[22:23], v[198:199]
	v_fma_f64 v[182:183], v[182:183], v[22:23], -v[24:25]
	scratch_load_b128 v[22:25], off, off offset:336
	v_add_f64 v[194:195], v[194:195], v[202:203]
	v_add_f64 v[196:197], v[196:197], v[200:201]
	v_fma_f64 v[200:201], v[4:5], v[26:27], v[204:205]
	v_fma_f64 v[202:203], v[2:3], v[26:27], -v[28:29]
	scratch_load_b128 v[26:29], off, off offset:352
	ds_load_b128 v[2:5], v1 offset:944
	s_waitcnt vmcnt(10) lgkmcnt(1)
	v_mul_f64 v[198:199], v[190:191], v[32:33]
	v_mul_f64 v[32:33], v[192:193], v[32:33]
	s_waitcnt vmcnt(9) lgkmcnt(0)
	v_mul_f64 v[204:205], v[2:3], v[36:37]
	v_mul_f64 v[36:37], v[4:5], v[36:37]
	v_add_f64 v[194:195], v[194:195], v[182:183]
	v_add_f64 v[196:197], v[196:197], v[184:185]
	ds_load_b128 v[182:185], v1 offset:960
	v_fma_f64 v[192:193], v[192:193], v[30:31], v[198:199]
	v_fma_f64 v[190:191], v[190:191], v[30:31], -v[32:33]
	scratch_load_b128 v[30:33], off, off offset:368
	v_add_f64 v[194:195], v[194:195], v[202:203]
	v_add_f64 v[196:197], v[196:197], v[200:201]
	v_fma_f64 v[202:203], v[4:5], v[34:35], v[204:205]
	v_fma_f64 v[204:205], v[2:3], v[34:35], -v[36:37]
	scratch_load_b128 v[34:37], off, off offset:384
	ds_load_b128 v[2:5], v1 offset:976
	s_waitcnt vmcnt(9) lgkmcnt(1)
	v_mul_f64 v[198:199], v[182:183], v[188:189]
	v_mul_f64 v[200:201], v[184:185], v[188:189]
	v_add_f64 v[194:195], v[194:195], v[190:191]
	v_add_f64 v[192:193], v[196:197], v[192:193]
	ds_load_b128 v[188:191], v1 offset:992
	v_fma_f64 v[198:199], v[184:185], v[186:187], v[198:199]
	v_fma_f64 v[186:187], v[182:183], v[186:187], -v[200:201]
	scratch_load_b128 v[182:185], off, off offset:400
	s_waitcnt vmcnt(9) lgkmcnt(1)
	v_mul_f64 v[196:197], v[2:3], v[40:41]
	v_mul_f64 v[40:41], v[4:5], v[40:41]
	v_add_f64 v[194:195], v[194:195], v[204:205]
	v_add_f64 v[192:193], v[192:193], v[202:203]
	s_delay_alu instid0(VALU_DEP_4) | instskip(NEXT) | instid1(VALU_DEP_4)
	v_fma_f64 v[196:197], v[4:5], v[38:39], v[196:197]
	v_fma_f64 v[202:203], v[2:3], v[38:39], -v[40:41]
	scratch_load_b128 v[38:41], off, off offset:416
	ds_load_b128 v[2:5], v1 offset:1008
	s_waitcnt vmcnt(9) lgkmcnt(1)
	v_mul_f64 v[200:201], v[188:189], v[8:9]
	v_mul_f64 v[8:9], v[190:191], v[8:9]
	s_waitcnt vmcnt(8) lgkmcnt(0)
	v_mul_f64 v[204:205], v[2:3], v[12:13]
	v_mul_f64 v[12:13], v[4:5], v[12:13]
	v_add_f64 v[186:187], v[194:195], v[186:187]
	v_add_f64 v[198:199], v[192:193], v[198:199]
	ds_load_b128 v[192:195], v1 offset:1024
	v_fma_f64 v[190:191], v[190:191], v[6:7], v[200:201]
	v_fma_f64 v[188:189], v[188:189], v[6:7], -v[8:9]
	scratch_load_b128 v[6:9], off, off offset:432
	v_fma_f64 v[200:201], v[4:5], v[10:11], v[204:205]
	v_add_f64 v[186:187], v[186:187], v[202:203]
	v_add_f64 v[196:197], v[198:199], v[196:197]
	v_fma_f64 v[202:203], v[2:3], v[10:11], -v[12:13]
	scratch_load_b128 v[10:13], off, off offset:448
	ds_load_b128 v[2:5], v1 offset:1040
	s_waitcnt vmcnt(9) lgkmcnt(1)
	v_mul_f64 v[198:199], v[192:193], v[16:17]
	v_mul_f64 v[16:17], v[194:195], v[16:17]
	v_add_f64 v[204:205], v[186:187], v[188:189]
	v_add_f64 v[190:191], v[196:197], v[190:191]
	s_waitcnt vmcnt(8) lgkmcnt(0)
	v_mul_f64 v[196:197], v[2:3], v[20:21]
	v_mul_f64 v[20:21], v[4:5], v[20:21]
	ds_load_b128 v[186:189], v1 offset:1056
	v_fma_f64 v[194:195], v[194:195], v[14:15], v[198:199]
	v_fma_f64 v[192:193], v[192:193], v[14:15], -v[16:17]
	scratch_load_b128 v[14:17], off, off offset:464
	v_add_f64 v[198:199], v[204:205], v[202:203]
	v_add_f64 v[190:191], v[190:191], v[200:201]
	v_fma_f64 v[196:197], v[4:5], v[18:19], v[196:197]
	v_fma_f64 v[202:203], v[2:3], v[18:19], -v[20:21]
	scratch_load_b128 v[18:21], off, off offset:480
	ds_load_b128 v[2:5], v1 offset:1072
	s_waitcnt vmcnt(9) lgkmcnt(1)
	v_mul_f64 v[200:201], v[186:187], v[24:25]
	v_mul_f64 v[24:25], v[188:189], v[24:25]
	s_waitcnt vmcnt(8) lgkmcnt(0)
	v_mul_f64 v[204:205], v[2:3], v[28:29]
	v_mul_f64 v[28:29], v[4:5], v[28:29]
	v_add_f64 v[198:199], v[198:199], v[192:193]
	v_add_f64 v[194:195], v[190:191], v[194:195]
	ds_load_b128 v[190:193], v1 offset:1088
	v_fma_f64 v[188:189], v[188:189], v[22:23], v[200:201]
	v_fma_f64 v[186:187], v[186:187], v[22:23], -v[24:25]
	scratch_load_b128 v[22:25], off, off offset:496
	v_fma_f64 v[200:201], v[4:5], v[26:27], v[204:205]
	v_add_f64 v[198:199], v[198:199], v[202:203]
	v_add_f64 v[194:195], v[194:195], v[196:197]
	v_fma_f64 v[202:203], v[2:3], v[26:27], -v[28:29]
	scratch_load_b128 v[26:29], off, off offset:512
	ds_load_b128 v[2:5], v1 offset:1104
	s_waitcnt vmcnt(9) lgkmcnt(1)
	v_mul_f64 v[196:197], v[190:191], v[32:33]
	v_mul_f64 v[32:33], v[192:193], v[32:33]
	s_waitcnt vmcnt(8) lgkmcnt(0)
	v_mul_f64 v[204:205], v[2:3], v[36:37]
	v_mul_f64 v[36:37], v[4:5], v[36:37]
	v_add_f64 v[198:199], v[198:199], v[186:187]
	v_add_f64 v[194:195], v[194:195], v[188:189]
	ds_load_b128 v[186:189], v1 offset:1120
	v_fma_f64 v[192:193], v[192:193], v[30:31], v[196:197]
	v_fma_f64 v[190:191], v[190:191], v[30:31], -v[32:33]
	scratch_load_b128 v[30:33], off, off offset:528
	v_add_f64 v[196:197], v[198:199], v[202:203]
	v_add_f64 v[194:195], v[194:195], v[200:201]
	v_fma_f64 v[200:201], v[4:5], v[34:35], v[204:205]
	v_fma_f64 v[202:203], v[2:3], v[34:35], -v[36:37]
	scratch_load_b128 v[34:37], off, off offset:544
	ds_load_b128 v[2:5], v1 offset:1136
	s_waitcnt vmcnt(9) lgkmcnt(1)
	v_mul_f64 v[198:199], v[186:187], v[184:185]
	v_mul_f64 v[184:185], v[188:189], v[184:185]
	s_waitcnt vmcnt(8) lgkmcnt(0)
	v_mul_f64 v[204:205], v[2:3], v[40:41]
	v_mul_f64 v[40:41], v[4:5], v[40:41]
	v_add_f64 v[196:197], v[196:197], v[190:191]
	v_add_f64 v[194:195], v[194:195], v[192:193]
	ds_load_b128 v[190:193], v1 offset:1152
	v_fma_f64 v[188:189], v[188:189], v[182:183], v[198:199]
	v_fma_f64 v[186:187], v[186:187], v[182:183], -v[184:185]
	scratch_load_b128 v[182:185], off, off offset:560
	v_add_f64 v[196:197], v[196:197], v[202:203]
	v_add_f64 v[194:195], v[194:195], v[200:201]
	v_fma_f64 v[200:201], v[4:5], v[38:39], v[204:205]
	;; [unrolled: 18-line block ×6, first 2 shown]
	v_fma_f64 v[204:205], v[2:3], v[34:35], -v[36:37]
	scratch_load_b128 v[34:37], off, off offset:704
	ds_load_b128 v[2:5], v1 offset:1296
	s_waitcnt vmcnt(9) lgkmcnt(1)
	v_mul_f64 v[198:199], v[190:191], v[184:185]
	v_mul_f64 v[200:201], v[192:193], v[184:185]
	v_add_f64 v[196:197], v[196:197], v[186:187]
	v_add_f64 v[188:189], v[194:195], v[188:189]
	s_waitcnt vmcnt(8) lgkmcnt(0)
	v_mul_f64 v[194:195], v[2:3], v[40:41]
	v_mul_f64 v[40:41], v[4:5], v[40:41]
	ds_load_b128 v[184:187], v1 offset:1312
	v_fma_f64 v[192:193], v[192:193], v[182:183], v[198:199]
	v_fma_f64 v[182:183], v[190:191], v[182:183], -v[200:201]
	v_add_f64 v[190:191], v[196:197], v[204:205]
	v_add_f64 v[188:189], v[188:189], v[202:203]
	s_waitcnt vmcnt(7) lgkmcnt(0)
	v_mul_f64 v[196:197], v[184:185], v[8:9]
	v_mul_f64 v[8:9], v[186:187], v[8:9]
	v_fma_f64 v[194:195], v[4:5], v[38:39], v[194:195]
	v_fma_f64 v[198:199], v[2:3], v[38:39], -v[40:41]
	ds_load_b128 v[2:5], v1 offset:1328
	ds_load_b128 v[38:41], v1 offset:1344
	v_add_f64 v[182:183], v[190:191], v[182:183]
	v_add_f64 v[188:189], v[188:189], v[192:193]
	s_waitcnt vmcnt(6) lgkmcnt(1)
	v_mul_f64 v[190:191], v[2:3], v[12:13]
	v_mul_f64 v[12:13], v[4:5], v[12:13]
	v_fma_f64 v[186:187], v[186:187], v[6:7], v[196:197]
	v_fma_f64 v[6:7], v[184:185], v[6:7], -v[8:9]
	s_waitcnt vmcnt(5) lgkmcnt(0)
	v_mul_f64 v[184:185], v[38:39], v[16:17]
	v_mul_f64 v[16:17], v[40:41], v[16:17]
	v_add_f64 v[8:9], v[182:183], v[198:199]
	v_add_f64 v[182:183], v[188:189], v[194:195]
	v_fma_f64 v[188:189], v[4:5], v[10:11], v[190:191]
	v_fma_f64 v[10:11], v[2:3], v[10:11], -v[12:13]
	v_fma_f64 v[40:41], v[40:41], v[14:15], v[184:185]
	v_fma_f64 v[14:15], v[38:39], v[14:15], -v[16:17]
	v_add_f64 v[12:13], v[8:9], v[6:7]
	v_add_f64 v[182:183], v[182:183], v[186:187]
	ds_load_b128 v[2:5], v1 offset:1360
	ds_load_b128 v[6:9], v1 offset:1376
	s_waitcnt vmcnt(4) lgkmcnt(1)
	v_mul_f64 v[186:187], v[2:3], v[20:21]
	v_mul_f64 v[20:21], v[4:5], v[20:21]
	s_waitcnt vmcnt(3) lgkmcnt(0)
	v_mul_f64 v[16:17], v[6:7], v[24:25]
	v_mul_f64 v[24:25], v[8:9], v[24:25]
	v_add_f64 v[10:11], v[12:13], v[10:11]
	v_add_f64 v[12:13], v[182:183], v[188:189]
	v_fma_f64 v[38:39], v[4:5], v[18:19], v[186:187]
	v_fma_f64 v[18:19], v[2:3], v[18:19], -v[20:21]
	v_fma_f64 v[8:9], v[8:9], v[22:23], v[16:17]
	v_fma_f64 v[6:7], v[6:7], v[22:23], -v[24:25]
	v_add_f64 v[14:15], v[10:11], v[14:15]
	v_add_f64 v[20:21], v[12:13], v[40:41]
	ds_load_b128 v[2:5], v1 offset:1392
	ds_load_b128 v[10:13], v1 offset:1408
	s_waitcnt vmcnt(2) lgkmcnt(1)
	v_mul_f64 v[40:41], v[2:3], v[28:29]
	v_mul_f64 v[28:29], v[4:5], v[28:29]
	v_add_f64 v[14:15], v[14:15], v[18:19]
	v_add_f64 v[16:17], v[20:21], v[38:39]
	s_waitcnt vmcnt(1) lgkmcnt(0)
	v_mul_f64 v[18:19], v[10:11], v[32:33]
	v_mul_f64 v[20:21], v[12:13], v[32:33]
	v_fma_f64 v[22:23], v[4:5], v[26:27], v[40:41]
	v_fma_f64 v[24:25], v[2:3], v[26:27], -v[28:29]
	ds_load_b128 v[2:5], v1 offset:1424
	v_add_f64 v[6:7], v[14:15], v[6:7]
	v_add_f64 v[8:9], v[16:17], v[8:9]
	v_fma_f64 v[12:13], v[12:13], v[30:31], v[18:19]
	v_fma_f64 v[10:11], v[10:11], v[30:31], -v[20:21]
	s_waitcnt vmcnt(0) lgkmcnt(0)
	v_mul_f64 v[14:15], v[2:3], v[36:37]
	v_mul_f64 v[16:17], v[4:5], v[36:37]
	v_add_f64 v[6:7], v[6:7], v[24:25]
	v_add_f64 v[8:9], v[8:9], v[22:23]
	s_delay_alu instid0(VALU_DEP_4) | instskip(NEXT) | instid1(VALU_DEP_4)
	v_fma_f64 v[4:5], v[4:5], v[34:35], v[14:15]
	v_fma_f64 v[2:3], v[2:3], v[34:35], -v[16:17]
	s_delay_alu instid0(VALU_DEP_4) | instskip(NEXT) | instid1(VALU_DEP_4)
	v_add_f64 v[6:7], v[6:7], v[10:11]
	v_add_f64 v[8:9], v[8:9], v[12:13]
	s_delay_alu instid0(VALU_DEP_2) | instskip(NEXT) | instid1(VALU_DEP_2)
	v_add_f64 v[2:3], v[6:7], v[2:3]
	v_add_f64 v[4:5], v[8:9], v[4:5]
	s_delay_alu instid0(VALU_DEP_2) | instskip(NEXT) | instid1(VALU_DEP_2)
	v_add_f64 v[2:3], v[42:43], -v[2:3]
	v_add_f64 v[4:5], v[44:45], -v[4:5]
	scratch_store_b128 off, v[2:5], off offset:80
	v_cmpx_lt_u32_e32 4, v136
	s_cbranch_execz .LBB44_275
; %bb.274:
	scratch_load_b128 v[5:8], v177, off
	v_mov_b32_e32 v2, v1
	v_mov_b32_e32 v3, v1
	;; [unrolled: 1-line block ×3, first 2 shown]
	scratch_store_b128 off, v[1:4], off offset:64
	s_waitcnt vmcnt(0)
	ds_store_b128 v181, v[5:8]
.LBB44_275:
	s_or_b32 exec_lo, exec_lo, s2
	s_waitcnt lgkmcnt(0)
	s_waitcnt_vscnt null, 0x0
	s_barrier
	buffer_gl0_inv
	s_clause 0x8
	scratch_load_b128 v[2:5], off, off offset:80
	scratch_load_b128 v[6:9], off, off offset:96
	scratch_load_b128 v[10:13], off, off offset:112
	scratch_load_b128 v[14:17], off, off offset:128
	scratch_load_b128 v[18:21], off, off offset:144
	scratch_load_b128 v[22:25], off, off offset:160
	scratch_load_b128 v[26:29], off, off offset:176
	scratch_load_b128 v[30:33], off, off offset:192
	scratch_load_b128 v[34:37], off, off offset:208
	ds_load_b128 v[42:45], v1 offset:800
	ds_load_b128 v[38:41], v1 offset:816
	s_clause 0x1
	scratch_load_b128 v[182:185], off, off offset:64
	scratch_load_b128 v[186:189], off, off offset:224
	s_mov_b32 s2, exec_lo
	s_waitcnt vmcnt(10) lgkmcnt(1)
	v_mul_f64 v[190:191], v[44:45], v[4:5]
	v_mul_f64 v[4:5], v[42:43], v[4:5]
	s_waitcnt vmcnt(9) lgkmcnt(0)
	v_mul_f64 v[194:195], v[38:39], v[8:9]
	v_mul_f64 v[8:9], v[40:41], v[8:9]
	s_delay_alu instid0(VALU_DEP_4) | instskip(NEXT) | instid1(VALU_DEP_4)
	v_fma_f64 v[196:197], v[42:43], v[2:3], -v[190:191]
	v_fma_f64 v[198:199], v[44:45], v[2:3], v[4:5]
	ds_load_b128 v[2:5], v1 offset:832
	ds_load_b128 v[190:193], v1 offset:848
	scratch_load_b128 v[42:45], off, off offset:240
	v_fma_f64 v[40:41], v[40:41], v[6:7], v[194:195]
	v_fma_f64 v[38:39], v[38:39], v[6:7], -v[8:9]
	scratch_load_b128 v[6:9], off, off offset:256
	s_waitcnt vmcnt(10) lgkmcnt(1)
	v_mul_f64 v[200:201], v[2:3], v[12:13]
	v_mul_f64 v[12:13], v[4:5], v[12:13]
	v_add_f64 v[194:195], v[196:197], 0
	v_add_f64 v[196:197], v[198:199], 0
	s_waitcnt vmcnt(9) lgkmcnt(0)
	v_mul_f64 v[198:199], v[190:191], v[16:17]
	v_mul_f64 v[16:17], v[192:193], v[16:17]
	v_fma_f64 v[200:201], v[4:5], v[10:11], v[200:201]
	v_fma_f64 v[202:203], v[2:3], v[10:11], -v[12:13]
	ds_load_b128 v[2:5], v1 offset:864
	scratch_load_b128 v[10:13], off, off offset:272
	v_add_f64 v[194:195], v[194:195], v[38:39]
	v_add_f64 v[196:197], v[196:197], v[40:41]
	ds_load_b128 v[38:41], v1 offset:880
	v_fma_f64 v[192:193], v[192:193], v[14:15], v[198:199]
	v_fma_f64 v[190:191], v[190:191], v[14:15], -v[16:17]
	scratch_load_b128 v[14:17], off, off offset:288
	s_waitcnt vmcnt(10) lgkmcnt(1)
	v_mul_f64 v[204:205], v[2:3], v[20:21]
	v_mul_f64 v[20:21], v[4:5], v[20:21]
	s_waitcnt vmcnt(9) lgkmcnt(0)
	v_mul_f64 v[198:199], v[38:39], v[24:25]
	v_mul_f64 v[24:25], v[40:41], v[24:25]
	v_add_f64 v[194:195], v[194:195], v[202:203]
	v_add_f64 v[196:197], v[196:197], v[200:201]
	v_fma_f64 v[200:201], v[4:5], v[18:19], v[204:205]
	v_fma_f64 v[202:203], v[2:3], v[18:19], -v[20:21]
	ds_load_b128 v[2:5], v1 offset:896
	scratch_load_b128 v[18:21], off, off offset:304
	v_fma_f64 v[40:41], v[40:41], v[22:23], v[198:199]
	v_fma_f64 v[38:39], v[38:39], v[22:23], -v[24:25]
	scratch_load_b128 v[22:25], off, off offset:320
	v_add_f64 v[194:195], v[194:195], v[190:191]
	v_add_f64 v[196:197], v[196:197], v[192:193]
	ds_load_b128 v[190:193], v1 offset:912
	s_waitcnt vmcnt(10) lgkmcnt(1)
	v_mul_f64 v[204:205], v[2:3], v[28:29]
	v_mul_f64 v[28:29], v[4:5], v[28:29]
	s_waitcnt vmcnt(9) lgkmcnt(0)
	v_mul_f64 v[198:199], v[190:191], v[32:33]
	v_mul_f64 v[32:33], v[192:193], v[32:33]
	v_add_f64 v[194:195], v[194:195], v[202:203]
	v_add_f64 v[196:197], v[196:197], v[200:201]
	v_fma_f64 v[200:201], v[4:5], v[26:27], v[204:205]
	v_fma_f64 v[202:203], v[2:3], v[26:27], -v[28:29]
	ds_load_b128 v[2:5], v1 offset:928
	scratch_load_b128 v[26:29], off, off offset:336
	v_fma_f64 v[192:193], v[192:193], v[30:31], v[198:199]
	v_fma_f64 v[190:191], v[190:191], v[30:31], -v[32:33]
	scratch_load_b128 v[30:33], off, off offset:352
	v_add_f64 v[194:195], v[194:195], v[38:39]
	v_add_f64 v[196:197], v[196:197], v[40:41]
	ds_load_b128 v[38:41], v1 offset:944
	s_waitcnt vmcnt(10) lgkmcnt(1)
	v_mul_f64 v[204:205], v[2:3], v[36:37]
	v_mul_f64 v[36:37], v[4:5], v[36:37]
	s_waitcnt vmcnt(8) lgkmcnt(0)
	v_mul_f64 v[198:199], v[38:39], v[188:189]
	v_add_f64 v[194:195], v[194:195], v[202:203]
	v_add_f64 v[196:197], v[196:197], v[200:201]
	v_mul_f64 v[200:201], v[40:41], v[188:189]
	v_fma_f64 v[202:203], v[4:5], v[34:35], v[204:205]
	v_fma_f64 v[204:205], v[2:3], v[34:35], -v[36:37]
	ds_load_b128 v[2:5], v1 offset:960
	scratch_load_b128 v[34:37], off, off offset:368
	v_fma_f64 v[198:199], v[40:41], v[186:187], v[198:199]
	v_add_f64 v[194:195], v[194:195], v[190:191]
	v_add_f64 v[192:193], v[196:197], v[192:193]
	ds_load_b128 v[188:191], v1 offset:976
	v_fma_f64 v[186:187], v[38:39], v[186:187], -v[200:201]
	scratch_load_b128 v[38:41], off, off offset:384
	s_waitcnt vmcnt(9) lgkmcnt(1)
	v_mul_f64 v[196:197], v[2:3], v[44:45]
	v_mul_f64 v[44:45], v[4:5], v[44:45]
	s_waitcnt vmcnt(8) lgkmcnt(0)
	v_mul_f64 v[200:201], v[188:189], v[8:9]
	v_mul_f64 v[8:9], v[190:191], v[8:9]
	v_add_f64 v[194:195], v[194:195], v[204:205]
	v_add_f64 v[192:193], v[192:193], v[202:203]
	v_fma_f64 v[196:197], v[4:5], v[42:43], v[196:197]
	v_fma_f64 v[202:203], v[2:3], v[42:43], -v[44:45]
	ds_load_b128 v[2:5], v1 offset:992
	scratch_load_b128 v[42:45], off, off offset:400
	v_fma_f64 v[190:191], v[190:191], v[6:7], v[200:201]
	v_fma_f64 v[188:189], v[188:189], v[6:7], -v[8:9]
	scratch_load_b128 v[6:9], off, off offset:416
	v_add_f64 v[186:187], v[194:195], v[186:187]
	v_add_f64 v[198:199], v[192:193], v[198:199]
	ds_load_b128 v[192:195], v1 offset:1008
	s_waitcnt vmcnt(9) lgkmcnt(1)
	v_mul_f64 v[204:205], v[2:3], v[12:13]
	v_mul_f64 v[12:13], v[4:5], v[12:13]
	v_add_f64 v[186:187], v[186:187], v[202:203]
	v_add_f64 v[196:197], v[198:199], v[196:197]
	s_waitcnt vmcnt(8) lgkmcnt(0)
	v_mul_f64 v[198:199], v[192:193], v[16:17]
	v_mul_f64 v[16:17], v[194:195], v[16:17]
	v_fma_f64 v[200:201], v[4:5], v[10:11], v[204:205]
	v_fma_f64 v[202:203], v[2:3], v[10:11], -v[12:13]
	ds_load_b128 v[2:5], v1 offset:1024
	scratch_load_b128 v[10:13], off, off offset:432
	v_add_f64 v[204:205], v[186:187], v[188:189]
	v_add_f64 v[190:191], v[196:197], v[190:191]
	ds_load_b128 v[186:189], v1 offset:1040
	s_waitcnt vmcnt(8) lgkmcnt(1)
	v_mul_f64 v[196:197], v[2:3], v[20:21]
	v_mul_f64 v[20:21], v[4:5], v[20:21]
	v_fma_f64 v[194:195], v[194:195], v[14:15], v[198:199]
	v_fma_f64 v[192:193], v[192:193], v[14:15], -v[16:17]
	scratch_load_b128 v[14:17], off, off offset:448
	v_add_f64 v[198:199], v[204:205], v[202:203]
	v_add_f64 v[190:191], v[190:191], v[200:201]
	s_waitcnt vmcnt(8) lgkmcnt(0)
	v_mul_f64 v[200:201], v[186:187], v[24:25]
	v_mul_f64 v[24:25], v[188:189], v[24:25]
	v_fma_f64 v[196:197], v[4:5], v[18:19], v[196:197]
	v_fma_f64 v[202:203], v[2:3], v[18:19], -v[20:21]
	ds_load_b128 v[2:5], v1 offset:1056
	scratch_load_b128 v[18:21], off, off offset:464
	v_add_f64 v[198:199], v[198:199], v[192:193]
	v_add_f64 v[194:195], v[190:191], v[194:195]
	ds_load_b128 v[190:193], v1 offset:1072
	s_waitcnt vmcnt(8) lgkmcnt(1)
	v_mul_f64 v[204:205], v[2:3], v[28:29]
	v_mul_f64 v[28:29], v[4:5], v[28:29]
	v_fma_f64 v[188:189], v[188:189], v[22:23], v[200:201]
	v_fma_f64 v[186:187], v[186:187], v[22:23], -v[24:25]
	scratch_load_b128 v[22:25], off, off offset:480
	;; [unrolled: 18-line block ×4, first 2 shown]
	s_waitcnt vmcnt(8) lgkmcnt(0)
	v_mul_f64 v[198:199], v[190:191], v[8:9]
	v_mul_f64 v[8:9], v[192:193], v[8:9]
	v_add_f64 v[196:197], v[196:197], v[202:203]
	v_add_f64 v[194:195], v[194:195], v[200:201]
	v_fma_f64 v[200:201], v[4:5], v[42:43], v[204:205]
	v_fma_f64 v[202:203], v[2:3], v[42:43], -v[44:45]
	ds_load_b128 v[2:5], v1 offset:1152
	scratch_load_b128 v[42:45], off, off offset:560
	v_fma_f64 v[192:193], v[192:193], v[6:7], v[198:199]
	v_fma_f64 v[190:191], v[190:191], v[6:7], -v[8:9]
	scratch_load_b128 v[6:9], off, off offset:576
	v_add_f64 v[196:197], v[196:197], v[186:187]
	v_add_f64 v[194:195], v[194:195], v[188:189]
	ds_load_b128 v[186:189], v1 offset:1168
	s_waitcnt vmcnt(9) lgkmcnt(1)
	v_mul_f64 v[204:205], v[2:3], v[12:13]
	v_mul_f64 v[12:13], v[4:5], v[12:13]
	s_waitcnt vmcnt(8) lgkmcnt(0)
	v_mul_f64 v[198:199], v[186:187], v[16:17]
	v_mul_f64 v[16:17], v[188:189], v[16:17]
	v_add_f64 v[196:197], v[196:197], v[202:203]
	v_add_f64 v[194:195], v[194:195], v[200:201]
	v_fma_f64 v[200:201], v[4:5], v[10:11], v[204:205]
	v_fma_f64 v[202:203], v[2:3], v[10:11], -v[12:13]
	ds_load_b128 v[2:5], v1 offset:1184
	scratch_load_b128 v[10:13], off, off offset:592
	v_fma_f64 v[188:189], v[188:189], v[14:15], v[198:199]
	v_fma_f64 v[186:187], v[186:187], v[14:15], -v[16:17]
	scratch_load_b128 v[14:17], off, off offset:608
	v_add_f64 v[196:197], v[196:197], v[190:191]
	v_add_f64 v[194:195], v[194:195], v[192:193]
	ds_load_b128 v[190:193], v1 offset:1200
	s_waitcnt vmcnt(9) lgkmcnt(1)
	v_mul_f64 v[204:205], v[2:3], v[20:21]
	v_mul_f64 v[20:21], v[4:5], v[20:21]
	;; [unrolled: 18-line block ×5, first 2 shown]
	s_waitcnt vmcnt(8) lgkmcnt(0)
	v_mul_f64 v[198:199], v[186:187], v[8:9]
	v_mul_f64 v[8:9], v[188:189], v[8:9]
	v_add_f64 v[196:197], v[196:197], v[202:203]
	v_add_f64 v[194:195], v[194:195], v[200:201]
	v_fma_f64 v[200:201], v[4:5], v[42:43], v[204:205]
	v_fma_f64 v[202:203], v[2:3], v[42:43], -v[44:45]
	ds_load_b128 v[2:5], v1 offset:1312
	ds_load_b128 v[42:45], v1 offset:1328
	v_fma_f64 v[188:189], v[188:189], v[6:7], v[198:199]
	v_fma_f64 v[6:7], v[186:187], v[6:7], -v[8:9]
	v_add_f64 v[190:191], v[196:197], v[190:191]
	v_add_f64 v[192:193], v[194:195], v[192:193]
	s_waitcnt vmcnt(7) lgkmcnt(1)
	v_mul_f64 v[194:195], v[2:3], v[12:13]
	v_mul_f64 v[12:13], v[4:5], v[12:13]
	s_delay_alu instid0(VALU_DEP_4) | instskip(NEXT) | instid1(VALU_DEP_4)
	v_add_f64 v[8:9], v[190:191], v[202:203]
	v_add_f64 v[186:187], v[192:193], v[200:201]
	s_waitcnt vmcnt(6) lgkmcnt(0)
	v_mul_f64 v[190:191], v[42:43], v[16:17]
	v_mul_f64 v[16:17], v[44:45], v[16:17]
	v_fma_f64 v[192:193], v[4:5], v[10:11], v[194:195]
	v_fma_f64 v[10:11], v[2:3], v[10:11], -v[12:13]
	v_add_f64 v[12:13], v[8:9], v[6:7]
	v_add_f64 v[186:187], v[186:187], v[188:189]
	ds_load_b128 v[2:5], v1 offset:1344
	ds_load_b128 v[6:9], v1 offset:1360
	v_fma_f64 v[44:45], v[44:45], v[14:15], v[190:191]
	v_fma_f64 v[14:15], v[42:43], v[14:15], -v[16:17]
	s_waitcnt vmcnt(5) lgkmcnt(1)
	v_mul_f64 v[188:189], v[2:3], v[20:21]
	v_mul_f64 v[20:21], v[4:5], v[20:21]
	s_waitcnt vmcnt(4) lgkmcnt(0)
	v_mul_f64 v[16:17], v[6:7], v[24:25]
	v_mul_f64 v[24:25], v[8:9], v[24:25]
	v_add_f64 v[10:11], v[12:13], v[10:11]
	v_add_f64 v[12:13], v[186:187], v[192:193]
	v_fma_f64 v[42:43], v[4:5], v[18:19], v[188:189]
	v_fma_f64 v[18:19], v[2:3], v[18:19], -v[20:21]
	v_fma_f64 v[8:9], v[8:9], v[22:23], v[16:17]
	v_fma_f64 v[6:7], v[6:7], v[22:23], -v[24:25]
	v_add_f64 v[14:15], v[10:11], v[14:15]
	v_add_f64 v[20:21], v[12:13], v[44:45]
	ds_load_b128 v[2:5], v1 offset:1376
	ds_load_b128 v[10:13], v1 offset:1392
	s_waitcnt vmcnt(3) lgkmcnt(1)
	v_mul_f64 v[44:45], v[2:3], v[28:29]
	v_mul_f64 v[28:29], v[4:5], v[28:29]
	v_add_f64 v[14:15], v[14:15], v[18:19]
	v_add_f64 v[16:17], v[20:21], v[42:43]
	s_waitcnt vmcnt(2) lgkmcnt(0)
	v_mul_f64 v[18:19], v[10:11], v[32:33]
	v_mul_f64 v[20:21], v[12:13], v[32:33]
	v_fma_f64 v[22:23], v[4:5], v[26:27], v[44:45]
	v_fma_f64 v[24:25], v[2:3], v[26:27], -v[28:29]
	v_add_f64 v[14:15], v[14:15], v[6:7]
	v_add_f64 v[16:17], v[16:17], v[8:9]
	ds_load_b128 v[2:5], v1 offset:1408
	ds_load_b128 v[6:9], v1 offset:1424
	v_fma_f64 v[12:13], v[12:13], v[30:31], v[18:19]
	v_fma_f64 v[10:11], v[10:11], v[30:31], -v[20:21]
	s_waitcnt vmcnt(1) lgkmcnt(1)
	v_mul_f64 v[26:27], v[2:3], v[36:37]
	v_mul_f64 v[28:29], v[4:5], v[36:37]
	s_waitcnt vmcnt(0) lgkmcnt(0)
	v_mul_f64 v[18:19], v[6:7], v[40:41]
	v_mul_f64 v[20:21], v[8:9], v[40:41]
	v_add_f64 v[14:15], v[14:15], v[24:25]
	v_add_f64 v[16:17], v[16:17], v[22:23]
	v_fma_f64 v[4:5], v[4:5], v[34:35], v[26:27]
	v_fma_f64 v[1:2], v[2:3], v[34:35], -v[28:29]
	v_fma_f64 v[8:9], v[8:9], v[38:39], v[18:19]
	v_fma_f64 v[6:7], v[6:7], v[38:39], -v[20:21]
	v_add_f64 v[10:11], v[14:15], v[10:11]
	v_add_f64 v[12:13], v[16:17], v[12:13]
	s_delay_alu instid0(VALU_DEP_2) | instskip(NEXT) | instid1(VALU_DEP_2)
	v_add_f64 v[1:2], v[10:11], v[1:2]
	v_add_f64 v[3:4], v[12:13], v[4:5]
	s_delay_alu instid0(VALU_DEP_2) | instskip(NEXT) | instid1(VALU_DEP_2)
	;; [unrolled: 3-line block ×3, first 2 shown]
	v_add_f64 v[1:2], v[182:183], -v[1:2]
	v_add_f64 v[3:4], v[184:185], -v[3:4]
	scratch_store_b128 off, v[1:4], off offset:64
	v_cmpx_lt_u32_e32 3, v136
	s_cbranch_execz .LBB44_277
; %bb.276:
	scratch_load_b128 v[1:4], v178, off
	v_mov_b32_e32 v5, 0
	s_delay_alu instid0(VALU_DEP_1)
	v_mov_b32_e32 v6, v5
	v_mov_b32_e32 v7, v5
	;; [unrolled: 1-line block ×3, first 2 shown]
	scratch_store_b128 off, v[5:8], off offset:48
	s_waitcnt vmcnt(0)
	ds_store_b128 v181, v[1:4]
.LBB44_277:
	s_or_b32 exec_lo, exec_lo, s2
	s_waitcnt lgkmcnt(0)
	s_waitcnt_vscnt null, 0x0
	s_barrier
	buffer_gl0_inv
	s_clause 0x7
	scratch_load_b128 v[2:5], off, off offset:64
	scratch_load_b128 v[6:9], off, off offset:80
	;; [unrolled: 1-line block ×8, first 2 shown]
	v_mov_b32_e32 v1, 0
	s_mov_b32 s2, exec_lo
	ds_load_b128 v[38:41], v1 offset:784
	s_clause 0x1
	scratch_load_b128 v[34:37], off, off offset:192
	scratch_load_b128 v[42:45], off, off offset:48
	ds_load_b128 v[182:185], v1 offset:800
	scratch_load_b128 v[186:189], off, off offset:208
	s_waitcnt vmcnt(10) lgkmcnt(1)
	v_mul_f64 v[190:191], v[40:41], v[4:5]
	v_mul_f64 v[4:5], v[38:39], v[4:5]
	s_delay_alu instid0(VALU_DEP_2) | instskip(NEXT) | instid1(VALU_DEP_2)
	v_fma_f64 v[196:197], v[38:39], v[2:3], -v[190:191]
	v_fma_f64 v[198:199], v[40:41], v[2:3], v[4:5]
	scratch_load_b128 v[38:41], off, off offset:224
	ds_load_b128 v[2:5], v1 offset:816
	s_waitcnt vmcnt(10) lgkmcnt(1)
	v_mul_f64 v[194:195], v[182:183], v[8:9]
	v_mul_f64 v[8:9], v[184:185], v[8:9]
	ds_load_b128 v[190:193], v1 offset:832
	s_waitcnt vmcnt(9) lgkmcnt(1)
	v_mul_f64 v[200:201], v[2:3], v[12:13]
	v_mul_f64 v[12:13], v[4:5], v[12:13]
	v_fma_f64 v[184:185], v[184:185], v[6:7], v[194:195]
	v_fma_f64 v[182:183], v[182:183], v[6:7], -v[8:9]
	v_add_f64 v[194:195], v[196:197], 0
	v_add_f64 v[196:197], v[198:199], 0
	scratch_load_b128 v[6:9], off, off offset:240
	v_fma_f64 v[200:201], v[4:5], v[10:11], v[200:201]
	v_fma_f64 v[202:203], v[2:3], v[10:11], -v[12:13]
	scratch_load_b128 v[10:13], off, off offset:256
	ds_load_b128 v[2:5], v1 offset:848
	s_waitcnt vmcnt(10) lgkmcnt(1)
	v_mul_f64 v[198:199], v[190:191], v[16:17]
	v_mul_f64 v[16:17], v[192:193], v[16:17]
	v_add_f64 v[194:195], v[194:195], v[182:183]
	v_add_f64 v[196:197], v[196:197], v[184:185]
	s_waitcnt vmcnt(9) lgkmcnt(0)
	v_mul_f64 v[204:205], v[2:3], v[20:21]
	v_mul_f64 v[20:21], v[4:5], v[20:21]
	ds_load_b128 v[182:185], v1 offset:864
	v_fma_f64 v[192:193], v[192:193], v[14:15], v[198:199]
	v_fma_f64 v[190:191], v[190:191], v[14:15], -v[16:17]
	scratch_load_b128 v[14:17], off, off offset:272
	v_add_f64 v[194:195], v[194:195], v[202:203]
	v_add_f64 v[196:197], v[196:197], v[200:201]
	v_fma_f64 v[200:201], v[4:5], v[18:19], v[204:205]
	v_fma_f64 v[202:203], v[2:3], v[18:19], -v[20:21]
	scratch_load_b128 v[18:21], off, off offset:288
	ds_load_b128 v[2:5], v1 offset:880
	s_waitcnt vmcnt(10) lgkmcnt(1)
	v_mul_f64 v[198:199], v[182:183], v[24:25]
	v_mul_f64 v[24:25], v[184:185], v[24:25]
	s_waitcnt vmcnt(9) lgkmcnt(0)
	v_mul_f64 v[204:205], v[2:3], v[28:29]
	v_mul_f64 v[28:29], v[4:5], v[28:29]
	v_add_f64 v[194:195], v[194:195], v[190:191]
	v_add_f64 v[196:197], v[196:197], v[192:193]
	ds_load_b128 v[190:193], v1 offset:896
	v_fma_f64 v[184:185], v[184:185], v[22:23], v[198:199]
	v_fma_f64 v[182:183], v[182:183], v[22:23], -v[24:25]
	scratch_load_b128 v[22:25], off, off offset:304
	v_add_f64 v[194:195], v[194:195], v[202:203]
	v_add_f64 v[196:197], v[196:197], v[200:201]
	v_fma_f64 v[200:201], v[4:5], v[26:27], v[204:205]
	v_fma_f64 v[202:203], v[2:3], v[26:27], -v[28:29]
	scratch_load_b128 v[26:29], off, off offset:320
	ds_load_b128 v[2:5], v1 offset:912
	s_waitcnt vmcnt(10) lgkmcnt(1)
	v_mul_f64 v[198:199], v[190:191], v[32:33]
	v_mul_f64 v[32:33], v[192:193], v[32:33]
	s_waitcnt vmcnt(9) lgkmcnt(0)
	v_mul_f64 v[204:205], v[2:3], v[36:37]
	v_mul_f64 v[36:37], v[4:5], v[36:37]
	v_add_f64 v[194:195], v[194:195], v[182:183]
	v_add_f64 v[196:197], v[196:197], v[184:185]
	ds_load_b128 v[182:185], v1 offset:928
	v_fma_f64 v[192:193], v[192:193], v[30:31], v[198:199]
	v_fma_f64 v[190:191], v[190:191], v[30:31], -v[32:33]
	scratch_load_b128 v[30:33], off, off offset:336
	v_add_f64 v[194:195], v[194:195], v[202:203]
	v_add_f64 v[196:197], v[196:197], v[200:201]
	v_fma_f64 v[202:203], v[4:5], v[34:35], v[204:205]
	v_fma_f64 v[204:205], v[2:3], v[34:35], -v[36:37]
	scratch_load_b128 v[34:37], off, off offset:352
	ds_load_b128 v[2:5], v1 offset:944
	s_waitcnt vmcnt(9) lgkmcnt(1)
	v_mul_f64 v[198:199], v[182:183], v[188:189]
	v_mul_f64 v[200:201], v[184:185], v[188:189]
	v_add_f64 v[194:195], v[194:195], v[190:191]
	v_add_f64 v[192:193], v[196:197], v[192:193]
	ds_load_b128 v[188:191], v1 offset:960
	v_fma_f64 v[198:199], v[184:185], v[186:187], v[198:199]
	v_fma_f64 v[186:187], v[182:183], v[186:187], -v[200:201]
	scratch_load_b128 v[182:185], off, off offset:368
	s_waitcnt vmcnt(9) lgkmcnt(1)
	v_mul_f64 v[196:197], v[2:3], v[40:41]
	v_mul_f64 v[40:41], v[4:5], v[40:41]
	v_add_f64 v[194:195], v[194:195], v[204:205]
	v_add_f64 v[192:193], v[192:193], v[202:203]
	s_delay_alu instid0(VALU_DEP_4) | instskip(NEXT) | instid1(VALU_DEP_4)
	v_fma_f64 v[196:197], v[4:5], v[38:39], v[196:197]
	v_fma_f64 v[202:203], v[2:3], v[38:39], -v[40:41]
	scratch_load_b128 v[38:41], off, off offset:384
	ds_load_b128 v[2:5], v1 offset:976
	s_waitcnt vmcnt(9) lgkmcnt(1)
	v_mul_f64 v[200:201], v[188:189], v[8:9]
	v_mul_f64 v[8:9], v[190:191], v[8:9]
	s_waitcnt vmcnt(8) lgkmcnt(0)
	v_mul_f64 v[204:205], v[2:3], v[12:13]
	v_mul_f64 v[12:13], v[4:5], v[12:13]
	v_add_f64 v[186:187], v[194:195], v[186:187]
	v_add_f64 v[198:199], v[192:193], v[198:199]
	ds_load_b128 v[192:195], v1 offset:992
	v_fma_f64 v[190:191], v[190:191], v[6:7], v[200:201]
	v_fma_f64 v[188:189], v[188:189], v[6:7], -v[8:9]
	scratch_load_b128 v[6:9], off, off offset:400
	v_fma_f64 v[200:201], v[4:5], v[10:11], v[204:205]
	v_add_f64 v[186:187], v[186:187], v[202:203]
	v_add_f64 v[196:197], v[198:199], v[196:197]
	v_fma_f64 v[202:203], v[2:3], v[10:11], -v[12:13]
	scratch_load_b128 v[10:13], off, off offset:416
	ds_load_b128 v[2:5], v1 offset:1008
	s_waitcnt vmcnt(9) lgkmcnt(1)
	v_mul_f64 v[198:199], v[192:193], v[16:17]
	v_mul_f64 v[16:17], v[194:195], v[16:17]
	v_add_f64 v[204:205], v[186:187], v[188:189]
	v_add_f64 v[190:191], v[196:197], v[190:191]
	s_waitcnt vmcnt(8) lgkmcnt(0)
	v_mul_f64 v[196:197], v[2:3], v[20:21]
	v_mul_f64 v[20:21], v[4:5], v[20:21]
	ds_load_b128 v[186:189], v1 offset:1024
	v_fma_f64 v[194:195], v[194:195], v[14:15], v[198:199]
	v_fma_f64 v[192:193], v[192:193], v[14:15], -v[16:17]
	scratch_load_b128 v[14:17], off, off offset:432
	v_add_f64 v[198:199], v[204:205], v[202:203]
	v_add_f64 v[190:191], v[190:191], v[200:201]
	v_fma_f64 v[196:197], v[4:5], v[18:19], v[196:197]
	v_fma_f64 v[202:203], v[2:3], v[18:19], -v[20:21]
	scratch_load_b128 v[18:21], off, off offset:448
	ds_load_b128 v[2:5], v1 offset:1040
	s_waitcnt vmcnt(9) lgkmcnt(1)
	v_mul_f64 v[200:201], v[186:187], v[24:25]
	v_mul_f64 v[24:25], v[188:189], v[24:25]
	s_waitcnt vmcnt(8) lgkmcnt(0)
	v_mul_f64 v[204:205], v[2:3], v[28:29]
	v_mul_f64 v[28:29], v[4:5], v[28:29]
	v_add_f64 v[198:199], v[198:199], v[192:193]
	v_add_f64 v[194:195], v[190:191], v[194:195]
	ds_load_b128 v[190:193], v1 offset:1056
	v_fma_f64 v[188:189], v[188:189], v[22:23], v[200:201]
	v_fma_f64 v[186:187], v[186:187], v[22:23], -v[24:25]
	scratch_load_b128 v[22:25], off, off offset:464
	v_fma_f64 v[200:201], v[4:5], v[26:27], v[204:205]
	v_add_f64 v[198:199], v[198:199], v[202:203]
	v_add_f64 v[194:195], v[194:195], v[196:197]
	v_fma_f64 v[202:203], v[2:3], v[26:27], -v[28:29]
	scratch_load_b128 v[26:29], off, off offset:480
	ds_load_b128 v[2:5], v1 offset:1072
	s_waitcnt vmcnt(9) lgkmcnt(1)
	v_mul_f64 v[196:197], v[190:191], v[32:33]
	v_mul_f64 v[32:33], v[192:193], v[32:33]
	s_waitcnt vmcnt(8) lgkmcnt(0)
	v_mul_f64 v[204:205], v[2:3], v[36:37]
	v_mul_f64 v[36:37], v[4:5], v[36:37]
	v_add_f64 v[198:199], v[198:199], v[186:187]
	v_add_f64 v[194:195], v[194:195], v[188:189]
	ds_load_b128 v[186:189], v1 offset:1088
	v_fma_f64 v[192:193], v[192:193], v[30:31], v[196:197]
	v_fma_f64 v[190:191], v[190:191], v[30:31], -v[32:33]
	scratch_load_b128 v[30:33], off, off offset:496
	v_add_f64 v[196:197], v[198:199], v[202:203]
	v_add_f64 v[194:195], v[194:195], v[200:201]
	v_fma_f64 v[200:201], v[4:5], v[34:35], v[204:205]
	v_fma_f64 v[202:203], v[2:3], v[34:35], -v[36:37]
	scratch_load_b128 v[34:37], off, off offset:512
	ds_load_b128 v[2:5], v1 offset:1104
	s_waitcnt vmcnt(9) lgkmcnt(1)
	v_mul_f64 v[198:199], v[186:187], v[184:185]
	v_mul_f64 v[184:185], v[188:189], v[184:185]
	s_waitcnt vmcnt(8) lgkmcnt(0)
	v_mul_f64 v[204:205], v[2:3], v[40:41]
	v_mul_f64 v[40:41], v[4:5], v[40:41]
	v_add_f64 v[196:197], v[196:197], v[190:191]
	v_add_f64 v[194:195], v[194:195], v[192:193]
	ds_load_b128 v[190:193], v1 offset:1120
	v_fma_f64 v[188:189], v[188:189], v[182:183], v[198:199]
	v_fma_f64 v[186:187], v[186:187], v[182:183], -v[184:185]
	scratch_load_b128 v[182:185], off, off offset:528
	v_add_f64 v[196:197], v[196:197], v[202:203]
	v_add_f64 v[194:195], v[194:195], v[200:201]
	v_fma_f64 v[200:201], v[4:5], v[38:39], v[204:205]
	;; [unrolled: 18-line block ×6, first 2 shown]
	v_fma_f64 v[204:205], v[2:3], v[34:35], -v[36:37]
	scratch_load_b128 v[34:37], off, off offset:672
	ds_load_b128 v[2:5], v1 offset:1264
	s_waitcnt vmcnt(9) lgkmcnt(1)
	v_mul_f64 v[198:199], v[190:191], v[184:185]
	v_mul_f64 v[200:201], v[192:193], v[184:185]
	v_add_f64 v[196:197], v[196:197], v[186:187]
	v_add_f64 v[188:189], v[194:195], v[188:189]
	s_waitcnt vmcnt(8) lgkmcnt(0)
	v_mul_f64 v[194:195], v[2:3], v[40:41]
	v_mul_f64 v[40:41], v[4:5], v[40:41]
	ds_load_b128 v[184:187], v1 offset:1280
	v_fma_f64 v[192:193], v[192:193], v[182:183], v[198:199]
	v_fma_f64 v[182:183], v[190:191], v[182:183], -v[200:201]
	v_add_f64 v[196:197], v[196:197], v[204:205]
	v_add_f64 v[198:199], v[188:189], v[202:203]
	scratch_load_b128 v[188:191], off, off offset:688
	v_fma_f64 v[202:203], v[4:5], v[38:39], v[194:195]
	v_fma_f64 v[204:205], v[2:3], v[38:39], -v[40:41]
	scratch_load_b128 v[38:41], off, off offset:704
	ds_load_b128 v[2:5], v1 offset:1296
	s_waitcnt vmcnt(9) lgkmcnt(1)
	v_mul_f64 v[200:201], v[184:185], v[8:9]
	v_mul_f64 v[8:9], v[186:187], v[8:9]
	v_add_f64 v[182:183], v[196:197], v[182:183]
	v_add_f64 v[196:197], v[198:199], v[192:193]
	s_waitcnt vmcnt(8) lgkmcnt(0)
	v_mul_f64 v[198:199], v[2:3], v[12:13]
	v_mul_f64 v[12:13], v[4:5], v[12:13]
	ds_load_b128 v[192:195], v1 offset:1312
	v_fma_f64 v[186:187], v[186:187], v[6:7], v[200:201]
	v_fma_f64 v[6:7], v[184:185], v[6:7], -v[8:9]
	s_waitcnt vmcnt(7) lgkmcnt(0)
	v_mul_f64 v[184:185], v[192:193], v[16:17]
	v_mul_f64 v[16:17], v[194:195], v[16:17]
	v_add_f64 v[8:9], v[182:183], v[204:205]
	v_add_f64 v[182:183], v[196:197], v[202:203]
	v_fma_f64 v[196:197], v[4:5], v[10:11], v[198:199]
	v_fma_f64 v[10:11], v[2:3], v[10:11], -v[12:13]
	v_fma_f64 v[184:185], v[194:195], v[14:15], v[184:185]
	v_fma_f64 v[14:15], v[192:193], v[14:15], -v[16:17]
	v_add_f64 v[12:13], v[8:9], v[6:7]
	v_add_f64 v[182:183], v[182:183], v[186:187]
	ds_load_b128 v[2:5], v1 offset:1328
	ds_load_b128 v[6:9], v1 offset:1344
	s_waitcnt vmcnt(6) lgkmcnt(1)
	v_mul_f64 v[186:187], v[2:3], v[20:21]
	v_mul_f64 v[20:21], v[4:5], v[20:21]
	s_waitcnt vmcnt(5) lgkmcnt(0)
	v_mul_f64 v[16:17], v[6:7], v[24:25]
	v_mul_f64 v[24:25], v[8:9], v[24:25]
	v_add_f64 v[10:11], v[12:13], v[10:11]
	v_add_f64 v[12:13], v[182:183], v[196:197]
	v_fma_f64 v[182:183], v[4:5], v[18:19], v[186:187]
	v_fma_f64 v[18:19], v[2:3], v[18:19], -v[20:21]
	v_fma_f64 v[8:9], v[8:9], v[22:23], v[16:17]
	v_fma_f64 v[6:7], v[6:7], v[22:23], -v[24:25]
	v_add_f64 v[14:15], v[10:11], v[14:15]
	v_add_f64 v[20:21], v[12:13], v[184:185]
	ds_load_b128 v[2:5], v1 offset:1360
	ds_load_b128 v[10:13], v1 offset:1376
	s_waitcnt vmcnt(4) lgkmcnt(1)
	v_mul_f64 v[184:185], v[2:3], v[28:29]
	v_mul_f64 v[28:29], v[4:5], v[28:29]
	v_add_f64 v[14:15], v[14:15], v[18:19]
	v_add_f64 v[16:17], v[20:21], v[182:183]
	s_waitcnt vmcnt(3) lgkmcnt(0)
	v_mul_f64 v[18:19], v[10:11], v[32:33]
	v_mul_f64 v[20:21], v[12:13], v[32:33]
	v_fma_f64 v[22:23], v[4:5], v[26:27], v[184:185]
	v_fma_f64 v[24:25], v[2:3], v[26:27], -v[28:29]
	v_add_f64 v[14:15], v[14:15], v[6:7]
	v_add_f64 v[16:17], v[16:17], v[8:9]
	ds_load_b128 v[2:5], v1 offset:1392
	ds_load_b128 v[6:9], v1 offset:1408
	v_fma_f64 v[12:13], v[12:13], v[30:31], v[18:19]
	v_fma_f64 v[10:11], v[10:11], v[30:31], -v[20:21]
	s_waitcnt vmcnt(2) lgkmcnt(1)
	v_mul_f64 v[26:27], v[2:3], v[36:37]
	v_mul_f64 v[28:29], v[4:5], v[36:37]
	v_add_f64 v[14:15], v[14:15], v[24:25]
	v_add_f64 v[16:17], v[16:17], v[22:23]
	s_waitcnt vmcnt(1) lgkmcnt(0)
	v_mul_f64 v[18:19], v[6:7], v[190:191]
	v_mul_f64 v[20:21], v[8:9], v[190:191]
	v_fma_f64 v[22:23], v[4:5], v[34:35], v[26:27]
	v_fma_f64 v[24:25], v[2:3], v[34:35], -v[28:29]
	ds_load_b128 v[2:5], v1 offset:1424
	v_add_f64 v[10:11], v[14:15], v[10:11]
	v_add_f64 v[12:13], v[16:17], v[12:13]
	s_waitcnt vmcnt(0) lgkmcnt(0)
	v_mul_f64 v[14:15], v[2:3], v[40:41]
	v_mul_f64 v[16:17], v[4:5], v[40:41]
	v_fma_f64 v[8:9], v[8:9], v[188:189], v[18:19]
	v_fma_f64 v[6:7], v[6:7], v[188:189], -v[20:21]
	v_add_f64 v[10:11], v[10:11], v[24:25]
	v_add_f64 v[12:13], v[12:13], v[22:23]
	v_fma_f64 v[4:5], v[4:5], v[38:39], v[14:15]
	v_fma_f64 v[2:3], v[2:3], v[38:39], -v[16:17]
	s_delay_alu instid0(VALU_DEP_4) | instskip(NEXT) | instid1(VALU_DEP_4)
	v_add_f64 v[6:7], v[10:11], v[6:7]
	v_add_f64 v[8:9], v[12:13], v[8:9]
	s_delay_alu instid0(VALU_DEP_2) | instskip(NEXT) | instid1(VALU_DEP_2)
	v_add_f64 v[2:3], v[6:7], v[2:3]
	v_add_f64 v[4:5], v[8:9], v[4:5]
	s_delay_alu instid0(VALU_DEP_2) | instskip(NEXT) | instid1(VALU_DEP_2)
	v_add_f64 v[2:3], v[42:43], -v[2:3]
	v_add_f64 v[4:5], v[44:45], -v[4:5]
	scratch_store_b128 off, v[2:5], off offset:48
	v_cmpx_lt_u32_e32 2, v136
	s_cbranch_execz .LBB44_279
; %bb.278:
	scratch_load_b128 v[5:8], v179, off
	v_mov_b32_e32 v2, v1
	v_mov_b32_e32 v3, v1
	;; [unrolled: 1-line block ×3, first 2 shown]
	scratch_store_b128 off, v[1:4], off offset:32
	s_waitcnt vmcnt(0)
	ds_store_b128 v181, v[5:8]
.LBB44_279:
	s_or_b32 exec_lo, exec_lo, s2
	s_waitcnt lgkmcnt(0)
	s_waitcnt_vscnt null, 0x0
	s_barrier
	buffer_gl0_inv
	s_clause 0x8
	scratch_load_b128 v[2:5], off, off offset:48
	scratch_load_b128 v[6:9], off, off offset:64
	scratch_load_b128 v[10:13], off, off offset:80
	scratch_load_b128 v[14:17], off, off offset:96
	scratch_load_b128 v[18:21], off, off offset:112
	scratch_load_b128 v[22:25], off, off offset:128
	scratch_load_b128 v[26:29], off, off offset:144
	scratch_load_b128 v[30:33], off, off offset:160
	scratch_load_b128 v[34:37], off, off offset:176
	ds_load_b128 v[42:45], v1 offset:768
	ds_load_b128 v[38:41], v1 offset:784
	s_clause 0x1
	scratch_load_b128 v[182:185], off, off offset:32
	scratch_load_b128 v[186:189], off, off offset:192
	s_mov_b32 s2, exec_lo
	s_waitcnt vmcnt(10) lgkmcnt(1)
	v_mul_f64 v[190:191], v[44:45], v[4:5]
	v_mul_f64 v[4:5], v[42:43], v[4:5]
	s_waitcnt vmcnt(9) lgkmcnt(0)
	v_mul_f64 v[194:195], v[38:39], v[8:9]
	v_mul_f64 v[8:9], v[40:41], v[8:9]
	s_delay_alu instid0(VALU_DEP_4) | instskip(NEXT) | instid1(VALU_DEP_4)
	v_fma_f64 v[196:197], v[42:43], v[2:3], -v[190:191]
	v_fma_f64 v[198:199], v[44:45], v[2:3], v[4:5]
	ds_load_b128 v[2:5], v1 offset:800
	ds_load_b128 v[190:193], v1 offset:816
	scratch_load_b128 v[42:45], off, off offset:208
	v_fma_f64 v[40:41], v[40:41], v[6:7], v[194:195]
	v_fma_f64 v[38:39], v[38:39], v[6:7], -v[8:9]
	scratch_load_b128 v[6:9], off, off offset:224
	s_waitcnt vmcnt(10) lgkmcnt(1)
	v_mul_f64 v[200:201], v[2:3], v[12:13]
	v_mul_f64 v[12:13], v[4:5], v[12:13]
	v_add_f64 v[194:195], v[196:197], 0
	v_add_f64 v[196:197], v[198:199], 0
	s_waitcnt vmcnt(9) lgkmcnt(0)
	v_mul_f64 v[198:199], v[190:191], v[16:17]
	v_mul_f64 v[16:17], v[192:193], v[16:17]
	v_fma_f64 v[200:201], v[4:5], v[10:11], v[200:201]
	v_fma_f64 v[202:203], v[2:3], v[10:11], -v[12:13]
	ds_load_b128 v[2:5], v1 offset:832
	scratch_load_b128 v[10:13], off, off offset:240
	v_add_f64 v[194:195], v[194:195], v[38:39]
	v_add_f64 v[196:197], v[196:197], v[40:41]
	ds_load_b128 v[38:41], v1 offset:848
	v_fma_f64 v[192:193], v[192:193], v[14:15], v[198:199]
	v_fma_f64 v[190:191], v[190:191], v[14:15], -v[16:17]
	scratch_load_b128 v[14:17], off, off offset:256
	s_waitcnt vmcnt(10) lgkmcnt(1)
	v_mul_f64 v[204:205], v[2:3], v[20:21]
	v_mul_f64 v[20:21], v[4:5], v[20:21]
	s_waitcnt vmcnt(9) lgkmcnt(0)
	v_mul_f64 v[198:199], v[38:39], v[24:25]
	v_mul_f64 v[24:25], v[40:41], v[24:25]
	v_add_f64 v[194:195], v[194:195], v[202:203]
	v_add_f64 v[196:197], v[196:197], v[200:201]
	v_fma_f64 v[200:201], v[4:5], v[18:19], v[204:205]
	v_fma_f64 v[202:203], v[2:3], v[18:19], -v[20:21]
	ds_load_b128 v[2:5], v1 offset:864
	scratch_load_b128 v[18:21], off, off offset:272
	v_fma_f64 v[40:41], v[40:41], v[22:23], v[198:199]
	v_fma_f64 v[38:39], v[38:39], v[22:23], -v[24:25]
	scratch_load_b128 v[22:25], off, off offset:288
	v_add_f64 v[194:195], v[194:195], v[190:191]
	v_add_f64 v[196:197], v[196:197], v[192:193]
	ds_load_b128 v[190:193], v1 offset:880
	s_waitcnt vmcnt(10) lgkmcnt(1)
	v_mul_f64 v[204:205], v[2:3], v[28:29]
	v_mul_f64 v[28:29], v[4:5], v[28:29]
	s_waitcnt vmcnt(9) lgkmcnt(0)
	v_mul_f64 v[198:199], v[190:191], v[32:33]
	v_mul_f64 v[32:33], v[192:193], v[32:33]
	v_add_f64 v[194:195], v[194:195], v[202:203]
	v_add_f64 v[196:197], v[196:197], v[200:201]
	v_fma_f64 v[200:201], v[4:5], v[26:27], v[204:205]
	v_fma_f64 v[202:203], v[2:3], v[26:27], -v[28:29]
	ds_load_b128 v[2:5], v1 offset:896
	scratch_load_b128 v[26:29], off, off offset:304
	v_fma_f64 v[192:193], v[192:193], v[30:31], v[198:199]
	v_fma_f64 v[190:191], v[190:191], v[30:31], -v[32:33]
	scratch_load_b128 v[30:33], off, off offset:320
	v_add_f64 v[194:195], v[194:195], v[38:39]
	v_add_f64 v[196:197], v[196:197], v[40:41]
	ds_load_b128 v[38:41], v1 offset:912
	s_waitcnt vmcnt(10) lgkmcnt(1)
	v_mul_f64 v[204:205], v[2:3], v[36:37]
	v_mul_f64 v[36:37], v[4:5], v[36:37]
	s_waitcnt vmcnt(8) lgkmcnt(0)
	v_mul_f64 v[198:199], v[38:39], v[188:189]
	v_add_f64 v[194:195], v[194:195], v[202:203]
	v_add_f64 v[196:197], v[196:197], v[200:201]
	v_mul_f64 v[200:201], v[40:41], v[188:189]
	v_fma_f64 v[202:203], v[4:5], v[34:35], v[204:205]
	v_fma_f64 v[204:205], v[2:3], v[34:35], -v[36:37]
	ds_load_b128 v[2:5], v1 offset:928
	scratch_load_b128 v[34:37], off, off offset:336
	v_fma_f64 v[198:199], v[40:41], v[186:187], v[198:199]
	v_add_f64 v[194:195], v[194:195], v[190:191]
	v_add_f64 v[192:193], v[196:197], v[192:193]
	ds_load_b128 v[188:191], v1 offset:944
	v_fma_f64 v[186:187], v[38:39], v[186:187], -v[200:201]
	scratch_load_b128 v[38:41], off, off offset:352
	s_waitcnt vmcnt(9) lgkmcnt(1)
	v_mul_f64 v[196:197], v[2:3], v[44:45]
	v_mul_f64 v[44:45], v[4:5], v[44:45]
	s_waitcnt vmcnt(8) lgkmcnt(0)
	v_mul_f64 v[200:201], v[188:189], v[8:9]
	v_mul_f64 v[8:9], v[190:191], v[8:9]
	v_add_f64 v[194:195], v[194:195], v[204:205]
	v_add_f64 v[192:193], v[192:193], v[202:203]
	v_fma_f64 v[196:197], v[4:5], v[42:43], v[196:197]
	v_fma_f64 v[202:203], v[2:3], v[42:43], -v[44:45]
	ds_load_b128 v[2:5], v1 offset:960
	scratch_load_b128 v[42:45], off, off offset:368
	v_fma_f64 v[190:191], v[190:191], v[6:7], v[200:201]
	v_fma_f64 v[188:189], v[188:189], v[6:7], -v[8:9]
	scratch_load_b128 v[6:9], off, off offset:384
	v_add_f64 v[186:187], v[194:195], v[186:187]
	v_add_f64 v[198:199], v[192:193], v[198:199]
	ds_load_b128 v[192:195], v1 offset:976
	s_waitcnt vmcnt(9) lgkmcnt(1)
	v_mul_f64 v[204:205], v[2:3], v[12:13]
	v_mul_f64 v[12:13], v[4:5], v[12:13]
	v_add_f64 v[186:187], v[186:187], v[202:203]
	v_add_f64 v[196:197], v[198:199], v[196:197]
	s_waitcnt vmcnt(8) lgkmcnt(0)
	v_mul_f64 v[198:199], v[192:193], v[16:17]
	v_mul_f64 v[16:17], v[194:195], v[16:17]
	v_fma_f64 v[200:201], v[4:5], v[10:11], v[204:205]
	v_fma_f64 v[202:203], v[2:3], v[10:11], -v[12:13]
	ds_load_b128 v[2:5], v1 offset:992
	scratch_load_b128 v[10:13], off, off offset:400
	v_add_f64 v[204:205], v[186:187], v[188:189]
	v_add_f64 v[190:191], v[196:197], v[190:191]
	ds_load_b128 v[186:189], v1 offset:1008
	s_waitcnt vmcnt(8) lgkmcnt(1)
	v_mul_f64 v[196:197], v[2:3], v[20:21]
	v_mul_f64 v[20:21], v[4:5], v[20:21]
	v_fma_f64 v[194:195], v[194:195], v[14:15], v[198:199]
	v_fma_f64 v[192:193], v[192:193], v[14:15], -v[16:17]
	scratch_load_b128 v[14:17], off, off offset:416
	v_add_f64 v[198:199], v[204:205], v[202:203]
	v_add_f64 v[190:191], v[190:191], v[200:201]
	s_waitcnt vmcnt(8) lgkmcnt(0)
	v_mul_f64 v[200:201], v[186:187], v[24:25]
	v_mul_f64 v[24:25], v[188:189], v[24:25]
	v_fma_f64 v[196:197], v[4:5], v[18:19], v[196:197]
	v_fma_f64 v[202:203], v[2:3], v[18:19], -v[20:21]
	ds_load_b128 v[2:5], v1 offset:1024
	scratch_load_b128 v[18:21], off, off offset:432
	v_add_f64 v[198:199], v[198:199], v[192:193]
	v_add_f64 v[194:195], v[190:191], v[194:195]
	ds_load_b128 v[190:193], v1 offset:1040
	s_waitcnt vmcnt(8) lgkmcnt(1)
	v_mul_f64 v[204:205], v[2:3], v[28:29]
	v_mul_f64 v[28:29], v[4:5], v[28:29]
	v_fma_f64 v[188:189], v[188:189], v[22:23], v[200:201]
	v_fma_f64 v[186:187], v[186:187], v[22:23], -v[24:25]
	scratch_load_b128 v[22:25], off, off offset:448
	v_add_f64 v[198:199], v[198:199], v[202:203]
	v_add_f64 v[194:195], v[194:195], v[196:197]
	s_waitcnt vmcnt(8) lgkmcnt(0)
	v_mul_f64 v[196:197], v[190:191], v[32:33]
	v_mul_f64 v[32:33], v[192:193], v[32:33]
	v_fma_f64 v[200:201], v[4:5], v[26:27], v[204:205]
	v_fma_f64 v[202:203], v[2:3], v[26:27], -v[28:29]
	ds_load_b128 v[2:5], v1 offset:1056
	scratch_load_b128 v[26:29], off, off offset:464
	v_add_f64 v[198:199], v[198:199], v[186:187]
	v_add_f64 v[194:195], v[194:195], v[188:189]
	ds_load_b128 v[186:189], v1 offset:1072
	s_waitcnt vmcnt(8) lgkmcnt(1)
	v_mul_f64 v[204:205], v[2:3], v[36:37]
	v_mul_f64 v[36:37], v[4:5], v[36:37]
	v_fma_f64 v[192:193], v[192:193], v[30:31], v[196:197]
	v_fma_f64 v[190:191], v[190:191], v[30:31], -v[32:33]
	scratch_load_b128 v[30:33], off, off offset:480
	v_add_f64 v[196:197], v[198:199], v[202:203]
	v_add_f64 v[194:195], v[194:195], v[200:201]
	s_waitcnt vmcnt(8) lgkmcnt(0)
	v_mul_f64 v[198:199], v[186:187], v[40:41]
	v_mul_f64 v[40:41], v[188:189], v[40:41]
	v_fma_f64 v[200:201], v[4:5], v[34:35], v[204:205]
	v_fma_f64 v[202:203], v[2:3], v[34:35], -v[36:37]
	ds_load_b128 v[2:5], v1 offset:1088
	scratch_load_b128 v[34:37], off, off offset:496
	v_add_f64 v[196:197], v[196:197], v[190:191]
	v_add_f64 v[194:195], v[194:195], v[192:193]
	ds_load_b128 v[190:193], v1 offset:1104
	s_waitcnt vmcnt(8) lgkmcnt(1)
	v_mul_f64 v[204:205], v[2:3], v[44:45]
	v_mul_f64 v[44:45], v[4:5], v[44:45]
	v_fma_f64 v[188:189], v[188:189], v[38:39], v[198:199]
	v_fma_f64 v[186:187], v[186:187], v[38:39], -v[40:41]
	scratch_load_b128 v[38:41], off, off offset:512
	s_waitcnt vmcnt(8) lgkmcnt(0)
	v_mul_f64 v[198:199], v[190:191], v[8:9]
	v_mul_f64 v[8:9], v[192:193], v[8:9]
	v_add_f64 v[196:197], v[196:197], v[202:203]
	v_add_f64 v[194:195], v[194:195], v[200:201]
	v_fma_f64 v[200:201], v[4:5], v[42:43], v[204:205]
	v_fma_f64 v[202:203], v[2:3], v[42:43], -v[44:45]
	ds_load_b128 v[2:5], v1 offset:1120
	scratch_load_b128 v[42:45], off, off offset:528
	v_fma_f64 v[192:193], v[192:193], v[6:7], v[198:199]
	v_fma_f64 v[190:191], v[190:191], v[6:7], -v[8:9]
	scratch_load_b128 v[6:9], off, off offset:544
	v_add_f64 v[196:197], v[196:197], v[186:187]
	v_add_f64 v[194:195], v[194:195], v[188:189]
	ds_load_b128 v[186:189], v1 offset:1136
	s_waitcnt vmcnt(9) lgkmcnt(1)
	v_mul_f64 v[204:205], v[2:3], v[12:13]
	v_mul_f64 v[12:13], v[4:5], v[12:13]
	s_waitcnt vmcnt(8) lgkmcnt(0)
	v_mul_f64 v[198:199], v[186:187], v[16:17]
	v_mul_f64 v[16:17], v[188:189], v[16:17]
	v_add_f64 v[196:197], v[196:197], v[202:203]
	v_add_f64 v[194:195], v[194:195], v[200:201]
	v_fma_f64 v[200:201], v[4:5], v[10:11], v[204:205]
	v_fma_f64 v[202:203], v[2:3], v[10:11], -v[12:13]
	ds_load_b128 v[2:5], v1 offset:1152
	scratch_load_b128 v[10:13], off, off offset:560
	v_fma_f64 v[188:189], v[188:189], v[14:15], v[198:199]
	v_fma_f64 v[186:187], v[186:187], v[14:15], -v[16:17]
	scratch_load_b128 v[14:17], off, off offset:576
	v_add_f64 v[196:197], v[196:197], v[190:191]
	v_add_f64 v[194:195], v[194:195], v[192:193]
	ds_load_b128 v[190:193], v1 offset:1168
	s_waitcnt vmcnt(9) lgkmcnt(1)
	v_mul_f64 v[204:205], v[2:3], v[20:21]
	v_mul_f64 v[20:21], v[4:5], v[20:21]
	;; [unrolled: 18-line block ×6, first 2 shown]
	s_waitcnt vmcnt(8) lgkmcnt(0)
	v_mul_f64 v[198:199], v[190:191], v[16:17]
	v_mul_f64 v[16:17], v[192:193], v[16:17]
	v_add_f64 v[196:197], v[196:197], v[202:203]
	v_add_f64 v[194:195], v[194:195], v[200:201]
	v_fma_f64 v[200:201], v[4:5], v[10:11], v[204:205]
	v_fma_f64 v[202:203], v[2:3], v[10:11], -v[12:13]
	ds_load_b128 v[2:5], v1 offset:1312
	ds_load_b128 v[10:13], v1 offset:1328
	v_fma_f64 v[192:193], v[192:193], v[14:15], v[198:199]
	v_fma_f64 v[14:15], v[190:191], v[14:15], -v[16:17]
	v_add_f64 v[186:187], v[196:197], v[186:187]
	v_add_f64 v[188:189], v[194:195], v[188:189]
	s_waitcnt vmcnt(7) lgkmcnt(1)
	v_mul_f64 v[194:195], v[2:3], v[20:21]
	v_mul_f64 v[20:21], v[4:5], v[20:21]
	s_delay_alu instid0(VALU_DEP_4) | instskip(NEXT) | instid1(VALU_DEP_4)
	v_add_f64 v[16:17], v[186:187], v[202:203]
	v_add_f64 v[186:187], v[188:189], v[200:201]
	s_waitcnt vmcnt(6) lgkmcnt(0)
	v_mul_f64 v[188:189], v[10:11], v[24:25]
	v_mul_f64 v[24:25], v[12:13], v[24:25]
	v_fma_f64 v[190:191], v[4:5], v[18:19], v[194:195]
	v_fma_f64 v[18:19], v[2:3], v[18:19], -v[20:21]
	v_add_f64 v[20:21], v[16:17], v[14:15]
	v_add_f64 v[186:187], v[186:187], v[192:193]
	ds_load_b128 v[2:5], v1 offset:1344
	ds_load_b128 v[14:17], v1 offset:1360
	v_fma_f64 v[12:13], v[12:13], v[22:23], v[188:189]
	v_fma_f64 v[10:11], v[10:11], v[22:23], -v[24:25]
	s_waitcnt vmcnt(5) lgkmcnt(1)
	v_mul_f64 v[192:193], v[2:3], v[28:29]
	v_mul_f64 v[28:29], v[4:5], v[28:29]
	s_waitcnt vmcnt(4) lgkmcnt(0)
	v_mul_f64 v[22:23], v[14:15], v[32:33]
	v_mul_f64 v[24:25], v[16:17], v[32:33]
	v_add_f64 v[18:19], v[20:21], v[18:19]
	v_add_f64 v[20:21], v[186:187], v[190:191]
	v_fma_f64 v[32:33], v[4:5], v[26:27], v[192:193]
	v_fma_f64 v[26:27], v[2:3], v[26:27], -v[28:29]
	v_fma_f64 v[16:17], v[16:17], v[30:31], v[22:23]
	v_fma_f64 v[14:15], v[14:15], v[30:31], -v[24:25]
	v_add_f64 v[18:19], v[18:19], v[10:11]
	v_add_f64 v[20:21], v[20:21], v[12:13]
	ds_load_b128 v[2:5], v1 offset:1376
	ds_load_b128 v[10:13], v1 offset:1392
	s_waitcnt vmcnt(3) lgkmcnt(1)
	v_mul_f64 v[28:29], v[2:3], v[36:37]
	v_mul_f64 v[36:37], v[4:5], v[36:37]
	s_waitcnt vmcnt(2) lgkmcnt(0)
	v_mul_f64 v[22:23], v[10:11], v[40:41]
	v_mul_f64 v[24:25], v[12:13], v[40:41]
	v_add_f64 v[18:19], v[18:19], v[26:27]
	v_add_f64 v[20:21], v[20:21], v[32:33]
	v_fma_f64 v[26:27], v[4:5], v[34:35], v[28:29]
	v_fma_f64 v[28:29], v[2:3], v[34:35], -v[36:37]
	v_fma_f64 v[12:13], v[12:13], v[38:39], v[22:23]
	v_fma_f64 v[10:11], v[10:11], v[38:39], -v[24:25]
	v_add_f64 v[18:19], v[18:19], v[14:15]
	v_add_f64 v[20:21], v[20:21], v[16:17]
	ds_load_b128 v[2:5], v1 offset:1408
	ds_load_b128 v[14:17], v1 offset:1424
	s_waitcnt vmcnt(1) lgkmcnt(1)
	v_mul_f64 v[30:31], v[2:3], v[44:45]
	v_mul_f64 v[32:33], v[4:5], v[44:45]
	s_waitcnt vmcnt(0) lgkmcnt(0)
	v_mul_f64 v[22:23], v[14:15], v[8:9]
	v_mul_f64 v[8:9], v[16:17], v[8:9]
	v_add_f64 v[18:19], v[18:19], v[28:29]
	v_add_f64 v[20:21], v[20:21], v[26:27]
	v_fma_f64 v[4:5], v[4:5], v[42:43], v[30:31]
	v_fma_f64 v[1:2], v[2:3], v[42:43], -v[32:33]
	v_fma_f64 v[16:17], v[16:17], v[6:7], v[22:23]
	v_fma_f64 v[6:7], v[14:15], v[6:7], -v[8:9]
	v_add_f64 v[10:11], v[18:19], v[10:11]
	v_add_f64 v[12:13], v[20:21], v[12:13]
	s_delay_alu instid0(VALU_DEP_2) | instskip(NEXT) | instid1(VALU_DEP_2)
	v_add_f64 v[1:2], v[10:11], v[1:2]
	v_add_f64 v[3:4], v[12:13], v[4:5]
	s_delay_alu instid0(VALU_DEP_2) | instskip(NEXT) | instid1(VALU_DEP_2)
	;; [unrolled: 3-line block ×3, first 2 shown]
	v_add_f64 v[1:2], v[182:183], -v[1:2]
	v_add_f64 v[3:4], v[184:185], -v[3:4]
	scratch_store_b128 off, v[1:4], off offset:32
	v_cmpx_lt_u32_e32 1, v136
	s_cbranch_execz .LBB44_281
; %bb.280:
	scratch_load_b128 v[1:4], v180, off
	v_mov_b32_e32 v5, 0
	s_delay_alu instid0(VALU_DEP_1)
	v_mov_b32_e32 v6, v5
	v_mov_b32_e32 v7, v5
	;; [unrolled: 1-line block ×3, first 2 shown]
	scratch_store_b128 off, v[5:8], off offset:16
	s_waitcnt vmcnt(0)
	ds_store_b128 v181, v[1:4]
.LBB44_281:
	s_or_b32 exec_lo, exec_lo, s2
	s_waitcnt lgkmcnt(0)
	s_waitcnt_vscnt null, 0x0
	s_barrier
	buffer_gl0_inv
	s_clause 0x7
	scratch_load_b128 v[2:5], off, off offset:32
	scratch_load_b128 v[6:9], off, off offset:48
	;; [unrolled: 1-line block ×8, first 2 shown]
	v_mov_b32_e32 v1, 0
	s_mov_b32 s2, exec_lo
	ds_load_b128 v[38:41], v1 offset:752
	s_clause 0x1
	scratch_load_b128 v[34:37], off, off offset:160
	scratch_load_b128 v[42:45], off, off offset:16
	ds_load_b128 v[182:185], v1 offset:768
	scratch_load_b128 v[186:189], off, off offset:176
	s_waitcnt vmcnt(10) lgkmcnt(1)
	v_mul_f64 v[190:191], v[40:41], v[4:5]
	v_mul_f64 v[4:5], v[38:39], v[4:5]
	s_delay_alu instid0(VALU_DEP_2) | instskip(NEXT) | instid1(VALU_DEP_2)
	v_fma_f64 v[196:197], v[38:39], v[2:3], -v[190:191]
	v_fma_f64 v[198:199], v[40:41], v[2:3], v[4:5]
	scratch_load_b128 v[38:41], off, off offset:192
	ds_load_b128 v[2:5], v1 offset:784
	s_waitcnt vmcnt(10) lgkmcnt(1)
	v_mul_f64 v[194:195], v[182:183], v[8:9]
	v_mul_f64 v[8:9], v[184:185], v[8:9]
	ds_load_b128 v[190:193], v1 offset:800
	s_waitcnt vmcnt(9) lgkmcnt(1)
	v_mul_f64 v[200:201], v[2:3], v[12:13]
	v_mul_f64 v[12:13], v[4:5], v[12:13]
	v_fma_f64 v[184:185], v[184:185], v[6:7], v[194:195]
	v_fma_f64 v[182:183], v[182:183], v[6:7], -v[8:9]
	v_add_f64 v[194:195], v[196:197], 0
	v_add_f64 v[196:197], v[198:199], 0
	scratch_load_b128 v[6:9], off, off offset:208
	v_fma_f64 v[200:201], v[4:5], v[10:11], v[200:201]
	v_fma_f64 v[202:203], v[2:3], v[10:11], -v[12:13]
	scratch_load_b128 v[10:13], off, off offset:224
	ds_load_b128 v[2:5], v1 offset:816
	s_waitcnt vmcnt(10) lgkmcnt(1)
	v_mul_f64 v[198:199], v[190:191], v[16:17]
	v_mul_f64 v[16:17], v[192:193], v[16:17]
	v_add_f64 v[194:195], v[194:195], v[182:183]
	v_add_f64 v[196:197], v[196:197], v[184:185]
	s_waitcnt vmcnt(9) lgkmcnt(0)
	v_mul_f64 v[204:205], v[2:3], v[20:21]
	v_mul_f64 v[20:21], v[4:5], v[20:21]
	ds_load_b128 v[182:185], v1 offset:832
	v_fma_f64 v[192:193], v[192:193], v[14:15], v[198:199]
	v_fma_f64 v[190:191], v[190:191], v[14:15], -v[16:17]
	scratch_load_b128 v[14:17], off, off offset:240
	v_add_f64 v[194:195], v[194:195], v[202:203]
	v_add_f64 v[196:197], v[196:197], v[200:201]
	v_fma_f64 v[200:201], v[4:5], v[18:19], v[204:205]
	v_fma_f64 v[202:203], v[2:3], v[18:19], -v[20:21]
	scratch_load_b128 v[18:21], off, off offset:256
	ds_load_b128 v[2:5], v1 offset:848
	s_waitcnt vmcnt(10) lgkmcnt(1)
	v_mul_f64 v[198:199], v[182:183], v[24:25]
	v_mul_f64 v[24:25], v[184:185], v[24:25]
	s_waitcnt vmcnt(9) lgkmcnt(0)
	v_mul_f64 v[204:205], v[2:3], v[28:29]
	v_mul_f64 v[28:29], v[4:5], v[28:29]
	v_add_f64 v[194:195], v[194:195], v[190:191]
	v_add_f64 v[196:197], v[196:197], v[192:193]
	ds_load_b128 v[190:193], v1 offset:864
	v_fma_f64 v[184:185], v[184:185], v[22:23], v[198:199]
	v_fma_f64 v[182:183], v[182:183], v[22:23], -v[24:25]
	scratch_load_b128 v[22:25], off, off offset:272
	v_add_f64 v[194:195], v[194:195], v[202:203]
	v_add_f64 v[196:197], v[196:197], v[200:201]
	v_fma_f64 v[200:201], v[4:5], v[26:27], v[204:205]
	v_fma_f64 v[202:203], v[2:3], v[26:27], -v[28:29]
	scratch_load_b128 v[26:29], off, off offset:288
	ds_load_b128 v[2:5], v1 offset:880
	s_waitcnt vmcnt(10) lgkmcnt(1)
	v_mul_f64 v[198:199], v[190:191], v[32:33]
	v_mul_f64 v[32:33], v[192:193], v[32:33]
	s_waitcnt vmcnt(9) lgkmcnt(0)
	v_mul_f64 v[204:205], v[2:3], v[36:37]
	v_mul_f64 v[36:37], v[4:5], v[36:37]
	v_add_f64 v[194:195], v[194:195], v[182:183]
	v_add_f64 v[196:197], v[196:197], v[184:185]
	ds_load_b128 v[182:185], v1 offset:896
	v_fma_f64 v[192:193], v[192:193], v[30:31], v[198:199]
	v_fma_f64 v[190:191], v[190:191], v[30:31], -v[32:33]
	scratch_load_b128 v[30:33], off, off offset:304
	v_add_f64 v[194:195], v[194:195], v[202:203]
	v_add_f64 v[196:197], v[196:197], v[200:201]
	v_fma_f64 v[202:203], v[4:5], v[34:35], v[204:205]
	v_fma_f64 v[204:205], v[2:3], v[34:35], -v[36:37]
	scratch_load_b128 v[34:37], off, off offset:320
	ds_load_b128 v[2:5], v1 offset:912
	s_waitcnt vmcnt(9) lgkmcnt(1)
	v_mul_f64 v[198:199], v[182:183], v[188:189]
	v_mul_f64 v[200:201], v[184:185], v[188:189]
	v_add_f64 v[194:195], v[194:195], v[190:191]
	v_add_f64 v[192:193], v[196:197], v[192:193]
	ds_load_b128 v[188:191], v1 offset:928
	v_fma_f64 v[198:199], v[184:185], v[186:187], v[198:199]
	v_fma_f64 v[186:187], v[182:183], v[186:187], -v[200:201]
	scratch_load_b128 v[182:185], off, off offset:336
	s_waitcnt vmcnt(9) lgkmcnt(1)
	v_mul_f64 v[196:197], v[2:3], v[40:41]
	v_mul_f64 v[40:41], v[4:5], v[40:41]
	v_add_f64 v[194:195], v[194:195], v[204:205]
	v_add_f64 v[192:193], v[192:193], v[202:203]
	s_delay_alu instid0(VALU_DEP_4) | instskip(NEXT) | instid1(VALU_DEP_4)
	v_fma_f64 v[196:197], v[4:5], v[38:39], v[196:197]
	v_fma_f64 v[202:203], v[2:3], v[38:39], -v[40:41]
	scratch_load_b128 v[38:41], off, off offset:352
	ds_load_b128 v[2:5], v1 offset:944
	s_waitcnt vmcnt(9) lgkmcnt(1)
	v_mul_f64 v[200:201], v[188:189], v[8:9]
	v_mul_f64 v[8:9], v[190:191], v[8:9]
	s_waitcnt vmcnt(8) lgkmcnt(0)
	v_mul_f64 v[204:205], v[2:3], v[12:13]
	v_mul_f64 v[12:13], v[4:5], v[12:13]
	v_add_f64 v[186:187], v[194:195], v[186:187]
	v_add_f64 v[198:199], v[192:193], v[198:199]
	ds_load_b128 v[192:195], v1 offset:960
	v_fma_f64 v[190:191], v[190:191], v[6:7], v[200:201]
	v_fma_f64 v[188:189], v[188:189], v[6:7], -v[8:9]
	scratch_load_b128 v[6:9], off, off offset:368
	v_fma_f64 v[200:201], v[4:5], v[10:11], v[204:205]
	v_add_f64 v[186:187], v[186:187], v[202:203]
	v_add_f64 v[196:197], v[198:199], v[196:197]
	v_fma_f64 v[202:203], v[2:3], v[10:11], -v[12:13]
	scratch_load_b128 v[10:13], off, off offset:384
	ds_load_b128 v[2:5], v1 offset:976
	s_waitcnt vmcnt(9) lgkmcnt(1)
	v_mul_f64 v[198:199], v[192:193], v[16:17]
	v_mul_f64 v[16:17], v[194:195], v[16:17]
	v_add_f64 v[204:205], v[186:187], v[188:189]
	v_add_f64 v[190:191], v[196:197], v[190:191]
	s_waitcnt vmcnt(8) lgkmcnt(0)
	v_mul_f64 v[196:197], v[2:3], v[20:21]
	v_mul_f64 v[20:21], v[4:5], v[20:21]
	ds_load_b128 v[186:189], v1 offset:992
	v_fma_f64 v[194:195], v[194:195], v[14:15], v[198:199]
	v_fma_f64 v[192:193], v[192:193], v[14:15], -v[16:17]
	scratch_load_b128 v[14:17], off, off offset:400
	v_add_f64 v[198:199], v[204:205], v[202:203]
	v_add_f64 v[190:191], v[190:191], v[200:201]
	v_fma_f64 v[196:197], v[4:5], v[18:19], v[196:197]
	v_fma_f64 v[202:203], v[2:3], v[18:19], -v[20:21]
	scratch_load_b128 v[18:21], off, off offset:416
	ds_load_b128 v[2:5], v1 offset:1008
	s_waitcnt vmcnt(9) lgkmcnt(1)
	v_mul_f64 v[200:201], v[186:187], v[24:25]
	v_mul_f64 v[24:25], v[188:189], v[24:25]
	s_waitcnt vmcnt(8) lgkmcnt(0)
	v_mul_f64 v[204:205], v[2:3], v[28:29]
	v_mul_f64 v[28:29], v[4:5], v[28:29]
	v_add_f64 v[198:199], v[198:199], v[192:193]
	v_add_f64 v[194:195], v[190:191], v[194:195]
	ds_load_b128 v[190:193], v1 offset:1024
	v_fma_f64 v[188:189], v[188:189], v[22:23], v[200:201]
	v_fma_f64 v[186:187], v[186:187], v[22:23], -v[24:25]
	scratch_load_b128 v[22:25], off, off offset:432
	v_fma_f64 v[200:201], v[4:5], v[26:27], v[204:205]
	v_add_f64 v[198:199], v[198:199], v[202:203]
	v_add_f64 v[194:195], v[194:195], v[196:197]
	v_fma_f64 v[202:203], v[2:3], v[26:27], -v[28:29]
	scratch_load_b128 v[26:29], off, off offset:448
	ds_load_b128 v[2:5], v1 offset:1040
	s_waitcnt vmcnt(9) lgkmcnt(1)
	v_mul_f64 v[196:197], v[190:191], v[32:33]
	v_mul_f64 v[32:33], v[192:193], v[32:33]
	s_waitcnt vmcnt(8) lgkmcnt(0)
	v_mul_f64 v[204:205], v[2:3], v[36:37]
	v_mul_f64 v[36:37], v[4:5], v[36:37]
	v_add_f64 v[198:199], v[198:199], v[186:187]
	v_add_f64 v[194:195], v[194:195], v[188:189]
	ds_load_b128 v[186:189], v1 offset:1056
	v_fma_f64 v[192:193], v[192:193], v[30:31], v[196:197]
	v_fma_f64 v[190:191], v[190:191], v[30:31], -v[32:33]
	scratch_load_b128 v[30:33], off, off offset:464
	v_add_f64 v[196:197], v[198:199], v[202:203]
	v_add_f64 v[194:195], v[194:195], v[200:201]
	v_fma_f64 v[200:201], v[4:5], v[34:35], v[204:205]
	v_fma_f64 v[202:203], v[2:3], v[34:35], -v[36:37]
	scratch_load_b128 v[34:37], off, off offset:480
	ds_load_b128 v[2:5], v1 offset:1072
	s_waitcnt vmcnt(9) lgkmcnt(1)
	v_mul_f64 v[198:199], v[186:187], v[184:185]
	v_mul_f64 v[184:185], v[188:189], v[184:185]
	s_waitcnt vmcnt(8) lgkmcnt(0)
	v_mul_f64 v[204:205], v[2:3], v[40:41]
	v_mul_f64 v[40:41], v[4:5], v[40:41]
	v_add_f64 v[196:197], v[196:197], v[190:191]
	v_add_f64 v[194:195], v[194:195], v[192:193]
	ds_load_b128 v[190:193], v1 offset:1088
	v_fma_f64 v[188:189], v[188:189], v[182:183], v[198:199]
	v_fma_f64 v[186:187], v[186:187], v[182:183], -v[184:185]
	scratch_load_b128 v[182:185], off, off offset:496
	v_add_f64 v[196:197], v[196:197], v[202:203]
	v_add_f64 v[194:195], v[194:195], v[200:201]
	v_fma_f64 v[200:201], v[4:5], v[38:39], v[204:205]
	;; [unrolled: 18-line block ×6, first 2 shown]
	v_fma_f64 v[204:205], v[2:3], v[34:35], -v[36:37]
	scratch_load_b128 v[34:37], off, off offset:640
	ds_load_b128 v[2:5], v1 offset:1232
	s_waitcnt vmcnt(9) lgkmcnt(1)
	v_mul_f64 v[198:199], v[190:191], v[184:185]
	v_mul_f64 v[200:201], v[192:193], v[184:185]
	v_add_f64 v[196:197], v[196:197], v[186:187]
	v_add_f64 v[188:189], v[194:195], v[188:189]
	s_waitcnt vmcnt(8) lgkmcnt(0)
	v_mul_f64 v[194:195], v[2:3], v[40:41]
	v_mul_f64 v[40:41], v[4:5], v[40:41]
	ds_load_b128 v[184:187], v1 offset:1248
	v_fma_f64 v[192:193], v[192:193], v[182:183], v[198:199]
	v_fma_f64 v[182:183], v[190:191], v[182:183], -v[200:201]
	v_add_f64 v[196:197], v[196:197], v[204:205]
	v_add_f64 v[198:199], v[188:189], v[202:203]
	scratch_load_b128 v[188:191], off, off offset:656
	v_fma_f64 v[202:203], v[4:5], v[38:39], v[194:195]
	v_fma_f64 v[204:205], v[2:3], v[38:39], -v[40:41]
	scratch_load_b128 v[38:41], off, off offset:672
	ds_load_b128 v[2:5], v1 offset:1264
	s_waitcnt vmcnt(9) lgkmcnt(1)
	v_mul_f64 v[200:201], v[184:185], v[8:9]
	v_mul_f64 v[8:9], v[186:187], v[8:9]
	v_add_f64 v[182:183], v[196:197], v[182:183]
	v_add_f64 v[196:197], v[198:199], v[192:193]
	s_waitcnt vmcnt(8) lgkmcnt(0)
	v_mul_f64 v[198:199], v[2:3], v[12:13]
	v_mul_f64 v[12:13], v[4:5], v[12:13]
	ds_load_b128 v[192:195], v1 offset:1280
	v_fma_f64 v[186:187], v[186:187], v[6:7], v[200:201]
	v_fma_f64 v[184:185], v[184:185], v[6:7], -v[8:9]
	scratch_load_b128 v[6:9], off, off offset:688
	v_add_f64 v[182:183], v[182:183], v[204:205]
	v_add_f64 v[196:197], v[196:197], v[202:203]
	v_fma_f64 v[198:199], v[4:5], v[10:11], v[198:199]
	v_fma_f64 v[202:203], v[2:3], v[10:11], -v[12:13]
	scratch_load_b128 v[10:13], off, off offset:704
	ds_load_b128 v[2:5], v1 offset:1296
	s_waitcnt vmcnt(9) lgkmcnt(1)
	v_mul_f64 v[200:201], v[192:193], v[16:17]
	v_mul_f64 v[16:17], v[194:195], v[16:17]
	v_add_f64 v[204:205], v[182:183], v[184:185]
	v_add_f64 v[186:187], v[196:197], v[186:187]
	s_waitcnt vmcnt(8) lgkmcnt(0)
	v_mul_f64 v[196:197], v[2:3], v[20:21]
	v_mul_f64 v[20:21], v[4:5], v[20:21]
	ds_load_b128 v[182:185], v1 offset:1312
	v_fma_f64 v[194:195], v[194:195], v[14:15], v[200:201]
	v_fma_f64 v[14:15], v[192:193], v[14:15], -v[16:17]
	s_waitcnt vmcnt(7) lgkmcnt(0)
	v_mul_f64 v[192:193], v[182:183], v[24:25]
	v_mul_f64 v[24:25], v[184:185], v[24:25]
	v_add_f64 v[16:17], v[204:205], v[202:203]
	v_add_f64 v[186:187], v[186:187], v[198:199]
	v_fma_f64 v[196:197], v[4:5], v[18:19], v[196:197]
	v_fma_f64 v[18:19], v[2:3], v[18:19], -v[20:21]
	v_fma_f64 v[184:185], v[184:185], v[22:23], v[192:193]
	v_fma_f64 v[22:23], v[182:183], v[22:23], -v[24:25]
	v_add_f64 v[20:21], v[16:17], v[14:15]
	v_add_f64 v[186:187], v[186:187], v[194:195]
	ds_load_b128 v[2:5], v1 offset:1328
	ds_load_b128 v[14:17], v1 offset:1344
	s_waitcnt vmcnt(6) lgkmcnt(1)
	v_mul_f64 v[194:195], v[2:3], v[28:29]
	v_mul_f64 v[28:29], v[4:5], v[28:29]
	s_waitcnt vmcnt(5) lgkmcnt(0)
	v_mul_f64 v[24:25], v[14:15], v[32:33]
	v_mul_f64 v[32:33], v[16:17], v[32:33]
	v_add_f64 v[18:19], v[20:21], v[18:19]
	v_add_f64 v[20:21], v[186:187], v[196:197]
	v_fma_f64 v[182:183], v[4:5], v[26:27], v[194:195]
	v_fma_f64 v[26:27], v[2:3], v[26:27], -v[28:29]
	v_fma_f64 v[16:17], v[16:17], v[30:31], v[24:25]
	v_fma_f64 v[14:15], v[14:15], v[30:31], -v[32:33]
	v_add_f64 v[22:23], v[18:19], v[22:23]
	v_add_f64 v[28:29], v[20:21], v[184:185]
	ds_load_b128 v[2:5], v1 offset:1360
	ds_load_b128 v[18:21], v1 offset:1376
	s_waitcnt vmcnt(4) lgkmcnt(1)
	v_mul_f64 v[184:185], v[2:3], v[36:37]
	v_mul_f64 v[36:37], v[4:5], v[36:37]
	v_add_f64 v[22:23], v[22:23], v[26:27]
	v_add_f64 v[24:25], v[28:29], v[182:183]
	s_waitcnt vmcnt(3) lgkmcnt(0)
	v_mul_f64 v[26:27], v[18:19], v[190:191]
	v_mul_f64 v[28:29], v[20:21], v[190:191]
	v_fma_f64 v[30:31], v[4:5], v[34:35], v[184:185]
	v_fma_f64 v[32:33], v[2:3], v[34:35], -v[36:37]
	v_add_f64 v[22:23], v[22:23], v[14:15]
	v_add_f64 v[24:25], v[24:25], v[16:17]
	ds_load_b128 v[2:5], v1 offset:1392
	ds_load_b128 v[14:17], v1 offset:1408
	v_fma_f64 v[20:21], v[20:21], v[188:189], v[26:27]
	v_fma_f64 v[18:19], v[18:19], v[188:189], -v[28:29]
	s_waitcnt vmcnt(2) lgkmcnt(1)
	v_mul_f64 v[34:35], v[2:3], v[40:41]
	v_mul_f64 v[36:37], v[4:5], v[40:41]
	s_waitcnt vmcnt(1) lgkmcnt(0)
	v_mul_f64 v[26:27], v[14:15], v[8:9]
	v_mul_f64 v[8:9], v[16:17], v[8:9]
	v_add_f64 v[22:23], v[22:23], v[32:33]
	v_add_f64 v[24:25], v[24:25], v[30:31]
	v_fma_f64 v[28:29], v[4:5], v[38:39], v[34:35]
	v_fma_f64 v[30:31], v[2:3], v[38:39], -v[36:37]
	ds_load_b128 v[2:5], v1 offset:1424
	v_fma_f64 v[16:17], v[16:17], v[6:7], v[26:27]
	v_fma_f64 v[6:7], v[14:15], v[6:7], -v[8:9]
	v_add_f64 v[18:19], v[22:23], v[18:19]
	v_add_f64 v[20:21], v[24:25], v[20:21]
	s_waitcnt vmcnt(0) lgkmcnt(0)
	v_mul_f64 v[22:23], v[2:3], v[12:13]
	v_mul_f64 v[12:13], v[4:5], v[12:13]
	s_delay_alu instid0(VALU_DEP_4) | instskip(NEXT) | instid1(VALU_DEP_4)
	v_add_f64 v[8:9], v[18:19], v[30:31]
	v_add_f64 v[14:15], v[20:21], v[28:29]
	s_delay_alu instid0(VALU_DEP_4) | instskip(NEXT) | instid1(VALU_DEP_4)
	v_fma_f64 v[4:5], v[4:5], v[10:11], v[22:23]
	v_fma_f64 v[2:3], v[2:3], v[10:11], -v[12:13]
	s_delay_alu instid0(VALU_DEP_4) | instskip(NEXT) | instid1(VALU_DEP_4)
	v_add_f64 v[6:7], v[8:9], v[6:7]
	v_add_f64 v[8:9], v[14:15], v[16:17]
	s_delay_alu instid0(VALU_DEP_2) | instskip(NEXT) | instid1(VALU_DEP_2)
	v_add_f64 v[2:3], v[6:7], v[2:3]
	v_add_f64 v[4:5], v[8:9], v[4:5]
	s_delay_alu instid0(VALU_DEP_2) | instskip(NEXT) | instid1(VALU_DEP_2)
	v_add_f64 v[2:3], v[42:43], -v[2:3]
	v_add_f64 v[4:5], v[44:45], -v[4:5]
	scratch_store_b128 off, v[2:5], off offset:16
	v_cmpx_ne_u32_e32 0, v136
	s_cbranch_execz .LBB44_283
; %bb.282:
	scratch_load_b128 v[5:8], off, off
	v_mov_b32_e32 v2, v1
	v_mov_b32_e32 v3, v1
	;; [unrolled: 1-line block ×3, first 2 shown]
	scratch_store_b128 off, v[1:4], off
	s_waitcnt vmcnt(0)
	ds_store_b128 v181, v[5:8]
.LBB44_283:
	s_or_b32 exec_lo, exec_lo, s2
	s_waitcnt lgkmcnt(0)
	s_waitcnt_vscnt null, 0x0
	s_barrier
	buffer_gl0_inv
	s_clause 0x8
	scratch_load_b128 v[2:5], off, off offset:16
	scratch_load_b128 v[6:9], off, off offset:32
	;; [unrolled: 1-line block ×9, first 2 shown]
	ds_load_b128 v[42:45], v1 offset:736
	ds_load_b128 v[38:41], v1 offset:752
	s_clause 0x1
	scratch_load_b128 v[181:184], off, off
	scratch_load_b128 v[185:188], off, off offset:160
	s_and_b32 vcc_lo, exec_lo, s20
	s_waitcnt vmcnt(10) lgkmcnt(1)
	v_mul_f64 v[189:190], v[44:45], v[4:5]
	v_mul_f64 v[4:5], v[42:43], v[4:5]
	s_waitcnt vmcnt(9) lgkmcnt(0)
	v_mul_f64 v[193:194], v[38:39], v[8:9]
	v_mul_f64 v[8:9], v[40:41], v[8:9]
	s_delay_alu instid0(VALU_DEP_4) | instskip(NEXT) | instid1(VALU_DEP_4)
	v_fma_f64 v[195:196], v[42:43], v[2:3], -v[189:190]
	v_fma_f64 v[197:198], v[44:45], v[2:3], v[4:5]
	ds_load_b128 v[2:5], v1 offset:768
	ds_load_b128 v[189:192], v1 offset:784
	scratch_load_b128 v[42:45], off, off offset:176
	v_fma_f64 v[40:41], v[40:41], v[6:7], v[193:194]
	v_fma_f64 v[38:39], v[38:39], v[6:7], -v[8:9]
	scratch_load_b128 v[6:9], off, off offset:192
	s_waitcnt vmcnt(10) lgkmcnt(1)
	v_mul_f64 v[199:200], v[2:3], v[12:13]
	v_mul_f64 v[12:13], v[4:5], v[12:13]
	v_add_f64 v[193:194], v[195:196], 0
	v_add_f64 v[195:196], v[197:198], 0
	s_waitcnt vmcnt(9) lgkmcnt(0)
	v_mul_f64 v[197:198], v[189:190], v[16:17]
	v_mul_f64 v[16:17], v[191:192], v[16:17]
	v_fma_f64 v[199:200], v[4:5], v[10:11], v[199:200]
	v_fma_f64 v[201:202], v[2:3], v[10:11], -v[12:13]
	ds_load_b128 v[2:5], v1 offset:800
	scratch_load_b128 v[10:13], off, off offset:208
	v_add_f64 v[193:194], v[193:194], v[38:39]
	v_add_f64 v[195:196], v[195:196], v[40:41]
	ds_load_b128 v[38:41], v1 offset:816
	v_fma_f64 v[191:192], v[191:192], v[14:15], v[197:198]
	v_fma_f64 v[189:190], v[189:190], v[14:15], -v[16:17]
	scratch_load_b128 v[14:17], off, off offset:224
	s_waitcnt vmcnt(10) lgkmcnt(1)
	v_mul_f64 v[203:204], v[2:3], v[20:21]
	v_mul_f64 v[20:21], v[4:5], v[20:21]
	s_waitcnt vmcnt(9) lgkmcnt(0)
	v_mul_f64 v[197:198], v[38:39], v[24:25]
	v_mul_f64 v[24:25], v[40:41], v[24:25]
	v_add_f64 v[193:194], v[193:194], v[201:202]
	v_add_f64 v[195:196], v[195:196], v[199:200]
	v_fma_f64 v[199:200], v[4:5], v[18:19], v[203:204]
	v_fma_f64 v[201:202], v[2:3], v[18:19], -v[20:21]
	ds_load_b128 v[2:5], v1 offset:832
	scratch_load_b128 v[18:21], off, off offset:240
	v_fma_f64 v[40:41], v[40:41], v[22:23], v[197:198]
	v_fma_f64 v[38:39], v[38:39], v[22:23], -v[24:25]
	scratch_load_b128 v[22:25], off, off offset:256
	v_add_f64 v[193:194], v[193:194], v[189:190]
	v_add_f64 v[195:196], v[195:196], v[191:192]
	ds_load_b128 v[189:192], v1 offset:848
	s_waitcnt vmcnt(10) lgkmcnt(1)
	v_mul_f64 v[203:204], v[2:3], v[28:29]
	v_mul_f64 v[28:29], v[4:5], v[28:29]
	s_waitcnt vmcnt(9) lgkmcnt(0)
	v_mul_f64 v[197:198], v[189:190], v[32:33]
	v_mul_f64 v[32:33], v[191:192], v[32:33]
	v_add_f64 v[193:194], v[193:194], v[201:202]
	v_add_f64 v[195:196], v[195:196], v[199:200]
	v_fma_f64 v[199:200], v[4:5], v[26:27], v[203:204]
	v_fma_f64 v[201:202], v[2:3], v[26:27], -v[28:29]
	ds_load_b128 v[2:5], v1 offset:864
	scratch_load_b128 v[26:29], off, off offset:272
	v_fma_f64 v[191:192], v[191:192], v[30:31], v[197:198]
	v_fma_f64 v[189:190], v[189:190], v[30:31], -v[32:33]
	scratch_load_b128 v[30:33], off, off offset:288
	v_add_f64 v[193:194], v[193:194], v[38:39]
	v_add_f64 v[195:196], v[195:196], v[40:41]
	ds_load_b128 v[38:41], v1 offset:880
	s_waitcnt vmcnt(10) lgkmcnt(1)
	v_mul_f64 v[203:204], v[2:3], v[36:37]
	v_mul_f64 v[36:37], v[4:5], v[36:37]
	s_waitcnt vmcnt(8) lgkmcnt(0)
	v_mul_f64 v[197:198], v[38:39], v[187:188]
	v_add_f64 v[193:194], v[193:194], v[201:202]
	v_add_f64 v[195:196], v[195:196], v[199:200]
	v_mul_f64 v[199:200], v[40:41], v[187:188]
	v_fma_f64 v[201:202], v[4:5], v[34:35], v[203:204]
	v_fma_f64 v[203:204], v[2:3], v[34:35], -v[36:37]
	ds_load_b128 v[2:5], v1 offset:896
	scratch_load_b128 v[34:37], off, off offset:304
	v_fma_f64 v[197:198], v[40:41], v[185:186], v[197:198]
	v_add_f64 v[193:194], v[193:194], v[189:190]
	v_add_f64 v[191:192], v[195:196], v[191:192]
	ds_load_b128 v[187:190], v1 offset:912
	v_fma_f64 v[185:186], v[38:39], v[185:186], -v[199:200]
	scratch_load_b128 v[38:41], off, off offset:320
	s_waitcnt vmcnt(9) lgkmcnt(1)
	v_mul_f64 v[195:196], v[2:3], v[44:45]
	v_mul_f64 v[44:45], v[4:5], v[44:45]
	s_waitcnt vmcnt(8) lgkmcnt(0)
	v_mul_f64 v[199:200], v[187:188], v[8:9]
	v_mul_f64 v[8:9], v[189:190], v[8:9]
	v_add_f64 v[193:194], v[193:194], v[203:204]
	v_add_f64 v[191:192], v[191:192], v[201:202]
	v_fma_f64 v[195:196], v[4:5], v[42:43], v[195:196]
	v_fma_f64 v[201:202], v[2:3], v[42:43], -v[44:45]
	ds_load_b128 v[2:5], v1 offset:928
	scratch_load_b128 v[42:45], off, off offset:336
	v_fma_f64 v[189:190], v[189:190], v[6:7], v[199:200]
	v_fma_f64 v[187:188], v[187:188], v[6:7], -v[8:9]
	scratch_load_b128 v[6:9], off, off offset:352
	v_add_f64 v[185:186], v[193:194], v[185:186]
	v_add_f64 v[197:198], v[191:192], v[197:198]
	ds_load_b128 v[191:194], v1 offset:944
	s_waitcnt vmcnt(9) lgkmcnt(1)
	v_mul_f64 v[203:204], v[2:3], v[12:13]
	v_mul_f64 v[12:13], v[4:5], v[12:13]
	v_add_f64 v[185:186], v[185:186], v[201:202]
	v_add_f64 v[195:196], v[197:198], v[195:196]
	s_waitcnt vmcnt(8) lgkmcnt(0)
	v_mul_f64 v[197:198], v[191:192], v[16:17]
	v_mul_f64 v[16:17], v[193:194], v[16:17]
	v_fma_f64 v[199:200], v[4:5], v[10:11], v[203:204]
	v_fma_f64 v[201:202], v[2:3], v[10:11], -v[12:13]
	ds_load_b128 v[2:5], v1 offset:960
	scratch_load_b128 v[10:13], off, off offset:368
	v_add_f64 v[203:204], v[185:186], v[187:188]
	v_add_f64 v[189:190], v[195:196], v[189:190]
	ds_load_b128 v[185:188], v1 offset:976
	s_waitcnt vmcnt(8) lgkmcnt(1)
	v_mul_f64 v[195:196], v[2:3], v[20:21]
	v_mul_f64 v[20:21], v[4:5], v[20:21]
	v_fma_f64 v[193:194], v[193:194], v[14:15], v[197:198]
	v_fma_f64 v[191:192], v[191:192], v[14:15], -v[16:17]
	scratch_load_b128 v[14:17], off, off offset:384
	v_add_f64 v[197:198], v[203:204], v[201:202]
	v_add_f64 v[189:190], v[189:190], v[199:200]
	s_waitcnt vmcnt(8) lgkmcnt(0)
	v_mul_f64 v[199:200], v[185:186], v[24:25]
	v_mul_f64 v[24:25], v[187:188], v[24:25]
	v_fma_f64 v[195:196], v[4:5], v[18:19], v[195:196]
	v_fma_f64 v[201:202], v[2:3], v[18:19], -v[20:21]
	ds_load_b128 v[2:5], v1 offset:992
	scratch_load_b128 v[18:21], off, off offset:400
	v_add_f64 v[197:198], v[197:198], v[191:192]
	v_add_f64 v[193:194], v[189:190], v[193:194]
	ds_load_b128 v[189:192], v1 offset:1008
	s_waitcnt vmcnt(8) lgkmcnt(1)
	v_mul_f64 v[203:204], v[2:3], v[28:29]
	v_mul_f64 v[28:29], v[4:5], v[28:29]
	v_fma_f64 v[187:188], v[187:188], v[22:23], v[199:200]
	v_fma_f64 v[185:186], v[185:186], v[22:23], -v[24:25]
	scratch_load_b128 v[22:25], off, off offset:416
	v_add_f64 v[197:198], v[197:198], v[201:202]
	v_add_f64 v[193:194], v[193:194], v[195:196]
	s_waitcnt vmcnt(8) lgkmcnt(0)
	v_mul_f64 v[195:196], v[189:190], v[32:33]
	v_mul_f64 v[32:33], v[191:192], v[32:33]
	v_fma_f64 v[199:200], v[4:5], v[26:27], v[203:204]
	v_fma_f64 v[201:202], v[2:3], v[26:27], -v[28:29]
	ds_load_b128 v[2:5], v1 offset:1024
	scratch_load_b128 v[26:29], off, off offset:432
	v_add_f64 v[197:198], v[197:198], v[185:186]
	v_add_f64 v[193:194], v[193:194], v[187:188]
	ds_load_b128 v[185:188], v1 offset:1040
	s_waitcnt vmcnt(8) lgkmcnt(1)
	v_mul_f64 v[203:204], v[2:3], v[36:37]
	v_mul_f64 v[36:37], v[4:5], v[36:37]
	v_fma_f64 v[191:192], v[191:192], v[30:31], v[195:196]
	v_fma_f64 v[189:190], v[189:190], v[30:31], -v[32:33]
	scratch_load_b128 v[30:33], off, off offset:448
	v_add_f64 v[195:196], v[197:198], v[201:202]
	v_add_f64 v[193:194], v[193:194], v[199:200]
	s_waitcnt vmcnt(8) lgkmcnt(0)
	v_mul_f64 v[197:198], v[185:186], v[40:41]
	v_mul_f64 v[40:41], v[187:188], v[40:41]
	v_fma_f64 v[199:200], v[4:5], v[34:35], v[203:204]
	v_fma_f64 v[201:202], v[2:3], v[34:35], -v[36:37]
	ds_load_b128 v[2:5], v1 offset:1056
	scratch_load_b128 v[34:37], off, off offset:464
	v_add_f64 v[195:196], v[195:196], v[189:190]
	v_add_f64 v[193:194], v[193:194], v[191:192]
	ds_load_b128 v[189:192], v1 offset:1072
	s_waitcnt vmcnt(8) lgkmcnt(1)
	v_mul_f64 v[203:204], v[2:3], v[44:45]
	v_mul_f64 v[44:45], v[4:5], v[44:45]
	v_fma_f64 v[187:188], v[187:188], v[38:39], v[197:198]
	v_fma_f64 v[185:186], v[185:186], v[38:39], -v[40:41]
	scratch_load_b128 v[38:41], off, off offset:480
	s_waitcnt vmcnt(8) lgkmcnt(0)
	v_mul_f64 v[197:198], v[189:190], v[8:9]
	v_mul_f64 v[8:9], v[191:192], v[8:9]
	v_add_f64 v[195:196], v[195:196], v[201:202]
	v_add_f64 v[193:194], v[193:194], v[199:200]
	v_fma_f64 v[199:200], v[4:5], v[42:43], v[203:204]
	v_fma_f64 v[201:202], v[2:3], v[42:43], -v[44:45]
	ds_load_b128 v[2:5], v1 offset:1088
	scratch_load_b128 v[42:45], off, off offset:496
	v_fma_f64 v[191:192], v[191:192], v[6:7], v[197:198]
	v_fma_f64 v[189:190], v[189:190], v[6:7], -v[8:9]
	scratch_load_b128 v[6:9], off, off offset:512
	v_add_f64 v[195:196], v[195:196], v[185:186]
	v_add_f64 v[193:194], v[193:194], v[187:188]
	ds_load_b128 v[185:188], v1 offset:1104
	s_waitcnt vmcnt(9) lgkmcnt(1)
	v_mul_f64 v[203:204], v[2:3], v[12:13]
	v_mul_f64 v[12:13], v[4:5], v[12:13]
	s_waitcnt vmcnt(8) lgkmcnt(0)
	v_mul_f64 v[197:198], v[185:186], v[16:17]
	v_mul_f64 v[16:17], v[187:188], v[16:17]
	v_add_f64 v[195:196], v[195:196], v[201:202]
	v_add_f64 v[193:194], v[193:194], v[199:200]
	v_fma_f64 v[199:200], v[4:5], v[10:11], v[203:204]
	v_fma_f64 v[201:202], v[2:3], v[10:11], -v[12:13]
	ds_load_b128 v[2:5], v1 offset:1120
	scratch_load_b128 v[10:13], off, off offset:528
	v_fma_f64 v[187:188], v[187:188], v[14:15], v[197:198]
	v_fma_f64 v[185:186], v[185:186], v[14:15], -v[16:17]
	scratch_load_b128 v[14:17], off, off offset:544
	v_add_f64 v[195:196], v[195:196], v[189:190]
	v_add_f64 v[193:194], v[193:194], v[191:192]
	ds_load_b128 v[189:192], v1 offset:1136
	s_waitcnt vmcnt(9) lgkmcnt(1)
	v_mul_f64 v[203:204], v[2:3], v[20:21]
	v_mul_f64 v[20:21], v[4:5], v[20:21]
	;; [unrolled: 18-line block ×7, first 2 shown]
	s_waitcnt vmcnt(8) lgkmcnt(0)
	v_mul_f64 v[197:198], v[185:186], v[24:25]
	v_mul_f64 v[24:25], v[187:188], v[24:25]
	v_add_f64 v[195:196], v[195:196], v[201:202]
	v_add_f64 v[193:194], v[193:194], v[199:200]
	v_fma_f64 v[199:200], v[4:5], v[18:19], v[203:204]
	v_fma_f64 v[201:202], v[2:3], v[18:19], -v[20:21]
	ds_load_b128 v[2:5], v1 offset:1312
	ds_load_b128 v[18:21], v1 offset:1328
	v_fma_f64 v[187:188], v[187:188], v[22:23], v[197:198]
	v_fma_f64 v[22:23], v[185:186], v[22:23], -v[24:25]
	v_add_f64 v[189:190], v[195:196], v[189:190]
	v_add_f64 v[191:192], v[193:194], v[191:192]
	s_waitcnt vmcnt(7) lgkmcnt(1)
	v_mul_f64 v[193:194], v[2:3], v[28:29]
	v_mul_f64 v[28:29], v[4:5], v[28:29]
	s_delay_alu instid0(VALU_DEP_4) | instskip(NEXT) | instid1(VALU_DEP_4)
	v_add_f64 v[24:25], v[189:190], v[201:202]
	v_add_f64 v[185:186], v[191:192], v[199:200]
	s_waitcnt vmcnt(6) lgkmcnt(0)
	v_mul_f64 v[189:190], v[18:19], v[32:33]
	v_mul_f64 v[32:33], v[20:21], v[32:33]
	v_fma_f64 v[191:192], v[4:5], v[26:27], v[193:194]
	v_fma_f64 v[26:27], v[2:3], v[26:27], -v[28:29]
	v_add_f64 v[28:29], v[24:25], v[22:23]
	v_add_f64 v[185:186], v[185:186], v[187:188]
	ds_load_b128 v[2:5], v1 offset:1344
	ds_load_b128 v[22:25], v1 offset:1360
	v_fma_f64 v[20:21], v[20:21], v[30:31], v[189:190]
	v_fma_f64 v[18:19], v[18:19], v[30:31], -v[32:33]
	s_waitcnt vmcnt(5) lgkmcnt(1)
	v_mul_f64 v[187:188], v[2:3], v[36:37]
	v_mul_f64 v[36:37], v[4:5], v[36:37]
	s_waitcnt vmcnt(4) lgkmcnt(0)
	v_mul_f64 v[30:31], v[22:23], v[40:41]
	v_mul_f64 v[32:33], v[24:25], v[40:41]
	v_add_f64 v[26:27], v[28:29], v[26:27]
	v_add_f64 v[28:29], v[185:186], v[191:192]
	v_fma_f64 v[40:41], v[4:5], v[34:35], v[187:188]
	v_fma_f64 v[34:35], v[2:3], v[34:35], -v[36:37]
	v_fma_f64 v[24:25], v[24:25], v[38:39], v[30:31]
	v_fma_f64 v[22:23], v[22:23], v[38:39], -v[32:33]
	v_add_f64 v[26:27], v[26:27], v[18:19]
	v_add_f64 v[28:29], v[28:29], v[20:21]
	ds_load_b128 v[2:5], v1 offset:1376
	ds_load_b128 v[18:21], v1 offset:1392
	s_waitcnt vmcnt(3) lgkmcnt(1)
	v_mul_f64 v[36:37], v[2:3], v[44:45]
	v_mul_f64 v[44:45], v[4:5], v[44:45]
	s_waitcnt vmcnt(2) lgkmcnt(0)
	v_mul_f64 v[30:31], v[18:19], v[8:9]
	v_mul_f64 v[8:9], v[20:21], v[8:9]
	v_add_f64 v[26:27], v[26:27], v[34:35]
	v_add_f64 v[28:29], v[28:29], v[40:41]
	v_fma_f64 v[32:33], v[4:5], v[42:43], v[36:37]
	v_fma_f64 v[34:35], v[2:3], v[42:43], -v[44:45]
	v_fma_f64 v[20:21], v[20:21], v[6:7], v[30:31]
	v_fma_f64 v[6:7], v[18:19], v[6:7], -v[8:9]
	v_add_f64 v[26:27], v[26:27], v[22:23]
	v_add_f64 v[28:29], v[28:29], v[24:25]
	ds_load_b128 v[2:5], v1 offset:1408
	ds_load_b128 v[22:25], v1 offset:1424
	s_waitcnt vmcnt(1) lgkmcnt(1)
	v_mul_f64 v[36:37], v[2:3], v[12:13]
	v_mul_f64 v[12:13], v[4:5], v[12:13]
	v_add_f64 v[8:9], v[26:27], v[34:35]
	v_add_f64 v[18:19], v[28:29], v[32:33]
	s_waitcnt vmcnt(0) lgkmcnt(0)
	v_mul_f64 v[26:27], v[22:23], v[16:17]
	v_mul_f64 v[16:17], v[24:25], v[16:17]
	v_fma_f64 v[4:5], v[4:5], v[10:11], v[36:37]
	v_fma_f64 v[1:2], v[2:3], v[10:11], -v[12:13]
	v_add_f64 v[6:7], v[8:9], v[6:7]
	v_add_f64 v[8:9], v[18:19], v[20:21]
	v_fma_f64 v[10:11], v[24:25], v[14:15], v[26:27]
	v_fma_f64 v[12:13], v[22:23], v[14:15], -v[16:17]
	s_delay_alu instid0(VALU_DEP_4) | instskip(NEXT) | instid1(VALU_DEP_4)
	v_add_f64 v[1:2], v[6:7], v[1:2]
	v_add_f64 v[3:4], v[8:9], v[4:5]
	s_delay_alu instid0(VALU_DEP_2) | instskip(NEXT) | instid1(VALU_DEP_2)
	v_add_f64 v[1:2], v[1:2], v[12:13]
	v_add_f64 v[3:4], v[3:4], v[10:11]
	s_delay_alu instid0(VALU_DEP_2) | instskip(NEXT) | instid1(VALU_DEP_2)
	v_add_f64 v[1:2], v[181:182], -v[1:2]
	v_add_f64 v[3:4], v[183:184], -v[3:4]
	scratch_store_b128 off, v[1:4], off
	s_cbranch_vccz .LBB44_373
; %bb.284:
	v_dual_mov_b32 v1, s16 :: v_dual_mov_b32 v2, s17
	s_load_b64 s[0:1], s[0:1], 0x4
	flat_load_b32 v1, v[1:2] offset:172
	v_bfe_u32 v2, v0, 10, 10
	v_bfe_u32 v0, v0, 20, 10
	s_waitcnt lgkmcnt(0)
	s_lshr_b32 s0, s0, 16
	s_delay_alu instid0(VALU_DEP_2) | instskip(SKIP_1) | instid1(SALU_CYCLE_1)
	v_mul_u32_u24_e32 v2, s1, v2
	s_mul_i32 s0, s0, s1
	v_mul_u32_u24_e32 v3, s0, v136
	s_mov_b32 s0, exec_lo
	s_delay_alu instid0(VALU_DEP_1) | instskip(NEXT) | instid1(VALU_DEP_1)
	v_add3_u32 v0, v3, v2, v0
	v_lshl_add_u32 v0, v0, 4, 0x5a8
	s_waitcnt vmcnt(0)
	v_cmpx_ne_u32_e32 44, v1
	s_cbranch_execz .LBB44_286
; %bb.285:
	v_lshl_add_u32 v9, v1, 4, 0
	s_clause 0x1
	scratch_load_b128 v[1:4], v141, off
	scratch_load_b128 v[5:8], v9, off offset:-16
	s_waitcnt vmcnt(1)
	ds_store_2addr_b64 v0, v[1:2], v[3:4] offset1:1
	s_waitcnt vmcnt(0)
	s_clause 0x1
	scratch_store_b128 v141, v[5:8], off
	scratch_store_b128 v9, v[1:4], off offset:-16
.LBB44_286:
	s_or_b32 exec_lo, exec_lo, s0
	v_dual_mov_b32 v1, s16 :: v_dual_mov_b32 v2, s17
	s_mov_b32 s0, exec_lo
	flat_load_b32 v1, v[1:2] offset:168
	s_waitcnt vmcnt(0) lgkmcnt(0)
	v_cmpx_ne_u32_e32 43, v1
	s_cbranch_execz .LBB44_288
; %bb.287:
	v_lshl_add_u32 v9, v1, 4, 0
	s_clause 0x1
	scratch_load_b128 v[1:4], v143, off
	scratch_load_b128 v[5:8], v9, off offset:-16
	s_waitcnt vmcnt(1)
	ds_store_2addr_b64 v0, v[1:2], v[3:4] offset1:1
	s_waitcnt vmcnt(0)
	s_clause 0x1
	scratch_store_b128 v143, v[5:8], off
	scratch_store_b128 v9, v[1:4], off offset:-16
.LBB44_288:
	s_or_b32 exec_lo, exec_lo, s0
	v_dual_mov_b32 v1, s16 :: v_dual_mov_b32 v2, s17
	s_mov_b32 s0, exec_lo
	flat_load_b32 v1, v[1:2] offset:164
	s_waitcnt vmcnt(0) lgkmcnt(0)
	;; [unrolled: 19-line block ×42, first 2 shown]
	v_cmpx_ne_u32_e32 2, v1
	s_cbranch_execz .LBB44_370
; %bb.369:
	v_lshl_add_u32 v9, v1, 4, 0
	s_clause 0x1
	scratch_load_b128 v[1:4], v180, off
	scratch_load_b128 v[5:8], v9, off offset:-16
	s_waitcnt vmcnt(1)
	ds_store_2addr_b64 v0, v[1:2], v[3:4] offset1:1
	s_waitcnt vmcnt(0)
	s_clause 0x1
	scratch_store_b128 v180, v[5:8], off
	scratch_store_b128 v9, v[1:4], off offset:-16
.LBB44_370:
	s_or_b32 exec_lo, exec_lo, s0
	v_dual_mov_b32 v1, s16 :: v_dual_mov_b32 v2, s17
	s_mov_b32 s0, exec_lo
	flat_load_b32 v1, v[1:2]
	s_waitcnt vmcnt(0) lgkmcnt(0)
	v_cmpx_ne_u32_e32 1, v1
	s_cbranch_execz .LBB44_372
; %bb.371:
	v_lshl_add_u32 v9, v1, 4, 0
	scratch_load_b128 v[1:4], off, off
	scratch_load_b128 v[5:8], v9, off offset:-16
	s_waitcnt vmcnt(1)
	ds_store_2addr_b64 v0, v[1:2], v[3:4] offset1:1
	s_waitcnt vmcnt(0)
	scratch_store_b128 off, v[5:8], off
	scratch_store_b128 v9, v[1:4], off offset:-16
.LBB44_372:
	s_or_b32 exec_lo, exec_lo, s0
.LBB44_373:
	scratch_load_b128 v[0:3], off, off
	s_clause 0x17
	scratch_load_b128 v[4:7], v180, off
	scratch_load_b128 v[8:11], v179, off
	;; [unrolled: 1-line block ×24, first 2 shown]
	s_waitcnt vmcnt(24)
	global_store_b128 v[46:47], v[0:3], off
	s_clause 0x1
	scratch_load_b128 v[0:3], v151, off
	scratch_load_b128 v[44:47], v150, off
	s_waitcnt vmcnt(25)
	global_store_b128 v[48:49], v[4:7], off
	s_clause 0x1
	scratch_load_b128 v[4:7], v147, off
	scratch_load_b128 v[222:225], v146, off
	;; [unrolled: 5-line block ×10, first 2 shown]
	s_waitcnt vmcnt(34)
	global_store_b128 v[66:67], v[40:43], off
	s_waitcnt vmcnt(33)
	global_store_b128 v[68:69], v[170:173], off
	;; [unrolled: 2-line block ×35, first 2 shown]
	s_endpgm
	.section	.rodata,"a",@progbits
	.p2align	6, 0x0
	.amdhsa_kernel _ZN9rocsolver6v33100L18getri_kernel_smallILi45E19rocblas_complex_numIdEPS3_EEvT1_iilPiilS6_bb
		.amdhsa_group_segment_fixed_size 2472
		.amdhsa_private_segment_fixed_size 736
		.amdhsa_kernarg_size 60
		.amdhsa_user_sgpr_count 15
		.amdhsa_user_sgpr_dispatch_ptr 1
		.amdhsa_user_sgpr_queue_ptr 0
		.amdhsa_user_sgpr_kernarg_segment_ptr 1
		.amdhsa_user_sgpr_dispatch_id 0
		.amdhsa_user_sgpr_private_segment_size 0
		.amdhsa_wavefront_size32 1
		.amdhsa_uses_dynamic_stack 0
		.amdhsa_enable_private_segment 1
		.amdhsa_system_sgpr_workgroup_id_x 1
		.amdhsa_system_sgpr_workgroup_id_y 0
		.amdhsa_system_sgpr_workgroup_id_z 0
		.amdhsa_system_sgpr_workgroup_info 0
		.amdhsa_system_vgpr_workitem_id 2
		.amdhsa_next_free_vgpr 241
		.amdhsa_next_free_sgpr 51
		.amdhsa_reserve_vcc 1
		.amdhsa_float_round_mode_32 0
		.amdhsa_float_round_mode_16_64 0
		.amdhsa_float_denorm_mode_32 3
		.amdhsa_float_denorm_mode_16_64 3
		.amdhsa_dx10_clamp 1
		.amdhsa_ieee_mode 1
		.amdhsa_fp16_overflow 0
		.amdhsa_workgroup_processor_mode 1
		.amdhsa_memory_ordered 1
		.amdhsa_forward_progress 0
		.amdhsa_shared_vgpr_count 0
		.amdhsa_exception_fp_ieee_invalid_op 0
		.amdhsa_exception_fp_denorm_src 0
		.amdhsa_exception_fp_ieee_div_zero 0
		.amdhsa_exception_fp_ieee_overflow 0
		.amdhsa_exception_fp_ieee_underflow 0
		.amdhsa_exception_fp_ieee_inexact 0
		.amdhsa_exception_int_div_zero 0
	.end_amdhsa_kernel
	.section	.text._ZN9rocsolver6v33100L18getri_kernel_smallILi45E19rocblas_complex_numIdEPS3_EEvT1_iilPiilS6_bb,"axG",@progbits,_ZN9rocsolver6v33100L18getri_kernel_smallILi45E19rocblas_complex_numIdEPS3_EEvT1_iilPiilS6_bb,comdat
.Lfunc_end44:
	.size	_ZN9rocsolver6v33100L18getri_kernel_smallILi45E19rocblas_complex_numIdEPS3_EEvT1_iilPiilS6_bb, .Lfunc_end44-_ZN9rocsolver6v33100L18getri_kernel_smallILi45E19rocblas_complex_numIdEPS3_EEvT1_iilPiilS6_bb
                                        ; -- End function
	.section	.AMDGPU.csdata,"",@progbits
; Kernel info:
; codeLenInByte = 95308
; NumSgprs: 53
; NumVgprs: 241
; ScratchSize: 736
; MemoryBound: 0
; FloatMode: 240
; IeeeMode: 1
; LDSByteSize: 2472 bytes/workgroup (compile time only)
; SGPRBlocks: 6
; VGPRBlocks: 30
; NumSGPRsForWavesPerEU: 53
; NumVGPRsForWavesPerEU: 241
; Occupancy: 5
; WaveLimiterHint : 1
; COMPUTE_PGM_RSRC2:SCRATCH_EN: 1
; COMPUTE_PGM_RSRC2:USER_SGPR: 15
; COMPUTE_PGM_RSRC2:TRAP_HANDLER: 0
; COMPUTE_PGM_RSRC2:TGID_X_EN: 1
; COMPUTE_PGM_RSRC2:TGID_Y_EN: 0
; COMPUTE_PGM_RSRC2:TGID_Z_EN: 0
; COMPUTE_PGM_RSRC2:TIDIG_COMP_CNT: 2
	.section	.text._ZN9rocsolver6v33100L18getri_kernel_smallILi46E19rocblas_complex_numIdEPS3_EEvT1_iilPiilS6_bb,"axG",@progbits,_ZN9rocsolver6v33100L18getri_kernel_smallILi46E19rocblas_complex_numIdEPS3_EEvT1_iilPiilS6_bb,comdat
	.globl	_ZN9rocsolver6v33100L18getri_kernel_smallILi46E19rocblas_complex_numIdEPS3_EEvT1_iilPiilS6_bb ; -- Begin function _ZN9rocsolver6v33100L18getri_kernel_smallILi46E19rocblas_complex_numIdEPS3_EEvT1_iilPiilS6_bb
	.p2align	8
	.type	_ZN9rocsolver6v33100L18getri_kernel_smallILi46E19rocblas_complex_numIdEPS3_EEvT1_iilPiilS6_bb,@function
_ZN9rocsolver6v33100L18getri_kernel_smallILi46E19rocblas_complex_numIdEPS3_EEvT1_iilPiilS6_bb: ; @_ZN9rocsolver6v33100L18getri_kernel_smallILi46E19rocblas_complex_numIdEPS3_EEvT1_iilPiilS6_bb
; %bb.0:
	v_and_b32_e32 v138, 0x3ff, v0
	s_mov_b32 s4, exec_lo
	s_delay_alu instid0(VALU_DEP_1)
	v_cmpx_gt_u32_e32 46, v138
	s_cbranch_execz .LBB45_198
; %bb.1:
	s_mov_b32 s18, s15
	s_clause 0x2
	s_load_b32 s21, s[2:3], 0x38
	s_load_b128 s[12:15], s[2:3], 0x10
	s_load_b128 s[4:7], s[2:3], 0x28
                                        ; implicit-def: $sgpr16_sgpr17
	s_waitcnt lgkmcnt(0)
	s_bitcmp1_b32 s21, 8
	s_cselect_b32 s20, -1, 0
	s_bfe_u32 s8, s21, 0x10008
	s_ashr_i32 s19, s18, 31
	s_cmp_eq_u32 s8, 0
	s_cbranch_scc1 .LBB45_3
; %bb.2:
	s_load_b32 s8, s[2:3], 0x20
	s_mul_i32 s5, s18, s5
	s_mul_hi_u32 s9, s18, s4
	s_mul_i32 s10, s19, s4
	s_add_i32 s5, s9, s5
	s_mul_i32 s4, s18, s4
	s_add_i32 s5, s5, s10
	s_delay_alu instid0(SALU_CYCLE_1)
	s_lshl_b64 s[4:5], s[4:5], 2
	s_waitcnt lgkmcnt(0)
	s_ashr_i32 s9, s8, 31
	s_add_u32 s10, s14, s4
	s_addc_u32 s11, s15, s5
	s_lshl_b64 s[4:5], s[8:9], 2
	s_delay_alu instid0(SALU_CYCLE_1)
	s_add_u32 s16, s10, s4
	s_addc_u32 s17, s11, s5
.LBB45_3:
	s_load_b128 s[8:11], s[2:3], 0x0
	s_mul_i32 s2, s18, s13
	s_mul_hi_u32 s3, s18, s12
	s_mul_i32 s4, s19, s12
	s_add_i32 s3, s3, s2
	s_mul_i32 s2, s18, s12
	s_add_i32 s3, s3, s4
	v_lshlrev_b32_e32 v13, 4, v138
	s_lshl_b64 s[2:3], s[2:3], 4
	s_movk_i32 s12, 0xd0
	s_movk_i32 s13, 0xe0
	;; [unrolled: 1-line block ×11, first 2 shown]
	s_waitcnt lgkmcnt(0)
	v_add3_u32 v5, s11, s11, v138
	s_ashr_i32 s5, s10, 31
	s_mov_b32 s4, s10
	s_add_u32 s8, s8, s2
	s_addc_u32 s9, s9, s3
	v_add_nc_u32_e32 v7, s11, v5
	s_lshl_b64 s[2:3], s[4:5], 4
	v_ashrrev_i32_e32 v6, 31, v5
	s_add_u32 s2, s8, s2
	s_addc_u32 s3, s9, s3
	v_add_nc_u32_e32 v14, s11, v7
	v_add_co_u32 v46, s8, s2, v13
	v_ashrrev_i32_e32 v8, 31, v7
	s_mov_b32 s4, s11
	s_delay_alu instid0(VALU_DEP_3) | instskip(SKIP_3) | instid1(VALU_DEP_3)
	v_add_nc_u32_e32 v16, s11, v14
	s_ashr_i32 s5, s11, 31
	v_add_co_ci_u32_e64 v47, null, s3, 0, s8
	v_lshlrev_b64 v[5:6], 4, v[5:6]
	v_add_nc_u32_e32 v22, s11, v16
	s_lshl_b64 s[4:5], s[4:5], 4
	v_ashrrev_i32_e32 v15, 31, v14
	v_add_co_u32 v50, vcc_lo, v46, s4
	s_delay_alu instid0(VALU_DEP_3) | instskip(SKIP_3) | instid1(VALU_DEP_4)
	v_add_nc_u32_e32 v24, s11, v22
	v_lshlrev_b64 v[18:19], 4, v[7:8]
	v_ashrrev_i32_e32 v17, 31, v16
	v_add_co_ci_u32_e32 v51, vcc_lo, s5, v47, vcc_lo
	v_add_nc_u32_e32 v30, s11, v24
	v_add_co_u32 v48, vcc_lo, s2, v5
	v_lshlrev_b64 v[14:15], 4, v[14:15]
	v_ashrrev_i32_e32 v23, 31, v22
	s_delay_alu instid0(VALU_DEP_4)
	v_add_nc_u32_e32 v32, s11, v30
	v_add_co_ci_u32_e32 v49, vcc_lo, s3, v6, vcc_lo
	v_add_co_u32 v54, vcc_lo, s2, v18
	v_lshlrev_b64 v[26:27], 4, v[16:17]
	v_ashrrev_i32_e32 v25, 31, v24
	v_add_nc_u32_e32 v38, s11, v32
	v_add_co_ci_u32_e32 v55, vcc_lo, s3, v19, vcc_lo
	v_add_co_u32 v52, vcc_lo, s2, v14
	v_lshlrev_b64 v[22:23], 4, v[22:23]
	v_ashrrev_i32_e32 v31, 31, v30
	v_add_co_ci_u32_e32 v53, vcc_lo, s3, v15, vcc_lo
	v_add_co_u32 v58, vcc_lo, s2, v26
	v_lshlrev_b64 v[34:35], 4, v[24:25]
	v_add_nc_u32_e32 v40, s11, v38
	v_ashrrev_i32_e32 v33, 31, v32
	v_add_co_ci_u32_e32 v59, vcc_lo, s3, v27, vcc_lo
	v_add_co_u32 v56, vcc_lo, s2, v22
	v_lshlrev_b64 v[30:31], 4, v[30:31]
	v_ashrrev_i32_e32 v39, 31, v38
	v_add_co_ci_u32_e32 v57, vcc_lo, s3, v23, vcc_lo
	v_add_nc_u32_e32 v68, s11, v40
	v_add_co_u32 v62, vcc_lo, s2, v34
	v_lshlrev_b64 v[42:43], 4, v[32:33]
	v_ashrrev_i32_e32 v41, 31, v40
	v_add_co_ci_u32_e32 v63, vcc_lo, s3, v35, vcc_lo
	v_add_co_u32 v60, vcc_lo, s2, v30
	v_lshlrev_b64 v[38:39], 4, v[38:39]
	v_ashrrev_i32_e32 v69, 31, v68
	v_add_co_ci_u32_e32 v61, vcc_lo, s3, v31, vcc_lo
	v_add_co_u32 v66, vcc_lo, s2, v42
	v_add_nc_u32_e32 v72, s11, v68
	v_lshlrev_b64 v[70:71], 4, v[40:41]
	v_add_co_ci_u32_e32 v67, vcc_lo, s3, v43, vcc_lo
	v_add_co_u32 v64, vcc_lo, s2, v38
	v_lshlrev_b64 v[75:76], 4, v[68:69]
	v_add_co_ci_u32_e32 v65, vcc_lo, s3, v39, vcc_lo
	v_add_nc_u32_e32 v74, s11, v72
	v_add_co_u32 v68, vcc_lo, s2, v70
	v_add_co_ci_u32_e32 v69, vcc_lo, s3, v71, vcc_lo
	global_load_b128 v[1:4], v13, s[2:3]
	v_ashrrev_i32_e32 v73, 31, v72
	v_add_co_u32 v70, vcc_lo, s2, v75
	s_clause 0x1
	global_load_b128 v[5:8], v[50:51], off
	global_load_b128 v[9:12], v[48:49], off
	v_add_nc_u32_e32 v77, s11, v74
	s_clause 0x1
	global_load_b128 v[14:17], v[54:55], off
	global_load_b128 v[18:21], v[52:53], off
	v_add_co_ci_u32_e32 v71, vcc_lo, s3, v76, vcc_lo
	s_clause 0x1
	global_load_b128 v[22:25], v[58:59], off
	global_load_b128 v[26:29], v[56:57], off
	v_ashrrev_i32_e32 v75, 31, v74
	s_clause 0x3
	global_load_b128 v[30:33], v[62:63], off
	global_load_b128 v[34:37], v[60:61], off
	;; [unrolled: 1-line block ×4, first 2 shown]
	v_lshlrev_b64 v[72:73], 4, v[72:73]
	s_clause 0x1
	global_load_b128 v[130:133], v[68:69], off
	global_load_b128 v[134:137], v[70:71], off
	v_ashrrev_i32_e32 v78, 31, v77
	v_lshlrev_b64 v[74:75], 4, v[74:75]
	v_add_nc_u32_e32 v80, s11, v77
	s_movk_i32 s4, 0x70
	v_add_co_u32 v72, vcc_lo, s2, v72
	v_lshlrev_b64 v[76:77], 4, v[77:78]
	v_add_co_ci_u32_e32 v73, vcc_lo, s3, v73, vcc_lo
	v_add_co_u32 v74, vcc_lo, s2, v74
	v_add_co_ci_u32_e32 v75, vcc_lo, s3, v75, vcc_lo
	s_delay_alu instid0(VALU_DEP_4)
	v_add_co_u32 v76, vcc_lo, s2, v76
	v_add_co_ci_u32_e32 v77, vcc_lo, s3, v77, vcc_lo
	s_clause 0x2
	global_load_b128 v[139:142], v[72:73], off
	global_load_b128 v[143:146], v[74:75], off
	global_load_b128 v[147:150], v[76:77], off
	v_ashrrev_i32_e32 v81, 31, v80
	s_movk_i32 s5, 0x80
	s_movk_i32 s8, 0x90
	;; [unrolled: 1-line block ×4, first 2 shown]
	v_lshlrev_b64 v[78:79], 4, v[80:81]
	v_add_nc_u32_e32 v80, s11, v80
	s_movk_i32 s29, 0x180
	s_movk_i32 s30, 0x190
	;; [unrolled: 1-line block ×4, first 2 shown]
	v_add_nc_u32_e32 v82, s11, v80
	v_ashrrev_i32_e32 v81, 31, v80
	v_add_co_u32 v78, vcc_lo, s2, v78
	v_add_co_ci_u32_e32 v79, vcc_lo, s3, v79, vcc_lo
	s_delay_alu instid0(VALU_DEP_4)
	v_add_nc_u32_e32 v84, s11, v82
	v_ashrrev_i32_e32 v83, 31, v82
	v_lshlrev_b64 v[80:81], 4, v[80:81]
	global_load_b128 v[151:154], v[78:79], off
	s_movk_i32 s34, 0x1c0
	v_add_nc_u32_e32 v86, s11, v84
	v_ashrrev_i32_e32 v85, 31, v84
	v_lshlrev_b64 v[82:83], 4, v[82:83]
	v_add_co_u32 v80, vcc_lo, s2, v80
	s_delay_alu instid0(VALU_DEP_4) | instskip(SKIP_3) | instid1(VALU_DEP_4)
	v_add_nc_u32_e32 v88, s11, v86
	v_ashrrev_i32_e32 v87, 31, v86
	v_lshlrev_b64 v[84:85], 4, v[84:85]
	v_add_co_ci_u32_e32 v81, vcc_lo, s3, v81, vcc_lo
	v_add_nc_u32_e32 v90, s11, v88
	v_ashrrev_i32_e32 v89, 31, v88
	v_add_co_u32 v82, vcc_lo, s2, v82
	v_lshlrev_b64 v[86:87], 4, v[86:87]
	s_delay_alu instid0(VALU_DEP_4) | instskip(SKIP_3) | instid1(VALU_DEP_4)
	v_add_nc_u32_e32 v92, s11, v90
	v_ashrrev_i32_e32 v91, 31, v90
	v_add_co_ci_u32_e32 v83, vcc_lo, s3, v83, vcc_lo
	v_add_co_u32 v84, vcc_lo, s2, v84
	v_add_nc_u32_e32 v94, s11, v92
	v_lshlrev_b64 v[88:89], 4, v[88:89]
	v_ashrrev_i32_e32 v93, 31, v92
	v_add_co_ci_u32_e32 v85, vcc_lo, s3, v85, vcc_lo
	s_delay_alu instid0(VALU_DEP_4) | instskip(SKIP_3) | instid1(VALU_DEP_4)
	v_add_nc_u32_e32 v96, s11, v94
	v_add_co_u32 v86, vcc_lo, s2, v86
	v_lshlrev_b64 v[90:91], 4, v[90:91]
	v_ashrrev_i32_e32 v95, 31, v94
	v_add_nc_u32_e32 v98, s11, v96
	v_add_co_ci_u32_e32 v87, vcc_lo, s3, v87, vcc_lo
	v_add_co_u32 v88, vcc_lo, s2, v88
	s_delay_alu instid0(VALU_DEP_3) | instskip(SKIP_3) | instid1(VALU_DEP_4)
	v_add_nc_u32_e32 v100, s11, v98
	v_lshlrev_b64 v[92:93], 4, v[92:93]
	v_ashrrev_i32_e32 v97, 31, v96
	v_add_co_ci_u32_e32 v89, vcc_lo, s3, v89, vcc_lo
	v_add_nc_u32_e32 v102, s11, v100
	v_add_co_u32 v90, vcc_lo, s2, v90
	v_lshlrev_b64 v[94:95], 4, v[94:95]
	v_ashrrev_i32_e32 v99, 31, v98
	s_delay_alu instid0(VALU_DEP_4) | instskip(SKIP_2) | instid1(VALU_DEP_3)
	v_add_nc_u32_e32 v104, s11, v102
	v_add_co_ci_u32_e32 v91, vcc_lo, s3, v91, vcc_lo
	v_add_co_u32 v92, vcc_lo, s2, v92
	v_add_nc_u32_e32 v106, s11, v104
	v_lshlrev_b64 v[96:97], 4, v[96:97]
	v_ashrrev_i32_e32 v101, 31, v100
	v_add_co_ci_u32_e32 v93, vcc_lo, s3, v93, vcc_lo
	s_delay_alu instid0(VALU_DEP_4) | instskip(SKIP_3) | instid1(VALU_DEP_4)
	v_add_nc_u32_e32 v108, s11, v106
	v_add_co_u32 v94, vcc_lo, s2, v94
	v_lshlrev_b64 v[98:99], 4, v[98:99]
	v_add_co_ci_u32_e32 v95, vcc_lo, s3, v95, vcc_lo
	v_add_nc_u32_e32 v110, s11, v108
	v_add_co_u32 v96, vcc_lo, s2, v96
	v_lshlrev_b64 v[100:101], 4, v[100:101]
	v_ashrrev_i32_e32 v103, 31, v102
	s_delay_alu instid0(VALU_DEP_4) | instskip(SKIP_2) | instid1(VALU_DEP_3)
	v_add_nc_u32_e32 v112, s11, v110
	v_add_co_ci_u32_e32 v97, vcc_lo, s3, v97, vcc_lo
	v_add_co_u32 v98, vcc_lo, s2, v98
	v_add_nc_u32_e32 v114, s11, v112
	v_ashrrev_i32_e32 v105, 31, v104
	v_add_co_ci_u32_e32 v99, vcc_lo, s3, v99, vcc_lo
	v_lshlrev_b64 v[174:175], 4, v[102:103]
	s_delay_alu instid0(VALU_DEP_4) | instskip(SKIP_3) | instid1(VALU_DEP_4)
	v_add_nc_u32_e32 v116, s11, v114
	v_add_co_u32 v102, vcc_lo, s2, v100
	v_ashrrev_i32_e32 v107, 31, v106
	v_add_co_ci_u32_e32 v103, vcc_lo, s3, v101, vcc_lo
	v_add_nc_u32_e32 v118, s11, v116
	v_lshlrev_b64 v[176:177], 4, v[104:105]
	v_ashrrev_i32_e32 v109, 31, v108
	v_ashrrev_i32_e32 v111, 31, v110
	;; [unrolled: 1-line block ×3, first 2 shown]
	v_add_nc_u32_e32 v120, s11, v118
	v_ashrrev_i32_e32 v115, 31, v114
	v_ashrrev_i32_e32 v117, 31, v116
	;; [unrolled: 1-line block ×3, first 2 shown]
	s_clause 0x1
	global_load_b128 v[155:158], v[80:81], off
	global_load_b128 v[159:162], v[82:83], off
	v_add_nc_u32_e32 v122, s11, v120
	v_ashrrev_i32_e32 v121, 31, v120
	s_clause 0x5
	global_load_b128 v[163:166], v[84:85], off
	global_load_b128 v[184:187], v[86:87], off
	;; [unrolled: 1-line block ×6, first 2 shown]
	v_add_nc_u32_e32 v124, s11, v122
	v_ashrrev_i32_e32 v123, 31, v122
	s_clause 0x1
	global_load_b128 v[204:207], v[96:97], off
	global_load_b128 v[208:211], v[98:99], off
	s_movk_i32 s35, 0x1d0
	s_movk_i32 s36, 0x1e0
	v_add_nc_u32_e32 v126, s11, v124
	v_ashrrev_i32_e32 v125, 31, v124
	s_movk_i32 s37, 0x1f0
	s_movk_i32 s38, 0x200
	s_movk_i32 s39, 0x210
	v_add_nc_u32_e32 v128, s11, v126
	v_ashrrev_i32_e32 v127, 31, v126
	s_movk_i32 s40, 0x220
	;; [unrolled: 5-line block ×4, first 2 shown]
	s_movk_i32 s47, 0x290
	s_movk_i32 s48, 0x2a0
	v_add_nc_u32_e32 v171, s11, v169
	v_ashrrev_i32_e32 v170, 31, v169
	v_lshlrev_b64 v[167:168], 4, v[167:168]
	s_movk_i32 s49, 0x2b0
	s_movk_i32 s50, 0x2c0
	v_add_nc_u32_e32 v172, s11, v171
	s_movk_i32 s11, 0xc0
	s_movk_i32 s51, 0x2d0
	v_add_nc_u32_e64 v183, 0, 16
	v_add_nc_u32_e64 v182, 0, 32
	v_ashrrev_i32_e32 v173, 31, v172
	v_add_nc_u32_e64 v181, 0, 48
	v_add_nc_u32_e64 v180, 0, 64
	s_bitcmp0_b32 s21, 0
	s_delay_alu instid0(VALU_DEP_3) | instskip(NEXT) | instid1(VALU_DEP_1)
	v_lshlrev_b64 v[172:173], 4, v[172:173]
	v_add_co_u32 v100, vcc_lo, s2, v172
	s_delay_alu instid0(VALU_DEP_2)
	v_add_co_ci_u32_e32 v101, vcc_lo, s3, v173, vcc_lo
	v_add_co_u32 v104, vcc_lo, s2, v174
	v_lshlrev_b64 v[172:173], 4, v[106:107]
	v_add_co_ci_u32_e32 v105, vcc_lo, s3, v175, vcc_lo
	v_add_co_u32 v106, vcc_lo, s2, v176
	v_lshlrev_b64 v[174:175], 4, v[108:109]
	v_add_co_ci_u32_e32 v107, vcc_lo, s3, v177, vcc_lo
	v_add_co_u32 v108, vcc_lo, s2, v172
	v_add_co_ci_u32_e32 v109, vcc_lo, s3, v173, vcc_lo
	v_lshlrev_b64 v[172:173], 4, v[110:111]
	v_add_co_u32 v110, vcc_lo, s2, v174
	v_add_co_ci_u32_e32 v111, vcc_lo, s3, v175, vcc_lo
	v_lshlrev_b64 v[174:175], 4, v[112:113]
	s_delay_alu instid0(VALU_DEP_4) | instskip(SKIP_2) | instid1(VALU_DEP_4)
	v_add_co_u32 v112, vcc_lo, s2, v172
	v_add_co_ci_u32_e32 v113, vcc_lo, s3, v173, vcc_lo
	v_lshlrev_b64 v[172:173], 4, v[114:115]
	v_add_co_u32 v114, vcc_lo, s2, v174
	v_add_co_ci_u32_e32 v115, vcc_lo, s3, v175, vcc_lo
	v_lshlrev_b64 v[174:175], 4, v[116:117]
	s_delay_alu instid0(VALU_DEP_4) | instskip(SKIP_2) | instid1(VALU_DEP_4)
	;; [unrolled: 7-line block ×4, first 2 shown]
	v_add_co_u32 v124, vcc_lo, s2, v172
	v_add_co_ci_u32_e32 v125, vcc_lo, s3, v173, vcc_lo
	v_lshlrev_b64 v[172:173], 4, v[126:127]
	v_add_co_u32 v126, vcc_lo, s2, v174
	v_add_co_ci_u32_e32 v127, vcc_lo, s3, v175, vcc_lo
	v_lshlrev_b64 v[174:175], 4, v[128:129]
	global_load_b128 v[212:215], v[100:101], off
	v_add_co_u32 v128, vcc_lo, s2, v172
	v_ashrrev_i32_e32 v172, 31, v171
	v_add_co_ci_u32_e32 v129, vcc_lo, s3, v173, vcc_lo
	v_add_nc_u32_e64 v177, s4, 0
	v_add_nc_u32_e64 v176, s5, 0
	v_add_nc_u32_e64 v173, s10, 0
	s_waitcnt vmcnt(27)
	scratch_store_b128 off, v[1:4], off
	s_clause 0x1
	global_load_b128 v[1:4], v[102:103], off
	global_load_b128 v[216:219], v[104:105], off
	s_waitcnt vmcnt(28)
	scratch_store_b128 off, v[5:8], off offset:16
	s_waitcnt vmcnt(27)
	scratch_store_b128 off, v[9:12], off offset:32
	s_clause 0x1
	global_load_b128 v[5:8], v[106:107], off
	global_load_b128 v[9:12], v[108:109], off
	s_waitcnt vmcnt(28)
	scratch_store_b128 off, v[14:17], off offset:48
	s_waitcnt vmcnt(27)
	scratch_store_b128 off, v[18:21], off offset:64
	;; [unrolled: 7-line block ×6, first 2 shown]
	v_add_co_u32 v130, vcc_lo, s2, v174
	v_lshlrev_b64 v[134:135], 4, v[169:170]
	v_add_co_ci_u32_e32 v131, vcc_lo, s3, v175, vcc_lo
	v_add_co_u32 v132, vcc_lo, s2, v167
	v_lshlrev_b64 v[136:137], 4, v[171:172]
	v_add_co_ci_u32_e32 v133, vcc_lo, s3, v168, vcc_lo
	v_add_co_u32 v134, vcc_lo, s2, v134
	v_add_co_ci_u32_e32 v135, vcc_lo, s3, v135, vcc_lo
	s_delay_alu instid0(VALU_DEP_4)
	v_add_co_u32 v136, vcc_lo, s2, v136
	v_add_co_ci_u32_e32 v137, vcc_lo, s3, v137, vcc_lo
	s_clause 0x1
	global_load_b128 v[220:223], v[126:127], off
	global_load_b128 v[224:227], v[128:129], off
	s_waitcnt vmcnt(28)
	scratch_store_b128 off, v[139:142], off offset:208
	s_waitcnt vmcnt(27)
	scratch_store_b128 off, v[143:146], off offset:224
	s_clause 0x3
	global_load_b128 v[228:231], v[130:131], off
	global_load_b128 v[232:235], v[132:133], off
	;; [unrolled: 1-line block ×4, first 2 shown]
	s_movk_i32 s2, 0x50
	s_movk_i32 s3, 0x60
	s_waitcnt vmcnt(30)
	scratch_store_b128 off, v[147:150], off offset:240
	v_add_nc_u32_e64 v179, s2, 0
	v_add_nc_u32_e64 v178, s3, 0
	;; [unrolled: 1-line block ×12, first 2 shown]
	s_waitcnt vmcnt(29)
	scratch_store_b128 off, v[151:154], off offset:256
	v_add_nc_u32_e64 v153, s34, 0
	v_add_nc_u32_e64 v152, s35, 0
	;; [unrolled: 1-line block ×14, first 2 shown]
	s_mov_b32 s3, -1
	s_waitcnt vmcnt(28)
	scratch_store_b128 off, v[155:158], off offset:272
	s_waitcnt vmcnt(27)
	scratch_store_b128 off, v[159:162], off offset:288
	v_add_nc_u32_e64 v162, s27, 0
	s_waitcnt vmcnt(26)
	scratch_store_b128 off, v[163:166], off offset:304
	s_waitcnt vmcnt(25)
	scratch_store_b128 off, v[184:187], off offset:320
	v_add_nc_u32_e64 v166, s23, 0
	v_add_nc_u32_e64 v165, s24, 0
	;; [unrolled: 1-line block ×11, first 2 shown]
	s_waitcnt vmcnt(24)
	scratch_store_b128 off, v[188:191], off offset:336
	s_waitcnt vmcnt(23)
	scratch_store_b128 off, v[192:195], off offset:352
	;; [unrolled: 2-line block ×23, first 2 shown]
	s_waitcnt vmcnt(0)
	s_clause 0x1
	scratch_store_b128 off, v[240:243], off offset:704
	scratch_store_b128 off, v[212:215], off offset:720
	s_cbranch_scc1 .LBB45_196
; %bb.4:
	v_cmp_eq_u32_e64 s2, 0, v138
	s_delay_alu instid0(VALU_DEP_1)
	s_and_saveexec_b32 s3, s2
	s_cbranch_execz .LBB45_6
; %bb.5:
	v_mov_b32_e32 v1, 0
	ds_store_b32 v1, v1 offset:1472
.LBB45_6:
	s_or_b32 exec_lo, exec_lo, s3
	s_waitcnt lgkmcnt(0)
	s_waitcnt_vscnt null, 0x0
	s_barrier
	buffer_gl0_inv
	scratch_load_b128 v[1:4], v13, off
	s_waitcnt vmcnt(0)
	v_cmp_eq_f64_e32 vcc_lo, 0, v[1:2]
	v_cmp_eq_f64_e64 s3, 0, v[3:4]
	s_delay_alu instid0(VALU_DEP_1) | instskip(NEXT) | instid1(SALU_CYCLE_1)
	s_and_b32 s3, vcc_lo, s3
	s_and_saveexec_b32 s4, s3
	s_cbranch_execz .LBB45_10
; %bb.7:
	v_mov_b32_e32 v1, 0
	s_mov_b32 s5, 0
	ds_load_b32 v2, v1 offset:1472
	s_waitcnt lgkmcnt(0)
	v_readfirstlane_b32 s3, v2
	v_add_nc_u32_e32 v2, 1, v138
	s_delay_alu instid0(VALU_DEP_2) | instskip(NEXT) | instid1(VALU_DEP_1)
	s_cmp_eq_u32 s3, 0
	v_cmp_gt_i32_e32 vcc_lo, s3, v2
	s_cselect_b32 s8, -1, 0
	s_delay_alu instid0(SALU_CYCLE_1) | instskip(NEXT) | instid1(SALU_CYCLE_1)
	s_or_b32 s8, s8, vcc_lo
	s_and_b32 exec_lo, exec_lo, s8
	s_cbranch_execz .LBB45_10
; %bb.8:
	v_mov_b32_e32 v3, s3
.LBB45_9:                               ; =>This Inner Loop Header: Depth=1
	ds_cmpstore_rtn_b32 v3, v1, v2, v3 offset:1472
	s_waitcnt lgkmcnt(0)
	v_cmp_ne_u32_e32 vcc_lo, 0, v3
	v_cmp_le_i32_e64 s3, v3, v2
	s_delay_alu instid0(VALU_DEP_1) | instskip(NEXT) | instid1(SALU_CYCLE_1)
	s_and_b32 s3, vcc_lo, s3
	s_and_b32 s3, exec_lo, s3
	s_delay_alu instid0(SALU_CYCLE_1) | instskip(NEXT) | instid1(SALU_CYCLE_1)
	s_or_b32 s5, s3, s5
	s_and_not1_b32 exec_lo, exec_lo, s5
	s_cbranch_execnz .LBB45_9
.LBB45_10:
	s_or_b32 exec_lo, exec_lo, s4
	v_mov_b32_e32 v1, 0
	s_barrier
	buffer_gl0_inv
	ds_load_b32 v2, v1 offset:1472
	s_and_saveexec_b32 s3, s2
	s_cbranch_execz .LBB45_12
; %bb.11:
	s_lshl_b64 s[4:5], s[18:19], 2
	s_delay_alu instid0(SALU_CYCLE_1)
	s_add_u32 s4, s6, s4
	s_addc_u32 s5, s7, s5
	s_waitcnt lgkmcnt(0)
	global_store_b32 v1, v2, s[4:5]
.LBB45_12:
	s_or_b32 exec_lo, exec_lo, s3
	s_waitcnt lgkmcnt(0)
	v_cmp_ne_u32_e32 vcc_lo, 0, v2
	s_mov_b32 s3, 0
	s_cbranch_vccnz .LBB45_196
; %bb.13:
	v_add_nc_u32_e32 v14, 0, v13
                                        ; implicit-def: $vgpr9_vgpr10
	scratch_load_b128 v[1:4], v14, off
	s_waitcnt vmcnt(0)
	v_mov_b32_e32 v5, v1
	v_cmp_gt_f64_e32 vcc_lo, 0, v[1:2]
	v_xor_b32_e32 v6, 0x80000000, v2
	v_xor_b32_e32 v7, 0x80000000, v4
	s_delay_alu instid0(VALU_DEP_2) | instskip(SKIP_1) | instid1(VALU_DEP_3)
	v_cndmask_b32_e32 v6, v2, v6, vcc_lo
	v_cmp_gt_f64_e32 vcc_lo, 0, v[3:4]
	v_dual_cndmask_b32 v8, v4, v7 :: v_dual_mov_b32 v7, v3
	s_delay_alu instid0(VALU_DEP_1) | instskip(SKIP_1) | instid1(SALU_CYCLE_1)
	v_cmp_ngt_f64_e32 vcc_lo, v[5:6], v[7:8]
                                        ; implicit-def: $vgpr5_vgpr6
	s_and_saveexec_b32 s3, vcc_lo
	s_xor_b32 s3, exec_lo, s3
	s_cbranch_execz .LBB45_15
; %bb.14:
	v_div_scale_f64 v[5:6], null, v[3:4], v[3:4], v[1:2]
	v_div_scale_f64 v[11:12], vcc_lo, v[1:2], v[3:4], v[1:2]
	s_delay_alu instid0(VALU_DEP_2) | instskip(SKIP_2) | instid1(VALU_DEP_1)
	v_rcp_f64_e32 v[7:8], v[5:6]
	s_waitcnt_depctr 0xfff
	v_fma_f64 v[9:10], -v[5:6], v[7:8], 1.0
	v_fma_f64 v[7:8], v[7:8], v[9:10], v[7:8]
	s_delay_alu instid0(VALU_DEP_1) | instskip(NEXT) | instid1(VALU_DEP_1)
	v_fma_f64 v[9:10], -v[5:6], v[7:8], 1.0
	v_fma_f64 v[7:8], v[7:8], v[9:10], v[7:8]
	s_delay_alu instid0(VALU_DEP_1) | instskip(NEXT) | instid1(VALU_DEP_1)
	v_mul_f64 v[9:10], v[11:12], v[7:8]
	v_fma_f64 v[5:6], -v[5:6], v[9:10], v[11:12]
	s_delay_alu instid0(VALU_DEP_1) | instskip(NEXT) | instid1(VALU_DEP_1)
	v_div_fmas_f64 v[5:6], v[5:6], v[7:8], v[9:10]
	v_div_fixup_f64 v[5:6], v[5:6], v[3:4], v[1:2]
	s_delay_alu instid0(VALU_DEP_1) | instskip(NEXT) | instid1(VALU_DEP_1)
	v_fma_f64 v[1:2], v[1:2], v[5:6], v[3:4]
	v_div_scale_f64 v[3:4], null, v[1:2], v[1:2], 1.0
	v_div_scale_f64 v[11:12], vcc_lo, 1.0, v[1:2], 1.0
	s_delay_alu instid0(VALU_DEP_2) | instskip(SKIP_2) | instid1(VALU_DEP_1)
	v_rcp_f64_e32 v[7:8], v[3:4]
	s_waitcnt_depctr 0xfff
	v_fma_f64 v[9:10], -v[3:4], v[7:8], 1.0
	v_fma_f64 v[7:8], v[7:8], v[9:10], v[7:8]
	s_delay_alu instid0(VALU_DEP_1) | instskip(NEXT) | instid1(VALU_DEP_1)
	v_fma_f64 v[9:10], -v[3:4], v[7:8], 1.0
	v_fma_f64 v[7:8], v[7:8], v[9:10], v[7:8]
	s_delay_alu instid0(VALU_DEP_1) | instskip(NEXT) | instid1(VALU_DEP_1)
	v_mul_f64 v[9:10], v[11:12], v[7:8]
	v_fma_f64 v[3:4], -v[3:4], v[9:10], v[11:12]
	s_delay_alu instid0(VALU_DEP_1) | instskip(NEXT) | instid1(VALU_DEP_1)
	v_div_fmas_f64 v[3:4], v[3:4], v[7:8], v[9:10]
	v_div_fixup_f64 v[7:8], v[3:4], v[1:2], 1.0
                                        ; implicit-def: $vgpr1_vgpr2
	s_delay_alu instid0(VALU_DEP_1) | instskip(SKIP_1) | instid1(VALU_DEP_2)
	v_mul_f64 v[5:6], v[5:6], v[7:8]
	v_xor_b32_e32 v8, 0x80000000, v8
	v_xor_b32_e32 v10, 0x80000000, v6
	s_delay_alu instid0(VALU_DEP_3)
	v_mov_b32_e32 v9, v5
.LBB45_15:
	s_and_not1_saveexec_b32 s3, s3
	s_cbranch_execz .LBB45_17
; %bb.16:
	v_div_scale_f64 v[5:6], null, v[1:2], v[1:2], v[3:4]
	v_div_scale_f64 v[11:12], vcc_lo, v[3:4], v[1:2], v[3:4]
	s_delay_alu instid0(VALU_DEP_2) | instskip(SKIP_2) | instid1(VALU_DEP_1)
	v_rcp_f64_e32 v[7:8], v[5:6]
	s_waitcnt_depctr 0xfff
	v_fma_f64 v[9:10], -v[5:6], v[7:8], 1.0
	v_fma_f64 v[7:8], v[7:8], v[9:10], v[7:8]
	s_delay_alu instid0(VALU_DEP_1) | instskip(NEXT) | instid1(VALU_DEP_1)
	v_fma_f64 v[9:10], -v[5:6], v[7:8], 1.0
	v_fma_f64 v[7:8], v[7:8], v[9:10], v[7:8]
	s_delay_alu instid0(VALU_DEP_1) | instskip(NEXT) | instid1(VALU_DEP_1)
	v_mul_f64 v[9:10], v[11:12], v[7:8]
	v_fma_f64 v[5:6], -v[5:6], v[9:10], v[11:12]
	s_delay_alu instid0(VALU_DEP_1) | instskip(NEXT) | instid1(VALU_DEP_1)
	v_div_fmas_f64 v[5:6], v[5:6], v[7:8], v[9:10]
	v_div_fixup_f64 v[7:8], v[5:6], v[1:2], v[3:4]
	s_delay_alu instid0(VALU_DEP_1) | instskip(NEXT) | instid1(VALU_DEP_1)
	v_fma_f64 v[1:2], v[3:4], v[7:8], v[1:2]
	v_div_scale_f64 v[3:4], null, v[1:2], v[1:2], 1.0
	s_delay_alu instid0(VALU_DEP_1) | instskip(SKIP_2) | instid1(VALU_DEP_1)
	v_rcp_f64_e32 v[5:6], v[3:4]
	s_waitcnt_depctr 0xfff
	v_fma_f64 v[9:10], -v[3:4], v[5:6], 1.0
	v_fma_f64 v[5:6], v[5:6], v[9:10], v[5:6]
	s_delay_alu instid0(VALU_DEP_1) | instskip(NEXT) | instid1(VALU_DEP_1)
	v_fma_f64 v[9:10], -v[3:4], v[5:6], 1.0
	v_fma_f64 v[5:6], v[5:6], v[9:10], v[5:6]
	v_div_scale_f64 v[9:10], vcc_lo, 1.0, v[1:2], 1.0
	s_delay_alu instid0(VALU_DEP_1) | instskip(NEXT) | instid1(VALU_DEP_1)
	v_mul_f64 v[11:12], v[9:10], v[5:6]
	v_fma_f64 v[3:4], -v[3:4], v[11:12], v[9:10]
	s_delay_alu instid0(VALU_DEP_1) | instskip(NEXT) | instid1(VALU_DEP_1)
	v_div_fmas_f64 v[3:4], v[3:4], v[5:6], v[11:12]
	v_div_fixup_f64 v[5:6], v[3:4], v[1:2], 1.0
	s_delay_alu instid0(VALU_DEP_1)
	v_mul_f64 v[7:8], v[7:8], -v[5:6]
	v_xor_b32_e32 v10, 0x80000000, v6
	v_mov_b32_e32 v9, v5
.LBB45_17:
	s_or_b32 exec_lo, exec_lo, s3
	scratch_store_b128 v14, v[5:8], off
	scratch_load_b128 v[1:4], v183, off
	v_xor_b32_e32 v12, 0x80000000, v8
	v_mov_b32_e32 v11, v7
	v_add_nc_u32_e32 v5, 0x2e0, v13
	ds_store_b128 v13, v[9:12]
	s_waitcnt vmcnt(0)
	ds_store_b128 v13, v[1:4] offset:736
	s_waitcnt lgkmcnt(0)
	s_waitcnt_vscnt null, 0x0
	s_barrier
	buffer_gl0_inv
	s_and_saveexec_b32 s3, s2
	s_cbranch_execz .LBB45_19
; %bb.18:
	scratch_load_b128 v[1:4], v14, off
	ds_load_b128 v[6:9], v5
	v_mov_b32_e32 v10, 0
	ds_load_b128 v[15:18], v10 offset:16
	s_waitcnt vmcnt(0) lgkmcnt(1)
	v_mul_f64 v[10:11], v[6:7], v[3:4]
	v_mul_f64 v[3:4], v[8:9], v[3:4]
	s_delay_alu instid0(VALU_DEP_2) | instskip(NEXT) | instid1(VALU_DEP_2)
	v_fma_f64 v[8:9], v[8:9], v[1:2], v[10:11]
	v_fma_f64 v[1:2], v[6:7], v[1:2], -v[3:4]
	s_delay_alu instid0(VALU_DEP_2) | instskip(NEXT) | instid1(VALU_DEP_2)
	v_add_f64 v[3:4], v[8:9], 0
	v_add_f64 v[1:2], v[1:2], 0
	s_waitcnt lgkmcnt(0)
	s_delay_alu instid0(VALU_DEP_2) | instskip(NEXT) | instid1(VALU_DEP_2)
	v_mul_f64 v[6:7], v[3:4], v[17:18]
	v_mul_f64 v[8:9], v[1:2], v[17:18]
	s_delay_alu instid0(VALU_DEP_2) | instskip(NEXT) | instid1(VALU_DEP_2)
	v_fma_f64 v[1:2], v[1:2], v[15:16], -v[6:7]
	v_fma_f64 v[3:4], v[3:4], v[15:16], v[8:9]
	scratch_store_b128 off, v[1:4], off offset:16
.LBB45_19:
	s_or_b32 exec_lo, exec_lo, s3
	s_waitcnt_vscnt null, 0x0
	s_barrier
	buffer_gl0_inv
	scratch_load_b128 v[1:4], v182, off
	s_mov_b32 s3, exec_lo
	s_waitcnt vmcnt(0)
	ds_store_b128 v5, v[1:4]
	s_waitcnt lgkmcnt(0)
	s_barrier
	buffer_gl0_inv
	v_cmpx_gt_u32_e32 2, v138
	s_cbranch_execz .LBB45_23
; %bb.20:
	scratch_load_b128 v[1:4], v14, off
	ds_load_b128 v[6:9], v5
	s_waitcnt vmcnt(0) lgkmcnt(0)
	v_mul_f64 v[10:11], v[8:9], v[3:4]
	v_mul_f64 v[3:4], v[6:7], v[3:4]
	s_delay_alu instid0(VALU_DEP_2) | instskip(NEXT) | instid1(VALU_DEP_2)
	v_fma_f64 v[6:7], v[6:7], v[1:2], -v[10:11]
	v_fma_f64 v[3:4], v[8:9], v[1:2], v[3:4]
	s_delay_alu instid0(VALU_DEP_2) | instskip(NEXT) | instid1(VALU_DEP_2)
	v_add_f64 v[1:2], v[6:7], 0
	v_add_f64 v[3:4], v[3:4], 0
	s_and_saveexec_b32 s4, s2
	s_cbranch_execz .LBB45_22
; %bb.21:
	scratch_load_b128 v[6:9], off, off offset:16
	v_mov_b32_e32 v10, 0
	ds_load_b128 v[15:18], v10 offset:752
	s_waitcnt vmcnt(0) lgkmcnt(0)
	v_mul_f64 v[10:11], v[15:16], v[8:9]
	v_mul_f64 v[8:9], v[17:18], v[8:9]
	s_delay_alu instid0(VALU_DEP_2) | instskip(NEXT) | instid1(VALU_DEP_2)
	v_fma_f64 v[10:11], v[17:18], v[6:7], v[10:11]
	v_fma_f64 v[6:7], v[15:16], v[6:7], -v[8:9]
	s_delay_alu instid0(VALU_DEP_2) | instskip(NEXT) | instid1(VALU_DEP_2)
	v_add_f64 v[3:4], v[3:4], v[10:11]
	v_add_f64 v[1:2], v[1:2], v[6:7]
.LBB45_22:
	s_or_b32 exec_lo, exec_lo, s4
	v_mov_b32_e32 v6, 0
	ds_load_b128 v[6:9], v6 offset:32
	s_waitcnt lgkmcnt(0)
	v_mul_f64 v[10:11], v[3:4], v[8:9]
	v_mul_f64 v[8:9], v[1:2], v[8:9]
	s_delay_alu instid0(VALU_DEP_2) | instskip(NEXT) | instid1(VALU_DEP_2)
	v_fma_f64 v[1:2], v[1:2], v[6:7], -v[10:11]
	v_fma_f64 v[3:4], v[3:4], v[6:7], v[8:9]
	scratch_store_b128 off, v[1:4], off offset:32
.LBB45_23:
	s_or_b32 exec_lo, exec_lo, s3
	s_waitcnt_vscnt null, 0x0
	s_barrier
	buffer_gl0_inv
	scratch_load_b128 v[1:4], v181, off
	v_add_nc_u32_e32 v6, -1, v138
	s_mov_b32 s2, exec_lo
	s_waitcnt vmcnt(0)
	ds_store_b128 v5, v[1:4]
	s_waitcnt lgkmcnt(0)
	s_barrier
	buffer_gl0_inv
	v_cmpx_gt_u32_e32 3, v138
	s_cbranch_execz .LBB45_27
; %bb.24:
	v_dual_mov_b32 v1, 0 :: v_dual_add_nc_u32 v8, 0x2e0, v13
	v_dual_mov_b32 v2, 0 :: v_dual_add_nc_u32 v7, -1, v138
	v_or_b32_e32 v9, 8, v14
	s_mov_b32 s3, 0
	s_delay_alu instid0(VALU_DEP_2)
	v_dual_mov_b32 v4, v2 :: v_dual_mov_b32 v3, v1
	.p2align	6
.LBB45_25:                              ; =>This Inner Loop Header: Depth=1
	scratch_load_b128 v[15:18], v9, off offset:-8
	ds_load_b128 v[19:22], v8
	v_add_nc_u32_e32 v7, 1, v7
	v_add_nc_u32_e32 v8, 16, v8
	;; [unrolled: 1-line block ×3, first 2 shown]
	s_delay_alu instid0(VALU_DEP_3) | instskip(SKIP_4) | instid1(VALU_DEP_2)
	v_cmp_lt_u32_e32 vcc_lo, 1, v7
	s_or_b32 s3, vcc_lo, s3
	s_waitcnt vmcnt(0) lgkmcnt(0)
	v_mul_f64 v[10:11], v[21:22], v[17:18]
	v_mul_f64 v[17:18], v[19:20], v[17:18]
	v_fma_f64 v[10:11], v[19:20], v[15:16], -v[10:11]
	s_delay_alu instid0(VALU_DEP_2) | instskip(NEXT) | instid1(VALU_DEP_2)
	v_fma_f64 v[15:16], v[21:22], v[15:16], v[17:18]
	v_add_f64 v[3:4], v[3:4], v[10:11]
	s_delay_alu instid0(VALU_DEP_2)
	v_add_f64 v[1:2], v[1:2], v[15:16]
	s_and_not1_b32 exec_lo, exec_lo, s3
	s_cbranch_execnz .LBB45_25
; %bb.26:
	s_or_b32 exec_lo, exec_lo, s3
	v_mov_b32_e32 v7, 0
	ds_load_b128 v[7:10], v7 offset:48
	s_waitcnt lgkmcnt(0)
	v_mul_f64 v[11:12], v[1:2], v[9:10]
	v_mul_f64 v[15:16], v[3:4], v[9:10]
	s_delay_alu instid0(VALU_DEP_2) | instskip(NEXT) | instid1(VALU_DEP_2)
	v_fma_f64 v[9:10], v[3:4], v[7:8], -v[11:12]
	v_fma_f64 v[11:12], v[1:2], v[7:8], v[15:16]
	scratch_store_b128 off, v[9:12], off offset:48
.LBB45_27:
	s_or_b32 exec_lo, exec_lo, s2
	s_waitcnt_vscnt null, 0x0
	s_barrier
	buffer_gl0_inv
	scratch_load_b128 v[1:4], v180, off
	s_mov_b32 s2, exec_lo
	s_waitcnt vmcnt(0)
	ds_store_b128 v5, v[1:4]
	s_waitcnt lgkmcnt(0)
	s_barrier
	buffer_gl0_inv
	v_cmpx_gt_u32_e32 4, v138
	s_cbranch_execz .LBB45_31
; %bb.28:
	v_dual_mov_b32 v1, 0 :: v_dual_add_nc_u32 v8, 0x2e0, v13
	v_dual_mov_b32 v2, 0 :: v_dual_add_nc_u32 v7, -1, v138
	v_or_b32_e32 v9, 8, v14
	s_mov_b32 s3, 0
	s_delay_alu instid0(VALU_DEP_2)
	v_dual_mov_b32 v4, v2 :: v_dual_mov_b32 v3, v1
	.p2align	6
.LBB45_29:                              ; =>This Inner Loop Header: Depth=1
	scratch_load_b128 v[15:18], v9, off offset:-8
	ds_load_b128 v[19:22], v8
	v_add_nc_u32_e32 v7, 1, v7
	v_add_nc_u32_e32 v8, 16, v8
	;; [unrolled: 1-line block ×3, first 2 shown]
	s_delay_alu instid0(VALU_DEP_3) | instskip(SKIP_4) | instid1(VALU_DEP_2)
	v_cmp_lt_u32_e32 vcc_lo, 2, v7
	s_or_b32 s3, vcc_lo, s3
	s_waitcnt vmcnt(0) lgkmcnt(0)
	v_mul_f64 v[10:11], v[21:22], v[17:18]
	v_mul_f64 v[17:18], v[19:20], v[17:18]
	v_fma_f64 v[10:11], v[19:20], v[15:16], -v[10:11]
	s_delay_alu instid0(VALU_DEP_2) | instskip(NEXT) | instid1(VALU_DEP_2)
	v_fma_f64 v[15:16], v[21:22], v[15:16], v[17:18]
	v_add_f64 v[3:4], v[3:4], v[10:11]
	s_delay_alu instid0(VALU_DEP_2)
	v_add_f64 v[1:2], v[1:2], v[15:16]
	s_and_not1_b32 exec_lo, exec_lo, s3
	s_cbranch_execnz .LBB45_29
; %bb.30:
	s_or_b32 exec_lo, exec_lo, s3
	v_mov_b32_e32 v7, 0
	ds_load_b128 v[7:10], v7 offset:64
	s_waitcnt lgkmcnt(0)
	v_mul_f64 v[11:12], v[1:2], v[9:10]
	v_mul_f64 v[15:16], v[3:4], v[9:10]
	s_delay_alu instid0(VALU_DEP_2) | instskip(NEXT) | instid1(VALU_DEP_2)
	v_fma_f64 v[9:10], v[3:4], v[7:8], -v[11:12]
	v_fma_f64 v[11:12], v[1:2], v[7:8], v[15:16]
	scratch_store_b128 off, v[9:12], off offset:64
.LBB45_31:
	s_or_b32 exec_lo, exec_lo, s2
	s_waitcnt_vscnt null, 0x0
	s_barrier
	buffer_gl0_inv
	scratch_load_b128 v[1:4], v179, off
	s_mov_b32 s2, exec_lo
	s_waitcnt vmcnt(0)
	ds_store_b128 v5, v[1:4]
	s_waitcnt lgkmcnt(0)
	s_barrier
	buffer_gl0_inv
	v_cmpx_gt_u32_e32 5, v138
	s_cbranch_execz .LBB45_35
; %bb.32:
	v_dual_mov_b32 v1, 0 :: v_dual_add_nc_u32 v8, 0x2e0, v13
	v_dual_mov_b32 v2, 0 :: v_dual_add_nc_u32 v7, -1, v138
	v_or_b32_e32 v9, 8, v14
	s_mov_b32 s3, 0
	s_delay_alu instid0(VALU_DEP_2)
	v_dual_mov_b32 v4, v2 :: v_dual_mov_b32 v3, v1
	.p2align	6
.LBB45_33:                              ; =>This Inner Loop Header: Depth=1
	scratch_load_b128 v[15:18], v9, off offset:-8
	ds_load_b128 v[19:22], v8
	v_add_nc_u32_e32 v7, 1, v7
	v_add_nc_u32_e32 v8, 16, v8
	;; [unrolled: 1-line block ×3, first 2 shown]
	s_delay_alu instid0(VALU_DEP_3) | instskip(SKIP_4) | instid1(VALU_DEP_2)
	v_cmp_lt_u32_e32 vcc_lo, 3, v7
	s_or_b32 s3, vcc_lo, s3
	s_waitcnt vmcnt(0) lgkmcnt(0)
	v_mul_f64 v[10:11], v[21:22], v[17:18]
	v_mul_f64 v[17:18], v[19:20], v[17:18]
	v_fma_f64 v[10:11], v[19:20], v[15:16], -v[10:11]
	s_delay_alu instid0(VALU_DEP_2) | instskip(NEXT) | instid1(VALU_DEP_2)
	v_fma_f64 v[15:16], v[21:22], v[15:16], v[17:18]
	v_add_f64 v[3:4], v[3:4], v[10:11]
	s_delay_alu instid0(VALU_DEP_2)
	v_add_f64 v[1:2], v[1:2], v[15:16]
	s_and_not1_b32 exec_lo, exec_lo, s3
	s_cbranch_execnz .LBB45_33
; %bb.34:
	s_or_b32 exec_lo, exec_lo, s3
	v_mov_b32_e32 v7, 0
	ds_load_b128 v[7:10], v7 offset:80
	s_waitcnt lgkmcnt(0)
	v_mul_f64 v[11:12], v[1:2], v[9:10]
	v_mul_f64 v[15:16], v[3:4], v[9:10]
	s_delay_alu instid0(VALU_DEP_2) | instskip(NEXT) | instid1(VALU_DEP_2)
	v_fma_f64 v[9:10], v[3:4], v[7:8], -v[11:12]
	v_fma_f64 v[11:12], v[1:2], v[7:8], v[15:16]
	scratch_store_b128 off, v[9:12], off offset:80
.LBB45_35:
	s_or_b32 exec_lo, exec_lo, s2
	s_waitcnt_vscnt null, 0x0
	s_barrier
	buffer_gl0_inv
	scratch_load_b128 v[1:4], v178, off
	s_mov_b32 s2, exec_lo
	s_waitcnt vmcnt(0)
	ds_store_b128 v5, v[1:4]
	s_waitcnt lgkmcnt(0)
	s_barrier
	buffer_gl0_inv
	v_cmpx_gt_u32_e32 6, v138
	s_cbranch_execz .LBB45_39
; %bb.36:
	v_dual_mov_b32 v1, 0 :: v_dual_add_nc_u32 v8, 0x2e0, v13
	v_dual_mov_b32 v2, 0 :: v_dual_add_nc_u32 v7, -1, v138
	v_or_b32_e32 v9, 8, v14
	s_mov_b32 s3, 0
	s_delay_alu instid0(VALU_DEP_2)
	v_dual_mov_b32 v4, v2 :: v_dual_mov_b32 v3, v1
	.p2align	6
.LBB45_37:                              ; =>This Inner Loop Header: Depth=1
	scratch_load_b128 v[15:18], v9, off offset:-8
	ds_load_b128 v[19:22], v8
	v_add_nc_u32_e32 v7, 1, v7
	v_add_nc_u32_e32 v8, 16, v8
	;; [unrolled: 1-line block ×3, first 2 shown]
	s_delay_alu instid0(VALU_DEP_3) | instskip(SKIP_4) | instid1(VALU_DEP_2)
	v_cmp_lt_u32_e32 vcc_lo, 4, v7
	s_or_b32 s3, vcc_lo, s3
	s_waitcnt vmcnt(0) lgkmcnt(0)
	v_mul_f64 v[10:11], v[21:22], v[17:18]
	v_mul_f64 v[17:18], v[19:20], v[17:18]
	v_fma_f64 v[10:11], v[19:20], v[15:16], -v[10:11]
	s_delay_alu instid0(VALU_DEP_2) | instskip(NEXT) | instid1(VALU_DEP_2)
	v_fma_f64 v[15:16], v[21:22], v[15:16], v[17:18]
	v_add_f64 v[3:4], v[3:4], v[10:11]
	s_delay_alu instid0(VALU_DEP_2)
	v_add_f64 v[1:2], v[1:2], v[15:16]
	s_and_not1_b32 exec_lo, exec_lo, s3
	s_cbranch_execnz .LBB45_37
; %bb.38:
	s_or_b32 exec_lo, exec_lo, s3
	v_mov_b32_e32 v7, 0
	ds_load_b128 v[7:10], v7 offset:96
	s_waitcnt lgkmcnt(0)
	v_mul_f64 v[11:12], v[1:2], v[9:10]
	v_mul_f64 v[15:16], v[3:4], v[9:10]
	s_delay_alu instid0(VALU_DEP_2) | instskip(NEXT) | instid1(VALU_DEP_2)
	v_fma_f64 v[9:10], v[3:4], v[7:8], -v[11:12]
	v_fma_f64 v[11:12], v[1:2], v[7:8], v[15:16]
	scratch_store_b128 off, v[9:12], off offset:96
.LBB45_39:
	s_or_b32 exec_lo, exec_lo, s2
	s_waitcnt_vscnt null, 0x0
	s_barrier
	buffer_gl0_inv
	scratch_load_b128 v[1:4], v177, off
	s_mov_b32 s2, exec_lo
	s_waitcnt vmcnt(0)
	ds_store_b128 v5, v[1:4]
	s_waitcnt lgkmcnt(0)
	s_barrier
	buffer_gl0_inv
	v_cmpx_gt_u32_e32 7, v138
	s_cbranch_execz .LBB45_43
; %bb.40:
	v_dual_mov_b32 v1, 0 :: v_dual_add_nc_u32 v8, 0x2e0, v13
	v_dual_mov_b32 v2, 0 :: v_dual_add_nc_u32 v7, -1, v138
	v_or_b32_e32 v9, 8, v14
	s_mov_b32 s3, 0
	s_delay_alu instid0(VALU_DEP_2)
	v_dual_mov_b32 v4, v2 :: v_dual_mov_b32 v3, v1
	.p2align	6
.LBB45_41:                              ; =>This Inner Loop Header: Depth=1
	scratch_load_b128 v[15:18], v9, off offset:-8
	ds_load_b128 v[19:22], v8
	v_add_nc_u32_e32 v7, 1, v7
	v_add_nc_u32_e32 v8, 16, v8
	;; [unrolled: 1-line block ×3, first 2 shown]
	s_delay_alu instid0(VALU_DEP_3) | instskip(SKIP_4) | instid1(VALU_DEP_2)
	v_cmp_lt_u32_e32 vcc_lo, 5, v7
	s_or_b32 s3, vcc_lo, s3
	s_waitcnt vmcnt(0) lgkmcnt(0)
	v_mul_f64 v[10:11], v[21:22], v[17:18]
	v_mul_f64 v[17:18], v[19:20], v[17:18]
	v_fma_f64 v[10:11], v[19:20], v[15:16], -v[10:11]
	s_delay_alu instid0(VALU_DEP_2) | instskip(NEXT) | instid1(VALU_DEP_2)
	v_fma_f64 v[15:16], v[21:22], v[15:16], v[17:18]
	v_add_f64 v[3:4], v[3:4], v[10:11]
	s_delay_alu instid0(VALU_DEP_2)
	v_add_f64 v[1:2], v[1:2], v[15:16]
	s_and_not1_b32 exec_lo, exec_lo, s3
	s_cbranch_execnz .LBB45_41
; %bb.42:
	s_or_b32 exec_lo, exec_lo, s3
	v_mov_b32_e32 v7, 0
	ds_load_b128 v[7:10], v7 offset:112
	s_waitcnt lgkmcnt(0)
	v_mul_f64 v[11:12], v[1:2], v[9:10]
	v_mul_f64 v[15:16], v[3:4], v[9:10]
	s_delay_alu instid0(VALU_DEP_2) | instskip(NEXT) | instid1(VALU_DEP_2)
	v_fma_f64 v[9:10], v[3:4], v[7:8], -v[11:12]
	v_fma_f64 v[11:12], v[1:2], v[7:8], v[15:16]
	scratch_store_b128 off, v[9:12], off offset:112
.LBB45_43:
	s_or_b32 exec_lo, exec_lo, s2
	s_waitcnt_vscnt null, 0x0
	s_barrier
	buffer_gl0_inv
	scratch_load_b128 v[1:4], v176, off
	s_mov_b32 s2, exec_lo
	s_waitcnt vmcnt(0)
	ds_store_b128 v5, v[1:4]
	s_waitcnt lgkmcnt(0)
	s_barrier
	buffer_gl0_inv
	v_cmpx_gt_u32_e32 8, v138
	s_cbranch_execz .LBB45_47
; %bb.44:
	v_dual_mov_b32 v1, 0 :: v_dual_add_nc_u32 v8, 0x2e0, v13
	v_dual_mov_b32 v2, 0 :: v_dual_add_nc_u32 v7, -1, v138
	v_or_b32_e32 v9, 8, v14
	s_mov_b32 s3, 0
	s_delay_alu instid0(VALU_DEP_2)
	v_dual_mov_b32 v4, v2 :: v_dual_mov_b32 v3, v1
	.p2align	6
.LBB45_45:                              ; =>This Inner Loop Header: Depth=1
	scratch_load_b128 v[15:18], v9, off offset:-8
	ds_load_b128 v[19:22], v8
	v_add_nc_u32_e32 v7, 1, v7
	v_add_nc_u32_e32 v8, 16, v8
	v_add_nc_u32_e32 v9, 16, v9
	s_delay_alu instid0(VALU_DEP_3) | instskip(SKIP_4) | instid1(VALU_DEP_2)
	v_cmp_lt_u32_e32 vcc_lo, 6, v7
	s_or_b32 s3, vcc_lo, s3
	s_waitcnt vmcnt(0) lgkmcnt(0)
	v_mul_f64 v[10:11], v[21:22], v[17:18]
	v_mul_f64 v[17:18], v[19:20], v[17:18]
	v_fma_f64 v[10:11], v[19:20], v[15:16], -v[10:11]
	s_delay_alu instid0(VALU_DEP_2) | instskip(NEXT) | instid1(VALU_DEP_2)
	v_fma_f64 v[15:16], v[21:22], v[15:16], v[17:18]
	v_add_f64 v[3:4], v[3:4], v[10:11]
	s_delay_alu instid0(VALU_DEP_2)
	v_add_f64 v[1:2], v[1:2], v[15:16]
	s_and_not1_b32 exec_lo, exec_lo, s3
	s_cbranch_execnz .LBB45_45
; %bb.46:
	s_or_b32 exec_lo, exec_lo, s3
	v_mov_b32_e32 v7, 0
	ds_load_b128 v[7:10], v7 offset:128
	s_waitcnt lgkmcnt(0)
	v_mul_f64 v[11:12], v[1:2], v[9:10]
	v_mul_f64 v[15:16], v[3:4], v[9:10]
	s_delay_alu instid0(VALU_DEP_2) | instskip(NEXT) | instid1(VALU_DEP_2)
	v_fma_f64 v[9:10], v[3:4], v[7:8], -v[11:12]
	v_fma_f64 v[11:12], v[1:2], v[7:8], v[15:16]
	scratch_store_b128 off, v[9:12], off offset:128
.LBB45_47:
	s_or_b32 exec_lo, exec_lo, s2
	s_waitcnt_vscnt null, 0x0
	s_barrier
	buffer_gl0_inv
	scratch_load_b128 v[1:4], v175, off
	s_mov_b32 s2, exec_lo
	s_waitcnt vmcnt(0)
	ds_store_b128 v5, v[1:4]
	s_waitcnt lgkmcnt(0)
	s_barrier
	buffer_gl0_inv
	v_cmpx_gt_u32_e32 9, v138
	s_cbranch_execz .LBB45_51
; %bb.48:
	v_dual_mov_b32 v1, 0 :: v_dual_add_nc_u32 v8, 0x2e0, v13
	v_dual_mov_b32 v2, 0 :: v_dual_add_nc_u32 v7, -1, v138
	v_or_b32_e32 v9, 8, v14
	s_mov_b32 s3, 0
	s_delay_alu instid0(VALU_DEP_2)
	v_dual_mov_b32 v4, v2 :: v_dual_mov_b32 v3, v1
	.p2align	6
.LBB45_49:                              ; =>This Inner Loop Header: Depth=1
	scratch_load_b128 v[15:18], v9, off offset:-8
	ds_load_b128 v[19:22], v8
	v_add_nc_u32_e32 v7, 1, v7
	v_add_nc_u32_e32 v8, 16, v8
	;; [unrolled: 1-line block ×3, first 2 shown]
	s_delay_alu instid0(VALU_DEP_3) | instskip(SKIP_4) | instid1(VALU_DEP_2)
	v_cmp_lt_u32_e32 vcc_lo, 7, v7
	s_or_b32 s3, vcc_lo, s3
	s_waitcnt vmcnt(0) lgkmcnt(0)
	v_mul_f64 v[10:11], v[21:22], v[17:18]
	v_mul_f64 v[17:18], v[19:20], v[17:18]
	v_fma_f64 v[10:11], v[19:20], v[15:16], -v[10:11]
	s_delay_alu instid0(VALU_DEP_2) | instskip(NEXT) | instid1(VALU_DEP_2)
	v_fma_f64 v[15:16], v[21:22], v[15:16], v[17:18]
	v_add_f64 v[3:4], v[3:4], v[10:11]
	s_delay_alu instid0(VALU_DEP_2)
	v_add_f64 v[1:2], v[1:2], v[15:16]
	s_and_not1_b32 exec_lo, exec_lo, s3
	s_cbranch_execnz .LBB45_49
; %bb.50:
	s_or_b32 exec_lo, exec_lo, s3
	v_mov_b32_e32 v7, 0
	ds_load_b128 v[7:10], v7 offset:144
	s_waitcnt lgkmcnt(0)
	v_mul_f64 v[11:12], v[1:2], v[9:10]
	v_mul_f64 v[15:16], v[3:4], v[9:10]
	s_delay_alu instid0(VALU_DEP_2) | instskip(NEXT) | instid1(VALU_DEP_2)
	v_fma_f64 v[9:10], v[3:4], v[7:8], -v[11:12]
	v_fma_f64 v[11:12], v[1:2], v[7:8], v[15:16]
	scratch_store_b128 off, v[9:12], off offset:144
.LBB45_51:
	s_or_b32 exec_lo, exec_lo, s2
	s_waitcnt_vscnt null, 0x0
	s_barrier
	buffer_gl0_inv
	scratch_load_b128 v[1:4], v174, off
	s_mov_b32 s2, exec_lo
	s_waitcnt vmcnt(0)
	ds_store_b128 v5, v[1:4]
	s_waitcnt lgkmcnt(0)
	s_barrier
	buffer_gl0_inv
	v_cmpx_gt_u32_e32 10, v138
	s_cbranch_execz .LBB45_55
; %bb.52:
	v_dual_mov_b32 v1, 0 :: v_dual_add_nc_u32 v8, 0x2e0, v13
	v_dual_mov_b32 v2, 0 :: v_dual_add_nc_u32 v7, -1, v138
	v_or_b32_e32 v9, 8, v14
	s_mov_b32 s3, 0
	s_delay_alu instid0(VALU_DEP_2)
	v_dual_mov_b32 v4, v2 :: v_dual_mov_b32 v3, v1
	.p2align	6
.LBB45_53:                              ; =>This Inner Loop Header: Depth=1
	scratch_load_b128 v[15:18], v9, off offset:-8
	ds_load_b128 v[19:22], v8
	v_add_nc_u32_e32 v7, 1, v7
	v_add_nc_u32_e32 v8, 16, v8
	;; [unrolled: 1-line block ×3, first 2 shown]
	s_delay_alu instid0(VALU_DEP_3) | instskip(SKIP_4) | instid1(VALU_DEP_2)
	v_cmp_lt_u32_e32 vcc_lo, 8, v7
	s_or_b32 s3, vcc_lo, s3
	s_waitcnt vmcnt(0) lgkmcnt(0)
	v_mul_f64 v[10:11], v[21:22], v[17:18]
	v_mul_f64 v[17:18], v[19:20], v[17:18]
	v_fma_f64 v[10:11], v[19:20], v[15:16], -v[10:11]
	s_delay_alu instid0(VALU_DEP_2) | instskip(NEXT) | instid1(VALU_DEP_2)
	v_fma_f64 v[15:16], v[21:22], v[15:16], v[17:18]
	v_add_f64 v[3:4], v[3:4], v[10:11]
	s_delay_alu instid0(VALU_DEP_2)
	v_add_f64 v[1:2], v[1:2], v[15:16]
	s_and_not1_b32 exec_lo, exec_lo, s3
	s_cbranch_execnz .LBB45_53
; %bb.54:
	s_or_b32 exec_lo, exec_lo, s3
	v_mov_b32_e32 v7, 0
	ds_load_b128 v[7:10], v7 offset:160
	s_waitcnt lgkmcnt(0)
	v_mul_f64 v[11:12], v[1:2], v[9:10]
	v_mul_f64 v[15:16], v[3:4], v[9:10]
	s_delay_alu instid0(VALU_DEP_2) | instskip(NEXT) | instid1(VALU_DEP_2)
	v_fma_f64 v[9:10], v[3:4], v[7:8], -v[11:12]
	v_fma_f64 v[11:12], v[1:2], v[7:8], v[15:16]
	scratch_store_b128 off, v[9:12], off offset:160
.LBB45_55:
	s_or_b32 exec_lo, exec_lo, s2
	s_waitcnt_vscnt null, 0x0
	s_barrier
	buffer_gl0_inv
	scratch_load_b128 v[1:4], v173, off
	s_mov_b32 s2, exec_lo
	s_waitcnt vmcnt(0)
	ds_store_b128 v5, v[1:4]
	s_waitcnt lgkmcnt(0)
	s_barrier
	buffer_gl0_inv
	v_cmpx_gt_u32_e32 11, v138
	s_cbranch_execz .LBB45_59
; %bb.56:
	v_dual_mov_b32 v1, 0 :: v_dual_add_nc_u32 v8, 0x2e0, v13
	v_dual_mov_b32 v2, 0 :: v_dual_add_nc_u32 v7, -1, v138
	v_or_b32_e32 v9, 8, v14
	s_mov_b32 s3, 0
	s_delay_alu instid0(VALU_DEP_2)
	v_dual_mov_b32 v4, v2 :: v_dual_mov_b32 v3, v1
	.p2align	6
.LBB45_57:                              ; =>This Inner Loop Header: Depth=1
	scratch_load_b128 v[15:18], v9, off offset:-8
	ds_load_b128 v[19:22], v8
	v_add_nc_u32_e32 v7, 1, v7
	v_add_nc_u32_e32 v8, 16, v8
	;; [unrolled: 1-line block ×3, first 2 shown]
	s_delay_alu instid0(VALU_DEP_3) | instskip(SKIP_4) | instid1(VALU_DEP_2)
	v_cmp_lt_u32_e32 vcc_lo, 9, v7
	s_or_b32 s3, vcc_lo, s3
	s_waitcnt vmcnt(0) lgkmcnt(0)
	v_mul_f64 v[10:11], v[21:22], v[17:18]
	v_mul_f64 v[17:18], v[19:20], v[17:18]
	v_fma_f64 v[10:11], v[19:20], v[15:16], -v[10:11]
	s_delay_alu instid0(VALU_DEP_2) | instskip(NEXT) | instid1(VALU_DEP_2)
	v_fma_f64 v[15:16], v[21:22], v[15:16], v[17:18]
	v_add_f64 v[3:4], v[3:4], v[10:11]
	s_delay_alu instid0(VALU_DEP_2)
	v_add_f64 v[1:2], v[1:2], v[15:16]
	s_and_not1_b32 exec_lo, exec_lo, s3
	s_cbranch_execnz .LBB45_57
; %bb.58:
	s_or_b32 exec_lo, exec_lo, s3
	v_mov_b32_e32 v7, 0
	ds_load_b128 v[7:10], v7 offset:176
	s_waitcnt lgkmcnt(0)
	v_mul_f64 v[11:12], v[1:2], v[9:10]
	v_mul_f64 v[15:16], v[3:4], v[9:10]
	s_delay_alu instid0(VALU_DEP_2) | instskip(NEXT) | instid1(VALU_DEP_2)
	v_fma_f64 v[9:10], v[3:4], v[7:8], -v[11:12]
	v_fma_f64 v[11:12], v[1:2], v[7:8], v[15:16]
	scratch_store_b128 off, v[9:12], off offset:176
.LBB45_59:
	s_or_b32 exec_lo, exec_lo, s2
	s_waitcnt_vscnt null, 0x0
	s_barrier
	buffer_gl0_inv
	scratch_load_b128 v[1:4], v172, off
	s_mov_b32 s2, exec_lo
	s_waitcnt vmcnt(0)
	ds_store_b128 v5, v[1:4]
	s_waitcnt lgkmcnt(0)
	s_barrier
	buffer_gl0_inv
	v_cmpx_gt_u32_e32 12, v138
	s_cbranch_execz .LBB45_63
; %bb.60:
	v_dual_mov_b32 v1, 0 :: v_dual_add_nc_u32 v8, 0x2e0, v13
	v_dual_mov_b32 v2, 0 :: v_dual_add_nc_u32 v7, -1, v138
	v_or_b32_e32 v9, 8, v14
	s_mov_b32 s3, 0
	s_delay_alu instid0(VALU_DEP_2)
	v_dual_mov_b32 v4, v2 :: v_dual_mov_b32 v3, v1
	.p2align	6
.LBB45_61:                              ; =>This Inner Loop Header: Depth=1
	scratch_load_b128 v[15:18], v9, off offset:-8
	ds_load_b128 v[19:22], v8
	v_add_nc_u32_e32 v7, 1, v7
	v_add_nc_u32_e32 v8, 16, v8
	;; [unrolled: 1-line block ×3, first 2 shown]
	s_delay_alu instid0(VALU_DEP_3) | instskip(SKIP_4) | instid1(VALU_DEP_2)
	v_cmp_lt_u32_e32 vcc_lo, 10, v7
	s_or_b32 s3, vcc_lo, s3
	s_waitcnt vmcnt(0) lgkmcnt(0)
	v_mul_f64 v[10:11], v[21:22], v[17:18]
	v_mul_f64 v[17:18], v[19:20], v[17:18]
	v_fma_f64 v[10:11], v[19:20], v[15:16], -v[10:11]
	s_delay_alu instid0(VALU_DEP_2) | instskip(NEXT) | instid1(VALU_DEP_2)
	v_fma_f64 v[15:16], v[21:22], v[15:16], v[17:18]
	v_add_f64 v[3:4], v[3:4], v[10:11]
	s_delay_alu instid0(VALU_DEP_2)
	v_add_f64 v[1:2], v[1:2], v[15:16]
	s_and_not1_b32 exec_lo, exec_lo, s3
	s_cbranch_execnz .LBB45_61
; %bb.62:
	s_or_b32 exec_lo, exec_lo, s3
	v_mov_b32_e32 v7, 0
	ds_load_b128 v[7:10], v7 offset:192
	s_waitcnt lgkmcnt(0)
	v_mul_f64 v[11:12], v[1:2], v[9:10]
	v_mul_f64 v[15:16], v[3:4], v[9:10]
	s_delay_alu instid0(VALU_DEP_2) | instskip(NEXT) | instid1(VALU_DEP_2)
	v_fma_f64 v[9:10], v[3:4], v[7:8], -v[11:12]
	v_fma_f64 v[11:12], v[1:2], v[7:8], v[15:16]
	scratch_store_b128 off, v[9:12], off offset:192
.LBB45_63:
	s_or_b32 exec_lo, exec_lo, s2
	s_waitcnt_vscnt null, 0x0
	s_barrier
	buffer_gl0_inv
	scratch_load_b128 v[1:4], v171, off
	s_mov_b32 s2, exec_lo
	s_waitcnt vmcnt(0)
	ds_store_b128 v5, v[1:4]
	s_waitcnt lgkmcnt(0)
	s_barrier
	buffer_gl0_inv
	v_cmpx_gt_u32_e32 13, v138
	s_cbranch_execz .LBB45_67
; %bb.64:
	v_dual_mov_b32 v1, 0 :: v_dual_add_nc_u32 v8, 0x2e0, v13
	v_dual_mov_b32 v2, 0 :: v_dual_add_nc_u32 v7, -1, v138
	v_or_b32_e32 v9, 8, v14
	s_mov_b32 s3, 0
	s_delay_alu instid0(VALU_DEP_2)
	v_dual_mov_b32 v4, v2 :: v_dual_mov_b32 v3, v1
	.p2align	6
.LBB45_65:                              ; =>This Inner Loop Header: Depth=1
	scratch_load_b128 v[15:18], v9, off offset:-8
	ds_load_b128 v[19:22], v8
	v_add_nc_u32_e32 v7, 1, v7
	v_add_nc_u32_e32 v8, 16, v8
	;; [unrolled: 1-line block ×3, first 2 shown]
	s_delay_alu instid0(VALU_DEP_3) | instskip(SKIP_4) | instid1(VALU_DEP_2)
	v_cmp_lt_u32_e32 vcc_lo, 11, v7
	s_or_b32 s3, vcc_lo, s3
	s_waitcnt vmcnt(0) lgkmcnt(0)
	v_mul_f64 v[10:11], v[21:22], v[17:18]
	v_mul_f64 v[17:18], v[19:20], v[17:18]
	v_fma_f64 v[10:11], v[19:20], v[15:16], -v[10:11]
	s_delay_alu instid0(VALU_DEP_2) | instskip(NEXT) | instid1(VALU_DEP_2)
	v_fma_f64 v[15:16], v[21:22], v[15:16], v[17:18]
	v_add_f64 v[3:4], v[3:4], v[10:11]
	s_delay_alu instid0(VALU_DEP_2)
	v_add_f64 v[1:2], v[1:2], v[15:16]
	s_and_not1_b32 exec_lo, exec_lo, s3
	s_cbranch_execnz .LBB45_65
; %bb.66:
	s_or_b32 exec_lo, exec_lo, s3
	v_mov_b32_e32 v7, 0
	ds_load_b128 v[7:10], v7 offset:208
	s_waitcnt lgkmcnt(0)
	v_mul_f64 v[11:12], v[1:2], v[9:10]
	v_mul_f64 v[15:16], v[3:4], v[9:10]
	s_delay_alu instid0(VALU_DEP_2) | instskip(NEXT) | instid1(VALU_DEP_2)
	v_fma_f64 v[9:10], v[3:4], v[7:8], -v[11:12]
	v_fma_f64 v[11:12], v[1:2], v[7:8], v[15:16]
	scratch_store_b128 off, v[9:12], off offset:208
.LBB45_67:
	s_or_b32 exec_lo, exec_lo, s2
	s_waitcnt_vscnt null, 0x0
	s_barrier
	buffer_gl0_inv
	scratch_load_b128 v[1:4], v170, off
	s_mov_b32 s2, exec_lo
	s_waitcnt vmcnt(0)
	ds_store_b128 v5, v[1:4]
	s_waitcnt lgkmcnt(0)
	s_barrier
	buffer_gl0_inv
	v_cmpx_gt_u32_e32 14, v138
	s_cbranch_execz .LBB45_71
; %bb.68:
	v_dual_mov_b32 v1, 0 :: v_dual_add_nc_u32 v8, 0x2e0, v13
	v_dual_mov_b32 v2, 0 :: v_dual_add_nc_u32 v7, -1, v138
	v_or_b32_e32 v9, 8, v14
	s_mov_b32 s3, 0
	s_delay_alu instid0(VALU_DEP_2)
	v_dual_mov_b32 v4, v2 :: v_dual_mov_b32 v3, v1
	.p2align	6
.LBB45_69:                              ; =>This Inner Loop Header: Depth=1
	scratch_load_b128 v[15:18], v9, off offset:-8
	ds_load_b128 v[19:22], v8
	v_add_nc_u32_e32 v7, 1, v7
	v_add_nc_u32_e32 v8, 16, v8
	;; [unrolled: 1-line block ×3, first 2 shown]
	s_delay_alu instid0(VALU_DEP_3) | instskip(SKIP_4) | instid1(VALU_DEP_2)
	v_cmp_lt_u32_e32 vcc_lo, 12, v7
	s_or_b32 s3, vcc_lo, s3
	s_waitcnt vmcnt(0) lgkmcnt(0)
	v_mul_f64 v[10:11], v[21:22], v[17:18]
	v_mul_f64 v[17:18], v[19:20], v[17:18]
	v_fma_f64 v[10:11], v[19:20], v[15:16], -v[10:11]
	s_delay_alu instid0(VALU_DEP_2) | instskip(NEXT) | instid1(VALU_DEP_2)
	v_fma_f64 v[15:16], v[21:22], v[15:16], v[17:18]
	v_add_f64 v[3:4], v[3:4], v[10:11]
	s_delay_alu instid0(VALU_DEP_2)
	v_add_f64 v[1:2], v[1:2], v[15:16]
	s_and_not1_b32 exec_lo, exec_lo, s3
	s_cbranch_execnz .LBB45_69
; %bb.70:
	s_or_b32 exec_lo, exec_lo, s3
	v_mov_b32_e32 v7, 0
	ds_load_b128 v[7:10], v7 offset:224
	s_waitcnt lgkmcnt(0)
	v_mul_f64 v[11:12], v[1:2], v[9:10]
	v_mul_f64 v[15:16], v[3:4], v[9:10]
	s_delay_alu instid0(VALU_DEP_2) | instskip(NEXT) | instid1(VALU_DEP_2)
	v_fma_f64 v[9:10], v[3:4], v[7:8], -v[11:12]
	v_fma_f64 v[11:12], v[1:2], v[7:8], v[15:16]
	scratch_store_b128 off, v[9:12], off offset:224
.LBB45_71:
	s_or_b32 exec_lo, exec_lo, s2
	s_waitcnt_vscnt null, 0x0
	s_barrier
	buffer_gl0_inv
	scratch_load_b128 v[1:4], v169, off
	s_mov_b32 s2, exec_lo
	s_waitcnt vmcnt(0)
	ds_store_b128 v5, v[1:4]
	s_waitcnt lgkmcnt(0)
	s_barrier
	buffer_gl0_inv
	v_cmpx_gt_u32_e32 15, v138
	s_cbranch_execz .LBB45_75
; %bb.72:
	v_dual_mov_b32 v1, 0 :: v_dual_add_nc_u32 v8, 0x2e0, v13
	v_dual_mov_b32 v2, 0 :: v_dual_add_nc_u32 v7, -1, v138
	v_or_b32_e32 v9, 8, v14
	s_mov_b32 s3, 0
	s_delay_alu instid0(VALU_DEP_2)
	v_dual_mov_b32 v4, v2 :: v_dual_mov_b32 v3, v1
	.p2align	6
.LBB45_73:                              ; =>This Inner Loop Header: Depth=1
	scratch_load_b128 v[15:18], v9, off offset:-8
	ds_load_b128 v[19:22], v8
	v_add_nc_u32_e32 v7, 1, v7
	v_add_nc_u32_e32 v8, 16, v8
	;; [unrolled: 1-line block ×3, first 2 shown]
	s_delay_alu instid0(VALU_DEP_3) | instskip(SKIP_4) | instid1(VALU_DEP_2)
	v_cmp_lt_u32_e32 vcc_lo, 13, v7
	s_or_b32 s3, vcc_lo, s3
	s_waitcnt vmcnt(0) lgkmcnt(0)
	v_mul_f64 v[10:11], v[21:22], v[17:18]
	v_mul_f64 v[17:18], v[19:20], v[17:18]
	v_fma_f64 v[10:11], v[19:20], v[15:16], -v[10:11]
	s_delay_alu instid0(VALU_DEP_2) | instskip(NEXT) | instid1(VALU_DEP_2)
	v_fma_f64 v[15:16], v[21:22], v[15:16], v[17:18]
	v_add_f64 v[3:4], v[3:4], v[10:11]
	s_delay_alu instid0(VALU_DEP_2)
	v_add_f64 v[1:2], v[1:2], v[15:16]
	s_and_not1_b32 exec_lo, exec_lo, s3
	s_cbranch_execnz .LBB45_73
; %bb.74:
	s_or_b32 exec_lo, exec_lo, s3
	v_mov_b32_e32 v7, 0
	ds_load_b128 v[7:10], v7 offset:240
	s_waitcnt lgkmcnt(0)
	v_mul_f64 v[11:12], v[1:2], v[9:10]
	v_mul_f64 v[15:16], v[3:4], v[9:10]
	s_delay_alu instid0(VALU_DEP_2) | instskip(NEXT) | instid1(VALU_DEP_2)
	v_fma_f64 v[9:10], v[3:4], v[7:8], -v[11:12]
	v_fma_f64 v[11:12], v[1:2], v[7:8], v[15:16]
	scratch_store_b128 off, v[9:12], off offset:240
.LBB45_75:
	s_or_b32 exec_lo, exec_lo, s2
	s_waitcnt_vscnt null, 0x0
	s_barrier
	buffer_gl0_inv
	scratch_load_b128 v[1:4], v168, off
	s_mov_b32 s2, exec_lo
	s_waitcnt vmcnt(0)
	ds_store_b128 v5, v[1:4]
	s_waitcnt lgkmcnt(0)
	s_barrier
	buffer_gl0_inv
	v_cmpx_gt_u32_e32 16, v138
	s_cbranch_execz .LBB45_79
; %bb.76:
	v_dual_mov_b32 v1, 0 :: v_dual_add_nc_u32 v8, 0x2e0, v13
	v_dual_mov_b32 v2, 0 :: v_dual_add_nc_u32 v7, -1, v138
	v_or_b32_e32 v9, 8, v14
	s_mov_b32 s3, 0
	s_delay_alu instid0(VALU_DEP_2)
	v_dual_mov_b32 v4, v2 :: v_dual_mov_b32 v3, v1
	.p2align	6
.LBB45_77:                              ; =>This Inner Loop Header: Depth=1
	scratch_load_b128 v[15:18], v9, off offset:-8
	ds_load_b128 v[19:22], v8
	v_add_nc_u32_e32 v7, 1, v7
	v_add_nc_u32_e32 v8, 16, v8
	;; [unrolled: 1-line block ×3, first 2 shown]
	s_delay_alu instid0(VALU_DEP_3) | instskip(SKIP_4) | instid1(VALU_DEP_2)
	v_cmp_lt_u32_e32 vcc_lo, 14, v7
	s_or_b32 s3, vcc_lo, s3
	s_waitcnt vmcnt(0) lgkmcnt(0)
	v_mul_f64 v[10:11], v[21:22], v[17:18]
	v_mul_f64 v[17:18], v[19:20], v[17:18]
	v_fma_f64 v[10:11], v[19:20], v[15:16], -v[10:11]
	s_delay_alu instid0(VALU_DEP_2) | instskip(NEXT) | instid1(VALU_DEP_2)
	v_fma_f64 v[15:16], v[21:22], v[15:16], v[17:18]
	v_add_f64 v[3:4], v[3:4], v[10:11]
	s_delay_alu instid0(VALU_DEP_2)
	v_add_f64 v[1:2], v[1:2], v[15:16]
	s_and_not1_b32 exec_lo, exec_lo, s3
	s_cbranch_execnz .LBB45_77
; %bb.78:
	s_or_b32 exec_lo, exec_lo, s3
	v_mov_b32_e32 v7, 0
	ds_load_b128 v[7:10], v7 offset:256
	s_waitcnt lgkmcnt(0)
	v_mul_f64 v[11:12], v[1:2], v[9:10]
	v_mul_f64 v[15:16], v[3:4], v[9:10]
	s_delay_alu instid0(VALU_DEP_2) | instskip(NEXT) | instid1(VALU_DEP_2)
	v_fma_f64 v[9:10], v[3:4], v[7:8], -v[11:12]
	v_fma_f64 v[11:12], v[1:2], v[7:8], v[15:16]
	scratch_store_b128 off, v[9:12], off offset:256
.LBB45_79:
	s_or_b32 exec_lo, exec_lo, s2
	s_waitcnt_vscnt null, 0x0
	s_barrier
	buffer_gl0_inv
	scratch_load_b128 v[1:4], v167, off
	s_mov_b32 s2, exec_lo
	s_waitcnt vmcnt(0)
	ds_store_b128 v5, v[1:4]
	s_waitcnt lgkmcnt(0)
	s_barrier
	buffer_gl0_inv
	v_cmpx_gt_u32_e32 17, v138
	s_cbranch_execz .LBB45_83
; %bb.80:
	v_dual_mov_b32 v1, 0 :: v_dual_add_nc_u32 v8, 0x2e0, v13
	v_dual_mov_b32 v2, 0 :: v_dual_add_nc_u32 v7, -1, v138
	v_or_b32_e32 v9, 8, v14
	s_mov_b32 s3, 0
	s_delay_alu instid0(VALU_DEP_2)
	v_dual_mov_b32 v4, v2 :: v_dual_mov_b32 v3, v1
	.p2align	6
.LBB45_81:                              ; =>This Inner Loop Header: Depth=1
	scratch_load_b128 v[15:18], v9, off offset:-8
	ds_load_b128 v[19:22], v8
	v_add_nc_u32_e32 v7, 1, v7
	v_add_nc_u32_e32 v8, 16, v8
	;; [unrolled: 1-line block ×3, first 2 shown]
	s_delay_alu instid0(VALU_DEP_3) | instskip(SKIP_4) | instid1(VALU_DEP_2)
	v_cmp_lt_u32_e32 vcc_lo, 15, v7
	s_or_b32 s3, vcc_lo, s3
	s_waitcnt vmcnt(0) lgkmcnt(0)
	v_mul_f64 v[10:11], v[21:22], v[17:18]
	v_mul_f64 v[17:18], v[19:20], v[17:18]
	v_fma_f64 v[10:11], v[19:20], v[15:16], -v[10:11]
	s_delay_alu instid0(VALU_DEP_2) | instskip(NEXT) | instid1(VALU_DEP_2)
	v_fma_f64 v[15:16], v[21:22], v[15:16], v[17:18]
	v_add_f64 v[3:4], v[3:4], v[10:11]
	s_delay_alu instid0(VALU_DEP_2)
	v_add_f64 v[1:2], v[1:2], v[15:16]
	s_and_not1_b32 exec_lo, exec_lo, s3
	s_cbranch_execnz .LBB45_81
; %bb.82:
	s_or_b32 exec_lo, exec_lo, s3
	v_mov_b32_e32 v7, 0
	ds_load_b128 v[7:10], v7 offset:272
	s_waitcnt lgkmcnt(0)
	v_mul_f64 v[11:12], v[1:2], v[9:10]
	v_mul_f64 v[15:16], v[3:4], v[9:10]
	s_delay_alu instid0(VALU_DEP_2) | instskip(NEXT) | instid1(VALU_DEP_2)
	v_fma_f64 v[9:10], v[3:4], v[7:8], -v[11:12]
	v_fma_f64 v[11:12], v[1:2], v[7:8], v[15:16]
	scratch_store_b128 off, v[9:12], off offset:272
.LBB45_83:
	s_or_b32 exec_lo, exec_lo, s2
	s_waitcnt_vscnt null, 0x0
	s_barrier
	buffer_gl0_inv
	scratch_load_b128 v[1:4], v166, off
	s_mov_b32 s2, exec_lo
	s_waitcnt vmcnt(0)
	ds_store_b128 v5, v[1:4]
	s_waitcnt lgkmcnt(0)
	s_barrier
	buffer_gl0_inv
	v_cmpx_gt_u32_e32 18, v138
	s_cbranch_execz .LBB45_87
; %bb.84:
	v_dual_mov_b32 v1, 0 :: v_dual_add_nc_u32 v8, 0x2e0, v13
	v_dual_mov_b32 v2, 0 :: v_dual_add_nc_u32 v7, -1, v138
	v_or_b32_e32 v9, 8, v14
	s_mov_b32 s3, 0
	s_delay_alu instid0(VALU_DEP_2)
	v_dual_mov_b32 v4, v2 :: v_dual_mov_b32 v3, v1
	.p2align	6
.LBB45_85:                              ; =>This Inner Loop Header: Depth=1
	scratch_load_b128 v[15:18], v9, off offset:-8
	ds_load_b128 v[19:22], v8
	v_add_nc_u32_e32 v7, 1, v7
	v_add_nc_u32_e32 v8, 16, v8
	;; [unrolled: 1-line block ×3, first 2 shown]
	s_delay_alu instid0(VALU_DEP_3) | instskip(SKIP_4) | instid1(VALU_DEP_2)
	v_cmp_lt_u32_e32 vcc_lo, 16, v7
	s_or_b32 s3, vcc_lo, s3
	s_waitcnt vmcnt(0) lgkmcnt(0)
	v_mul_f64 v[10:11], v[21:22], v[17:18]
	v_mul_f64 v[17:18], v[19:20], v[17:18]
	v_fma_f64 v[10:11], v[19:20], v[15:16], -v[10:11]
	s_delay_alu instid0(VALU_DEP_2) | instskip(NEXT) | instid1(VALU_DEP_2)
	v_fma_f64 v[15:16], v[21:22], v[15:16], v[17:18]
	v_add_f64 v[3:4], v[3:4], v[10:11]
	s_delay_alu instid0(VALU_DEP_2)
	v_add_f64 v[1:2], v[1:2], v[15:16]
	s_and_not1_b32 exec_lo, exec_lo, s3
	s_cbranch_execnz .LBB45_85
; %bb.86:
	s_or_b32 exec_lo, exec_lo, s3
	v_mov_b32_e32 v7, 0
	ds_load_b128 v[7:10], v7 offset:288
	s_waitcnt lgkmcnt(0)
	v_mul_f64 v[11:12], v[1:2], v[9:10]
	v_mul_f64 v[15:16], v[3:4], v[9:10]
	s_delay_alu instid0(VALU_DEP_2) | instskip(NEXT) | instid1(VALU_DEP_2)
	v_fma_f64 v[9:10], v[3:4], v[7:8], -v[11:12]
	v_fma_f64 v[11:12], v[1:2], v[7:8], v[15:16]
	scratch_store_b128 off, v[9:12], off offset:288
.LBB45_87:
	s_or_b32 exec_lo, exec_lo, s2
	s_waitcnt_vscnt null, 0x0
	s_barrier
	buffer_gl0_inv
	scratch_load_b128 v[1:4], v165, off
	s_mov_b32 s2, exec_lo
	s_waitcnt vmcnt(0)
	ds_store_b128 v5, v[1:4]
	s_waitcnt lgkmcnt(0)
	s_barrier
	buffer_gl0_inv
	v_cmpx_gt_u32_e32 19, v138
	s_cbranch_execz .LBB45_91
; %bb.88:
	v_dual_mov_b32 v1, 0 :: v_dual_add_nc_u32 v8, 0x2e0, v13
	v_dual_mov_b32 v2, 0 :: v_dual_add_nc_u32 v7, -1, v138
	v_or_b32_e32 v9, 8, v14
	s_mov_b32 s3, 0
	s_delay_alu instid0(VALU_DEP_2)
	v_dual_mov_b32 v4, v2 :: v_dual_mov_b32 v3, v1
	.p2align	6
.LBB45_89:                              ; =>This Inner Loop Header: Depth=1
	scratch_load_b128 v[15:18], v9, off offset:-8
	ds_load_b128 v[19:22], v8
	v_add_nc_u32_e32 v7, 1, v7
	v_add_nc_u32_e32 v8, 16, v8
	;; [unrolled: 1-line block ×3, first 2 shown]
	s_delay_alu instid0(VALU_DEP_3) | instskip(SKIP_4) | instid1(VALU_DEP_2)
	v_cmp_lt_u32_e32 vcc_lo, 17, v7
	s_or_b32 s3, vcc_lo, s3
	s_waitcnt vmcnt(0) lgkmcnt(0)
	v_mul_f64 v[10:11], v[21:22], v[17:18]
	v_mul_f64 v[17:18], v[19:20], v[17:18]
	v_fma_f64 v[10:11], v[19:20], v[15:16], -v[10:11]
	s_delay_alu instid0(VALU_DEP_2) | instskip(NEXT) | instid1(VALU_DEP_2)
	v_fma_f64 v[15:16], v[21:22], v[15:16], v[17:18]
	v_add_f64 v[3:4], v[3:4], v[10:11]
	s_delay_alu instid0(VALU_DEP_2)
	v_add_f64 v[1:2], v[1:2], v[15:16]
	s_and_not1_b32 exec_lo, exec_lo, s3
	s_cbranch_execnz .LBB45_89
; %bb.90:
	s_or_b32 exec_lo, exec_lo, s3
	v_mov_b32_e32 v7, 0
	ds_load_b128 v[7:10], v7 offset:304
	s_waitcnt lgkmcnt(0)
	v_mul_f64 v[11:12], v[1:2], v[9:10]
	v_mul_f64 v[15:16], v[3:4], v[9:10]
	s_delay_alu instid0(VALU_DEP_2) | instskip(NEXT) | instid1(VALU_DEP_2)
	v_fma_f64 v[9:10], v[3:4], v[7:8], -v[11:12]
	v_fma_f64 v[11:12], v[1:2], v[7:8], v[15:16]
	scratch_store_b128 off, v[9:12], off offset:304
.LBB45_91:
	s_or_b32 exec_lo, exec_lo, s2
	s_waitcnt_vscnt null, 0x0
	s_barrier
	buffer_gl0_inv
	scratch_load_b128 v[1:4], v164, off
	s_mov_b32 s2, exec_lo
	s_waitcnt vmcnt(0)
	ds_store_b128 v5, v[1:4]
	s_waitcnt lgkmcnt(0)
	s_barrier
	buffer_gl0_inv
	v_cmpx_gt_u32_e32 20, v138
	s_cbranch_execz .LBB45_95
; %bb.92:
	v_dual_mov_b32 v1, 0 :: v_dual_add_nc_u32 v8, 0x2e0, v13
	v_dual_mov_b32 v2, 0 :: v_dual_add_nc_u32 v7, -1, v138
	v_or_b32_e32 v9, 8, v14
	s_mov_b32 s3, 0
	s_delay_alu instid0(VALU_DEP_2)
	v_dual_mov_b32 v4, v2 :: v_dual_mov_b32 v3, v1
	.p2align	6
.LBB45_93:                              ; =>This Inner Loop Header: Depth=1
	scratch_load_b128 v[15:18], v9, off offset:-8
	ds_load_b128 v[19:22], v8
	v_add_nc_u32_e32 v7, 1, v7
	v_add_nc_u32_e32 v8, 16, v8
	;; [unrolled: 1-line block ×3, first 2 shown]
	s_delay_alu instid0(VALU_DEP_3) | instskip(SKIP_4) | instid1(VALU_DEP_2)
	v_cmp_lt_u32_e32 vcc_lo, 18, v7
	s_or_b32 s3, vcc_lo, s3
	s_waitcnt vmcnt(0) lgkmcnt(0)
	v_mul_f64 v[10:11], v[21:22], v[17:18]
	v_mul_f64 v[17:18], v[19:20], v[17:18]
	v_fma_f64 v[10:11], v[19:20], v[15:16], -v[10:11]
	s_delay_alu instid0(VALU_DEP_2) | instskip(NEXT) | instid1(VALU_DEP_2)
	v_fma_f64 v[15:16], v[21:22], v[15:16], v[17:18]
	v_add_f64 v[3:4], v[3:4], v[10:11]
	s_delay_alu instid0(VALU_DEP_2)
	v_add_f64 v[1:2], v[1:2], v[15:16]
	s_and_not1_b32 exec_lo, exec_lo, s3
	s_cbranch_execnz .LBB45_93
; %bb.94:
	s_or_b32 exec_lo, exec_lo, s3
	v_mov_b32_e32 v7, 0
	ds_load_b128 v[7:10], v7 offset:320
	s_waitcnt lgkmcnt(0)
	v_mul_f64 v[11:12], v[1:2], v[9:10]
	v_mul_f64 v[15:16], v[3:4], v[9:10]
	s_delay_alu instid0(VALU_DEP_2) | instskip(NEXT) | instid1(VALU_DEP_2)
	v_fma_f64 v[9:10], v[3:4], v[7:8], -v[11:12]
	v_fma_f64 v[11:12], v[1:2], v[7:8], v[15:16]
	scratch_store_b128 off, v[9:12], off offset:320
.LBB45_95:
	s_or_b32 exec_lo, exec_lo, s2
	s_waitcnt_vscnt null, 0x0
	s_barrier
	buffer_gl0_inv
	scratch_load_b128 v[1:4], v163, off
	s_mov_b32 s2, exec_lo
	s_waitcnt vmcnt(0)
	ds_store_b128 v5, v[1:4]
	s_waitcnt lgkmcnt(0)
	s_barrier
	buffer_gl0_inv
	v_cmpx_gt_u32_e32 21, v138
	s_cbranch_execz .LBB45_99
; %bb.96:
	v_dual_mov_b32 v1, 0 :: v_dual_add_nc_u32 v8, 0x2e0, v13
	v_dual_mov_b32 v2, 0 :: v_dual_add_nc_u32 v7, -1, v138
	v_or_b32_e32 v9, 8, v14
	s_mov_b32 s3, 0
	s_delay_alu instid0(VALU_DEP_2)
	v_dual_mov_b32 v4, v2 :: v_dual_mov_b32 v3, v1
	.p2align	6
.LBB45_97:                              ; =>This Inner Loop Header: Depth=1
	scratch_load_b128 v[15:18], v9, off offset:-8
	ds_load_b128 v[19:22], v8
	v_add_nc_u32_e32 v7, 1, v7
	v_add_nc_u32_e32 v8, 16, v8
	;; [unrolled: 1-line block ×3, first 2 shown]
	s_delay_alu instid0(VALU_DEP_3) | instskip(SKIP_4) | instid1(VALU_DEP_2)
	v_cmp_lt_u32_e32 vcc_lo, 19, v7
	s_or_b32 s3, vcc_lo, s3
	s_waitcnt vmcnt(0) lgkmcnt(0)
	v_mul_f64 v[10:11], v[21:22], v[17:18]
	v_mul_f64 v[17:18], v[19:20], v[17:18]
	v_fma_f64 v[10:11], v[19:20], v[15:16], -v[10:11]
	s_delay_alu instid0(VALU_DEP_2) | instskip(NEXT) | instid1(VALU_DEP_2)
	v_fma_f64 v[15:16], v[21:22], v[15:16], v[17:18]
	v_add_f64 v[3:4], v[3:4], v[10:11]
	s_delay_alu instid0(VALU_DEP_2)
	v_add_f64 v[1:2], v[1:2], v[15:16]
	s_and_not1_b32 exec_lo, exec_lo, s3
	s_cbranch_execnz .LBB45_97
; %bb.98:
	s_or_b32 exec_lo, exec_lo, s3
	v_mov_b32_e32 v7, 0
	ds_load_b128 v[7:10], v7 offset:336
	s_waitcnt lgkmcnt(0)
	v_mul_f64 v[11:12], v[1:2], v[9:10]
	v_mul_f64 v[15:16], v[3:4], v[9:10]
	s_delay_alu instid0(VALU_DEP_2) | instskip(NEXT) | instid1(VALU_DEP_2)
	v_fma_f64 v[9:10], v[3:4], v[7:8], -v[11:12]
	v_fma_f64 v[11:12], v[1:2], v[7:8], v[15:16]
	scratch_store_b128 off, v[9:12], off offset:336
.LBB45_99:
	s_or_b32 exec_lo, exec_lo, s2
	s_waitcnt_vscnt null, 0x0
	s_barrier
	buffer_gl0_inv
	scratch_load_b128 v[1:4], v162, off
	s_mov_b32 s2, exec_lo
	s_waitcnt vmcnt(0)
	ds_store_b128 v5, v[1:4]
	s_waitcnt lgkmcnt(0)
	s_barrier
	buffer_gl0_inv
	v_cmpx_gt_u32_e32 22, v138
	s_cbranch_execz .LBB45_103
; %bb.100:
	v_dual_mov_b32 v1, 0 :: v_dual_add_nc_u32 v8, 0x2e0, v13
	v_dual_mov_b32 v2, 0 :: v_dual_add_nc_u32 v7, -1, v138
	v_or_b32_e32 v9, 8, v14
	s_mov_b32 s3, 0
	s_delay_alu instid0(VALU_DEP_2)
	v_dual_mov_b32 v4, v2 :: v_dual_mov_b32 v3, v1
	.p2align	6
.LBB45_101:                             ; =>This Inner Loop Header: Depth=1
	scratch_load_b128 v[15:18], v9, off offset:-8
	ds_load_b128 v[19:22], v8
	v_add_nc_u32_e32 v7, 1, v7
	v_add_nc_u32_e32 v8, 16, v8
	;; [unrolled: 1-line block ×3, first 2 shown]
	s_delay_alu instid0(VALU_DEP_3) | instskip(SKIP_4) | instid1(VALU_DEP_2)
	v_cmp_lt_u32_e32 vcc_lo, 20, v7
	s_or_b32 s3, vcc_lo, s3
	s_waitcnt vmcnt(0) lgkmcnt(0)
	v_mul_f64 v[10:11], v[21:22], v[17:18]
	v_mul_f64 v[17:18], v[19:20], v[17:18]
	v_fma_f64 v[10:11], v[19:20], v[15:16], -v[10:11]
	s_delay_alu instid0(VALU_DEP_2) | instskip(NEXT) | instid1(VALU_DEP_2)
	v_fma_f64 v[15:16], v[21:22], v[15:16], v[17:18]
	v_add_f64 v[3:4], v[3:4], v[10:11]
	s_delay_alu instid0(VALU_DEP_2)
	v_add_f64 v[1:2], v[1:2], v[15:16]
	s_and_not1_b32 exec_lo, exec_lo, s3
	s_cbranch_execnz .LBB45_101
; %bb.102:
	s_or_b32 exec_lo, exec_lo, s3
	v_mov_b32_e32 v7, 0
	ds_load_b128 v[7:10], v7 offset:352
	s_waitcnt lgkmcnt(0)
	v_mul_f64 v[11:12], v[1:2], v[9:10]
	v_mul_f64 v[15:16], v[3:4], v[9:10]
	s_delay_alu instid0(VALU_DEP_2) | instskip(NEXT) | instid1(VALU_DEP_2)
	v_fma_f64 v[9:10], v[3:4], v[7:8], -v[11:12]
	v_fma_f64 v[11:12], v[1:2], v[7:8], v[15:16]
	scratch_store_b128 off, v[9:12], off offset:352
.LBB45_103:
	s_or_b32 exec_lo, exec_lo, s2
	s_waitcnt_vscnt null, 0x0
	s_barrier
	buffer_gl0_inv
	scratch_load_b128 v[1:4], v161, off
	s_mov_b32 s2, exec_lo
	s_waitcnt vmcnt(0)
	ds_store_b128 v5, v[1:4]
	s_waitcnt lgkmcnt(0)
	s_barrier
	buffer_gl0_inv
	v_cmpx_gt_u32_e32 23, v138
	s_cbranch_execz .LBB45_107
; %bb.104:
	v_dual_mov_b32 v1, 0 :: v_dual_add_nc_u32 v8, 0x2e0, v13
	v_dual_mov_b32 v2, 0 :: v_dual_add_nc_u32 v7, -1, v138
	v_or_b32_e32 v9, 8, v14
	s_mov_b32 s3, 0
	s_delay_alu instid0(VALU_DEP_2)
	v_dual_mov_b32 v4, v2 :: v_dual_mov_b32 v3, v1
	.p2align	6
.LBB45_105:                             ; =>This Inner Loop Header: Depth=1
	scratch_load_b128 v[15:18], v9, off offset:-8
	ds_load_b128 v[19:22], v8
	v_add_nc_u32_e32 v7, 1, v7
	v_add_nc_u32_e32 v8, 16, v8
	;; [unrolled: 1-line block ×3, first 2 shown]
	s_delay_alu instid0(VALU_DEP_3) | instskip(SKIP_4) | instid1(VALU_DEP_2)
	v_cmp_lt_u32_e32 vcc_lo, 21, v7
	s_or_b32 s3, vcc_lo, s3
	s_waitcnt vmcnt(0) lgkmcnt(0)
	v_mul_f64 v[10:11], v[21:22], v[17:18]
	v_mul_f64 v[17:18], v[19:20], v[17:18]
	v_fma_f64 v[10:11], v[19:20], v[15:16], -v[10:11]
	s_delay_alu instid0(VALU_DEP_2) | instskip(NEXT) | instid1(VALU_DEP_2)
	v_fma_f64 v[15:16], v[21:22], v[15:16], v[17:18]
	v_add_f64 v[3:4], v[3:4], v[10:11]
	s_delay_alu instid0(VALU_DEP_2)
	v_add_f64 v[1:2], v[1:2], v[15:16]
	s_and_not1_b32 exec_lo, exec_lo, s3
	s_cbranch_execnz .LBB45_105
; %bb.106:
	s_or_b32 exec_lo, exec_lo, s3
	v_mov_b32_e32 v7, 0
	ds_load_b128 v[7:10], v7 offset:368
	s_waitcnt lgkmcnt(0)
	v_mul_f64 v[11:12], v[1:2], v[9:10]
	v_mul_f64 v[15:16], v[3:4], v[9:10]
	s_delay_alu instid0(VALU_DEP_2) | instskip(NEXT) | instid1(VALU_DEP_2)
	v_fma_f64 v[9:10], v[3:4], v[7:8], -v[11:12]
	v_fma_f64 v[11:12], v[1:2], v[7:8], v[15:16]
	scratch_store_b128 off, v[9:12], off offset:368
.LBB45_107:
	s_or_b32 exec_lo, exec_lo, s2
	s_waitcnt_vscnt null, 0x0
	s_barrier
	buffer_gl0_inv
	scratch_load_b128 v[1:4], v160, off
	s_mov_b32 s2, exec_lo
	s_waitcnt vmcnt(0)
	ds_store_b128 v5, v[1:4]
	s_waitcnt lgkmcnt(0)
	s_barrier
	buffer_gl0_inv
	v_cmpx_gt_u32_e32 24, v138
	s_cbranch_execz .LBB45_111
; %bb.108:
	v_dual_mov_b32 v1, 0 :: v_dual_add_nc_u32 v8, 0x2e0, v13
	v_dual_mov_b32 v2, 0 :: v_dual_add_nc_u32 v7, -1, v138
	v_or_b32_e32 v9, 8, v14
	s_mov_b32 s3, 0
	s_delay_alu instid0(VALU_DEP_2)
	v_dual_mov_b32 v4, v2 :: v_dual_mov_b32 v3, v1
	.p2align	6
.LBB45_109:                             ; =>This Inner Loop Header: Depth=1
	scratch_load_b128 v[15:18], v9, off offset:-8
	ds_load_b128 v[19:22], v8
	v_add_nc_u32_e32 v7, 1, v7
	v_add_nc_u32_e32 v8, 16, v8
	;; [unrolled: 1-line block ×3, first 2 shown]
	s_delay_alu instid0(VALU_DEP_3) | instskip(SKIP_4) | instid1(VALU_DEP_2)
	v_cmp_lt_u32_e32 vcc_lo, 22, v7
	s_or_b32 s3, vcc_lo, s3
	s_waitcnt vmcnt(0) lgkmcnt(0)
	v_mul_f64 v[10:11], v[21:22], v[17:18]
	v_mul_f64 v[17:18], v[19:20], v[17:18]
	v_fma_f64 v[10:11], v[19:20], v[15:16], -v[10:11]
	s_delay_alu instid0(VALU_DEP_2) | instskip(NEXT) | instid1(VALU_DEP_2)
	v_fma_f64 v[15:16], v[21:22], v[15:16], v[17:18]
	v_add_f64 v[3:4], v[3:4], v[10:11]
	s_delay_alu instid0(VALU_DEP_2)
	v_add_f64 v[1:2], v[1:2], v[15:16]
	s_and_not1_b32 exec_lo, exec_lo, s3
	s_cbranch_execnz .LBB45_109
; %bb.110:
	s_or_b32 exec_lo, exec_lo, s3
	v_mov_b32_e32 v7, 0
	ds_load_b128 v[7:10], v7 offset:384
	s_waitcnt lgkmcnt(0)
	v_mul_f64 v[11:12], v[1:2], v[9:10]
	v_mul_f64 v[15:16], v[3:4], v[9:10]
	s_delay_alu instid0(VALU_DEP_2) | instskip(NEXT) | instid1(VALU_DEP_2)
	v_fma_f64 v[9:10], v[3:4], v[7:8], -v[11:12]
	v_fma_f64 v[11:12], v[1:2], v[7:8], v[15:16]
	scratch_store_b128 off, v[9:12], off offset:384
.LBB45_111:
	s_or_b32 exec_lo, exec_lo, s2
	s_waitcnt_vscnt null, 0x0
	s_barrier
	buffer_gl0_inv
	scratch_load_b128 v[1:4], v159, off
	s_mov_b32 s2, exec_lo
	s_waitcnt vmcnt(0)
	ds_store_b128 v5, v[1:4]
	s_waitcnt lgkmcnt(0)
	s_barrier
	buffer_gl0_inv
	v_cmpx_gt_u32_e32 25, v138
	s_cbranch_execz .LBB45_115
; %bb.112:
	v_dual_mov_b32 v1, 0 :: v_dual_add_nc_u32 v8, 0x2e0, v13
	v_dual_mov_b32 v2, 0 :: v_dual_add_nc_u32 v7, -1, v138
	v_or_b32_e32 v9, 8, v14
	s_mov_b32 s3, 0
	s_delay_alu instid0(VALU_DEP_2)
	v_dual_mov_b32 v4, v2 :: v_dual_mov_b32 v3, v1
	.p2align	6
.LBB45_113:                             ; =>This Inner Loop Header: Depth=1
	scratch_load_b128 v[15:18], v9, off offset:-8
	ds_load_b128 v[19:22], v8
	v_add_nc_u32_e32 v7, 1, v7
	v_add_nc_u32_e32 v8, 16, v8
	v_add_nc_u32_e32 v9, 16, v9
	s_delay_alu instid0(VALU_DEP_3) | instskip(SKIP_4) | instid1(VALU_DEP_2)
	v_cmp_lt_u32_e32 vcc_lo, 23, v7
	s_or_b32 s3, vcc_lo, s3
	s_waitcnt vmcnt(0) lgkmcnt(0)
	v_mul_f64 v[10:11], v[21:22], v[17:18]
	v_mul_f64 v[17:18], v[19:20], v[17:18]
	v_fma_f64 v[10:11], v[19:20], v[15:16], -v[10:11]
	s_delay_alu instid0(VALU_DEP_2) | instskip(NEXT) | instid1(VALU_DEP_2)
	v_fma_f64 v[15:16], v[21:22], v[15:16], v[17:18]
	v_add_f64 v[3:4], v[3:4], v[10:11]
	s_delay_alu instid0(VALU_DEP_2)
	v_add_f64 v[1:2], v[1:2], v[15:16]
	s_and_not1_b32 exec_lo, exec_lo, s3
	s_cbranch_execnz .LBB45_113
; %bb.114:
	s_or_b32 exec_lo, exec_lo, s3
	v_mov_b32_e32 v7, 0
	ds_load_b128 v[7:10], v7 offset:400
	s_waitcnt lgkmcnt(0)
	v_mul_f64 v[11:12], v[1:2], v[9:10]
	v_mul_f64 v[15:16], v[3:4], v[9:10]
	s_delay_alu instid0(VALU_DEP_2) | instskip(NEXT) | instid1(VALU_DEP_2)
	v_fma_f64 v[9:10], v[3:4], v[7:8], -v[11:12]
	v_fma_f64 v[11:12], v[1:2], v[7:8], v[15:16]
	scratch_store_b128 off, v[9:12], off offset:400
.LBB45_115:
	s_or_b32 exec_lo, exec_lo, s2
	s_waitcnt_vscnt null, 0x0
	s_barrier
	buffer_gl0_inv
	scratch_load_b128 v[1:4], v157, off
	s_mov_b32 s2, exec_lo
	s_waitcnt vmcnt(0)
	ds_store_b128 v5, v[1:4]
	s_waitcnt lgkmcnt(0)
	s_barrier
	buffer_gl0_inv
	v_cmpx_gt_u32_e32 26, v138
	s_cbranch_execz .LBB45_119
; %bb.116:
	v_dual_mov_b32 v1, 0 :: v_dual_add_nc_u32 v8, 0x2e0, v13
	v_dual_mov_b32 v2, 0 :: v_dual_add_nc_u32 v7, -1, v138
	v_or_b32_e32 v9, 8, v14
	s_mov_b32 s3, 0
	s_delay_alu instid0(VALU_DEP_2)
	v_dual_mov_b32 v4, v2 :: v_dual_mov_b32 v3, v1
	.p2align	6
.LBB45_117:                             ; =>This Inner Loop Header: Depth=1
	scratch_load_b128 v[15:18], v9, off offset:-8
	ds_load_b128 v[19:22], v8
	v_add_nc_u32_e32 v7, 1, v7
	v_add_nc_u32_e32 v8, 16, v8
	v_add_nc_u32_e32 v9, 16, v9
	s_delay_alu instid0(VALU_DEP_3) | instskip(SKIP_4) | instid1(VALU_DEP_2)
	v_cmp_lt_u32_e32 vcc_lo, 24, v7
	s_or_b32 s3, vcc_lo, s3
	s_waitcnt vmcnt(0) lgkmcnt(0)
	v_mul_f64 v[10:11], v[21:22], v[17:18]
	v_mul_f64 v[17:18], v[19:20], v[17:18]
	v_fma_f64 v[10:11], v[19:20], v[15:16], -v[10:11]
	s_delay_alu instid0(VALU_DEP_2) | instskip(NEXT) | instid1(VALU_DEP_2)
	v_fma_f64 v[15:16], v[21:22], v[15:16], v[17:18]
	v_add_f64 v[3:4], v[3:4], v[10:11]
	s_delay_alu instid0(VALU_DEP_2)
	v_add_f64 v[1:2], v[1:2], v[15:16]
	s_and_not1_b32 exec_lo, exec_lo, s3
	s_cbranch_execnz .LBB45_117
; %bb.118:
	s_or_b32 exec_lo, exec_lo, s3
	v_mov_b32_e32 v7, 0
	ds_load_b128 v[7:10], v7 offset:416
	s_waitcnt lgkmcnt(0)
	v_mul_f64 v[11:12], v[1:2], v[9:10]
	v_mul_f64 v[15:16], v[3:4], v[9:10]
	s_delay_alu instid0(VALU_DEP_2) | instskip(NEXT) | instid1(VALU_DEP_2)
	v_fma_f64 v[9:10], v[3:4], v[7:8], -v[11:12]
	v_fma_f64 v[11:12], v[1:2], v[7:8], v[15:16]
	scratch_store_b128 off, v[9:12], off offset:416
.LBB45_119:
	s_or_b32 exec_lo, exec_lo, s2
	s_waitcnt_vscnt null, 0x0
	s_barrier
	buffer_gl0_inv
	scratch_load_b128 v[1:4], v156, off
	s_mov_b32 s2, exec_lo
	s_waitcnt vmcnt(0)
	ds_store_b128 v5, v[1:4]
	s_waitcnt lgkmcnt(0)
	s_barrier
	buffer_gl0_inv
	v_cmpx_gt_u32_e32 27, v138
	s_cbranch_execz .LBB45_123
; %bb.120:
	v_dual_mov_b32 v1, 0 :: v_dual_add_nc_u32 v8, 0x2e0, v13
	v_dual_mov_b32 v2, 0 :: v_dual_add_nc_u32 v7, -1, v138
	v_or_b32_e32 v9, 8, v14
	s_mov_b32 s3, 0
	s_delay_alu instid0(VALU_DEP_2)
	v_dual_mov_b32 v4, v2 :: v_dual_mov_b32 v3, v1
	.p2align	6
.LBB45_121:                             ; =>This Inner Loop Header: Depth=1
	scratch_load_b128 v[15:18], v9, off offset:-8
	ds_load_b128 v[19:22], v8
	v_add_nc_u32_e32 v7, 1, v7
	v_add_nc_u32_e32 v8, 16, v8
	;; [unrolled: 1-line block ×3, first 2 shown]
	s_delay_alu instid0(VALU_DEP_3) | instskip(SKIP_4) | instid1(VALU_DEP_2)
	v_cmp_lt_u32_e32 vcc_lo, 25, v7
	s_or_b32 s3, vcc_lo, s3
	s_waitcnt vmcnt(0) lgkmcnt(0)
	v_mul_f64 v[10:11], v[21:22], v[17:18]
	v_mul_f64 v[17:18], v[19:20], v[17:18]
	v_fma_f64 v[10:11], v[19:20], v[15:16], -v[10:11]
	s_delay_alu instid0(VALU_DEP_2) | instskip(NEXT) | instid1(VALU_DEP_2)
	v_fma_f64 v[15:16], v[21:22], v[15:16], v[17:18]
	v_add_f64 v[3:4], v[3:4], v[10:11]
	s_delay_alu instid0(VALU_DEP_2)
	v_add_f64 v[1:2], v[1:2], v[15:16]
	s_and_not1_b32 exec_lo, exec_lo, s3
	s_cbranch_execnz .LBB45_121
; %bb.122:
	s_or_b32 exec_lo, exec_lo, s3
	v_mov_b32_e32 v7, 0
	ds_load_b128 v[7:10], v7 offset:432
	s_waitcnt lgkmcnt(0)
	v_mul_f64 v[11:12], v[1:2], v[9:10]
	v_mul_f64 v[15:16], v[3:4], v[9:10]
	s_delay_alu instid0(VALU_DEP_2) | instskip(NEXT) | instid1(VALU_DEP_2)
	v_fma_f64 v[9:10], v[3:4], v[7:8], -v[11:12]
	v_fma_f64 v[11:12], v[1:2], v[7:8], v[15:16]
	scratch_store_b128 off, v[9:12], off offset:432
.LBB45_123:
	s_or_b32 exec_lo, exec_lo, s2
	s_waitcnt_vscnt null, 0x0
	s_barrier
	buffer_gl0_inv
	scratch_load_b128 v[1:4], v153, off
	s_mov_b32 s2, exec_lo
	s_waitcnt vmcnt(0)
	ds_store_b128 v5, v[1:4]
	s_waitcnt lgkmcnt(0)
	s_barrier
	buffer_gl0_inv
	v_cmpx_gt_u32_e32 28, v138
	s_cbranch_execz .LBB45_127
; %bb.124:
	v_dual_mov_b32 v1, 0 :: v_dual_add_nc_u32 v8, 0x2e0, v13
	v_dual_mov_b32 v2, 0 :: v_dual_add_nc_u32 v7, -1, v138
	v_or_b32_e32 v9, 8, v14
	s_mov_b32 s3, 0
	s_delay_alu instid0(VALU_DEP_2)
	v_dual_mov_b32 v4, v2 :: v_dual_mov_b32 v3, v1
	.p2align	6
.LBB45_125:                             ; =>This Inner Loop Header: Depth=1
	scratch_load_b128 v[15:18], v9, off offset:-8
	ds_load_b128 v[19:22], v8
	v_add_nc_u32_e32 v7, 1, v7
	v_add_nc_u32_e32 v8, 16, v8
	v_add_nc_u32_e32 v9, 16, v9
	s_delay_alu instid0(VALU_DEP_3) | instskip(SKIP_4) | instid1(VALU_DEP_2)
	v_cmp_lt_u32_e32 vcc_lo, 26, v7
	s_or_b32 s3, vcc_lo, s3
	s_waitcnt vmcnt(0) lgkmcnt(0)
	v_mul_f64 v[10:11], v[21:22], v[17:18]
	v_mul_f64 v[17:18], v[19:20], v[17:18]
	v_fma_f64 v[10:11], v[19:20], v[15:16], -v[10:11]
	s_delay_alu instid0(VALU_DEP_2) | instskip(NEXT) | instid1(VALU_DEP_2)
	v_fma_f64 v[15:16], v[21:22], v[15:16], v[17:18]
	v_add_f64 v[3:4], v[3:4], v[10:11]
	s_delay_alu instid0(VALU_DEP_2)
	v_add_f64 v[1:2], v[1:2], v[15:16]
	s_and_not1_b32 exec_lo, exec_lo, s3
	s_cbranch_execnz .LBB45_125
; %bb.126:
	s_or_b32 exec_lo, exec_lo, s3
	v_mov_b32_e32 v7, 0
	ds_load_b128 v[7:10], v7 offset:448
	s_waitcnt lgkmcnt(0)
	v_mul_f64 v[11:12], v[1:2], v[9:10]
	v_mul_f64 v[15:16], v[3:4], v[9:10]
	s_delay_alu instid0(VALU_DEP_2) | instskip(NEXT) | instid1(VALU_DEP_2)
	v_fma_f64 v[9:10], v[3:4], v[7:8], -v[11:12]
	v_fma_f64 v[11:12], v[1:2], v[7:8], v[15:16]
	scratch_store_b128 off, v[9:12], off offset:448
.LBB45_127:
	s_or_b32 exec_lo, exec_lo, s2
	s_waitcnt_vscnt null, 0x0
	s_barrier
	buffer_gl0_inv
	scratch_load_b128 v[1:4], v152, off
	s_mov_b32 s2, exec_lo
	s_waitcnt vmcnt(0)
	ds_store_b128 v5, v[1:4]
	s_waitcnt lgkmcnt(0)
	s_barrier
	buffer_gl0_inv
	v_cmpx_gt_u32_e32 29, v138
	s_cbranch_execz .LBB45_131
; %bb.128:
	v_dual_mov_b32 v1, 0 :: v_dual_add_nc_u32 v8, 0x2e0, v13
	v_dual_mov_b32 v2, 0 :: v_dual_add_nc_u32 v7, -1, v138
	v_or_b32_e32 v9, 8, v14
	s_mov_b32 s3, 0
	s_delay_alu instid0(VALU_DEP_2)
	v_dual_mov_b32 v4, v2 :: v_dual_mov_b32 v3, v1
	.p2align	6
.LBB45_129:                             ; =>This Inner Loop Header: Depth=1
	scratch_load_b128 v[15:18], v9, off offset:-8
	ds_load_b128 v[19:22], v8
	v_add_nc_u32_e32 v7, 1, v7
	v_add_nc_u32_e32 v8, 16, v8
	;; [unrolled: 1-line block ×3, first 2 shown]
	s_delay_alu instid0(VALU_DEP_3) | instskip(SKIP_4) | instid1(VALU_DEP_2)
	v_cmp_lt_u32_e32 vcc_lo, 27, v7
	s_or_b32 s3, vcc_lo, s3
	s_waitcnt vmcnt(0) lgkmcnt(0)
	v_mul_f64 v[10:11], v[21:22], v[17:18]
	v_mul_f64 v[17:18], v[19:20], v[17:18]
	v_fma_f64 v[10:11], v[19:20], v[15:16], -v[10:11]
	s_delay_alu instid0(VALU_DEP_2) | instskip(NEXT) | instid1(VALU_DEP_2)
	v_fma_f64 v[15:16], v[21:22], v[15:16], v[17:18]
	v_add_f64 v[3:4], v[3:4], v[10:11]
	s_delay_alu instid0(VALU_DEP_2)
	v_add_f64 v[1:2], v[1:2], v[15:16]
	s_and_not1_b32 exec_lo, exec_lo, s3
	s_cbranch_execnz .LBB45_129
; %bb.130:
	s_or_b32 exec_lo, exec_lo, s3
	v_mov_b32_e32 v7, 0
	ds_load_b128 v[7:10], v7 offset:464
	s_waitcnt lgkmcnt(0)
	v_mul_f64 v[11:12], v[1:2], v[9:10]
	v_mul_f64 v[15:16], v[3:4], v[9:10]
	s_delay_alu instid0(VALU_DEP_2) | instskip(NEXT) | instid1(VALU_DEP_2)
	v_fma_f64 v[9:10], v[3:4], v[7:8], -v[11:12]
	v_fma_f64 v[11:12], v[1:2], v[7:8], v[15:16]
	scratch_store_b128 off, v[9:12], off offset:464
.LBB45_131:
	s_or_b32 exec_lo, exec_lo, s2
	s_waitcnt_vscnt null, 0x0
	s_barrier
	buffer_gl0_inv
	scratch_load_b128 v[1:4], v149, off
	s_mov_b32 s2, exec_lo
	s_waitcnt vmcnt(0)
	ds_store_b128 v5, v[1:4]
	s_waitcnt lgkmcnt(0)
	s_barrier
	buffer_gl0_inv
	v_cmpx_gt_u32_e32 30, v138
	s_cbranch_execz .LBB45_135
; %bb.132:
	v_dual_mov_b32 v1, 0 :: v_dual_add_nc_u32 v8, 0x2e0, v13
	v_dual_mov_b32 v2, 0 :: v_dual_add_nc_u32 v7, -1, v138
	v_or_b32_e32 v9, 8, v14
	s_mov_b32 s3, 0
	s_delay_alu instid0(VALU_DEP_2)
	v_dual_mov_b32 v4, v2 :: v_dual_mov_b32 v3, v1
	.p2align	6
.LBB45_133:                             ; =>This Inner Loop Header: Depth=1
	scratch_load_b128 v[15:18], v9, off offset:-8
	ds_load_b128 v[19:22], v8
	v_add_nc_u32_e32 v7, 1, v7
	v_add_nc_u32_e32 v8, 16, v8
	;; [unrolled: 1-line block ×3, first 2 shown]
	s_delay_alu instid0(VALU_DEP_3) | instskip(SKIP_4) | instid1(VALU_DEP_2)
	v_cmp_lt_u32_e32 vcc_lo, 28, v7
	s_or_b32 s3, vcc_lo, s3
	s_waitcnt vmcnt(0) lgkmcnt(0)
	v_mul_f64 v[10:11], v[21:22], v[17:18]
	v_mul_f64 v[17:18], v[19:20], v[17:18]
	v_fma_f64 v[10:11], v[19:20], v[15:16], -v[10:11]
	s_delay_alu instid0(VALU_DEP_2) | instskip(NEXT) | instid1(VALU_DEP_2)
	v_fma_f64 v[15:16], v[21:22], v[15:16], v[17:18]
	v_add_f64 v[3:4], v[3:4], v[10:11]
	s_delay_alu instid0(VALU_DEP_2)
	v_add_f64 v[1:2], v[1:2], v[15:16]
	s_and_not1_b32 exec_lo, exec_lo, s3
	s_cbranch_execnz .LBB45_133
; %bb.134:
	s_or_b32 exec_lo, exec_lo, s3
	v_mov_b32_e32 v7, 0
	ds_load_b128 v[7:10], v7 offset:480
	s_waitcnt lgkmcnt(0)
	v_mul_f64 v[11:12], v[1:2], v[9:10]
	v_mul_f64 v[15:16], v[3:4], v[9:10]
	s_delay_alu instid0(VALU_DEP_2) | instskip(NEXT) | instid1(VALU_DEP_2)
	v_fma_f64 v[9:10], v[3:4], v[7:8], -v[11:12]
	v_fma_f64 v[11:12], v[1:2], v[7:8], v[15:16]
	scratch_store_b128 off, v[9:12], off offset:480
.LBB45_135:
	s_or_b32 exec_lo, exec_lo, s2
	s_waitcnt_vscnt null, 0x0
	s_barrier
	buffer_gl0_inv
	scratch_load_b128 v[1:4], v148, off
	s_mov_b32 s2, exec_lo
	s_waitcnt vmcnt(0)
	ds_store_b128 v5, v[1:4]
	s_waitcnt lgkmcnt(0)
	s_barrier
	buffer_gl0_inv
	v_cmpx_gt_u32_e32 31, v138
	s_cbranch_execz .LBB45_139
; %bb.136:
	v_dual_mov_b32 v1, 0 :: v_dual_add_nc_u32 v8, 0x2e0, v13
	v_dual_mov_b32 v2, 0 :: v_dual_add_nc_u32 v7, -1, v138
	v_or_b32_e32 v9, 8, v14
	s_mov_b32 s3, 0
	s_delay_alu instid0(VALU_DEP_2)
	v_dual_mov_b32 v4, v2 :: v_dual_mov_b32 v3, v1
	.p2align	6
.LBB45_137:                             ; =>This Inner Loop Header: Depth=1
	scratch_load_b128 v[15:18], v9, off offset:-8
	ds_load_b128 v[19:22], v8
	v_add_nc_u32_e32 v7, 1, v7
	v_add_nc_u32_e32 v8, 16, v8
	;; [unrolled: 1-line block ×3, first 2 shown]
	s_delay_alu instid0(VALU_DEP_3) | instskip(SKIP_4) | instid1(VALU_DEP_2)
	v_cmp_lt_u32_e32 vcc_lo, 29, v7
	s_or_b32 s3, vcc_lo, s3
	s_waitcnt vmcnt(0) lgkmcnt(0)
	v_mul_f64 v[10:11], v[21:22], v[17:18]
	v_mul_f64 v[17:18], v[19:20], v[17:18]
	v_fma_f64 v[10:11], v[19:20], v[15:16], -v[10:11]
	s_delay_alu instid0(VALU_DEP_2) | instskip(NEXT) | instid1(VALU_DEP_2)
	v_fma_f64 v[15:16], v[21:22], v[15:16], v[17:18]
	v_add_f64 v[3:4], v[3:4], v[10:11]
	s_delay_alu instid0(VALU_DEP_2)
	v_add_f64 v[1:2], v[1:2], v[15:16]
	s_and_not1_b32 exec_lo, exec_lo, s3
	s_cbranch_execnz .LBB45_137
; %bb.138:
	s_or_b32 exec_lo, exec_lo, s3
	v_mov_b32_e32 v7, 0
	ds_load_b128 v[7:10], v7 offset:496
	s_waitcnt lgkmcnt(0)
	v_mul_f64 v[11:12], v[1:2], v[9:10]
	v_mul_f64 v[15:16], v[3:4], v[9:10]
	s_delay_alu instid0(VALU_DEP_2) | instskip(NEXT) | instid1(VALU_DEP_2)
	v_fma_f64 v[9:10], v[3:4], v[7:8], -v[11:12]
	v_fma_f64 v[11:12], v[1:2], v[7:8], v[15:16]
	scratch_store_b128 off, v[9:12], off offset:496
.LBB45_139:
	s_or_b32 exec_lo, exec_lo, s2
	s_waitcnt_vscnt null, 0x0
	s_barrier
	buffer_gl0_inv
	scratch_load_b128 v[1:4], v146, off
	s_mov_b32 s2, exec_lo
	s_waitcnt vmcnt(0)
	ds_store_b128 v5, v[1:4]
	s_waitcnt lgkmcnt(0)
	s_barrier
	buffer_gl0_inv
	v_cmpx_gt_u32_e32 32, v138
	s_cbranch_execz .LBB45_143
; %bb.140:
	v_dual_mov_b32 v1, 0 :: v_dual_add_nc_u32 v8, 0x2e0, v13
	v_dual_mov_b32 v2, 0 :: v_dual_add_nc_u32 v7, -1, v138
	v_or_b32_e32 v9, 8, v14
	s_mov_b32 s3, 0
	s_delay_alu instid0(VALU_DEP_2)
	v_dual_mov_b32 v4, v2 :: v_dual_mov_b32 v3, v1
	.p2align	6
.LBB45_141:                             ; =>This Inner Loop Header: Depth=1
	scratch_load_b128 v[15:18], v9, off offset:-8
	ds_load_b128 v[19:22], v8
	v_add_nc_u32_e32 v7, 1, v7
	v_add_nc_u32_e32 v8, 16, v8
	;; [unrolled: 1-line block ×3, first 2 shown]
	s_delay_alu instid0(VALU_DEP_3) | instskip(SKIP_4) | instid1(VALU_DEP_2)
	v_cmp_lt_u32_e32 vcc_lo, 30, v7
	s_or_b32 s3, vcc_lo, s3
	s_waitcnt vmcnt(0) lgkmcnt(0)
	v_mul_f64 v[10:11], v[21:22], v[17:18]
	v_mul_f64 v[17:18], v[19:20], v[17:18]
	v_fma_f64 v[10:11], v[19:20], v[15:16], -v[10:11]
	s_delay_alu instid0(VALU_DEP_2) | instskip(NEXT) | instid1(VALU_DEP_2)
	v_fma_f64 v[15:16], v[21:22], v[15:16], v[17:18]
	v_add_f64 v[3:4], v[3:4], v[10:11]
	s_delay_alu instid0(VALU_DEP_2)
	v_add_f64 v[1:2], v[1:2], v[15:16]
	s_and_not1_b32 exec_lo, exec_lo, s3
	s_cbranch_execnz .LBB45_141
; %bb.142:
	s_or_b32 exec_lo, exec_lo, s3
	v_mov_b32_e32 v7, 0
	ds_load_b128 v[7:10], v7 offset:512
	s_waitcnt lgkmcnt(0)
	v_mul_f64 v[11:12], v[1:2], v[9:10]
	v_mul_f64 v[15:16], v[3:4], v[9:10]
	s_delay_alu instid0(VALU_DEP_2) | instskip(NEXT) | instid1(VALU_DEP_2)
	v_fma_f64 v[9:10], v[3:4], v[7:8], -v[11:12]
	v_fma_f64 v[11:12], v[1:2], v[7:8], v[15:16]
	scratch_store_b128 off, v[9:12], off offset:512
.LBB45_143:
	s_or_b32 exec_lo, exec_lo, s2
	s_waitcnt_vscnt null, 0x0
	s_barrier
	buffer_gl0_inv
	scratch_load_b128 v[1:4], v144, off
	s_mov_b32 s2, exec_lo
	s_waitcnt vmcnt(0)
	ds_store_b128 v5, v[1:4]
	s_waitcnt lgkmcnt(0)
	s_barrier
	buffer_gl0_inv
	v_cmpx_gt_u32_e32 33, v138
	s_cbranch_execz .LBB45_147
; %bb.144:
	v_dual_mov_b32 v1, 0 :: v_dual_add_nc_u32 v8, 0x2e0, v13
	v_dual_mov_b32 v2, 0 :: v_dual_add_nc_u32 v7, -1, v138
	v_or_b32_e32 v9, 8, v14
	s_mov_b32 s3, 0
	s_delay_alu instid0(VALU_DEP_2)
	v_dual_mov_b32 v4, v2 :: v_dual_mov_b32 v3, v1
	.p2align	6
.LBB45_145:                             ; =>This Inner Loop Header: Depth=1
	scratch_load_b128 v[15:18], v9, off offset:-8
	ds_load_b128 v[19:22], v8
	v_add_nc_u32_e32 v7, 1, v7
	v_add_nc_u32_e32 v8, 16, v8
	;; [unrolled: 1-line block ×3, first 2 shown]
	s_delay_alu instid0(VALU_DEP_3) | instskip(SKIP_4) | instid1(VALU_DEP_2)
	v_cmp_lt_u32_e32 vcc_lo, 31, v7
	s_or_b32 s3, vcc_lo, s3
	s_waitcnt vmcnt(0) lgkmcnt(0)
	v_mul_f64 v[10:11], v[21:22], v[17:18]
	v_mul_f64 v[17:18], v[19:20], v[17:18]
	v_fma_f64 v[10:11], v[19:20], v[15:16], -v[10:11]
	s_delay_alu instid0(VALU_DEP_2) | instskip(NEXT) | instid1(VALU_DEP_2)
	v_fma_f64 v[15:16], v[21:22], v[15:16], v[17:18]
	v_add_f64 v[3:4], v[3:4], v[10:11]
	s_delay_alu instid0(VALU_DEP_2)
	v_add_f64 v[1:2], v[1:2], v[15:16]
	s_and_not1_b32 exec_lo, exec_lo, s3
	s_cbranch_execnz .LBB45_145
; %bb.146:
	s_or_b32 exec_lo, exec_lo, s3
	v_mov_b32_e32 v7, 0
	ds_load_b128 v[7:10], v7 offset:528
	s_waitcnt lgkmcnt(0)
	v_mul_f64 v[11:12], v[1:2], v[9:10]
	v_mul_f64 v[15:16], v[3:4], v[9:10]
	s_delay_alu instid0(VALU_DEP_2) | instskip(NEXT) | instid1(VALU_DEP_2)
	v_fma_f64 v[9:10], v[3:4], v[7:8], -v[11:12]
	v_fma_f64 v[11:12], v[1:2], v[7:8], v[15:16]
	scratch_store_b128 off, v[9:12], off offset:528
.LBB45_147:
	s_or_b32 exec_lo, exec_lo, s2
	s_waitcnt_vscnt null, 0x0
	s_barrier
	buffer_gl0_inv
	scratch_load_b128 v[1:4], v143, off
	s_mov_b32 s2, exec_lo
	s_waitcnt vmcnt(0)
	ds_store_b128 v5, v[1:4]
	s_waitcnt lgkmcnt(0)
	s_barrier
	buffer_gl0_inv
	v_cmpx_gt_u32_e32 34, v138
	s_cbranch_execz .LBB45_151
; %bb.148:
	v_dual_mov_b32 v1, 0 :: v_dual_add_nc_u32 v8, 0x2e0, v13
	v_dual_mov_b32 v2, 0 :: v_dual_add_nc_u32 v7, -1, v138
	v_or_b32_e32 v9, 8, v14
	s_mov_b32 s3, 0
	s_delay_alu instid0(VALU_DEP_2)
	v_dual_mov_b32 v4, v2 :: v_dual_mov_b32 v3, v1
	.p2align	6
.LBB45_149:                             ; =>This Inner Loop Header: Depth=1
	scratch_load_b128 v[15:18], v9, off offset:-8
	ds_load_b128 v[19:22], v8
	v_add_nc_u32_e32 v7, 1, v7
	v_add_nc_u32_e32 v8, 16, v8
	;; [unrolled: 1-line block ×3, first 2 shown]
	s_delay_alu instid0(VALU_DEP_3) | instskip(SKIP_4) | instid1(VALU_DEP_2)
	v_cmp_lt_u32_e32 vcc_lo, 32, v7
	s_or_b32 s3, vcc_lo, s3
	s_waitcnt vmcnt(0) lgkmcnt(0)
	v_mul_f64 v[10:11], v[21:22], v[17:18]
	v_mul_f64 v[17:18], v[19:20], v[17:18]
	v_fma_f64 v[10:11], v[19:20], v[15:16], -v[10:11]
	s_delay_alu instid0(VALU_DEP_2) | instskip(NEXT) | instid1(VALU_DEP_2)
	v_fma_f64 v[15:16], v[21:22], v[15:16], v[17:18]
	v_add_f64 v[3:4], v[3:4], v[10:11]
	s_delay_alu instid0(VALU_DEP_2)
	v_add_f64 v[1:2], v[1:2], v[15:16]
	s_and_not1_b32 exec_lo, exec_lo, s3
	s_cbranch_execnz .LBB45_149
; %bb.150:
	s_or_b32 exec_lo, exec_lo, s3
	v_mov_b32_e32 v7, 0
	ds_load_b128 v[7:10], v7 offset:544
	s_waitcnt lgkmcnt(0)
	v_mul_f64 v[11:12], v[1:2], v[9:10]
	v_mul_f64 v[15:16], v[3:4], v[9:10]
	s_delay_alu instid0(VALU_DEP_2) | instskip(NEXT) | instid1(VALU_DEP_2)
	v_fma_f64 v[9:10], v[3:4], v[7:8], -v[11:12]
	v_fma_f64 v[11:12], v[1:2], v[7:8], v[15:16]
	scratch_store_b128 off, v[9:12], off offset:544
.LBB45_151:
	s_or_b32 exec_lo, exec_lo, s2
	s_waitcnt_vscnt null, 0x0
	s_barrier
	buffer_gl0_inv
	scratch_load_b128 v[1:4], v142, off
	s_mov_b32 s2, exec_lo
	s_waitcnt vmcnt(0)
	ds_store_b128 v5, v[1:4]
	s_waitcnt lgkmcnt(0)
	s_barrier
	buffer_gl0_inv
	v_cmpx_gt_u32_e32 35, v138
	s_cbranch_execz .LBB45_155
; %bb.152:
	v_dual_mov_b32 v1, 0 :: v_dual_add_nc_u32 v8, 0x2e0, v13
	v_dual_mov_b32 v2, 0 :: v_dual_add_nc_u32 v7, -1, v138
	v_or_b32_e32 v9, 8, v14
	s_mov_b32 s3, 0
	s_delay_alu instid0(VALU_DEP_2)
	v_dual_mov_b32 v4, v2 :: v_dual_mov_b32 v3, v1
	.p2align	6
.LBB45_153:                             ; =>This Inner Loop Header: Depth=1
	scratch_load_b128 v[15:18], v9, off offset:-8
	ds_load_b128 v[19:22], v8
	v_add_nc_u32_e32 v7, 1, v7
	v_add_nc_u32_e32 v8, 16, v8
	;; [unrolled: 1-line block ×3, first 2 shown]
	s_delay_alu instid0(VALU_DEP_3) | instskip(SKIP_4) | instid1(VALU_DEP_2)
	v_cmp_lt_u32_e32 vcc_lo, 33, v7
	s_or_b32 s3, vcc_lo, s3
	s_waitcnt vmcnt(0) lgkmcnt(0)
	v_mul_f64 v[10:11], v[21:22], v[17:18]
	v_mul_f64 v[17:18], v[19:20], v[17:18]
	v_fma_f64 v[10:11], v[19:20], v[15:16], -v[10:11]
	s_delay_alu instid0(VALU_DEP_2) | instskip(NEXT) | instid1(VALU_DEP_2)
	v_fma_f64 v[15:16], v[21:22], v[15:16], v[17:18]
	v_add_f64 v[3:4], v[3:4], v[10:11]
	s_delay_alu instid0(VALU_DEP_2)
	v_add_f64 v[1:2], v[1:2], v[15:16]
	s_and_not1_b32 exec_lo, exec_lo, s3
	s_cbranch_execnz .LBB45_153
; %bb.154:
	s_or_b32 exec_lo, exec_lo, s3
	v_mov_b32_e32 v7, 0
	ds_load_b128 v[7:10], v7 offset:560
	s_waitcnt lgkmcnt(0)
	v_mul_f64 v[11:12], v[1:2], v[9:10]
	v_mul_f64 v[15:16], v[3:4], v[9:10]
	s_delay_alu instid0(VALU_DEP_2) | instskip(NEXT) | instid1(VALU_DEP_2)
	v_fma_f64 v[9:10], v[3:4], v[7:8], -v[11:12]
	v_fma_f64 v[11:12], v[1:2], v[7:8], v[15:16]
	scratch_store_b128 off, v[9:12], off offset:560
.LBB45_155:
	s_or_b32 exec_lo, exec_lo, s2
	s_waitcnt_vscnt null, 0x0
	s_barrier
	buffer_gl0_inv
	scratch_load_b128 v[1:4], v141, off
	s_mov_b32 s2, exec_lo
	s_waitcnt vmcnt(0)
	ds_store_b128 v5, v[1:4]
	s_waitcnt lgkmcnt(0)
	s_barrier
	buffer_gl0_inv
	v_cmpx_gt_u32_e32 36, v138
	s_cbranch_execz .LBB45_159
; %bb.156:
	v_dual_mov_b32 v1, 0 :: v_dual_add_nc_u32 v8, 0x2e0, v13
	v_dual_mov_b32 v2, 0 :: v_dual_add_nc_u32 v7, -1, v138
	v_or_b32_e32 v9, 8, v14
	s_mov_b32 s3, 0
	s_delay_alu instid0(VALU_DEP_2)
	v_dual_mov_b32 v4, v2 :: v_dual_mov_b32 v3, v1
	.p2align	6
.LBB45_157:                             ; =>This Inner Loop Header: Depth=1
	scratch_load_b128 v[15:18], v9, off offset:-8
	ds_load_b128 v[19:22], v8
	v_add_nc_u32_e32 v7, 1, v7
	v_add_nc_u32_e32 v8, 16, v8
	;; [unrolled: 1-line block ×3, first 2 shown]
	s_delay_alu instid0(VALU_DEP_3) | instskip(SKIP_4) | instid1(VALU_DEP_2)
	v_cmp_lt_u32_e32 vcc_lo, 34, v7
	s_or_b32 s3, vcc_lo, s3
	s_waitcnt vmcnt(0) lgkmcnt(0)
	v_mul_f64 v[10:11], v[21:22], v[17:18]
	v_mul_f64 v[17:18], v[19:20], v[17:18]
	v_fma_f64 v[10:11], v[19:20], v[15:16], -v[10:11]
	s_delay_alu instid0(VALU_DEP_2) | instskip(NEXT) | instid1(VALU_DEP_2)
	v_fma_f64 v[15:16], v[21:22], v[15:16], v[17:18]
	v_add_f64 v[3:4], v[3:4], v[10:11]
	s_delay_alu instid0(VALU_DEP_2)
	v_add_f64 v[1:2], v[1:2], v[15:16]
	s_and_not1_b32 exec_lo, exec_lo, s3
	s_cbranch_execnz .LBB45_157
; %bb.158:
	s_or_b32 exec_lo, exec_lo, s3
	v_mov_b32_e32 v7, 0
	ds_load_b128 v[7:10], v7 offset:576
	s_waitcnt lgkmcnt(0)
	v_mul_f64 v[11:12], v[1:2], v[9:10]
	v_mul_f64 v[15:16], v[3:4], v[9:10]
	s_delay_alu instid0(VALU_DEP_2) | instskip(NEXT) | instid1(VALU_DEP_2)
	v_fma_f64 v[9:10], v[3:4], v[7:8], -v[11:12]
	v_fma_f64 v[11:12], v[1:2], v[7:8], v[15:16]
	scratch_store_b128 off, v[9:12], off offset:576
.LBB45_159:
	s_or_b32 exec_lo, exec_lo, s2
	s_waitcnt_vscnt null, 0x0
	s_barrier
	buffer_gl0_inv
	scratch_load_b128 v[1:4], v140, off
	s_mov_b32 s2, exec_lo
	s_waitcnt vmcnt(0)
	ds_store_b128 v5, v[1:4]
	s_waitcnt lgkmcnt(0)
	s_barrier
	buffer_gl0_inv
	v_cmpx_gt_u32_e32 37, v138
	s_cbranch_execz .LBB45_163
; %bb.160:
	v_dual_mov_b32 v1, 0 :: v_dual_add_nc_u32 v8, 0x2e0, v13
	v_dual_mov_b32 v2, 0 :: v_dual_add_nc_u32 v7, -1, v138
	v_or_b32_e32 v9, 8, v14
	s_mov_b32 s3, 0
	s_delay_alu instid0(VALU_DEP_2)
	v_dual_mov_b32 v4, v2 :: v_dual_mov_b32 v3, v1
	.p2align	6
.LBB45_161:                             ; =>This Inner Loop Header: Depth=1
	scratch_load_b128 v[15:18], v9, off offset:-8
	ds_load_b128 v[19:22], v8
	v_add_nc_u32_e32 v7, 1, v7
	v_add_nc_u32_e32 v8, 16, v8
	;; [unrolled: 1-line block ×3, first 2 shown]
	s_delay_alu instid0(VALU_DEP_3) | instskip(SKIP_4) | instid1(VALU_DEP_2)
	v_cmp_lt_u32_e32 vcc_lo, 35, v7
	s_or_b32 s3, vcc_lo, s3
	s_waitcnt vmcnt(0) lgkmcnt(0)
	v_mul_f64 v[10:11], v[21:22], v[17:18]
	v_mul_f64 v[17:18], v[19:20], v[17:18]
	v_fma_f64 v[10:11], v[19:20], v[15:16], -v[10:11]
	s_delay_alu instid0(VALU_DEP_2) | instskip(NEXT) | instid1(VALU_DEP_2)
	v_fma_f64 v[15:16], v[21:22], v[15:16], v[17:18]
	v_add_f64 v[3:4], v[3:4], v[10:11]
	s_delay_alu instid0(VALU_DEP_2)
	v_add_f64 v[1:2], v[1:2], v[15:16]
	s_and_not1_b32 exec_lo, exec_lo, s3
	s_cbranch_execnz .LBB45_161
; %bb.162:
	s_or_b32 exec_lo, exec_lo, s3
	v_mov_b32_e32 v7, 0
	ds_load_b128 v[7:10], v7 offset:592
	s_waitcnt lgkmcnt(0)
	v_mul_f64 v[11:12], v[1:2], v[9:10]
	v_mul_f64 v[15:16], v[3:4], v[9:10]
	s_delay_alu instid0(VALU_DEP_2) | instskip(NEXT) | instid1(VALU_DEP_2)
	v_fma_f64 v[9:10], v[3:4], v[7:8], -v[11:12]
	v_fma_f64 v[11:12], v[1:2], v[7:8], v[15:16]
	scratch_store_b128 off, v[9:12], off offset:592
.LBB45_163:
	s_or_b32 exec_lo, exec_lo, s2
	s_waitcnt_vscnt null, 0x0
	s_barrier
	buffer_gl0_inv
	scratch_load_b128 v[1:4], v139, off
	s_mov_b32 s2, exec_lo
	s_waitcnt vmcnt(0)
	ds_store_b128 v5, v[1:4]
	s_waitcnt lgkmcnt(0)
	s_barrier
	buffer_gl0_inv
	v_cmpx_gt_u32_e32 38, v138
	s_cbranch_execz .LBB45_167
; %bb.164:
	v_dual_mov_b32 v1, 0 :: v_dual_add_nc_u32 v8, 0x2e0, v13
	v_dual_mov_b32 v2, 0 :: v_dual_add_nc_u32 v7, -1, v138
	v_or_b32_e32 v9, 8, v14
	s_mov_b32 s3, 0
	s_delay_alu instid0(VALU_DEP_2)
	v_dual_mov_b32 v4, v2 :: v_dual_mov_b32 v3, v1
	.p2align	6
.LBB45_165:                             ; =>This Inner Loop Header: Depth=1
	scratch_load_b128 v[15:18], v9, off offset:-8
	ds_load_b128 v[19:22], v8
	v_add_nc_u32_e32 v7, 1, v7
	v_add_nc_u32_e32 v8, 16, v8
	;; [unrolled: 1-line block ×3, first 2 shown]
	s_delay_alu instid0(VALU_DEP_3) | instskip(SKIP_4) | instid1(VALU_DEP_2)
	v_cmp_lt_u32_e32 vcc_lo, 36, v7
	s_or_b32 s3, vcc_lo, s3
	s_waitcnt vmcnt(0) lgkmcnt(0)
	v_mul_f64 v[10:11], v[21:22], v[17:18]
	v_mul_f64 v[17:18], v[19:20], v[17:18]
	v_fma_f64 v[10:11], v[19:20], v[15:16], -v[10:11]
	s_delay_alu instid0(VALU_DEP_2) | instskip(NEXT) | instid1(VALU_DEP_2)
	v_fma_f64 v[15:16], v[21:22], v[15:16], v[17:18]
	v_add_f64 v[3:4], v[3:4], v[10:11]
	s_delay_alu instid0(VALU_DEP_2)
	v_add_f64 v[1:2], v[1:2], v[15:16]
	s_and_not1_b32 exec_lo, exec_lo, s3
	s_cbranch_execnz .LBB45_165
; %bb.166:
	s_or_b32 exec_lo, exec_lo, s3
	v_mov_b32_e32 v7, 0
	ds_load_b128 v[7:10], v7 offset:608
	s_waitcnt lgkmcnt(0)
	v_mul_f64 v[11:12], v[1:2], v[9:10]
	v_mul_f64 v[15:16], v[3:4], v[9:10]
	s_delay_alu instid0(VALU_DEP_2) | instskip(NEXT) | instid1(VALU_DEP_2)
	v_fma_f64 v[9:10], v[3:4], v[7:8], -v[11:12]
	v_fma_f64 v[11:12], v[1:2], v[7:8], v[15:16]
	scratch_store_b128 off, v[9:12], off offset:608
.LBB45_167:
	s_or_b32 exec_lo, exec_lo, s2
	s_waitcnt_vscnt null, 0x0
	s_barrier
	buffer_gl0_inv
	scratch_load_b128 v[1:4], v158, off
	s_mov_b32 s2, exec_lo
	s_waitcnt vmcnt(0)
	ds_store_b128 v5, v[1:4]
	s_waitcnt lgkmcnt(0)
	s_barrier
	buffer_gl0_inv
	v_cmpx_gt_u32_e32 39, v138
	s_cbranch_execz .LBB45_171
; %bb.168:
	v_dual_mov_b32 v1, 0 :: v_dual_add_nc_u32 v8, 0x2e0, v13
	v_dual_mov_b32 v2, 0 :: v_dual_add_nc_u32 v7, -1, v138
	v_or_b32_e32 v9, 8, v14
	s_mov_b32 s3, 0
	s_delay_alu instid0(VALU_DEP_2)
	v_dual_mov_b32 v4, v2 :: v_dual_mov_b32 v3, v1
	.p2align	6
.LBB45_169:                             ; =>This Inner Loop Header: Depth=1
	scratch_load_b128 v[15:18], v9, off offset:-8
	ds_load_b128 v[19:22], v8
	v_add_nc_u32_e32 v7, 1, v7
	v_add_nc_u32_e32 v8, 16, v8
	;; [unrolled: 1-line block ×3, first 2 shown]
	s_delay_alu instid0(VALU_DEP_3) | instskip(SKIP_4) | instid1(VALU_DEP_2)
	v_cmp_lt_u32_e32 vcc_lo, 37, v7
	s_or_b32 s3, vcc_lo, s3
	s_waitcnt vmcnt(0) lgkmcnt(0)
	v_mul_f64 v[10:11], v[21:22], v[17:18]
	v_mul_f64 v[17:18], v[19:20], v[17:18]
	v_fma_f64 v[10:11], v[19:20], v[15:16], -v[10:11]
	s_delay_alu instid0(VALU_DEP_2) | instskip(NEXT) | instid1(VALU_DEP_2)
	v_fma_f64 v[15:16], v[21:22], v[15:16], v[17:18]
	v_add_f64 v[3:4], v[3:4], v[10:11]
	s_delay_alu instid0(VALU_DEP_2)
	v_add_f64 v[1:2], v[1:2], v[15:16]
	s_and_not1_b32 exec_lo, exec_lo, s3
	s_cbranch_execnz .LBB45_169
; %bb.170:
	s_or_b32 exec_lo, exec_lo, s3
	v_mov_b32_e32 v7, 0
	ds_load_b128 v[7:10], v7 offset:624
	s_waitcnt lgkmcnt(0)
	v_mul_f64 v[11:12], v[1:2], v[9:10]
	v_mul_f64 v[15:16], v[3:4], v[9:10]
	s_delay_alu instid0(VALU_DEP_2) | instskip(NEXT) | instid1(VALU_DEP_2)
	v_fma_f64 v[9:10], v[3:4], v[7:8], -v[11:12]
	v_fma_f64 v[11:12], v[1:2], v[7:8], v[15:16]
	scratch_store_b128 off, v[9:12], off offset:624
.LBB45_171:
	s_or_b32 exec_lo, exec_lo, s2
	s_waitcnt_vscnt null, 0x0
	s_barrier
	buffer_gl0_inv
	scratch_load_b128 v[1:4], v155, off
	s_mov_b32 s2, exec_lo
	s_waitcnt vmcnt(0)
	ds_store_b128 v5, v[1:4]
	s_waitcnt lgkmcnt(0)
	s_barrier
	buffer_gl0_inv
	v_cmpx_gt_u32_e32 40, v138
	s_cbranch_execz .LBB45_175
; %bb.172:
	v_dual_mov_b32 v1, 0 :: v_dual_add_nc_u32 v8, 0x2e0, v13
	v_dual_mov_b32 v2, 0 :: v_dual_add_nc_u32 v7, -1, v138
	v_or_b32_e32 v9, 8, v14
	s_mov_b32 s3, 0
	s_delay_alu instid0(VALU_DEP_2)
	v_dual_mov_b32 v4, v2 :: v_dual_mov_b32 v3, v1
	.p2align	6
.LBB45_173:                             ; =>This Inner Loop Header: Depth=1
	scratch_load_b128 v[15:18], v9, off offset:-8
	ds_load_b128 v[19:22], v8
	v_add_nc_u32_e32 v7, 1, v7
	v_add_nc_u32_e32 v8, 16, v8
	;; [unrolled: 1-line block ×3, first 2 shown]
	s_delay_alu instid0(VALU_DEP_3) | instskip(SKIP_4) | instid1(VALU_DEP_2)
	v_cmp_lt_u32_e32 vcc_lo, 38, v7
	s_or_b32 s3, vcc_lo, s3
	s_waitcnt vmcnt(0) lgkmcnt(0)
	v_mul_f64 v[10:11], v[21:22], v[17:18]
	v_mul_f64 v[17:18], v[19:20], v[17:18]
	v_fma_f64 v[10:11], v[19:20], v[15:16], -v[10:11]
	s_delay_alu instid0(VALU_DEP_2) | instskip(NEXT) | instid1(VALU_DEP_2)
	v_fma_f64 v[15:16], v[21:22], v[15:16], v[17:18]
	v_add_f64 v[3:4], v[3:4], v[10:11]
	s_delay_alu instid0(VALU_DEP_2)
	v_add_f64 v[1:2], v[1:2], v[15:16]
	s_and_not1_b32 exec_lo, exec_lo, s3
	s_cbranch_execnz .LBB45_173
; %bb.174:
	s_or_b32 exec_lo, exec_lo, s3
	v_mov_b32_e32 v7, 0
	ds_load_b128 v[7:10], v7 offset:640
	s_waitcnt lgkmcnt(0)
	v_mul_f64 v[11:12], v[1:2], v[9:10]
	v_mul_f64 v[15:16], v[3:4], v[9:10]
	s_delay_alu instid0(VALU_DEP_2) | instskip(NEXT) | instid1(VALU_DEP_2)
	v_fma_f64 v[9:10], v[3:4], v[7:8], -v[11:12]
	v_fma_f64 v[11:12], v[1:2], v[7:8], v[15:16]
	scratch_store_b128 off, v[9:12], off offset:640
.LBB45_175:
	s_or_b32 exec_lo, exec_lo, s2
	s_waitcnt_vscnt null, 0x0
	s_barrier
	buffer_gl0_inv
	scratch_load_b128 v[1:4], v154, off
	s_mov_b32 s2, exec_lo
	s_waitcnt vmcnt(0)
	ds_store_b128 v5, v[1:4]
	s_waitcnt lgkmcnt(0)
	s_barrier
	buffer_gl0_inv
	v_cmpx_gt_u32_e32 41, v138
	s_cbranch_execz .LBB45_179
; %bb.176:
	v_dual_mov_b32 v1, 0 :: v_dual_add_nc_u32 v8, 0x2e0, v13
	v_dual_mov_b32 v2, 0 :: v_dual_add_nc_u32 v7, -1, v138
	v_or_b32_e32 v9, 8, v14
	s_mov_b32 s3, 0
	s_delay_alu instid0(VALU_DEP_2)
	v_dual_mov_b32 v4, v2 :: v_dual_mov_b32 v3, v1
	.p2align	6
.LBB45_177:                             ; =>This Inner Loop Header: Depth=1
	scratch_load_b128 v[15:18], v9, off offset:-8
	ds_load_b128 v[19:22], v8
	v_add_nc_u32_e32 v7, 1, v7
	v_add_nc_u32_e32 v8, 16, v8
	v_add_nc_u32_e32 v9, 16, v9
	s_delay_alu instid0(VALU_DEP_3) | instskip(SKIP_4) | instid1(VALU_DEP_2)
	v_cmp_lt_u32_e32 vcc_lo, 39, v7
	s_or_b32 s3, vcc_lo, s3
	s_waitcnt vmcnt(0) lgkmcnt(0)
	v_mul_f64 v[10:11], v[21:22], v[17:18]
	v_mul_f64 v[17:18], v[19:20], v[17:18]
	v_fma_f64 v[10:11], v[19:20], v[15:16], -v[10:11]
	s_delay_alu instid0(VALU_DEP_2) | instskip(NEXT) | instid1(VALU_DEP_2)
	v_fma_f64 v[15:16], v[21:22], v[15:16], v[17:18]
	v_add_f64 v[3:4], v[3:4], v[10:11]
	s_delay_alu instid0(VALU_DEP_2)
	v_add_f64 v[1:2], v[1:2], v[15:16]
	s_and_not1_b32 exec_lo, exec_lo, s3
	s_cbranch_execnz .LBB45_177
; %bb.178:
	s_or_b32 exec_lo, exec_lo, s3
	v_mov_b32_e32 v7, 0
	ds_load_b128 v[7:10], v7 offset:656
	s_waitcnt lgkmcnt(0)
	v_mul_f64 v[11:12], v[1:2], v[9:10]
	v_mul_f64 v[15:16], v[3:4], v[9:10]
	s_delay_alu instid0(VALU_DEP_2) | instskip(NEXT) | instid1(VALU_DEP_2)
	v_fma_f64 v[9:10], v[3:4], v[7:8], -v[11:12]
	v_fma_f64 v[11:12], v[1:2], v[7:8], v[15:16]
	scratch_store_b128 off, v[9:12], off offset:656
.LBB45_179:
	s_or_b32 exec_lo, exec_lo, s2
	s_waitcnt_vscnt null, 0x0
	s_barrier
	buffer_gl0_inv
	scratch_load_b128 v[1:4], v151, off
	s_mov_b32 s2, exec_lo
	s_waitcnt vmcnt(0)
	ds_store_b128 v5, v[1:4]
	s_waitcnt lgkmcnt(0)
	s_barrier
	buffer_gl0_inv
	v_cmpx_gt_u32_e32 42, v138
	s_cbranch_execz .LBB45_183
; %bb.180:
	v_dual_mov_b32 v1, 0 :: v_dual_add_nc_u32 v8, 0x2e0, v13
	v_dual_mov_b32 v2, 0 :: v_dual_add_nc_u32 v7, -1, v138
	v_or_b32_e32 v9, 8, v14
	s_mov_b32 s3, 0
	s_delay_alu instid0(VALU_DEP_2)
	v_dual_mov_b32 v4, v2 :: v_dual_mov_b32 v3, v1
	.p2align	6
.LBB45_181:                             ; =>This Inner Loop Header: Depth=1
	scratch_load_b128 v[15:18], v9, off offset:-8
	ds_load_b128 v[19:22], v8
	v_add_nc_u32_e32 v7, 1, v7
	v_add_nc_u32_e32 v8, 16, v8
	;; [unrolled: 1-line block ×3, first 2 shown]
	s_delay_alu instid0(VALU_DEP_3) | instskip(SKIP_4) | instid1(VALU_DEP_2)
	v_cmp_lt_u32_e32 vcc_lo, 40, v7
	s_or_b32 s3, vcc_lo, s3
	s_waitcnt vmcnt(0) lgkmcnt(0)
	v_mul_f64 v[10:11], v[21:22], v[17:18]
	v_mul_f64 v[17:18], v[19:20], v[17:18]
	v_fma_f64 v[10:11], v[19:20], v[15:16], -v[10:11]
	s_delay_alu instid0(VALU_DEP_2) | instskip(NEXT) | instid1(VALU_DEP_2)
	v_fma_f64 v[15:16], v[21:22], v[15:16], v[17:18]
	v_add_f64 v[3:4], v[3:4], v[10:11]
	s_delay_alu instid0(VALU_DEP_2)
	v_add_f64 v[1:2], v[1:2], v[15:16]
	s_and_not1_b32 exec_lo, exec_lo, s3
	s_cbranch_execnz .LBB45_181
; %bb.182:
	s_or_b32 exec_lo, exec_lo, s3
	v_mov_b32_e32 v7, 0
	ds_load_b128 v[7:10], v7 offset:672
	s_waitcnt lgkmcnt(0)
	v_mul_f64 v[11:12], v[1:2], v[9:10]
	v_mul_f64 v[15:16], v[3:4], v[9:10]
	s_delay_alu instid0(VALU_DEP_2) | instskip(NEXT) | instid1(VALU_DEP_2)
	v_fma_f64 v[9:10], v[3:4], v[7:8], -v[11:12]
	v_fma_f64 v[11:12], v[1:2], v[7:8], v[15:16]
	scratch_store_b128 off, v[9:12], off offset:672
.LBB45_183:
	s_or_b32 exec_lo, exec_lo, s2
	s_waitcnt_vscnt null, 0x0
	s_barrier
	buffer_gl0_inv
	scratch_load_b128 v[1:4], v150, off
	s_mov_b32 s2, exec_lo
	s_waitcnt vmcnt(0)
	ds_store_b128 v5, v[1:4]
	s_waitcnt lgkmcnt(0)
	s_barrier
	buffer_gl0_inv
	v_cmpx_gt_u32_e32 43, v138
	s_cbranch_execz .LBB45_187
; %bb.184:
	v_dual_mov_b32 v1, 0 :: v_dual_add_nc_u32 v8, 0x2e0, v13
	v_dual_mov_b32 v2, 0 :: v_dual_add_nc_u32 v7, -1, v138
	v_or_b32_e32 v9, 8, v14
	s_mov_b32 s3, 0
	s_delay_alu instid0(VALU_DEP_2)
	v_dual_mov_b32 v4, v2 :: v_dual_mov_b32 v3, v1
	.p2align	6
.LBB45_185:                             ; =>This Inner Loop Header: Depth=1
	scratch_load_b128 v[15:18], v9, off offset:-8
	ds_load_b128 v[19:22], v8
	v_add_nc_u32_e32 v7, 1, v7
	v_add_nc_u32_e32 v8, 16, v8
	;; [unrolled: 1-line block ×3, first 2 shown]
	s_delay_alu instid0(VALU_DEP_3) | instskip(SKIP_4) | instid1(VALU_DEP_2)
	v_cmp_lt_u32_e32 vcc_lo, 41, v7
	s_or_b32 s3, vcc_lo, s3
	s_waitcnt vmcnt(0) lgkmcnt(0)
	v_mul_f64 v[10:11], v[21:22], v[17:18]
	v_mul_f64 v[17:18], v[19:20], v[17:18]
	v_fma_f64 v[10:11], v[19:20], v[15:16], -v[10:11]
	s_delay_alu instid0(VALU_DEP_2) | instskip(NEXT) | instid1(VALU_DEP_2)
	v_fma_f64 v[15:16], v[21:22], v[15:16], v[17:18]
	v_add_f64 v[3:4], v[3:4], v[10:11]
	s_delay_alu instid0(VALU_DEP_2)
	v_add_f64 v[1:2], v[1:2], v[15:16]
	s_and_not1_b32 exec_lo, exec_lo, s3
	s_cbranch_execnz .LBB45_185
; %bb.186:
	s_or_b32 exec_lo, exec_lo, s3
	v_mov_b32_e32 v7, 0
	ds_load_b128 v[7:10], v7 offset:688
	s_waitcnt lgkmcnt(0)
	v_mul_f64 v[11:12], v[1:2], v[9:10]
	v_mul_f64 v[15:16], v[3:4], v[9:10]
	s_delay_alu instid0(VALU_DEP_2) | instskip(NEXT) | instid1(VALU_DEP_2)
	v_fma_f64 v[9:10], v[3:4], v[7:8], -v[11:12]
	v_fma_f64 v[11:12], v[1:2], v[7:8], v[15:16]
	scratch_store_b128 off, v[9:12], off offset:688
.LBB45_187:
	s_or_b32 exec_lo, exec_lo, s2
	s_waitcnt_vscnt null, 0x0
	s_barrier
	buffer_gl0_inv
	scratch_load_b128 v[1:4], v147, off
	s_mov_b32 s2, exec_lo
	s_waitcnt vmcnt(0)
	ds_store_b128 v5, v[1:4]
	s_waitcnt lgkmcnt(0)
	s_barrier
	buffer_gl0_inv
	v_cmpx_gt_u32_e32 44, v138
	s_cbranch_execz .LBB45_191
; %bb.188:
	v_dual_mov_b32 v1, 0 :: v_dual_add_nc_u32 v8, 0x2e0, v13
	v_dual_mov_b32 v2, 0 :: v_dual_add_nc_u32 v7, -1, v138
	v_or_b32_e32 v9, 8, v14
	s_mov_b32 s3, 0
	s_delay_alu instid0(VALU_DEP_2)
	v_dual_mov_b32 v4, v2 :: v_dual_mov_b32 v3, v1
	.p2align	6
.LBB45_189:                             ; =>This Inner Loop Header: Depth=1
	scratch_load_b128 v[10:13], v9, off offset:-8
	ds_load_b128 v[15:18], v8
	v_add_nc_u32_e32 v7, 1, v7
	v_add_nc_u32_e32 v8, 16, v8
	;; [unrolled: 1-line block ×3, first 2 shown]
	s_delay_alu instid0(VALU_DEP_3) | instskip(SKIP_4) | instid1(VALU_DEP_2)
	v_cmp_lt_u32_e32 vcc_lo, 42, v7
	s_or_b32 s3, vcc_lo, s3
	s_waitcnt vmcnt(0) lgkmcnt(0)
	v_mul_f64 v[19:20], v[17:18], v[12:13]
	v_mul_f64 v[12:13], v[15:16], v[12:13]
	v_fma_f64 v[15:16], v[15:16], v[10:11], -v[19:20]
	s_delay_alu instid0(VALU_DEP_2) | instskip(NEXT) | instid1(VALU_DEP_2)
	v_fma_f64 v[10:11], v[17:18], v[10:11], v[12:13]
	v_add_f64 v[3:4], v[3:4], v[15:16]
	s_delay_alu instid0(VALU_DEP_2)
	v_add_f64 v[1:2], v[1:2], v[10:11]
	s_and_not1_b32 exec_lo, exec_lo, s3
	s_cbranch_execnz .LBB45_189
; %bb.190:
	s_or_b32 exec_lo, exec_lo, s3
	v_mov_b32_e32 v7, 0
	ds_load_b128 v[7:10], v7 offset:704
	s_waitcnt lgkmcnt(0)
	v_mul_f64 v[11:12], v[1:2], v[9:10]
	v_mul_f64 v[15:16], v[3:4], v[9:10]
	s_delay_alu instid0(VALU_DEP_2) | instskip(NEXT) | instid1(VALU_DEP_2)
	v_fma_f64 v[9:10], v[3:4], v[7:8], -v[11:12]
	v_fma_f64 v[11:12], v[1:2], v[7:8], v[15:16]
	scratch_store_b128 off, v[9:12], off offset:704
.LBB45_191:
	s_or_b32 exec_lo, exec_lo, s2
	s_waitcnt_vscnt null, 0x0
	s_barrier
	buffer_gl0_inv
	scratch_load_b128 v[1:4], v145, off
	s_mov_b32 s2, exec_lo
	s_waitcnt vmcnt(0)
	ds_store_b128 v5, v[1:4]
	s_waitcnt lgkmcnt(0)
	s_barrier
	buffer_gl0_inv
	v_cmpx_ne_u32_e32 45, v138
	s_cbranch_execz .LBB45_195
; %bb.192:
	v_mov_b32_e32 v1, 0
	v_mov_b32_e32 v2, 0
	v_or_b32_e32 v7, 8, v14
	s_mov_b32 s3, 0
	s_delay_alu instid0(VALU_DEP_2)
	v_dual_mov_b32 v4, v2 :: v_dual_mov_b32 v3, v1
	.p2align	6
.LBB45_193:                             ; =>This Inner Loop Header: Depth=1
	scratch_load_b128 v[8:11], v7, off offset:-8
	ds_load_b128 v[12:15], v5
	v_add_nc_u32_e32 v6, 1, v6
	v_add_nc_u32_e32 v5, 16, v5
	;; [unrolled: 1-line block ×3, first 2 shown]
	s_delay_alu instid0(VALU_DEP_3) | instskip(SKIP_4) | instid1(VALU_DEP_2)
	v_cmp_lt_u32_e32 vcc_lo, 43, v6
	s_or_b32 s3, vcc_lo, s3
	s_waitcnt vmcnt(0) lgkmcnt(0)
	v_mul_f64 v[16:17], v[14:15], v[10:11]
	v_mul_f64 v[10:11], v[12:13], v[10:11]
	v_fma_f64 v[12:13], v[12:13], v[8:9], -v[16:17]
	s_delay_alu instid0(VALU_DEP_2) | instskip(NEXT) | instid1(VALU_DEP_2)
	v_fma_f64 v[8:9], v[14:15], v[8:9], v[10:11]
	v_add_f64 v[3:4], v[3:4], v[12:13]
	s_delay_alu instid0(VALU_DEP_2)
	v_add_f64 v[1:2], v[1:2], v[8:9]
	s_and_not1_b32 exec_lo, exec_lo, s3
	s_cbranch_execnz .LBB45_193
; %bb.194:
	s_or_b32 exec_lo, exec_lo, s3
	v_mov_b32_e32 v5, 0
	ds_load_b128 v[5:8], v5 offset:720
	s_waitcnt lgkmcnt(0)
	v_mul_f64 v[9:10], v[1:2], v[7:8]
	v_mul_f64 v[7:8], v[3:4], v[7:8]
	s_delay_alu instid0(VALU_DEP_2) | instskip(NEXT) | instid1(VALU_DEP_2)
	v_fma_f64 v[3:4], v[3:4], v[5:6], -v[9:10]
	v_fma_f64 v[5:6], v[1:2], v[5:6], v[7:8]
	scratch_store_b128 off, v[3:6], off offset:720
.LBB45_195:
	s_or_b32 exec_lo, exec_lo, s2
	s_mov_b32 s3, -1
	s_waitcnt_vscnt null, 0x0
	s_barrier
	buffer_gl0_inv
.LBB45_196:
	s_and_b32 vcc_lo, exec_lo, s3
	s_cbranch_vccz .LBB45_198
; %bb.197:
	s_lshl_b64 s[2:3], s[18:19], 2
	v_mov_b32_e32 v1, 0
	s_add_u32 s2, s6, s2
	s_addc_u32 s3, s7, s3
	global_load_b32 v1, v1, s[2:3]
	s_waitcnt vmcnt(0)
	v_cmp_ne_u32_e32 vcc_lo, 0, v1
	s_cbranch_vccz .LBB45_199
.LBB45_198:
	s_endpgm
.LBB45_199:
	v_lshl_add_u32 v184, v138, 4, 0x2e0
	s_mov_b32 s2, exec_lo
	v_cmpx_eq_u32_e32 45, v138
	s_cbranch_execz .LBB45_201
; %bb.200:
	scratch_load_b128 v[1:4], v147, off
	v_mov_b32_e32 v5, 0
	s_delay_alu instid0(VALU_DEP_1)
	v_mov_b32_e32 v6, v5
	v_mov_b32_e32 v7, v5
	;; [unrolled: 1-line block ×3, first 2 shown]
	scratch_store_b128 off, v[5:8], off offset:704
	s_waitcnt vmcnt(0)
	ds_store_b128 v184, v[1:4]
.LBB45_201:
	s_or_b32 exec_lo, exec_lo, s2
	s_waitcnt lgkmcnt(0)
	s_waitcnt_vscnt null, 0x0
	s_barrier
	buffer_gl0_inv
	s_clause 0x1
	scratch_load_b128 v[2:5], off, off offset:720
	scratch_load_b128 v[6:9], off, off offset:704
	v_mov_b32_e32 v1, 0
	s_mov_b32 s2, exec_lo
	ds_load_b128 v[10:13], v1 offset:1456
	s_waitcnt vmcnt(1) lgkmcnt(0)
	v_mul_f64 v[14:15], v[12:13], v[4:5]
	v_mul_f64 v[4:5], v[10:11], v[4:5]
	s_delay_alu instid0(VALU_DEP_2) | instskip(NEXT) | instid1(VALU_DEP_2)
	v_fma_f64 v[10:11], v[10:11], v[2:3], -v[14:15]
	v_fma_f64 v[2:3], v[12:13], v[2:3], v[4:5]
	s_delay_alu instid0(VALU_DEP_2) | instskip(NEXT) | instid1(VALU_DEP_2)
	v_add_f64 v[4:5], v[10:11], 0
	v_add_f64 v[10:11], v[2:3], 0
	s_waitcnt vmcnt(0)
	s_delay_alu instid0(VALU_DEP_2) | instskip(NEXT) | instid1(VALU_DEP_2)
	v_add_f64 v[2:3], v[6:7], -v[4:5]
	v_add_f64 v[4:5], v[8:9], -v[10:11]
	scratch_store_b128 off, v[2:5], off offset:704
	v_cmpx_lt_u32_e32 43, v138
	s_cbranch_execz .LBB45_203
; %bb.202:
	scratch_load_b128 v[5:8], v150, off
	v_mov_b32_e32 v2, v1
	v_mov_b32_e32 v3, v1
	;; [unrolled: 1-line block ×3, first 2 shown]
	scratch_store_b128 off, v[1:4], off offset:688
	s_waitcnt vmcnt(0)
	ds_store_b128 v184, v[5:8]
.LBB45_203:
	s_or_b32 exec_lo, exec_lo, s2
	s_waitcnt lgkmcnt(0)
	s_waitcnt_vscnt null, 0x0
	s_barrier
	buffer_gl0_inv
	s_clause 0x2
	scratch_load_b128 v[2:5], off, off offset:704
	scratch_load_b128 v[6:9], off, off offset:720
	;; [unrolled: 1-line block ×3, first 2 shown]
	ds_load_b128 v[14:17], v1 offset:1440
	ds_load_b128 v[18:21], v1 offset:1456
	s_mov_b32 s2, exec_lo
	s_waitcnt vmcnt(2) lgkmcnt(1)
	v_mul_f64 v[22:23], v[16:17], v[4:5]
	v_mul_f64 v[4:5], v[14:15], v[4:5]
	s_waitcnt vmcnt(1) lgkmcnt(0)
	v_mul_f64 v[24:25], v[18:19], v[8:9]
	v_mul_f64 v[8:9], v[20:21], v[8:9]
	s_delay_alu instid0(VALU_DEP_4) | instskip(NEXT) | instid1(VALU_DEP_4)
	v_fma_f64 v[14:15], v[14:15], v[2:3], -v[22:23]
	v_fma_f64 v[1:2], v[16:17], v[2:3], v[4:5]
	s_delay_alu instid0(VALU_DEP_4) | instskip(NEXT) | instid1(VALU_DEP_4)
	v_fma_f64 v[3:4], v[20:21], v[6:7], v[24:25]
	v_fma_f64 v[5:6], v[18:19], v[6:7], -v[8:9]
	s_delay_alu instid0(VALU_DEP_4) | instskip(NEXT) | instid1(VALU_DEP_4)
	v_add_f64 v[7:8], v[14:15], 0
	v_add_f64 v[1:2], v[1:2], 0
	s_delay_alu instid0(VALU_DEP_2) | instskip(NEXT) | instid1(VALU_DEP_2)
	v_add_f64 v[5:6], v[7:8], v[5:6]
	v_add_f64 v[3:4], v[1:2], v[3:4]
	s_waitcnt vmcnt(0)
	s_delay_alu instid0(VALU_DEP_2) | instskip(NEXT) | instid1(VALU_DEP_2)
	v_add_f64 v[1:2], v[10:11], -v[5:6]
	v_add_f64 v[3:4], v[12:13], -v[3:4]
	scratch_store_b128 off, v[1:4], off offset:688
	v_cmpx_lt_u32_e32 42, v138
	s_cbranch_execz .LBB45_205
; %bb.204:
	scratch_load_b128 v[1:4], v151, off
	v_mov_b32_e32 v5, 0
	s_delay_alu instid0(VALU_DEP_1)
	v_mov_b32_e32 v6, v5
	v_mov_b32_e32 v7, v5
	;; [unrolled: 1-line block ×3, first 2 shown]
	scratch_store_b128 off, v[5:8], off offset:672
	s_waitcnt vmcnt(0)
	ds_store_b128 v184, v[1:4]
.LBB45_205:
	s_or_b32 exec_lo, exec_lo, s2
	s_waitcnt lgkmcnt(0)
	s_waitcnt_vscnt null, 0x0
	s_barrier
	buffer_gl0_inv
	s_clause 0x3
	scratch_load_b128 v[2:5], off, off offset:688
	scratch_load_b128 v[6:9], off, off offset:704
	;; [unrolled: 1-line block ×4, first 2 shown]
	v_mov_b32_e32 v1, 0
	ds_load_b128 v[18:21], v1 offset:1424
	ds_load_b128 v[22:25], v1 offset:1440
	s_mov_b32 s2, exec_lo
	s_waitcnt vmcnt(3) lgkmcnt(1)
	v_mul_f64 v[26:27], v[20:21], v[4:5]
	v_mul_f64 v[4:5], v[18:19], v[4:5]
	s_waitcnt vmcnt(2) lgkmcnt(0)
	v_mul_f64 v[28:29], v[22:23], v[8:9]
	v_mul_f64 v[8:9], v[24:25], v[8:9]
	s_delay_alu instid0(VALU_DEP_4) | instskip(NEXT) | instid1(VALU_DEP_4)
	v_fma_f64 v[18:19], v[18:19], v[2:3], -v[26:27]
	v_fma_f64 v[20:21], v[20:21], v[2:3], v[4:5]
	ds_load_b128 v[2:5], v1 offset:1456
	v_fma_f64 v[24:25], v[24:25], v[6:7], v[28:29]
	v_fma_f64 v[6:7], v[22:23], v[6:7], -v[8:9]
	s_waitcnt vmcnt(1) lgkmcnt(0)
	v_mul_f64 v[26:27], v[2:3], v[12:13]
	v_mul_f64 v[12:13], v[4:5], v[12:13]
	v_add_f64 v[8:9], v[18:19], 0
	v_add_f64 v[18:19], v[20:21], 0
	s_delay_alu instid0(VALU_DEP_4) | instskip(NEXT) | instid1(VALU_DEP_4)
	v_fma_f64 v[4:5], v[4:5], v[10:11], v[26:27]
	v_fma_f64 v[2:3], v[2:3], v[10:11], -v[12:13]
	s_delay_alu instid0(VALU_DEP_4) | instskip(NEXT) | instid1(VALU_DEP_4)
	v_add_f64 v[6:7], v[8:9], v[6:7]
	v_add_f64 v[8:9], v[18:19], v[24:25]
	s_delay_alu instid0(VALU_DEP_2) | instskip(NEXT) | instid1(VALU_DEP_2)
	v_add_f64 v[2:3], v[6:7], v[2:3]
	v_add_f64 v[4:5], v[8:9], v[4:5]
	s_waitcnt vmcnt(0)
	s_delay_alu instid0(VALU_DEP_2) | instskip(NEXT) | instid1(VALU_DEP_2)
	v_add_f64 v[2:3], v[14:15], -v[2:3]
	v_add_f64 v[4:5], v[16:17], -v[4:5]
	scratch_store_b128 off, v[2:5], off offset:672
	v_cmpx_lt_u32_e32 41, v138
	s_cbranch_execz .LBB45_207
; %bb.206:
	scratch_load_b128 v[5:8], v154, off
	v_mov_b32_e32 v2, v1
	v_mov_b32_e32 v3, v1
	;; [unrolled: 1-line block ×3, first 2 shown]
	scratch_store_b128 off, v[1:4], off offset:656
	s_waitcnt vmcnt(0)
	ds_store_b128 v184, v[5:8]
.LBB45_207:
	s_or_b32 exec_lo, exec_lo, s2
	s_waitcnt lgkmcnt(0)
	s_waitcnt_vscnt null, 0x0
	s_barrier
	buffer_gl0_inv
	s_clause 0x4
	scratch_load_b128 v[2:5], off, off offset:672
	scratch_load_b128 v[6:9], off, off offset:688
	scratch_load_b128 v[10:13], off, off offset:704
	scratch_load_b128 v[14:17], off, off offset:720
	scratch_load_b128 v[18:21], off, off offset:656
	ds_load_b128 v[22:25], v1 offset:1408
	ds_load_b128 v[26:29], v1 offset:1424
	s_mov_b32 s2, exec_lo
	s_waitcnt vmcnt(4) lgkmcnt(1)
	v_mul_f64 v[30:31], v[24:25], v[4:5]
	v_mul_f64 v[4:5], v[22:23], v[4:5]
	s_waitcnt vmcnt(3) lgkmcnt(0)
	v_mul_f64 v[32:33], v[26:27], v[8:9]
	v_mul_f64 v[8:9], v[28:29], v[8:9]
	s_delay_alu instid0(VALU_DEP_4) | instskip(NEXT) | instid1(VALU_DEP_4)
	v_fma_f64 v[30:31], v[22:23], v[2:3], -v[30:31]
	v_fma_f64 v[34:35], v[24:25], v[2:3], v[4:5]
	ds_load_b128 v[2:5], v1 offset:1440
	ds_load_b128 v[22:25], v1 offset:1456
	v_fma_f64 v[28:29], v[28:29], v[6:7], v[32:33]
	v_fma_f64 v[6:7], v[26:27], v[6:7], -v[8:9]
	s_waitcnt vmcnt(2) lgkmcnt(1)
	v_mul_f64 v[36:37], v[2:3], v[12:13]
	v_mul_f64 v[12:13], v[4:5], v[12:13]
	v_add_f64 v[8:9], v[30:31], 0
	v_add_f64 v[26:27], v[34:35], 0
	s_waitcnt vmcnt(1) lgkmcnt(0)
	v_mul_f64 v[30:31], v[22:23], v[16:17]
	v_mul_f64 v[16:17], v[24:25], v[16:17]
	v_fma_f64 v[4:5], v[4:5], v[10:11], v[36:37]
	v_fma_f64 v[1:2], v[2:3], v[10:11], -v[12:13]
	v_add_f64 v[6:7], v[8:9], v[6:7]
	v_add_f64 v[8:9], v[26:27], v[28:29]
	v_fma_f64 v[10:11], v[24:25], v[14:15], v[30:31]
	v_fma_f64 v[12:13], v[22:23], v[14:15], -v[16:17]
	s_delay_alu instid0(VALU_DEP_4) | instskip(NEXT) | instid1(VALU_DEP_4)
	v_add_f64 v[1:2], v[6:7], v[1:2]
	v_add_f64 v[3:4], v[8:9], v[4:5]
	s_delay_alu instid0(VALU_DEP_2) | instskip(NEXT) | instid1(VALU_DEP_2)
	v_add_f64 v[1:2], v[1:2], v[12:13]
	v_add_f64 v[3:4], v[3:4], v[10:11]
	s_waitcnt vmcnt(0)
	s_delay_alu instid0(VALU_DEP_2) | instskip(NEXT) | instid1(VALU_DEP_2)
	v_add_f64 v[1:2], v[18:19], -v[1:2]
	v_add_f64 v[3:4], v[20:21], -v[3:4]
	scratch_store_b128 off, v[1:4], off offset:656
	v_cmpx_lt_u32_e32 40, v138
	s_cbranch_execz .LBB45_209
; %bb.208:
	scratch_load_b128 v[1:4], v155, off
	v_mov_b32_e32 v5, 0
	s_delay_alu instid0(VALU_DEP_1)
	v_mov_b32_e32 v6, v5
	v_mov_b32_e32 v7, v5
	;; [unrolled: 1-line block ×3, first 2 shown]
	scratch_store_b128 off, v[5:8], off offset:640
	s_waitcnt vmcnt(0)
	ds_store_b128 v184, v[1:4]
.LBB45_209:
	s_or_b32 exec_lo, exec_lo, s2
	s_waitcnt lgkmcnt(0)
	s_waitcnt_vscnt null, 0x0
	s_barrier
	buffer_gl0_inv
	s_clause 0x5
	scratch_load_b128 v[2:5], off, off offset:656
	scratch_load_b128 v[6:9], off, off offset:672
	;; [unrolled: 1-line block ×6, first 2 shown]
	v_mov_b32_e32 v1, 0
	ds_load_b128 v[26:29], v1 offset:1392
	ds_load_b128 v[30:33], v1 offset:1408
	s_mov_b32 s2, exec_lo
	s_waitcnt vmcnt(5) lgkmcnt(1)
	v_mul_f64 v[34:35], v[28:29], v[4:5]
	v_mul_f64 v[4:5], v[26:27], v[4:5]
	s_waitcnt vmcnt(4) lgkmcnt(0)
	v_mul_f64 v[36:37], v[30:31], v[8:9]
	v_mul_f64 v[8:9], v[32:33], v[8:9]
	s_delay_alu instid0(VALU_DEP_4) | instskip(NEXT) | instid1(VALU_DEP_4)
	v_fma_f64 v[34:35], v[26:27], v[2:3], -v[34:35]
	v_fma_f64 v[38:39], v[28:29], v[2:3], v[4:5]
	ds_load_b128 v[2:5], v1 offset:1424
	ds_load_b128 v[26:29], v1 offset:1440
	v_fma_f64 v[32:33], v[32:33], v[6:7], v[36:37]
	v_fma_f64 v[6:7], v[30:31], v[6:7], -v[8:9]
	s_waitcnt vmcnt(3) lgkmcnt(1)
	v_mul_f64 v[40:41], v[2:3], v[12:13]
	v_mul_f64 v[12:13], v[4:5], v[12:13]
	v_add_f64 v[8:9], v[34:35], 0
	v_add_f64 v[30:31], v[38:39], 0
	s_waitcnt vmcnt(2) lgkmcnt(0)
	v_mul_f64 v[34:35], v[26:27], v[16:17]
	v_mul_f64 v[16:17], v[28:29], v[16:17]
	v_fma_f64 v[36:37], v[4:5], v[10:11], v[40:41]
	v_fma_f64 v[10:11], v[2:3], v[10:11], -v[12:13]
	ds_load_b128 v[2:5], v1 offset:1456
	v_add_f64 v[6:7], v[8:9], v[6:7]
	v_add_f64 v[8:9], v[30:31], v[32:33]
	v_fma_f64 v[28:29], v[28:29], v[14:15], v[34:35]
	v_fma_f64 v[14:15], v[26:27], v[14:15], -v[16:17]
	s_waitcnt vmcnt(1) lgkmcnt(0)
	v_mul_f64 v[12:13], v[2:3], v[20:21]
	v_mul_f64 v[20:21], v[4:5], v[20:21]
	v_add_f64 v[6:7], v[6:7], v[10:11]
	v_add_f64 v[8:9], v[8:9], v[36:37]
	s_delay_alu instid0(VALU_DEP_4) | instskip(NEXT) | instid1(VALU_DEP_4)
	v_fma_f64 v[4:5], v[4:5], v[18:19], v[12:13]
	v_fma_f64 v[2:3], v[2:3], v[18:19], -v[20:21]
	s_delay_alu instid0(VALU_DEP_4) | instskip(NEXT) | instid1(VALU_DEP_4)
	v_add_f64 v[6:7], v[6:7], v[14:15]
	v_add_f64 v[8:9], v[8:9], v[28:29]
	s_delay_alu instid0(VALU_DEP_2) | instskip(NEXT) | instid1(VALU_DEP_2)
	v_add_f64 v[2:3], v[6:7], v[2:3]
	v_add_f64 v[4:5], v[8:9], v[4:5]
	s_waitcnt vmcnt(0)
	s_delay_alu instid0(VALU_DEP_2) | instskip(NEXT) | instid1(VALU_DEP_2)
	v_add_f64 v[2:3], v[22:23], -v[2:3]
	v_add_f64 v[4:5], v[24:25], -v[4:5]
	scratch_store_b128 off, v[2:5], off offset:640
	v_cmpx_lt_u32_e32 39, v138
	s_cbranch_execz .LBB45_211
; %bb.210:
	scratch_load_b128 v[5:8], v158, off
	v_mov_b32_e32 v2, v1
	v_mov_b32_e32 v3, v1
	;; [unrolled: 1-line block ×3, first 2 shown]
	scratch_store_b128 off, v[1:4], off offset:624
	s_waitcnt vmcnt(0)
	ds_store_b128 v184, v[5:8]
.LBB45_211:
	s_or_b32 exec_lo, exec_lo, s2
	s_waitcnt lgkmcnt(0)
	s_waitcnt_vscnt null, 0x0
	s_barrier
	buffer_gl0_inv
	s_clause 0x5
	scratch_load_b128 v[2:5], off, off offset:640
	scratch_load_b128 v[6:9], off, off offset:656
	;; [unrolled: 1-line block ×6, first 2 shown]
	ds_load_b128 v[26:29], v1 offset:1376
	ds_load_b128 v[34:37], v1 offset:1392
	scratch_load_b128 v[30:33], off, off offset:624
	s_mov_b32 s2, exec_lo
	s_waitcnt vmcnt(6) lgkmcnt(1)
	v_mul_f64 v[38:39], v[28:29], v[4:5]
	v_mul_f64 v[4:5], v[26:27], v[4:5]
	s_waitcnt vmcnt(5) lgkmcnt(0)
	v_mul_f64 v[40:41], v[34:35], v[8:9]
	v_mul_f64 v[8:9], v[36:37], v[8:9]
	s_delay_alu instid0(VALU_DEP_4) | instskip(NEXT) | instid1(VALU_DEP_4)
	v_fma_f64 v[38:39], v[26:27], v[2:3], -v[38:39]
	v_fma_f64 v[42:43], v[28:29], v[2:3], v[4:5]
	ds_load_b128 v[2:5], v1 offset:1408
	ds_load_b128 v[26:29], v1 offset:1424
	v_fma_f64 v[36:37], v[36:37], v[6:7], v[40:41]
	v_fma_f64 v[6:7], v[34:35], v[6:7], -v[8:9]
	s_waitcnt vmcnt(4) lgkmcnt(1)
	v_mul_f64 v[44:45], v[2:3], v[12:13]
	v_mul_f64 v[12:13], v[4:5], v[12:13]
	v_add_f64 v[8:9], v[38:39], 0
	v_add_f64 v[34:35], v[42:43], 0
	s_waitcnt vmcnt(3) lgkmcnt(0)
	v_mul_f64 v[38:39], v[26:27], v[16:17]
	v_mul_f64 v[16:17], v[28:29], v[16:17]
	v_fma_f64 v[40:41], v[4:5], v[10:11], v[44:45]
	v_fma_f64 v[10:11], v[2:3], v[10:11], -v[12:13]
	v_add_f64 v[12:13], v[8:9], v[6:7]
	v_add_f64 v[34:35], v[34:35], v[36:37]
	ds_load_b128 v[2:5], v1 offset:1440
	ds_load_b128 v[6:9], v1 offset:1456
	v_fma_f64 v[28:29], v[28:29], v[14:15], v[38:39]
	v_fma_f64 v[14:15], v[26:27], v[14:15], -v[16:17]
	s_waitcnt vmcnt(2) lgkmcnt(1)
	v_mul_f64 v[36:37], v[2:3], v[20:21]
	v_mul_f64 v[20:21], v[4:5], v[20:21]
	s_waitcnt vmcnt(1) lgkmcnt(0)
	v_mul_f64 v[16:17], v[6:7], v[24:25]
	v_mul_f64 v[24:25], v[8:9], v[24:25]
	v_add_f64 v[10:11], v[12:13], v[10:11]
	v_add_f64 v[12:13], v[34:35], v[40:41]
	v_fma_f64 v[4:5], v[4:5], v[18:19], v[36:37]
	v_fma_f64 v[1:2], v[2:3], v[18:19], -v[20:21]
	v_fma_f64 v[8:9], v[8:9], v[22:23], v[16:17]
	v_fma_f64 v[6:7], v[6:7], v[22:23], -v[24:25]
	v_add_f64 v[10:11], v[10:11], v[14:15]
	v_add_f64 v[12:13], v[12:13], v[28:29]
	s_delay_alu instid0(VALU_DEP_2) | instskip(NEXT) | instid1(VALU_DEP_2)
	v_add_f64 v[1:2], v[10:11], v[1:2]
	v_add_f64 v[3:4], v[12:13], v[4:5]
	s_delay_alu instid0(VALU_DEP_2) | instskip(NEXT) | instid1(VALU_DEP_2)
	v_add_f64 v[1:2], v[1:2], v[6:7]
	v_add_f64 v[3:4], v[3:4], v[8:9]
	s_waitcnt vmcnt(0)
	s_delay_alu instid0(VALU_DEP_2) | instskip(NEXT) | instid1(VALU_DEP_2)
	v_add_f64 v[1:2], v[30:31], -v[1:2]
	v_add_f64 v[3:4], v[32:33], -v[3:4]
	scratch_store_b128 off, v[1:4], off offset:624
	v_cmpx_lt_u32_e32 38, v138
	s_cbranch_execz .LBB45_213
; %bb.212:
	scratch_load_b128 v[1:4], v139, off
	v_mov_b32_e32 v5, 0
	s_delay_alu instid0(VALU_DEP_1)
	v_mov_b32_e32 v6, v5
	v_mov_b32_e32 v7, v5
	;; [unrolled: 1-line block ×3, first 2 shown]
	scratch_store_b128 off, v[5:8], off offset:608
	s_waitcnt vmcnt(0)
	ds_store_b128 v184, v[1:4]
.LBB45_213:
	s_or_b32 exec_lo, exec_lo, s2
	s_waitcnt lgkmcnt(0)
	s_waitcnt_vscnt null, 0x0
	s_barrier
	buffer_gl0_inv
	s_clause 0x6
	scratch_load_b128 v[2:5], off, off offset:624
	scratch_load_b128 v[6:9], off, off offset:640
	scratch_load_b128 v[10:13], off, off offset:656
	scratch_load_b128 v[14:17], off, off offset:672
	scratch_load_b128 v[18:21], off, off offset:688
	scratch_load_b128 v[22:25], off, off offset:704
	scratch_load_b128 v[26:29], off, off offset:720
	v_mov_b32_e32 v1, 0
	scratch_load_b128 v[34:37], off, off offset:608
	s_mov_b32 s2, exec_lo
	ds_load_b128 v[30:33], v1 offset:1360
	ds_load_b128 v[38:41], v1 offset:1376
	s_waitcnt vmcnt(7) lgkmcnt(1)
	v_mul_f64 v[42:43], v[32:33], v[4:5]
	v_mul_f64 v[4:5], v[30:31], v[4:5]
	s_waitcnt vmcnt(6) lgkmcnt(0)
	v_mul_f64 v[44:45], v[38:39], v[8:9]
	v_mul_f64 v[8:9], v[40:41], v[8:9]
	s_delay_alu instid0(VALU_DEP_4) | instskip(NEXT) | instid1(VALU_DEP_4)
	v_fma_f64 v[42:43], v[30:31], v[2:3], -v[42:43]
	v_fma_f64 v[185:186], v[32:33], v[2:3], v[4:5]
	ds_load_b128 v[2:5], v1 offset:1392
	ds_load_b128 v[30:33], v1 offset:1408
	v_fma_f64 v[40:41], v[40:41], v[6:7], v[44:45]
	v_fma_f64 v[6:7], v[38:39], v[6:7], -v[8:9]
	s_waitcnt vmcnt(5) lgkmcnt(1)
	v_mul_f64 v[187:188], v[2:3], v[12:13]
	v_mul_f64 v[12:13], v[4:5], v[12:13]
	v_add_f64 v[8:9], v[42:43], 0
	v_add_f64 v[38:39], v[185:186], 0
	s_waitcnt vmcnt(4) lgkmcnt(0)
	v_mul_f64 v[42:43], v[30:31], v[16:17]
	v_mul_f64 v[16:17], v[32:33], v[16:17]
	v_fma_f64 v[44:45], v[4:5], v[10:11], v[187:188]
	v_fma_f64 v[10:11], v[2:3], v[10:11], -v[12:13]
	v_add_f64 v[12:13], v[8:9], v[6:7]
	v_add_f64 v[38:39], v[38:39], v[40:41]
	ds_load_b128 v[2:5], v1 offset:1424
	ds_load_b128 v[6:9], v1 offset:1440
	v_fma_f64 v[32:33], v[32:33], v[14:15], v[42:43]
	v_fma_f64 v[14:15], v[30:31], v[14:15], -v[16:17]
	s_waitcnt vmcnt(3) lgkmcnt(1)
	v_mul_f64 v[40:41], v[2:3], v[20:21]
	v_mul_f64 v[20:21], v[4:5], v[20:21]
	s_waitcnt vmcnt(2) lgkmcnt(0)
	v_mul_f64 v[16:17], v[6:7], v[24:25]
	v_mul_f64 v[24:25], v[8:9], v[24:25]
	v_add_f64 v[10:11], v[12:13], v[10:11]
	v_add_f64 v[12:13], v[38:39], v[44:45]
	v_fma_f64 v[30:31], v[4:5], v[18:19], v[40:41]
	v_fma_f64 v[18:19], v[2:3], v[18:19], -v[20:21]
	ds_load_b128 v[2:5], v1 offset:1456
	v_fma_f64 v[8:9], v[8:9], v[22:23], v[16:17]
	v_fma_f64 v[6:7], v[6:7], v[22:23], -v[24:25]
	v_add_f64 v[10:11], v[10:11], v[14:15]
	v_add_f64 v[12:13], v[12:13], v[32:33]
	s_waitcnt vmcnt(1) lgkmcnt(0)
	v_mul_f64 v[14:15], v[2:3], v[28:29]
	v_mul_f64 v[20:21], v[4:5], v[28:29]
	s_delay_alu instid0(VALU_DEP_4) | instskip(NEXT) | instid1(VALU_DEP_4)
	v_add_f64 v[10:11], v[10:11], v[18:19]
	v_add_f64 v[12:13], v[12:13], v[30:31]
	s_delay_alu instid0(VALU_DEP_4) | instskip(NEXT) | instid1(VALU_DEP_4)
	v_fma_f64 v[4:5], v[4:5], v[26:27], v[14:15]
	v_fma_f64 v[2:3], v[2:3], v[26:27], -v[20:21]
	s_delay_alu instid0(VALU_DEP_4) | instskip(NEXT) | instid1(VALU_DEP_4)
	v_add_f64 v[6:7], v[10:11], v[6:7]
	v_add_f64 v[8:9], v[12:13], v[8:9]
	s_delay_alu instid0(VALU_DEP_2) | instskip(NEXT) | instid1(VALU_DEP_2)
	v_add_f64 v[2:3], v[6:7], v[2:3]
	v_add_f64 v[4:5], v[8:9], v[4:5]
	s_waitcnt vmcnt(0)
	s_delay_alu instid0(VALU_DEP_2) | instskip(NEXT) | instid1(VALU_DEP_2)
	v_add_f64 v[2:3], v[34:35], -v[2:3]
	v_add_f64 v[4:5], v[36:37], -v[4:5]
	scratch_store_b128 off, v[2:5], off offset:608
	v_cmpx_lt_u32_e32 37, v138
	s_cbranch_execz .LBB45_215
; %bb.214:
	scratch_load_b128 v[5:8], v140, off
	v_mov_b32_e32 v2, v1
	v_mov_b32_e32 v3, v1
	;; [unrolled: 1-line block ×3, first 2 shown]
	scratch_store_b128 off, v[1:4], off offset:592
	s_waitcnt vmcnt(0)
	ds_store_b128 v184, v[5:8]
.LBB45_215:
	s_or_b32 exec_lo, exec_lo, s2
	s_waitcnt lgkmcnt(0)
	s_waitcnt_vscnt null, 0x0
	s_barrier
	buffer_gl0_inv
	s_clause 0x7
	scratch_load_b128 v[2:5], off, off offset:608
	scratch_load_b128 v[6:9], off, off offset:624
	;; [unrolled: 1-line block ×8, first 2 shown]
	ds_load_b128 v[34:37], v1 offset:1344
	ds_load_b128 v[38:41], v1 offset:1360
	s_mov_b32 s2, exec_lo
	s_waitcnt vmcnt(7) lgkmcnt(1)
	v_mul_f64 v[42:43], v[36:37], v[4:5]
	v_mul_f64 v[4:5], v[34:35], v[4:5]
	s_waitcnt vmcnt(6) lgkmcnt(0)
	v_mul_f64 v[44:45], v[38:39], v[8:9]
	v_mul_f64 v[8:9], v[40:41], v[8:9]
	s_delay_alu instid0(VALU_DEP_4) | instskip(NEXT) | instid1(VALU_DEP_4)
	v_fma_f64 v[42:43], v[34:35], v[2:3], -v[42:43]
	v_fma_f64 v[185:186], v[36:37], v[2:3], v[4:5]
	ds_load_b128 v[2:5], v1 offset:1376
	scratch_load_b128 v[34:37], off, off offset:592
	v_fma_f64 v[40:41], v[40:41], v[6:7], v[44:45]
	v_fma_f64 v[38:39], v[38:39], v[6:7], -v[8:9]
	ds_load_b128 v[6:9], v1 offset:1392
	s_waitcnt vmcnt(6) lgkmcnt(1)
	v_mul_f64 v[187:188], v[2:3], v[12:13]
	v_mul_f64 v[12:13], v[4:5], v[12:13]
	v_add_f64 v[42:43], v[42:43], 0
	v_add_f64 v[44:45], v[185:186], 0
	s_waitcnt vmcnt(5) lgkmcnt(0)
	v_mul_f64 v[185:186], v[6:7], v[16:17]
	v_mul_f64 v[16:17], v[8:9], v[16:17]
	v_fma_f64 v[187:188], v[4:5], v[10:11], v[187:188]
	v_fma_f64 v[10:11], v[2:3], v[10:11], -v[12:13]
	ds_load_b128 v[2:5], v1 offset:1408
	v_add_f64 v[12:13], v[42:43], v[38:39]
	v_add_f64 v[38:39], v[44:45], v[40:41]
	v_fma_f64 v[42:43], v[8:9], v[14:15], v[185:186]
	v_fma_f64 v[14:15], v[6:7], v[14:15], -v[16:17]
	ds_load_b128 v[6:9], v1 offset:1424
	s_waitcnt vmcnt(4) lgkmcnt(1)
	v_mul_f64 v[40:41], v[2:3], v[20:21]
	v_mul_f64 v[20:21], v[4:5], v[20:21]
	s_waitcnt vmcnt(3) lgkmcnt(0)
	v_mul_f64 v[16:17], v[6:7], v[24:25]
	v_mul_f64 v[24:25], v[8:9], v[24:25]
	v_add_f64 v[10:11], v[12:13], v[10:11]
	v_add_f64 v[12:13], v[38:39], v[187:188]
	v_fma_f64 v[38:39], v[4:5], v[18:19], v[40:41]
	v_fma_f64 v[18:19], v[2:3], v[18:19], -v[20:21]
	ds_load_b128 v[2:5], v1 offset:1440
	v_fma_f64 v[16:17], v[8:9], v[22:23], v[16:17]
	v_fma_f64 v[22:23], v[6:7], v[22:23], -v[24:25]
	ds_load_b128 v[6:9], v1 offset:1456
	s_waitcnt vmcnt(2) lgkmcnt(1)
	v_mul_f64 v[20:21], v[4:5], v[28:29]
	v_add_f64 v[10:11], v[10:11], v[14:15]
	v_add_f64 v[12:13], v[12:13], v[42:43]
	v_mul_f64 v[14:15], v[2:3], v[28:29]
	s_waitcnt vmcnt(1) lgkmcnt(0)
	v_mul_f64 v[24:25], v[8:9], v[32:33]
	v_fma_f64 v[1:2], v[2:3], v[26:27], -v[20:21]
	v_add_f64 v[10:11], v[10:11], v[18:19]
	v_add_f64 v[12:13], v[12:13], v[38:39]
	v_mul_f64 v[18:19], v[6:7], v[32:33]
	v_fma_f64 v[4:5], v[4:5], v[26:27], v[14:15]
	v_fma_f64 v[6:7], v[6:7], v[30:31], -v[24:25]
	v_add_f64 v[10:11], v[10:11], v[22:23]
	v_add_f64 v[12:13], v[12:13], v[16:17]
	v_fma_f64 v[8:9], v[8:9], v[30:31], v[18:19]
	s_delay_alu instid0(VALU_DEP_3) | instskip(NEXT) | instid1(VALU_DEP_3)
	v_add_f64 v[1:2], v[10:11], v[1:2]
	v_add_f64 v[3:4], v[12:13], v[4:5]
	s_delay_alu instid0(VALU_DEP_2) | instskip(NEXT) | instid1(VALU_DEP_2)
	v_add_f64 v[1:2], v[1:2], v[6:7]
	v_add_f64 v[3:4], v[3:4], v[8:9]
	s_waitcnt vmcnt(0)
	s_delay_alu instid0(VALU_DEP_2) | instskip(NEXT) | instid1(VALU_DEP_2)
	v_add_f64 v[1:2], v[34:35], -v[1:2]
	v_add_f64 v[3:4], v[36:37], -v[3:4]
	scratch_store_b128 off, v[1:4], off offset:592
	v_cmpx_lt_u32_e32 36, v138
	s_cbranch_execz .LBB45_217
; %bb.216:
	scratch_load_b128 v[1:4], v141, off
	v_mov_b32_e32 v5, 0
	s_delay_alu instid0(VALU_DEP_1)
	v_mov_b32_e32 v6, v5
	v_mov_b32_e32 v7, v5
	;; [unrolled: 1-line block ×3, first 2 shown]
	scratch_store_b128 off, v[5:8], off offset:576
	s_waitcnt vmcnt(0)
	ds_store_b128 v184, v[1:4]
.LBB45_217:
	s_or_b32 exec_lo, exec_lo, s2
	s_waitcnt lgkmcnt(0)
	s_waitcnt_vscnt null, 0x0
	s_barrier
	buffer_gl0_inv
	s_clause 0x7
	scratch_load_b128 v[2:5], off, off offset:592
	scratch_load_b128 v[6:9], off, off offset:608
	;; [unrolled: 1-line block ×8, first 2 shown]
	v_mov_b32_e32 v1, 0
	scratch_load_b128 v[38:41], off, off offset:720
	s_mov_b32 s2, exec_lo
	ds_load_b128 v[34:37], v1 offset:1328
	ds_load_b128 v[42:45], v1 offset:1344
	s_waitcnt vmcnt(8) lgkmcnt(1)
	v_mul_f64 v[185:186], v[36:37], v[4:5]
	v_mul_f64 v[4:5], v[34:35], v[4:5]
	s_waitcnt vmcnt(7) lgkmcnt(0)
	v_mul_f64 v[187:188], v[42:43], v[8:9]
	v_mul_f64 v[8:9], v[44:45], v[8:9]
	s_delay_alu instid0(VALU_DEP_4) | instskip(NEXT) | instid1(VALU_DEP_4)
	v_fma_f64 v[34:35], v[34:35], v[2:3], -v[185:186]
	v_fma_f64 v[36:37], v[36:37], v[2:3], v[4:5]
	ds_load_b128 v[2:5], v1 offset:1360
	v_fma_f64 v[44:45], v[44:45], v[6:7], v[187:188]
	v_fma_f64 v[42:43], v[42:43], v[6:7], -v[8:9]
	ds_load_b128 v[6:9], v1 offset:1376
	s_waitcnt vmcnt(6) lgkmcnt(1)
	v_mul_f64 v[185:186], v[2:3], v[12:13]
	v_mul_f64 v[12:13], v[4:5], v[12:13]
	s_waitcnt vmcnt(5) lgkmcnt(0)
	v_mul_f64 v[191:192], v[6:7], v[16:17]
	v_mul_f64 v[16:17], v[8:9], v[16:17]
	v_add_f64 v[187:188], v[34:35], 0
	v_add_f64 v[189:190], v[36:37], 0
	scratch_load_b128 v[34:37], off, off offset:576
	v_fma_f64 v[185:186], v[4:5], v[10:11], v[185:186]
	v_fma_f64 v[10:11], v[2:3], v[10:11], -v[12:13]
	ds_load_b128 v[2:5], v1 offset:1392
	v_add_f64 v[12:13], v[187:188], v[42:43]
	v_add_f64 v[42:43], v[189:190], v[44:45]
	v_fma_f64 v[187:188], v[8:9], v[14:15], v[191:192]
	v_fma_f64 v[14:15], v[6:7], v[14:15], -v[16:17]
	ds_load_b128 v[6:9], v1 offset:1408
	s_waitcnt vmcnt(5) lgkmcnt(1)
	v_mul_f64 v[44:45], v[2:3], v[20:21]
	v_mul_f64 v[20:21], v[4:5], v[20:21]
	s_waitcnt vmcnt(4) lgkmcnt(0)
	v_mul_f64 v[16:17], v[6:7], v[24:25]
	v_mul_f64 v[24:25], v[8:9], v[24:25]
	v_add_f64 v[10:11], v[12:13], v[10:11]
	v_add_f64 v[12:13], v[42:43], v[185:186]
	v_fma_f64 v[42:43], v[4:5], v[18:19], v[44:45]
	v_fma_f64 v[18:19], v[2:3], v[18:19], -v[20:21]
	ds_load_b128 v[2:5], v1 offset:1424
	v_fma_f64 v[16:17], v[8:9], v[22:23], v[16:17]
	v_fma_f64 v[22:23], v[6:7], v[22:23], -v[24:25]
	ds_load_b128 v[6:9], v1 offset:1440
	s_waitcnt vmcnt(3) lgkmcnt(1)
	v_mul_f64 v[20:21], v[4:5], v[28:29]
	v_add_f64 v[10:11], v[10:11], v[14:15]
	v_add_f64 v[12:13], v[12:13], v[187:188]
	v_mul_f64 v[14:15], v[2:3], v[28:29]
	s_waitcnt vmcnt(2) lgkmcnt(0)
	v_mul_f64 v[24:25], v[8:9], v[32:33]
	v_fma_f64 v[20:21], v[2:3], v[26:27], -v[20:21]
	v_add_f64 v[10:11], v[10:11], v[18:19]
	v_add_f64 v[12:13], v[12:13], v[42:43]
	v_mul_f64 v[18:19], v[6:7], v[32:33]
	v_fma_f64 v[14:15], v[4:5], v[26:27], v[14:15]
	ds_load_b128 v[2:5], v1 offset:1456
	v_fma_f64 v[6:7], v[6:7], v[30:31], -v[24:25]
	v_add_f64 v[10:11], v[10:11], v[22:23]
	v_add_f64 v[12:13], v[12:13], v[16:17]
	s_waitcnt vmcnt(1) lgkmcnt(0)
	v_mul_f64 v[16:17], v[2:3], v[40:41]
	v_mul_f64 v[22:23], v[4:5], v[40:41]
	v_fma_f64 v[8:9], v[8:9], v[30:31], v[18:19]
	v_add_f64 v[10:11], v[10:11], v[20:21]
	v_add_f64 v[12:13], v[12:13], v[14:15]
	v_fma_f64 v[4:5], v[4:5], v[38:39], v[16:17]
	v_fma_f64 v[2:3], v[2:3], v[38:39], -v[22:23]
	s_delay_alu instid0(VALU_DEP_4) | instskip(NEXT) | instid1(VALU_DEP_4)
	v_add_f64 v[6:7], v[10:11], v[6:7]
	v_add_f64 v[8:9], v[12:13], v[8:9]
	s_delay_alu instid0(VALU_DEP_2) | instskip(NEXT) | instid1(VALU_DEP_2)
	v_add_f64 v[2:3], v[6:7], v[2:3]
	v_add_f64 v[4:5], v[8:9], v[4:5]
	s_waitcnt vmcnt(0)
	s_delay_alu instid0(VALU_DEP_2) | instskip(NEXT) | instid1(VALU_DEP_2)
	v_add_f64 v[2:3], v[34:35], -v[2:3]
	v_add_f64 v[4:5], v[36:37], -v[4:5]
	scratch_store_b128 off, v[2:5], off offset:576
	v_cmpx_lt_u32_e32 35, v138
	s_cbranch_execz .LBB45_219
; %bb.218:
	scratch_load_b128 v[5:8], v142, off
	v_mov_b32_e32 v2, v1
	v_mov_b32_e32 v3, v1
	;; [unrolled: 1-line block ×3, first 2 shown]
	scratch_store_b128 off, v[1:4], off offset:560
	s_waitcnt vmcnt(0)
	ds_store_b128 v184, v[5:8]
.LBB45_219:
	s_or_b32 exec_lo, exec_lo, s2
	s_waitcnt lgkmcnt(0)
	s_waitcnt_vscnt null, 0x0
	s_barrier
	buffer_gl0_inv
	s_clause 0x8
	scratch_load_b128 v[2:5], off, off offset:576
	scratch_load_b128 v[6:9], off, off offset:592
	;; [unrolled: 1-line block ×9, first 2 shown]
	ds_load_b128 v[38:41], v1 offset:1312
	ds_load_b128 v[42:45], v1 offset:1328
	s_clause 0x1
	scratch_load_b128 v[185:188], off, off offset:560
	scratch_load_b128 v[189:192], off, off offset:720
	s_mov_b32 s2, exec_lo
	s_waitcnt vmcnt(10) lgkmcnt(1)
	v_mul_f64 v[193:194], v[40:41], v[4:5]
	v_mul_f64 v[4:5], v[38:39], v[4:5]
	s_waitcnt vmcnt(9) lgkmcnt(0)
	v_mul_f64 v[195:196], v[42:43], v[8:9]
	v_mul_f64 v[8:9], v[44:45], v[8:9]
	s_delay_alu instid0(VALU_DEP_4) | instskip(NEXT) | instid1(VALU_DEP_4)
	v_fma_f64 v[193:194], v[38:39], v[2:3], -v[193:194]
	v_fma_f64 v[197:198], v[40:41], v[2:3], v[4:5]
	ds_load_b128 v[2:5], v1 offset:1344
	ds_load_b128 v[38:41], v1 offset:1360
	v_fma_f64 v[44:45], v[44:45], v[6:7], v[195:196]
	v_fma_f64 v[6:7], v[42:43], v[6:7], -v[8:9]
	s_waitcnt vmcnt(8) lgkmcnt(1)
	v_mul_f64 v[199:200], v[2:3], v[12:13]
	v_mul_f64 v[12:13], v[4:5], v[12:13]
	v_add_f64 v[8:9], v[193:194], 0
	v_add_f64 v[42:43], v[197:198], 0
	s_waitcnt vmcnt(7) lgkmcnt(0)
	v_mul_f64 v[193:194], v[38:39], v[16:17]
	v_mul_f64 v[16:17], v[40:41], v[16:17]
	v_fma_f64 v[195:196], v[4:5], v[10:11], v[199:200]
	v_fma_f64 v[10:11], v[2:3], v[10:11], -v[12:13]
	v_add_f64 v[12:13], v[8:9], v[6:7]
	v_add_f64 v[42:43], v[42:43], v[44:45]
	ds_load_b128 v[2:5], v1 offset:1376
	ds_load_b128 v[6:9], v1 offset:1392
	v_fma_f64 v[40:41], v[40:41], v[14:15], v[193:194]
	v_fma_f64 v[14:15], v[38:39], v[14:15], -v[16:17]
	s_waitcnt vmcnt(6) lgkmcnt(1)
	v_mul_f64 v[44:45], v[2:3], v[20:21]
	v_mul_f64 v[20:21], v[4:5], v[20:21]
	s_waitcnt vmcnt(5) lgkmcnt(0)
	v_mul_f64 v[16:17], v[6:7], v[24:25]
	v_mul_f64 v[24:25], v[8:9], v[24:25]
	v_add_f64 v[10:11], v[12:13], v[10:11]
	v_add_f64 v[12:13], v[42:43], v[195:196]
	v_fma_f64 v[38:39], v[4:5], v[18:19], v[44:45]
	v_fma_f64 v[18:19], v[2:3], v[18:19], -v[20:21]
	v_fma_f64 v[8:9], v[8:9], v[22:23], v[16:17]
	v_fma_f64 v[6:7], v[6:7], v[22:23], -v[24:25]
	v_add_f64 v[14:15], v[10:11], v[14:15]
	v_add_f64 v[20:21], v[12:13], v[40:41]
	ds_load_b128 v[2:5], v1 offset:1408
	ds_load_b128 v[10:13], v1 offset:1424
	s_waitcnt vmcnt(4) lgkmcnt(1)
	v_mul_f64 v[40:41], v[2:3], v[28:29]
	v_mul_f64 v[28:29], v[4:5], v[28:29]
	v_add_f64 v[14:15], v[14:15], v[18:19]
	v_add_f64 v[16:17], v[20:21], v[38:39]
	s_waitcnt vmcnt(3) lgkmcnt(0)
	v_mul_f64 v[18:19], v[10:11], v[32:33]
	v_mul_f64 v[20:21], v[12:13], v[32:33]
	v_fma_f64 v[22:23], v[4:5], v[26:27], v[40:41]
	v_fma_f64 v[24:25], v[2:3], v[26:27], -v[28:29]
	v_add_f64 v[14:15], v[14:15], v[6:7]
	v_add_f64 v[16:17], v[16:17], v[8:9]
	ds_load_b128 v[2:5], v1 offset:1440
	ds_load_b128 v[6:9], v1 offset:1456
	v_fma_f64 v[12:13], v[12:13], v[30:31], v[18:19]
	v_fma_f64 v[10:11], v[10:11], v[30:31], -v[20:21]
	s_waitcnt vmcnt(2) lgkmcnt(1)
	v_mul_f64 v[26:27], v[2:3], v[36:37]
	v_mul_f64 v[28:29], v[4:5], v[36:37]
	s_waitcnt vmcnt(0) lgkmcnt(0)
	v_mul_f64 v[18:19], v[6:7], v[191:192]
	v_mul_f64 v[20:21], v[8:9], v[191:192]
	v_add_f64 v[14:15], v[14:15], v[24:25]
	v_add_f64 v[16:17], v[16:17], v[22:23]
	v_fma_f64 v[4:5], v[4:5], v[34:35], v[26:27]
	v_fma_f64 v[1:2], v[2:3], v[34:35], -v[28:29]
	v_fma_f64 v[8:9], v[8:9], v[189:190], v[18:19]
	v_fma_f64 v[6:7], v[6:7], v[189:190], -v[20:21]
	v_add_f64 v[10:11], v[14:15], v[10:11]
	v_add_f64 v[12:13], v[16:17], v[12:13]
	s_delay_alu instid0(VALU_DEP_2) | instskip(NEXT) | instid1(VALU_DEP_2)
	v_add_f64 v[1:2], v[10:11], v[1:2]
	v_add_f64 v[3:4], v[12:13], v[4:5]
	s_delay_alu instid0(VALU_DEP_2) | instskip(NEXT) | instid1(VALU_DEP_2)
	;; [unrolled: 3-line block ×3, first 2 shown]
	v_add_f64 v[1:2], v[185:186], -v[1:2]
	v_add_f64 v[3:4], v[187:188], -v[3:4]
	scratch_store_b128 off, v[1:4], off offset:560
	v_cmpx_lt_u32_e32 34, v138
	s_cbranch_execz .LBB45_221
; %bb.220:
	scratch_load_b128 v[1:4], v143, off
	v_mov_b32_e32 v5, 0
	s_delay_alu instid0(VALU_DEP_1)
	v_mov_b32_e32 v6, v5
	v_mov_b32_e32 v7, v5
	;; [unrolled: 1-line block ×3, first 2 shown]
	scratch_store_b128 off, v[5:8], off offset:544
	s_waitcnt vmcnt(0)
	ds_store_b128 v184, v[1:4]
.LBB45_221:
	s_or_b32 exec_lo, exec_lo, s2
	s_waitcnt lgkmcnt(0)
	s_waitcnt_vscnt null, 0x0
	s_barrier
	buffer_gl0_inv
	s_clause 0x7
	scratch_load_b128 v[2:5], off, off offset:560
	scratch_load_b128 v[6:9], off, off offset:576
	;; [unrolled: 1-line block ×8, first 2 shown]
	v_mov_b32_e32 v1, 0
	s_mov_b32 s2, exec_lo
	ds_load_b128 v[34:37], v1 offset:1296
	s_clause 0x1
	scratch_load_b128 v[38:41], off, off offset:688
	scratch_load_b128 v[42:45], off, off offset:544
	ds_load_b128 v[185:188], v1 offset:1312
	scratch_load_b128 v[189:192], off, off offset:704
	s_waitcnt vmcnt(10) lgkmcnt(1)
	v_mul_f64 v[193:194], v[36:37], v[4:5]
	v_mul_f64 v[4:5], v[34:35], v[4:5]
	s_delay_alu instid0(VALU_DEP_2) | instskip(NEXT) | instid1(VALU_DEP_2)
	v_fma_f64 v[199:200], v[34:35], v[2:3], -v[193:194]
	v_fma_f64 v[201:202], v[36:37], v[2:3], v[4:5]
	scratch_load_b128 v[34:37], off, off offset:720
	ds_load_b128 v[2:5], v1 offset:1328
	s_waitcnt vmcnt(10) lgkmcnt(1)
	v_mul_f64 v[197:198], v[185:186], v[8:9]
	v_mul_f64 v[8:9], v[187:188], v[8:9]
	ds_load_b128 v[193:196], v1 offset:1344
	s_waitcnt vmcnt(9) lgkmcnt(1)
	v_mul_f64 v[203:204], v[2:3], v[12:13]
	v_mul_f64 v[12:13], v[4:5], v[12:13]
	v_fma_f64 v[187:188], v[187:188], v[6:7], v[197:198]
	v_fma_f64 v[6:7], v[185:186], v[6:7], -v[8:9]
	v_add_f64 v[8:9], v[199:200], 0
	v_add_f64 v[185:186], v[201:202], 0
	s_waitcnt vmcnt(8) lgkmcnt(0)
	v_mul_f64 v[197:198], v[193:194], v[16:17]
	v_mul_f64 v[16:17], v[195:196], v[16:17]
	v_fma_f64 v[199:200], v[4:5], v[10:11], v[203:204]
	v_fma_f64 v[10:11], v[2:3], v[10:11], -v[12:13]
	v_add_f64 v[12:13], v[8:9], v[6:7]
	v_add_f64 v[185:186], v[185:186], v[187:188]
	ds_load_b128 v[2:5], v1 offset:1360
	ds_load_b128 v[6:9], v1 offset:1376
	v_fma_f64 v[195:196], v[195:196], v[14:15], v[197:198]
	v_fma_f64 v[14:15], v[193:194], v[14:15], -v[16:17]
	s_waitcnt vmcnt(7) lgkmcnt(1)
	v_mul_f64 v[187:188], v[2:3], v[20:21]
	v_mul_f64 v[20:21], v[4:5], v[20:21]
	s_waitcnt vmcnt(6) lgkmcnt(0)
	v_mul_f64 v[16:17], v[6:7], v[24:25]
	v_mul_f64 v[24:25], v[8:9], v[24:25]
	v_add_f64 v[10:11], v[12:13], v[10:11]
	v_add_f64 v[12:13], v[185:186], v[199:200]
	v_fma_f64 v[185:186], v[4:5], v[18:19], v[187:188]
	v_fma_f64 v[18:19], v[2:3], v[18:19], -v[20:21]
	v_fma_f64 v[8:9], v[8:9], v[22:23], v[16:17]
	v_fma_f64 v[6:7], v[6:7], v[22:23], -v[24:25]
	v_add_f64 v[14:15], v[10:11], v[14:15]
	v_add_f64 v[20:21], v[12:13], v[195:196]
	ds_load_b128 v[2:5], v1 offset:1392
	ds_load_b128 v[10:13], v1 offset:1408
	s_waitcnt vmcnt(5) lgkmcnt(1)
	v_mul_f64 v[187:188], v[2:3], v[28:29]
	v_mul_f64 v[28:29], v[4:5], v[28:29]
	v_add_f64 v[14:15], v[14:15], v[18:19]
	v_add_f64 v[16:17], v[20:21], v[185:186]
	s_waitcnt vmcnt(4) lgkmcnt(0)
	v_mul_f64 v[18:19], v[10:11], v[32:33]
	v_mul_f64 v[20:21], v[12:13], v[32:33]
	v_fma_f64 v[22:23], v[4:5], v[26:27], v[187:188]
	v_fma_f64 v[24:25], v[2:3], v[26:27], -v[28:29]
	v_add_f64 v[14:15], v[14:15], v[6:7]
	v_add_f64 v[16:17], v[16:17], v[8:9]
	ds_load_b128 v[2:5], v1 offset:1424
	ds_load_b128 v[6:9], v1 offset:1440
	v_fma_f64 v[12:13], v[12:13], v[30:31], v[18:19]
	v_fma_f64 v[10:11], v[10:11], v[30:31], -v[20:21]
	s_waitcnt vmcnt(3) lgkmcnt(1)
	v_mul_f64 v[26:27], v[2:3], v[40:41]
	v_mul_f64 v[28:29], v[4:5], v[40:41]
	s_waitcnt vmcnt(1) lgkmcnt(0)
	v_mul_f64 v[18:19], v[6:7], v[191:192]
	v_mul_f64 v[20:21], v[8:9], v[191:192]
	v_add_f64 v[14:15], v[14:15], v[24:25]
	v_add_f64 v[16:17], v[16:17], v[22:23]
	v_fma_f64 v[22:23], v[4:5], v[38:39], v[26:27]
	v_fma_f64 v[24:25], v[2:3], v[38:39], -v[28:29]
	ds_load_b128 v[2:5], v1 offset:1456
	v_fma_f64 v[8:9], v[8:9], v[189:190], v[18:19]
	v_fma_f64 v[6:7], v[6:7], v[189:190], -v[20:21]
	v_add_f64 v[10:11], v[14:15], v[10:11]
	v_add_f64 v[12:13], v[16:17], v[12:13]
	s_waitcnt vmcnt(0) lgkmcnt(0)
	v_mul_f64 v[14:15], v[2:3], v[36:37]
	v_mul_f64 v[16:17], v[4:5], v[36:37]
	s_delay_alu instid0(VALU_DEP_4) | instskip(NEXT) | instid1(VALU_DEP_4)
	v_add_f64 v[10:11], v[10:11], v[24:25]
	v_add_f64 v[12:13], v[12:13], v[22:23]
	s_delay_alu instid0(VALU_DEP_4) | instskip(NEXT) | instid1(VALU_DEP_4)
	v_fma_f64 v[4:5], v[4:5], v[34:35], v[14:15]
	v_fma_f64 v[2:3], v[2:3], v[34:35], -v[16:17]
	s_delay_alu instid0(VALU_DEP_4) | instskip(NEXT) | instid1(VALU_DEP_4)
	v_add_f64 v[6:7], v[10:11], v[6:7]
	v_add_f64 v[8:9], v[12:13], v[8:9]
	s_delay_alu instid0(VALU_DEP_2) | instskip(NEXT) | instid1(VALU_DEP_2)
	v_add_f64 v[2:3], v[6:7], v[2:3]
	v_add_f64 v[4:5], v[8:9], v[4:5]
	s_delay_alu instid0(VALU_DEP_2) | instskip(NEXT) | instid1(VALU_DEP_2)
	v_add_f64 v[2:3], v[42:43], -v[2:3]
	v_add_f64 v[4:5], v[44:45], -v[4:5]
	scratch_store_b128 off, v[2:5], off offset:544
	v_cmpx_lt_u32_e32 33, v138
	s_cbranch_execz .LBB45_223
; %bb.222:
	scratch_load_b128 v[5:8], v144, off
	v_mov_b32_e32 v2, v1
	v_mov_b32_e32 v3, v1
	v_mov_b32_e32 v4, v1
	scratch_store_b128 off, v[1:4], off offset:528
	s_waitcnt vmcnt(0)
	ds_store_b128 v184, v[5:8]
.LBB45_223:
	s_or_b32 exec_lo, exec_lo, s2
	s_waitcnt lgkmcnt(0)
	s_waitcnt_vscnt null, 0x0
	s_barrier
	buffer_gl0_inv
	s_clause 0x8
	scratch_load_b128 v[2:5], off, off offset:544
	scratch_load_b128 v[6:9], off, off offset:560
	;; [unrolled: 1-line block ×9, first 2 shown]
	ds_load_b128 v[38:41], v1 offset:1280
	ds_load_b128 v[42:45], v1 offset:1296
	s_clause 0x1
	scratch_load_b128 v[185:188], off, off offset:528
	scratch_load_b128 v[189:192], off, off offset:688
	s_mov_b32 s2, exec_lo
	s_waitcnt vmcnt(10) lgkmcnt(1)
	v_mul_f64 v[193:194], v[40:41], v[4:5]
	v_mul_f64 v[4:5], v[38:39], v[4:5]
	s_waitcnt vmcnt(9) lgkmcnt(0)
	v_mul_f64 v[197:198], v[42:43], v[8:9]
	v_mul_f64 v[8:9], v[44:45], v[8:9]
	s_delay_alu instid0(VALU_DEP_4) | instskip(NEXT) | instid1(VALU_DEP_4)
	v_fma_f64 v[199:200], v[38:39], v[2:3], -v[193:194]
	v_fma_f64 v[201:202], v[40:41], v[2:3], v[4:5]
	ds_load_b128 v[2:5], v1 offset:1312
	ds_load_b128 v[193:196], v1 offset:1328
	scratch_load_b128 v[38:41], off, off offset:704
	v_fma_f64 v[44:45], v[44:45], v[6:7], v[197:198]
	v_fma_f64 v[42:43], v[42:43], v[6:7], -v[8:9]
	scratch_load_b128 v[6:9], off, off offset:720
	s_waitcnt vmcnt(10) lgkmcnt(1)
	v_mul_f64 v[203:204], v[2:3], v[12:13]
	v_mul_f64 v[12:13], v[4:5], v[12:13]
	v_add_f64 v[197:198], v[199:200], 0
	v_add_f64 v[199:200], v[201:202], 0
	s_waitcnt vmcnt(9) lgkmcnt(0)
	v_mul_f64 v[201:202], v[193:194], v[16:17]
	v_mul_f64 v[16:17], v[195:196], v[16:17]
	v_fma_f64 v[203:204], v[4:5], v[10:11], v[203:204]
	v_fma_f64 v[205:206], v[2:3], v[10:11], -v[12:13]
	ds_load_b128 v[2:5], v1 offset:1344
	ds_load_b128 v[10:13], v1 offset:1360
	v_add_f64 v[42:43], v[197:198], v[42:43]
	v_add_f64 v[44:45], v[199:200], v[44:45]
	v_fma_f64 v[195:196], v[195:196], v[14:15], v[201:202]
	v_fma_f64 v[14:15], v[193:194], v[14:15], -v[16:17]
	s_waitcnt vmcnt(8) lgkmcnt(1)
	v_mul_f64 v[197:198], v[2:3], v[20:21]
	v_mul_f64 v[20:21], v[4:5], v[20:21]
	v_add_f64 v[16:17], v[42:43], v[205:206]
	v_add_f64 v[42:43], v[44:45], v[203:204]
	s_waitcnt vmcnt(7) lgkmcnt(0)
	v_mul_f64 v[44:45], v[10:11], v[24:25]
	v_mul_f64 v[24:25], v[12:13], v[24:25]
	v_fma_f64 v[193:194], v[4:5], v[18:19], v[197:198]
	v_fma_f64 v[18:19], v[2:3], v[18:19], -v[20:21]
	v_add_f64 v[20:21], v[16:17], v[14:15]
	v_add_f64 v[42:43], v[42:43], v[195:196]
	ds_load_b128 v[2:5], v1 offset:1376
	ds_load_b128 v[14:17], v1 offset:1392
	v_fma_f64 v[12:13], v[12:13], v[22:23], v[44:45]
	v_fma_f64 v[10:11], v[10:11], v[22:23], -v[24:25]
	s_waitcnt vmcnt(6) lgkmcnt(1)
	v_mul_f64 v[195:196], v[2:3], v[28:29]
	v_mul_f64 v[28:29], v[4:5], v[28:29]
	s_waitcnt vmcnt(5) lgkmcnt(0)
	v_mul_f64 v[22:23], v[14:15], v[32:33]
	v_mul_f64 v[24:25], v[16:17], v[32:33]
	v_add_f64 v[18:19], v[20:21], v[18:19]
	v_add_f64 v[20:21], v[42:43], v[193:194]
	v_fma_f64 v[32:33], v[4:5], v[26:27], v[195:196]
	v_fma_f64 v[26:27], v[2:3], v[26:27], -v[28:29]
	v_fma_f64 v[16:17], v[16:17], v[30:31], v[22:23]
	v_fma_f64 v[14:15], v[14:15], v[30:31], -v[24:25]
	v_add_f64 v[18:19], v[18:19], v[10:11]
	v_add_f64 v[20:21], v[20:21], v[12:13]
	ds_load_b128 v[2:5], v1 offset:1408
	ds_load_b128 v[10:13], v1 offset:1424
	s_waitcnt vmcnt(4) lgkmcnt(1)
	v_mul_f64 v[28:29], v[2:3], v[36:37]
	v_mul_f64 v[36:37], v[4:5], v[36:37]
	s_waitcnt vmcnt(2) lgkmcnt(0)
	v_mul_f64 v[22:23], v[10:11], v[191:192]
	v_mul_f64 v[24:25], v[12:13], v[191:192]
	v_add_f64 v[18:19], v[18:19], v[26:27]
	v_add_f64 v[20:21], v[20:21], v[32:33]
	v_fma_f64 v[26:27], v[4:5], v[34:35], v[28:29]
	v_fma_f64 v[28:29], v[2:3], v[34:35], -v[36:37]
	v_fma_f64 v[12:13], v[12:13], v[189:190], v[22:23]
	v_fma_f64 v[10:11], v[10:11], v[189:190], -v[24:25]
	v_add_f64 v[18:19], v[18:19], v[14:15]
	v_add_f64 v[20:21], v[20:21], v[16:17]
	ds_load_b128 v[2:5], v1 offset:1440
	ds_load_b128 v[14:17], v1 offset:1456
	s_waitcnt vmcnt(1) lgkmcnt(1)
	v_mul_f64 v[30:31], v[2:3], v[40:41]
	v_mul_f64 v[32:33], v[4:5], v[40:41]
	s_waitcnt vmcnt(0) lgkmcnt(0)
	v_mul_f64 v[22:23], v[14:15], v[8:9]
	v_mul_f64 v[8:9], v[16:17], v[8:9]
	v_add_f64 v[18:19], v[18:19], v[28:29]
	v_add_f64 v[20:21], v[20:21], v[26:27]
	v_fma_f64 v[4:5], v[4:5], v[38:39], v[30:31]
	v_fma_f64 v[1:2], v[2:3], v[38:39], -v[32:33]
	v_fma_f64 v[16:17], v[16:17], v[6:7], v[22:23]
	v_fma_f64 v[6:7], v[14:15], v[6:7], -v[8:9]
	v_add_f64 v[10:11], v[18:19], v[10:11]
	v_add_f64 v[12:13], v[20:21], v[12:13]
	s_delay_alu instid0(VALU_DEP_2) | instskip(NEXT) | instid1(VALU_DEP_2)
	v_add_f64 v[1:2], v[10:11], v[1:2]
	v_add_f64 v[3:4], v[12:13], v[4:5]
	s_delay_alu instid0(VALU_DEP_2) | instskip(NEXT) | instid1(VALU_DEP_2)
	;; [unrolled: 3-line block ×3, first 2 shown]
	v_add_f64 v[1:2], v[185:186], -v[1:2]
	v_add_f64 v[3:4], v[187:188], -v[3:4]
	scratch_store_b128 off, v[1:4], off offset:528
	v_cmpx_lt_u32_e32 32, v138
	s_cbranch_execz .LBB45_225
; %bb.224:
	scratch_load_b128 v[1:4], v146, off
	v_mov_b32_e32 v5, 0
	s_delay_alu instid0(VALU_DEP_1)
	v_mov_b32_e32 v6, v5
	v_mov_b32_e32 v7, v5
	;; [unrolled: 1-line block ×3, first 2 shown]
	scratch_store_b128 off, v[5:8], off offset:512
	s_waitcnt vmcnt(0)
	ds_store_b128 v184, v[1:4]
.LBB45_225:
	s_or_b32 exec_lo, exec_lo, s2
	s_waitcnt lgkmcnt(0)
	s_waitcnt_vscnt null, 0x0
	s_barrier
	buffer_gl0_inv
	s_clause 0x7
	scratch_load_b128 v[2:5], off, off offset:528
	scratch_load_b128 v[6:9], off, off offset:544
	scratch_load_b128 v[10:13], off, off offset:560
	scratch_load_b128 v[14:17], off, off offset:576
	scratch_load_b128 v[18:21], off, off offset:592
	scratch_load_b128 v[22:25], off, off offset:608
	scratch_load_b128 v[26:29], off, off offset:624
	scratch_load_b128 v[30:33], off, off offset:640
	v_mov_b32_e32 v1, 0
	s_mov_b32 s2, exec_lo
	ds_load_b128 v[34:37], v1 offset:1264
	s_clause 0x1
	scratch_load_b128 v[38:41], off, off offset:656
	scratch_load_b128 v[42:45], off, off offset:512
	ds_load_b128 v[185:188], v1 offset:1280
	scratch_load_b128 v[189:192], off, off offset:672
	s_waitcnt vmcnt(10) lgkmcnt(1)
	v_mul_f64 v[193:194], v[36:37], v[4:5]
	v_mul_f64 v[4:5], v[34:35], v[4:5]
	s_delay_alu instid0(VALU_DEP_2) | instskip(NEXT) | instid1(VALU_DEP_2)
	v_fma_f64 v[199:200], v[34:35], v[2:3], -v[193:194]
	v_fma_f64 v[201:202], v[36:37], v[2:3], v[4:5]
	scratch_load_b128 v[34:37], off, off offset:688
	ds_load_b128 v[2:5], v1 offset:1296
	s_waitcnt vmcnt(10) lgkmcnt(1)
	v_mul_f64 v[197:198], v[185:186], v[8:9]
	v_mul_f64 v[8:9], v[187:188], v[8:9]
	ds_load_b128 v[193:196], v1 offset:1312
	s_waitcnt vmcnt(9) lgkmcnt(1)
	v_mul_f64 v[203:204], v[2:3], v[12:13]
	v_mul_f64 v[12:13], v[4:5], v[12:13]
	v_fma_f64 v[187:188], v[187:188], v[6:7], v[197:198]
	v_fma_f64 v[185:186], v[185:186], v[6:7], -v[8:9]
	v_add_f64 v[197:198], v[199:200], 0
	v_add_f64 v[199:200], v[201:202], 0
	scratch_load_b128 v[6:9], off, off offset:704
	v_fma_f64 v[203:204], v[4:5], v[10:11], v[203:204]
	v_fma_f64 v[205:206], v[2:3], v[10:11], -v[12:13]
	scratch_load_b128 v[10:13], off, off offset:720
	ds_load_b128 v[2:5], v1 offset:1328
	s_waitcnt vmcnt(10) lgkmcnt(1)
	v_mul_f64 v[201:202], v[193:194], v[16:17]
	v_mul_f64 v[16:17], v[195:196], v[16:17]
	v_add_f64 v[197:198], v[197:198], v[185:186]
	v_add_f64 v[199:200], v[199:200], v[187:188]
	s_waitcnt vmcnt(9) lgkmcnt(0)
	v_mul_f64 v[207:208], v[2:3], v[20:21]
	v_mul_f64 v[20:21], v[4:5], v[20:21]
	ds_load_b128 v[185:188], v1 offset:1344
	v_fma_f64 v[195:196], v[195:196], v[14:15], v[201:202]
	v_fma_f64 v[14:15], v[193:194], v[14:15], -v[16:17]
	v_add_f64 v[16:17], v[197:198], v[205:206]
	v_add_f64 v[193:194], v[199:200], v[203:204]
	s_waitcnt vmcnt(8) lgkmcnt(0)
	v_mul_f64 v[197:198], v[185:186], v[24:25]
	v_mul_f64 v[24:25], v[187:188], v[24:25]
	v_fma_f64 v[199:200], v[4:5], v[18:19], v[207:208]
	v_fma_f64 v[18:19], v[2:3], v[18:19], -v[20:21]
	v_add_f64 v[20:21], v[16:17], v[14:15]
	v_add_f64 v[193:194], v[193:194], v[195:196]
	ds_load_b128 v[2:5], v1 offset:1360
	ds_load_b128 v[14:17], v1 offset:1376
	v_fma_f64 v[187:188], v[187:188], v[22:23], v[197:198]
	v_fma_f64 v[22:23], v[185:186], v[22:23], -v[24:25]
	s_waitcnt vmcnt(7) lgkmcnt(1)
	v_mul_f64 v[195:196], v[2:3], v[28:29]
	v_mul_f64 v[28:29], v[4:5], v[28:29]
	s_waitcnt vmcnt(6) lgkmcnt(0)
	v_mul_f64 v[24:25], v[14:15], v[32:33]
	v_mul_f64 v[32:33], v[16:17], v[32:33]
	v_add_f64 v[18:19], v[20:21], v[18:19]
	v_add_f64 v[20:21], v[193:194], v[199:200]
	v_fma_f64 v[185:186], v[4:5], v[26:27], v[195:196]
	v_fma_f64 v[26:27], v[2:3], v[26:27], -v[28:29]
	v_fma_f64 v[16:17], v[16:17], v[30:31], v[24:25]
	v_fma_f64 v[14:15], v[14:15], v[30:31], -v[32:33]
	v_add_f64 v[22:23], v[18:19], v[22:23]
	v_add_f64 v[28:29], v[20:21], v[187:188]
	ds_load_b128 v[2:5], v1 offset:1392
	ds_load_b128 v[18:21], v1 offset:1408
	s_waitcnt vmcnt(5) lgkmcnt(1)
	v_mul_f64 v[187:188], v[2:3], v[40:41]
	v_mul_f64 v[40:41], v[4:5], v[40:41]
	v_add_f64 v[22:23], v[22:23], v[26:27]
	v_add_f64 v[24:25], v[28:29], v[185:186]
	s_waitcnt vmcnt(3) lgkmcnt(0)
	v_mul_f64 v[26:27], v[18:19], v[191:192]
	v_mul_f64 v[28:29], v[20:21], v[191:192]
	v_fma_f64 v[30:31], v[4:5], v[38:39], v[187:188]
	v_fma_f64 v[32:33], v[2:3], v[38:39], -v[40:41]
	v_add_f64 v[22:23], v[22:23], v[14:15]
	v_add_f64 v[24:25], v[24:25], v[16:17]
	ds_load_b128 v[2:5], v1 offset:1424
	ds_load_b128 v[14:17], v1 offset:1440
	v_fma_f64 v[20:21], v[20:21], v[189:190], v[26:27]
	v_fma_f64 v[18:19], v[18:19], v[189:190], -v[28:29]
	s_waitcnt vmcnt(2) lgkmcnt(1)
	v_mul_f64 v[38:39], v[2:3], v[36:37]
	v_mul_f64 v[36:37], v[4:5], v[36:37]
	v_add_f64 v[22:23], v[22:23], v[32:33]
	v_add_f64 v[24:25], v[24:25], v[30:31]
	s_waitcnt vmcnt(1) lgkmcnt(0)
	v_mul_f64 v[26:27], v[14:15], v[8:9]
	v_mul_f64 v[8:9], v[16:17], v[8:9]
	v_fma_f64 v[28:29], v[4:5], v[34:35], v[38:39]
	v_fma_f64 v[30:31], v[2:3], v[34:35], -v[36:37]
	ds_load_b128 v[2:5], v1 offset:1456
	v_add_f64 v[18:19], v[22:23], v[18:19]
	v_add_f64 v[20:21], v[24:25], v[20:21]
	s_waitcnt vmcnt(0) lgkmcnt(0)
	v_mul_f64 v[22:23], v[2:3], v[12:13]
	v_mul_f64 v[12:13], v[4:5], v[12:13]
	v_fma_f64 v[16:17], v[16:17], v[6:7], v[26:27]
	v_fma_f64 v[6:7], v[14:15], v[6:7], -v[8:9]
	v_add_f64 v[8:9], v[18:19], v[30:31]
	v_add_f64 v[14:15], v[20:21], v[28:29]
	v_fma_f64 v[4:5], v[4:5], v[10:11], v[22:23]
	v_fma_f64 v[2:3], v[2:3], v[10:11], -v[12:13]
	s_delay_alu instid0(VALU_DEP_4) | instskip(NEXT) | instid1(VALU_DEP_4)
	v_add_f64 v[6:7], v[8:9], v[6:7]
	v_add_f64 v[8:9], v[14:15], v[16:17]
	s_delay_alu instid0(VALU_DEP_2) | instskip(NEXT) | instid1(VALU_DEP_2)
	v_add_f64 v[2:3], v[6:7], v[2:3]
	v_add_f64 v[4:5], v[8:9], v[4:5]
	s_delay_alu instid0(VALU_DEP_2) | instskip(NEXT) | instid1(VALU_DEP_2)
	v_add_f64 v[2:3], v[42:43], -v[2:3]
	v_add_f64 v[4:5], v[44:45], -v[4:5]
	scratch_store_b128 off, v[2:5], off offset:512
	v_cmpx_lt_u32_e32 31, v138
	s_cbranch_execz .LBB45_227
; %bb.226:
	scratch_load_b128 v[5:8], v148, off
	v_mov_b32_e32 v2, v1
	v_mov_b32_e32 v3, v1
	v_mov_b32_e32 v4, v1
	scratch_store_b128 off, v[1:4], off offset:496
	s_waitcnt vmcnt(0)
	ds_store_b128 v184, v[5:8]
.LBB45_227:
	s_or_b32 exec_lo, exec_lo, s2
	s_waitcnt lgkmcnt(0)
	s_waitcnt_vscnt null, 0x0
	s_barrier
	buffer_gl0_inv
	s_clause 0x8
	scratch_load_b128 v[2:5], off, off offset:512
	scratch_load_b128 v[6:9], off, off offset:528
	;; [unrolled: 1-line block ×9, first 2 shown]
	ds_load_b128 v[38:41], v1 offset:1248
	ds_load_b128 v[42:45], v1 offset:1264
	s_clause 0x1
	scratch_load_b128 v[185:188], off, off offset:496
	scratch_load_b128 v[189:192], off, off offset:656
	s_mov_b32 s2, exec_lo
	s_waitcnt vmcnt(10) lgkmcnt(1)
	v_mul_f64 v[193:194], v[40:41], v[4:5]
	v_mul_f64 v[4:5], v[38:39], v[4:5]
	s_waitcnt vmcnt(9) lgkmcnt(0)
	v_mul_f64 v[197:198], v[42:43], v[8:9]
	v_mul_f64 v[8:9], v[44:45], v[8:9]
	s_delay_alu instid0(VALU_DEP_4) | instskip(NEXT) | instid1(VALU_DEP_4)
	v_fma_f64 v[199:200], v[38:39], v[2:3], -v[193:194]
	v_fma_f64 v[201:202], v[40:41], v[2:3], v[4:5]
	ds_load_b128 v[2:5], v1 offset:1280
	ds_load_b128 v[193:196], v1 offset:1296
	scratch_load_b128 v[38:41], off, off offset:672
	v_fma_f64 v[44:45], v[44:45], v[6:7], v[197:198]
	v_fma_f64 v[42:43], v[42:43], v[6:7], -v[8:9]
	scratch_load_b128 v[6:9], off, off offset:688
	s_waitcnt vmcnt(10) lgkmcnt(1)
	v_mul_f64 v[203:204], v[2:3], v[12:13]
	v_mul_f64 v[12:13], v[4:5], v[12:13]
	v_add_f64 v[197:198], v[199:200], 0
	v_add_f64 v[199:200], v[201:202], 0
	s_waitcnt vmcnt(9) lgkmcnt(0)
	v_mul_f64 v[201:202], v[193:194], v[16:17]
	v_mul_f64 v[16:17], v[195:196], v[16:17]
	v_fma_f64 v[203:204], v[4:5], v[10:11], v[203:204]
	v_fma_f64 v[205:206], v[2:3], v[10:11], -v[12:13]
	ds_load_b128 v[2:5], v1 offset:1312
	scratch_load_b128 v[10:13], off, off offset:704
	v_add_f64 v[197:198], v[197:198], v[42:43]
	v_add_f64 v[199:200], v[199:200], v[44:45]
	ds_load_b128 v[42:45], v1 offset:1328
	v_fma_f64 v[195:196], v[195:196], v[14:15], v[201:202]
	v_fma_f64 v[193:194], v[193:194], v[14:15], -v[16:17]
	scratch_load_b128 v[14:17], off, off offset:720
	s_waitcnt vmcnt(10) lgkmcnt(1)
	v_mul_f64 v[207:208], v[2:3], v[20:21]
	v_mul_f64 v[20:21], v[4:5], v[20:21]
	s_waitcnt vmcnt(9) lgkmcnt(0)
	v_mul_f64 v[201:202], v[42:43], v[24:25]
	v_mul_f64 v[24:25], v[44:45], v[24:25]
	v_add_f64 v[197:198], v[197:198], v[205:206]
	v_add_f64 v[199:200], v[199:200], v[203:204]
	v_fma_f64 v[203:204], v[4:5], v[18:19], v[207:208]
	v_fma_f64 v[205:206], v[2:3], v[18:19], -v[20:21]
	ds_load_b128 v[2:5], v1 offset:1344
	ds_load_b128 v[18:21], v1 offset:1360
	v_fma_f64 v[44:45], v[44:45], v[22:23], v[201:202]
	v_fma_f64 v[22:23], v[42:43], v[22:23], -v[24:25]
	v_add_f64 v[193:194], v[197:198], v[193:194]
	v_add_f64 v[195:196], v[199:200], v[195:196]
	s_waitcnt vmcnt(8) lgkmcnt(1)
	v_mul_f64 v[197:198], v[2:3], v[28:29]
	v_mul_f64 v[28:29], v[4:5], v[28:29]
	s_delay_alu instid0(VALU_DEP_4) | instskip(NEXT) | instid1(VALU_DEP_4)
	v_add_f64 v[24:25], v[193:194], v[205:206]
	v_add_f64 v[42:43], v[195:196], v[203:204]
	s_waitcnt vmcnt(7) lgkmcnt(0)
	v_mul_f64 v[193:194], v[18:19], v[32:33]
	v_mul_f64 v[32:33], v[20:21], v[32:33]
	v_fma_f64 v[195:196], v[4:5], v[26:27], v[197:198]
	v_fma_f64 v[26:27], v[2:3], v[26:27], -v[28:29]
	v_add_f64 v[28:29], v[24:25], v[22:23]
	v_add_f64 v[42:43], v[42:43], v[44:45]
	ds_load_b128 v[2:5], v1 offset:1376
	ds_load_b128 v[22:25], v1 offset:1392
	v_fma_f64 v[20:21], v[20:21], v[30:31], v[193:194]
	v_fma_f64 v[18:19], v[18:19], v[30:31], -v[32:33]
	s_waitcnt vmcnt(6) lgkmcnt(1)
	v_mul_f64 v[44:45], v[2:3], v[36:37]
	v_mul_f64 v[36:37], v[4:5], v[36:37]
	s_waitcnt vmcnt(4) lgkmcnt(0)
	v_mul_f64 v[30:31], v[22:23], v[191:192]
	v_mul_f64 v[32:33], v[24:25], v[191:192]
	v_add_f64 v[26:27], v[28:29], v[26:27]
	v_add_f64 v[28:29], v[42:43], v[195:196]
	v_fma_f64 v[42:43], v[4:5], v[34:35], v[44:45]
	v_fma_f64 v[34:35], v[2:3], v[34:35], -v[36:37]
	v_fma_f64 v[24:25], v[24:25], v[189:190], v[30:31]
	v_fma_f64 v[22:23], v[22:23], v[189:190], -v[32:33]
	v_add_f64 v[26:27], v[26:27], v[18:19]
	v_add_f64 v[28:29], v[28:29], v[20:21]
	ds_load_b128 v[2:5], v1 offset:1408
	ds_load_b128 v[18:21], v1 offset:1424
	s_waitcnt vmcnt(3) lgkmcnt(1)
	v_mul_f64 v[36:37], v[2:3], v[40:41]
	v_mul_f64 v[40:41], v[4:5], v[40:41]
	s_waitcnt vmcnt(2) lgkmcnt(0)
	v_mul_f64 v[30:31], v[18:19], v[8:9]
	v_mul_f64 v[8:9], v[20:21], v[8:9]
	v_add_f64 v[26:27], v[26:27], v[34:35]
	v_add_f64 v[28:29], v[28:29], v[42:43]
	v_fma_f64 v[32:33], v[4:5], v[38:39], v[36:37]
	v_fma_f64 v[34:35], v[2:3], v[38:39], -v[40:41]
	v_fma_f64 v[20:21], v[20:21], v[6:7], v[30:31]
	v_fma_f64 v[6:7], v[18:19], v[6:7], -v[8:9]
	v_add_f64 v[26:27], v[26:27], v[22:23]
	v_add_f64 v[28:29], v[28:29], v[24:25]
	ds_load_b128 v[2:5], v1 offset:1440
	ds_load_b128 v[22:25], v1 offset:1456
	s_waitcnt vmcnt(1) lgkmcnt(1)
	v_mul_f64 v[36:37], v[2:3], v[12:13]
	v_mul_f64 v[12:13], v[4:5], v[12:13]
	v_add_f64 v[8:9], v[26:27], v[34:35]
	v_add_f64 v[18:19], v[28:29], v[32:33]
	s_waitcnt vmcnt(0) lgkmcnt(0)
	v_mul_f64 v[26:27], v[22:23], v[16:17]
	v_mul_f64 v[16:17], v[24:25], v[16:17]
	v_fma_f64 v[4:5], v[4:5], v[10:11], v[36:37]
	v_fma_f64 v[1:2], v[2:3], v[10:11], -v[12:13]
	v_add_f64 v[6:7], v[8:9], v[6:7]
	v_add_f64 v[8:9], v[18:19], v[20:21]
	v_fma_f64 v[10:11], v[24:25], v[14:15], v[26:27]
	v_fma_f64 v[12:13], v[22:23], v[14:15], -v[16:17]
	s_delay_alu instid0(VALU_DEP_4) | instskip(NEXT) | instid1(VALU_DEP_4)
	v_add_f64 v[1:2], v[6:7], v[1:2]
	v_add_f64 v[3:4], v[8:9], v[4:5]
	s_delay_alu instid0(VALU_DEP_2) | instskip(NEXT) | instid1(VALU_DEP_2)
	v_add_f64 v[1:2], v[1:2], v[12:13]
	v_add_f64 v[3:4], v[3:4], v[10:11]
	s_delay_alu instid0(VALU_DEP_2) | instskip(NEXT) | instid1(VALU_DEP_2)
	v_add_f64 v[1:2], v[185:186], -v[1:2]
	v_add_f64 v[3:4], v[187:188], -v[3:4]
	scratch_store_b128 off, v[1:4], off offset:496
	v_cmpx_lt_u32_e32 30, v138
	s_cbranch_execz .LBB45_229
; %bb.228:
	scratch_load_b128 v[1:4], v149, off
	v_mov_b32_e32 v5, 0
	s_delay_alu instid0(VALU_DEP_1)
	v_mov_b32_e32 v6, v5
	v_mov_b32_e32 v7, v5
	;; [unrolled: 1-line block ×3, first 2 shown]
	scratch_store_b128 off, v[5:8], off offset:480
	s_waitcnt vmcnt(0)
	ds_store_b128 v184, v[1:4]
.LBB45_229:
	s_or_b32 exec_lo, exec_lo, s2
	s_waitcnt lgkmcnt(0)
	s_waitcnt_vscnt null, 0x0
	s_barrier
	buffer_gl0_inv
	s_clause 0x7
	scratch_load_b128 v[2:5], off, off offset:496
	scratch_load_b128 v[6:9], off, off offset:512
	;; [unrolled: 1-line block ×8, first 2 shown]
	v_mov_b32_e32 v1, 0
	s_mov_b32 s2, exec_lo
	ds_load_b128 v[34:37], v1 offset:1232
	s_clause 0x1
	scratch_load_b128 v[38:41], off, off offset:624
	scratch_load_b128 v[42:45], off, off offset:480
	ds_load_b128 v[185:188], v1 offset:1248
	scratch_load_b128 v[189:192], off, off offset:640
	s_waitcnt vmcnt(10) lgkmcnt(1)
	v_mul_f64 v[193:194], v[36:37], v[4:5]
	v_mul_f64 v[4:5], v[34:35], v[4:5]
	s_delay_alu instid0(VALU_DEP_2) | instskip(NEXT) | instid1(VALU_DEP_2)
	v_fma_f64 v[199:200], v[34:35], v[2:3], -v[193:194]
	v_fma_f64 v[201:202], v[36:37], v[2:3], v[4:5]
	scratch_load_b128 v[34:37], off, off offset:656
	ds_load_b128 v[2:5], v1 offset:1264
	s_waitcnt vmcnt(10) lgkmcnt(1)
	v_mul_f64 v[197:198], v[185:186], v[8:9]
	v_mul_f64 v[8:9], v[187:188], v[8:9]
	ds_load_b128 v[193:196], v1 offset:1280
	s_waitcnt vmcnt(9) lgkmcnt(1)
	v_mul_f64 v[203:204], v[2:3], v[12:13]
	v_mul_f64 v[12:13], v[4:5], v[12:13]
	v_fma_f64 v[187:188], v[187:188], v[6:7], v[197:198]
	v_fma_f64 v[185:186], v[185:186], v[6:7], -v[8:9]
	v_add_f64 v[197:198], v[199:200], 0
	v_add_f64 v[199:200], v[201:202], 0
	scratch_load_b128 v[6:9], off, off offset:672
	v_fma_f64 v[203:204], v[4:5], v[10:11], v[203:204]
	v_fma_f64 v[205:206], v[2:3], v[10:11], -v[12:13]
	scratch_load_b128 v[10:13], off, off offset:688
	ds_load_b128 v[2:5], v1 offset:1296
	s_waitcnt vmcnt(10) lgkmcnt(1)
	v_mul_f64 v[201:202], v[193:194], v[16:17]
	v_mul_f64 v[16:17], v[195:196], v[16:17]
	v_add_f64 v[197:198], v[197:198], v[185:186]
	v_add_f64 v[199:200], v[199:200], v[187:188]
	s_waitcnt vmcnt(9) lgkmcnt(0)
	v_mul_f64 v[207:208], v[2:3], v[20:21]
	v_mul_f64 v[20:21], v[4:5], v[20:21]
	ds_load_b128 v[185:188], v1 offset:1312
	v_fma_f64 v[195:196], v[195:196], v[14:15], v[201:202]
	v_fma_f64 v[193:194], v[193:194], v[14:15], -v[16:17]
	scratch_load_b128 v[14:17], off, off offset:704
	v_add_f64 v[197:198], v[197:198], v[205:206]
	v_add_f64 v[199:200], v[199:200], v[203:204]
	v_fma_f64 v[203:204], v[4:5], v[18:19], v[207:208]
	v_fma_f64 v[205:206], v[2:3], v[18:19], -v[20:21]
	scratch_load_b128 v[18:21], off, off offset:720
	ds_load_b128 v[2:5], v1 offset:1328
	s_waitcnt vmcnt(10) lgkmcnt(1)
	v_mul_f64 v[201:202], v[185:186], v[24:25]
	v_mul_f64 v[24:25], v[187:188], v[24:25]
	s_waitcnt vmcnt(9) lgkmcnt(0)
	v_mul_f64 v[207:208], v[2:3], v[28:29]
	v_mul_f64 v[28:29], v[4:5], v[28:29]
	v_add_f64 v[197:198], v[197:198], v[193:194]
	v_add_f64 v[199:200], v[199:200], v[195:196]
	ds_load_b128 v[193:196], v1 offset:1344
	v_fma_f64 v[187:188], v[187:188], v[22:23], v[201:202]
	v_fma_f64 v[22:23], v[185:186], v[22:23], -v[24:25]
	v_add_f64 v[24:25], v[197:198], v[205:206]
	v_add_f64 v[185:186], v[199:200], v[203:204]
	s_waitcnt vmcnt(8) lgkmcnt(0)
	v_mul_f64 v[197:198], v[193:194], v[32:33]
	v_mul_f64 v[32:33], v[195:196], v[32:33]
	v_fma_f64 v[199:200], v[4:5], v[26:27], v[207:208]
	v_fma_f64 v[26:27], v[2:3], v[26:27], -v[28:29]
	v_add_f64 v[28:29], v[24:25], v[22:23]
	v_add_f64 v[185:186], v[185:186], v[187:188]
	ds_load_b128 v[2:5], v1 offset:1360
	ds_load_b128 v[22:25], v1 offset:1376
	v_fma_f64 v[195:196], v[195:196], v[30:31], v[197:198]
	v_fma_f64 v[30:31], v[193:194], v[30:31], -v[32:33]
	s_waitcnt vmcnt(7) lgkmcnt(1)
	v_mul_f64 v[187:188], v[2:3], v[40:41]
	v_mul_f64 v[40:41], v[4:5], v[40:41]
	s_waitcnt vmcnt(5) lgkmcnt(0)
	v_mul_f64 v[32:33], v[22:23], v[191:192]
	v_add_f64 v[26:27], v[28:29], v[26:27]
	v_add_f64 v[28:29], v[185:186], v[199:200]
	v_mul_f64 v[185:186], v[24:25], v[191:192]
	v_fma_f64 v[187:188], v[4:5], v[38:39], v[187:188]
	v_fma_f64 v[38:39], v[2:3], v[38:39], -v[40:41]
	v_fma_f64 v[24:25], v[24:25], v[189:190], v[32:33]
	v_add_f64 v[30:31], v[26:27], v[30:31]
	v_add_f64 v[40:41], v[28:29], v[195:196]
	ds_load_b128 v[2:5], v1 offset:1392
	ds_load_b128 v[26:29], v1 offset:1408
	v_fma_f64 v[22:23], v[22:23], v[189:190], -v[185:186]
	s_waitcnt vmcnt(4) lgkmcnt(1)
	v_mul_f64 v[191:192], v[2:3], v[36:37]
	v_mul_f64 v[36:37], v[4:5], v[36:37]
	v_add_f64 v[30:31], v[30:31], v[38:39]
	v_add_f64 v[32:33], v[40:41], v[187:188]
	s_waitcnt vmcnt(3) lgkmcnt(0)
	v_mul_f64 v[38:39], v[26:27], v[8:9]
	v_mul_f64 v[8:9], v[28:29], v[8:9]
	v_fma_f64 v[40:41], v[4:5], v[34:35], v[191:192]
	v_fma_f64 v[34:35], v[2:3], v[34:35], -v[36:37]
	v_add_f64 v[30:31], v[30:31], v[22:23]
	v_add_f64 v[32:33], v[32:33], v[24:25]
	ds_load_b128 v[2:5], v1 offset:1424
	ds_load_b128 v[22:25], v1 offset:1440
	v_fma_f64 v[28:29], v[28:29], v[6:7], v[38:39]
	v_fma_f64 v[6:7], v[26:27], v[6:7], -v[8:9]
	s_waitcnt vmcnt(2) lgkmcnt(1)
	v_mul_f64 v[36:37], v[2:3], v[12:13]
	v_mul_f64 v[12:13], v[4:5], v[12:13]
	v_add_f64 v[8:9], v[30:31], v[34:35]
	v_add_f64 v[26:27], v[32:33], v[40:41]
	s_waitcnt vmcnt(1) lgkmcnt(0)
	v_mul_f64 v[30:31], v[22:23], v[16:17]
	v_mul_f64 v[16:17], v[24:25], v[16:17]
	v_fma_f64 v[32:33], v[4:5], v[10:11], v[36:37]
	v_fma_f64 v[10:11], v[2:3], v[10:11], -v[12:13]
	ds_load_b128 v[2:5], v1 offset:1456
	v_add_f64 v[6:7], v[8:9], v[6:7]
	v_add_f64 v[8:9], v[26:27], v[28:29]
	v_fma_f64 v[24:25], v[24:25], v[14:15], v[30:31]
	v_fma_f64 v[14:15], v[22:23], v[14:15], -v[16:17]
	s_waitcnt vmcnt(0) lgkmcnt(0)
	v_mul_f64 v[12:13], v[2:3], v[20:21]
	v_mul_f64 v[20:21], v[4:5], v[20:21]
	v_add_f64 v[6:7], v[6:7], v[10:11]
	v_add_f64 v[8:9], v[8:9], v[32:33]
	s_delay_alu instid0(VALU_DEP_4) | instskip(NEXT) | instid1(VALU_DEP_4)
	v_fma_f64 v[4:5], v[4:5], v[18:19], v[12:13]
	v_fma_f64 v[2:3], v[2:3], v[18:19], -v[20:21]
	s_delay_alu instid0(VALU_DEP_4) | instskip(NEXT) | instid1(VALU_DEP_4)
	v_add_f64 v[6:7], v[6:7], v[14:15]
	v_add_f64 v[8:9], v[8:9], v[24:25]
	s_delay_alu instid0(VALU_DEP_2) | instskip(NEXT) | instid1(VALU_DEP_2)
	v_add_f64 v[2:3], v[6:7], v[2:3]
	v_add_f64 v[4:5], v[8:9], v[4:5]
	s_delay_alu instid0(VALU_DEP_2) | instskip(NEXT) | instid1(VALU_DEP_2)
	v_add_f64 v[2:3], v[42:43], -v[2:3]
	v_add_f64 v[4:5], v[44:45], -v[4:5]
	scratch_store_b128 off, v[2:5], off offset:480
	v_cmpx_lt_u32_e32 29, v138
	s_cbranch_execz .LBB45_231
; %bb.230:
	scratch_load_b128 v[5:8], v152, off
	v_mov_b32_e32 v2, v1
	v_mov_b32_e32 v3, v1
	;; [unrolled: 1-line block ×3, first 2 shown]
	scratch_store_b128 off, v[1:4], off offset:464
	s_waitcnt vmcnt(0)
	ds_store_b128 v184, v[5:8]
.LBB45_231:
	s_or_b32 exec_lo, exec_lo, s2
	s_waitcnt lgkmcnt(0)
	s_waitcnt_vscnt null, 0x0
	s_barrier
	buffer_gl0_inv
	s_clause 0x8
	scratch_load_b128 v[2:5], off, off offset:480
	scratch_load_b128 v[6:9], off, off offset:496
	;; [unrolled: 1-line block ×9, first 2 shown]
	ds_load_b128 v[38:41], v1 offset:1216
	ds_load_b128 v[42:45], v1 offset:1232
	s_clause 0x1
	scratch_load_b128 v[185:188], off, off offset:464
	scratch_load_b128 v[189:192], off, off offset:624
	s_mov_b32 s2, exec_lo
	s_waitcnt vmcnt(10) lgkmcnt(1)
	v_mul_f64 v[193:194], v[40:41], v[4:5]
	v_mul_f64 v[4:5], v[38:39], v[4:5]
	s_waitcnt vmcnt(9) lgkmcnt(0)
	v_mul_f64 v[197:198], v[42:43], v[8:9]
	v_mul_f64 v[8:9], v[44:45], v[8:9]
	s_delay_alu instid0(VALU_DEP_4) | instskip(NEXT) | instid1(VALU_DEP_4)
	v_fma_f64 v[199:200], v[38:39], v[2:3], -v[193:194]
	v_fma_f64 v[201:202], v[40:41], v[2:3], v[4:5]
	ds_load_b128 v[2:5], v1 offset:1248
	ds_load_b128 v[193:196], v1 offset:1264
	scratch_load_b128 v[38:41], off, off offset:640
	v_fma_f64 v[44:45], v[44:45], v[6:7], v[197:198]
	v_fma_f64 v[42:43], v[42:43], v[6:7], -v[8:9]
	scratch_load_b128 v[6:9], off, off offset:656
	s_waitcnt vmcnt(10) lgkmcnt(1)
	v_mul_f64 v[203:204], v[2:3], v[12:13]
	v_mul_f64 v[12:13], v[4:5], v[12:13]
	v_add_f64 v[197:198], v[199:200], 0
	v_add_f64 v[199:200], v[201:202], 0
	s_waitcnt vmcnt(9) lgkmcnt(0)
	v_mul_f64 v[201:202], v[193:194], v[16:17]
	v_mul_f64 v[16:17], v[195:196], v[16:17]
	v_fma_f64 v[203:204], v[4:5], v[10:11], v[203:204]
	v_fma_f64 v[205:206], v[2:3], v[10:11], -v[12:13]
	ds_load_b128 v[2:5], v1 offset:1280
	scratch_load_b128 v[10:13], off, off offset:672
	v_add_f64 v[197:198], v[197:198], v[42:43]
	v_add_f64 v[199:200], v[199:200], v[44:45]
	ds_load_b128 v[42:45], v1 offset:1296
	v_fma_f64 v[195:196], v[195:196], v[14:15], v[201:202]
	v_fma_f64 v[193:194], v[193:194], v[14:15], -v[16:17]
	scratch_load_b128 v[14:17], off, off offset:688
	s_waitcnt vmcnt(10) lgkmcnt(1)
	v_mul_f64 v[207:208], v[2:3], v[20:21]
	v_mul_f64 v[20:21], v[4:5], v[20:21]
	s_waitcnt vmcnt(9) lgkmcnt(0)
	v_mul_f64 v[201:202], v[42:43], v[24:25]
	v_mul_f64 v[24:25], v[44:45], v[24:25]
	v_add_f64 v[197:198], v[197:198], v[205:206]
	v_add_f64 v[199:200], v[199:200], v[203:204]
	v_fma_f64 v[203:204], v[4:5], v[18:19], v[207:208]
	v_fma_f64 v[205:206], v[2:3], v[18:19], -v[20:21]
	ds_load_b128 v[2:5], v1 offset:1312
	scratch_load_b128 v[18:21], off, off offset:704
	v_fma_f64 v[44:45], v[44:45], v[22:23], v[201:202]
	v_fma_f64 v[42:43], v[42:43], v[22:23], -v[24:25]
	scratch_load_b128 v[22:25], off, off offset:720
	v_add_f64 v[197:198], v[197:198], v[193:194]
	v_add_f64 v[199:200], v[199:200], v[195:196]
	ds_load_b128 v[193:196], v1 offset:1328
	s_waitcnt vmcnt(10) lgkmcnt(1)
	v_mul_f64 v[207:208], v[2:3], v[28:29]
	v_mul_f64 v[28:29], v[4:5], v[28:29]
	s_waitcnt vmcnt(9) lgkmcnt(0)
	v_mul_f64 v[201:202], v[193:194], v[32:33]
	v_mul_f64 v[32:33], v[195:196], v[32:33]
	v_add_f64 v[197:198], v[197:198], v[205:206]
	v_add_f64 v[199:200], v[199:200], v[203:204]
	v_fma_f64 v[203:204], v[4:5], v[26:27], v[207:208]
	v_fma_f64 v[205:206], v[2:3], v[26:27], -v[28:29]
	ds_load_b128 v[2:5], v1 offset:1344
	ds_load_b128 v[26:29], v1 offset:1360
	v_fma_f64 v[195:196], v[195:196], v[30:31], v[201:202]
	v_fma_f64 v[30:31], v[193:194], v[30:31], -v[32:33]
	v_add_f64 v[42:43], v[197:198], v[42:43]
	v_add_f64 v[44:45], v[199:200], v[44:45]
	s_waitcnt vmcnt(8) lgkmcnt(1)
	v_mul_f64 v[197:198], v[2:3], v[36:37]
	v_mul_f64 v[36:37], v[4:5], v[36:37]
	s_delay_alu instid0(VALU_DEP_4) | instskip(NEXT) | instid1(VALU_DEP_4)
	v_add_f64 v[32:33], v[42:43], v[205:206]
	v_add_f64 v[42:43], v[44:45], v[203:204]
	s_waitcnt vmcnt(6) lgkmcnt(0)
	v_mul_f64 v[44:45], v[26:27], v[191:192]
	v_mul_f64 v[191:192], v[28:29], v[191:192]
	v_fma_f64 v[193:194], v[4:5], v[34:35], v[197:198]
	v_fma_f64 v[34:35], v[2:3], v[34:35], -v[36:37]
	v_add_f64 v[36:37], v[32:33], v[30:31]
	v_add_f64 v[42:43], v[42:43], v[195:196]
	ds_load_b128 v[2:5], v1 offset:1376
	ds_load_b128 v[30:33], v1 offset:1392
	v_fma_f64 v[28:29], v[28:29], v[189:190], v[44:45]
	v_fma_f64 v[26:27], v[26:27], v[189:190], -v[191:192]
	s_waitcnt vmcnt(5) lgkmcnt(1)
	v_mul_f64 v[195:196], v[2:3], v[40:41]
	v_mul_f64 v[40:41], v[4:5], v[40:41]
	v_add_f64 v[34:35], v[36:37], v[34:35]
	v_add_f64 v[36:37], v[42:43], v[193:194]
	s_waitcnt vmcnt(4) lgkmcnt(0)
	v_mul_f64 v[42:43], v[30:31], v[8:9]
	v_mul_f64 v[8:9], v[32:33], v[8:9]
	v_fma_f64 v[44:45], v[4:5], v[38:39], v[195:196]
	v_fma_f64 v[38:39], v[2:3], v[38:39], -v[40:41]
	v_add_f64 v[34:35], v[34:35], v[26:27]
	v_add_f64 v[36:37], v[36:37], v[28:29]
	ds_load_b128 v[2:5], v1 offset:1408
	ds_load_b128 v[26:29], v1 offset:1424
	v_fma_f64 v[32:33], v[32:33], v[6:7], v[42:43]
	v_fma_f64 v[6:7], v[30:31], v[6:7], -v[8:9]
	s_waitcnt vmcnt(3) lgkmcnt(1)
	v_mul_f64 v[40:41], v[2:3], v[12:13]
	v_mul_f64 v[12:13], v[4:5], v[12:13]
	;; [unrolled: 16-line block ×3, first 2 shown]
	s_waitcnt vmcnt(0) lgkmcnt(0)
	v_mul_f64 v[16:17], v[6:7], v[24:25]
	v_mul_f64 v[24:25], v[8:9], v[24:25]
	v_add_f64 v[10:11], v[12:13], v[10:11]
	v_add_f64 v[12:13], v[30:31], v[36:37]
	v_fma_f64 v[4:5], v[4:5], v[18:19], v[32:33]
	v_fma_f64 v[1:2], v[2:3], v[18:19], -v[20:21]
	v_fma_f64 v[8:9], v[8:9], v[22:23], v[16:17]
	v_fma_f64 v[6:7], v[6:7], v[22:23], -v[24:25]
	v_add_f64 v[10:11], v[10:11], v[14:15]
	v_add_f64 v[12:13], v[12:13], v[28:29]
	s_delay_alu instid0(VALU_DEP_2) | instskip(NEXT) | instid1(VALU_DEP_2)
	v_add_f64 v[1:2], v[10:11], v[1:2]
	v_add_f64 v[3:4], v[12:13], v[4:5]
	s_delay_alu instid0(VALU_DEP_2) | instskip(NEXT) | instid1(VALU_DEP_2)
	;; [unrolled: 3-line block ×3, first 2 shown]
	v_add_f64 v[1:2], v[185:186], -v[1:2]
	v_add_f64 v[3:4], v[187:188], -v[3:4]
	scratch_store_b128 off, v[1:4], off offset:464
	v_cmpx_lt_u32_e32 28, v138
	s_cbranch_execz .LBB45_233
; %bb.232:
	scratch_load_b128 v[1:4], v153, off
	v_mov_b32_e32 v5, 0
	s_delay_alu instid0(VALU_DEP_1)
	v_mov_b32_e32 v6, v5
	v_mov_b32_e32 v7, v5
	v_mov_b32_e32 v8, v5
	scratch_store_b128 off, v[5:8], off offset:448
	s_waitcnt vmcnt(0)
	ds_store_b128 v184, v[1:4]
.LBB45_233:
	s_or_b32 exec_lo, exec_lo, s2
	s_waitcnt lgkmcnt(0)
	s_waitcnt_vscnt null, 0x0
	s_barrier
	buffer_gl0_inv
	s_clause 0x7
	scratch_load_b128 v[2:5], off, off offset:464
	scratch_load_b128 v[6:9], off, off offset:480
	;; [unrolled: 1-line block ×8, first 2 shown]
	v_mov_b32_e32 v1, 0
	s_mov_b32 s2, exec_lo
	ds_load_b128 v[34:37], v1 offset:1200
	s_clause 0x1
	scratch_load_b128 v[38:41], off, off offset:592
	scratch_load_b128 v[42:45], off, off offset:448
	ds_load_b128 v[185:188], v1 offset:1216
	scratch_load_b128 v[189:192], off, off offset:608
	s_waitcnt vmcnt(10) lgkmcnt(1)
	v_mul_f64 v[193:194], v[36:37], v[4:5]
	v_mul_f64 v[4:5], v[34:35], v[4:5]
	s_delay_alu instid0(VALU_DEP_2) | instskip(NEXT) | instid1(VALU_DEP_2)
	v_fma_f64 v[199:200], v[34:35], v[2:3], -v[193:194]
	v_fma_f64 v[201:202], v[36:37], v[2:3], v[4:5]
	scratch_load_b128 v[34:37], off, off offset:624
	ds_load_b128 v[2:5], v1 offset:1232
	s_waitcnt vmcnt(10) lgkmcnt(1)
	v_mul_f64 v[197:198], v[185:186], v[8:9]
	v_mul_f64 v[8:9], v[187:188], v[8:9]
	ds_load_b128 v[193:196], v1 offset:1248
	s_waitcnt vmcnt(9) lgkmcnt(1)
	v_mul_f64 v[203:204], v[2:3], v[12:13]
	v_mul_f64 v[12:13], v[4:5], v[12:13]
	v_fma_f64 v[187:188], v[187:188], v[6:7], v[197:198]
	v_fma_f64 v[185:186], v[185:186], v[6:7], -v[8:9]
	v_add_f64 v[197:198], v[199:200], 0
	v_add_f64 v[199:200], v[201:202], 0
	scratch_load_b128 v[6:9], off, off offset:640
	v_fma_f64 v[203:204], v[4:5], v[10:11], v[203:204]
	v_fma_f64 v[205:206], v[2:3], v[10:11], -v[12:13]
	scratch_load_b128 v[10:13], off, off offset:656
	ds_load_b128 v[2:5], v1 offset:1264
	s_waitcnt vmcnt(10) lgkmcnt(1)
	v_mul_f64 v[201:202], v[193:194], v[16:17]
	v_mul_f64 v[16:17], v[195:196], v[16:17]
	v_add_f64 v[197:198], v[197:198], v[185:186]
	v_add_f64 v[199:200], v[199:200], v[187:188]
	s_waitcnt vmcnt(9) lgkmcnt(0)
	v_mul_f64 v[207:208], v[2:3], v[20:21]
	v_mul_f64 v[20:21], v[4:5], v[20:21]
	ds_load_b128 v[185:188], v1 offset:1280
	v_fma_f64 v[195:196], v[195:196], v[14:15], v[201:202]
	v_fma_f64 v[193:194], v[193:194], v[14:15], -v[16:17]
	scratch_load_b128 v[14:17], off, off offset:672
	v_add_f64 v[197:198], v[197:198], v[205:206]
	v_add_f64 v[199:200], v[199:200], v[203:204]
	v_fma_f64 v[203:204], v[4:5], v[18:19], v[207:208]
	v_fma_f64 v[205:206], v[2:3], v[18:19], -v[20:21]
	scratch_load_b128 v[18:21], off, off offset:688
	ds_load_b128 v[2:5], v1 offset:1296
	s_waitcnt vmcnt(10) lgkmcnt(1)
	v_mul_f64 v[201:202], v[185:186], v[24:25]
	v_mul_f64 v[24:25], v[187:188], v[24:25]
	s_waitcnt vmcnt(9) lgkmcnt(0)
	v_mul_f64 v[207:208], v[2:3], v[28:29]
	v_mul_f64 v[28:29], v[4:5], v[28:29]
	v_add_f64 v[197:198], v[197:198], v[193:194]
	v_add_f64 v[199:200], v[199:200], v[195:196]
	ds_load_b128 v[193:196], v1 offset:1312
	v_fma_f64 v[187:188], v[187:188], v[22:23], v[201:202]
	v_fma_f64 v[185:186], v[185:186], v[22:23], -v[24:25]
	scratch_load_b128 v[22:25], off, off offset:704
	v_add_f64 v[197:198], v[197:198], v[205:206]
	v_add_f64 v[199:200], v[199:200], v[203:204]
	v_fma_f64 v[203:204], v[4:5], v[26:27], v[207:208]
	v_fma_f64 v[205:206], v[2:3], v[26:27], -v[28:29]
	scratch_load_b128 v[26:29], off, off offset:720
	ds_load_b128 v[2:5], v1 offset:1328
	s_waitcnt vmcnt(10) lgkmcnt(1)
	v_mul_f64 v[201:202], v[193:194], v[32:33]
	v_mul_f64 v[32:33], v[195:196], v[32:33]
	s_waitcnt vmcnt(9) lgkmcnt(0)
	v_mul_f64 v[207:208], v[2:3], v[40:41]
	v_mul_f64 v[40:41], v[4:5], v[40:41]
	v_add_f64 v[197:198], v[197:198], v[185:186]
	v_add_f64 v[199:200], v[199:200], v[187:188]
	ds_load_b128 v[185:188], v1 offset:1344
	v_fma_f64 v[195:196], v[195:196], v[30:31], v[201:202]
	v_fma_f64 v[30:31], v[193:194], v[30:31], -v[32:33]
	v_add_f64 v[32:33], v[197:198], v[205:206]
	v_add_f64 v[193:194], v[199:200], v[203:204]
	s_waitcnt vmcnt(7) lgkmcnt(0)
	v_mul_f64 v[197:198], v[185:186], v[191:192]
	v_mul_f64 v[191:192], v[187:188], v[191:192]
	v_fma_f64 v[199:200], v[4:5], v[38:39], v[207:208]
	v_fma_f64 v[38:39], v[2:3], v[38:39], -v[40:41]
	v_add_f64 v[40:41], v[32:33], v[30:31]
	v_add_f64 v[193:194], v[193:194], v[195:196]
	ds_load_b128 v[2:5], v1 offset:1360
	ds_load_b128 v[30:33], v1 offset:1376
	v_fma_f64 v[187:188], v[187:188], v[189:190], v[197:198]
	v_fma_f64 v[185:186], v[185:186], v[189:190], -v[191:192]
	s_waitcnt vmcnt(6) lgkmcnt(1)
	v_mul_f64 v[195:196], v[2:3], v[36:37]
	v_mul_f64 v[36:37], v[4:5], v[36:37]
	v_add_f64 v[38:39], v[40:41], v[38:39]
	v_add_f64 v[40:41], v[193:194], v[199:200]
	s_waitcnt vmcnt(5) lgkmcnt(0)
	v_mul_f64 v[189:190], v[30:31], v[8:9]
	v_mul_f64 v[8:9], v[32:33], v[8:9]
	v_fma_f64 v[191:192], v[4:5], v[34:35], v[195:196]
	v_fma_f64 v[193:194], v[2:3], v[34:35], -v[36:37]
	ds_load_b128 v[2:5], v1 offset:1392
	ds_load_b128 v[34:37], v1 offset:1408
	v_add_f64 v[38:39], v[38:39], v[185:186]
	v_add_f64 v[40:41], v[40:41], v[187:188]
	s_waitcnt vmcnt(4) lgkmcnt(1)
	v_mul_f64 v[185:186], v[2:3], v[12:13]
	v_mul_f64 v[12:13], v[4:5], v[12:13]
	v_fma_f64 v[32:33], v[32:33], v[6:7], v[189:190]
	v_fma_f64 v[6:7], v[30:31], v[6:7], -v[8:9]
	v_add_f64 v[8:9], v[38:39], v[193:194]
	v_add_f64 v[30:31], v[40:41], v[191:192]
	s_waitcnt vmcnt(3) lgkmcnt(0)
	v_mul_f64 v[38:39], v[34:35], v[16:17]
	v_mul_f64 v[16:17], v[36:37], v[16:17]
	v_fma_f64 v[40:41], v[4:5], v[10:11], v[185:186]
	v_fma_f64 v[10:11], v[2:3], v[10:11], -v[12:13]
	v_add_f64 v[12:13], v[8:9], v[6:7]
	v_add_f64 v[30:31], v[30:31], v[32:33]
	ds_load_b128 v[2:5], v1 offset:1424
	ds_load_b128 v[6:9], v1 offset:1440
	v_fma_f64 v[36:37], v[36:37], v[14:15], v[38:39]
	v_fma_f64 v[14:15], v[34:35], v[14:15], -v[16:17]
	s_waitcnt vmcnt(2) lgkmcnt(1)
	v_mul_f64 v[32:33], v[2:3], v[20:21]
	v_mul_f64 v[20:21], v[4:5], v[20:21]
	s_waitcnt vmcnt(1) lgkmcnt(0)
	v_mul_f64 v[16:17], v[6:7], v[24:25]
	v_mul_f64 v[24:25], v[8:9], v[24:25]
	v_add_f64 v[10:11], v[12:13], v[10:11]
	v_add_f64 v[12:13], v[30:31], v[40:41]
	v_fma_f64 v[30:31], v[4:5], v[18:19], v[32:33]
	v_fma_f64 v[18:19], v[2:3], v[18:19], -v[20:21]
	ds_load_b128 v[2:5], v1 offset:1456
	v_fma_f64 v[8:9], v[8:9], v[22:23], v[16:17]
	v_fma_f64 v[6:7], v[6:7], v[22:23], -v[24:25]
	v_add_f64 v[10:11], v[10:11], v[14:15]
	v_add_f64 v[12:13], v[12:13], v[36:37]
	s_waitcnt vmcnt(0) lgkmcnt(0)
	v_mul_f64 v[14:15], v[2:3], v[28:29]
	v_mul_f64 v[20:21], v[4:5], v[28:29]
	s_delay_alu instid0(VALU_DEP_4) | instskip(NEXT) | instid1(VALU_DEP_4)
	v_add_f64 v[10:11], v[10:11], v[18:19]
	v_add_f64 v[12:13], v[12:13], v[30:31]
	s_delay_alu instid0(VALU_DEP_4) | instskip(NEXT) | instid1(VALU_DEP_4)
	v_fma_f64 v[4:5], v[4:5], v[26:27], v[14:15]
	v_fma_f64 v[2:3], v[2:3], v[26:27], -v[20:21]
	s_delay_alu instid0(VALU_DEP_4) | instskip(NEXT) | instid1(VALU_DEP_4)
	v_add_f64 v[6:7], v[10:11], v[6:7]
	v_add_f64 v[8:9], v[12:13], v[8:9]
	s_delay_alu instid0(VALU_DEP_2) | instskip(NEXT) | instid1(VALU_DEP_2)
	v_add_f64 v[2:3], v[6:7], v[2:3]
	v_add_f64 v[4:5], v[8:9], v[4:5]
	s_delay_alu instid0(VALU_DEP_2) | instskip(NEXT) | instid1(VALU_DEP_2)
	v_add_f64 v[2:3], v[42:43], -v[2:3]
	v_add_f64 v[4:5], v[44:45], -v[4:5]
	scratch_store_b128 off, v[2:5], off offset:448
	v_cmpx_lt_u32_e32 27, v138
	s_cbranch_execz .LBB45_235
; %bb.234:
	scratch_load_b128 v[5:8], v156, off
	v_mov_b32_e32 v2, v1
	v_mov_b32_e32 v3, v1
	;; [unrolled: 1-line block ×3, first 2 shown]
	scratch_store_b128 off, v[1:4], off offset:432
	s_waitcnt vmcnt(0)
	ds_store_b128 v184, v[5:8]
.LBB45_235:
	s_or_b32 exec_lo, exec_lo, s2
	s_waitcnt lgkmcnt(0)
	s_waitcnt_vscnt null, 0x0
	s_barrier
	buffer_gl0_inv
	s_clause 0x8
	scratch_load_b128 v[2:5], off, off offset:448
	scratch_load_b128 v[6:9], off, off offset:464
	;; [unrolled: 1-line block ×9, first 2 shown]
	ds_load_b128 v[38:41], v1 offset:1184
	ds_load_b128 v[42:45], v1 offset:1200
	s_clause 0x1
	scratch_load_b128 v[185:188], off, off offset:432
	scratch_load_b128 v[189:192], off, off offset:592
	s_mov_b32 s2, exec_lo
	s_waitcnt vmcnt(10) lgkmcnt(1)
	v_mul_f64 v[193:194], v[40:41], v[4:5]
	v_mul_f64 v[4:5], v[38:39], v[4:5]
	s_waitcnt vmcnt(9) lgkmcnt(0)
	v_mul_f64 v[197:198], v[42:43], v[8:9]
	v_mul_f64 v[8:9], v[44:45], v[8:9]
	s_delay_alu instid0(VALU_DEP_4) | instskip(NEXT) | instid1(VALU_DEP_4)
	v_fma_f64 v[199:200], v[38:39], v[2:3], -v[193:194]
	v_fma_f64 v[201:202], v[40:41], v[2:3], v[4:5]
	ds_load_b128 v[2:5], v1 offset:1216
	ds_load_b128 v[193:196], v1 offset:1232
	scratch_load_b128 v[38:41], off, off offset:608
	v_fma_f64 v[44:45], v[44:45], v[6:7], v[197:198]
	v_fma_f64 v[42:43], v[42:43], v[6:7], -v[8:9]
	scratch_load_b128 v[6:9], off, off offset:624
	s_waitcnt vmcnt(10) lgkmcnt(1)
	v_mul_f64 v[203:204], v[2:3], v[12:13]
	v_mul_f64 v[12:13], v[4:5], v[12:13]
	v_add_f64 v[197:198], v[199:200], 0
	v_add_f64 v[199:200], v[201:202], 0
	s_waitcnt vmcnt(9) lgkmcnt(0)
	v_mul_f64 v[201:202], v[193:194], v[16:17]
	v_mul_f64 v[16:17], v[195:196], v[16:17]
	v_fma_f64 v[203:204], v[4:5], v[10:11], v[203:204]
	v_fma_f64 v[205:206], v[2:3], v[10:11], -v[12:13]
	ds_load_b128 v[2:5], v1 offset:1248
	scratch_load_b128 v[10:13], off, off offset:640
	v_add_f64 v[197:198], v[197:198], v[42:43]
	v_add_f64 v[199:200], v[199:200], v[44:45]
	ds_load_b128 v[42:45], v1 offset:1264
	v_fma_f64 v[195:196], v[195:196], v[14:15], v[201:202]
	v_fma_f64 v[193:194], v[193:194], v[14:15], -v[16:17]
	scratch_load_b128 v[14:17], off, off offset:656
	s_waitcnt vmcnt(10) lgkmcnt(1)
	v_mul_f64 v[207:208], v[2:3], v[20:21]
	v_mul_f64 v[20:21], v[4:5], v[20:21]
	s_waitcnt vmcnt(9) lgkmcnt(0)
	v_mul_f64 v[201:202], v[42:43], v[24:25]
	v_mul_f64 v[24:25], v[44:45], v[24:25]
	v_add_f64 v[197:198], v[197:198], v[205:206]
	v_add_f64 v[199:200], v[199:200], v[203:204]
	v_fma_f64 v[203:204], v[4:5], v[18:19], v[207:208]
	v_fma_f64 v[205:206], v[2:3], v[18:19], -v[20:21]
	ds_load_b128 v[2:5], v1 offset:1280
	scratch_load_b128 v[18:21], off, off offset:672
	v_fma_f64 v[44:45], v[44:45], v[22:23], v[201:202]
	v_fma_f64 v[42:43], v[42:43], v[22:23], -v[24:25]
	scratch_load_b128 v[22:25], off, off offset:688
	v_add_f64 v[197:198], v[197:198], v[193:194]
	v_add_f64 v[199:200], v[199:200], v[195:196]
	ds_load_b128 v[193:196], v1 offset:1296
	s_waitcnt vmcnt(10) lgkmcnt(1)
	v_mul_f64 v[207:208], v[2:3], v[28:29]
	v_mul_f64 v[28:29], v[4:5], v[28:29]
	s_waitcnt vmcnt(9) lgkmcnt(0)
	v_mul_f64 v[201:202], v[193:194], v[32:33]
	v_mul_f64 v[32:33], v[195:196], v[32:33]
	v_add_f64 v[197:198], v[197:198], v[205:206]
	v_add_f64 v[199:200], v[199:200], v[203:204]
	v_fma_f64 v[203:204], v[4:5], v[26:27], v[207:208]
	v_fma_f64 v[205:206], v[2:3], v[26:27], -v[28:29]
	ds_load_b128 v[2:5], v1 offset:1312
	scratch_load_b128 v[26:29], off, off offset:704
	v_fma_f64 v[195:196], v[195:196], v[30:31], v[201:202]
	v_fma_f64 v[193:194], v[193:194], v[30:31], -v[32:33]
	scratch_load_b128 v[30:33], off, off offset:720
	v_add_f64 v[197:198], v[197:198], v[42:43]
	v_add_f64 v[199:200], v[199:200], v[44:45]
	ds_load_b128 v[42:45], v1 offset:1328
	s_waitcnt vmcnt(10) lgkmcnt(1)
	v_mul_f64 v[207:208], v[2:3], v[36:37]
	v_mul_f64 v[36:37], v[4:5], v[36:37]
	s_waitcnt vmcnt(8) lgkmcnt(0)
	v_mul_f64 v[201:202], v[42:43], v[191:192]
	v_mul_f64 v[191:192], v[44:45], v[191:192]
	v_add_f64 v[197:198], v[197:198], v[205:206]
	v_add_f64 v[199:200], v[199:200], v[203:204]
	v_fma_f64 v[203:204], v[4:5], v[34:35], v[207:208]
	v_fma_f64 v[205:206], v[2:3], v[34:35], -v[36:37]
	ds_load_b128 v[2:5], v1 offset:1344
	ds_load_b128 v[34:37], v1 offset:1360
	v_fma_f64 v[44:45], v[44:45], v[189:190], v[201:202]
	v_fma_f64 v[42:43], v[42:43], v[189:190], -v[191:192]
	v_add_f64 v[193:194], v[197:198], v[193:194]
	v_add_f64 v[195:196], v[199:200], v[195:196]
	s_waitcnt vmcnt(7) lgkmcnt(1)
	v_mul_f64 v[197:198], v[2:3], v[40:41]
	v_mul_f64 v[40:41], v[4:5], v[40:41]
	s_delay_alu instid0(VALU_DEP_4) | instskip(NEXT) | instid1(VALU_DEP_4)
	v_add_f64 v[189:190], v[193:194], v[205:206]
	v_add_f64 v[191:192], v[195:196], v[203:204]
	s_waitcnt vmcnt(6) lgkmcnt(0)
	v_mul_f64 v[193:194], v[34:35], v[8:9]
	v_mul_f64 v[8:9], v[36:37], v[8:9]
	v_fma_f64 v[195:196], v[4:5], v[38:39], v[197:198]
	v_fma_f64 v[197:198], v[2:3], v[38:39], -v[40:41]
	ds_load_b128 v[2:5], v1 offset:1376
	ds_load_b128 v[38:41], v1 offset:1392
	v_add_f64 v[42:43], v[189:190], v[42:43]
	v_add_f64 v[44:45], v[191:192], v[44:45]
	v_fma_f64 v[36:37], v[36:37], v[6:7], v[193:194]
	s_waitcnt vmcnt(5) lgkmcnt(1)
	v_mul_f64 v[189:190], v[2:3], v[12:13]
	v_mul_f64 v[12:13], v[4:5], v[12:13]
	v_fma_f64 v[6:7], v[34:35], v[6:7], -v[8:9]
	v_add_f64 v[8:9], v[42:43], v[197:198]
	v_add_f64 v[34:35], v[44:45], v[195:196]
	s_waitcnt vmcnt(4) lgkmcnt(0)
	v_mul_f64 v[42:43], v[38:39], v[16:17]
	v_mul_f64 v[16:17], v[40:41], v[16:17]
	v_fma_f64 v[44:45], v[4:5], v[10:11], v[189:190]
	v_fma_f64 v[10:11], v[2:3], v[10:11], -v[12:13]
	v_add_f64 v[12:13], v[8:9], v[6:7]
	v_add_f64 v[34:35], v[34:35], v[36:37]
	ds_load_b128 v[2:5], v1 offset:1408
	ds_load_b128 v[6:9], v1 offset:1424
	v_fma_f64 v[40:41], v[40:41], v[14:15], v[42:43]
	v_fma_f64 v[14:15], v[38:39], v[14:15], -v[16:17]
	s_waitcnt vmcnt(3) lgkmcnt(1)
	v_mul_f64 v[36:37], v[2:3], v[20:21]
	v_mul_f64 v[20:21], v[4:5], v[20:21]
	s_waitcnt vmcnt(2) lgkmcnt(0)
	v_mul_f64 v[16:17], v[6:7], v[24:25]
	v_mul_f64 v[24:25], v[8:9], v[24:25]
	v_add_f64 v[10:11], v[12:13], v[10:11]
	v_add_f64 v[12:13], v[34:35], v[44:45]
	v_fma_f64 v[34:35], v[4:5], v[18:19], v[36:37]
	v_fma_f64 v[18:19], v[2:3], v[18:19], -v[20:21]
	v_fma_f64 v[8:9], v[8:9], v[22:23], v[16:17]
	v_fma_f64 v[6:7], v[6:7], v[22:23], -v[24:25]
	v_add_f64 v[14:15], v[10:11], v[14:15]
	v_add_f64 v[20:21], v[12:13], v[40:41]
	ds_load_b128 v[2:5], v1 offset:1440
	ds_load_b128 v[10:13], v1 offset:1456
	s_waitcnt vmcnt(1) lgkmcnt(1)
	v_mul_f64 v[36:37], v[2:3], v[28:29]
	v_mul_f64 v[28:29], v[4:5], v[28:29]
	v_add_f64 v[14:15], v[14:15], v[18:19]
	v_add_f64 v[16:17], v[20:21], v[34:35]
	s_waitcnt vmcnt(0) lgkmcnt(0)
	v_mul_f64 v[18:19], v[10:11], v[32:33]
	v_mul_f64 v[20:21], v[12:13], v[32:33]
	v_fma_f64 v[4:5], v[4:5], v[26:27], v[36:37]
	v_fma_f64 v[1:2], v[2:3], v[26:27], -v[28:29]
	v_add_f64 v[6:7], v[14:15], v[6:7]
	v_add_f64 v[8:9], v[16:17], v[8:9]
	v_fma_f64 v[12:13], v[12:13], v[30:31], v[18:19]
	v_fma_f64 v[10:11], v[10:11], v[30:31], -v[20:21]
	s_delay_alu instid0(VALU_DEP_4) | instskip(NEXT) | instid1(VALU_DEP_4)
	v_add_f64 v[1:2], v[6:7], v[1:2]
	v_add_f64 v[3:4], v[8:9], v[4:5]
	s_delay_alu instid0(VALU_DEP_2) | instskip(NEXT) | instid1(VALU_DEP_2)
	v_add_f64 v[1:2], v[1:2], v[10:11]
	v_add_f64 v[3:4], v[3:4], v[12:13]
	s_delay_alu instid0(VALU_DEP_2) | instskip(NEXT) | instid1(VALU_DEP_2)
	v_add_f64 v[1:2], v[185:186], -v[1:2]
	v_add_f64 v[3:4], v[187:188], -v[3:4]
	scratch_store_b128 off, v[1:4], off offset:432
	v_cmpx_lt_u32_e32 26, v138
	s_cbranch_execz .LBB45_237
; %bb.236:
	scratch_load_b128 v[1:4], v157, off
	v_mov_b32_e32 v5, 0
	s_delay_alu instid0(VALU_DEP_1)
	v_mov_b32_e32 v6, v5
	v_mov_b32_e32 v7, v5
	;; [unrolled: 1-line block ×3, first 2 shown]
	scratch_store_b128 off, v[5:8], off offset:416
	s_waitcnt vmcnt(0)
	ds_store_b128 v184, v[1:4]
.LBB45_237:
	s_or_b32 exec_lo, exec_lo, s2
	s_waitcnt lgkmcnt(0)
	s_waitcnt_vscnt null, 0x0
	s_barrier
	buffer_gl0_inv
	s_clause 0x7
	scratch_load_b128 v[2:5], off, off offset:432
	scratch_load_b128 v[6:9], off, off offset:448
	;; [unrolled: 1-line block ×8, first 2 shown]
	v_mov_b32_e32 v1, 0
	s_mov_b32 s2, exec_lo
	ds_load_b128 v[34:37], v1 offset:1168
	s_clause 0x1
	scratch_load_b128 v[38:41], off, off offset:560
	scratch_load_b128 v[42:45], off, off offset:416
	ds_load_b128 v[185:188], v1 offset:1184
	scratch_load_b128 v[189:192], off, off offset:576
	s_waitcnt vmcnt(10) lgkmcnt(1)
	v_mul_f64 v[193:194], v[36:37], v[4:5]
	v_mul_f64 v[4:5], v[34:35], v[4:5]
	s_delay_alu instid0(VALU_DEP_2) | instskip(NEXT) | instid1(VALU_DEP_2)
	v_fma_f64 v[199:200], v[34:35], v[2:3], -v[193:194]
	v_fma_f64 v[201:202], v[36:37], v[2:3], v[4:5]
	scratch_load_b128 v[34:37], off, off offset:592
	ds_load_b128 v[2:5], v1 offset:1200
	s_waitcnt vmcnt(10) lgkmcnt(1)
	v_mul_f64 v[197:198], v[185:186], v[8:9]
	v_mul_f64 v[8:9], v[187:188], v[8:9]
	ds_load_b128 v[193:196], v1 offset:1216
	s_waitcnt vmcnt(9) lgkmcnt(1)
	v_mul_f64 v[203:204], v[2:3], v[12:13]
	v_mul_f64 v[12:13], v[4:5], v[12:13]
	v_fma_f64 v[187:188], v[187:188], v[6:7], v[197:198]
	v_fma_f64 v[185:186], v[185:186], v[6:7], -v[8:9]
	v_add_f64 v[197:198], v[199:200], 0
	v_add_f64 v[199:200], v[201:202], 0
	scratch_load_b128 v[6:9], off, off offset:608
	v_fma_f64 v[203:204], v[4:5], v[10:11], v[203:204]
	v_fma_f64 v[205:206], v[2:3], v[10:11], -v[12:13]
	scratch_load_b128 v[10:13], off, off offset:624
	ds_load_b128 v[2:5], v1 offset:1232
	s_waitcnt vmcnt(10) lgkmcnt(1)
	v_mul_f64 v[201:202], v[193:194], v[16:17]
	v_mul_f64 v[16:17], v[195:196], v[16:17]
	v_add_f64 v[197:198], v[197:198], v[185:186]
	v_add_f64 v[199:200], v[199:200], v[187:188]
	s_waitcnt vmcnt(9) lgkmcnt(0)
	v_mul_f64 v[207:208], v[2:3], v[20:21]
	v_mul_f64 v[20:21], v[4:5], v[20:21]
	ds_load_b128 v[185:188], v1 offset:1248
	v_fma_f64 v[195:196], v[195:196], v[14:15], v[201:202]
	v_fma_f64 v[193:194], v[193:194], v[14:15], -v[16:17]
	scratch_load_b128 v[14:17], off, off offset:640
	v_add_f64 v[197:198], v[197:198], v[205:206]
	v_add_f64 v[199:200], v[199:200], v[203:204]
	v_fma_f64 v[203:204], v[4:5], v[18:19], v[207:208]
	v_fma_f64 v[205:206], v[2:3], v[18:19], -v[20:21]
	scratch_load_b128 v[18:21], off, off offset:656
	ds_load_b128 v[2:5], v1 offset:1264
	s_waitcnt vmcnt(10) lgkmcnt(1)
	v_mul_f64 v[201:202], v[185:186], v[24:25]
	v_mul_f64 v[24:25], v[187:188], v[24:25]
	s_waitcnt vmcnt(9) lgkmcnt(0)
	v_mul_f64 v[207:208], v[2:3], v[28:29]
	v_mul_f64 v[28:29], v[4:5], v[28:29]
	v_add_f64 v[197:198], v[197:198], v[193:194]
	v_add_f64 v[199:200], v[199:200], v[195:196]
	ds_load_b128 v[193:196], v1 offset:1280
	v_fma_f64 v[187:188], v[187:188], v[22:23], v[201:202]
	v_fma_f64 v[185:186], v[185:186], v[22:23], -v[24:25]
	scratch_load_b128 v[22:25], off, off offset:672
	v_add_f64 v[197:198], v[197:198], v[205:206]
	v_add_f64 v[199:200], v[199:200], v[203:204]
	v_fma_f64 v[203:204], v[4:5], v[26:27], v[207:208]
	v_fma_f64 v[205:206], v[2:3], v[26:27], -v[28:29]
	scratch_load_b128 v[26:29], off, off offset:688
	ds_load_b128 v[2:5], v1 offset:1296
	s_waitcnt vmcnt(10) lgkmcnt(1)
	v_mul_f64 v[201:202], v[193:194], v[32:33]
	v_mul_f64 v[32:33], v[195:196], v[32:33]
	s_waitcnt vmcnt(9) lgkmcnt(0)
	v_mul_f64 v[207:208], v[2:3], v[40:41]
	v_mul_f64 v[40:41], v[4:5], v[40:41]
	v_add_f64 v[197:198], v[197:198], v[185:186]
	v_add_f64 v[199:200], v[199:200], v[187:188]
	ds_load_b128 v[185:188], v1 offset:1312
	v_fma_f64 v[195:196], v[195:196], v[30:31], v[201:202]
	v_fma_f64 v[193:194], v[193:194], v[30:31], -v[32:33]
	scratch_load_b128 v[30:33], off, off offset:704
	v_add_f64 v[197:198], v[197:198], v[205:206]
	v_add_f64 v[199:200], v[199:200], v[203:204]
	v_fma_f64 v[205:206], v[4:5], v[38:39], v[207:208]
	v_fma_f64 v[207:208], v[2:3], v[38:39], -v[40:41]
	scratch_load_b128 v[38:41], off, off offset:720
	ds_load_b128 v[2:5], v1 offset:1328
	s_waitcnt vmcnt(9) lgkmcnt(1)
	v_mul_f64 v[201:202], v[185:186], v[191:192]
	v_mul_f64 v[203:204], v[187:188], v[191:192]
	v_add_f64 v[197:198], v[197:198], v[193:194]
	v_add_f64 v[195:196], v[199:200], v[195:196]
	ds_load_b128 v[191:194], v1 offset:1344
	v_fma_f64 v[187:188], v[187:188], v[189:190], v[201:202]
	v_fma_f64 v[185:186], v[185:186], v[189:190], -v[203:204]
	s_waitcnt vmcnt(8) lgkmcnt(1)
	v_mul_f64 v[199:200], v[2:3], v[36:37]
	v_mul_f64 v[36:37], v[4:5], v[36:37]
	v_add_f64 v[189:190], v[197:198], v[207:208]
	v_add_f64 v[195:196], v[195:196], v[205:206]
	s_delay_alu instid0(VALU_DEP_4) | instskip(NEXT) | instid1(VALU_DEP_4)
	v_fma_f64 v[199:200], v[4:5], v[34:35], v[199:200]
	v_fma_f64 v[201:202], v[2:3], v[34:35], -v[36:37]
	ds_load_b128 v[2:5], v1 offset:1360
	ds_load_b128 v[34:37], v1 offset:1376
	s_waitcnt vmcnt(7) lgkmcnt(2)
	v_mul_f64 v[197:198], v[191:192], v[8:9]
	v_mul_f64 v[8:9], v[193:194], v[8:9]
	v_add_f64 v[185:186], v[189:190], v[185:186]
	v_add_f64 v[187:188], v[195:196], v[187:188]
	s_waitcnt vmcnt(6) lgkmcnt(1)
	v_mul_f64 v[189:190], v[2:3], v[12:13]
	v_mul_f64 v[12:13], v[4:5], v[12:13]
	v_fma_f64 v[193:194], v[193:194], v[6:7], v[197:198]
	v_fma_f64 v[6:7], v[191:192], v[6:7], -v[8:9]
	v_add_f64 v[8:9], v[185:186], v[201:202]
	v_add_f64 v[185:186], v[187:188], v[199:200]
	s_waitcnt vmcnt(5) lgkmcnt(0)
	v_mul_f64 v[187:188], v[34:35], v[16:17]
	v_mul_f64 v[16:17], v[36:37], v[16:17]
	v_fma_f64 v[189:190], v[4:5], v[10:11], v[189:190]
	v_fma_f64 v[10:11], v[2:3], v[10:11], -v[12:13]
	v_add_f64 v[12:13], v[8:9], v[6:7]
	v_add_f64 v[185:186], v[185:186], v[193:194]
	ds_load_b128 v[2:5], v1 offset:1392
	ds_load_b128 v[6:9], v1 offset:1408
	v_fma_f64 v[36:37], v[36:37], v[14:15], v[187:188]
	v_fma_f64 v[14:15], v[34:35], v[14:15], -v[16:17]
	s_waitcnt vmcnt(4) lgkmcnt(1)
	v_mul_f64 v[191:192], v[2:3], v[20:21]
	v_mul_f64 v[20:21], v[4:5], v[20:21]
	s_waitcnt vmcnt(3) lgkmcnt(0)
	v_mul_f64 v[16:17], v[6:7], v[24:25]
	v_mul_f64 v[24:25], v[8:9], v[24:25]
	v_add_f64 v[10:11], v[12:13], v[10:11]
	v_add_f64 v[12:13], v[185:186], v[189:190]
	v_fma_f64 v[34:35], v[4:5], v[18:19], v[191:192]
	v_fma_f64 v[18:19], v[2:3], v[18:19], -v[20:21]
	v_fma_f64 v[8:9], v[8:9], v[22:23], v[16:17]
	v_fma_f64 v[6:7], v[6:7], v[22:23], -v[24:25]
	v_add_f64 v[14:15], v[10:11], v[14:15]
	v_add_f64 v[20:21], v[12:13], v[36:37]
	ds_load_b128 v[2:5], v1 offset:1424
	ds_load_b128 v[10:13], v1 offset:1440
	s_waitcnt vmcnt(2) lgkmcnt(1)
	v_mul_f64 v[36:37], v[2:3], v[28:29]
	v_mul_f64 v[28:29], v[4:5], v[28:29]
	v_add_f64 v[14:15], v[14:15], v[18:19]
	v_add_f64 v[16:17], v[20:21], v[34:35]
	s_waitcnt vmcnt(1) lgkmcnt(0)
	v_mul_f64 v[18:19], v[10:11], v[32:33]
	v_mul_f64 v[20:21], v[12:13], v[32:33]
	v_fma_f64 v[22:23], v[4:5], v[26:27], v[36:37]
	v_fma_f64 v[24:25], v[2:3], v[26:27], -v[28:29]
	ds_load_b128 v[2:5], v1 offset:1456
	v_add_f64 v[6:7], v[14:15], v[6:7]
	v_add_f64 v[8:9], v[16:17], v[8:9]
	v_fma_f64 v[12:13], v[12:13], v[30:31], v[18:19]
	v_fma_f64 v[10:11], v[10:11], v[30:31], -v[20:21]
	s_waitcnt vmcnt(0) lgkmcnt(0)
	v_mul_f64 v[14:15], v[2:3], v[40:41]
	v_mul_f64 v[16:17], v[4:5], v[40:41]
	v_add_f64 v[6:7], v[6:7], v[24:25]
	v_add_f64 v[8:9], v[8:9], v[22:23]
	s_delay_alu instid0(VALU_DEP_4) | instskip(NEXT) | instid1(VALU_DEP_4)
	v_fma_f64 v[4:5], v[4:5], v[38:39], v[14:15]
	v_fma_f64 v[2:3], v[2:3], v[38:39], -v[16:17]
	s_delay_alu instid0(VALU_DEP_4) | instskip(NEXT) | instid1(VALU_DEP_4)
	v_add_f64 v[6:7], v[6:7], v[10:11]
	v_add_f64 v[8:9], v[8:9], v[12:13]
	s_delay_alu instid0(VALU_DEP_2) | instskip(NEXT) | instid1(VALU_DEP_2)
	v_add_f64 v[2:3], v[6:7], v[2:3]
	v_add_f64 v[4:5], v[8:9], v[4:5]
	s_delay_alu instid0(VALU_DEP_2) | instskip(NEXT) | instid1(VALU_DEP_2)
	v_add_f64 v[2:3], v[42:43], -v[2:3]
	v_add_f64 v[4:5], v[44:45], -v[4:5]
	scratch_store_b128 off, v[2:5], off offset:416
	v_cmpx_lt_u32_e32 25, v138
	s_cbranch_execz .LBB45_239
; %bb.238:
	scratch_load_b128 v[5:8], v159, off
	v_mov_b32_e32 v2, v1
	v_mov_b32_e32 v3, v1
	;; [unrolled: 1-line block ×3, first 2 shown]
	scratch_store_b128 off, v[1:4], off offset:400
	s_waitcnt vmcnt(0)
	ds_store_b128 v184, v[5:8]
.LBB45_239:
	s_or_b32 exec_lo, exec_lo, s2
	s_waitcnt lgkmcnt(0)
	s_waitcnt_vscnt null, 0x0
	s_barrier
	buffer_gl0_inv
	s_clause 0x8
	scratch_load_b128 v[2:5], off, off offset:416
	scratch_load_b128 v[6:9], off, off offset:432
	;; [unrolled: 1-line block ×9, first 2 shown]
	ds_load_b128 v[38:41], v1 offset:1152
	ds_load_b128 v[42:45], v1 offset:1168
	s_clause 0x1
	scratch_load_b128 v[185:188], off, off offset:400
	scratch_load_b128 v[189:192], off, off offset:560
	s_mov_b32 s2, exec_lo
	s_waitcnt vmcnt(10) lgkmcnt(1)
	v_mul_f64 v[193:194], v[40:41], v[4:5]
	v_mul_f64 v[4:5], v[38:39], v[4:5]
	s_waitcnt vmcnt(9) lgkmcnt(0)
	v_mul_f64 v[197:198], v[42:43], v[8:9]
	v_mul_f64 v[8:9], v[44:45], v[8:9]
	s_delay_alu instid0(VALU_DEP_4) | instskip(NEXT) | instid1(VALU_DEP_4)
	v_fma_f64 v[199:200], v[38:39], v[2:3], -v[193:194]
	v_fma_f64 v[201:202], v[40:41], v[2:3], v[4:5]
	ds_load_b128 v[2:5], v1 offset:1184
	ds_load_b128 v[193:196], v1 offset:1200
	scratch_load_b128 v[38:41], off, off offset:576
	v_fma_f64 v[44:45], v[44:45], v[6:7], v[197:198]
	v_fma_f64 v[42:43], v[42:43], v[6:7], -v[8:9]
	scratch_load_b128 v[6:9], off, off offset:592
	s_waitcnt vmcnt(10) lgkmcnt(1)
	v_mul_f64 v[203:204], v[2:3], v[12:13]
	v_mul_f64 v[12:13], v[4:5], v[12:13]
	v_add_f64 v[197:198], v[199:200], 0
	v_add_f64 v[199:200], v[201:202], 0
	s_waitcnt vmcnt(9) lgkmcnt(0)
	v_mul_f64 v[201:202], v[193:194], v[16:17]
	v_mul_f64 v[16:17], v[195:196], v[16:17]
	v_fma_f64 v[203:204], v[4:5], v[10:11], v[203:204]
	v_fma_f64 v[205:206], v[2:3], v[10:11], -v[12:13]
	ds_load_b128 v[2:5], v1 offset:1216
	scratch_load_b128 v[10:13], off, off offset:608
	v_add_f64 v[197:198], v[197:198], v[42:43]
	v_add_f64 v[199:200], v[199:200], v[44:45]
	ds_load_b128 v[42:45], v1 offset:1232
	v_fma_f64 v[195:196], v[195:196], v[14:15], v[201:202]
	v_fma_f64 v[193:194], v[193:194], v[14:15], -v[16:17]
	scratch_load_b128 v[14:17], off, off offset:624
	s_waitcnt vmcnt(10) lgkmcnt(1)
	v_mul_f64 v[207:208], v[2:3], v[20:21]
	v_mul_f64 v[20:21], v[4:5], v[20:21]
	s_waitcnt vmcnt(9) lgkmcnt(0)
	v_mul_f64 v[201:202], v[42:43], v[24:25]
	v_mul_f64 v[24:25], v[44:45], v[24:25]
	v_add_f64 v[197:198], v[197:198], v[205:206]
	v_add_f64 v[199:200], v[199:200], v[203:204]
	v_fma_f64 v[203:204], v[4:5], v[18:19], v[207:208]
	v_fma_f64 v[205:206], v[2:3], v[18:19], -v[20:21]
	ds_load_b128 v[2:5], v1 offset:1248
	scratch_load_b128 v[18:21], off, off offset:640
	v_fma_f64 v[44:45], v[44:45], v[22:23], v[201:202]
	v_fma_f64 v[42:43], v[42:43], v[22:23], -v[24:25]
	scratch_load_b128 v[22:25], off, off offset:656
	v_add_f64 v[197:198], v[197:198], v[193:194]
	v_add_f64 v[199:200], v[199:200], v[195:196]
	ds_load_b128 v[193:196], v1 offset:1264
	s_waitcnt vmcnt(10) lgkmcnt(1)
	v_mul_f64 v[207:208], v[2:3], v[28:29]
	v_mul_f64 v[28:29], v[4:5], v[28:29]
	s_waitcnt vmcnt(9) lgkmcnt(0)
	v_mul_f64 v[201:202], v[193:194], v[32:33]
	v_mul_f64 v[32:33], v[195:196], v[32:33]
	v_add_f64 v[197:198], v[197:198], v[205:206]
	v_add_f64 v[199:200], v[199:200], v[203:204]
	v_fma_f64 v[203:204], v[4:5], v[26:27], v[207:208]
	v_fma_f64 v[205:206], v[2:3], v[26:27], -v[28:29]
	ds_load_b128 v[2:5], v1 offset:1280
	scratch_load_b128 v[26:29], off, off offset:672
	v_fma_f64 v[195:196], v[195:196], v[30:31], v[201:202]
	v_fma_f64 v[193:194], v[193:194], v[30:31], -v[32:33]
	scratch_load_b128 v[30:33], off, off offset:688
	v_add_f64 v[197:198], v[197:198], v[42:43]
	v_add_f64 v[199:200], v[199:200], v[44:45]
	ds_load_b128 v[42:45], v1 offset:1296
	s_waitcnt vmcnt(10) lgkmcnt(1)
	v_mul_f64 v[207:208], v[2:3], v[36:37]
	v_mul_f64 v[36:37], v[4:5], v[36:37]
	s_waitcnt vmcnt(8) lgkmcnt(0)
	v_mul_f64 v[201:202], v[42:43], v[191:192]
	v_add_f64 v[197:198], v[197:198], v[205:206]
	v_add_f64 v[199:200], v[199:200], v[203:204]
	v_mul_f64 v[203:204], v[44:45], v[191:192]
	v_fma_f64 v[205:206], v[4:5], v[34:35], v[207:208]
	v_fma_f64 v[207:208], v[2:3], v[34:35], -v[36:37]
	ds_load_b128 v[2:5], v1 offset:1312
	scratch_load_b128 v[34:37], off, off offset:704
	v_fma_f64 v[44:45], v[44:45], v[189:190], v[201:202]
	v_add_f64 v[197:198], v[197:198], v[193:194]
	v_add_f64 v[195:196], v[199:200], v[195:196]
	ds_load_b128 v[191:194], v1 offset:1328
	v_fma_f64 v[189:190], v[42:43], v[189:190], -v[203:204]
	s_waitcnt vmcnt(8) lgkmcnt(1)
	v_mul_f64 v[199:200], v[2:3], v[40:41]
	v_mul_f64 v[209:210], v[4:5], v[40:41]
	scratch_load_b128 v[40:43], off, off offset:720
	s_waitcnt vmcnt(8) lgkmcnt(0)
	v_mul_f64 v[201:202], v[191:192], v[8:9]
	v_mul_f64 v[8:9], v[193:194], v[8:9]
	v_add_f64 v[197:198], v[197:198], v[207:208]
	v_add_f64 v[195:196], v[195:196], v[205:206]
	v_fma_f64 v[199:200], v[4:5], v[38:39], v[199:200]
	v_fma_f64 v[38:39], v[2:3], v[38:39], -v[209:210]
	v_fma_f64 v[193:194], v[193:194], v[6:7], v[201:202]
	v_fma_f64 v[6:7], v[191:192], v[6:7], -v[8:9]
	v_add_f64 v[189:190], v[197:198], v[189:190]
	v_add_f64 v[44:45], v[195:196], v[44:45]
	ds_load_b128 v[2:5], v1 offset:1344
	ds_load_b128 v[195:198], v1 offset:1360
	s_waitcnt vmcnt(7) lgkmcnt(1)
	v_mul_f64 v[203:204], v[2:3], v[12:13]
	v_mul_f64 v[12:13], v[4:5], v[12:13]
	v_add_f64 v[8:9], v[189:190], v[38:39]
	v_add_f64 v[38:39], v[44:45], v[199:200]
	s_waitcnt vmcnt(6) lgkmcnt(0)
	v_mul_f64 v[44:45], v[195:196], v[16:17]
	v_mul_f64 v[16:17], v[197:198], v[16:17]
	v_fma_f64 v[189:190], v[4:5], v[10:11], v[203:204]
	v_fma_f64 v[10:11], v[2:3], v[10:11], -v[12:13]
	v_add_f64 v[12:13], v[8:9], v[6:7]
	v_add_f64 v[38:39], v[38:39], v[193:194]
	ds_load_b128 v[2:5], v1 offset:1376
	ds_load_b128 v[6:9], v1 offset:1392
	v_fma_f64 v[44:45], v[197:198], v[14:15], v[44:45]
	v_fma_f64 v[14:15], v[195:196], v[14:15], -v[16:17]
	s_waitcnt vmcnt(5) lgkmcnt(1)
	v_mul_f64 v[191:192], v[2:3], v[20:21]
	v_mul_f64 v[20:21], v[4:5], v[20:21]
	s_waitcnt vmcnt(4) lgkmcnt(0)
	v_mul_f64 v[16:17], v[6:7], v[24:25]
	v_mul_f64 v[24:25], v[8:9], v[24:25]
	v_add_f64 v[10:11], v[12:13], v[10:11]
	v_add_f64 v[12:13], v[38:39], v[189:190]
	v_fma_f64 v[38:39], v[4:5], v[18:19], v[191:192]
	v_fma_f64 v[18:19], v[2:3], v[18:19], -v[20:21]
	v_fma_f64 v[8:9], v[8:9], v[22:23], v[16:17]
	v_fma_f64 v[6:7], v[6:7], v[22:23], -v[24:25]
	v_add_f64 v[14:15], v[10:11], v[14:15]
	v_add_f64 v[20:21], v[12:13], v[44:45]
	ds_load_b128 v[2:5], v1 offset:1408
	ds_load_b128 v[10:13], v1 offset:1424
	s_waitcnt vmcnt(3) lgkmcnt(1)
	v_mul_f64 v[44:45], v[2:3], v[28:29]
	v_mul_f64 v[28:29], v[4:5], v[28:29]
	v_add_f64 v[14:15], v[14:15], v[18:19]
	v_add_f64 v[16:17], v[20:21], v[38:39]
	s_waitcnt vmcnt(2) lgkmcnt(0)
	v_mul_f64 v[18:19], v[10:11], v[32:33]
	v_mul_f64 v[20:21], v[12:13], v[32:33]
	v_fma_f64 v[22:23], v[4:5], v[26:27], v[44:45]
	v_fma_f64 v[24:25], v[2:3], v[26:27], -v[28:29]
	v_add_f64 v[14:15], v[14:15], v[6:7]
	v_add_f64 v[16:17], v[16:17], v[8:9]
	ds_load_b128 v[2:5], v1 offset:1440
	ds_load_b128 v[6:9], v1 offset:1456
	v_fma_f64 v[12:13], v[12:13], v[30:31], v[18:19]
	v_fma_f64 v[10:11], v[10:11], v[30:31], -v[20:21]
	s_waitcnt vmcnt(1) lgkmcnt(1)
	v_mul_f64 v[26:27], v[2:3], v[36:37]
	v_mul_f64 v[28:29], v[4:5], v[36:37]
	s_waitcnt vmcnt(0) lgkmcnt(0)
	v_mul_f64 v[18:19], v[6:7], v[42:43]
	v_add_f64 v[14:15], v[14:15], v[24:25]
	v_add_f64 v[16:17], v[16:17], v[22:23]
	v_mul_f64 v[20:21], v[8:9], v[42:43]
	v_fma_f64 v[4:5], v[4:5], v[34:35], v[26:27]
	v_fma_f64 v[1:2], v[2:3], v[34:35], -v[28:29]
	v_fma_f64 v[8:9], v[8:9], v[40:41], v[18:19]
	v_add_f64 v[10:11], v[14:15], v[10:11]
	v_add_f64 v[12:13], v[16:17], v[12:13]
	v_fma_f64 v[6:7], v[6:7], v[40:41], -v[20:21]
	s_delay_alu instid0(VALU_DEP_3) | instskip(NEXT) | instid1(VALU_DEP_3)
	v_add_f64 v[1:2], v[10:11], v[1:2]
	v_add_f64 v[3:4], v[12:13], v[4:5]
	s_delay_alu instid0(VALU_DEP_2) | instskip(NEXT) | instid1(VALU_DEP_2)
	v_add_f64 v[1:2], v[1:2], v[6:7]
	v_add_f64 v[3:4], v[3:4], v[8:9]
	s_delay_alu instid0(VALU_DEP_2) | instskip(NEXT) | instid1(VALU_DEP_2)
	v_add_f64 v[1:2], v[185:186], -v[1:2]
	v_add_f64 v[3:4], v[187:188], -v[3:4]
	scratch_store_b128 off, v[1:4], off offset:400
	v_cmpx_lt_u32_e32 24, v138
	s_cbranch_execz .LBB45_241
; %bb.240:
	scratch_load_b128 v[1:4], v160, off
	v_mov_b32_e32 v5, 0
	s_delay_alu instid0(VALU_DEP_1)
	v_mov_b32_e32 v6, v5
	v_mov_b32_e32 v7, v5
	;; [unrolled: 1-line block ×3, first 2 shown]
	scratch_store_b128 off, v[5:8], off offset:384
	s_waitcnt vmcnt(0)
	ds_store_b128 v184, v[1:4]
.LBB45_241:
	s_or_b32 exec_lo, exec_lo, s2
	s_waitcnt lgkmcnt(0)
	s_waitcnt_vscnt null, 0x0
	s_barrier
	buffer_gl0_inv
	s_clause 0x7
	scratch_load_b128 v[2:5], off, off offset:400
	scratch_load_b128 v[6:9], off, off offset:416
	scratch_load_b128 v[10:13], off, off offset:432
	scratch_load_b128 v[14:17], off, off offset:448
	scratch_load_b128 v[18:21], off, off offset:464
	scratch_load_b128 v[22:25], off, off offset:480
	scratch_load_b128 v[26:29], off, off offset:496
	scratch_load_b128 v[30:33], off, off offset:512
	v_mov_b32_e32 v1, 0
	s_mov_b32 s2, exec_lo
	ds_load_b128 v[34:37], v1 offset:1136
	s_clause 0x1
	scratch_load_b128 v[38:41], off, off offset:528
	scratch_load_b128 v[42:45], off, off offset:384
	ds_load_b128 v[185:188], v1 offset:1152
	scratch_load_b128 v[189:192], off, off offset:544
	s_waitcnt vmcnt(10) lgkmcnt(1)
	v_mul_f64 v[193:194], v[36:37], v[4:5]
	v_mul_f64 v[4:5], v[34:35], v[4:5]
	s_delay_alu instid0(VALU_DEP_2) | instskip(NEXT) | instid1(VALU_DEP_2)
	v_fma_f64 v[199:200], v[34:35], v[2:3], -v[193:194]
	v_fma_f64 v[201:202], v[36:37], v[2:3], v[4:5]
	scratch_load_b128 v[34:37], off, off offset:560
	ds_load_b128 v[2:5], v1 offset:1168
	s_waitcnt vmcnt(10) lgkmcnt(1)
	v_mul_f64 v[197:198], v[185:186], v[8:9]
	v_mul_f64 v[8:9], v[187:188], v[8:9]
	ds_load_b128 v[193:196], v1 offset:1184
	s_waitcnt vmcnt(9) lgkmcnt(1)
	v_mul_f64 v[203:204], v[2:3], v[12:13]
	v_mul_f64 v[12:13], v[4:5], v[12:13]
	v_fma_f64 v[187:188], v[187:188], v[6:7], v[197:198]
	v_fma_f64 v[185:186], v[185:186], v[6:7], -v[8:9]
	v_add_f64 v[197:198], v[199:200], 0
	v_add_f64 v[199:200], v[201:202], 0
	scratch_load_b128 v[6:9], off, off offset:576
	v_fma_f64 v[203:204], v[4:5], v[10:11], v[203:204]
	v_fma_f64 v[205:206], v[2:3], v[10:11], -v[12:13]
	scratch_load_b128 v[10:13], off, off offset:592
	ds_load_b128 v[2:5], v1 offset:1200
	s_waitcnt vmcnt(10) lgkmcnt(1)
	v_mul_f64 v[201:202], v[193:194], v[16:17]
	v_mul_f64 v[16:17], v[195:196], v[16:17]
	v_add_f64 v[197:198], v[197:198], v[185:186]
	v_add_f64 v[199:200], v[199:200], v[187:188]
	s_waitcnt vmcnt(9) lgkmcnt(0)
	v_mul_f64 v[207:208], v[2:3], v[20:21]
	v_mul_f64 v[20:21], v[4:5], v[20:21]
	ds_load_b128 v[185:188], v1 offset:1216
	v_fma_f64 v[195:196], v[195:196], v[14:15], v[201:202]
	v_fma_f64 v[193:194], v[193:194], v[14:15], -v[16:17]
	scratch_load_b128 v[14:17], off, off offset:608
	v_add_f64 v[197:198], v[197:198], v[205:206]
	v_add_f64 v[199:200], v[199:200], v[203:204]
	v_fma_f64 v[203:204], v[4:5], v[18:19], v[207:208]
	v_fma_f64 v[205:206], v[2:3], v[18:19], -v[20:21]
	scratch_load_b128 v[18:21], off, off offset:624
	ds_load_b128 v[2:5], v1 offset:1232
	s_waitcnt vmcnt(10) lgkmcnt(1)
	v_mul_f64 v[201:202], v[185:186], v[24:25]
	v_mul_f64 v[24:25], v[187:188], v[24:25]
	s_waitcnt vmcnt(9) lgkmcnt(0)
	v_mul_f64 v[207:208], v[2:3], v[28:29]
	v_mul_f64 v[28:29], v[4:5], v[28:29]
	v_add_f64 v[197:198], v[197:198], v[193:194]
	v_add_f64 v[199:200], v[199:200], v[195:196]
	ds_load_b128 v[193:196], v1 offset:1248
	v_fma_f64 v[187:188], v[187:188], v[22:23], v[201:202]
	v_fma_f64 v[185:186], v[185:186], v[22:23], -v[24:25]
	scratch_load_b128 v[22:25], off, off offset:640
	v_add_f64 v[197:198], v[197:198], v[205:206]
	v_add_f64 v[199:200], v[199:200], v[203:204]
	v_fma_f64 v[203:204], v[4:5], v[26:27], v[207:208]
	v_fma_f64 v[205:206], v[2:3], v[26:27], -v[28:29]
	scratch_load_b128 v[26:29], off, off offset:656
	ds_load_b128 v[2:5], v1 offset:1264
	s_waitcnt vmcnt(10) lgkmcnt(1)
	v_mul_f64 v[201:202], v[193:194], v[32:33]
	v_mul_f64 v[32:33], v[195:196], v[32:33]
	s_waitcnt vmcnt(9) lgkmcnt(0)
	v_mul_f64 v[207:208], v[2:3], v[40:41]
	v_mul_f64 v[40:41], v[4:5], v[40:41]
	v_add_f64 v[197:198], v[197:198], v[185:186]
	v_add_f64 v[199:200], v[199:200], v[187:188]
	ds_load_b128 v[185:188], v1 offset:1280
	v_fma_f64 v[195:196], v[195:196], v[30:31], v[201:202]
	v_fma_f64 v[193:194], v[193:194], v[30:31], -v[32:33]
	scratch_load_b128 v[30:33], off, off offset:672
	v_add_f64 v[197:198], v[197:198], v[205:206]
	v_add_f64 v[199:200], v[199:200], v[203:204]
	v_fma_f64 v[205:206], v[4:5], v[38:39], v[207:208]
	v_fma_f64 v[207:208], v[2:3], v[38:39], -v[40:41]
	scratch_load_b128 v[38:41], off, off offset:688
	ds_load_b128 v[2:5], v1 offset:1296
	s_waitcnt vmcnt(9) lgkmcnt(1)
	v_mul_f64 v[201:202], v[185:186], v[191:192]
	v_mul_f64 v[203:204], v[187:188], v[191:192]
	v_add_f64 v[197:198], v[197:198], v[193:194]
	v_add_f64 v[195:196], v[199:200], v[195:196]
	ds_load_b128 v[191:194], v1 offset:1312
	v_fma_f64 v[201:202], v[187:188], v[189:190], v[201:202]
	v_fma_f64 v[189:190], v[185:186], v[189:190], -v[203:204]
	scratch_load_b128 v[185:188], off, off offset:704
	s_waitcnt vmcnt(9) lgkmcnt(1)
	v_mul_f64 v[199:200], v[2:3], v[36:37]
	v_mul_f64 v[36:37], v[4:5], v[36:37]
	v_add_f64 v[197:198], v[197:198], v[207:208]
	v_add_f64 v[195:196], v[195:196], v[205:206]
	s_delay_alu instid0(VALU_DEP_4) | instskip(NEXT) | instid1(VALU_DEP_4)
	v_fma_f64 v[199:200], v[4:5], v[34:35], v[199:200]
	v_fma_f64 v[205:206], v[2:3], v[34:35], -v[36:37]
	scratch_load_b128 v[34:37], off, off offset:720
	ds_load_b128 v[2:5], v1 offset:1328
	s_waitcnt vmcnt(9) lgkmcnt(1)
	v_mul_f64 v[203:204], v[191:192], v[8:9]
	v_mul_f64 v[8:9], v[193:194], v[8:9]
	s_waitcnt vmcnt(8) lgkmcnt(0)
	v_mul_f64 v[207:208], v[2:3], v[12:13]
	v_mul_f64 v[12:13], v[4:5], v[12:13]
	v_add_f64 v[189:190], v[197:198], v[189:190]
	v_add_f64 v[201:202], v[195:196], v[201:202]
	ds_load_b128 v[195:198], v1 offset:1344
	v_fma_f64 v[193:194], v[193:194], v[6:7], v[203:204]
	v_fma_f64 v[6:7], v[191:192], v[6:7], -v[8:9]
	v_add_f64 v[8:9], v[189:190], v[205:206]
	v_add_f64 v[189:190], v[201:202], v[199:200]
	s_waitcnt vmcnt(7) lgkmcnt(0)
	v_mul_f64 v[191:192], v[195:196], v[16:17]
	v_mul_f64 v[16:17], v[197:198], v[16:17]
	v_fma_f64 v[199:200], v[4:5], v[10:11], v[207:208]
	v_fma_f64 v[10:11], v[2:3], v[10:11], -v[12:13]
	v_add_f64 v[12:13], v[8:9], v[6:7]
	v_add_f64 v[189:190], v[189:190], v[193:194]
	ds_load_b128 v[2:5], v1 offset:1360
	ds_load_b128 v[6:9], v1 offset:1376
	v_fma_f64 v[191:192], v[197:198], v[14:15], v[191:192]
	v_fma_f64 v[14:15], v[195:196], v[14:15], -v[16:17]
	s_waitcnt vmcnt(6) lgkmcnt(1)
	v_mul_f64 v[193:194], v[2:3], v[20:21]
	v_mul_f64 v[20:21], v[4:5], v[20:21]
	s_waitcnt vmcnt(5) lgkmcnt(0)
	v_mul_f64 v[16:17], v[6:7], v[24:25]
	v_mul_f64 v[24:25], v[8:9], v[24:25]
	v_add_f64 v[10:11], v[12:13], v[10:11]
	v_add_f64 v[12:13], v[189:190], v[199:200]
	v_fma_f64 v[189:190], v[4:5], v[18:19], v[193:194]
	v_fma_f64 v[18:19], v[2:3], v[18:19], -v[20:21]
	v_fma_f64 v[8:9], v[8:9], v[22:23], v[16:17]
	v_fma_f64 v[6:7], v[6:7], v[22:23], -v[24:25]
	v_add_f64 v[14:15], v[10:11], v[14:15]
	v_add_f64 v[20:21], v[12:13], v[191:192]
	ds_load_b128 v[2:5], v1 offset:1392
	ds_load_b128 v[10:13], v1 offset:1408
	s_waitcnt vmcnt(4) lgkmcnt(1)
	v_mul_f64 v[191:192], v[2:3], v[28:29]
	v_mul_f64 v[28:29], v[4:5], v[28:29]
	v_add_f64 v[14:15], v[14:15], v[18:19]
	v_add_f64 v[16:17], v[20:21], v[189:190]
	s_waitcnt vmcnt(3) lgkmcnt(0)
	v_mul_f64 v[18:19], v[10:11], v[32:33]
	v_mul_f64 v[20:21], v[12:13], v[32:33]
	v_fma_f64 v[22:23], v[4:5], v[26:27], v[191:192]
	v_fma_f64 v[24:25], v[2:3], v[26:27], -v[28:29]
	v_add_f64 v[14:15], v[14:15], v[6:7]
	v_add_f64 v[16:17], v[16:17], v[8:9]
	ds_load_b128 v[2:5], v1 offset:1424
	ds_load_b128 v[6:9], v1 offset:1440
	v_fma_f64 v[12:13], v[12:13], v[30:31], v[18:19]
	v_fma_f64 v[10:11], v[10:11], v[30:31], -v[20:21]
	s_waitcnt vmcnt(2) lgkmcnt(1)
	v_mul_f64 v[26:27], v[2:3], v[40:41]
	v_mul_f64 v[28:29], v[4:5], v[40:41]
	s_waitcnt vmcnt(1) lgkmcnt(0)
	v_mul_f64 v[18:19], v[6:7], v[187:188]
	v_mul_f64 v[20:21], v[8:9], v[187:188]
	v_add_f64 v[14:15], v[14:15], v[24:25]
	v_add_f64 v[16:17], v[16:17], v[22:23]
	v_fma_f64 v[22:23], v[4:5], v[38:39], v[26:27]
	v_fma_f64 v[24:25], v[2:3], v[38:39], -v[28:29]
	ds_load_b128 v[2:5], v1 offset:1456
	v_fma_f64 v[8:9], v[8:9], v[185:186], v[18:19]
	v_fma_f64 v[6:7], v[6:7], v[185:186], -v[20:21]
	v_add_f64 v[10:11], v[14:15], v[10:11]
	v_add_f64 v[12:13], v[16:17], v[12:13]
	s_waitcnt vmcnt(0) lgkmcnt(0)
	v_mul_f64 v[14:15], v[2:3], v[36:37]
	v_mul_f64 v[16:17], v[4:5], v[36:37]
	s_delay_alu instid0(VALU_DEP_4) | instskip(NEXT) | instid1(VALU_DEP_4)
	v_add_f64 v[10:11], v[10:11], v[24:25]
	v_add_f64 v[12:13], v[12:13], v[22:23]
	s_delay_alu instid0(VALU_DEP_4) | instskip(NEXT) | instid1(VALU_DEP_4)
	v_fma_f64 v[4:5], v[4:5], v[34:35], v[14:15]
	v_fma_f64 v[2:3], v[2:3], v[34:35], -v[16:17]
	s_delay_alu instid0(VALU_DEP_4) | instskip(NEXT) | instid1(VALU_DEP_4)
	v_add_f64 v[6:7], v[10:11], v[6:7]
	v_add_f64 v[8:9], v[12:13], v[8:9]
	s_delay_alu instid0(VALU_DEP_2) | instskip(NEXT) | instid1(VALU_DEP_2)
	v_add_f64 v[2:3], v[6:7], v[2:3]
	v_add_f64 v[4:5], v[8:9], v[4:5]
	s_delay_alu instid0(VALU_DEP_2) | instskip(NEXT) | instid1(VALU_DEP_2)
	v_add_f64 v[2:3], v[42:43], -v[2:3]
	v_add_f64 v[4:5], v[44:45], -v[4:5]
	scratch_store_b128 off, v[2:5], off offset:384
	v_cmpx_lt_u32_e32 23, v138
	s_cbranch_execz .LBB45_243
; %bb.242:
	scratch_load_b128 v[5:8], v161, off
	v_mov_b32_e32 v2, v1
	v_mov_b32_e32 v3, v1
	;; [unrolled: 1-line block ×3, first 2 shown]
	scratch_store_b128 off, v[1:4], off offset:368
	s_waitcnt vmcnt(0)
	ds_store_b128 v184, v[5:8]
.LBB45_243:
	s_or_b32 exec_lo, exec_lo, s2
	s_waitcnt lgkmcnt(0)
	s_waitcnt_vscnt null, 0x0
	s_barrier
	buffer_gl0_inv
	s_clause 0x8
	scratch_load_b128 v[2:5], off, off offset:384
	scratch_load_b128 v[6:9], off, off offset:400
	;; [unrolled: 1-line block ×9, first 2 shown]
	ds_load_b128 v[38:41], v1 offset:1120
	ds_load_b128 v[42:45], v1 offset:1136
	s_clause 0x1
	scratch_load_b128 v[185:188], off, off offset:368
	scratch_load_b128 v[189:192], off, off offset:528
	s_mov_b32 s2, exec_lo
	s_waitcnt vmcnt(10) lgkmcnt(1)
	v_mul_f64 v[193:194], v[40:41], v[4:5]
	v_mul_f64 v[4:5], v[38:39], v[4:5]
	s_waitcnt vmcnt(9) lgkmcnt(0)
	v_mul_f64 v[197:198], v[42:43], v[8:9]
	v_mul_f64 v[8:9], v[44:45], v[8:9]
	s_delay_alu instid0(VALU_DEP_4) | instskip(NEXT) | instid1(VALU_DEP_4)
	v_fma_f64 v[199:200], v[38:39], v[2:3], -v[193:194]
	v_fma_f64 v[201:202], v[40:41], v[2:3], v[4:5]
	ds_load_b128 v[2:5], v1 offset:1152
	ds_load_b128 v[193:196], v1 offset:1168
	scratch_load_b128 v[38:41], off, off offset:544
	v_fma_f64 v[44:45], v[44:45], v[6:7], v[197:198]
	v_fma_f64 v[42:43], v[42:43], v[6:7], -v[8:9]
	scratch_load_b128 v[6:9], off, off offset:560
	s_waitcnt vmcnt(10) lgkmcnt(1)
	v_mul_f64 v[203:204], v[2:3], v[12:13]
	v_mul_f64 v[12:13], v[4:5], v[12:13]
	v_add_f64 v[197:198], v[199:200], 0
	v_add_f64 v[199:200], v[201:202], 0
	s_waitcnt vmcnt(9) lgkmcnt(0)
	v_mul_f64 v[201:202], v[193:194], v[16:17]
	v_mul_f64 v[16:17], v[195:196], v[16:17]
	v_fma_f64 v[203:204], v[4:5], v[10:11], v[203:204]
	v_fma_f64 v[205:206], v[2:3], v[10:11], -v[12:13]
	ds_load_b128 v[2:5], v1 offset:1184
	scratch_load_b128 v[10:13], off, off offset:576
	v_add_f64 v[197:198], v[197:198], v[42:43]
	v_add_f64 v[199:200], v[199:200], v[44:45]
	ds_load_b128 v[42:45], v1 offset:1200
	v_fma_f64 v[195:196], v[195:196], v[14:15], v[201:202]
	v_fma_f64 v[193:194], v[193:194], v[14:15], -v[16:17]
	scratch_load_b128 v[14:17], off, off offset:592
	s_waitcnt vmcnt(10) lgkmcnt(1)
	v_mul_f64 v[207:208], v[2:3], v[20:21]
	v_mul_f64 v[20:21], v[4:5], v[20:21]
	s_waitcnt vmcnt(9) lgkmcnt(0)
	v_mul_f64 v[201:202], v[42:43], v[24:25]
	v_mul_f64 v[24:25], v[44:45], v[24:25]
	v_add_f64 v[197:198], v[197:198], v[205:206]
	v_add_f64 v[199:200], v[199:200], v[203:204]
	v_fma_f64 v[203:204], v[4:5], v[18:19], v[207:208]
	v_fma_f64 v[205:206], v[2:3], v[18:19], -v[20:21]
	ds_load_b128 v[2:5], v1 offset:1216
	scratch_load_b128 v[18:21], off, off offset:608
	v_fma_f64 v[44:45], v[44:45], v[22:23], v[201:202]
	v_fma_f64 v[42:43], v[42:43], v[22:23], -v[24:25]
	scratch_load_b128 v[22:25], off, off offset:624
	v_add_f64 v[197:198], v[197:198], v[193:194]
	v_add_f64 v[199:200], v[199:200], v[195:196]
	ds_load_b128 v[193:196], v1 offset:1232
	s_waitcnt vmcnt(10) lgkmcnt(1)
	v_mul_f64 v[207:208], v[2:3], v[28:29]
	v_mul_f64 v[28:29], v[4:5], v[28:29]
	s_waitcnt vmcnt(9) lgkmcnt(0)
	v_mul_f64 v[201:202], v[193:194], v[32:33]
	v_mul_f64 v[32:33], v[195:196], v[32:33]
	v_add_f64 v[197:198], v[197:198], v[205:206]
	v_add_f64 v[199:200], v[199:200], v[203:204]
	v_fma_f64 v[203:204], v[4:5], v[26:27], v[207:208]
	v_fma_f64 v[205:206], v[2:3], v[26:27], -v[28:29]
	ds_load_b128 v[2:5], v1 offset:1248
	scratch_load_b128 v[26:29], off, off offset:640
	v_fma_f64 v[195:196], v[195:196], v[30:31], v[201:202]
	v_fma_f64 v[193:194], v[193:194], v[30:31], -v[32:33]
	scratch_load_b128 v[30:33], off, off offset:656
	v_add_f64 v[197:198], v[197:198], v[42:43]
	v_add_f64 v[199:200], v[199:200], v[44:45]
	ds_load_b128 v[42:45], v1 offset:1264
	s_waitcnt vmcnt(10) lgkmcnt(1)
	v_mul_f64 v[207:208], v[2:3], v[36:37]
	v_mul_f64 v[36:37], v[4:5], v[36:37]
	s_waitcnt vmcnt(8) lgkmcnt(0)
	v_mul_f64 v[201:202], v[42:43], v[191:192]
	v_add_f64 v[197:198], v[197:198], v[205:206]
	v_add_f64 v[199:200], v[199:200], v[203:204]
	v_mul_f64 v[203:204], v[44:45], v[191:192]
	v_fma_f64 v[205:206], v[4:5], v[34:35], v[207:208]
	v_fma_f64 v[207:208], v[2:3], v[34:35], -v[36:37]
	ds_load_b128 v[2:5], v1 offset:1280
	scratch_load_b128 v[34:37], off, off offset:672
	v_fma_f64 v[44:45], v[44:45], v[189:190], v[201:202]
	v_add_f64 v[197:198], v[197:198], v[193:194]
	v_add_f64 v[195:196], v[199:200], v[195:196]
	ds_load_b128 v[191:194], v1 offset:1296
	v_fma_f64 v[189:190], v[42:43], v[189:190], -v[203:204]
	s_waitcnt vmcnt(8) lgkmcnt(1)
	v_mul_f64 v[199:200], v[2:3], v[40:41]
	v_mul_f64 v[209:210], v[4:5], v[40:41]
	scratch_load_b128 v[40:43], off, off offset:688
	s_waitcnt vmcnt(8) lgkmcnt(0)
	v_mul_f64 v[203:204], v[191:192], v[8:9]
	v_mul_f64 v[8:9], v[193:194], v[8:9]
	v_add_f64 v[197:198], v[197:198], v[207:208]
	v_add_f64 v[195:196], v[195:196], v[205:206]
	v_fma_f64 v[205:206], v[4:5], v[38:39], v[199:200]
	v_fma_f64 v[38:39], v[2:3], v[38:39], -v[209:210]
	ds_load_b128 v[2:5], v1 offset:1312
	ds_load_b128 v[199:202], v1 offset:1328
	v_fma_f64 v[193:194], v[193:194], v[6:7], v[203:204]
	v_fma_f64 v[191:192], v[191:192], v[6:7], -v[8:9]
	scratch_load_b128 v[6:9], off, off offset:720
	v_add_f64 v[189:190], v[197:198], v[189:190]
	v_add_f64 v[44:45], v[195:196], v[44:45]
	scratch_load_b128 v[195:198], off, off offset:704
	s_waitcnt vmcnt(9) lgkmcnt(1)
	v_mul_f64 v[207:208], v[2:3], v[12:13]
	v_mul_f64 v[12:13], v[4:5], v[12:13]
	v_add_f64 v[38:39], v[189:190], v[38:39]
	v_add_f64 v[44:45], v[44:45], v[205:206]
	s_waitcnt vmcnt(8) lgkmcnt(0)
	v_mul_f64 v[189:190], v[199:200], v[16:17]
	v_mul_f64 v[16:17], v[201:202], v[16:17]
	v_fma_f64 v[203:204], v[4:5], v[10:11], v[207:208]
	v_fma_f64 v[205:206], v[2:3], v[10:11], -v[12:13]
	ds_load_b128 v[2:5], v1 offset:1344
	ds_load_b128 v[10:13], v1 offset:1360
	v_add_f64 v[38:39], v[38:39], v[191:192]
	v_add_f64 v[44:45], v[44:45], v[193:194]
	s_waitcnt vmcnt(7) lgkmcnt(1)
	v_mul_f64 v[191:192], v[2:3], v[20:21]
	v_mul_f64 v[20:21], v[4:5], v[20:21]
	v_fma_f64 v[189:190], v[201:202], v[14:15], v[189:190]
	v_fma_f64 v[14:15], v[199:200], v[14:15], -v[16:17]
	v_add_f64 v[16:17], v[38:39], v[205:206]
	v_add_f64 v[38:39], v[44:45], v[203:204]
	s_waitcnt vmcnt(6) lgkmcnt(0)
	v_mul_f64 v[44:45], v[10:11], v[24:25]
	v_mul_f64 v[24:25], v[12:13], v[24:25]
	v_fma_f64 v[191:192], v[4:5], v[18:19], v[191:192]
	v_fma_f64 v[18:19], v[2:3], v[18:19], -v[20:21]
	v_add_f64 v[20:21], v[16:17], v[14:15]
	v_add_f64 v[38:39], v[38:39], v[189:190]
	ds_load_b128 v[2:5], v1 offset:1376
	ds_load_b128 v[14:17], v1 offset:1392
	v_fma_f64 v[12:13], v[12:13], v[22:23], v[44:45]
	v_fma_f64 v[10:11], v[10:11], v[22:23], -v[24:25]
	s_waitcnt vmcnt(5) lgkmcnt(1)
	v_mul_f64 v[189:190], v[2:3], v[28:29]
	v_mul_f64 v[28:29], v[4:5], v[28:29]
	s_waitcnt vmcnt(4) lgkmcnt(0)
	v_mul_f64 v[22:23], v[14:15], v[32:33]
	v_mul_f64 v[24:25], v[16:17], v[32:33]
	v_add_f64 v[18:19], v[20:21], v[18:19]
	v_add_f64 v[20:21], v[38:39], v[191:192]
	v_fma_f64 v[32:33], v[4:5], v[26:27], v[189:190]
	v_fma_f64 v[26:27], v[2:3], v[26:27], -v[28:29]
	v_fma_f64 v[16:17], v[16:17], v[30:31], v[22:23]
	v_fma_f64 v[14:15], v[14:15], v[30:31], -v[24:25]
	v_add_f64 v[18:19], v[18:19], v[10:11]
	v_add_f64 v[20:21], v[20:21], v[12:13]
	ds_load_b128 v[2:5], v1 offset:1408
	ds_load_b128 v[10:13], v1 offset:1424
	s_waitcnt vmcnt(3) lgkmcnt(1)
	v_mul_f64 v[28:29], v[2:3], v[36:37]
	v_mul_f64 v[36:37], v[4:5], v[36:37]
	s_waitcnt vmcnt(2) lgkmcnt(0)
	v_mul_f64 v[22:23], v[10:11], v[42:43]
	v_add_f64 v[18:19], v[18:19], v[26:27]
	v_add_f64 v[20:21], v[20:21], v[32:33]
	v_mul_f64 v[24:25], v[12:13], v[42:43]
	v_fma_f64 v[26:27], v[4:5], v[34:35], v[28:29]
	v_fma_f64 v[28:29], v[2:3], v[34:35], -v[36:37]
	v_fma_f64 v[12:13], v[12:13], v[40:41], v[22:23]
	v_add_f64 v[18:19], v[18:19], v[14:15]
	v_add_f64 v[20:21], v[20:21], v[16:17]
	ds_load_b128 v[2:5], v1 offset:1440
	ds_load_b128 v[14:17], v1 offset:1456
	v_fma_f64 v[10:11], v[10:11], v[40:41], -v[24:25]
	s_waitcnt vmcnt(0) lgkmcnt(1)
	v_mul_f64 v[30:31], v[2:3], v[197:198]
	v_mul_f64 v[32:33], v[4:5], v[197:198]
	s_waitcnt lgkmcnt(0)
	v_mul_f64 v[22:23], v[14:15], v[8:9]
	v_mul_f64 v[8:9], v[16:17], v[8:9]
	v_add_f64 v[18:19], v[18:19], v[28:29]
	v_add_f64 v[20:21], v[20:21], v[26:27]
	v_fma_f64 v[4:5], v[4:5], v[195:196], v[30:31]
	v_fma_f64 v[1:2], v[2:3], v[195:196], -v[32:33]
	v_fma_f64 v[16:17], v[16:17], v[6:7], v[22:23]
	v_fma_f64 v[6:7], v[14:15], v[6:7], -v[8:9]
	v_add_f64 v[10:11], v[18:19], v[10:11]
	v_add_f64 v[12:13], v[20:21], v[12:13]
	s_delay_alu instid0(VALU_DEP_2) | instskip(NEXT) | instid1(VALU_DEP_2)
	v_add_f64 v[1:2], v[10:11], v[1:2]
	v_add_f64 v[3:4], v[12:13], v[4:5]
	s_delay_alu instid0(VALU_DEP_2) | instskip(NEXT) | instid1(VALU_DEP_2)
	;; [unrolled: 3-line block ×3, first 2 shown]
	v_add_f64 v[1:2], v[185:186], -v[1:2]
	v_add_f64 v[3:4], v[187:188], -v[3:4]
	scratch_store_b128 off, v[1:4], off offset:368
	v_cmpx_lt_u32_e32 22, v138
	s_cbranch_execz .LBB45_245
; %bb.244:
	scratch_load_b128 v[1:4], v162, off
	v_mov_b32_e32 v5, 0
	s_delay_alu instid0(VALU_DEP_1)
	v_mov_b32_e32 v6, v5
	v_mov_b32_e32 v7, v5
	v_mov_b32_e32 v8, v5
	scratch_store_b128 off, v[5:8], off offset:352
	s_waitcnt vmcnt(0)
	ds_store_b128 v184, v[1:4]
.LBB45_245:
	s_or_b32 exec_lo, exec_lo, s2
	s_waitcnt lgkmcnt(0)
	s_waitcnt_vscnt null, 0x0
	s_barrier
	buffer_gl0_inv
	s_clause 0x7
	scratch_load_b128 v[2:5], off, off offset:368
	scratch_load_b128 v[6:9], off, off offset:384
	;; [unrolled: 1-line block ×8, first 2 shown]
	v_mov_b32_e32 v1, 0
	s_mov_b32 s2, exec_lo
	ds_load_b128 v[34:37], v1 offset:1104
	s_clause 0x1
	scratch_load_b128 v[38:41], off, off offset:496
	scratch_load_b128 v[42:45], off, off offset:352
	ds_load_b128 v[185:188], v1 offset:1120
	scratch_load_b128 v[189:192], off, off offset:512
	s_waitcnt vmcnt(10) lgkmcnt(1)
	v_mul_f64 v[193:194], v[36:37], v[4:5]
	v_mul_f64 v[4:5], v[34:35], v[4:5]
	s_delay_alu instid0(VALU_DEP_2) | instskip(NEXT) | instid1(VALU_DEP_2)
	v_fma_f64 v[199:200], v[34:35], v[2:3], -v[193:194]
	v_fma_f64 v[201:202], v[36:37], v[2:3], v[4:5]
	scratch_load_b128 v[34:37], off, off offset:528
	ds_load_b128 v[2:5], v1 offset:1136
	s_waitcnt vmcnt(10) lgkmcnt(1)
	v_mul_f64 v[197:198], v[185:186], v[8:9]
	v_mul_f64 v[8:9], v[187:188], v[8:9]
	ds_load_b128 v[193:196], v1 offset:1152
	s_waitcnt vmcnt(9) lgkmcnt(1)
	v_mul_f64 v[203:204], v[2:3], v[12:13]
	v_mul_f64 v[12:13], v[4:5], v[12:13]
	v_fma_f64 v[187:188], v[187:188], v[6:7], v[197:198]
	v_fma_f64 v[185:186], v[185:186], v[6:7], -v[8:9]
	v_add_f64 v[197:198], v[199:200], 0
	v_add_f64 v[199:200], v[201:202], 0
	scratch_load_b128 v[6:9], off, off offset:544
	v_fma_f64 v[203:204], v[4:5], v[10:11], v[203:204]
	v_fma_f64 v[205:206], v[2:3], v[10:11], -v[12:13]
	scratch_load_b128 v[10:13], off, off offset:560
	ds_load_b128 v[2:5], v1 offset:1168
	s_waitcnt vmcnt(10) lgkmcnt(1)
	v_mul_f64 v[201:202], v[193:194], v[16:17]
	v_mul_f64 v[16:17], v[195:196], v[16:17]
	v_add_f64 v[197:198], v[197:198], v[185:186]
	v_add_f64 v[199:200], v[199:200], v[187:188]
	s_waitcnt vmcnt(9) lgkmcnt(0)
	v_mul_f64 v[207:208], v[2:3], v[20:21]
	v_mul_f64 v[20:21], v[4:5], v[20:21]
	ds_load_b128 v[185:188], v1 offset:1184
	v_fma_f64 v[195:196], v[195:196], v[14:15], v[201:202]
	v_fma_f64 v[193:194], v[193:194], v[14:15], -v[16:17]
	scratch_load_b128 v[14:17], off, off offset:576
	v_add_f64 v[197:198], v[197:198], v[205:206]
	v_add_f64 v[199:200], v[199:200], v[203:204]
	v_fma_f64 v[203:204], v[4:5], v[18:19], v[207:208]
	v_fma_f64 v[205:206], v[2:3], v[18:19], -v[20:21]
	scratch_load_b128 v[18:21], off, off offset:592
	ds_load_b128 v[2:5], v1 offset:1200
	s_waitcnt vmcnt(10) lgkmcnt(1)
	v_mul_f64 v[201:202], v[185:186], v[24:25]
	v_mul_f64 v[24:25], v[187:188], v[24:25]
	s_waitcnt vmcnt(9) lgkmcnt(0)
	v_mul_f64 v[207:208], v[2:3], v[28:29]
	v_mul_f64 v[28:29], v[4:5], v[28:29]
	v_add_f64 v[197:198], v[197:198], v[193:194]
	v_add_f64 v[199:200], v[199:200], v[195:196]
	ds_load_b128 v[193:196], v1 offset:1216
	v_fma_f64 v[187:188], v[187:188], v[22:23], v[201:202]
	v_fma_f64 v[185:186], v[185:186], v[22:23], -v[24:25]
	scratch_load_b128 v[22:25], off, off offset:608
	v_add_f64 v[197:198], v[197:198], v[205:206]
	v_add_f64 v[199:200], v[199:200], v[203:204]
	v_fma_f64 v[203:204], v[4:5], v[26:27], v[207:208]
	v_fma_f64 v[205:206], v[2:3], v[26:27], -v[28:29]
	scratch_load_b128 v[26:29], off, off offset:624
	ds_load_b128 v[2:5], v1 offset:1232
	s_waitcnt vmcnt(10) lgkmcnt(1)
	v_mul_f64 v[201:202], v[193:194], v[32:33]
	v_mul_f64 v[32:33], v[195:196], v[32:33]
	s_waitcnt vmcnt(9) lgkmcnt(0)
	v_mul_f64 v[207:208], v[2:3], v[40:41]
	v_mul_f64 v[40:41], v[4:5], v[40:41]
	v_add_f64 v[197:198], v[197:198], v[185:186]
	v_add_f64 v[199:200], v[199:200], v[187:188]
	ds_load_b128 v[185:188], v1 offset:1248
	v_fma_f64 v[195:196], v[195:196], v[30:31], v[201:202]
	v_fma_f64 v[193:194], v[193:194], v[30:31], -v[32:33]
	scratch_load_b128 v[30:33], off, off offset:640
	v_add_f64 v[197:198], v[197:198], v[205:206]
	v_add_f64 v[199:200], v[199:200], v[203:204]
	v_fma_f64 v[205:206], v[4:5], v[38:39], v[207:208]
	v_fma_f64 v[207:208], v[2:3], v[38:39], -v[40:41]
	scratch_load_b128 v[38:41], off, off offset:656
	ds_load_b128 v[2:5], v1 offset:1264
	s_waitcnt vmcnt(9) lgkmcnt(1)
	v_mul_f64 v[201:202], v[185:186], v[191:192]
	v_mul_f64 v[203:204], v[187:188], v[191:192]
	v_add_f64 v[197:198], v[197:198], v[193:194]
	v_add_f64 v[195:196], v[199:200], v[195:196]
	ds_load_b128 v[191:194], v1 offset:1280
	v_fma_f64 v[201:202], v[187:188], v[189:190], v[201:202]
	v_fma_f64 v[189:190], v[185:186], v[189:190], -v[203:204]
	scratch_load_b128 v[185:188], off, off offset:672
	s_waitcnt vmcnt(9) lgkmcnt(1)
	v_mul_f64 v[199:200], v[2:3], v[36:37]
	v_mul_f64 v[36:37], v[4:5], v[36:37]
	v_add_f64 v[197:198], v[197:198], v[207:208]
	v_add_f64 v[195:196], v[195:196], v[205:206]
	s_delay_alu instid0(VALU_DEP_4) | instskip(NEXT) | instid1(VALU_DEP_4)
	v_fma_f64 v[199:200], v[4:5], v[34:35], v[199:200]
	v_fma_f64 v[205:206], v[2:3], v[34:35], -v[36:37]
	scratch_load_b128 v[34:37], off, off offset:688
	ds_load_b128 v[2:5], v1 offset:1296
	s_waitcnt vmcnt(9) lgkmcnt(1)
	v_mul_f64 v[203:204], v[191:192], v[8:9]
	v_mul_f64 v[8:9], v[193:194], v[8:9]
	s_waitcnt vmcnt(8) lgkmcnt(0)
	v_mul_f64 v[207:208], v[2:3], v[12:13]
	v_mul_f64 v[12:13], v[4:5], v[12:13]
	v_add_f64 v[189:190], v[197:198], v[189:190]
	v_add_f64 v[201:202], v[195:196], v[201:202]
	ds_load_b128 v[195:198], v1 offset:1312
	v_fma_f64 v[193:194], v[193:194], v[6:7], v[203:204]
	v_fma_f64 v[191:192], v[191:192], v[6:7], -v[8:9]
	scratch_load_b128 v[6:9], off, off offset:704
	v_fma_f64 v[203:204], v[4:5], v[10:11], v[207:208]
	v_add_f64 v[189:190], v[189:190], v[205:206]
	v_add_f64 v[199:200], v[201:202], v[199:200]
	v_fma_f64 v[205:206], v[2:3], v[10:11], -v[12:13]
	scratch_load_b128 v[10:13], off, off offset:720
	ds_load_b128 v[2:5], v1 offset:1328
	s_waitcnt vmcnt(9) lgkmcnt(1)
	v_mul_f64 v[201:202], v[195:196], v[16:17]
	v_mul_f64 v[16:17], v[197:198], v[16:17]
	v_add_f64 v[207:208], v[189:190], v[191:192]
	v_add_f64 v[193:194], v[199:200], v[193:194]
	s_waitcnt vmcnt(8) lgkmcnt(0)
	v_mul_f64 v[199:200], v[2:3], v[20:21]
	v_mul_f64 v[20:21], v[4:5], v[20:21]
	ds_load_b128 v[189:192], v1 offset:1344
	v_fma_f64 v[197:198], v[197:198], v[14:15], v[201:202]
	v_fma_f64 v[14:15], v[195:196], v[14:15], -v[16:17]
	s_waitcnt vmcnt(7) lgkmcnt(0)
	v_mul_f64 v[195:196], v[189:190], v[24:25]
	v_mul_f64 v[24:25], v[191:192], v[24:25]
	v_add_f64 v[16:17], v[207:208], v[205:206]
	v_add_f64 v[193:194], v[193:194], v[203:204]
	v_fma_f64 v[199:200], v[4:5], v[18:19], v[199:200]
	v_fma_f64 v[18:19], v[2:3], v[18:19], -v[20:21]
	v_fma_f64 v[191:192], v[191:192], v[22:23], v[195:196]
	v_fma_f64 v[22:23], v[189:190], v[22:23], -v[24:25]
	v_add_f64 v[20:21], v[16:17], v[14:15]
	v_add_f64 v[193:194], v[193:194], v[197:198]
	ds_load_b128 v[2:5], v1 offset:1360
	ds_load_b128 v[14:17], v1 offset:1376
	s_waitcnt vmcnt(6) lgkmcnt(1)
	v_mul_f64 v[197:198], v[2:3], v[28:29]
	v_mul_f64 v[28:29], v[4:5], v[28:29]
	s_waitcnt vmcnt(5) lgkmcnt(0)
	v_mul_f64 v[24:25], v[14:15], v[32:33]
	v_mul_f64 v[32:33], v[16:17], v[32:33]
	v_add_f64 v[18:19], v[20:21], v[18:19]
	v_add_f64 v[20:21], v[193:194], v[199:200]
	v_fma_f64 v[189:190], v[4:5], v[26:27], v[197:198]
	v_fma_f64 v[26:27], v[2:3], v[26:27], -v[28:29]
	v_fma_f64 v[16:17], v[16:17], v[30:31], v[24:25]
	v_fma_f64 v[14:15], v[14:15], v[30:31], -v[32:33]
	v_add_f64 v[22:23], v[18:19], v[22:23]
	v_add_f64 v[28:29], v[20:21], v[191:192]
	ds_load_b128 v[2:5], v1 offset:1392
	ds_load_b128 v[18:21], v1 offset:1408
	s_waitcnt vmcnt(4) lgkmcnt(1)
	v_mul_f64 v[191:192], v[2:3], v[40:41]
	v_mul_f64 v[40:41], v[4:5], v[40:41]
	v_add_f64 v[22:23], v[22:23], v[26:27]
	v_add_f64 v[24:25], v[28:29], v[189:190]
	s_waitcnt vmcnt(3) lgkmcnt(0)
	v_mul_f64 v[26:27], v[18:19], v[187:188]
	v_mul_f64 v[28:29], v[20:21], v[187:188]
	v_fma_f64 v[30:31], v[4:5], v[38:39], v[191:192]
	v_fma_f64 v[32:33], v[2:3], v[38:39], -v[40:41]
	v_add_f64 v[22:23], v[22:23], v[14:15]
	v_add_f64 v[24:25], v[24:25], v[16:17]
	ds_load_b128 v[2:5], v1 offset:1424
	ds_load_b128 v[14:17], v1 offset:1440
	v_fma_f64 v[20:21], v[20:21], v[185:186], v[26:27]
	v_fma_f64 v[18:19], v[18:19], v[185:186], -v[28:29]
	s_waitcnt vmcnt(2) lgkmcnt(1)
	v_mul_f64 v[38:39], v[2:3], v[36:37]
	v_mul_f64 v[36:37], v[4:5], v[36:37]
	s_waitcnt vmcnt(1) lgkmcnt(0)
	v_mul_f64 v[26:27], v[14:15], v[8:9]
	v_mul_f64 v[8:9], v[16:17], v[8:9]
	v_add_f64 v[22:23], v[22:23], v[32:33]
	v_add_f64 v[24:25], v[24:25], v[30:31]
	v_fma_f64 v[28:29], v[4:5], v[34:35], v[38:39]
	v_fma_f64 v[30:31], v[2:3], v[34:35], -v[36:37]
	ds_load_b128 v[2:5], v1 offset:1456
	v_fma_f64 v[16:17], v[16:17], v[6:7], v[26:27]
	v_fma_f64 v[6:7], v[14:15], v[6:7], -v[8:9]
	v_add_f64 v[18:19], v[22:23], v[18:19]
	v_add_f64 v[20:21], v[24:25], v[20:21]
	s_waitcnt vmcnt(0) lgkmcnt(0)
	v_mul_f64 v[22:23], v[2:3], v[12:13]
	v_mul_f64 v[12:13], v[4:5], v[12:13]
	s_delay_alu instid0(VALU_DEP_4) | instskip(NEXT) | instid1(VALU_DEP_4)
	v_add_f64 v[8:9], v[18:19], v[30:31]
	v_add_f64 v[14:15], v[20:21], v[28:29]
	s_delay_alu instid0(VALU_DEP_4) | instskip(NEXT) | instid1(VALU_DEP_4)
	v_fma_f64 v[4:5], v[4:5], v[10:11], v[22:23]
	v_fma_f64 v[2:3], v[2:3], v[10:11], -v[12:13]
	s_delay_alu instid0(VALU_DEP_4) | instskip(NEXT) | instid1(VALU_DEP_4)
	v_add_f64 v[6:7], v[8:9], v[6:7]
	v_add_f64 v[8:9], v[14:15], v[16:17]
	s_delay_alu instid0(VALU_DEP_2) | instskip(NEXT) | instid1(VALU_DEP_2)
	v_add_f64 v[2:3], v[6:7], v[2:3]
	v_add_f64 v[4:5], v[8:9], v[4:5]
	s_delay_alu instid0(VALU_DEP_2) | instskip(NEXT) | instid1(VALU_DEP_2)
	v_add_f64 v[2:3], v[42:43], -v[2:3]
	v_add_f64 v[4:5], v[44:45], -v[4:5]
	scratch_store_b128 off, v[2:5], off offset:352
	v_cmpx_lt_u32_e32 21, v138
	s_cbranch_execz .LBB45_247
; %bb.246:
	scratch_load_b128 v[5:8], v163, off
	v_mov_b32_e32 v2, v1
	v_mov_b32_e32 v3, v1
	;; [unrolled: 1-line block ×3, first 2 shown]
	scratch_store_b128 off, v[1:4], off offset:336
	s_waitcnt vmcnt(0)
	ds_store_b128 v184, v[5:8]
.LBB45_247:
	s_or_b32 exec_lo, exec_lo, s2
	s_waitcnt lgkmcnt(0)
	s_waitcnt_vscnt null, 0x0
	s_barrier
	buffer_gl0_inv
	s_clause 0x8
	scratch_load_b128 v[2:5], off, off offset:352
	scratch_load_b128 v[6:9], off, off offset:368
	;; [unrolled: 1-line block ×9, first 2 shown]
	ds_load_b128 v[38:41], v1 offset:1088
	ds_load_b128 v[42:45], v1 offset:1104
	s_clause 0x1
	scratch_load_b128 v[185:188], off, off offset:336
	scratch_load_b128 v[189:192], off, off offset:496
	s_mov_b32 s2, exec_lo
	s_waitcnt vmcnt(10) lgkmcnt(1)
	v_mul_f64 v[193:194], v[40:41], v[4:5]
	v_mul_f64 v[4:5], v[38:39], v[4:5]
	s_waitcnt vmcnt(9) lgkmcnt(0)
	v_mul_f64 v[197:198], v[42:43], v[8:9]
	v_mul_f64 v[8:9], v[44:45], v[8:9]
	s_delay_alu instid0(VALU_DEP_4) | instskip(NEXT) | instid1(VALU_DEP_4)
	v_fma_f64 v[199:200], v[38:39], v[2:3], -v[193:194]
	v_fma_f64 v[201:202], v[40:41], v[2:3], v[4:5]
	ds_load_b128 v[2:5], v1 offset:1120
	ds_load_b128 v[193:196], v1 offset:1136
	scratch_load_b128 v[38:41], off, off offset:512
	v_fma_f64 v[44:45], v[44:45], v[6:7], v[197:198]
	v_fma_f64 v[42:43], v[42:43], v[6:7], -v[8:9]
	scratch_load_b128 v[6:9], off, off offset:528
	s_waitcnt vmcnt(10) lgkmcnt(1)
	v_mul_f64 v[203:204], v[2:3], v[12:13]
	v_mul_f64 v[12:13], v[4:5], v[12:13]
	v_add_f64 v[197:198], v[199:200], 0
	v_add_f64 v[199:200], v[201:202], 0
	s_waitcnt vmcnt(9) lgkmcnt(0)
	v_mul_f64 v[201:202], v[193:194], v[16:17]
	v_mul_f64 v[16:17], v[195:196], v[16:17]
	v_fma_f64 v[203:204], v[4:5], v[10:11], v[203:204]
	v_fma_f64 v[205:206], v[2:3], v[10:11], -v[12:13]
	ds_load_b128 v[2:5], v1 offset:1152
	scratch_load_b128 v[10:13], off, off offset:544
	v_add_f64 v[197:198], v[197:198], v[42:43]
	v_add_f64 v[199:200], v[199:200], v[44:45]
	ds_load_b128 v[42:45], v1 offset:1168
	v_fma_f64 v[195:196], v[195:196], v[14:15], v[201:202]
	v_fma_f64 v[193:194], v[193:194], v[14:15], -v[16:17]
	scratch_load_b128 v[14:17], off, off offset:560
	s_waitcnt vmcnt(10) lgkmcnt(1)
	v_mul_f64 v[207:208], v[2:3], v[20:21]
	v_mul_f64 v[20:21], v[4:5], v[20:21]
	s_waitcnt vmcnt(9) lgkmcnt(0)
	v_mul_f64 v[201:202], v[42:43], v[24:25]
	v_mul_f64 v[24:25], v[44:45], v[24:25]
	v_add_f64 v[197:198], v[197:198], v[205:206]
	v_add_f64 v[199:200], v[199:200], v[203:204]
	v_fma_f64 v[203:204], v[4:5], v[18:19], v[207:208]
	v_fma_f64 v[205:206], v[2:3], v[18:19], -v[20:21]
	ds_load_b128 v[2:5], v1 offset:1184
	scratch_load_b128 v[18:21], off, off offset:576
	v_fma_f64 v[44:45], v[44:45], v[22:23], v[201:202]
	v_fma_f64 v[42:43], v[42:43], v[22:23], -v[24:25]
	scratch_load_b128 v[22:25], off, off offset:592
	v_add_f64 v[197:198], v[197:198], v[193:194]
	v_add_f64 v[199:200], v[199:200], v[195:196]
	ds_load_b128 v[193:196], v1 offset:1200
	s_waitcnt vmcnt(10) lgkmcnt(1)
	v_mul_f64 v[207:208], v[2:3], v[28:29]
	v_mul_f64 v[28:29], v[4:5], v[28:29]
	s_waitcnt vmcnt(9) lgkmcnt(0)
	v_mul_f64 v[201:202], v[193:194], v[32:33]
	v_mul_f64 v[32:33], v[195:196], v[32:33]
	v_add_f64 v[197:198], v[197:198], v[205:206]
	v_add_f64 v[199:200], v[199:200], v[203:204]
	v_fma_f64 v[203:204], v[4:5], v[26:27], v[207:208]
	v_fma_f64 v[205:206], v[2:3], v[26:27], -v[28:29]
	ds_load_b128 v[2:5], v1 offset:1216
	scratch_load_b128 v[26:29], off, off offset:608
	v_fma_f64 v[195:196], v[195:196], v[30:31], v[201:202]
	v_fma_f64 v[193:194], v[193:194], v[30:31], -v[32:33]
	scratch_load_b128 v[30:33], off, off offset:624
	v_add_f64 v[197:198], v[197:198], v[42:43]
	v_add_f64 v[199:200], v[199:200], v[44:45]
	ds_load_b128 v[42:45], v1 offset:1232
	s_waitcnt vmcnt(10) lgkmcnt(1)
	v_mul_f64 v[207:208], v[2:3], v[36:37]
	v_mul_f64 v[36:37], v[4:5], v[36:37]
	s_waitcnt vmcnt(8) lgkmcnt(0)
	v_mul_f64 v[201:202], v[42:43], v[191:192]
	v_add_f64 v[197:198], v[197:198], v[205:206]
	v_add_f64 v[199:200], v[199:200], v[203:204]
	v_mul_f64 v[203:204], v[44:45], v[191:192]
	v_fma_f64 v[205:206], v[4:5], v[34:35], v[207:208]
	v_fma_f64 v[207:208], v[2:3], v[34:35], -v[36:37]
	ds_load_b128 v[2:5], v1 offset:1248
	scratch_load_b128 v[34:37], off, off offset:640
	v_fma_f64 v[44:45], v[44:45], v[189:190], v[201:202]
	v_add_f64 v[197:198], v[197:198], v[193:194]
	v_add_f64 v[195:196], v[199:200], v[195:196]
	ds_load_b128 v[191:194], v1 offset:1264
	v_fma_f64 v[189:190], v[42:43], v[189:190], -v[203:204]
	s_waitcnt vmcnt(8) lgkmcnt(1)
	v_mul_f64 v[199:200], v[2:3], v[40:41]
	v_mul_f64 v[209:210], v[4:5], v[40:41]
	scratch_load_b128 v[40:43], off, off offset:656
	s_waitcnt vmcnt(8) lgkmcnt(0)
	v_mul_f64 v[203:204], v[191:192], v[8:9]
	v_mul_f64 v[8:9], v[193:194], v[8:9]
	v_add_f64 v[197:198], v[197:198], v[207:208]
	v_add_f64 v[195:196], v[195:196], v[205:206]
	v_fma_f64 v[205:206], v[4:5], v[38:39], v[199:200]
	v_fma_f64 v[38:39], v[2:3], v[38:39], -v[209:210]
	ds_load_b128 v[2:5], v1 offset:1280
	ds_load_b128 v[199:202], v1 offset:1296
	v_fma_f64 v[193:194], v[193:194], v[6:7], v[203:204]
	v_fma_f64 v[191:192], v[191:192], v[6:7], -v[8:9]
	scratch_load_b128 v[6:9], off, off offset:688
	v_add_f64 v[189:190], v[197:198], v[189:190]
	v_add_f64 v[44:45], v[195:196], v[44:45]
	scratch_load_b128 v[195:198], off, off offset:672
	s_waitcnt vmcnt(9) lgkmcnt(1)
	v_mul_f64 v[207:208], v[2:3], v[12:13]
	v_mul_f64 v[12:13], v[4:5], v[12:13]
	s_waitcnt vmcnt(8) lgkmcnt(0)
	v_mul_f64 v[203:204], v[199:200], v[16:17]
	v_mul_f64 v[16:17], v[201:202], v[16:17]
	v_add_f64 v[38:39], v[189:190], v[38:39]
	v_add_f64 v[44:45], v[44:45], v[205:206]
	v_fma_f64 v[205:206], v[4:5], v[10:11], v[207:208]
	v_fma_f64 v[207:208], v[2:3], v[10:11], -v[12:13]
	ds_load_b128 v[2:5], v1 offset:1312
	scratch_load_b128 v[10:13], off, off offset:704
	v_fma_f64 v[201:202], v[201:202], v[14:15], v[203:204]
	v_fma_f64 v[199:200], v[199:200], v[14:15], -v[16:17]
	scratch_load_b128 v[14:17], off, off offset:720
	v_add_f64 v[38:39], v[38:39], v[191:192]
	v_add_f64 v[44:45], v[44:45], v[193:194]
	ds_load_b128 v[189:192], v1 offset:1328
	s_waitcnt vmcnt(9) lgkmcnt(1)
	v_mul_f64 v[193:194], v[2:3], v[20:21]
	v_mul_f64 v[20:21], v[4:5], v[20:21]
	s_waitcnt vmcnt(8) lgkmcnt(0)
	v_mul_f64 v[203:204], v[189:190], v[24:25]
	v_mul_f64 v[24:25], v[191:192], v[24:25]
	v_add_f64 v[38:39], v[38:39], v[207:208]
	v_add_f64 v[44:45], v[44:45], v[205:206]
	v_fma_f64 v[193:194], v[4:5], v[18:19], v[193:194]
	v_fma_f64 v[205:206], v[2:3], v[18:19], -v[20:21]
	ds_load_b128 v[2:5], v1 offset:1344
	ds_load_b128 v[18:21], v1 offset:1360
	v_fma_f64 v[191:192], v[191:192], v[22:23], v[203:204]
	v_fma_f64 v[22:23], v[189:190], v[22:23], -v[24:25]
	v_add_f64 v[38:39], v[38:39], v[199:200]
	v_add_f64 v[44:45], v[44:45], v[201:202]
	s_waitcnt vmcnt(7) lgkmcnt(1)
	v_mul_f64 v[199:200], v[2:3], v[28:29]
	v_mul_f64 v[28:29], v[4:5], v[28:29]
	s_delay_alu instid0(VALU_DEP_4) | instskip(NEXT) | instid1(VALU_DEP_4)
	v_add_f64 v[24:25], v[38:39], v[205:206]
	v_add_f64 v[38:39], v[44:45], v[193:194]
	s_waitcnt vmcnt(6) lgkmcnt(0)
	v_mul_f64 v[44:45], v[18:19], v[32:33]
	v_mul_f64 v[32:33], v[20:21], v[32:33]
	v_fma_f64 v[189:190], v[4:5], v[26:27], v[199:200]
	v_fma_f64 v[26:27], v[2:3], v[26:27], -v[28:29]
	v_add_f64 v[28:29], v[24:25], v[22:23]
	v_add_f64 v[38:39], v[38:39], v[191:192]
	ds_load_b128 v[2:5], v1 offset:1376
	ds_load_b128 v[22:25], v1 offset:1392
	v_fma_f64 v[20:21], v[20:21], v[30:31], v[44:45]
	v_fma_f64 v[18:19], v[18:19], v[30:31], -v[32:33]
	s_waitcnt vmcnt(5) lgkmcnt(1)
	v_mul_f64 v[191:192], v[2:3], v[36:37]
	v_mul_f64 v[36:37], v[4:5], v[36:37]
	s_waitcnt vmcnt(4) lgkmcnt(0)
	v_mul_f64 v[30:31], v[22:23], v[42:43]
	v_add_f64 v[26:27], v[28:29], v[26:27]
	v_add_f64 v[28:29], v[38:39], v[189:190]
	v_mul_f64 v[32:33], v[24:25], v[42:43]
	v_fma_f64 v[38:39], v[4:5], v[34:35], v[191:192]
	v_fma_f64 v[34:35], v[2:3], v[34:35], -v[36:37]
	v_fma_f64 v[24:25], v[24:25], v[40:41], v[30:31]
	v_add_f64 v[26:27], v[26:27], v[18:19]
	v_add_f64 v[28:29], v[28:29], v[20:21]
	ds_load_b128 v[2:5], v1 offset:1408
	ds_load_b128 v[18:21], v1 offset:1424
	v_fma_f64 v[22:23], v[22:23], v[40:41], -v[32:33]
	s_waitcnt vmcnt(2) lgkmcnt(1)
	v_mul_f64 v[36:37], v[2:3], v[197:198]
	v_mul_f64 v[42:43], v[4:5], v[197:198]
	s_waitcnt lgkmcnt(0)
	v_mul_f64 v[30:31], v[18:19], v[8:9]
	v_mul_f64 v[8:9], v[20:21], v[8:9]
	v_add_f64 v[26:27], v[26:27], v[34:35]
	v_add_f64 v[28:29], v[28:29], v[38:39]
	v_fma_f64 v[32:33], v[4:5], v[195:196], v[36:37]
	v_fma_f64 v[34:35], v[2:3], v[195:196], -v[42:43]
	v_fma_f64 v[20:21], v[20:21], v[6:7], v[30:31]
	v_fma_f64 v[6:7], v[18:19], v[6:7], -v[8:9]
	v_add_f64 v[26:27], v[26:27], v[22:23]
	v_add_f64 v[28:29], v[28:29], v[24:25]
	ds_load_b128 v[2:5], v1 offset:1440
	ds_load_b128 v[22:25], v1 offset:1456
	s_waitcnt vmcnt(1) lgkmcnt(1)
	v_mul_f64 v[36:37], v[2:3], v[12:13]
	v_mul_f64 v[12:13], v[4:5], v[12:13]
	v_add_f64 v[8:9], v[26:27], v[34:35]
	v_add_f64 v[18:19], v[28:29], v[32:33]
	s_waitcnt vmcnt(0) lgkmcnt(0)
	v_mul_f64 v[26:27], v[22:23], v[16:17]
	v_mul_f64 v[16:17], v[24:25], v[16:17]
	v_fma_f64 v[4:5], v[4:5], v[10:11], v[36:37]
	v_fma_f64 v[1:2], v[2:3], v[10:11], -v[12:13]
	v_add_f64 v[6:7], v[8:9], v[6:7]
	v_add_f64 v[8:9], v[18:19], v[20:21]
	v_fma_f64 v[10:11], v[24:25], v[14:15], v[26:27]
	v_fma_f64 v[12:13], v[22:23], v[14:15], -v[16:17]
	s_delay_alu instid0(VALU_DEP_4) | instskip(NEXT) | instid1(VALU_DEP_4)
	v_add_f64 v[1:2], v[6:7], v[1:2]
	v_add_f64 v[3:4], v[8:9], v[4:5]
	s_delay_alu instid0(VALU_DEP_2) | instskip(NEXT) | instid1(VALU_DEP_2)
	v_add_f64 v[1:2], v[1:2], v[12:13]
	v_add_f64 v[3:4], v[3:4], v[10:11]
	s_delay_alu instid0(VALU_DEP_2) | instskip(NEXT) | instid1(VALU_DEP_2)
	v_add_f64 v[1:2], v[185:186], -v[1:2]
	v_add_f64 v[3:4], v[187:188], -v[3:4]
	scratch_store_b128 off, v[1:4], off offset:336
	v_cmpx_lt_u32_e32 20, v138
	s_cbranch_execz .LBB45_249
; %bb.248:
	scratch_load_b128 v[1:4], v164, off
	v_mov_b32_e32 v5, 0
	s_delay_alu instid0(VALU_DEP_1)
	v_mov_b32_e32 v6, v5
	v_mov_b32_e32 v7, v5
	;; [unrolled: 1-line block ×3, first 2 shown]
	scratch_store_b128 off, v[5:8], off offset:320
	s_waitcnt vmcnt(0)
	ds_store_b128 v184, v[1:4]
.LBB45_249:
	s_or_b32 exec_lo, exec_lo, s2
	s_waitcnt lgkmcnt(0)
	s_waitcnt_vscnt null, 0x0
	s_barrier
	buffer_gl0_inv
	s_clause 0x7
	scratch_load_b128 v[2:5], off, off offset:336
	scratch_load_b128 v[6:9], off, off offset:352
	;; [unrolled: 1-line block ×8, first 2 shown]
	v_mov_b32_e32 v1, 0
	s_mov_b32 s2, exec_lo
	ds_load_b128 v[34:37], v1 offset:1072
	s_clause 0x1
	scratch_load_b128 v[38:41], off, off offset:464
	scratch_load_b128 v[42:45], off, off offset:320
	ds_load_b128 v[185:188], v1 offset:1088
	scratch_load_b128 v[189:192], off, off offset:480
	s_waitcnt vmcnt(10) lgkmcnt(1)
	v_mul_f64 v[193:194], v[36:37], v[4:5]
	v_mul_f64 v[4:5], v[34:35], v[4:5]
	s_delay_alu instid0(VALU_DEP_2) | instskip(NEXT) | instid1(VALU_DEP_2)
	v_fma_f64 v[199:200], v[34:35], v[2:3], -v[193:194]
	v_fma_f64 v[201:202], v[36:37], v[2:3], v[4:5]
	scratch_load_b128 v[34:37], off, off offset:496
	ds_load_b128 v[2:5], v1 offset:1104
	s_waitcnt vmcnt(10) lgkmcnt(1)
	v_mul_f64 v[197:198], v[185:186], v[8:9]
	v_mul_f64 v[8:9], v[187:188], v[8:9]
	ds_load_b128 v[193:196], v1 offset:1120
	s_waitcnt vmcnt(9) lgkmcnt(1)
	v_mul_f64 v[203:204], v[2:3], v[12:13]
	v_mul_f64 v[12:13], v[4:5], v[12:13]
	v_fma_f64 v[187:188], v[187:188], v[6:7], v[197:198]
	v_fma_f64 v[185:186], v[185:186], v[6:7], -v[8:9]
	v_add_f64 v[197:198], v[199:200], 0
	v_add_f64 v[199:200], v[201:202], 0
	scratch_load_b128 v[6:9], off, off offset:512
	v_fma_f64 v[203:204], v[4:5], v[10:11], v[203:204]
	v_fma_f64 v[205:206], v[2:3], v[10:11], -v[12:13]
	scratch_load_b128 v[10:13], off, off offset:528
	ds_load_b128 v[2:5], v1 offset:1136
	s_waitcnt vmcnt(10) lgkmcnt(1)
	v_mul_f64 v[201:202], v[193:194], v[16:17]
	v_mul_f64 v[16:17], v[195:196], v[16:17]
	v_add_f64 v[197:198], v[197:198], v[185:186]
	v_add_f64 v[199:200], v[199:200], v[187:188]
	s_waitcnt vmcnt(9) lgkmcnt(0)
	v_mul_f64 v[207:208], v[2:3], v[20:21]
	v_mul_f64 v[20:21], v[4:5], v[20:21]
	ds_load_b128 v[185:188], v1 offset:1152
	v_fma_f64 v[195:196], v[195:196], v[14:15], v[201:202]
	v_fma_f64 v[193:194], v[193:194], v[14:15], -v[16:17]
	scratch_load_b128 v[14:17], off, off offset:544
	v_add_f64 v[197:198], v[197:198], v[205:206]
	v_add_f64 v[199:200], v[199:200], v[203:204]
	v_fma_f64 v[203:204], v[4:5], v[18:19], v[207:208]
	v_fma_f64 v[205:206], v[2:3], v[18:19], -v[20:21]
	scratch_load_b128 v[18:21], off, off offset:560
	ds_load_b128 v[2:5], v1 offset:1168
	s_waitcnt vmcnt(10) lgkmcnt(1)
	v_mul_f64 v[201:202], v[185:186], v[24:25]
	v_mul_f64 v[24:25], v[187:188], v[24:25]
	s_waitcnt vmcnt(9) lgkmcnt(0)
	v_mul_f64 v[207:208], v[2:3], v[28:29]
	v_mul_f64 v[28:29], v[4:5], v[28:29]
	v_add_f64 v[197:198], v[197:198], v[193:194]
	v_add_f64 v[199:200], v[199:200], v[195:196]
	ds_load_b128 v[193:196], v1 offset:1184
	v_fma_f64 v[187:188], v[187:188], v[22:23], v[201:202]
	v_fma_f64 v[185:186], v[185:186], v[22:23], -v[24:25]
	scratch_load_b128 v[22:25], off, off offset:576
	v_add_f64 v[197:198], v[197:198], v[205:206]
	v_add_f64 v[199:200], v[199:200], v[203:204]
	v_fma_f64 v[203:204], v[4:5], v[26:27], v[207:208]
	v_fma_f64 v[205:206], v[2:3], v[26:27], -v[28:29]
	scratch_load_b128 v[26:29], off, off offset:592
	ds_load_b128 v[2:5], v1 offset:1200
	s_waitcnt vmcnt(10) lgkmcnt(1)
	v_mul_f64 v[201:202], v[193:194], v[32:33]
	v_mul_f64 v[32:33], v[195:196], v[32:33]
	s_waitcnt vmcnt(9) lgkmcnt(0)
	v_mul_f64 v[207:208], v[2:3], v[40:41]
	v_mul_f64 v[40:41], v[4:5], v[40:41]
	v_add_f64 v[197:198], v[197:198], v[185:186]
	v_add_f64 v[199:200], v[199:200], v[187:188]
	ds_load_b128 v[185:188], v1 offset:1216
	v_fma_f64 v[195:196], v[195:196], v[30:31], v[201:202]
	v_fma_f64 v[193:194], v[193:194], v[30:31], -v[32:33]
	scratch_load_b128 v[30:33], off, off offset:608
	v_add_f64 v[197:198], v[197:198], v[205:206]
	v_add_f64 v[199:200], v[199:200], v[203:204]
	v_fma_f64 v[205:206], v[4:5], v[38:39], v[207:208]
	v_fma_f64 v[207:208], v[2:3], v[38:39], -v[40:41]
	scratch_load_b128 v[38:41], off, off offset:624
	ds_load_b128 v[2:5], v1 offset:1232
	s_waitcnt vmcnt(9) lgkmcnt(1)
	v_mul_f64 v[201:202], v[185:186], v[191:192]
	v_mul_f64 v[203:204], v[187:188], v[191:192]
	v_add_f64 v[197:198], v[197:198], v[193:194]
	v_add_f64 v[195:196], v[199:200], v[195:196]
	ds_load_b128 v[191:194], v1 offset:1248
	v_fma_f64 v[201:202], v[187:188], v[189:190], v[201:202]
	v_fma_f64 v[189:190], v[185:186], v[189:190], -v[203:204]
	scratch_load_b128 v[185:188], off, off offset:640
	s_waitcnt vmcnt(9) lgkmcnt(1)
	v_mul_f64 v[199:200], v[2:3], v[36:37]
	v_mul_f64 v[36:37], v[4:5], v[36:37]
	v_add_f64 v[197:198], v[197:198], v[207:208]
	v_add_f64 v[195:196], v[195:196], v[205:206]
	s_delay_alu instid0(VALU_DEP_4) | instskip(NEXT) | instid1(VALU_DEP_4)
	v_fma_f64 v[199:200], v[4:5], v[34:35], v[199:200]
	v_fma_f64 v[205:206], v[2:3], v[34:35], -v[36:37]
	scratch_load_b128 v[34:37], off, off offset:656
	ds_load_b128 v[2:5], v1 offset:1264
	s_waitcnt vmcnt(9) lgkmcnt(1)
	v_mul_f64 v[203:204], v[191:192], v[8:9]
	v_mul_f64 v[8:9], v[193:194], v[8:9]
	s_waitcnt vmcnt(8) lgkmcnt(0)
	v_mul_f64 v[207:208], v[2:3], v[12:13]
	v_mul_f64 v[12:13], v[4:5], v[12:13]
	v_add_f64 v[189:190], v[197:198], v[189:190]
	v_add_f64 v[201:202], v[195:196], v[201:202]
	ds_load_b128 v[195:198], v1 offset:1280
	v_fma_f64 v[193:194], v[193:194], v[6:7], v[203:204]
	v_fma_f64 v[191:192], v[191:192], v[6:7], -v[8:9]
	scratch_load_b128 v[6:9], off, off offset:672
	v_fma_f64 v[203:204], v[4:5], v[10:11], v[207:208]
	v_add_f64 v[189:190], v[189:190], v[205:206]
	v_add_f64 v[199:200], v[201:202], v[199:200]
	v_fma_f64 v[205:206], v[2:3], v[10:11], -v[12:13]
	scratch_load_b128 v[10:13], off, off offset:688
	ds_load_b128 v[2:5], v1 offset:1296
	s_waitcnt vmcnt(9) lgkmcnt(1)
	v_mul_f64 v[201:202], v[195:196], v[16:17]
	v_mul_f64 v[16:17], v[197:198], v[16:17]
	v_add_f64 v[207:208], v[189:190], v[191:192]
	v_add_f64 v[193:194], v[199:200], v[193:194]
	s_waitcnt vmcnt(8) lgkmcnt(0)
	v_mul_f64 v[199:200], v[2:3], v[20:21]
	v_mul_f64 v[20:21], v[4:5], v[20:21]
	ds_load_b128 v[189:192], v1 offset:1312
	v_fma_f64 v[197:198], v[197:198], v[14:15], v[201:202]
	v_fma_f64 v[195:196], v[195:196], v[14:15], -v[16:17]
	scratch_load_b128 v[14:17], off, off offset:704
	v_add_f64 v[201:202], v[207:208], v[205:206]
	v_add_f64 v[193:194], v[193:194], v[203:204]
	v_fma_f64 v[199:200], v[4:5], v[18:19], v[199:200]
	v_fma_f64 v[205:206], v[2:3], v[18:19], -v[20:21]
	scratch_load_b128 v[18:21], off, off offset:720
	ds_load_b128 v[2:5], v1 offset:1328
	s_waitcnt vmcnt(9) lgkmcnt(1)
	v_mul_f64 v[203:204], v[189:190], v[24:25]
	v_mul_f64 v[24:25], v[191:192], v[24:25]
	s_waitcnt vmcnt(8) lgkmcnt(0)
	v_mul_f64 v[207:208], v[2:3], v[28:29]
	v_mul_f64 v[28:29], v[4:5], v[28:29]
	v_add_f64 v[201:202], v[201:202], v[195:196]
	v_add_f64 v[197:198], v[193:194], v[197:198]
	ds_load_b128 v[193:196], v1 offset:1344
	v_fma_f64 v[191:192], v[191:192], v[22:23], v[203:204]
	v_fma_f64 v[22:23], v[189:190], v[22:23], -v[24:25]
	v_add_f64 v[24:25], v[201:202], v[205:206]
	v_add_f64 v[189:190], v[197:198], v[199:200]
	s_waitcnt vmcnt(7) lgkmcnt(0)
	v_mul_f64 v[197:198], v[193:194], v[32:33]
	v_mul_f64 v[32:33], v[195:196], v[32:33]
	v_fma_f64 v[199:200], v[4:5], v[26:27], v[207:208]
	v_fma_f64 v[26:27], v[2:3], v[26:27], -v[28:29]
	v_add_f64 v[28:29], v[24:25], v[22:23]
	v_add_f64 v[189:190], v[189:190], v[191:192]
	ds_load_b128 v[2:5], v1 offset:1360
	ds_load_b128 v[22:25], v1 offset:1376
	v_fma_f64 v[195:196], v[195:196], v[30:31], v[197:198]
	v_fma_f64 v[30:31], v[193:194], v[30:31], -v[32:33]
	s_waitcnt vmcnt(6) lgkmcnt(1)
	v_mul_f64 v[191:192], v[2:3], v[40:41]
	v_mul_f64 v[40:41], v[4:5], v[40:41]
	s_waitcnt vmcnt(5) lgkmcnt(0)
	v_mul_f64 v[32:33], v[22:23], v[187:188]
	v_mul_f64 v[187:188], v[24:25], v[187:188]
	v_add_f64 v[26:27], v[28:29], v[26:27]
	v_add_f64 v[28:29], v[189:190], v[199:200]
	v_fma_f64 v[189:190], v[4:5], v[38:39], v[191:192]
	v_fma_f64 v[38:39], v[2:3], v[38:39], -v[40:41]
	v_fma_f64 v[24:25], v[24:25], v[185:186], v[32:33]
	v_fma_f64 v[22:23], v[22:23], v[185:186], -v[187:188]
	v_add_f64 v[30:31], v[26:27], v[30:31]
	v_add_f64 v[40:41], v[28:29], v[195:196]
	ds_load_b128 v[2:5], v1 offset:1392
	ds_load_b128 v[26:29], v1 offset:1408
	s_waitcnt vmcnt(4) lgkmcnt(1)
	v_mul_f64 v[191:192], v[2:3], v[36:37]
	v_mul_f64 v[36:37], v[4:5], v[36:37]
	v_add_f64 v[30:31], v[30:31], v[38:39]
	v_add_f64 v[32:33], v[40:41], v[189:190]
	s_waitcnt vmcnt(3) lgkmcnt(0)
	v_mul_f64 v[38:39], v[26:27], v[8:9]
	v_mul_f64 v[8:9], v[28:29], v[8:9]
	v_fma_f64 v[40:41], v[4:5], v[34:35], v[191:192]
	v_fma_f64 v[34:35], v[2:3], v[34:35], -v[36:37]
	v_add_f64 v[30:31], v[30:31], v[22:23]
	v_add_f64 v[32:33], v[32:33], v[24:25]
	ds_load_b128 v[2:5], v1 offset:1424
	ds_load_b128 v[22:25], v1 offset:1440
	v_fma_f64 v[28:29], v[28:29], v[6:7], v[38:39]
	v_fma_f64 v[6:7], v[26:27], v[6:7], -v[8:9]
	s_waitcnt vmcnt(2) lgkmcnt(1)
	v_mul_f64 v[36:37], v[2:3], v[12:13]
	v_mul_f64 v[12:13], v[4:5], v[12:13]
	v_add_f64 v[8:9], v[30:31], v[34:35]
	v_add_f64 v[26:27], v[32:33], v[40:41]
	s_waitcnt vmcnt(1) lgkmcnt(0)
	v_mul_f64 v[30:31], v[22:23], v[16:17]
	v_mul_f64 v[16:17], v[24:25], v[16:17]
	v_fma_f64 v[32:33], v[4:5], v[10:11], v[36:37]
	v_fma_f64 v[10:11], v[2:3], v[10:11], -v[12:13]
	ds_load_b128 v[2:5], v1 offset:1456
	v_add_f64 v[6:7], v[8:9], v[6:7]
	v_add_f64 v[8:9], v[26:27], v[28:29]
	v_fma_f64 v[24:25], v[24:25], v[14:15], v[30:31]
	v_fma_f64 v[14:15], v[22:23], v[14:15], -v[16:17]
	s_waitcnt vmcnt(0) lgkmcnt(0)
	v_mul_f64 v[12:13], v[2:3], v[20:21]
	v_mul_f64 v[20:21], v[4:5], v[20:21]
	v_add_f64 v[6:7], v[6:7], v[10:11]
	v_add_f64 v[8:9], v[8:9], v[32:33]
	s_delay_alu instid0(VALU_DEP_4) | instskip(NEXT) | instid1(VALU_DEP_4)
	v_fma_f64 v[4:5], v[4:5], v[18:19], v[12:13]
	v_fma_f64 v[2:3], v[2:3], v[18:19], -v[20:21]
	s_delay_alu instid0(VALU_DEP_4) | instskip(NEXT) | instid1(VALU_DEP_4)
	v_add_f64 v[6:7], v[6:7], v[14:15]
	v_add_f64 v[8:9], v[8:9], v[24:25]
	s_delay_alu instid0(VALU_DEP_2) | instskip(NEXT) | instid1(VALU_DEP_2)
	v_add_f64 v[2:3], v[6:7], v[2:3]
	v_add_f64 v[4:5], v[8:9], v[4:5]
	s_delay_alu instid0(VALU_DEP_2) | instskip(NEXT) | instid1(VALU_DEP_2)
	v_add_f64 v[2:3], v[42:43], -v[2:3]
	v_add_f64 v[4:5], v[44:45], -v[4:5]
	scratch_store_b128 off, v[2:5], off offset:320
	v_cmpx_lt_u32_e32 19, v138
	s_cbranch_execz .LBB45_251
; %bb.250:
	scratch_load_b128 v[5:8], v165, off
	v_mov_b32_e32 v2, v1
	v_mov_b32_e32 v3, v1
	;; [unrolled: 1-line block ×3, first 2 shown]
	scratch_store_b128 off, v[1:4], off offset:304
	s_waitcnt vmcnt(0)
	ds_store_b128 v184, v[5:8]
.LBB45_251:
	s_or_b32 exec_lo, exec_lo, s2
	s_waitcnt lgkmcnt(0)
	s_waitcnt_vscnt null, 0x0
	s_barrier
	buffer_gl0_inv
	s_clause 0x8
	scratch_load_b128 v[2:5], off, off offset:320
	scratch_load_b128 v[6:9], off, off offset:336
	;; [unrolled: 1-line block ×9, first 2 shown]
	ds_load_b128 v[38:41], v1 offset:1056
	ds_load_b128 v[42:45], v1 offset:1072
	s_clause 0x1
	scratch_load_b128 v[185:188], off, off offset:304
	scratch_load_b128 v[189:192], off, off offset:464
	s_mov_b32 s2, exec_lo
	s_waitcnt vmcnt(10) lgkmcnt(1)
	v_mul_f64 v[193:194], v[40:41], v[4:5]
	v_mul_f64 v[4:5], v[38:39], v[4:5]
	s_waitcnt vmcnt(9) lgkmcnt(0)
	v_mul_f64 v[197:198], v[42:43], v[8:9]
	v_mul_f64 v[8:9], v[44:45], v[8:9]
	s_delay_alu instid0(VALU_DEP_4) | instskip(NEXT) | instid1(VALU_DEP_4)
	v_fma_f64 v[199:200], v[38:39], v[2:3], -v[193:194]
	v_fma_f64 v[201:202], v[40:41], v[2:3], v[4:5]
	ds_load_b128 v[2:5], v1 offset:1088
	ds_load_b128 v[193:196], v1 offset:1104
	scratch_load_b128 v[38:41], off, off offset:480
	v_fma_f64 v[44:45], v[44:45], v[6:7], v[197:198]
	v_fma_f64 v[42:43], v[42:43], v[6:7], -v[8:9]
	scratch_load_b128 v[6:9], off, off offset:496
	s_waitcnt vmcnt(10) lgkmcnt(1)
	v_mul_f64 v[203:204], v[2:3], v[12:13]
	v_mul_f64 v[12:13], v[4:5], v[12:13]
	v_add_f64 v[197:198], v[199:200], 0
	v_add_f64 v[199:200], v[201:202], 0
	s_waitcnt vmcnt(9) lgkmcnt(0)
	v_mul_f64 v[201:202], v[193:194], v[16:17]
	v_mul_f64 v[16:17], v[195:196], v[16:17]
	v_fma_f64 v[203:204], v[4:5], v[10:11], v[203:204]
	v_fma_f64 v[205:206], v[2:3], v[10:11], -v[12:13]
	ds_load_b128 v[2:5], v1 offset:1120
	scratch_load_b128 v[10:13], off, off offset:512
	v_add_f64 v[197:198], v[197:198], v[42:43]
	v_add_f64 v[199:200], v[199:200], v[44:45]
	ds_load_b128 v[42:45], v1 offset:1136
	v_fma_f64 v[195:196], v[195:196], v[14:15], v[201:202]
	v_fma_f64 v[193:194], v[193:194], v[14:15], -v[16:17]
	scratch_load_b128 v[14:17], off, off offset:528
	s_waitcnt vmcnt(10) lgkmcnt(1)
	v_mul_f64 v[207:208], v[2:3], v[20:21]
	v_mul_f64 v[20:21], v[4:5], v[20:21]
	s_waitcnt vmcnt(9) lgkmcnt(0)
	v_mul_f64 v[201:202], v[42:43], v[24:25]
	v_mul_f64 v[24:25], v[44:45], v[24:25]
	v_add_f64 v[197:198], v[197:198], v[205:206]
	v_add_f64 v[199:200], v[199:200], v[203:204]
	v_fma_f64 v[203:204], v[4:5], v[18:19], v[207:208]
	v_fma_f64 v[205:206], v[2:3], v[18:19], -v[20:21]
	ds_load_b128 v[2:5], v1 offset:1152
	scratch_load_b128 v[18:21], off, off offset:544
	v_fma_f64 v[44:45], v[44:45], v[22:23], v[201:202]
	v_fma_f64 v[42:43], v[42:43], v[22:23], -v[24:25]
	scratch_load_b128 v[22:25], off, off offset:560
	v_add_f64 v[197:198], v[197:198], v[193:194]
	v_add_f64 v[199:200], v[199:200], v[195:196]
	ds_load_b128 v[193:196], v1 offset:1168
	s_waitcnt vmcnt(10) lgkmcnt(1)
	v_mul_f64 v[207:208], v[2:3], v[28:29]
	v_mul_f64 v[28:29], v[4:5], v[28:29]
	s_waitcnt vmcnt(9) lgkmcnt(0)
	v_mul_f64 v[201:202], v[193:194], v[32:33]
	v_mul_f64 v[32:33], v[195:196], v[32:33]
	v_add_f64 v[197:198], v[197:198], v[205:206]
	v_add_f64 v[199:200], v[199:200], v[203:204]
	v_fma_f64 v[203:204], v[4:5], v[26:27], v[207:208]
	v_fma_f64 v[205:206], v[2:3], v[26:27], -v[28:29]
	ds_load_b128 v[2:5], v1 offset:1184
	scratch_load_b128 v[26:29], off, off offset:576
	v_fma_f64 v[195:196], v[195:196], v[30:31], v[201:202]
	v_fma_f64 v[193:194], v[193:194], v[30:31], -v[32:33]
	scratch_load_b128 v[30:33], off, off offset:592
	v_add_f64 v[197:198], v[197:198], v[42:43]
	v_add_f64 v[199:200], v[199:200], v[44:45]
	ds_load_b128 v[42:45], v1 offset:1200
	s_waitcnt vmcnt(10) lgkmcnt(1)
	v_mul_f64 v[207:208], v[2:3], v[36:37]
	v_mul_f64 v[36:37], v[4:5], v[36:37]
	s_waitcnt vmcnt(8) lgkmcnt(0)
	v_mul_f64 v[201:202], v[42:43], v[191:192]
	v_add_f64 v[197:198], v[197:198], v[205:206]
	v_add_f64 v[199:200], v[199:200], v[203:204]
	v_mul_f64 v[203:204], v[44:45], v[191:192]
	v_fma_f64 v[205:206], v[4:5], v[34:35], v[207:208]
	v_fma_f64 v[207:208], v[2:3], v[34:35], -v[36:37]
	ds_load_b128 v[2:5], v1 offset:1216
	scratch_load_b128 v[34:37], off, off offset:608
	v_fma_f64 v[44:45], v[44:45], v[189:190], v[201:202]
	v_add_f64 v[197:198], v[197:198], v[193:194]
	v_add_f64 v[195:196], v[199:200], v[195:196]
	ds_load_b128 v[191:194], v1 offset:1232
	v_fma_f64 v[189:190], v[42:43], v[189:190], -v[203:204]
	s_waitcnt vmcnt(8) lgkmcnt(1)
	v_mul_f64 v[199:200], v[2:3], v[40:41]
	v_mul_f64 v[209:210], v[4:5], v[40:41]
	scratch_load_b128 v[40:43], off, off offset:624
	s_waitcnt vmcnt(8) lgkmcnt(0)
	v_mul_f64 v[203:204], v[191:192], v[8:9]
	v_mul_f64 v[8:9], v[193:194], v[8:9]
	v_add_f64 v[197:198], v[197:198], v[207:208]
	v_add_f64 v[195:196], v[195:196], v[205:206]
	v_fma_f64 v[205:206], v[4:5], v[38:39], v[199:200]
	v_fma_f64 v[38:39], v[2:3], v[38:39], -v[209:210]
	ds_load_b128 v[2:5], v1 offset:1248
	ds_load_b128 v[199:202], v1 offset:1264
	v_fma_f64 v[193:194], v[193:194], v[6:7], v[203:204]
	v_fma_f64 v[191:192], v[191:192], v[6:7], -v[8:9]
	scratch_load_b128 v[6:9], off, off offset:656
	v_add_f64 v[189:190], v[197:198], v[189:190]
	v_add_f64 v[44:45], v[195:196], v[44:45]
	scratch_load_b128 v[195:198], off, off offset:640
	s_waitcnt vmcnt(9) lgkmcnt(1)
	v_mul_f64 v[207:208], v[2:3], v[12:13]
	v_mul_f64 v[12:13], v[4:5], v[12:13]
	s_waitcnt vmcnt(8) lgkmcnt(0)
	v_mul_f64 v[203:204], v[199:200], v[16:17]
	v_mul_f64 v[16:17], v[201:202], v[16:17]
	v_add_f64 v[38:39], v[189:190], v[38:39]
	v_add_f64 v[44:45], v[44:45], v[205:206]
	v_fma_f64 v[205:206], v[4:5], v[10:11], v[207:208]
	v_fma_f64 v[207:208], v[2:3], v[10:11], -v[12:13]
	ds_load_b128 v[2:5], v1 offset:1280
	scratch_load_b128 v[10:13], off, off offset:672
	v_fma_f64 v[201:202], v[201:202], v[14:15], v[203:204]
	v_fma_f64 v[199:200], v[199:200], v[14:15], -v[16:17]
	scratch_load_b128 v[14:17], off, off offset:688
	v_add_f64 v[38:39], v[38:39], v[191:192]
	v_add_f64 v[44:45], v[44:45], v[193:194]
	ds_load_b128 v[189:192], v1 offset:1296
	s_waitcnt vmcnt(9) lgkmcnt(1)
	v_mul_f64 v[193:194], v[2:3], v[20:21]
	v_mul_f64 v[20:21], v[4:5], v[20:21]
	s_waitcnt vmcnt(8) lgkmcnt(0)
	v_mul_f64 v[203:204], v[189:190], v[24:25]
	v_mul_f64 v[24:25], v[191:192], v[24:25]
	v_add_f64 v[38:39], v[38:39], v[207:208]
	v_add_f64 v[44:45], v[44:45], v[205:206]
	v_fma_f64 v[193:194], v[4:5], v[18:19], v[193:194]
	v_fma_f64 v[205:206], v[2:3], v[18:19], -v[20:21]
	ds_load_b128 v[2:5], v1 offset:1312
	scratch_load_b128 v[18:21], off, off offset:704
	v_fma_f64 v[191:192], v[191:192], v[22:23], v[203:204]
	v_fma_f64 v[189:190], v[189:190], v[22:23], -v[24:25]
	scratch_load_b128 v[22:25], off, off offset:720
	v_add_f64 v[38:39], v[38:39], v[199:200]
	v_add_f64 v[44:45], v[44:45], v[201:202]
	ds_load_b128 v[199:202], v1 offset:1328
	s_waitcnt vmcnt(9) lgkmcnt(1)
	v_mul_f64 v[207:208], v[2:3], v[28:29]
	v_mul_f64 v[28:29], v[4:5], v[28:29]
	v_add_f64 v[38:39], v[38:39], v[205:206]
	v_add_f64 v[44:45], v[44:45], v[193:194]
	s_waitcnt vmcnt(8) lgkmcnt(0)
	v_mul_f64 v[193:194], v[199:200], v[32:33]
	v_mul_f64 v[32:33], v[201:202], v[32:33]
	v_fma_f64 v[203:204], v[4:5], v[26:27], v[207:208]
	v_fma_f64 v[205:206], v[2:3], v[26:27], -v[28:29]
	ds_load_b128 v[2:5], v1 offset:1344
	ds_load_b128 v[26:29], v1 offset:1360
	v_add_f64 v[38:39], v[38:39], v[189:190]
	v_add_f64 v[44:45], v[44:45], v[191:192]
	s_waitcnt vmcnt(7) lgkmcnt(1)
	v_mul_f64 v[189:190], v[2:3], v[36:37]
	v_mul_f64 v[36:37], v[4:5], v[36:37]
	v_fma_f64 v[191:192], v[201:202], v[30:31], v[193:194]
	v_fma_f64 v[30:31], v[199:200], v[30:31], -v[32:33]
	v_add_f64 v[32:33], v[38:39], v[205:206]
	v_add_f64 v[38:39], v[44:45], v[203:204]
	s_waitcnt vmcnt(6) lgkmcnt(0)
	v_mul_f64 v[44:45], v[26:27], v[42:43]
	v_mul_f64 v[42:43], v[28:29], v[42:43]
	v_fma_f64 v[189:190], v[4:5], v[34:35], v[189:190]
	v_fma_f64 v[34:35], v[2:3], v[34:35], -v[36:37]
	v_add_f64 v[36:37], v[32:33], v[30:31]
	v_add_f64 v[38:39], v[38:39], v[191:192]
	ds_load_b128 v[2:5], v1 offset:1376
	ds_load_b128 v[30:33], v1 offset:1392
	v_fma_f64 v[28:29], v[28:29], v[40:41], v[44:45]
	v_fma_f64 v[26:27], v[26:27], v[40:41], -v[42:43]
	s_waitcnt vmcnt(4) lgkmcnt(1)
	v_mul_f64 v[191:192], v[2:3], v[197:198]
	v_mul_f64 v[193:194], v[4:5], v[197:198]
	v_add_f64 v[34:35], v[36:37], v[34:35]
	v_add_f64 v[36:37], v[38:39], v[189:190]
	s_waitcnt lgkmcnt(0)
	v_mul_f64 v[38:39], v[30:31], v[8:9]
	v_mul_f64 v[8:9], v[32:33], v[8:9]
	v_fma_f64 v[40:41], v[4:5], v[195:196], v[191:192]
	v_fma_f64 v[42:43], v[2:3], v[195:196], -v[193:194]
	v_add_f64 v[34:35], v[34:35], v[26:27]
	v_add_f64 v[36:37], v[36:37], v[28:29]
	ds_load_b128 v[2:5], v1 offset:1408
	ds_load_b128 v[26:29], v1 offset:1424
	v_fma_f64 v[32:33], v[32:33], v[6:7], v[38:39]
	v_fma_f64 v[6:7], v[30:31], v[6:7], -v[8:9]
	s_waitcnt vmcnt(3) lgkmcnt(1)
	v_mul_f64 v[44:45], v[2:3], v[12:13]
	v_mul_f64 v[12:13], v[4:5], v[12:13]
	v_add_f64 v[8:9], v[34:35], v[42:43]
	v_add_f64 v[30:31], v[36:37], v[40:41]
	s_waitcnt vmcnt(2) lgkmcnt(0)
	v_mul_f64 v[34:35], v[26:27], v[16:17]
	v_mul_f64 v[16:17], v[28:29], v[16:17]
	v_fma_f64 v[36:37], v[4:5], v[10:11], v[44:45]
	v_fma_f64 v[10:11], v[2:3], v[10:11], -v[12:13]
	v_add_f64 v[12:13], v[8:9], v[6:7]
	v_add_f64 v[30:31], v[30:31], v[32:33]
	ds_load_b128 v[2:5], v1 offset:1440
	ds_load_b128 v[6:9], v1 offset:1456
	v_fma_f64 v[28:29], v[28:29], v[14:15], v[34:35]
	v_fma_f64 v[14:15], v[26:27], v[14:15], -v[16:17]
	s_waitcnt vmcnt(1) lgkmcnt(1)
	v_mul_f64 v[32:33], v[2:3], v[20:21]
	v_mul_f64 v[20:21], v[4:5], v[20:21]
	s_waitcnt vmcnt(0) lgkmcnt(0)
	v_mul_f64 v[16:17], v[6:7], v[24:25]
	v_mul_f64 v[24:25], v[8:9], v[24:25]
	v_add_f64 v[10:11], v[12:13], v[10:11]
	v_add_f64 v[12:13], v[30:31], v[36:37]
	v_fma_f64 v[4:5], v[4:5], v[18:19], v[32:33]
	v_fma_f64 v[1:2], v[2:3], v[18:19], -v[20:21]
	v_fma_f64 v[8:9], v[8:9], v[22:23], v[16:17]
	v_fma_f64 v[6:7], v[6:7], v[22:23], -v[24:25]
	v_add_f64 v[10:11], v[10:11], v[14:15]
	v_add_f64 v[12:13], v[12:13], v[28:29]
	s_delay_alu instid0(VALU_DEP_2) | instskip(NEXT) | instid1(VALU_DEP_2)
	v_add_f64 v[1:2], v[10:11], v[1:2]
	v_add_f64 v[3:4], v[12:13], v[4:5]
	s_delay_alu instid0(VALU_DEP_2) | instskip(NEXT) | instid1(VALU_DEP_2)
	;; [unrolled: 3-line block ×3, first 2 shown]
	v_add_f64 v[1:2], v[185:186], -v[1:2]
	v_add_f64 v[3:4], v[187:188], -v[3:4]
	scratch_store_b128 off, v[1:4], off offset:304
	v_cmpx_lt_u32_e32 18, v138
	s_cbranch_execz .LBB45_253
; %bb.252:
	scratch_load_b128 v[1:4], v166, off
	v_mov_b32_e32 v5, 0
	s_delay_alu instid0(VALU_DEP_1)
	v_mov_b32_e32 v6, v5
	v_mov_b32_e32 v7, v5
	;; [unrolled: 1-line block ×3, first 2 shown]
	scratch_store_b128 off, v[5:8], off offset:288
	s_waitcnt vmcnt(0)
	ds_store_b128 v184, v[1:4]
.LBB45_253:
	s_or_b32 exec_lo, exec_lo, s2
	s_waitcnt lgkmcnt(0)
	s_waitcnt_vscnt null, 0x0
	s_barrier
	buffer_gl0_inv
	s_clause 0x7
	scratch_load_b128 v[2:5], off, off offset:304
	scratch_load_b128 v[6:9], off, off offset:320
	;; [unrolled: 1-line block ×8, first 2 shown]
	v_mov_b32_e32 v1, 0
	s_mov_b32 s2, exec_lo
	ds_load_b128 v[38:41], v1 offset:1040
	s_clause 0x1
	scratch_load_b128 v[34:37], off, off offset:432
	scratch_load_b128 v[42:45], off, off offset:288
	ds_load_b128 v[185:188], v1 offset:1056
	scratch_load_b128 v[189:192], off, off offset:448
	s_waitcnt vmcnt(10) lgkmcnt(1)
	v_mul_f64 v[193:194], v[40:41], v[4:5]
	v_mul_f64 v[4:5], v[38:39], v[4:5]
	s_delay_alu instid0(VALU_DEP_2) | instskip(NEXT) | instid1(VALU_DEP_2)
	v_fma_f64 v[199:200], v[38:39], v[2:3], -v[193:194]
	v_fma_f64 v[201:202], v[40:41], v[2:3], v[4:5]
	scratch_load_b128 v[38:41], off, off offset:464
	ds_load_b128 v[2:5], v1 offset:1072
	s_waitcnt vmcnt(10) lgkmcnt(1)
	v_mul_f64 v[197:198], v[185:186], v[8:9]
	v_mul_f64 v[8:9], v[187:188], v[8:9]
	ds_load_b128 v[193:196], v1 offset:1088
	s_waitcnt vmcnt(9) lgkmcnt(1)
	v_mul_f64 v[203:204], v[2:3], v[12:13]
	v_mul_f64 v[12:13], v[4:5], v[12:13]
	v_fma_f64 v[187:188], v[187:188], v[6:7], v[197:198]
	v_fma_f64 v[185:186], v[185:186], v[6:7], -v[8:9]
	v_add_f64 v[197:198], v[199:200], 0
	v_add_f64 v[199:200], v[201:202], 0
	scratch_load_b128 v[6:9], off, off offset:480
	v_fma_f64 v[203:204], v[4:5], v[10:11], v[203:204]
	v_fma_f64 v[205:206], v[2:3], v[10:11], -v[12:13]
	scratch_load_b128 v[10:13], off, off offset:496
	ds_load_b128 v[2:5], v1 offset:1104
	s_waitcnt vmcnt(10) lgkmcnt(1)
	v_mul_f64 v[201:202], v[193:194], v[16:17]
	v_mul_f64 v[16:17], v[195:196], v[16:17]
	v_add_f64 v[197:198], v[197:198], v[185:186]
	v_add_f64 v[199:200], v[199:200], v[187:188]
	s_waitcnt vmcnt(9) lgkmcnt(0)
	v_mul_f64 v[207:208], v[2:3], v[20:21]
	v_mul_f64 v[20:21], v[4:5], v[20:21]
	ds_load_b128 v[185:188], v1 offset:1120
	v_fma_f64 v[195:196], v[195:196], v[14:15], v[201:202]
	v_fma_f64 v[193:194], v[193:194], v[14:15], -v[16:17]
	scratch_load_b128 v[14:17], off, off offset:512
	v_add_f64 v[197:198], v[197:198], v[205:206]
	v_add_f64 v[199:200], v[199:200], v[203:204]
	v_fma_f64 v[203:204], v[4:5], v[18:19], v[207:208]
	v_fma_f64 v[205:206], v[2:3], v[18:19], -v[20:21]
	scratch_load_b128 v[18:21], off, off offset:528
	ds_load_b128 v[2:5], v1 offset:1136
	s_waitcnt vmcnt(10) lgkmcnt(1)
	v_mul_f64 v[201:202], v[185:186], v[24:25]
	v_mul_f64 v[24:25], v[187:188], v[24:25]
	s_waitcnt vmcnt(9) lgkmcnt(0)
	v_mul_f64 v[207:208], v[2:3], v[28:29]
	v_mul_f64 v[28:29], v[4:5], v[28:29]
	v_add_f64 v[197:198], v[197:198], v[193:194]
	v_add_f64 v[199:200], v[199:200], v[195:196]
	ds_load_b128 v[193:196], v1 offset:1152
	v_fma_f64 v[187:188], v[187:188], v[22:23], v[201:202]
	v_fma_f64 v[185:186], v[185:186], v[22:23], -v[24:25]
	scratch_load_b128 v[22:25], off, off offset:544
	v_add_f64 v[197:198], v[197:198], v[205:206]
	v_add_f64 v[199:200], v[199:200], v[203:204]
	v_fma_f64 v[203:204], v[4:5], v[26:27], v[207:208]
	v_fma_f64 v[205:206], v[2:3], v[26:27], -v[28:29]
	scratch_load_b128 v[26:29], off, off offset:560
	ds_load_b128 v[2:5], v1 offset:1168
	s_waitcnt vmcnt(10) lgkmcnt(1)
	v_mul_f64 v[201:202], v[193:194], v[32:33]
	v_mul_f64 v[32:33], v[195:196], v[32:33]
	s_waitcnt vmcnt(9) lgkmcnt(0)
	v_mul_f64 v[207:208], v[2:3], v[36:37]
	v_mul_f64 v[36:37], v[4:5], v[36:37]
	v_add_f64 v[197:198], v[197:198], v[185:186]
	v_add_f64 v[199:200], v[199:200], v[187:188]
	ds_load_b128 v[185:188], v1 offset:1184
	v_fma_f64 v[195:196], v[195:196], v[30:31], v[201:202]
	v_fma_f64 v[193:194], v[193:194], v[30:31], -v[32:33]
	scratch_load_b128 v[30:33], off, off offset:576
	v_add_f64 v[197:198], v[197:198], v[205:206]
	v_add_f64 v[199:200], v[199:200], v[203:204]
	v_fma_f64 v[205:206], v[4:5], v[34:35], v[207:208]
	v_fma_f64 v[207:208], v[2:3], v[34:35], -v[36:37]
	scratch_load_b128 v[34:37], off, off offset:592
	ds_load_b128 v[2:5], v1 offset:1200
	s_waitcnt vmcnt(9) lgkmcnt(1)
	v_mul_f64 v[201:202], v[185:186], v[191:192]
	v_mul_f64 v[203:204], v[187:188], v[191:192]
	v_add_f64 v[197:198], v[197:198], v[193:194]
	v_add_f64 v[195:196], v[199:200], v[195:196]
	ds_load_b128 v[191:194], v1 offset:1216
	v_fma_f64 v[201:202], v[187:188], v[189:190], v[201:202]
	v_fma_f64 v[189:190], v[185:186], v[189:190], -v[203:204]
	scratch_load_b128 v[185:188], off, off offset:608
	s_waitcnt vmcnt(9) lgkmcnt(1)
	v_mul_f64 v[199:200], v[2:3], v[40:41]
	v_mul_f64 v[40:41], v[4:5], v[40:41]
	v_add_f64 v[197:198], v[197:198], v[207:208]
	v_add_f64 v[195:196], v[195:196], v[205:206]
	s_delay_alu instid0(VALU_DEP_4) | instskip(NEXT) | instid1(VALU_DEP_4)
	v_fma_f64 v[199:200], v[4:5], v[38:39], v[199:200]
	v_fma_f64 v[205:206], v[2:3], v[38:39], -v[40:41]
	scratch_load_b128 v[38:41], off, off offset:624
	ds_load_b128 v[2:5], v1 offset:1232
	s_waitcnt vmcnt(9) lgkmcnt(1)
	v_mul_f64 v[203:204], v[191:192], v[8:9]
	v_mul_f64 v[8:9], v[193:194], v[8:9]
	s_waitcnt vmcnt(8) lgkmcnt(0)
	v_mul_f64 v[207:208], v[2:3], v[12:13]
	v_mul_f64 v[12:13], v[4:5], v[12:13]
	v_add_f64 v[189:190], v[197:198], v[189:190]
	v_add_f64 v[201:202], v[195:196], v[201:202]
	ds_load_b128 v[195:198], v1 offset:1248
	v_fma_f64 v[193:194], v[193:194], v[6:7], v[203:204]
	v_fma_f64 v[191:192], v[191:192], v[6:7], -v[8:9]
	scratch_load_b128 v[6:9], off, off offset:640
	v_fma_f64 v[203:204], v[4:5], v[10:11], v[207:208]
	v_add_f64 v[189:190], v[189:190], v[205:206]
	v_add_f64 v[199:200], v[201:202], v[199:200]
	v_fma_f64 v[205:206], v[2:3], v[10:11], -v[12:13]
	scratch_load_b128 v[10:13], off, off offset:656
	ds_load_b128 v[2:5], v1 offset:1264
	s_waitcnt vmcnt(9) lgkmcnt(1)
	v_mul_f64 v[201:202], v[195:196], v[16:17]
	v_mul_f64 v[16:17], v[197:198], v[16:17]
	v_add_f64 v[207:208], v[189:190], v[191:192]
	v_add_f64 v[193:194], v[199:200], v[193:194]
	s_waitcnt vmcnt(8) lgkmcnt(0)
	v_mul_f64 v[199:200], v[2:3], v[20:21]
	v_mul_f64 v[20:21], v[4:5], v[20:21]
	ds_load_b128 v[189:192], v1 offset:1280
	v_fma_f64 v[197:198], v[197:198], v[14:15], v[201:202]
	v_fma_f64 v[195:196], v[195:196], v[14:15], -v[16:17]
	scratch_load_b128 v[14:17], off, off offset:672
	v_add_f64 v[201:202], v[207:208], v[205:206]
	v_add_f64 v[193:194], v[193:194], v[203:204]
	v_fma_f64 v[199:200], v[4:5], v[18:19], v[199:200]
	v_fma_f64 v[205:206], v[2:3], v[18:19], -v[20:21]
	scratch_load_b128 v[18:21], off, off offset:688
	ds_load_b128 v[2:5], v1 offset:1296
	s_waitcnt vmcnt(9) lgkmcnt(1)
	v_mul_f64 v[203:204], v[189:190], v[24:25]
	v_mul_f64 v[24:25], v[191:192], v[24:25]
	s_waitcnt vmcnt(8) lgkmcnt(0)
	v_mul_f64 v[207:208], v[2:3], v[28:29]
	v_mul_f64 v[28:29], v[4:5], v[28:29]
	v_add_f64 v[201:202], v[201:202], v[195:196]
	v_add_f64 v[197:198], v[193:194], v[197:198]
	ds_load_b128 v[193:196], v1 offset:1312
	v_fma_f64 v[191:192], v[191:192], v[22:23], v[203:204]
	v_fma_f64 v[189:190], v[189:190], v[22:23], -v[24:25]
	scratch_load_b128 v[22:25], off, off offset:704
	v_fma_f64 v[203:204], v[4:5], v[26:27], v[207:208]
	v_add_f64 v[201:202], v[201:202], v[205:206]
	v_add_f64 v[197:198], v[197:198], v[199:200]
	v_fma_f64 v[205:206], v[2:3], v[26:27], -v[28:29]
	scratch_load_b128 v[26:29], off, off offset:720
	ds_load_b128 v[2:5], v1 offset:1328
	s_waitcnt vmcnt(9) lgkmcnt(1)
	v_mul_f64 v[199:200], v[193:194], v[32:33]
	v_mul_f64 v[32:33], v[195:196], v[32:33]
	s_waitcnt vmcnt(8) lgkmcnt(0)
	v_mul_f64 v[207:208], v[2:3], v[36:37]
	v_mul_f64 v[36:37], v[4:5], v[36:37]
	v_add_f64 v[201:202], v[201:202], v[189:190]
	v_add_f64 v[197:198], v[197:198], v[191:192]
	ds_load_b128 v[189:192], v1 offset:1344
	v_fma_f64 v[195:196], v[195:196], v[30:31], v[199:200]
	v_fma_f64 v[30:31], v[193:194], v[30:31], -v[32:33]
	v_fma_f64 v[199:200], v[4:5], v[34:35], v[207:208]
	v_fma_f64 v[34:35], v[2:3], v[34:35], -v[36:37]
	v_add_f64 v[32:33], v[201:202], v[205:206]
	v_add_f64 v[193:194], v[197:198], v[203:204]
	s_waitcnt vmcnt(7) lgkmcnt(0)
	v_mul_f64 v[197:198], v[189:190], v[187:188]
	v_mul_f64 v[187:188], v[191:192], v[187:188]
	s_delay_alu instid0(VALU_DEP_4) | instskip(NEXT) | instid1(VALU_DEP_4)
	v_add_f64 v[36:37], v[32:33], v[30:31]
	v_add_f64 v[193:194], v[193:194], v[195:196]
	ds_load_b128 v[2:5], v1 offset:1360
	ds_load_b128 v[30:33], v1 offset:1376
	v_fma_f64 v[191:192], v[191:192], v[185:186], v[197:198]
	v_fma_f64 v[185:186], v[189:190], v[185:186], -v[187:188]
	s_waitcnt vmcnt(6) lgkmcnt(1)
	v_mul_f64 v[195:196], v[2:3], v[40:41]
	v_mul_f64 v[40:41], v[4:5], v[40:41]
	s_waitcnt vmcnt(5) lgkmcnt(0)
	v_mul_f64 v[187:188], v[30:31], v[8:9]
	v_mul_f64 v[8:9], v[32:33], v[8:9]
	v_add_f64 v[34:35], v[36:37], v[34:35]
	v_add_f64 v[36:37], v[193:194], v[199:200]
	v_fma_f64 v[189:190], v[4:5], v[38:39], v[195:196]
	v_fma_f64 v[38:39], v[2:3], v[38:39], -v[40:41]
	v_fma_f64 v[32:33], v[32:33], v[6:7], v[187:188]
	v_fma_f64 v[6:7], v[30:31], v[6:7], -v[8:9]
	v_add_f64 v[40:41], v[34:35], v[185:186]
	v_add_f64 v[185:186], v[36:37], v[191:192]
	ds_load_b128 v[2:5], v1 offset:1392
	ds_load_b128 v[34:37], v1 offset:1408
	s_waitcnt vmcnt(4) lgkmcnt(1)
	v_mul_f64 v[191:192], v[2:3], v[12:13]
	v_mul_f64 v[12:13], v[4:5], v[12:13]
	v_add_f64 v[8:9], v[40:41], v[38:39]
	v_add_f64 v[30:31], v[185:186], v[189:190]
	s_waitcnt vmcnt(3) lgkmcnt(0)
	v_mul_f64 v[38:39], v[34:35], v[16:17]
	v_mul_f64 v[16:17], v[36:37], v[16:17]
	v_fma_f64 v[40:41], v[4:5], v[10:11], v[191:192]
	v_fma_f64 v[10:11], v[2:3], v[10:11], -v[12:13]
	v_add_f64 v[12:13], v[8:9], v[6:7]
	v_add_f64 v[30:31], v[30:31], v[32:33]
	ds_load_b128 v[2:5], v1 offset:1424
	ds_load_b128 v[6:9], v1 offset:1440
	v_fma_f64 v[36:37], v[36:37], v[14:15], v[38:39]
	v_fma_f64 v[14:15], v[34:35], v[14:15], -v[16:17]
	s_waitcnt vmcnt(2) lgkmcnt(1)
	v_mul_f64 v[32:33], v[2:3], v[20:21]
	v_mul_f64 v[20:21], v[4:5], v[20:21]
	s_waitcnt vmcnt(1) lgkmcnt(0)
	v_mul_f64 v[16:17], v[6:7], v[24:25]
	v_mul_f64 v[24:25], v[8:9], v[24:25]
	v_add_f64 v[10:11], v[12:13], v[10:11]
	v_add_f64 v[12:13], v[30:31], v[40:41]
	v_fma_f64 v[30:31], v[4:5], v[18:19], v[32:33]
	v_fma_f64 v[18:19], v[2:3], v[18:19], -v[20:21]
	ds_load_b128 v[2:5], v1 offset:1456
	v_fma_f64 v[8:9], v[8:9], v[22:23], v[16:17]
	v_fma_f64 v[6:7], v[6:7], v[22:23], -v[24:25]
	v_add_f64 v[10:11], v[10:11], v[14:15]
	v_add_f64 v[12:13], v[12:13], v[36:37]
	s_waitcnt vmcnt(0) lgkmcnt(0)
	v_mul_f64 v[14:15], v[2:3], v[28:29]
	v_mul_f64 v[20:21], v[4:5], v[28:29]
	s_delay_alu instid0(VALU_DEP_4) | instskip(NEXT) | instid1(VALU_DEP_4)
	v_add_f64 v[10:11], v[10:11], v[18:19]
	v_add_f64 v[12:13], v[12:13], v[30:31]
	s_delay_alu instid0(VALU_DEP_4) | instskip(NEXT) | instid1(VALU_DEP_4)
	v_fma_f64 v[4:5], v[4:5], v[26:27], v[14:15]
	v_fma_f64 v[2:3], v[2:3], v[26:27], -v[20:21]
	s_delay_alu instid0(VALU_DEP_4) | instskip(NEXT) | instid1(VALU_DEP_4)
	v_add_f64 v[6:7], v[10:11], v[6:7]
	v_add_f64 v[8:9], v[12:13], v[8:9]
	s_delay_alu instid0(VALU_DEP_2) | instskip(NEXT) | instid1(VALU_DEP_2)
	v_add_f64 v[2:3], v[6:7], v[2:3]
	v_add_f64 v[4:5], v[8:9], v[4:5]
	s_delay_alu instid0(VALU_DEP_2) | instskip(NEXT) | instid1(VALU_DEP_2)
	v_add_f64 v[2:3], v[42:43], -v[2:3]
	v_add_f64 v[4:5], v[44:45], -v[4:5]
	scratch_store_b128 off, v[2:5], off offset:288
	v_cmpx_lt_u32_e32 17, v138
	s_cbranch_execz .LBB45_255
; %bb.254:
	scratch_load_b128 v[5:8], v167, off
	v_mov_b32_e32 v2, v1
	v_mov_b32_e32 v3, v1
	;; [unrolled: 1-line block ×3, first 2 shown]
	scratch_store_b128 off, v[1:4], off offset:272
	s_waitcnt vmcnt(0)
	ds_store_b128 v184, v[5:8]
.LBB45_255:
	s_or_b32 exec_lo, exec_lo, s2
	s_waitcnt lgkmcnt(0)
	s_waitcnt_vscnt null, 0x0
	s_barrier
	buffer_gl0_inv
	s_clause 0x8
	scratch_load_b128 v[2:5], off, off offset:288
	scratch_load_b128 v[6:9], off, off offset:304
	scratch_load_b128 v[10:13], off, off offset:320
	scratch_load_b128 v[14:17], off, off offset:336
	scratch_load_b128 v[18:21], off, off offset:352
	scratch_load_b128 v[22:25], off, off offset:368
	scratch_load_b128 v[26:29], off, off offset:384
	scratch_load_b128 v[30:33], off, off offset:400
	scratch_load_b128 v[34:37], off, off offset:416
	ds_load_b128 v[42:45], v1 offset:1024
	ds_load_b128 v[38:41], v1 offset:1040
	s_clause 0x1
	scratch_load_b128 v[185:188], off, off offset:272
	scratch_load_b128 v[189:192], off, off offset:432
	s_mov_b32 s2, exec_lo
	s_waitcnt vmcnt(10) lgkmcnt(1)
	v_mul_f64 v[193:194], v[44:45], v[4:5]
	v_mul_f64 v[4:5], v[42:43], v[4:5]
	s_waitcnt vmcnt(9) lgkmcnt(0)
	v_mul_f64 v[197:198], v[38:39], v[8:9]
	v_mul_f64 v[8:9], v[40:41], v[8:9]
	s_delay_alu instid0(VALU_DEP_4) | instskip(NEXT) | instid1(VALU_DEP_4)
	v_fma_f64 v[199:200], v[42:43], v[2:3], -v[193:194]
	v_fma_f64 v[201:202], v[44:45], v[2:3], v[4:5]
	ds_load_b128 v[2:5], v1 offset:1056
	ds_load_b128 v[193:196], v1 offset:1072
	scratch_load_b128 v[42:45], off, off offset:448
	v_fma_f64 v[40:41], v[40:41], v[6:7], v[197:198]
	v_fma_f64 v[38:39], v[38:39], v[6:7], -v[8:9]
	scratch_load_b128 v[6:9], off, off offset:464
	s_waitcnt vmcnt(10) lgkmcnt(1)
	v_mul_f64 v[203:204], v[2:3], v[12:13]
	v_mul_f64 v[12:13], v[4:5], v[12:13]
	v_add_f64 v[197:198], v[199:200], 0
	v_add_f64 v[199:200], v[201:202], 0
	s_waitcnt vmcnt(9) lgkmcnt(0)
	v_mul_f64 v[201:202], v[193:194], v[16:17]
	v_mul_f64 v[16:17], v[195:196], v[16:17]
	v_fma_f64 v[203:204], v[4:5], v[10:11], v[203:204]
	v_fma_f64 v[205:206], v[2:3], v[10:11], -v[12:13]
	ds_load_b128 v[2:5], v1 offset:1088
	scratch_load_b128 v[10:13], off, off offset:480
	v_add_f64 v[197:198], v[197:198], v[38:39]
	v_add_f64 v[199:200], v[199:200], v[40:41]
	ds_load_b128 v[38:41], v1 offset:1104
	v_fma_f64 v[195:196], v[195:196], v[14:15], v[201:202]
	v_fma_f64 v[193:194], v[193:194], v[14:15], -v[16:17]
	scratch_load_b128 v[14:17], off, off offset:496
	s_waitcnt vmcnt(10) lgkmcnt(1)
	v_mul_f64 v[207:208], v[2:3], v[20:21]
	v_mul_f64 v[20:21], v[4:5], v[20:21]
	s_waitcnt vmcnt(9) lgkmcnt(0)
	v_mul_f64 v[201:202], v[38:39], v[24:25]
	v_mul_f64 v[24:25], v[40:41], v[24:25]
	v_add_f64 v[197:198], v[197:198], v[205:206]
	v_add_f64 v[199:200], v[199:200], v[203:204]
	v_fma_f64 v[203:204], v[4:5], v[18:19], v[207:208]
	v_fma_f64 v[205:206], v[2:3], v[18:19], -v[20:21]
	ds_load_b128 v[2:5], v1 offset:1120
	scratch_load_b128 v[18:21], off, off offset:512
	v_fma_f64 v[40:41], v[40:41], v[22:23], v[201:202]
	v_fma_f64 v[38:39], v[38:39], v[22:23], -v[24:25]
	scratch_load_b128 v[22:25], off, off offset:528
	v_add_f64 v[197:198], v[197:198], v[193:194]
	v_add_f64 v[199:200], v[199:200], v[195:196]
	ds_load_b128 v[193:196], v1 offset:1136
	s_waitcnt vmcnt(10) lgkmcnt(1)
	v_mul_f64 v[207:208], v[2:3], v[28:29]
	v_mul_f64 v[28:29], v[4:5], v[28:29]
	s_waitcnt vmcnt(9) lgkmcnt(0)
	v_mul_f64 v[201:202], v[193:194], v[32:33]
	v_mul_f64 v[32:33], v[195:196], v[32:33]
	v_add_f64 v[197:198], v[197:198], v[205:206]
	v_add_f64 v[199:200], v[199:200], v[203:204]
	v_fma_f64 v[203:204], v[4:5], v[26:27], v[207:208]
	v_fma_f64 v[205:206], v[2:3], v[26:27], -v[28:29]
	ds_load_b128 v[2:5], v1 offset:1152
	scratch_load_b128 v[26:29], off, off offset:544
	v_fma_f64 v[195:196], v[195:196], v[30:31], v[201:202]
	v_fma_f64 v[193:194], v[193:194], v[30:31], -v[32:33]
	scratch_load_b128 v[30:33], off, off offset:560
	v_add_f64 v[197:198], v[197:198], v[38:39]
	v_add_f64 v[199:200], v[199:200], v[40:41]
	ds_load_b128 v[38:41], v1 offset:1168
	s_waitcnt vmcnt(10) lgkmcnt(1)
	v_mul_f64 v[207:208], v[2:3], v[36:37]
	v_mul_f64 v[36:37], v[4:5], v[36:37]
	s_waitcnt vmcnt(8) lgkmcnt(0)
	v_mul_f64 v[201:202], v[38:39], v[191:192]
	v_add_f64 v[197:198], v[197:198], v[205:206]
	v_add_f64 v[199:200], v[199:200], v[203:204]
	v_mul_f64 v[203:204], v[40:41], v[191:192]
	v_fma_f64 v[205:206], v[4:5], v[34:35], v[207:208]
	v_fma_f64 v[207:208], v[2:3], v[34:35], -v[36:37]
	ds_load_b128 v[2:5], v1 offset:1184
	scratch_load_b128 v[34:37], off, off offset:576
	v_fma_f64 v[201:202], v[40:41], v[189:190], v[201:202]
	v_add_f64 v[197:198], v[197:198], v[193:194]
	v_add_f64 v[195:196], v[199:200], v[195:196]
	ds_load_b128 v[191:194], v1 offset:1200
	v_fma_f64 v[189:190], v[38:39], v[189:190], -v[203:204]
	scratch_load_b128 v[38:41], off, off offset:592
	s_waitcnt vmcnt(9) lgkmcnt(1)
	v_mul_f64 v[199:200], v[2:3], v[44:45]
	v_mul_f64 v[44:45], v[4:5], v[44:45]
	s_waitcnt vmcnt(8) lgkmcnt(0)
	v_mul_f64 v[203:204], v[191:192], v[8:9]
	v_mul_f64 v[8:9], v[193:194], v[8:9]
	v_add_f64 v[197:198], v[197:198], v[207:208]
	v_add_f64 v[195:196], v[195:196], v[205:206]
	v_fma_f64 v[199:200], v[4:5], v[42:43], v[199:200]
	v_fma_f64 v[205:206], v[2:3], v[42:43], -v[44:45]
	ds_load_b128 v[2:5], v1 offset:1216
	scratch_load_b128 v[42:45], off, off offset:608
	v_fma_f64 v[193:194], v[193:194], v[6:7], v[203:204]
	v_fma_f64 v[191:192], v[191:192], v[6:7], -v[8:9]
	scratch_load_b128 v[6:9], off, off offset:624
	v_add_f64 v[189:190], v[197:198], v[189:190]
	v_add_f64 v[201:202], v[195:196], v[201:202]
	ds_load_b128 v[195:198], v1 offset:1232
	s_waitcnt vmcnt(9) lgkmcnt(1)
	v_mul_f64 v[207:208], v[2:3], v[12:13]
	v_mul_f64 v[12:13], v[4:5], v[12:13]
	v_add_f64 v[189:190], v[189:190], v[205:206]
	v_add_f64 v[199:200], v[201:202], v[199:200]
	s_waitcnt vmcnt(8) lgkmcnt(0)
	v_mul_f64 v[201:202], v[195:196], v[16:17]
	v_mul_f64 v[16:17], v[197:198], v[16:17]
	v_fma_f64 v[203:204], v[4:5], v[10:11], v[207:208]
	v_fma_f64 v[205:206], v[2:3], v[10:11], -v[12:13]
	ds_load_b128 v[2:5], v1 offset:1248
	scratch_load_b128 v[10:13], off, off offset:640
	v_add_f64 v[207:208], v[189:190], v[191:192]
	v_add_f64 v[193:194], v[199:200], v[193:194]
	ds_load_b128 v[189:192], v1 offset:1264
	s_waitcnt vmcnt(8) lgkmcnt(1)
	v_mul_f64 v[199:200], v[2:3], v[20:21]
	v_mul_f64 v[20:21], v[4:5], v[20:21]
	v_fma_f64 v[197:198], v[197:198], v[14:15], v[201:202]
	v_fma_f64 v[195:196], v[195:196], v[14:15], -v[16:17]
	scratch_load_b128 v[14:17], off, off offset:656
	v_add_f64 v[201:202], v[207:208], v[205:206]
	v_add_f64 v[193:194], v[193:194], v[203:204]
	s_waitcnt vmcnt(8) lgkmcnt(0)
	v_mul_f64 v[203:204], v[189:190], v[24:25]
	v_mul_f64 v[24:25], v[191:192], v[24:25]
	v_fma_f64 v[199:200], v[4:5], v[18:19], v[199:200]
	v_fma_f64 v[205:206], v[2:3], v[18:19], -v[20:21]
	ds_load_b128 v[2:5], v1 offset:1280
	scratch_load_b128 v[18:21], off, off offset:672
	v_add_f64 v[201:202], v[201:202], v[195:196]
	v_add_f64 v[197:198], v[193:194], v[197:198]
	ds_load_b128 v[193:196], v1 offset:1296
	s_waitcnt vmcnt(8) lgkmcnt(1)
	v_mul_f64 v[207:208], v[2:3], v[28:29]
	v_mul_f64 v[28:29], v[4:5], v[28:29]
	v_fma_f64 v[191:192], v[191:192], v[22:23], v[203:204]
	v_fma_f64 v[189:190], v[189:190], v[22:23], -v[24:25]
	scratch_load_b128 v[22:25], off, off offset:688
	;; [unrolled: 18-line block ×3, first 2 shown]
	v_add_f64 v[199:200], v[201:202], v[205:206]
	v_add_f64 v[197:198], v[197:198], v[203:204]
	s_waitcnt vmcnt(8) lgkmcnt(0)
	v_mul_f64 v[201:202], v[189:190], v[40:41]
	v_mul_f64 v[40:41], v[191:192], v[40:41]
	v_fma_f64 v[203:204], v[4:5], v[34:35], v[207:208]
	v_fma_f64 v[205:206], v[2:3], v[34:35], -v[36:37]
	ds_load_b128 v[2:5], v1 offset:1344
	ds_load_b128 v[34:37], v1 offset:1360
	v_add_f64 v[193:194], v[199:200], v[193:194]
	v_add_f64 v[195:196], v[197:198], v[195:196]
	s_waitcnt vmcnt(7) lgkmcnt(1)
	v_mul_f64 v[197:198], v[2:3], v[44:45]
	v_mul_f64 v[44:45], v[4:5], v[44:45]
	v_fma_f64 v[191:192], v[191:192], v[38:39], v[201:202]
	v_fma_f64 v[38:39], v[189:190], v[38:39], -v[40:41]
	v_add_f64 v[40:41], v[193:194], v[205:206]
	v_add_f64 v[189:190], v[195:196], v[203:204]
	s_waitcnt vmcnt(6) lgkmcnt(0)
	v_mul_f64 v[193:194], v[34:35], v[8:9]
	v_mul_f64 v[8:9], v[36:37], v[8:9]
	v_fma_f64 v[195:196], v[4:5], v[42:43], v[197:198]
	v_fma_f64 v[42:43], v[2:3], v[42:43], -v[44:45]
	v_add_f64 v[44:45], v[40:41], v[38:39]
	v_add_f64 v[189:190], v[189:190], v[191:192]
	ds_load_b128 v[2:5], v1 offset:1376
	ds_load_b128 v[38:41], v1 offset:1392
	v_fma_f64 v[36:37], v[36:37], v[6:7], v[193:194]
	v_fma_f64 v[6:7], v[34:35], v[6:7], -v[8:9]
	s_waitcnt vmcnt(5) lgkmcnt(1)
	v_mul_f64 v[191:192], v[2:3], v[12:13]
	v_mul_f64 v[12:13], v[4:5], v[12:13]
	v_add_f64 v[8:9], v[44:45], v[42:43]
	v_add_f64 v[34:35], v[189:190], v[195:196]
	s_waitcnt vmcnt(4) lgkmcnt(0)
	v_mul_f64 v[42:43], v[38:39], v[16:17]
	v_mul_f64 v[16:17], v[40:41], v[16:17]
	v_fma_f64 v[44:45], v[4:5], v[10:11], v[191:192]
	v_fma_f64 v[10:11], v[2:3], v[10:11], -v[12:13]
	v_add_f64 v[12:13], v[8:9], v[6:7]
	v_add_f64 v[34:35], v[34:35], v[36:37]
	ds_load_b128 v[2:5], v1 offset:1408
	ds_load_b128 v[6:9], v1 offset:1424
	v_fma_f64 v[40:41], v[40:41], v[14:15], v[42:43]
	v_fma_f64 v[14:15], v[38:39], v[14:15], -v[16:17]
	s_waitcnt vmcnt(3) lgkmcnt(1)
	v_mul_f64 v[36:37], v[2:3], v[20:21]
	v_mul_f64 v[20:21], v[4:5], v[20:21]
	s_waitcnt vmcnt(2) lgkmcnt(0)
	v_mul_f64 v[16:17], v[6:7], v[24:25]
	v_mul_f64 v[24:25], v[8:9], v[24:25]
	v_add_f64 v[10:11], v[12:13], v[10:11]
	v_add_f64 v[12:13], v[34:35], v[44:45]
	v_fma_f64 v[34:35], v[4:5], v[18:19], v[36:37]
	v_fma_f64 v[18:19], v[2:3], v[18:19], -v[20:21]
	v_fma_f64 v[8:9], v[8:9], v[22:23], v[16:17]
	v_fma_f64 v[6:7], v[6:7], v[22:23], -v[24:25]
	v_add_f64 v[14:15], v[10:11], v[14:15]
	v_add_f64 v[20:21], v[12:13], v[40:41]
	ds_load_b128 v[2:5], v1 offset:1440
	ds_load_b128 v[10:13], v1 offset:1456
	s_waitcnt vmcnt(1) lgkmcnt(1)
	v_mul_f64 v[36:37], v[2:3], v[28:29]
	v_mul_f64 v[28:29], v[4:5], v[28:29]
	v_add_f64 v[14:15], v[14:15], v[18:19]
	v_add_f64 v[16:17], v[20:21], v[34:35]
	s_waitcnt vmcnt(0) lgkmcnt(0)
	v_mul_f64 v[18:19], v[10:11], v[32:33]
	v_mul_f64 v[20:21], v[12:13], v[32:33]
	v_fma_f64 v[4:5], v[4:5], v[26:27], v[36:37]
	v_fma_f64 v[1:2], v[2:3], v[26:27], -v[28:29]
	v_add_f64 v[6:7], v[14:15], v[6:7]
	v_add_f64 v[8:9], v[16:17], v[8:9]
	v_fma_f64 v[12:13], v[12:13], v[30:31], v[18:19]
	v_fma_f64 v[10:11], v[10:11], v[30:31], -v[20:21]
	s_delay_alu instid0(VALU_DEP_4) | instskip(NEXT) | instid1(VALU_DEP_4)
	v_add_f64 v[1:2], v[6:7], v[1:2]
	v_add_f64 v[3:4], v[8:9], v[4:5]
	s_delay_alu instid0(VALU_DEP_2) | instskip(NEXT) | instid1(VALU_DEP_2)
	v_add_f64 v[1:2], v[1:2], v[10:11]
	v_add_f64 v[3:4], v[3:4], v[12:13]
	s_delay_alu instid0(VALU_DEP_2) | instskip(NEXT) | instid1(VALU_DEP_2)
	v_add_f64 v[1:2], v[185:186], -v[1:2]
	v_add_f64 v[3:4], v[187:188], -v[3:4]
	scratch_store_b128 off, v[1:4], off offset:272
	v_cmpx_lt_u32_e32 16, v138
	s_cbranch_execz .LBB45_257
; %bb.256:
	scratch_load_b128 v[1:4], v168, off
	v_mov_b32_e32 v5, 0
	s_delay_alu instid0(VALU_DEP_1)
	v_mov_b32_e32 v6, v5
	v_mov_b32_e32 v7, v5
	;; [unrolled: 1-line block ×3, first 2 shown]
	scratch_store_b128 off, v[5:8], off offset:256
	s_waitcnt vmcnt(0)
	ds_store_b128 v184, v[1:4]
.LBB45_257:
	s_or_b32 exec_lo, exec_lo, s2
	s_waitcnt lgkmcnt(0)
	s_waitcnt_vscnt null, 0x0
	s_barrier
	buffer_gl0_inv
	s_clause 0x7
	scratch_load_b128 v[2:5], off, off offset:272
	scratch_load_b128 v[6:9], off, off offset:288
	;; [unrolled: 1-line block ×8, first 2 shown]
	v_mov_b32_e32 v1, 0
	s_mov_b32 s2, exec_lo
	ds_load_b128 v[38:41], v1 offset:1008
	s_clause 0x1
	scratch_load_b128 v[34:37], off, off offset:400
	scratch_load_b128 v[42:45], off, off offset:256
	ds_load_b128 v[185:188], v1 offset:1024
	scratch_load_b128 v[189:192], off, off offset:416
	s_waitcnt vmcnt(10) lgkmcnt(1)
	v_mul_f64 v[193:194], v[40:41], v[4:5]
	v_mul_f64 v[4:5], v[38:39], v[4:5]
	s_delay_alu instid0(VALU_DEP_2) | instskip(NEXT) | instid1(VALU_DEP_2)
	v_fma_f64 v[199:200], v[38:39], v[2:3], -v[193:194]
	v_fma_f64 v[201:202], v[40:41], v[2:3], v[4:5]
	scratch_load_b128 v[38:41], off, off offset:432
	ds_load_b128 v[2:5], v1 offset:1040
	s_waitcnt vmcnt(10) lgkmcnt(1)
	v_mul_f64 v[197:198], v[185:186], v[8:9]
	v_mul_f64 v[8:9], v[187:188], v[8:9]
	ds_load_b128 v[193:196], v1 offset:1056
	s_waitcnt vmcnt(9) lgkmcnt(1)
	v_mul_f64 v[203:204], v[2:3], v[12:13]
	v_mul_f64 v[12:13], v[4:5], v[12:13]
	v_fma_f64 v[187:188], v[187:188], v[6:7], v[197:198]
	v_fma_f64 v[185:186], v[185:186], v[6:7], -v[8:9]
	v_add_f64 v[197:198], v[199:200], 0
	v_add_f64 v[199:200], v[201:202], 0
	scratch_load_b128 v[6:9], off, off offset:448
	v_fma_f64 v[203:204], v[4:5], v[10:11], v[203:204]
	v_fma_f64 v[205:206], v[2:3], v[10:11], -v[12:13]
	scratch_load_b128 v[10:13], off, off offset:464
	ds_load_b128 v[2:5], v1 offset:1072
	s_waitcnt vmcnt(10) lgkmcnt(1)
	v_mul_f64 v[201:202], v[193:194], v[16:17]
	v_mul_f64 v[16:17], v[195:196], v[16:17]
	v_add_f64 v[197:198], v[197:198], v[185:186]
	v_add_f64 v[199:200], v[199:200], v[187:188]
	s_waitcnt vmcnt(9) lgkmcnt(0)
	v_mul_f64 v[207:208], v[2:3], v[20:21]
	v_mul_f64 v[20:21], v[4:5], v[20:21]
	ds_load_b128 v[185:188], v1 offset:1088
	v_fma_f64 v[195:196], v[195:196], v[14:15], v[201:202]
	v_fma_f64 v[193:194], v[193:194], v[14:15], -v[16:17]
	scratch_load_b128 v[14:17], off, off offset:480
	v_add_f64 v[197:198], v[197:198], v[205:206]
	v_add_f64 v[199:200], v[199:200], v[203:204]
	v_fma_f64 v[203:204], v[4:5], v[18:19], v[207:208]
	v_fma_f64 v[205:206], v[2:3], v[18:19], -v[20:21]
	scratch_load_b128 v[18:21], off, off offset:496
	ds_load_b128 v[2:5], v1 offset:1104
	s_waitcnt vmcnt(10) lgkmcnt(1)
	v_mul_f64 v[201:202], v[185:186], v[24:25]
	v_mul_f64 v[24:25], v[187:188], v[24:25]
	s_waitcnt vmcnt(9) lgkmcnt(0)
	v_mul_f64 v[207:208], v[2:3], v[28:29]
	v_mul_f64 v[28:29], v[4:5], v[28:29]
	v_add_f64 v[197:198], v[197:198], v[193:194]
	v_add_f64 v[199:200], v[199:200], v[195:196]
	ds_load_b128 v[193:196], v1 offset:1120
	v_fma_f64 v[187:188], v[187:188], v[22:23], v[201:202]
	v_fma_f64 v[185:186], v[185:186], v[22:23], -v[24:25]
	scratch_load_b128 v[22:25], off, off offset:512
	v_add_f64 v[197:198], v[197:198], v[205:206]
	v_add_f64 v[199:200], v[199:200], v[203:204]
	v_fma_f64 v[203:204], v[4:5], v[26:27], v[207:208]
	v_fma_f64 v[205:206], v[2:3], v[26:27], -v[28:29]
	scratch_load_b128 v[26:29], off, off offset:528
	ds_load_b128 v[2:5], v1 offset:1136
	s_waitcnt vmcnt(10) lgkmcnt(1)
	v_mul_f64 v[201:202], v[193:194], v[32:33]
	v_mul_f64 v[32:33], v[195:196], v[32:33]
	s_waitcnt vmcnt(9) lgkmcnt(0)
	v_mul_f64 v[207:208], v[2:3], v[36:37]
	v_mul_f64 v[36:37], v[4:5], v[36:37]
	v_add_f64 v[197:198], v[197:198], v[185:186]
	v_add_f64 v[199:200], v[199:200], v[187:188]
	ds_load_b128 v[185:188], v1 offset:1152
	v_fma_f64 v[195:196], v[195:196], v[30:31], v[201:202]
	v_fma_f64 v[193:194], v[193:194], v[30:31], -v[32:33]
	scratch_load_b128 v[30:33], off, off offset:544
	v_add_f64 v[197:198], v[197:198], v[205:206]
	v_add_f64 v[199:200], v[199:200], v[203:204]
	v_fma_f64 v[205:206], v[4:5], v[34:35], v[207:208]
	v_fma_f64 v[207:208], v[2:3], v[34:35], -v[36:37]
	scratch_load_b128 v[34:37], off, off offset:560
	ds_load_b128 v[2:5], v1 offset:1168
	s_waitcnt vmcnt(9) lgkmcnt(1)
	v_mul_f64 v[201:202], v[185:186], v[191:192]
	v_mul_f64 v[203:204], v[187:188], v[191:192]
	v_add_f64 v[197:198], v[197:198], v[193:194]
	v_add_f64 v[195:196], v[199:200], v[195:196]
	ds_load_b128 v[191:194], v1 offset:1184
	v_fma_f64 v[201:202], v[187:188], v[189:190], v[201:202]
	v_fma_f64 v[189:190], v[185:186], v[189:190], -v[203:204]
	scratch_load_b128 v[185:188], off, off offset:576
	s_waitcnt vmcnt(9) lgkmcnt(1)
	v_mul_f64 v[199:200], v[2:3], v[40:41]
	v_mul_f64 v[40:41], v[4:5], v[40:41]
	v_add_f64 v[197:198], v[197:198], v[207:208]
	v_add_f64 v[195:196], v[195:196], v[205:206]
	s_delay_alu instid0(VALU_DEP_4) | instskip(NEXT) | instid1(VALU_DEP_4)
	v_fma_f64 v[199:200], v[4:5], v[38:39], v[199:200]
	v_fma_f64 v[205:206], v[2:3], v[38:39], -v[40:41]
	scratch_load_b128 v[38:41], off, off offset:592
	ds_load_b128 v[2:5], v1 offset:1200
	s_waitcnt vmcnt(9) lgkmcnt(1)
	v_mul_f64 v[203:204], v[191:192], v[8:9]
	v_mul_f64 v[8:9], v[193:194], v[8:9]
	s_waitcnt vmcnt(8) lgkmcnt(0)
	v_mul_f64 v[207:208], v[2:3], v[12:13]
	v_mul_f64 v[12:13], v[4:5], v[12:13]
	v_add_f64 v[189:190], v[197:198], v[189:190]
	v_add_f64 v[201:202], v[195:196], v[201:202]
	ds_load_b128 v[195:198], v1 offset:1216
	v_fma_f64 v[193:194], v[193:194], v[6:7], v[203:204]
	v_fma_f64 v[191:192], v[191:192], v[6:7], -v[8:9]
	scratch_load_b128 v[6:9], off, off offset:608
	v_fma_f64 v[203:204], v[4:5], v[10:11], v[207:208]
	v_add_f64 v[189:190], v[189:190], v[205:206]
	v_add_f64 v[199:200], v[201:202], v[199:200]
	v_fma_f64 v[205:206], v[2:3], v[10:11], -v[12:13]
	scratch_load_b128 v[10:13], off, off offset:624
	ds_load_b128 v[2:5], v1 offset:1232
	s_waitcnt vmcnt(9) lgkmcnt(1)
	v_mul_f64 v[201:202], v[195:196], v[16:17]
	v_mul_f64 v[16:17], v[197:198], v[16:17]
	v_add_f64 v[207:208], v[189:190], v[191:192]
	v_add_f64 v[193:194], v[199:200], v[193:194]
	s_waitcnt vmcnt(8) lgkmcnt(0)
	v_mul_f64 v[199:200], v[2:3], v[20:21]
	v_mul_f64 v[20:21], v[4:5], v[20:21]
	ds_load_b128 v[189:192], v1 offset:1248
	v_fma_f64 v[197:198], v[197:198], v[14:15], v[201:202]
	v_fma_f64 v[195:196], v[195:196], v[14:15], -v[16:17]
	scratch_load_b128 v[14:17], off, off offset:640
	v_add_f64 v[201:202], v[207:208], v[205:206]
	v_add_f64 v[193:194], v[193:194], v[203:204]
	v_fma_f64 v[199:200], v[4:5], v[18:19], v[199:200]
	v_fma_f64 v[205:206], v[2:3], v[18:19], -v[20:21]
	scratch_load_b128 v[18:21], off, off offset:656
	ds_load_b128 v[2:5], v1 offset:1264
	s_waitcnt vmcnt(9) lgkmcnt(1)
	v_mul_f64 v[203:204], v[189:190], v[24:25]
	v_mul_f64 v[24:25], v[191:192], v[24:25]
	s_waitcnt vmcnt(8) lgkmcnt(0)
	v_mul_f64 v[207:208], v[2:3], v[28:29]
	v_mul_f64 v[28:29], v[4:5], v[28:29]
	v_add_f64 v[201:202], v[201:202], v[195:196]
	v_add_f64 v[197:198], v[193:194], v[197:198]
	ds_load_b128 v[193:196], v1 offset:1280
	v_fma_f64 v[191:192], v[191:192], v[22:23], v[203:204]
	v_fma_f64 v[189:190], v[189:190], v[22:23], -v[24:25]
	scratch_load_b128 v[22:25], off, off offset:672
	v_fma_f64 v[203:204], v[4:5], v[26:27], v[207:208]
	v_add_f64 v[201:202], v[201:202], v[205:206]
	v_add_f64 v[197:198], v[197:198], v[199:200]
	v_fma_f64 v[205:206], v[2:3], v[26:27], -v[28:29]
	scratch_load_b128 v[26:29], off, off offset:688
	ds_load_b128 v[2:5], v1 offset:1296
	s_waitcnt vmcnt(9) lgkmcnt(1)
	v_mul_f64 v[199:200], v[193:194], v[32:33]
	v_mul_f64 v[32:33], v[195:196], v[32:33]
	s_waitcnt vmcnt(8) lgkmcnt(0)
	v_mul_f64 v[207:208], v[2:3], v[36:37]
	v_mul_f64 v[36:37], v[4:5], v[36:37]
	v_add_f64 v[201:202], v[201:202], v[189:190]
	v_add_f64 v[197:198], v[197:198], v[191:192]
	ds_load_b128 v[189:192], v1 offset:1312
	v_fma_f64 v[195:196], v[195:196], v[30:31], v[199:200]
	v_fma_f64 v[193:194], v[193:194], v[30:31], -v[32:33]
	scratch_load_b128 v[30:33], off, off offset:704
	v_add_f64 v[199:200], v[201:202], v[205:206]
	v_add_f64 v[197:198], v[197:198], v[203:204]
	v_fma_f64 v[203:204], v[4:5], v[34:35], v[207:208]
	v_fma_f64 v[205:206], v[2:3], v[34:35], -v[36:37]
	scratch_load_b128 v[34:37], off, off offset:720
	ds_load_b128 v[2:5], v1 offset:1328
	s_waitcnt vmcnt(9) lgkmcnt(1)
	v_mul_f64 v[201:202], v[189:190], v[187:188]
	v_mul_f64 v[187:188], v[191:192], v[187:188]
	s_waitcnt vmcnt(8) lgkmcnt(0)
	v_mul_f64 v[207:208], v[2:3], v[40:41]
	v_mul_f64 v[40:41], v[4:5], v[40:41]
	v_add_f64 v[199:200], v[199:200], v[193:194]
	v_add_f64 v[197:198], v[197:198], v[195:196]
	ds_load_b128 v[193:196], v1 offset:1344
	v_fma_f64 v[191:192], v[191:192], v[185:186], v[201:202]
	v_fma_f64 v[185:186], v[189:190], v[185:186], -v[187:188]
	v_fma_f64 v[201:202], v[2:3], v[38:39], -v[40:41]
	v_add_f64 v[187:188], v[199:200], v[205:206]
	v_add_f64 v[189:190], v[197:198], v[203:204]
	s_waitcnt vmcnt(7) lgkmcnt(0)
	v_mul_f64 v[197:198], v[193:194], v[8:9]
	v_mul_f64 v[8:9], v[195:196], v[8:9]
	v_fma_f64 v[199:200], v[4:5], v[38:39], v[207:208]
	ds_load_b128 v[2:5], v1 offset:1360
	ds_load_b128 v[38:41], v1 offset:1376
	v_add_f64 v[185:186], v[187:188], v[185:186]
	v_add_f64 v[187:188], v[189:190], v[191:192]
	s_waitcnt vmcnt(6) lgkmcnt(1)
	v_mul_f64 v[189:190], v[2:3], v[12:13]
	v_mul_f64 v[12:13], v[4:5], v[12:13]
	v_fma_f64 v[191:192], v[195:196], v[6:7], v[197:198]
	v_fma_f64 v[6:7], v[193:194], v[6:7], -v[8:9]
	v_add_f64 v[8:9], v[185:186], v[201:202]
	v_add_f64 v[185:186], v[187:188], v[199:200]
	s_waitcnt vmcnt(5) lgkmcnt(0)
	v_mul_f64 v[187:188], v[38:39], v[16:17]
	v_mul_f64 v[16:17], v[40:41], v[16:17]
	v_fma_f64 v[189:190], v[4:5], v[10:11], v[189:190]
	v_fma_f64 v[10:11], v[2:3], v[10:11], -v[12:13]
	v_add_f64 v[12:13], v[8:9], v[6:7]
	v_add_f64 v[185:186], v[185:186], v[191:192]
	ds_load_b128 v[2:5], v1 offset:1392
	ds_load_b128 v[6:9], v1 offset:1408
	v_fma_f64 v[40:41], v[40:41], v[14:15], v[187:188]
	v_fma_f64 v[14:15], v[38:39], v[14:15], -v[16:17]
	s_waitcnt vmcnt(4) lgkmcnt(1)
	v_mul_f64 v[191:192], v[2:3], v[20:21]
	v_mul_f64 v[20:21], v[4:5], v[20:21]
	s_waitcnt vmcnt(3) lgkmcnt(0)
	v_mul_f64 v[16:17], v[6:7], v[24:25]
	v_mul_f64 v[24:25], v[8:9], v[24:25]
	v_add_f64 v[10:11], v[12:13], v[10:11]
	v_add_f64 v[12:13], v[185:186], v[189:190]
	v_fma_f64 v[38:39], v[4:5], v[18:19], v[191:192]
	v_fma_f64 v[18:19], v[2:3], v[18:19], -v[20:21]
	v_fma_f64 v[8:9], v[8:9], v[22:23], v[16:17]
	v_fma_f64 v[6:7], v[6:7], v[22:23], -v[24:25]
	v_add_f64 v[14:15], v[10:11], v[14:15]
	v_add_f64 v[20:21], v[12:13], v[40:41]
	ds_load_b128 v[2:5], v1 offset:1424
	ds_load_b128 v[10:13], v1 offset:1440
	s_waitcnt vmcnt(2) lgkmcnt(1)
	v_mul_f64 v[40:41], v[2:3], v[28:29]
	v_mul_f64 v[28:29], v[4:5], v[28:29]
	v_add_f64 v[14:15], v[14:15], v[18:19]
	v_add_f64 v[16:17], v[20:21], v[38:39]
	s_waitcnt vmcnt(1) lgkmcnt(0)
	v_mul_f64 v[18:19], v[10:11], v[32:33]
	v_mul_f64 v[20:21], v[12:13], v[32:33]
	v_fma_f64 v[22:23], v[4:5], v[26:27], v[40:41]
	v_fma_f64 v[24:25], v[2:3], v[26:27], -v[28:29]
	ds_load_b128 v[2:5], v1 offset:1456
	v_add_f64 v[6:7], v[14:15], v[6:7]
	v_add_f64 v[8:9], v[16:17], v[8:9]
	v_fma_f64 v[12:13], v[12:13], v[30:31], v[18:19]
	v_fma_f64 v[10:11], v[10:11], v[30:31], -v[20:21]
	s_waitcnt vmcnt(0) lgkmcnt(0)
	v_mul_f64 v[14:15], v[2:3], v[36:37]
	v_mul_f64 v[16:17], v[4:5], v[36:37]
	v_add_f64 v[6:7], v[6:7], v[24:25]
	v_add_f64 v[8:9], v[8:9], v[22:23]
	s_delay_alu instid0(VALU_DEP_4) | instskip(NEXT) | instid1(VALU_DEP_4)
	v_fma_f64 v[4:5], v[4:5], v[34:35], v[14:15]
	v_fma_f64 v[2:3], v[2:3], v[34:35], -v[16:17]
	s_delay_alu instid0(VALU_DEP_4) | instskip(NEXT) | instid1(VALU_DEP_4)
	v_add_f64 v[6:7], v[6:7], v[10:11]
	v_add_f64 v[8:9], v[8:9], v[12:13]
	s_delay_alu instid0(VALU_DEP_2) | instskip(NEXT) | instid1(VALU_DEP_2)
	v_add_f64 v[2:3], v[6:7], v[2:3]
	v_add_f64 v[4:5], v[8:9], v[4:5]
	s_delay_alu instid0(VALU_DEP_2) | instskip(NEXT) | instid1(VALU_DEP_2)
	v_add_f64 v[2:3], v[42:43], -v[2:3]
	v_add_f64 v[4:5], v[44:45], -v[4:5]
	scratch_store_b128 off, v[2:5], off offset:256
	v_cmpx_lt_u32_e32 15, v138
	s_cbranch_execz .LBB45_259
; %bb.258:
	scratch_load_b128 v[5:8], v169, off
	v_mov_b32_e32 v2, v1
	v_mov_b32_e32 v3, v1
	;; [unrolled: 1-line block ×3, first 2 shown]
	scratch_store_b128 off, v[1:4], off offset:240
	s_waitcnt vmcnt(0)
	ds_store_b128 v184, v[5:8]
.LBB45_259:
	s_or_b32 exec_lo, exec_lo, s2
	s_waitcnt lgkmcnt(0)
	s_waitcnt_vscnt null, 0x0
	s_barrier
	buffer_gl0_inv
	s_clause 0x8
	scratch_load_b128 v[2:5], off, off offset:256
	scratch_load_b128 v[6:9], off, off offset:272
	;; [unrolled: 1-line block ×9, first 2 shown]
	ds_load_b128 v[42:45], v1 offset:992
	ds_load_b128 v[38:41], v1 offset:1008
	s_clause 0x1
	scratch_load_b128 v[185:188], off, off offset:240
	scratch_load_b128 v[189:192], off, off offset:400
	s_mov_b32 s2, exec_lo
	s_waitcnt vmcnt(10) lgkmcnt(1)
	v_mul_f64 v[193:194], v[44:45], v[4:5]
	v_mul_f64 v[4:5], v[42:43], v[4:5]
	s_waitcnt vmcnt(9) lgkmcnt(0)
	v_mul_f64 v[197:198], v[38:39], v[8:9]
	v_mul_f64 v[8:9], v[40:41], v[8:9]
	s_delay_alu instid0(VALU_DEP_4) | instskip(NEXT) | instid1(VALU_DEP_4)
	v_fma_f64 v[199:200], v[42:43], v[2:3], -v[193:194]
	v_fma_f64 v[201:202], v[44:45], v[2:3], v[4:5]
	ds_load_b128 v[2:5], v1 offset:1024
	ds_load_b128 v[193:196], v1 offset:1040
	scratch_load_b128 v[42:45], off, off offset:416
	v_fma_f64 v[40:41], v[40:41], v[6:7], v[197:198]
	v_fma_f64 v[38:39], v[38:39], v[6:7], -v[8:9]
	scratch_load_b128 v[6:9], off, off offset:432
	s_waitcnt vmcnt(10) lgkmcnt(1)
	v_mul_f64 v[203:204], v[2:3], v[12:13]
	v_mul_f64 v[12:13], v[4:5], v[12:13]
	v_add_f64 v[197:198], v[199:200], 0
	v_add_f64 v[199:200], v[201:202], 0
	s_waitcnt vmcnt(9) lgkmcnt(0)
	v_mul_f64 v[201:202], v[193:194], v[16:17]
	v_mul_f64 v[16:17], v[195:196], v[16:17]
	v_fma_f64 v[203:204], v[4:5], v[10:11], v[203:204]
	v_fma_f64 v[205:206], v[2:3], v[10:11], -v[12:13]
	ds_load_b128 v[2:5], v1 offset:1056
	scratch_load_b128 v[10:13], off, off offset:448
	v_add_f64 v[197:198], v[197:198], v[38:39]
	v_add_f64 v[199:200], v[199:200], v[40:41]
	ds_load_b128 v[38:41], v1 offset:1072
	v_fma_f64 v[195:196], v[195:196], v[14:15], v[201:202]
	v_fma_f64 v[193:194], v[193:194], v[14:15], -v[16:17]
	scratch_load_b128 v[14:17], off, off offset:464
	s_waitcnt vmcnt(10) lgkmcnt(1)
	v_mul_f64 v[207:208], v[2:3], v[20:21]
	v_mul_f64 v[20:21], v[4:5], v[20:21]
	s_waitcnt vmcnt(9) lgkmcnt(0)
	v_mul_f64 v[201:202], v[38:39], v[24:25]
	v_mul_f64 v[24:25], v[40:41], v[24:25]
	v_add_f64 v[197:198], v[197:198], v[205:206]
	v_add_f64 v[199:200], v[199:200], v[203:204]
	v_fma_f64 v[203:204], v[4:5], v[18:19], v[207:208]
	v_fma_f64 v[205:206], v[2:3], v[18:19], -v[20:21]
	ds_load_b128 v[2:5], v1 offset:1088
	scratch_load_b128 v[18:21], off, off offset:480
	v_fma_f64 v[40:41], v[40:41], v[22:23], v[201:202]
	v_fma_f64 v[38:39], v[38:39], v[22:23], -v[24:25]
	scratch_load_b128 v[22:25], off, off offset:496
	v_add_f64 v[197:198], v[197:198], v[193:194]
	v_add_f64 v[199:200], v[199:200], v[195:196]
	ds_load_b128 v[193:196], v1 offset:1104
	s_waitcnt vmcnt(10) lgkmcnt(1)
	v_mul_f64 v[207:208], v[2:3], v[28:29]
	v_mul_f64 v[28:29], v[4:5], v[28:29]
	s_waitcnt vmcnt(9) lgkmcnt(0)
	v_mul_f64 v[201:202], v[193:194], v[32:33]
	v_mul_f64 v[32:33], v[195:196], v[32:33]
	v_add_f64 v[197:198], v[197:198], v[205:206]
	v_add_f64 v[199:200], v[199:200], v[203:204]
	v_fma_f64 v[203:204], v[4:5], v[26:27], v[207:208]
	v_fma_f64 v[205:206], v[2:3], v[26:27], -v[28:29]
	ds_load_b128 v[2:5], v1 offset:1120
	scratch_load_b128 v[26:29], off, off offset:512
	v_fma_f64 v[195:196], v[195:196], v[30:31], v[201:202]
	v_fma_f64 v[193:194], v[193:194], v[30:31], -v[32:33]
	scratch_load_b128 v[30:33], off, off offset:528
	v_add_f64 v[197:198], v[197:198], v[38:39]
	v_add_f64 v[199:200], v[199:200], v[40:41]
	ds_load_b128 v[38:41], v1 offset:1136
	s_waitcnt vmcnt(10) lgkmcnt(1)
	v_mul_f64 v[207:208], v[2:3], v[36:37]
	v_mul_f64 v[36:37], v[4:5], v[36:37]
	s_waitcnt vmcnt(8) lgkmcnt(0)
	v_mul_f64 v[201:202], v[38:39], v[191:192]
	v_add_f64 v[197:198], v[197:198], v[205:206]
	v_add_f64 v[199:200], v[199:200], v[203:204]
	v_mul_f64 v[203:204], v[40:41], v[191:192]
	v_fma_f64 v[205:206], v[4:5], v[34:35], v[207:208]
	v_fma_f64 v[207:208], v[2:3], v[34:35], -v[36:37]
	ds_load_b128 v[2:5], v1 offset:1152
	scratch_load_b128 v[34:37], off, off offset:544
	v_fma_f64 v[201:202], v[40:41], v[189:190], v[201:202]
	v_add_f64 v[197:198], v[197:198], v[193:194]
	v_add_f64 v[195:196], v[199:200], v[195:196]
	ds_load_b128 v[191:194], v1 offset:1168
	v_fma_f64 v[189:190], v[38:39], v[189:190], -v[203:204]
	scratch_load_b128 v[38:41], off, off offset:560
	s_waitcnt vmcnt(9) lgkmcnt(1)
	v_mul_f64 v[199:200], v[2:3], v[44:45]
	v_mul_f64 v[44:45], v[4:5], v[44:45]
	s_waitcnt vmcnt(8) lgkmcnt(0)
	v_mul_f64 v[203:204], v[191:192], v[8:9]
	v_mul_f64 v[8:9], v[193:194], v[8:9]
	v_add_f64 v[197:198], v[197:198], v[207:208]
	v_add_f64 v[195:196], v[195:196], v[205:206]
	v_fma_f64 v[199:200], v[4:5], v[42:43], v[199:200]
	v_fma_f64 v[205:206], v[2:3], v[42:43], -v[44:45]
	ds_load_b128 v[2:5], v1 offset:1184
	scratch_load_b128 v[42:45], off, off offset:576
	v_fma_f64 v[193:194], v[193:194], v[6:7], v[203:204]
	v_fma_f64 v[191:192], v[191:192], v[6:7], -v[8:9]
	scratch_load_b128 v[6:9], off, off offset:592
	v_add_f64 v[189:190], v[197:198], v[189:190]
	v_add_f64 v[201:202], v[195:196], v[201:202]
	ds_load_b128 v[195:198], v1 offset:1200
	s_waitcnt vmcnt(9) lgkmcnt(1)
	v_mul_f64 v[207:208], v[2:3], v[12:13]
	v_mul_f64 v[12:13], v[4:5], v[12:13]
	v_add_f64 v[189:190], v[189:190], v[205:206]
	v_add_f64 v[199:200], v[201:202], v[199:200]
	s_waitcnt vmcnt(8) lgkmcnt(0)
	v_mul_f64 v[201:202], v[195:196], v[16:17]
	v_mul_f64 v[16:17], v[197:198], v[16:17]
	v_fma_f64 v[203:204], v[4:5], v[10:11], v[207:208]
	v_fma_f64 v[205:206], v[2:3], v[10:11], -v[12:13]
	ds_load_b128 v[2:5], v1 offset:1216
	scratch_load_b128 v[10:13], off, off offset:608
	v_add_f64 v[207:208], v[189:190], v[191:192]
	v_add_f64 v[193:194], v[199:200], v[193:194]
	ds_load_b128 v[189:192], v1 offset:1232
	s_waitcnt vmcnt(8) lgkmcnt(1)
	v_mul_f64 v[199:200], v[2:3], v[20:21]
	v_mul_f64 v[20:21], v[4:5], v[20:21]
	v_fma_f64 v[197:198], v[197:198], v[14:15], v[201:202]
	v_fma_f64 v[195:196], v[195:196], v[14:15], -v[16:17]
	scratch_load_b128 v[14:17], off, off offset:624
	v_add_f64 v[201:202], v[207:208], v[205:206]
	v_add_f64 v[193:194], v[193:194], v[203:204]
	s_waitcnt vmcnt(8) lgkmcnt(0)
	v_mul_f64 v[203:204], v[189:190], v[24:25]
	v_mul_f64 v[24:25], v[191:192], v[24:25]
	v_fma_f64 v[199:200], v[4:5], v[18:19], v[199:200]
	v_fma_f64 v[205:206], v[2:3], v[18:19], -v[20:21]
	ds_load_b128 v[2:5], v1 offset:1248
	scratch_load_b128 v[18:21], off, off offset:640
	v_add_f64 v[201:202], v[201:202], v[195:196]
	v_add_f64 v[197:198], v[193:194], v[197:198]
	ds_load_b128 v[193:196], v1 offset:1264
	s_waitcnt vmcnt(8) lgkmcnt(1)
	v_mul_f64 v[207:208], v[2:3], v[28:29]
	v_mul_f64 v[28:29], v[4:5], v[28:29]
	v_fma_f64 v[191:192], v[191:192], v[22:23], v[203:204]
	v_fma_f64 v[189:190], v[189:190], v[22:23], -v[24:25]
	scratch_load_b128 v[22:25], off, off offset:656
	;; [unrolled: 18-line block ×4, first 2 shown]
	s_waitcnt vmcnt(8) lgkmcnt(0)
	v_mul_f64 v[201:202], v[193:194], v[8:9]
	v_mul_f64 v[8:9], v[195:196], v[8:9]
	v_add_f64 v[199:200], v[199:200], v[205:206]
	v_add_f64 v[197:198], v[197:198], v[203:204]
	v_fma_f64 v[203:204], v[4:5], v[42:43], v[207:208]
	v_fma_f64 v[205:206], v[2:3], v[42:43], -v[44:45]
	ds_load_b128 v[2:5], v1 offset:1344
	ds_load_b128 v[42:45], v1 offset:1360
	v_fma_f64 v[195:196], v[195:196], v[6:7], v[201:202]
	v_fma_f64 v[6:7], v[193:194], v[6:7], -v[8:9]
	v_add_f64 v[189:190], v[199:200], v[189:190]
	v_add_f64 v[191:192], v[197:198], v[191:192]
	s_waitcnt vmcnt(7) lgkmcnt(1)
	v_mul_f64 v[197:198], v[2:3], v[12:13]
	v_mul_f64 v[12:13], v[4:5], v[12:13]
	s_delay_alu instid0(VALU_DEP_4) | instskip(NEXT) | instid1(VALU_DEP_4)
	v_add_f64 v[8:9], v[189:190], v[205:206]
	v_add_f64 v[189:190], v[191:192], v[203:204]
	s_waitcnt vmcnt(6) lgkmcnt(0)
	v_mul_f64 v[191:192], v[42:43], v[16:17]
	v_mul_f64 v[16:17], v[44:45], v[16:17]
	v_fma_f64 v[193:194], v[4:5], v[10:11], v[197:198]
	v_fma_f64 v[10:11], v[2:3], v[10:11], -v[12:13]
	v_add_f64 v[12:13], v[8:9], v[6:7]
	v_add_f64 v[189:190], v[189:190], v[195:196]
	ds_load_b128 v[2:5], v1 offset:1376
	ds_load_b128 v[6:9], v1 offset:1392
	v_fma_f64 v[44:45], v[44:45], v[14:15], v[191:192]
	v_fma_f64 v[14:15], v[42:43], v[14:15], -v[16:17]
	s_waitcnt vmcnt(5) lgkmcnt(1)
	v_mul_f64 v[195:196], v[2:3], v[20:21]
	v_mul_f64 v[20:21], v[4:5], v[20:21]
	s_waitcnt vmcnt(4) lgkmcnt(0)
	v_mul_f64 v[16:17], v[6:7], v[24:25]
	v_mul_f64 v[24:25], v[8:9], v[24:25]
	v_add_f64 v[10:11], v[12:13], v[10:11]
	v_add_f64 v[12:13], v[189:190], v[193:194]
	v_fma_f64 v[42:43], v[4:5], v[18:19], v[195:196]
	v_fma_f64 v[18:19], v[2:3], v[18:19], -v[20:21]
	v_fma_f64 v[8:9], v[8:9], v[22:23], v[16:17]
	v_fma_f64 v[6:7], v[6:7], v[22:23], -v[24:25]
	v_add_f64 v[14:15], v[10:11], v[14:15]
	v_add_f64 v[20:21], v[12:13], v[44:45]
	ds_load_b128 v[2:5], v1 offset:1408
	ds_load_b128 v[10:13], v1 offset:1424
	s_waitcnt vmcnt(3) lgkmcnt(1)
	v_mul_f64 v[44:45], v[2:3], v[28:29]
	v_mul_f64 v[28:29], v[4:5], v[28:29]
	v_add_f64 v[14:15], v[14:15], v[18:19]
	v_add_f64 v[16:17], v[20:21], v[42:43]
	s_waitcnt vmcnt(2) lgkmcnt(0)
	v_mul_f64 v[18:19], v[10:11], v[32:33]
	v_mul_f64 v[20:21], v[12:13], v[32:33]
	v_fma_f64 v[22:23], v[4:5], v[26:27], v[44:45]
	v_fma_f64 v[24:25], v[2:3], v[26:27], -v[28:29]
	v_add_f64 v[14:15], v[14:15], v[6:7]
	v_add_f64 v[16:17], v[16:17], v[8:9]
	ds_load_b128 v[2:5], v1 offset:1440
	ds_load_b128 v[6:9], v1 offset:1456
	v_fma_f64 v[12:13], v[12:13], v[30:31], v[18:19]
	v_fma_f64 v[10:11], v[10:11], v[30:31], -v[20:21]
	s_waitcnt vmcnt(1) lgkmcnt(1)
	v_mul_f64 v[26:27], v[2:3], v[36:37]
	v_mul_f64 v[28:29], v[4:5], v[36:37]
	s_waitcnt vmcnt(0) lgkmcnt(0)
	v_mul_f64 v[18:19], v[6:7], v[40:41]
	v_mul_f64 v[20:21], v[8:9], v[40:41]
	v_add_f64 v[14:15], v[14:15], v[24:25]
	v_add_f64 v[16:17], v[16:17], v[22:23]
	v_fma_f64 v[4:5], v[4:5], v[34:35], v[26:27]
	v_fma_f64 v[1:2], v[2:3], v[34:35], -v[28:29]
	v_fma_f64 v[8:9], v[8:9], v[38:39], v[18:19]
	v_fma_f64 v[6:7], v[6:7], v[38:39], -v[20:21]
	v_add_f64 v[10:11], v[14:15], v[10:11]
	v_add_f64 v[12:13], v[16:17], v[12:13]
	s_delay_alu instid0(VALU_DEP_2) | instskip(NEXT) | instid1(VALU_DEP_2)
	v_add_f64 v[1:2], v[10:11], v[1:2]
	v_add_f64 v[3:4], v[12:13], v[4:5]
	s_delay_alu instid0(VALU_DEP_2) | instskip(NEXT) | instid1(VALU_DEP_2)
	;; [unrolled: 3-line block ×3, first 2 shown]
	v_add_f64 v[1:2], v[185:186], -v[1:2]
	v_add_f64 v[3:4], v[187:188], -v[3:4]
	scratch_store_b128 off, v[1:4], off offset:240
	v_cmpx_lt_u32_e32 14, v138
	s_cbranch_execz .LBB45_261
; %bb.260:
	scratch_load_b128 v[1:4], v170, off
	v_mov_b32_e32 v5, 0
	s_delay_alu instid0(VALU_DEP_1)
	v_mov_b32_e32 v6, v5
	v_mov_b32_e32 v7, v5
	;; [unrolled: 1-line block ×3, first 2 shown]
	scratch_store_b128 off, v[5:8], off offset:224
	s_waitcnt vmcnt(0)
	ds_store_b128 v184, v[1:4]
.LBB45_261:
	s_or_b32 exec_lo, exec_lo, s2
	s_waitcnt lgkmcnt(0)
	s_waitcnt_vscnt null, 0x0
	s_barrier
	buffer_gl0_inv
	s_clause 0x7
	scratch_load_b128 v[2:5], off, off offset:240
	scratch_load_b128 v[6:9], off, off offset:256
	;; [unrolled: 1-line block ×8, first 2 shown]
	v_mov_b32_e32 v1, 0
	s_mov_b32 s2, exec_lo
	ds_load_b128 v[38:41], v1 offset:976
	s_clause 0x1
	scratch_load_b128 v[34:37], off, off offset:368
	scratch_load_b128 v[42:45], off, off offset:224
	ds_load_b128 v[185:188], v1 offset:992
	scratch_load_b128 v[189:192], off, off offset:384
	s_waitcnt vmcnt(10) lgkmcnt(1)
	v_mul_f64 v[193:194], v[40:41], v[4:5]
	v_mul_f64 v[4:5], v[38:39], v[4:5]
	s_delay_alu instid0(VALU_DEP_2) | instskip(NEXT) | instid1(VALU_DEP_2)
	v_fma_f64 v[199:200], v[38:39], v[2:3], -v[193:194]
	v_fma_f64 v[201:202], v[40:41], v[2:3], v[4:5]
	scratch_load_b128 v[38:41], off, off offset:400
	ds_load_b128 v[2:5], v1 offset:1008
	s_waitcnt vmcnt(10) lgkmcnt(1)
	v_mul_f64 v[197:198], v[185:186], v[8:9]
	v_mul_f64 v[8:9], v[187:188], v[8:9]
	ds_load_b128 v[193:196], v1 offset:1024
	s_waitcnt vmcnt(9) lgkmcnt(1)
	v_mul_f64 v[203:204], v[2:3], v[12:13]
	v_mul_f64 v[12:13], v[4:5], v[12:13]
	v_fma_f64 v[187:188], v[187:188], v[6:7], v[197:198]
	v_fma_f64 v[185:186], v[185:186], v[6:7], -v[8:9]
	v_add_f64 v[197:198], v[199:200], 0
	v_add_f64 v[199:200], v[201:202], 0
	scratch_load_b128 v[6:9], off, off offset:416
	v_fma_f64 v[203:204], v[4:5], v[10:11], v[203:204]
	v_fma_f64 v[205:206], v[2:3], v[10:11], -v[12:13]
	scratch_load_b128 v[10:13], off, off offset:432
	ds_load_b128 v[2:5], v1 offset:1040
	s_waitcnt vmcnt(10) lgkmcnt(1)
	v_mul_f64 v[201:202], v[193:194], v[16:17]
	v_mul_f64 v[16:17], v[195:196], v[16:17]
	v_add_f64 v[197:198], v[197:198], v[185:186]
	v_add_f64 v[199:200], v[199:200], v[187:188]
	s_waitcnt vmcnt(9) lgkmcnt(0)
	v_mul_f64 v[207:208], v[2:3], v[20:21]
	v_mul_f64 v[20:21], v[4:5], v[20:21]
	ds_load_b128 v[185:188], v1 offset:1056
	v_fma_f64 v[195:196], v[195:196], v[14:15], v[201:202]
	v_fma_f64 v[193:194], v[193:194], v[14:15], -v[16:17]
	scratch_load_b128 v[14:17], off, off offset:448
	v_add_f64 v[197:198], v[197:198], v[205:206]
	v_add_f64 v[199:200], v[199:200], v[203:204]
	v_fma_f64 v[203:204], v[4:5], v[18:19], v[207:208]
	v_fma_f64 v[205:206], v[2:3], v[18:19], -v[20:21]
	scratch_load_b128 v[18:21], off, off offset:464
	ds_load_b128 v[2:5], v1 offset:1072
	s_waitcnt vmcnt(10) lgkmcnt(1)
	v_mul_f64 v[201:202], v[185:186], v[24:25]
	v_mul_f64 v[24:25], v[187:188], v[24:25]
	s_waitcnt vmcnt(9) lgkmcnt(0)
	v_mul_f64 v[207:208], v[2:3], v[28:29]
	v_mul_f64 v[28:29], v[4:5], v[28:29]
	v_add_f64 v[197:198], v[197:198], v[193:194]
	v_add_f64 v[199:200], v[199:200], v[195:196]
	ds_load_b128 v[193:196], v1 offset:1088
	v_fma_f64 v[187:188], v[187:188], v[22:23], v[201:202]
	v_fma_f64 v[185:186], v[185:186], v[22:23], -v[24:25]
	scratch_load_b128 v[22:25], off, off offset:480
	v_add_f64 v[197:198], v[197:198], v[205:206]
	v_add_f64 v[199:200], v[199:200], v[203:204]
	v_fma_f64 v[203:204], v[4:5], v[26:27], v[207:208]
	v_fma_f64 v[205:206], v[2:3], v[26:27], -v[28:29]
	scratch_load_b128 v[26:29], off, off offset:496
	ds_load_b128 v[2:5], v1 offset:1104
	s_waitcnt vmcnt(10) lgkmcnt(1)
	v_mul_f64 v[201:202], v[193:194], v[32:33]
	v_mul_f64 v[32:33], v[195:196], v[32:33]
	s_waitcnt vmcnt(9) lgkmcnt(0)
	v_mul_f64 v[207:208], v[2:3], v[36:37]
	v_mul_f64 v[36:37], v[4:5], v[36:37]
	v_add_f64 v[197:198], v[197:198], v[185:186]
	v_add_f64 v[199:200], v[199:200], v[187:188]
	ds_load_b128 v[185:188], v1 offset:1120
	v_fma_f64 v[195:196], v[195:196], v[30:31], v[201:202]
	v_fma_f64 v[193:194], v[193:194], v[30:31], -v[32:33]
	scratch_load_b128 v[30:33], off, off offset:512
	v_add_f64 v[197:198], v[197:198], v[205:206]
	v_add_f64 v[199:200], v[199:200], v[203:204]
	v_fma_f64 v[205:206], v[4:5], v[34:35], v[207:208]
	v_fma_f64 v[207:208], v[2:3], v[34:35], -v[36:37]
	scratch_load_b128 v[34:37], off, off offset:528
	ds_load_b128 v[2:5], v1 offset:1136
	s_waitcnt vmcnt(9) lgkmcnt(1)
	v_mul_f64 v[201:202], v[185:186], v[191:192]
	v_mul_f64 v[203:204], v[187:188], v[191:192]
	v_add_f64 v[197:198], v[197:198], v[193:194]
	v_add_f64 v[195:196], v[199:200], v[195:196]
	ds_load_b128 v[191:194], v1 offset:1152
	v_fma_f64 v[201:202], v[187:188], v[189:190], v[201:202]
	v_fma_f64 v[189:190], v[185:186], v[189:190], -v[203:204]
	scratch_load_b128 v[185:188], off, off offset:544
	s_waitcnt vmcnt(9) lgkmcnt(1)
	v_mul_f64 v[199:200], v[2:3], v[40:41]
	v_mul_f64 v[40:41], v[4:5], v[40:41]
	v_add_f64 v[197:198], v[197:198], v[207:208]
	v_add_f64 v[195:196], v[195:196], v[205:206]
	s_delay_alu instid0(VALU_DEP_4) | instskip(NEXT) | instid1(VALU_DEP_4)
	v_fma_f64 v[199:200], v[4:5], v[38:39], v[199:200]
	v_fma_f64 v[205:206], v[2:3], v[38:39], -v[40:41]
	scratch_load_b128 v[38:41], off, off offset:560
	ds_load_b128 v[2:5], v1 offset:1168
	s_waitcnt vmcnt(9) lgkmcnt(1)
	v_mul_f64 v[203:204], v[191:192], v[8:9]
	v_mul_f64 v[8:9], v[193:194], v[8:9]
	s_waitcnt vmcnt(8) lgkmcnt(0)
	v_mul_f64 v[207:208], v[2:3], v[12:13]
	v_mul_f64 v[12:13], v[4:5], v[12:13]
	v_add_f64 v[189:190], v[197:198], v[189:190]
	v_add_f64 v[201:202], v[195:196], v[201:202]
	ds_load_b128 v[195:198], v1 offset:1184
	v_fma_f64 v[193:194], v[193:194], v[6:7], v[203:204]
	v_fma_f64 v[191:192], v[191:192], v[6:7], -v[8:9]
	scratch_load_b128 v[6:9], off, off offset:576
	v_fma_f64 v[203:204], v[4:5], v[10:11], v[207:208]
	v_add_f64 v[189:190], v[189:190], v[205:206]
	v_add_f64 v[199:200], v[201:202], v[199:200]
	v_fma_f64 v[205:206], v[2:3], v[10:11], -v[12:13]
	scratch_load_b128 v[10:13], off, off offset:592
	ds_load_b128 v[2:5], v1 offset:1200
	s_waitcnt vmcnt(9) lgkmcnt(1)
	v_mul_f64 v[201:202], v[195:196], v[16:17]
	v_mul_f64 v[16:17], v[197:198], v[16:17]
	v_add_f64 v[207:208], v[189:190], v[191:192]
	v_add_f64 v[193:194], v[199:200], v[193:194]
	s_waitcnt vmcnt(8) lgkmcnt(0)
	v_mul_f64 v[199:200], v[2:3], v[20:21]
	v_mul_f64 v[20:21], v[4:5], v[20:21]
	ds_load_b128 v[189:192], v1 offset:1216
	v_fma_f64 v[197:198], v[197:198], v[14:15], v[201:202]
	v_fma_f64 v[195:196], v[195:196], v[14:15], -v[16:17]
	scratch_load_b128 v[14:17], off, off offset:608
	v_add_f64 v[201:202], v[207:208], v[205:206]
	v_add_f64 v[193:194], v[193:194], v[203:204]
	v_fma_f64 v[199:200], v[4:5], v[18:19], v[199:200]
	v_fma_f64 v[205:206], v[2:3], v[18:19], -v[20:21]
	scratch_load_b128 v[18:21], off, off offset:624
	ds_load_b128 v[2:5], v1 offset:1232
	s_waitcnt vmcnt(9) lgkmcnt(1)
	v_mul_f64 v[203:204], v[189:190], v[24:25]
	v_mul_f64 v[24:25], v[191:192], v[24:25]
	s_waitcnt vmcnt(8) lgkmcnt(0)
	v_mul_f64 v[207:208], v[2:3], v[28:29]
	v_mul_f64 v[28:29], v[4:5], v[28:29]
	v_add_f64 v[201:202], v[201:202], v[195:196]
	v_add_f64 v[197:198], v[193:194], v[197:198]
	ds_load_b128 v[193:196], v1 offset:1248
	v_fma_f64 v[191:192], v[191:192], v[22:23], v[203:204]
	v_fma_f64 v[189:190], v[189:190], v[22:23], -v[24:25]
	scratch_load_b128 v[22:25], off, off offset:640
	v_fma_f64 v[203:204], v[4:5], v[26:27], v[207:208]
	v_add_f64 v[201:202], v[201:202], v[205:206]
	v_add_f64 v[197:198], v[197:198], v[199:200]
	v_fma_f64 v[205:206], v[2:3], v[26:27], -v[28:29]
	scratch_load_b128 v[26:29], off, off offset:656
	ds_load_b128 v[2:5], v1 offset:1264
	s_waitcnt vmcnt(9) lgkmcnt(1)
	v_mul_f64 v[199:200], v[193:194], v[32:33]
	v_mul_f64 v[32:33], v[195:196], v[32:33]
	s_waitcnt vmcnt(8) lgkmcnt(0)
	v_mul_f64 v[207:208], v[2:3], v[36:37]
	v_mul_f64 v[36:37], v[4:5], v[36:37]
	v_add_f64 v[201:202], v[201:202], v[189:190]
	v_add_f64 v[197:198], v[197:198], v[191:192]
	ds_load_b128 v[189:192], v1 offset:1280
	v_fma_f64 v[195:196], v[195:196], v[30:31], v[199:200]
	v_fma_f64 v[193:194], v[193:194], v[30:31], -v[32:33]
	scratch_load_b128 v[30:33], off, off offset:672
	v_add_f64 v[199:200], v[201:202], v[205:206]
	v_add_f64 v[197:198], v[197:198], v[203:204]
	v_fma_f64 v[203:204], v[4:5], v[34:35], v[207:208]
	v_fma_f64 v[205:206], v[2:3], v[34:35], -v[36:37]
	scratch_load_b128 v[34:37], off, off offset:688
	ds_load_b128 v[2:5], v1 offset:1296
	s_waitcnt vmcnt(9) lgkmcnt(1)
	v_mul_f64 v[201:202], v[189:190], v[187:188]
	v_mul_f64 v[187:188], v[191:192], v[187:188]
	s_waitcnt vmcnt(8) lgkmcnt(0)
	v_mul_f64 v[207:208], v[2:3], v[40:41]
	v_mul_f64 v[40:41], v[4:5], v[40:41]
	v_add_f64 v[199:200], v[199:200], v[193:194]
	v_add_f64 v[197:198], v[197:198], v[195:196]
	ds_load_b128 v[193:196], v1 offset:1312
	v_fma_f64 v[191:192], v[191:192], v[185:186], v[201:202]
	v_fma_f64 v[189:190], v[189:190], v[185:186], -v[187:188]
	scratch_load_b128 v[185:188], off, off offset:704
	v_add_f64 v[199:200], v[199:200], v[205:206]
	v_add_f64 v[197:198], v[197:198], v[203:204]
	v_fma_f64 v[203:204], v[4:5], v[38:39], v[207:208]
	v_fma_f64 v[205:206], v[2:3], v[38:39], -v[40:41]
	scratch_load_b128 v[38:41], off, off offset:720
	ds_load_b128 v[2:5], v1 offset:1328
	s_waitcnt vmcnt(9) lgkmcnt(1)
	v_mul_f64 v[201:202], v[193:194], v[8:9]
	v_mul_f64 v[8:9], v[195:196], v[8:9]
	s_waitcnt vmcnt(8) lgkmcnt(0)
	v_mul_f64 v[207:208], v[2:3], v[12:13]
	v_mul_f64 v[12:13], v[4:5], v[12:13]
	v_add_f64 v[199:200], v[199:200], v[189:190]
	v_add_f64 v[197:198], v[197:198], v[191:192]
	ds_load_b128 v[189:192], v1 offset:1344
	v_fma_f64 v[195:196], v[195:196], v[6:7], v[201:202]
	v_fma_f64 v[6:7], v[193:194], v[6:7], -v[8:9]
	v_add_f64 v[8:9], v[199:200], v[205:206]
	v_add_f64 v[193:194], v[197:198], v[203:204]
	s_waitcnt vmcnt(7) lgkmcnt(0)
	v_mul_f64 v[197:198], v[189:190], v[16:17]
	v_mul_f64 v[16:17], v[191:192], v[16:17]
	v_fma_f64 v[199:200], v[4:5], v[10:11], v[207:208]
	v_fma_f64 v[10:11], v[2:3], v[10:11], -v[12:13]
	v_add_f64 v[12:13], v[8:9], v[6:7]
	v_add_f64 v[193:194], v[193:194], v[195:196]
	ds_load_b128 v[2:5], v1 offset:1360
	ds_load_b128 v[6:9], v1 offset:1376
	v_fma_f64 v[191:192], v[191:192], v[14:15], v[197:198]
	v_fma_f64 v[14:15], v[189:190], v[14:15], -v[16:17]
	s_waitcnt vmcnt(6) lgkmcnt(1)
	v_mul_f64 v[195:196], v[2:3], v[20:21]
	v_mul_f64 v[20:21], v[4:5], v[20:21]
	s_waitcnt vmcnt(5) lgkmcnt(0)
	v_mul_f64 v[16:17], v[6:7], v[24:25]
	v_mul_f64 v[24:25], v[8:9], v[24:25]
	v_add_f64 v[10:11], v[12:13], v[10:11]
	v_add_f64 v[12:13], v[193:194], v[199:200]
	v_fma_f64 v[189:190], v[4:5], v[18:19], v[195:196]
	v_fma_f64 v[18:19], v[2:3], v[18:19], -v[20:21]
	v_fma_f64 v[8:9], v[8:9], v[22:23], v[16:17]
	v_fma_f64 v[6:7], v[6:7], v[22:23], -v[24:25]
	v_add_f64 v[14:15], v[10:11], v[14:15]
	v_add_f64 v[20:21], v[12:13], v[191:192]
	ds_load_b128 v[2:5], v1 offset:1392
	ds_load_b128 v[10:13], v1 offset:1408
	s_waitcnt vmcnt(4) lgkmcnt(1)
	v_mul_f64 v[191:192], v[2:3], v[28:29]
	v_mul_f64 v[28:29], v[4:5], v[28:29]
	v_add_f64 v[14:15], v[14:15], v[18:19]
	v_add_f64 v[16:17], v[20:21], v[189:190]
	s_waitcnt vmcnt(3) lgkmcnt(0)
	v_mul_f64 v[18:19], v[10:11], v[32:33]
	v_mul_f64 v[20:21], v[12:13], v[32:33]
	v_fma_f64 v[22:23], v[4:5], v[26:27], v[191:192]
	v_fma_f64 v[24:25], v[2:3], v[26:27], -v[28:29]
	v_add_f64 v[14:15], v[14:15], v[6:7]
	v_add_f64 v[16:17], v[16:17], v[8:9]
	ds_load_b128 v[2:5], v1 offset:1424
	ds_load_b128 v[6:9], v1 offset:1440
	v_fma_f64 v[12:13], v[12:13], v[30:31], v[18:19]
	v_fma_f64 v[10:11], v[10:11], v[30:31], -v[20:21]
	s_waitcnt vmcnt(2) lgkmcnt(1)
	v_mul_f64 v[26:27], v[2:3], v[36:37]
	v_mul_f64 v[28:29], v[4:5], v[36:37]
	s_waitcnt vmcnt(1) lgkmcnt(0)
	v_mul_f64 v[18:19], v[6:7], v[187:188]
	v_mul_f64 v[20:21], v[8:9], v[187:188]
	v_add_f64 v[14:15], v[14:15], v[24:25]
	v_add_f64 v[16:17], v[16:17], v[22:23]
	v_fma_f64 v[22:23], v[4:5], v[34:35], v[26:27]
	v_fma_f64 v[24:25], v[2:3], v[34:35], -v[28:29]
	ds_load_b128 v[2:5], v1 offset:1456
	v_fma_f64 v[8:9], v[8:9], v[185:186], v[18:19]
	v_fma_f64 v[6:7], v[6:7], v[185:186], -v[20:21]
	v_add_f64 v[10:11], v[14:15], v[10:11]
	v_add_f64 v[12:13], v[16:17], v[12:13]
	s_waitcnt vmcnt(0) lgkmcnt(0)
	v_mul_f64 v[14:15], v[2:3], v[40:41]
	v_mul_f64 v[16:17], v[4:5], v[40:41]
	s_delay_alu instid0(VALU_DEP_4) | instskip(NEXT) | instid1(VALU_DEP_4)
	v_add_f64 v[10:11], v[10:11], v[24:25]
	v_add_f64 v[12:13], v[12:13], v[22:23]
	s_delay_alu instid0(VALU_DEP_4) | instskip(NEXT) | instid1(VALU_DEP_4)
	v_fma_f64 v[4:5], v[4:5], v[38:39], v[14:15]
	v_fma_f64 v[2:3], v[2:3], v[38:39], -v[16:17]
	s_delay_alu instid0(VALU_DEP_4) | instskip(NEXT) | instid1(VALU_DEP_4)
	v_add_f64 v[6:7], v[10:11], v[6:7]
	v_add_f64 v[8:9], v[12:13], v[8:9]
	s_delay_alu instid0(VALU_DEP_2) | instskip(NEXT) | instid1(VALU_DEP_2)
	v_add_f64 v[2:3], v[6:7], v[2:3]
	v_add_f64 v[4:5], v[8:9], v[4:5]
	s_delay_alu instid0(VALU_DEP_2) | instskip(NEXT) | instid1(VALU_DEP_2)
	v_add_f64 v[2:3], v[42:43], -v[2:3]
	v_add_f64 v[4:5], v[44:45], -v[4:5]
	scratch_store_b128 off, v[2:5], off offset:224
	v_cmpx_lt_u32_e32 13, v138
	s_cbranch_execz .LBB45_263
; %bb.262:
	scratch_load_b128 v[5:8], v171, off
	v_mov_b32_e32 v2, v1
	v_mov_b32_e32 v3, v1
	;; [unrolled: 1-line block ×3, first 2 shown]
	scratch_store_b128 off, v[1:4], off offset:208
	s_waitcnt vmcnt(0)
	ds_store_b128 v184, v[5:8]
.LBB45_263:
	s_or_b32 exec_lo, exec_lo, s2
	s_waitcnt lgkmcnt(0)
	s_waitcnt_vscnt null, 0x0
	s_barrier
	buffer_gl0_inv
	s_clause 0x8
	scratch_load_b128 v[2:5], off, off offset:224
	scratch_load_b128 v[6:9], off, off offset:240
	;; [unrolled: 1-line block ×9, first 2 shown]
	ds_load_b128 v[42:45], v1 offset:960
	ds_load_b128 v[38:41], v1 offset:976
	s_clause 0x1
	scratch_load_b128 v[185:188], off, off offset:208
	scratch_load_b128 v[189:192], off, off offset:368
	s_mov_b32 s2, exec_lo
	s_waitcnt vmcnt(10) lgkmcnt(1)
	v_mul_f64 v[193:194], v[44:45], v[4:5]
	v_mul_f64 v[4:5], v[42:43], v[4:5]
	s_waitcnt vmcnt(9) lgkmcnt(0)
	v_mul_f64 v[197:198], v[38:39], v[8:9]
	v_mul_f64 v[8:9], v[40:41], v[8:9]
	s_delay_alu instid0(VALU_DEP_4) | instskip(NEXT) | instid1(VALU_DEP_4)
	v_fma_f64 v[199:200], v[42:43], v[2:3], -v[193:194]
	v_fma_f64 v[201:202], v[44:45], v[2:3], v[4:5]
	ds_load_b128 v[2:5], v1 offset:992
	ds_load_b128 v[193:196], v1 offset:1008
	scratch_load_b128 v[42:45], off, off offset:384
	v_fma_f64 v[40:41], v[40:41], v[6:7], v[197:198]
	v_fma_f64 v[38:39], v[38:39], v[6:7], -v[8:9]
	scratch_load_b128 v[6:9], off, off offset:400
	s_waitcnt vmcnt(10) lgkmcnt(1)
	v_mul_f64 v[203:204], v[2:3], v[12:13]
	v_mul_f64 v[12:13], v[4:5], v[12:13]
	v_add_f64 v[197:198], v[199:200], 0
	v_add_f64 v[199:200], v[201:202], 0
	s_waitcnt vmcnt(9) lgkmcnt(0)
	v_mul_f64 v[201:202], v[193:194], v[16:17]
	v_mul_f64 v[16:17], v[195:196], v[16:17]
	v_fma_f64 v[203:204], v[4:5], v[10:11], v[203:204]
	v_fma_f64 v[205:206], v[2:3], v[10:11], -v[12:13]
	ds_load_b128 v[2:5], v1 offset:1024
	scratch_load_b128 v[10:13], off, off offset:416
	v_add_f64 v[197:198], v[197:198], v[38:39]
	v_add_f64 v[199:200], v[199:200], v[40:41]
	ds_load_b128 v[38:41], v1 offset:1040
	v_fma_f64 v[195:196], v[195:196], v[14:15], v[201:202]
	v_fma_f64 v[193:194], v[193:194], v[14:15], -v[16:17]
	scratch_load_b128 v[14:17], off, off offset:432
	s_waitcnt vmcnt(10) lgkmcnt(1)
	v_mul_f64 v[207:208], v[2:3], v[20:21]
	v_mul_f64 v[20:21], v[4:5], v[20:21]
	s_waitcnt vmcnt(9) lgkmcnt(0)
	v_mul_f64 v[201:202], v[38:39], v[24:25]
	v_mul_f64 v[24:25], v[40:41], v[24:25]
	v_add_f64 v[197:198], v[197:198], v[205:206]
	v_add_f64 v[199:200], v[199:200], v[203:204]
	v_fma_f64 v[203:204], v[4:5], v[18:19], v[207:208]
	v_fma_f64 v[205:206], v[2:3], v[18:19], -v[20:21]
	ds_load_b128 v[2:5], v1 offset:1056
	scratch_load_b128 v[18:21], off, off offset:448
	v_fma_f64 v[40:41], v[40:41], v[22:23], v[201:202]
	v_fma_f64 v[38:39], v[38:39], v[22:23], -v[24:25]
	scratch_load_b128 v[22:25], off, off offset:464
	v_add_f64 v[197:198], v[197:198], v[193:194]
	v_add_f64 v[199:200], v[199:200], v[195:196]
	ds_load_b128 v[193:196], v1 offset:1072
	s_waitcnt vmcnt(10) lgkmcnt(1)
	v_mul_f64 v[207:208], v[2:3], v[28:29]
	v_mul_f64 v[28:29], v[4:5], v[28:29]
	s_waitcnt vmcnt(9) lgkmcnt(0)
	v_mul_f64 v[201:202], v[193:194], v[32:33]
	v_mul_f64 v[32:33], v[195:196], v[32:33]
	v_add_f64 v[197:198], v[197:198], v[205:206]
	v_add_f64 v[199:200], v[199:200], v[203:204]
	v_fma_f64 v[203:204], v[4:5], v[26:27], v[207:208]
	v_fma_f64 v[205:206], v[2:3], v[26:27], -v[28:29]
	ds_load_b128 v[2:5], v1 offset:1088
	scratch_load_b128 v[26:29], off, off offset:480
	v_fma_f64 v[195:196], v[195:196], v[30:31], v[201:202]
	v_fma_f64 v[193:194], v[193:194], v[30:31], -v[32:33]
	scratch_load_b128 v[30:33], off, off offset:496
	v_add_f64 v[197:198], v[197:198], v[38:39]
	v_add_f64 v[199:200], v[199:200], v[40:41]
	ds_load_b128 v[38:41], v1 offset:1104
	s_waitcnt vmcnt(10) lgkmcnt(1)
	v_mul_f64 v[207:208], v[2:3], v[36:37]
	v_mul_f64 v[36:37], v[4:5], v[36:37]
	s_waitcnt vmcnt(8) lgkmcnt(0)
	v_mul_f64 v[201:202], v[38:39], v[191:192]
	v_add_f64 v[197:198], v[197:198], v[205:206]
	v_add_f64 v[199:200], v[199:200], v[203:204]
	v_mul_f64 v[203:204], v[40:41], v[191:192]
	v_fma_f64 v[205:206], v[4:5], v[34:35], v[207:208]
	v_fma_f64 v[207:208], v[2:3], v[34:35], -v[36:37]
	ds_load_b128 v[2:5], v1 offset:1120
	scratch_load_b128 v[34:37], off, off offset:512
	v_fma_f64 v[201:202], v[40:41], v[189:190], v[201:202]
	v_add_f64 v[197:198], v[197:198], v[193:194]
	v_add_f64 v[195:196], v[199:200], v[195:196]
	ds_load_b128 v[191:194], v1 offset:1136
	v_fma_f64 v[189:190], v[38:39], v[189:190], -v[203:204]
	scratch_load_b128 v[38:41], off, off offset:528
	s_waitcnt vmcnt(9) lgkmcnt(1)
	v_mul_f64 v[199:200], v[2:3], v[44:45]
	v_mul_f64 v[44:45], v[4:5], v[44:45]
	s_waitcnt vmcnt(8) lgkmcnt(0)
	v_mul_f64 v[203:204], v[191:192], v[8:9]
	v_mul_f64 v[8:9], v[193:194], v[8:9]
	v_add_f64 v[197:198], v[197:198], v[207:208]
	v_add_f64 v[195:196], v[195:196], v[205:206]
	v_fma_f64 v[199:200], v[4:5], v[42:43], v[199:200]
	v_fma_f64 v[205:206], v[2:3], v[42:43], -v[44:45]
	ds_load_b128 v[2:5], v1 offset:1152
	scratch_load_b128 v[42:45], off, off offset:544
	v_fma_f64 v[193:194], v[193:194], v[6:7], v[203:204]
	v_fma_f64 v[191:192], v[191:192], v[6:7], -v[8:9]
	scratch_load_b128 v[6:9], off, off offset:560
	v_add_f64 v[189:190], v[197:198], v[189:190]
	v_add_f64 v[201:202], v[195:196], v[201:202]
	ds_load_b128 v[195:198], v1 offset:1168
	s_waitcnt vmcnt(9) lgkmcnt(1)
	v_mul_f64 v[207:208], v[2:3], v[12:13]
	v_mul_f64 v[12:13], v[4:5], v[12:13]
	v_add_f64 v[189:190], v[189:190], v[205:206]
	v_add_f64 v[199:200], v[201:202], v[199:200]
	s_waitcnt vmcnt(8) lgkmcnt(0)
	v_mul_f64 v[201:202], v[195:196], v[16:17]
	v_mul_f64 v[16:17], v[197:198], v[16:17]
	v_fma_f64 v[203:204], v[4:5], v[10:11], v[207:208]
	v_fma_f64 v[205:206], v[2:3], v[10:11], -v[12:13]
	ds_load_b128 v[2:5], v1 offset:1184
	scratch_load_b128 v[10:13], off, off offset:576
	v_add_f64 v[207:208], v[189:190], v[191:192]
	v_add_f64 v[193:194], v[199:200], v[193:194]
	ds_load_b128 v[189:192], v1 offset:1200
	s_waitcnt vmcnt(8) lgkmcnt(1)
	v_mul_f64 v[199:200], v[2:3], v[20:21]
	v_mul_f64 v[20:21], v[4:5], v[20:21]
	v_fma_f64 v[197:198], v[197:198], v[14:15], v[201:202]
	v_fma_f64 v[195:196], v[195:196], v[14:15], -v[16:17]
	scratch_load_b128 v[14:17], off, off offset:592
	v_add_f64 v[201:202], v[207:208], v[205:206]
	v_add_f64 v[193:194], v[193:194], v[203:204]
	s_waitcnt vmcnt(8) lgkmcnt(0)
	v_mul_f64 v[203:204], v[189:190], v[24:25]
	v_mul_f64 v[24:25], v[191:192], v[24:25]
	v_fma_f64 v[199:200], v[4:5], v[18:19], v[199:200]
	v_fma_f64 v[205:206], v[2:3], v[18:19], -v[20:21]
	ds_load_b128 v[2:5], v1 offset:1216
	scratch_load_b128 v[18:21], off, off offset:608
	v_add_f64 v[201:202], v[201:202], v[195:196]
	v_add_f64 v[197:198], v[193:194], v[197:198]
	ds_load_b128 v[193:196], v1 offset:1232
	s_waitcnt vmcnt(8) lgkmcnt(1)
	v_mul_f64 v[207:208], v[2:3], v[28:29]
	v_mul_f64 v[28:29], v[4:5], v[28:29]
	v_fma_f64 v[191:192], v[191:192], v[22:23], v[203:204]
	v_fma_f64 v[189:190], v[189:190], v[22:23], -v[24:25]
	scratch_load_b128 v[22:25], off, off offset:624
	;; [unrolled: 18-line block ×4, first 2 shown]
	s_waitcnt vmcnt(8) lgkmcnt(0)
	v_mul_f64 v[201:202], v[193:194], v[8:9]
	v_mul_f64 v[8:9], v[195:196], v[8:9]
	v_add_f64 v[199:200], v[199:200], v[205:206]
	v_add_f64 v[197:198], v[197:198], v[203:204]
	v_fma_f64 v[203:204], v[4:5], v[42:43], v[207:208]
	v_fma_f64 v[205:206], v[2:3], v[42:43], -v[44:45]
	ds_load_b128 v[2:5], v1 offset:1312
	scratch_load_b128 v[42:45], off, off offset:704
	v_fma_f64 v[195:196], v[195:196], v[6:7], v[201:202]
	v_fma_f64 v[193:194], v[193:194], v[6:7], -v[8:9]
	scratch_load_b128 v[6:9], off, off offset:720
	v_add_f64 v[199:200], v[199:200], v[189:190]
	v_add_f64 v[197:198], v[197:198], v[191:192]
	ds_load_b128 v[189:192], v1 offset:1328
	s_waitcnt vmcnt(9) lgkmcnt(1)
	v_mul_f64 v[207:208], v[2:3], v[12:13]
	v_mul_f64 v[12:13], v[4:5], v[12:13]
	s_waitcnt vmcnt(8) lgkmcnt(0)
	v_mul_f64 v[201:202], v[189:190], v[16:17]
	v_mul_f64 v[16:17], v[191:192], v[16:17]
	v_add_f64 v[199:200], v[199:200], v[205:206]
	v_add_f64 v[197:198], v[197:198], v[203:204]
	v_fma_f64 v[203:204], v[4:5], v[10:11], v[207:208]
	v_fma_f64 v[205:206], v[2:3], v[10:11], -v[12:13]
	ds_load_b128 v[2:5], v1 offset:1344
	ds_load_b128 v[10:13], v1 offset:1360
	v_fma_f64 v[191:192], v[191:192], v[14:15], v[201:202]
	v_fma_f64 v[14:15], v[189:190], v[14:15], -v[16:17]
	v_add_f64 v[193:194], v[199:200], v[193:194]
	v_add_f64 v[195:196], v[197:198], v[195:196]
	s_waitcnt vmcnt(7) lgkmcnt(1)
	v_mul_f64 v[197:198], v[2:3], v[20:21]
	v_mul_f64 v[20:21], v[4:5], v[20:21]
	s_delay_alu instid0(VALU_DEP_4) | instskip(NEXT) | instid1(VALU_DEP_4)
	v_add_f64 v[16:17], v[193:194], v[205:206]
	v_add_f64 v[189:190], v[195:196], v[203:204]
	s_waitcnt vmcnt(6) lgkmcnt(0)
	v_mul_f64 v[193:194], v[10:11], v[24:25]
	v_mul_f64 v[24:25], v[12:13], v[24:25]
	v_fma_f64 v[195:196], v[4:5], v[18:19], v[197:198]
	v_fma_f64 v[18:19], v[2:3], v[18:19], -v[20:21]
	v_add_f64 v[20:21], v[16:17], v[14:15]
	v_add_f64 v[189:190], v[189:190], v[191:192]
	ds_load_b128 v[2:5], v1 offset:1376
	ds_load_b128 v[14:17], v1 offset:1392
	v_fma_f64 v[12:13], v[12:13], v[22:23], v[193:194]
	v_fma_f64 v[10:11], v[10:11], v[22:23], -v[24:25]
	s_waitcnt vmcnt(5) lgkmcnt(1)
	v_mul_f64 v[191:192], v[2:3], v[28:29]
	v_mul_f64 v[28:29], v[4:5], v[28:29]
	s_waitcnt vmcnt(4) lgkmcnt(0)
	v_mul_f64 v[22:23], v[14:15], v[32:33]
	v_mul_f64 v[24:25], v[16:17], v[32:33]
	v_add_f64 v[18:19], v[20:21], v[18:19]
	v_add_f64 v[20:21], v[189:190], v[195:196]
	v_fma_f64 v[32:33], v[4:5], v[26:27], v[191:192]
	v_fma_f64 v[26:27], v[2:3], v[26:27], -v[28:29]
	v_fma_f64 v[16:17], v[16:17], v[30:31], v[22:23]
	v_fma_f64 v[14:15], v[14:15], v[30:31], -v[24:25]
	v_add_f64 v[18:19], v[18:19], v[10:11]
	v_add_f64 v[20:21], v[20:21], v[12:13]
	ds_load_b128 v[2:5], v1 offset:1408
	ds_load_b128 v[10:13], v1 offset:1424
	s_waitcnt vmcnt(3) lgkmcnt(1)
	v_mul_f64 v[28:29], v[2:3], v[36:37]
	v_mul_f64 v[36:37], v[4:5], v[36:37]
	s_waitcnt vmcnt(2) lgkmcnt(0)
	v_mul_f64 v[22:23], v[10:11], v[40:41]
	v_mul_f64 v[24:25], v[12:13], v[40:41]
	v_add_f64 v[18:19], v[18:19], v[26:27]
	v_add_f64 v[20:21], v[20:21], v[32:33]
	v_fma_f64 v[26:27], v[4:5], v[34:35], v[28:29]
	v_fma_f64 v[28:29], v[2:3], v[34:35], -v[36:37]
	v_fma_f64 v[12:13], v[12:13], v[38:39], v[22:23]
	v_fma_f64 v[10:11], v[10:11], v[38:39], -v[24:25]
	v_add_f64 v[18:19], v[18:19], v[14:15]
	v_add_f64 v[20:21], v[20:21], v[16:17]
	ds_load_b128 v[2:5], v1 offset:1440
	ds_load_b128 v[14:17], v1 offset:1456
	s_waitcnt vmcnt(1) lgkmcnt(1)
	v_mul_f64 v[30:31], v[2:3], v[44:45]
	v_mul_f64 v[32:33], v[4:5], v[44:45]
	s_waitcnt vmcnt(0) lgkmcnt(0)
	v_mul_f64 v[22:23], v[14:15], v[8:9]
	v_mul_f64 v[8:9], v[16:17], v[8:9]
	v_add_f64 v[18:19], v[18:19], v[28:29]
	v_add_f64 v[20:21], v[20:21], v[26:27]
	v_fma_f64 v[4:5], v[4:5], v[42:43], v[30:31]
	v_fma_f64 v[1:2], v[2:3], v[42:43], -v[32:33]
	v_fma_f64 v[16:17], v[16:17], v[6:7], v[22:23]
	v_fma_f64 v[6:7], v[14:15], v[6:7], -v[8:9]
	v_add_f64 v[10:11], v[18:19], v[10:11]
	v_add_f64 v[12:13], v[20:21], v[12:13]
	s_delay_alu instid0(VALU_DEP_2) | instskip(NEXT) | instid1(VALU_DEP_2)
	v_add_f64 v[1:2], v[10:11], v[1:2]
	v_add_f64 v[3:4], v[12:13], v[4:5]
	s_delay_alu instid0(VALU_DEP_2) | instskip(NEXT) | instid1(VALU_DEP_2)
	;; [unrolled: 3-line block ×3, first 2 shown]
	v_add_f64 v[1:2], v[185:186], -v[1:2]
	v_add_f64 v[3:4], v[187:188], -v[3:4]
	scratch_store_b128 off, v[1:4], off offset:208
	v_cmpx_lt_u32_e32 12, v138
	s_cbranch_execz .LBB45_265
; %bb.264:
	scratch_load_b128 v[1:4], v172, off
	v_mov_b32_e32 v5, 0
	s_delay_alu instid0(VALU_DEP_1)
	v_mov_b32_e32 v6, v5
	v_mov_b32_e32 v7, v5
	;; [unrolled: 1-line block ×3, first 2 shown]
	scratch_store_b128 off, v[5:8], off offset:192
	s_waitcnt vmcnt(0)
	ds_store_b128 v184, v[1:4]
.LBB45_265:
	s_or_b32 exec_lo, exec_lo, s2
	s_waitcnt lgkmcnt(0)
	s_waitcnt_vscnt null, 0x0
	s_barrier
	buffer_gl0_inv
	s_clause 0x7
	scratch_load_b128 v[2:5], off, off offset:208
	scratch_load_b128 v[6:9], off, off offset:224
	scratch_load_b128 v[10:13], off, off offset:240
	scratch_load_b128 v[14:17], off, off offset:256
	scratch_load_b128 v[18:21], off, off offset:272
	scratch_load_b128 v[22:25], off, off offset:288
	scratch_load_b128 v[26:29], off, off offset:304
	scratch_load_b128 v[30:33], off, off offset:320
	v_mov_b32_e32 v1, 0
	s_mov_b32 s2, exec_lo
	ds_load_b128 v[38:41], v1 offset:944
	s_clause 0x1
	scratch_load_b128 v[34:37], off, off offset:336
	scratch_load_b128 v[42:45], off, off offset:192
	ds_load_b128 v[185:188], v1 offset:960
	scratch_load_b128 v[189:192], off, off offset:352
	s_waitcnt vmcnt(10) lgkmcnt(1)
	v_mul_f64 v[193:194], v[40:41], v[4:5]
	v_mul_f64 v[4:5], v[38:39], v[4:5]
	s_delay_alu instid0(VALU_DEP_2) | instskip(NEXT) | instid1(VALU_DEP_2)
	v_fma_f64 v[199:200], v[38:39], v[2:3], -v[193:194]
	v_fma_f64 v[201:202], v[40:41], v[2:3], v[4:5]
	scratch_load_b128 v[38:41], off, off offset:368
	ds_load_b128 v[2:5], v1 offset:976
	s_waitcnt vmcnt(10) lgkmcnt(1)
	v_mul_f64 v[197:198], v[185:186], v[8:9]
	v_mul_f64 v[8:9], v[187:188], v[8:9]
	ds_load_b128 v[193:196], v1 offset:992
	s_waitcnt vmcnt(9) lgkmcnt(1)
	v_mul_f64 v[203:204], v[2:3], v[12:13]
	v_mul_f64 v[12:13], v[4:5], v[12:13]
	v_fma_f64 v[187:188], v[187:188], v[6:7], v[197:198]
	v_fma_f64 v[185:186], v[185:186], v[6:7], -v[8:9]
	v_add_f64 v[197:198], v[199:200], 0
	v_add_f64 v[199:200], v[201:202], 0
	scratch_load_b128 v[6:9], off, off offset:384
	v_fma_f64 v[203:204], v[4:5], v[10:11], v[203:204]
	v_fma_f64 v[205:206], v[2:3], v[10:11], -v[12:13]
	scratch_load_b128 v[10:13], off, off offset:400
	ds_load_b128 v[2:5], v1 offset:1008
	s_waitcnt vmcnt(10) lgkmcnt(1)
	v_mul_f64 v[201:202], v[193:194], v[16:17]
	v_mul_f64 v[16:17], v[195:196], v[16:17]
	v_add_f64 v[197:198], v[197:198], v[185:186]
	v_add_f64 v[199:200], v[199:200], v[187:188]
	s_waitcnt vmcnt(9) lgkmcnt(0)
	v_mul_f64 v[207:208], v[2:3], v[20:21]
	v_mul_f64 v[20:21], v[4:5], v[20:21]
	ds_load_b128 v[185:188], v1 offset:1024
	v_fma_f64 v[195:196], v[195:196], v[14:15], v[201:202]
	v_fma_f64 v[193:194], v[193:194], v[14:15], -v[16:17]
	scratch_load_b128 v[14:17], off, off offset:416
	v_add_f64 v[197:198], v[197:198], v[205:206]
	v_add_f64 v[199:200], v[199:200], v[203:204]
	v_fma_f64 v[203:204], v[4:5], v[18:19], v[207:208]
	v_fma_f64 v[205:206], v[2:3], v[18:19], -v[20:21]
	scratch_load_b128 v[18:21], off, off offset:432
	ds_load_b128 v[2:5], v1 offset:1040
	s_waitcnt vmcnt(10) lgkmcnt(1)
	v_mul_f64 v[201:202], v[185:186], v[24:25]
	v_mul_f64 v[24:25], v[187:188], v[24:25]
	s_waitcnt vmcnt(9) lgkmcnt(0)
	v_mul_f64 v[207:208], v[2:3], v[28:29]
	v_mul_f64 v[28:29], v[4:5], v[28:29]
	v_add_f64 v[197:198], v[197:198], v[193:194]
	v_add_f64 v[199:200], v[199:200], v[195:196]
	ds_load_b128 v[193:196], v1 offset:1056
	v_fma_f64 v[187:188], v[187:188], v[22:23], v[201:202]
	v_fma_f64 v[185:186], v[185:186], v[22:23], -v[24:25]
	scratch_load_b128 v[22:25], off, off offset:448
	v_add_f64 v[197:198], v[197:198], v[205:206]
	v_add_f64 v[199:200], v[199:200], v[203:204]
	v_fma_f64 v[203:204], v[4:5], v[26:27], v[207:208]
	v_fma_f64 v[205:206], v[2:3], v[26:27], -v[28:29]
	scratch_load_b128 v[26:29], off, off offset:464
	ds_load_b128 v[2:5], v1 offset:1072
	s_waitcnt vmcnt(10) lgkmcnt(1)
	v_mul_f64 v[201:202], v[193:194], v[32:33]
	v_mul_f64 v[32:33], v[195:196], v[32:33]
	s_waitcnt vmcnt(9) lgkmcnt(0)
	v_mul_f64 v[207:208], v[2:3], v[36:37]
	v_mul_f64 v[36:37], v[4:5], v[36:37]
	v_add_f64 v[197:198], v[197:198], v[185:186]
	v_add_f64 v[199:200], v[199:200], v[187:188]
	ds_load_b128 v[185:188], v1 offset:1088
	v_fma_f64 v[195:196], v[195:196], v[30:31], v[201:202]
	v_fma_f64 v[193:194], v[193:194], v[30:31], -v[32:33]
	scratch_load_b128 v[30:33], off, off offset:480
	v_add_f64 v[197:198], v[197:198], v[205:206]
	v_add_f64 v[199:200], v[199:200], v[203:204]
	v_fma_f64 v[205:206], v[4:5], v[34:35], v[207:208]
	v_fma_f64 v[207:208], v[2:3], v[34:35], -v[36:37]
	scratch_load_b128 v[34:37], off, off offset:496
	ds_load_b128 v[2:5], v1 offset:1104
	s_waitcnt vmcnt(9) lgkmcnt(1)
	v_mul_f64 v[201:202], v[185:186], v[191:192]
	v_mul_f64 v[203:204], v[187:188], v[191:192]
	v_add_f64 v[197:198], v[197:198], v[193:194]
	v_add_f64 v[195:196], v[199:200], v[195:196]
	ds_load_b128 v[191:194], v1 offset:1120
	v_fma_f64 v[201:202], v[187:188], v[189:190], v[201:202]
	v_fma_f64 v[189:190], v[185:186], v[189:190], -v[203:204]
	scratch_load_b128 v[185:188], off, off offset:512
	s_waitcnt vmcnt(9) lgkmcnt(1)
	v_mul_f64 v[199:200], v[2:3], v[40:41]
	v_mul_f64 v[40:41], v[4:5], v[40:41]
	v_add_f64 v[197:198], v[197:198], v[207:208]
	v_add_f64 v[195:196], v[195:196], v[205:206]
	s_delay_alu instid0(VALU_DEP_4) | instskip(NEXT) | instid1(VALU_DEP_4)
	v_fma_f64 v[199:200], v[4:5], v[38:39], v[199:200]
	v_fma_f64 v[205:206], v[2:3], v[38:39], -v[40:41]
	scratch_load_b128 v[38:41], off, off offset:528
	ds_load_b128 v[2:5], v1 offset:1136
	s_waitcnt vmcnt(9) lgkmcnt(1)
	v_mul_f64 v[203:204], v[191:192], v[8:9]
	v_mul_f64 v[8:9], v[193:194], v[8:9]
	s_waitcnt vmcnt(8) lgkmcnt(0)
	v_mul_f64 v[207:208], v[2:3], v[12:13]
	v_mul_f64 v[12:13], v[4:5], v[12:13]
	v_add_f64 v[189:190], v[197:198], v[189:190]
	v_add_f64 v[201:202], v[195:196], v[201:202]
	ds_load_b128 v[195:198], v1 offset:1152
	v_fma_f64 v[193:194], v[193:194], v[6:7], v[203:204]
	v_fma_f64 v[191:192], v[191:192], v[6:7], -v[8:9]
	scratch_load_b128 v[6:9], off, off offset:544
	v_fma_f64 v[203:204], v[4:5], v[10:11], v[207:208]
	v_add_f64 v[189:190], v[189:190], v[205:206]
	v_add_f64 v[199:200], v[201:202], v[199:200]
	v_fma_f64 v[205:206], v[2:3], v[10:11], -v[12:13]
	scratch_load_b128 v[10:13], off, off offset:560
	ds_load_b128 v[2:5], v1 offset:1168
	s_waitcnt vmcnt(9) lgkmcnt(1)
	v_mul_f64 v[201:202], v[195:196], v[16:17]
	v_mul_f64 v[16:17], v[197:198], v[16:17]
	v_add_f64 v[207:208], v[189:190], v[191:192]
	v_add_f64 v[193:194], v[199:200], v[193:194]
	s_waitcnt vmcnt(8) lgkmcnt(0)
	v_mul_f64 v[199:200], v[2:3], v[20:21]
	v_mul_f64 v[20:21], v[4:5], v[20:21]
	ds_load_b128 v[189:192], v1 offset:1184
	v_fma_f64 v[197:198], v[197:198], v[14:15], v[201:202]
	v_fma_f64 v[195:196], v[195:196], v[14:15], -v[16:17]
	scratch_load_b128 v[14:17], off, off offset:576
	v_add_f64 v[201:202], v[207:208], v[205:206]
	v_add_f64 v[193:194], v[193:194], v[203:204]
	v_fma_f64 v[199:200], v[4:5], v[18:19], v[199:200]
	v_fma_f64 v[205:206], v[2:3], v[18:19], -v[20:21]
	scratch_load_b128 v[18:21], off, off offset:592
	ds_load_b128 v[2:5], v1 offset:1200
	s_waitcnt vmcnt(9) lgkmcnt(1)
	v_mul_f64 v[203:204], v[189:190], v[24:25]
	v_mul_f64 v[24:25], v[191:192], v[24:25]
	s_waitcnt vmcnt(8) lgkmcnt(0)
	v_mul_f64 v[207:208], v[2:3], v[28:29]
	v_mul_f64 v[28:29], v[4:5], v[28:29]
	v_add_f64 v[201:202], v[201:202], v[195:196]
	v_add_f64 v[197:198], v[193:194], v[197:198]
	ds_load_b128 v[193:196], v1 offset:1216
	v_fma_f64 v[191:192], v[191:192], v[22:23], v[203:204]
	v_fma_f64 v[189:190], v[189:190], v[22:23], -v[24:25]
	scratch_load_b128 v[22:25], off, off offset:608
	v_fma_f64 v[203:204], v[4:5], v[26:27], v[207:208]
	v_add_f64 v[201:202], v[201:202], v[205:206]
	v_add_f64 v[197:198], v[197:198], v[199:200]
	v_fma_f64 v[205:206], v[2:3], v[26:27], -v[28:29]
	scratch_load_b128 v[26:29], off, off offset:624
	ds_load_b128 v[2:5], v1 offset:1232
	s_waitcnt vmcnt(9) lgkmcnt(1)
	v_mul_f64 v[199:200], v[193:194], v[32:33]
	v_mul_f64 v[32:33], v[195:196], v[32:33]
	s_waitcnt vmcnt(8) lgkmcnt(0)
	v_mul_f64 v[207:208], v[2:3], v[36:37]
	v_mul_f64 v[36:37], v[4:5], v[36:37]
	v_add_f64 v[201:202], v[201:202], v[189:190]
	v_add_f64 v[197:198], v[197:198], v[191:192]
	ds_load_b128 v[189:192], v1 offset:1248
	v_fma_f64 v[195:196], v[195:196], v[30:31], v[199:200]
	v_fma_f64 v[193:194], v[193:194], v[30:31], -v[32:33]
	scratch_load_b128 v[30:33], off, off offset:640
	v_add_f64 v[199:200], v[201:202], v[205:206]
	v_add_f64 v[197:198], v[197:198], v[203:204]
	v_fma_f64 v[203:204], v[4:5], v[34:35], v[207:208]
	v_fma_f64 v[205:206], v[2:3], v[34:35], -v[36:37]
	scratch_load_b128 v[34:37], off, off offset:656
	ds_load_b128 v[2:5], v1 offset:1264
	s_waitcnt vmcnt(9) lgkmcnt(1)
	v_mul_f64 v[201:202], v[189:190], v[187:188]
	v_mul_f64 v[187:188], v[191:192], v[187:188]
	s_waitcnt vmcnt(8) lgkmcnt(0)
	v_mul_f64 v[207:208], v[2:3], v[40:41]
	v_mul_f64 v[40:41], v[4:5], v[40:41]
	v_add_f64 v[199:200], v[199:200], v[193:194]
	v_add_f64 v[197:198], v[197:198], v[195:196]
	ds_load_b128 v[193:196], v1 offset:1280
	v_fma_f64 v[191:192], v[191:192], v[185:186], v[201:202]
	v_fma_f64 v[189:190], v[189:190], v[185:186], -v[187:188]
	scratch_load_b128 v[185:188], off, off offset:672
	v_add_f64 v[199:200], v[199:200], v[205:206]
	v_add_f64 v[197:198], v[197:198], v[203:204]
	v_fma_f64 v[203:204], v[4:5], v[38:39], v[207:208]
	;; [unrolled: 18-line block ×3, first 2 shown]
	v_fma_f64 v[205:206], v[2:3], v[10:11], -v[12:13]
	scratch_load_b128 v[10:13], off, off offset:720
	ds_load_b128 v[2:5], v1 offset:1328
	s_waitcnt vmcnt(9) lgkmcnt(1)
	v_mul_f64 v[201:202], v[189:190], v[16:17]
	v_mul_f64 v[16:17], v[191:192], v[16:17]
	s_waitcnt vmcnt(8) lgkmcnt(0)
	v_mul_f64 v[207:208], v[2:3], v[20:21]
	v_mul_f64 v[20:21], v[4:5], v[20:21]
	v_add_f64 v[199:200], v[199:200], v[193:194]
	v_add_f64 v[197:198], v[197:198], v[195:196]
	ds_load_b128 v[193:196], v1 offset:1344
	v_fma_f64 v[191:192], v[191:192], v[14:15], v[201:202]
	v_fma_f64 v[14:15], v[189:190], v[14:15], -v[16:17]
	v_add_f64 v[16:17], v[199:200], v[205:206]
	v_add_f64 v[189:190], v[197:198], v[203:204]
	s_waitcnt vmcnt(7) lgkmcnt(0)
	v_mul_f64 v[197:198], v[193:194], v[24:25]
	v_mul_f64 v[24:25], v[195:196], v[24:25]
	v_fma_f64 v[199:200], v[4:5], v[18:19], v[207:208]
	v_fma_f64 v[18:19], v[2:3], v[18:19], -v[20:21]
	v_add_f64 v[20:21], v[16:17], v[14:15]
	v_add_f64 v[189:190], v[189:190], v[191:192]
	ds_load_b128 v[2:5], v1 offset:1360
	ds_load_b128 v[14:17], v1 offset:1376
	v_fma_f64 v[195:196], v[195:196], v[22:23], v[197:198]
	v_fma_f64 v[22:23], v[193:194], v[22:23], -v[24:25]
	s_waitcnt vmcnt(6) lgkmcnt(1)
	v_mul_f64 v[191:192], v[2:3], v[28:29]
	v_mul_f64 v[28:29], v[4:5], v[28:29]
	s_waitcnt vmcnt(5) lgkmcnt(0)
	v_mul_f64 v[24:25], v[14:15], v[32:33]
	v_mul_f64 v[32:33], v[16:17], v[32:33]
	v_add_f64 v[18:19], v[20:21], v[18:19]
	v_add_f64 v[20:21], v[189:190], v[199:200]
	v_fma_f64 v[189:190], v[4:5], v[26:27], v[191:192]
	v_fma_f64 v[26:27], v[2:3], v[26:27], -v[28:29]
	v_fma_f64 v[16:17], v[16:17], v[30:31], v[24:25]
	v_fma_f64 v[14:15], v[14:15], v[30:31], -v[32:33]
	v_add_f64 v[22:23], v[18:19], v[22:23]
	v_add_f64 v[28:29], v[20:21], v[195:196]
	ds_load_b128 v[2:5], v1 offset:1392
	ds_load_b128 v[18:21], v1 offset:1408
	s_waitcnt vmcnt(4) lgkmcnt(1)
	v_mul_f64 v[191:192], v[2:3], v[36:37]
	v_mul_f64 v[36:37], v[4:5], v[36:37]
	v_add_f64 v[22:23], v[22:23], v[26:27]
	v_add_f64 v[24:25], v[28:29], v[189:190]
	s_waitcnt vmcnt(3) lgkmcnt(0)
	v_mul_f64 v[26:27], v[18:19], v[187:188]
	v_mul_f64 v[28:29], v[20:21], v[187:188]
	v_fma_f64 v[30:31], v[4:5], v[34:35], v[191:192]
	v_fma_f64 v[32:33], v[2:3], v[34:35], -v[36:37]
	v_add_f64 v[22:23], v[22:23], v[14:15]
	v_add_f64 v[24:25], v[24:25], v[16:17]
	ds_load_b128 v[2:5], v1 offset:1424
	ds_load_b128 v[14:17], v1 offset:1440
	v_fma_f64 v[20:21], v[20:21], v[185:186], v[26:27]
	v_fma_f64 v[18:19], v[18:19], v[185:186], -v[28:29]
	s_waitcnt vmcnt(2) lgkmcnt(1)
	v_mul_f64 v[34:35], v[2:3], v[40:41]
	v_mul_f64 v[36:37], v[4:5], v[40:41]
	s_waitcnt vmcnt(1) lgkmcnt(0)
	v_mul_f64 v[26:27], v[14:15], v[8:9]
	v_mul_f64 v[8:9], v[16:17], v[8:9]
	v_add_f64 v[22:23], v[22:23], v[32:33]
	v_add_f64 v[24:25], v[24:25], v[30:31]
	v_fma_f64 v[28:29], v[4:5], v[38:39], v[34:35]
	v_fma_f64 v[30:31], v[2:3], v[38:39], -v[36:37]
	ds_load_b128 v[2:5], v1 offset:1456
	v_fma_f64 v[16:17], v[16:17], v[6:7], v[26:27]
	v_fma_f64 v[6:7], v[14:15], v[6:7], -v[8:9]
	v_add_f64 v[18:19], v[22:23], v[18:19]
	v_add_f64 v[20:21], v[24:25], v[20:21]
	s_waitcnt vmcnt(0) lgkmcnt(0)
	v_mul_f64 v[22:23], v[2:3], v[12:13]
	v_mul_f64 v[12:13], v[4:5], v[12:13]
	s_delay_alu instid0(VALU_DEP_4) | instskip(NEXT) | instid1(VALU_DEP_4)
	v_add_f64 v[8:9], v[18:19], v[30:31]
	v_add_f64 v[14:15], v[20:21], v[28:29]
	s_delay_alu instid0(VALU_DEP_4) | instskip(NEXT) | instid1(VALU_DEP_4)
	v_fma_f64 v[4:5], v[4:5], v[10:11], v[22:23]
	v_fma_f64 v[2:3], v[2:3], v[10:11], -v[12:13]
	s_delay_alu instid0(VALU_DEP_4) | instskip(NEXT) | instid1(VALU_DEP_4)
	v_add_f64 v[6:7], v[8:9], v[6:7]
	v_add_f64 v[8:9], v[14:15], v[16:17]
	s_delay_alu instid0(VALU_DEP_2) | instskip(NEXT) | instid1(VALU_DEP_2)
	v_add_f64 v[2:3], v[6:7], v[2:3]
	v_add_f64 v[4:5], v[8:9], v[4:5]
	s_delay_alu instid0(VALU_DEP_2) | instskip(NEXT) | instid1(VALU_DEP_2)
	v_add_f64 v[2:3], v[42:43], -v[2:3]
	v_add_f64 v[4:5], v[44:45], -v[4:5]
	scratch_store_b128 off, v[2:5], off offset:192
	v_cmpx_lt_u32_e32 11, v138
	s_cbranch_execz .LBB45_267
; %bb.266:
	scratch_load_b128 v[5:8], v173, off
	v_mov_b32_e32 v2, v1
	v_mov_b32_e32 v3, v1
	;; [unrolled: 1-line block ×3, first 2 shown]
	scratch_store_b128 off, v[1:4], off offset:176
	s_waitcnt vmcnt(0)
	ds_store_b128 v184, v[5:8]
.LBB45_267:
	s_or_b32 exec_lo, exec_lo, s2
	s_waitcnt lgkmcnt(0)
	s_waitcnt_vscnt null, 0x0
	s_barrier
	buffer_gl0_inv
	s_clause 0x8
	scratch_load_b128 v[2:5], off, off offset:192
	scratch_load_b128 v[6:9], off, off offset:208
	;; [unrolled: 1-line block ×9, first 2 shown]
	ds_load_b128 v[42:45], v1 offset:928
	ds_load_b128 v[38:41], v1 offset:944
	s_clause 0x1
	scratch_load_b128 v[185:188], off, off offset:176
	scratch_load_b128 v[189:192], off, off offset:336
	s_mov_b32 s2, exec_lo
	s_waitcnt vmcnt(10) lgkmcnt(1)
	v_mul_f64 v[193:194], v[44:45], v[4:5]
	v_mul_f64 v[4:5], v[42:43], v[4:5]
	s_waitcnt vmcnt(9) lgkmcnt(0)
	v_mul_f64 v[197:198], v[38:39], v[8:9]
	v_mul_f64 v[8:9], v[40:41], v[8:9]
	s_delay_alu instid0(VALU_DEP_4) | instskip(NEXT) | instid1(VALU_DEP_4)
	v_fma_f64 v[199:200], v[42:43], v[2:3], -v[193:194]
	v_fma_f64 v[201:202], v[44:45], v[2:3], v[4:5]
	ds_load_b128 v[2:5], v1 offset:960
	ds_load_b128 v[193:196], v1 offset:976
	scratch_load_b128 v[42:45], off, off offset:352
	v_fma_f64 v[40:41], v[40:41], v[6:7], v[197:198]
	v_fma_f64 v[38:39], v[38:39], v[6:7], -v[8:9]
	scratch_load_b128 v[6:9], off, off offset:368
	s_waitcnt vmcnt(10) lgkmcnt(1)
	v_mul_f64 v[203:204], v[2:3], v[12:13]
	v_mul_f64 v[12:13], v[4:5], v[12:13]
	v_add_f64 v[197:198], v[199:200], 0
	v_add_f64 v[199:200], v[201:202], 0
	s_waitcnt vmcnt(9) lgkmcnt(0)
	v_mul_f64 v[201:202], v[193:194], v[16:17]
	v_mul_f64 v[16:17], v[195:196], v[16:17]
	v_fma_f64 v[203:204], v[4:5], v[10:11], v[203:204]
	v_fma_f64 v[205:206], v[2:3], v[10:11], -v[12:13]
	ds_load_b128 v[2:5], v1 offset:992
	scratch_load_b128 v[10:13], off, off offset:384
	v_add_f64 v[197:198], v[197:198], v[38:39]
	v_add_f64 v[199:200], v[199:200], v[40:41]
	ds_load_b128 v[38:41], v1 offset:1008
	v_fma_f64 v[195:196], v[195:196], v[14:15], v[201:202]
	v_fma_f64 v[193:194], v[193:194], v[14:15], -v[16:17]
	scratch_load_b128 v[14:17], off, off offset:400
	s_waitcnt vmcnt(10) lgkmcnt(1)
	v_mul_f64 v[207:208], v[2:3], v[20:21]
	v_mul_f64 v[20:21], v[4:5], v[20:21]
	s_waitcnt vmcnt(9) lgkmcnt(0)
	v_mul_f64 v[201:202], v[38:39], v[24:25]
	v_mul_f64 v[24:25], v[40:41], v[24:25]
	v_add_f64 v[197:198], v[197:198], v[205:206]
	v_add_f64 v[199:200], v[199:200], v[203:204]
	v_fma_f64 v[203:204], v[4:5], v[18:19], v[207:208]
	v_fma_f64 v[205:206], v[2:3], v[18:19], -v[20:21]
	ds_load_b128 v[2:5], v1 offset:1024
	scratch_load_b128 v[18:21], off, off offset:416
	v_fma_f64 v[40:41], v[40:41], v[22:23], v[201:202]
	v_fma_f64 v[38:39], v[38:39], v[22:23], -v[24:25]
	scratch_load_b128 v[22:25], off, off offset:432
	v_add_f64 v[197:198], v[197:198], v[193:194]
	v_add_f64 v[199:200], v[199:200], v[195:196]
	ds_load_b128 v[193:196], v1 offset:1040
	s_waitcnt vmcnt(10) lgkmcnt(1)
	v_mul_f64 v[207:208], v[2:3], v[28:29]
	v_mul_f64 v[28:29], v[4:5], v[28:29]
	s_waitcnt vmcnt(9) lgkmcnt(0)
	v_mul_f64 v[201:202], v[193:194], v[32:33]
	v_mul_f64 v[32:33], v[195:196], v[32:33]
	v_add_f64 v[197:198], v[197:198], v[205:206]
	v_add_f64 v[199:200], v[199:200], v[203:204]
	v_fma_f64 v[203:204], v[4:5], v[26:27], v[207:208]
	v_fma_f64 v[205:206], v[2:3], v[26:27], -v[28:29]
	ds_load_b128 v[2:5], v1 offset:1056
	scratch_load_b128 v[26:29], off, off offset:448
	v_fma_f64 v[195:196], v[195:196], v[30:31], v[201:202]
	v_fma_f64 v[193:194], v[193:194], v[30:31], -v[32:33]
	scratch_load_b128 v[30:33], off, off offset:464
	v_add_f64 v[197:198], v[197:198], v[38:39]
	v_add_f64 v[199:200], v[199:200], v[40:41]
	ds_load_b128 v[38:41], v1 offset:1072
	s_waitcnt vmcnt(10) lgkmcnt(1)
	v_mul_f64 v[207:208], v[2:3], v[36:37]
	v_mul_f64 v[36:37], v[4:5], v[36:37]
	s_waitcnt vmcnt(8) lgkmcnt(0)
	v_mul_f64 v[201:202], v[38:39], v[191:192]
	v_add_f64 v[197:198], v[197:198], v[205:206]
	v_add_f64 v[199:200], v[199:200], v[203:204]
	v_mul_f64 v[203:204], v[40:41], v[191:192]
	v_fma_f64 v[205:206], v[4:5], v[34:35], v[207:208]
	v_fma_f64 v[207:208], v[2:3], v[34:35], -v[36:37]
	ds_load_b128 v[2:5], v1 offset:1088
	scratch_load_b128 v[34:37], off, off offset:480
	v_fma_f64 v[201:202], v[40:41], v[189:190], v[201:202]
	v_add_f64 v[197:198], v[197:198], v[193:194]
	v_add_f64 v[195:196], v[199:200], v[195:196]
	ds_load_b128 v[191:194], v1 offset:1104
	v_fma_f64 v[189:190], v[38:39], v[189:190], -v[203:204]
	scratch_load_b128 v[38:41], off, off offset:496
	s_waitcnt vmcnt(9) lgkmcnt(1)
	v_mul_f64 v[199:200], v[2:3], v[44:45]
	v_mul_f64 v[44:45], v[4:5], v[44:45]
	s_waitcnt vmcnt(8) lgkmcnt(0)
	v_mul_f64 v[203:204], v[191:192], v[8:9]
	v_mul_f64 v[8:9], v[193:194], v[8:9]
	v_add_f64 v[197:198], v[197:198], v[207:208]
	v_add_f64 v[195:196], v[195:196], v[205:206]
	v_fma_f64 v[199:200], v[4:5], v[42:43], v[199:200]
	v_fma_f64 v[205:206], v[2:3], v[42:43], -v[44:45]
	ds_load_b128 v[2:5], v1 offset:1120
	scratch_load_b128 v[42:45], off, off offset:512
	v_fma_f64 v[193:194], v[193:194], v[6:7], v[203:204]
	v_fma_f64 v[191:192], v[191:192], v[6:7], -v[8:9]
	scratch_load_b128 v[6:9], off, off offset:528
	v_add_f64 v[189:190], v[197:198], v[189:190]
	v_add_f64 v[201:202], v[195:196], v[201:202]
	ds_load_b128 v[195:198], v1 offset:1136
	s_waitcnt vmcnt(9) lgkmcnt(1)
	v_mul_f64 v[207:208], v[2:3], v[12:13]
	v_mul_f64 v[12:13], v[4:5], v[12:13]
	v_add_f64 v[189:190], v[189:190], v[205:206]
	v_add_f64 v[199:200], v[201:202], v[199:200]
	s_waitcnt vmcnt(8) lgkmcnt(0)
	v_mul_f64 v[201:202], v[195:196], v[16:17]
	v_mul_f64 v[16:17], v[197:198], v[16:17]
	v_fma_f64 v[203:204], v[4:5], v[10:11], v[207:208]
	v_fma_f64 v[205:206], v[2:3], v[10:11], -v[12:13]
	ds_load_b128 v[2:5], v1 offset:1152
	scratch_load_b128 v[10:13], off, off offset:544
	v_add_f64 v[207:208], v[189:190], v[191:192]
	v_add_f64 v[193:194], v[199:200], v[193:194]
	ds_load_b128 v[189:192], v1 offset:1168
	s_waitcnt vmcnt(8) lgkmcnt(1)
	v_mul_f64 v[199:200], v[2:3], v[20:21]
	v_mul_f64 v[20:21], v[4:5], v[20:21]
	v_fma_f64 v[197:198], v[197:198], v[14:15], v[201:202]
	v_fma_f64 v[195:196], v[195:196], v[14:15], -v[16:17]
	scratch_load_b128 v[14:17], off, off offset:560
	v_add_f64 v[201:202], v[207:208], v[205:206]
	v_add_f64 v[193:194], v[193:194], v[203:204]
	s_waitcnt vmcnt(8) lgkmcnt(0)
	v_mul_f64 v[203:204], v[189:190], v[24:25]
	v_mul_f64 v[24:25], v[191:192], v[24:25]
	v_fma_f64 v[199:200], v[4:5], v[18:19], v[199:200]
	v_fma_f64 v[205:206], v[2:3], v[18:19], -v[20:21]
	ds_load_b128 v[2:5], v1 offset:1184
	scratch_load_b128 v[18:21], off, off offset:576
	v_add_f64 v[201:202], v[201:202], v[195:196]
	v_add_f64 v[197:198], v[193:194], v[197:198]
	ds_load_b128 v[193:196], v1 offset:1200
	s_waitcnt vmcnt(8) lgkmcnt(1)
	v_mul_f64 v[207:208], v[2:3], v[28:29]
	v_mul_f64 v[28:29], v[4:5], v[28:29]
	v_fma_f64 v[191:192], v[191:192], v[22:23], v[203:204]
	v_fma_f64 v[189:190], v[189:190], v[22:23], -v[24:25]
	scratch_load_b128 v[22:25], off, off offset:592
	;; [unrolled: 18-line block ×4, first 2 shown]
	s_waitcnt vmcnt(8) lgkmcnt(0)
	v_mul_f64 v[201:202], v[193:194], v[8:9]
	v_mul_f64 v[8:9], v[195:196], v[8:9]
	v_add_f64 v[199:200], v[199:200], v[205:206]
	v_add_f64 v[197:198], v[197:198], v[203:204]
	v_fma_f64 v[203:204], v[4:5], v[42:43], v[207:208]
	v_fma_f64 v[205:206], v[2:3], v[42:43], -v[44:45]
	ds_load_b128 v[2:5], v1 offset:1280
	scratch_load_b128 v[42:45], off, off offset:672
	v_fma_f64 v[195:196], v[195:196], v[6:7], v[201:202]
	v_fma_f64 v[193:194], v[193:194], v[6:7], -v[8:9]
	scratch_load_b128 v[6:9], off, off offset:688
	v_add_f64 v[199:200], v[199:200], v[189:190]
	v_add_f64 v[197:198], v[197:198], v[191:192]
	ds_load_b128 v[189:192], v1 offset:1296
	s_waitcnt vmcnt(9) lgkmcnt(1)
	v_mul_f64 v[207:208], v[2:3], v[12:13]
	v_mul_f64 v[12:13], v[4:5], v[12:13]
	s_waitcnt vmcnt(8) lgkmcnt(0)
	v_mul_f64 v[201:202], v[189:190], v[16:17]
	v_mul_f64 v[16:17], v[191:192], v[16:17]
	v_add_f64 v[199:200], v[199:200], v[205:206]
	v_add_f64 v[197:198], v[197:198], v[203:204]
	v_fma_f64 v[203:204], v[4:5], v[10:11], v[207:208]
	v_fma_f64 v[205:206], v[2:3], v[10:11], -v[12:13]
	ds_load_b128 v[2:5], v1 offset:1312
	scratch_load_b128 v[10:13], off, off offset:704
	v_fma_f64 v[191:192], v[191:192], v[14:15], v[201:202]
	v_fma_f64 v[189:190], v[189:190], v[14:15], -v[16:17]
	scratch_load_b128 v[14:17], off, off offset:720
	v_add_f64 v[199:200], v[199:200], v[193:194]
	v_add_f64 v[197:198], v[197:198], v[195:196]
	ds_load_b128 v[193:196], v1 offset:1328
	s_waitcnt vmcnt(9) lgkmcnt(1)
	v_mul_f64 v[207:208], v[2:3], v[20:21]
	v_mul_f64 v[20:21], v[4:5], v[20:21]
	s_waitcnt vmcnt(8) lgkmcnt(0)
	v_mul_f64 v[201:202], v[193:194], v[24:25]
	v_mul_f64 v[24:25], v[195:196], v[24:25]
	v_add_f64 v[199:200], v[199:200], v[205:206]
	v_add_f64 v[197:198], v[197:198], v[203:204]
	v_fma_f64 v[203:204], v[4:5], v[18:19], v[207:208]
	v_fma_f64 v[205:206], v[2:3], v[18:19], -v[20:21]
	ds_load_b128 v[2:5], v1 offset:1344
	ds_load_b128 v[18:21], v1 offset:1360
	v_fma_f64 v[195:196], v[195:196], v[22:23], v[201:202]
	v_fma_f64 v[22:23], v[193:194], v[22:23], -v[24:25]
	v_add_f64 v[189:190], v[199:200], v[189:190]
	v_add_f64 v[191:192], v[197:198], v[191:192]
	s_waitcnt vmcnt(7) lgkmcnt(1)
	v_mul_f64 v[197:198], v[2:3], v[28:29]
	v_mul_f64 v[28:29], v[4:5], v[28:29]
	s_delay_alu instid0(VALU_DEP_4) | instskip(NEXT) | instid1(VALU_DEP_4)
	v_add_f64 v[24:25], v[189:190], v[205:206]
	v_add_f64 v[189:190], v[191:192], v[203:204]
	s_waitcnt vmcnt(6) lgkmcnt(0)
	v_mul_f64 v[191:192], v[18:19], v[32:33]
	v_mul_f64 v[32:33], v[20:21], v[32:33]
	v_fma_f64 v[193:194], v[4:5], v[26:27], v[197:198]
	v_fma_f64 v[26:27], v[2:3], v[26:27], -v[28:29]
	v_add_f64 v[28:29], v[24:25], v[22:23]
	v_add_f64 v[189:190], v[189:190], v[195:196]
	ds_load_b128 v[2:5], v1 offset:1376
	ds_load_b128 v[22:25], v1 offset:1392
	v_fma_f64 v[20:21], v[20:21], v[30:31], v[191:192]
	v_fma_f64 v[18:19], v[18:19], v[30:31], -v[32:33]
	s_waitcnt vmcnt(5) lgkmcnt(1)
	v_mul_f64 v[195:196], v[2:3], v[36:37]
	v_mul_f64 v[36:37], v[4:5], v[36:37]
	s_waitcnt vmcnt(4) lgkmcnt(0)
	v_mul_f64 v[30:31], v[22:23], v[40:41]
	v_mul_f64 v[32:33], v[24:25], v[40:41]
	v_add_f64 v[26:27], v[28:29], v[26:27]
	v_add_f64 v[28:29], v[189:190], v[193:194]
	v_fma_f64 v[40:41], v[4:5], v[34:35], v[195:196]
	v_fma_f64 v[34:35], v[2:3], v[34:35], -v[36:37]
	v_fma_f64 v[24:25], v[24:25], v[38:39], v[30:31]
	v_fma_f64 v[22:23], v[22:23], v[38:39], -v[32:33]
	v_add_f64 v[26:27], v[26:27], v[18:19]
	v_add_f64 v[28:29], v[28:29], v[20:21]
	ds_load_b128 v[2:5], v1 offset:1408
	ds_load_b128 v[18:21], v1 offset:1424
	s_waitcnt vmcnt(3) lgkmcnt(1)
	v_mul_f64 v[36:37], v[2:3], v[44:45]
	v_mul_f64 v[44:45], v[4:5], v[44:45]
	s_waitcnt vmcnt(2) lgkmcnt(0)
	v_mul_f64 v[30:31], v[18:19], v[8:9]
	v_mul_f64 v[8:9], v[20:21], v[8:9]
	v_add_f64 v[26:27], v[26:27], v[34:35]
	v_add_f64 v[28:29], v[28:29], v[40:41]
	v_fma_f64 v[32:33], v[4:5], v[42:43], v[36:37]
	v_fma_f64 v[34:35], v[2:3], v[42:43], -v[44:45]
	v_fma_f64 v[20:21], v[20:21], v[6:7], v[30:31]
	v_fma_f64 v[6:7], v[18:19], v[6:7], -v[8:9]
	v_add_f64 v[26:27], v[26:27], v[22:23]
	v_add_f64 v[28:29], v[28:29], v[24:25]
	ds_load_b128 v[2:5], v1 offset:1440
	ds_load_b128 v[22:25], v1 offset:1456
	s_waitcnt vmcnt(1) lgkmcnt(1)
	v_mul_f64 v[36:37], v[2:3], v[12:13]
	v_mul_f64 v[12:13], v[4:5], v[12:13]
	v_add_f64 v[8:9], v[26:27], v[34:35]
	v_add_f64 v[18:19], v[28:29], v[32:33]
	s_waitcnt vmcnt(0) lgkmcnt(0)
	v_mul_f64 v[26:27], v[22:23], v[16:17]
	v_mul_f64 v[16:17], v[24:25], v[16:17]
	v_fma_f64 v[4:5], v[4:5], v[10:11], v[36:37]
	v_fma_f64 v[1:2], v[2:3], v[10:11], -v[12:13]
	v_add_f64 v[6:7], v[8:9], v[6:7]
	v_add_f64 v[8:9], v[18:19], v[20:21]
	v_fma_f64 v[10:11], v[24:25], v[14:15], v[26:27]
	v_fma_f64 v[12:13], v[22:23], v[14:15], -v[16:17]
	s_delay_alu instid0(VALU_DEP_4) | instskip(NEXT) | instid1(VALU_DEP_4)
	v_add_f64 v[1:2], v[6:7], v[1:2]
	v_add_f64 v[3:4], v[8:9], v[4:5]
	s_delay_alu instid0(VALU_DEP_2) | instskip(NEXT) | instid1(VALU_DEP_2)
	v_add_f64 v[1:2], v[1:2], v[12:13]
	v_add_f64 v[3:4], v[3:4], v[10:11]
	s_delay_alu instid0(VALU_DEP_2) | instskip(NEXT) | instid1(VALU_DEP_2)
	v_add_f64 v[1:2], v[185:186], -v[1:2]
	v_add_f64 v[3:4], v[187:188], -v[3:4]
	scratch_store_b128 off, v[1:4], off offset:176
	v_cmpx_lt_u32_e32 10, v138
	s_cbranch_execz .LBB45_269
; %bb.268:
	scratch_load_b128 v[1:4], v174, off
	v_mov_b32_e32 v5, 0
	s_delay_alu instid0(VALU_DEP_1)
	v_mov_b32_e32 v6, v5
	v_mov_b32_e32 v7, v5
	;; [unrolled: 1-line block ×3, first 2 shown]
	scratch_store_b128 off, v[5:8], off offset:160
	s_waitcnt vmcnt(0)
	ds_store_b128 v184, v[1:4]
.LBB45_269:
	s_or_b32 exec_lo, exec_lo, s2
	s_waitcnt lgkmcnt(0)
	s_waitcnt_vscnt null, 0x0
	s_barrier
	buffer_gl0_inv
	s_clause 0x7
	scratch_load_b128 v[2:5], off, off offset:176
	scratch_load_b128 v[6:9], off, off offset:192
	;; [unrolled: 1-line block ×8, first 2 shown]
	v_mov_b32_e32 v1, 0
	s_mov_b32 s2, exec_lo
	ds_load_b128 v[38:41], v1 offset:912
	s_clause 0x1
	scratch_load_b128 v[34:37], off, off offset:304
	scratch_load_b128 v[42:45], off, off offset:160
	ds_load_b128 v[185:188], v1 offset:928
	scratch_load_b128 v[189:192], off, off offset:320
	s_waitcnt vmcnt(10) lgkmcnt(1)
	v_mul_f64 v[193:194], v[40:41], v[4:5]
	v_mul_f64 v[4:5], v[38:39], v[4:5]
	s_delay_alu instid0(VALU_DEP_2) | instskip(NEXT) | instid1(VALU_DEP_2)
	v_fma_f64 v[199:200], v[38:39], v[2:3], -v[193:194]
	v_fma_f64 v[201:202], v[40:41], v[2:3], v[4:5]
	scratch_load_b128 v[38:41], off, off offset:336
	ds_load_b128 v[2:5], v1 offset:944
	s_waitcnt vmcnt(10) lgkmcnt(1)
	v_mul_f64 v[197:198], v[185:186], v[8:9]
	v_mul_f64 v[8:9], v[187:188], v[8:9]
	ds_load_b128 v[193:196], v1 offset:960
	s_waitcnt vmcnt(9) lgkmcnt(1)
	v_mul_f64 v[203:204], v[2:3], v[12:13]
	v_mul_f64 v[12:13], v[4:5], v[12:13]
	v_fma_f64 v[187:188], v[187:188], v[6:7], v[197:198]
	v_fma_f64 v[185:186], v[185:186], v[6:7], -v[8:9]
	v_add_f64 v[197:198], v[199:200], 0
	v_add_f64 v[199:200], v[201:202], 0
	scratch_load_b128 v[6:9], off, off offset:352
	v_fma_f64 v[203:204], v[4:5], v[10:11], v[203:204]
	v_fma_f64 v[205:206], v[2:3], v[10:11], -v[12:13]
	scratch_load_b128 v[10:13], off, off offset:368
	ds_load_b128 v[2:5], v1 offset:976
	s_waitcnt vmcnt(10) lgkmcnt(1)
	v_mul_f64 v[201:202], v[193:194], v[16:17]
	v_mul_f64 v[16:17], v[195:196], v[16:17]
	v_add_f64 v[197:198], v[197:198], v[185:186]
	v_add_f64 v[199:200], v[199:200], v[187:188]
	s_waitcnt vmcnt(9) lgkmcnt(0)
	v_mul_f64 v[207:208], v[2:3], v[20:21]
	v_mul_f64 v[20:21], v[4:5], v[20:21]
	ds_load_b128 v[185:188], v1 offset:992
	v_fma_f64 v[195:196], v[195:196], v[14:15], v[201:202]
	v_fma_f64 v[193:194], v[193:194], v[14:15], -v[16:17]
	scratch_load_b128 v[14:17], off, off offset:384
	v_add_f64 v[197:198], v[197:198], v[205:206]
	v_add_f64 v[199:200], v[199:200], v[203:204]
	v_fma_f64 v[203:204], v[4:5], v[18:19], v[207:208]
	v_fma_f64 v[205:206], v[2:3], v[18:19], -v[20:21]
	scratch_load_b128 v[18:21], off, off offset:400
	ds_load_b128 v[2:5], v1 offset:1008
	s_waitcnt vmcnt(10) lgkmcnt(1)
	v_mul_f64 v[201:202], v[185:186], v[24:25]
	v_mul_f64 v[24:25], v[187:188], v[24:25]
	s_waitcnt vmcnt(9) lgkmcnt(0)
	v_mul_f64 v[207:208], v[2:3], v[28:29]
	v_mul_f64 v[28:29], v[4:5], v[28:29]
	v_add_f64 v[197:198], v[197:198], v[193:194]
	v_add_f64 v[199:200], v[199:200], v[195:196]
	ds_load_b128 v[193:196], v1 offset:1024
	v_fma_f64 v[187:188], v[187:188], v[22:23], v[201:202]
	v_fma_f64 v[185:186], v[185:186], v[22:23], -v[24:25]
	scratch_load_b128 v[22:25], off, off offset:416
	v_add_f64 v[197:198], v[197:198], v[205:206]
	v_add_f64 v[199:200], v[199:200], v[203:204]
	v_fma_f64 v[203:204], v[4:5], v[26:27], v[207:208]
	v_fma_f64 v[205:206], v[2:3], v[26:27], -v[28:29]
	scratch_load_b128 v[26:29], off, off offset:432
	ds_load_b128 v[2:5], v1 offset:1040
	s_waitcnt vmcnt(10) lgkmcnt(1)
	v_mul_f64 v[201:202], v[193:194], v[32:33]
	v_mul_f64 v[32:33], v[195:196], v[32:33]
	s_waitcnt vmcnt(9) lgkmcnt(0)
	v_mul_f64 v[207:208], v[2:3], v[36:37]
	v_mul_f64 v[36:37], v[4:5], v[36:37]
	v_add_f64 v[197:198], v[197:198], v[185:186]
	v_add_f64 v[199:200], v[199:200], v[187:188]
	ds_load_b128 v[185:188], v1 offset:1056
	v_fma_f64 v[195:196], v[195:196], v[30:31], v[201:202]
	v_fma_f64 v[193:194], v[193:194], v[30:31], -v[32:33]
	scratch_load_b128 v[30:33], off, off offset:448
	v_add_f64 v[197:198], v[197:198], v[205:206]
	v_add_f64 v[199:200], v[199:200], v[203:204]
	v_fma_f64 v[205:206], v[4:5], v[34:35], v[207:208]
	v_fma_f64 v[207:208], v[2:3], v[34:35], -v[36:37]
	scratch_load_b128 v[34:37], off, off offset:464
	ds_load_b128 v[2:5], v1 offset:1072
	s_waitcnt vmcnt(9) lgkmcnt(1)
	v_mul_f64 v[201:202], v[185:186], v[191:192]
	v_mul_f64 v[203:204], v[187:188], v[191:192]
	v_add_f64 v[197:198], v[197:198], v[193:194]
	v_add_f64 v[195:196], v[199:200], v[195:196]
	ds_load_b128 v[191:194], v1 offset:1088
	v_fma_f64 v[201:202], v[187:188], v[189:190], v[201:202]
	v_fma_f64 v[189:190], v[185:186], v[189:190], -v[203:204]
	scratch_load_b128 v[185:188], off, off offset:480
	s_waitcnt vmcnt(9) lgkmcnt(1)
	v_mul_f64 v[199:200], v[2:3], v[40:41]
	v_mul_f64 v[40:41], v[4:5], v[40:41]
	v_add_f64 v[197:198], v[197:198], v[207:208]
	v_add_f64 v[195:196], v[195:196], v[205:206]
	s_delay_alu instid0(VALU_DEP_4) | instskip(NEXT) | instid1(VALU_DEP_4)
	v_fma_f64 v[199:200], v[4:5], v[38:39], v[199:200]
	v_fma_f64 v[205:206], v[2:3], v[38:39], -v[40:41]
	scratch_load_b128 v[38:41], off, off offset:496
	ds_load_b128 v[2:5], v1 offset:1104
	s_waitcnt vmcnt(9) lgkmcnt(1)
	v_mul_f64 v[203:204], v[191:192], v[8:9]
	v_mul_f64 v[8:9], v[193:194], v[8:9]
	s_waitcnt vmcnt(8) lgkmcnt(0)
	v_mul_f64 v[207:208], v[2:3], v[12:13]
	v_mul_f64 v[12:13], v[4:5], v[12:13]
	v_add_f64 v[189:190], v[197:198], v[189:190]
	v_add_f64 v[201:202], v[195:196], v[201:202]
	ds_load_b128 v[195:198], v1 offset:1120
	v_fma_f64 v[193:194], v[193:194], v[6:7], v[203:204]
	v_fma_f64 v[191:192], v[191:192], v[6:7], -v[8:9]
	scratch_load_b128 v[6:9], off, off offset:512
	v_fma_f64 v[203:204], v[4:5], v[10:11], v[207:208]
	v_add_f64 v[189:190], v[189:190], v[205:206]
	v_add_f64 v[199:200], v[201:202], v[199:200]
	v_fma_f64 v[205:206], v[2:3], v[10:11], -v[12:13]
	scratch_load_b128 v[10:13], off, off offset:528
	ds_load_b128 v[2:5], v1 offset:1136
	s_waitcnt vmcnt(9) lgkmcnt(1)
	v_mul_f64 v[201:202], v[195:196], v[16:17]
	v_mul_f64 v[16:17], v[197:198], v[16:17]
	v_add_f64 v[207:208], v[189:190], v[191:192]
	v_add_f64 v[193:194], v[199:200], v[193:194]
	s_waitcnt vmcnt(8) lgkmcnt(0)
	v_mul_f64 v[199:200], v[2:3], v[20:21]
	v_mul_f64 v[20:21], v[4:5], v[20:21]
	ds_load_b128 v[189:192], v1 offset:1152
	v_fma_f64 v[197:198], v[197:198], v[14:15], v[201:202]
	v_fma_f64 v[195:196], v[195:196], v[14:15], -v[16:17]
	scratch_load_b128 v[14:17], off, off offset:544
	v_add_f64 v[201:202], v[207:208], v[205:206]
	v_add_f64 v[193:194], v[193:194], v[203:204]
	v_fma_f64 v[199:200], v[4:5], v[18:19], v[199:200]
	v_fma_f64 v[205:206], v[2:3], v[18:19], -v[20:21]
	scratch_load_b128 v[18:21], off, off offset:560
	ds_load_b128 v[2:5], v1 offset:1168
	s_waitcnt vmcnt(9) lgkmcnt(1)
	v_mul_f64 v[203:204], v[189:190], v[24:25]
	v_mul_f64 v[24:25], v[191:192], v[24:25]
	s_waitcnt vmcnt(8) lgkmcnt(0)
	v_mul_f64 v[207:208], v[2:3], v[28:29]
	v_mul_f64 v[28:29], v[4:5], v[28:29]
	v_add_f64 v[201:202], v[201:202], v[195:196]
	v_add_f64 v[197:198], v[193:194], v[197:198]
	ds_load_b128 v[193:196], v1 offset:1184
	v_fma_f64 v[191:192], v[191:192], v[22:23], v[203:204]
	v_fma_f64 v[189:190], v[189:190], v[22:23], -v[24:25]
	scratch_load_b128 v[22:25], off, off offset:576
	v_fma_f64 v[203:204], v[4:5], v[26:27], v[207:208]
	v_add_f64 v[201:202], v[201:202], v[205:206]
	v_add_f64 v[197:198], v[197:198], v[199:200]
	v_fma_f64 v[205:206], v[2:3], v[26:27], -v[28:29]
	scratch_load_b128 v[26:29], off, off offset:592
	ds_load_b128 v[2:5], v1 offset:1200
	s_waitcnt vmcnt(9) lgkmcnt(1)
	v_mul_f64 v[199:200], v[193:194], v[32:33]
	v_mul_f64 v[32:33], v[195:196], v[32:33]
	s_waitcnt vmcnt(8) lgkmcnt(0)
	v_mul_f64 v[207:208], v[2:3], v[36:37]
	v_mul_f64 v[36:37], v[4:5], v[36:37]
	v_add_f64 v[201:202], v[201:202], v[189:190]
	v_add_f64 v[197:198], v[197:198], v[191:192]
	ds_load_b128 v[189:192], v1 offset:1216
	v_fma_f64 v[195:196], v[195:196], v[30:31], v[199:200]
	v_fma_f64 v[193:194], v[193:194], v[30:31], -v[32:33]
	scratch_load_b128 v[30:33], off, off offset:608
	v_add_f64 v[199:200], v[201:202], v[205:206]
	v_add_f64 v[197:198], v[197:198], v[203:204]
	v_fma_f64 v[203:204], v[4:5], v[34:35], v[207:208]
	v_fma_f64 v[205:206], v[2:3], v[34:35], -v[36:37]
	scratch_load_b128 v[34:37], off, off offset:624
	ds_load_b128 v[2:5], v1 offset:1232
	s_waitcnt vmcnt(9) lgkmcnt(1)
	v_mul_f64 v[201:202], v[189:190], v[187:188]
	v_mul_f64 v[187:188], v[191:192], v[187:188]
	s_waitcnt vmcnt(8) lgkmcnt(0)
	v_mul_f64 v[207:208], v[2:3], v[40:41]
	v_mul_f64 v[40:41], v[4:5], v[40:41]
	v_add_f64 v[199:200], v[199:200], v[193:194]
	v_add_f64 v[197:198], v[197:198], v[195:196]
	ds_load_b128 v[193:196], v1 offset:1248
	v_fma_f64 v[191:192], v[191:192], v[185:186], v[201:202]
	v_fma_f64 v[189:190], v[189:190], v[185:186], -v[187:188]
	scratch_load_b128 v[185:188], off, off offset:640
	v_add_f64 v[199:200], v[199:200], v[205:206]
	v_add_f64 v[197:198], v[197:198], v[203:204]
	v_fma_f64 v[203:204], v[4:5], v[38:39], v[207:208]
	;; [unrolled: 18-line block ×4, first 2 shown]
	v_fma_f64 v[205:206], v[2:3], v[18:19], -v[20:21]
	scratch_load_b128 v[18:21], off, off offset:720
	ds_load_b128 v[2:5], v1 offset:1328
	s_waitcnt vmcnt(9) lgkmcnt(1)
	v_mul_f64 v[201:202], v[193:194], v[24:25]
	v_mul_f64 v[24:25], v[195:196], v[24:25]
	s_waitcnt vmcnt(8) lgkmcnt(0)
	v_mul_f64 v[207:208], v[2:3], v[28:29]
	v_mul_f64 v[28:29], v[4:5], v[28:29]
	v_add_f64 v[199:200], v[199:200], v[189:190]
	v_add_f64 v[197:198], v[197:198], v[191:192]
	ds_load_b128 v[189:192], v1 offset:1344
	v_fma_f64 v[195:196], v[195:196], v[22:23], v[201:202]
	v_fma_f64 v[22:23], v[193:194], v[22:23], -v[24:25]
	v_add_f64 v[24:25], v[199:200], v[205:206]
	v_add_f64 v[193:194], v[197:198], v[203:204]
	s_waitcnt vmcnt(7) lgkmcnt(0)
	v_mul_f64 v[197:198], v[189:190], v[32:33]
	v_mul_f64 v[32:33], v[191:192], v[32:33]
	v_fma_f64 v[199:200], v[4:5], v[26:27], v[207:208]
	v_fma_f64 v[26:27], v[2:3], v[26:27], -v[28:29]
	v_add_f64 v[28:29], v[24:25], v[22:23]
	v_add_f64 v[193:194], v[193:194], v[195:196]
	ds_load_b128 v[2:5], v1 offset:1360
	ds_load_b128 v[22:25], v1 offset:1376
	v_fma_f64 v[191:192], v[191:192], v[30:31], v[197:198]
	v_fma_f64 v[30:31], v[189:190], v[30:31], -v[32:33]
	s_waitcnt vmcnt(6) lgkmcnt(1)
	v_mul_f64 v[195:196], v[2:3], v[36:37]
	v_mul_f64 v[36:37], v[4:5], v[36:37]
	s_waitcnt vmcnt(5) lgkmcnt(0)
	v_mul_f64 v[32:33], v[22:23], v[187:188]
	v_mul_f64 v[187:188], v[24:25], v[187:188]
	v_add_f64 v[26:27], v[28:29], v[26:27]
	v_add_f64 v[28:29], v[193:194], v[199:200]
	v_fma_f64 v[189:190], v[4:5], v[34:35], v[195:196]
	v_fma_f64 v[34:35], v[2:3], v[34:35], -v[36:37]
	v_fma_f64 v[24:25], v[24:25], v[185:186], v[32:33]
	v_fma_f64 v[22:23], v[22:23], v[185:186], -v[187:188]
	v_add_f64 v[30:31], v[26:27], v[30:31]
	v_add_f64 v[36:37], v[28:29], v[191:192]
	ds_load_b128 v[2:5], v1 offset:1392
	ds_load_b128 v[26:29], v1 offset:1408
	s_waitcnt vmcnt(4) lgkmcnt(1)
	v_mul_f64 v[191:192], v[2:3], v[40:41]
	v_mul_f64 v[40:41], v[4:5], v[40:41]
	v_add_f64 v[30:31], v[30:31], v[34:35]
	v_add_f64 v[32:33], v[36:37], v[189:190]
	s_waitcnt vmcnt(3) lgkmcnt(0)
	v_mul_f64 v[34:35], v[26:27], v[8:9]
	v_mul_f64 v[8:9], v[28:29], v[8:9]
	v_fma_f64 v[36:37], v[4:5], v[38:39], v[191:192]
	v_fma_f64 v[38:39], v[2:3], v[38:39], -v[40:41]
	v_add_f64 v[30:31], v[30:31], v[22:23]
	v_add_f64 v[32:33], v[32:33], v[24:25]
	ds_load_b128 v[2:5], v1 offset:1424
	ds_load_b128 v[22:25], v1 offset:1440
	v_fma_f64 v[28:29], v[28:29], v[6:7], v[34:35]
	v_fma_f64 v[6:7], v[26:27], v[6:7], -v[8:9]
	s_waitcnt vmcnt(2) lgkmcnt(1)
	v_mul_f64 v[40:41], v[2:3], v[12:13]
	v_mul_f64 v[12:13], v[4:5], v[12:13]
	v_add_f64 v[8:9], v[30:31], v[38:39]
	v_add_f64 v[26:27], v[32:33], v[36:37]
	s_waitcnt vmcnt(1) lgkmcnt(0)
	v_mul_f64 v[30:31], v[22:23], v[16:17]
	v_mul_f64 v[16:17], v[24:25], v[16:17]
	v_fma_f64 v[32:33], v[4:5], v[10:11], v[40:41]
	v_fma_f64 v[10:11], v[2:3], v[10:11], -v[12:13]
	ds_load_b128 v[2:5], v1 offset:1456
	v_add_f64 v[6:7], v[8:9], v[6:7]
	v_add_f64 v[8:9], v[26:27], v[28:29]
	v_fma_f64 v[24:25], v[24:25], v[14:15], v[30:31]
	v_fma_f64 v[14:15], v[22:23], v[14:15], -v[16:17]
	s_waitcnt vmcnt(0) lgkmcnt(0)
	v_mul_f64 v[12:13], v[2:3], v[20:21]
	v_mul_f64 v[20:21], v[4:5], v[20:21]
	v_add_f64 v[6:7], v[6:7], v[10:11]
	v_add_f64 v[8:9], v[8:9], v[32:33]
	s_delay_alu instid0(VALU_DEP_4) | instskip(NEXT) | instid1(VALU_DEP_4)
	v_fma_f64 v[4:5], v[4:5], v[18:19], v[12:13]
	v_fma_f64 v[2:3], v[2:3], v[18:19], -v[20:21]
	s_delay_alu instid0(VALU_DEP_4) | instskip(NEXT) | instid1(VALU_DEP_4)
	v_add_f64 v[6:7], v[6:7], v[14:15]
	v_add_f64 v[8:9], v[8:9], v[24:25]
	s_delay_alu instid0(VALU_DEP_2) | instskip(NEXT) | instid1(VALU_DEP_2)
	v_add_f64 v[2:3], v[6:7], v[2:3]
	v_add_f64 v[4:5], v[8:9], v[4:5]
	s_delay_alu instid0(VALU_DEP_2) | instskip(NEXT) | instid1(VALU_DEP_2)
	v_add_f64 v[2:3], v[42:43], -v[2:3]
	v_add_f64 v[4:5], v[44:45], -v[4:5]
	scratch_store_b128 off, v[2:5], off offset:160
	v_cmpx_lt_u32_e32 9, v138
	s_cbranch_execz .LBB45_271
; %bb.270:
	scratch_load_b128 v[5:8], v175, off
	v_mov_b32_e32 v2, v1
	v_mov_b32_e32 v3, v1
	;; [unrolled: 1-line block ×3, first 2 shown]
	scratch_store_b128 off, v[1:4], off offset:144
	s_waitcnt vmcnt(0)
	ds_store_b128 v184, v[5:8]
.LBB45_271:
	s_or_b32 exec_lo, exec_lo, s2
	s_waitcnt lgkmcnt(0)
	s_waitcnt_vscnt null, 0x0
	s_barrier
	buffer_gl0_inv
	s_clause 0x8
	scratch_load_b128 v[2:5], off, off offset:160
	scratch_load_b128 v[6:9], off, off offset:176
	scratch_load_b128 v[10:13], off, off offset:192
	scratch_load_b128 v[14:17], off, off offset:208
	scratch_load_b128 v[18:21], off, off offset:224
	scratch_load_b128 v[22:25], off, off offset:240
	scratch_load_b128 v[26:29], off, off offset:256
	scratch_load_b128 v[30:33], off, off offset:272
	scratch_load_b128 v[34:37], off, off offset:288
	ds_load_b128 v[42:45], v1 offset:896
	ds_load_b128 v[38:41], v1 offset:912
	s_clause 0x1
	scratch_load_b128 v[185:188], off, off offset:144
	scratch_load_b128 v[189:192], off, off offset:304
	s_mov_b32 s2, exec_lo
	s_waitcnt vmcnt(10) lgkmcnt(1)
	v_mul_f64 v[193:194], v[44:45], v[4:5]
	v_mul_f64 v[4:5], v[42:43], v[4:5]
	s_waitcnt vmcnt(9) lgkmcnt(0)
	v_mul_f64 v[197:198], v[38:39], v[8:9]
	v_mul_f64 v[8:9], v[40:41], v[8:9]
	s_delay_alu instid0(VALU_DEP_4) | instskip(NEXT) | instid1(VALU_DEP_4)
	v_fma_f64 v[199:200], v[42:43], v[2:3], -v[193:194]
	v_fma_f64 v[201:202], v[44:45], v[2:3], v[4:5]
	ds_load_b128 v[2:5], v1 offset:928
	ds_load_b128 v[193:196], v1 offset:944
	scratch_load_b128 v[42:45], off, off offset:320
	v_fma_f64 v[40:41], v[40:41], v[6:7], v[197:198]
	v_fma_f64 v[38:39], v[38:39], v[6:7], -v[8:9]
	scratch_load_b128 v[6:9], off, off offset:336
	s_waitcnt vmcnt(10) lgkmcnt(1)
	v_mul_f64 v[203:204], v[2:3], v[12:13]
	v_mul_f64 v[12:13], v[4:5], v[12:13]
	v_add_f64 v[197:198], v[199:200], 0
	v_add_f64 v[199:200], v[201:202], 0
	s_waitcnt vmcnt(9) lgkmcnt(0)
	v_mul_f64 v[201:202], v[193:194], v[16:17]
	v_mul_f64 v[16:17], v[195:196], v[16:17]
	v_fma_f64 v[203:204], v[4:5], v[10:11], v[203:204]
	v_fma_f64 v[205:206], v[2:3], v[10:11], -v[12:13]
	ds_load_b128 v[2:5], v1 offset:960
	scratch_load_b128 v[10:13], off, off offset:352
	v_add_f64 v[197:198], v[197:198], v[38:39]
	v_add_f64 v[199:200], v[199:200], v[40:41]
	ds_load_b128 v[38:41], v1 offset:976
	v_fma_f64 v[195:196], v[195:196], v[14:15], v[201:202]
	v_fma_f64 v[193:194], v[193:194], v[14:15], -v[16:17]
	scratch_load_b128 v[14:17], off, off offset:368
	s_waitcnt vmcnt(10) lgkmcnt(1)
	v_mul_f64 v[207:208], v[2:3], v[20:21]
	v_mul_f64 v[20:21], v[4:5], v[20:21]
	s_waitcnt vmcnt(9) lgkmcnt(0)
	v_mul_f64 v[201:202], v[38:39], v[24:25]
	v_mul_f64 v[24:25], v[40:41], v[24:25]
	v_add_f64 v[197:198], v[197:198], v[205:206]
	v_add_f64 v[199:200], v[199:200], v[203:204]
	v_fma_f64 v[203:204], v[4:5], v[18:19], v[207:208]
	v_fma_f64 v[205:206], v[2:3], v[18:19], -v[20:21]
	ds_load_b128 v[2:5], v1 offset:992
	scratch_load_b128 v[18:21], off, off offset:384
	v_fma_f64 v[40:41], v[40:41], v[22:23], v[201:202]
	v_fma_f64 v[38:39], v[38:39], v[22:23], -v[24:25]
	scratch_load_b128 v[22:25], off, off offset:400
	v_add_f64 v[197:198], v[197:198], v[193:194]
	v_add_f64 v[199:200], v[199:200], v[195:196]
	ds_load_b128 v[193:196], v1 offset:1008
	s_waitcnt vmcnt(10) lgkmcnt(1)
	v_mul_f64 v[207:208], v[2:3], v[28:29]
	v_mul_f64 v[28:29], v[4:5], v[28:29]
	s_waitcnt vmcnt(9) lgkmcnt(0)
	v_mul_f64 v[201:202], v[193:194], v[32:33]
	v_mul_f64 v[32:33], v[195:196], v[32:33]
	v_add_f64 v[197:198], v[197:198], v[205:206]
	v_add_f64 v[199:200], v[199:200], v[203:204]
	v_fma_f64 v[203:204], v[4:5], v[26:27], v[207:208]
	v_fma_f64 v[205:206], v[2:3], v[26:27], -v[28:29]
	ds_load_b128 v[2:5], v1 offset:1024
	scratch_load_b128 v[26:29], off, off offset:416
	v_fma_f64 v[195:196], v[195:196], v[30:31], v[201:202]
	v_fma_f64 v[193:194], v[193:194], v[30:31], -v[32:33]
	scratch_load_b128 v[30:33], off, off offset:432
	v_add_f64 v[197:198], v[197:198], v[38:39]
	v_add_f64 v[199:200], v[199:200], v[40:41]
	ds_load_b128 v[38:41], v1 offset:1040
	s_waitcnt vmcnt(10) lgkmcnt(1)
	v_mul_f64 v[207:208], v[2:3], v[36:37]
	v_mul_f64 v[36:37], v[4:5], v[36:37]
	s_waitcnt vmcnt(8) lgkmcnt(0)
	v_mul_f64 v[201:202], v[38:39], v[191:192]
	v_add_f64 v[197:198], v[197:198], v[205:206]
	v_add_f64 v[199:200], v[199:200], v[203:204]
	v_mul_f64 v[203:204], v[40:41], v[191:192]
	v_fma_f64 v[205:206], v[4:5], v[34:35], v[207:208]
	v_fma_f64 v[207:208], v[2:3], v[34:35], -v[36:37]
	ds_load_b128 v[2:5], v1 offset:1056
	scratch_load_b128 v[34:37], off, off offset:448
	v_fma_f64 v[201:202], v[40:41], v[189:190], v[201:202]
	v_add_f64 v[197:198], v[197:198], v[193:194]
	v_add_f64 v[195:196], v[199:200], v[195:196]
	ds_load_b128 v[191:194], v1 offset:1072
	v_fma_f64 v[189:190], v[38:39], v[189:190], -v[203:204]
	scratch_load_b128 v[38:41], off, off offset:464
	s_waitcnt vmcnt(9) lgkmcnt(1)
	v_mul_f64 v[199:200], v[2:3], v[44:45]
	v_mul_f64 v[44:45], v[4:5], v[44:45]
	s_waitcnt vmcnt(8) lgkmcnt(0)
	v_mul_f64 v[203:204], v[191:192], v[8:9]
	v_mul_f64 v[8:9], v[193:194], v[8:9]
	v_add_f64 v[197:198], v[197:198], v[207:208]
	v_add_f64 v[195:196], v[195:196], v[205:206]
	v_fma_f64 v[199:200], v[4:5], v[42:43], v[199:200]
	v_fma_f64 v[205:206], v[2:3], v[42:43], -v[44:45]
	ds_load_b128 v[2:5], v1 offset:1088
	scratch_load_b128 v[42:45], off, off offset:480
	v_fma_f64 v[193:194], v[193:194], v[6:7], v[203:204]
	v_fma_f64 v[191:192], v[191:192], v[6:7], -v[8:9]
	scratch_load_b128 v[6:9], off, off offset:496
	v_add_f64 v[189:190], v[197:198], v[189:190]
	v_add_f64 v[201:202], v[195:196], v[201:202]
	ds_load_b128 v[195:198], v1 offset:1104
	s_waitcnt vmcnt(9) lgkmcnt(1)
	v_mul_f64 v[207:208], v[2:3], v[12:13]
	v_mul_f64 v[12:13], v[4:5], v[12:13]
	v_add_f64 v[189:190], v[189:190], v[205:206]
	v_add_f64 v[199:200], v[201:202], v[199:200]
	s_waitcnt vmcnt(8) lgkmcnt(0)
	v_mul_f64 v[201:202], v[195:196], v[16:17]
	v_mul_f64 v[16:17], v[197:198], v[16:17]
	v_fma_f64 v[203:204], v[4:5], v[10:11], v[207:208]
	v_fma_f64 v[205:206], v[2:3], v[10:11], -v[12:13]
	ds_load_b128 v[2:5], v1 offset:1120
	scratch_load_b128 v[10:13], off, off offset:512
	v_add_f64 v[207:208], v[189:190], v[191:192]
	v_add_f64 v[193:194], v[199:200], v[193:194]
	ds_load_b128 v[189:192], v1 offset:1136
	s_waitcnt vmcnt(8) lgkmcnt(1)
	v_mul_f64 v[199:200], v[2:3], v[20:21]
	v_mul_f64 v[20:21], v[4:5], v[20:21]
	v_fma_f64 v[197:198], v[197:198], v[14:15], v[201:202]
	v_fma_f64 v[195:196], v[195:196], v[14:15], -v[16:17]
	scratch_load_b128 v[14:17], off, off offset:528
	v_add_f64 v[201:202], v[207:208], v[205:206]
	v_add_f64 v[193:194], v[193:194], v[203:204]
	s_waitcnt vmcnt(8) lgkmcnt(0)
	v_mul_f64 v[203:204], v[189:190], v[24:25]
	v_mul_f64 v[24:25], v[191:192], v[24:25]
	v_fma_f64 v[199:200], v[4:5], v[18:19], v[199:200]
	v_fma_f64 v[205:206], v[2:3], v[18:19], -v[20:21]
	ds_load_b128 v[2:5], v1 offset:1152
	scratch_load_b128 v[18:21], off, off offset:544
	v_add_f64 v[201:202], v[201:202], v[195:196]
	v_add_f64 v[197:198], v[193:194], v[197:198]
	ds_load_b128 v[193:196], v1 offset:1168
	s_waitcnt vmcnt(8) lgkmcnt(1)
	v_mul_f64 v[207:208], v[2:3], v[28:29]
	v_mul_f64 v[28:29], v[4:5], v[28:29]
	v_fma_f64 v[191:192], v[191:192], v[22:23], v[203:204]
	v_fma_f64 v[189:190], v[189:190], v[22:23], -v[24:25]
	scratch_load_b128 v[22:25], off, off offset:560
	;; [unrolled: 18-line block ×4, first 2 shown]
	s_waitcnt vmcnt(8) lgkmcnt(0)
	v_mul_f64 v[201:202], v[193:194], v[8:9]
	v_mul_f64 v[8:9], v[195:196], v[8:9]
	v_add_f64 v[199:200], v[199:200], v[205:206]
	v_add_f64 v[197:198], v[197:198], v[203:204]
	v_fma_f64 v[203:204], v[4:5], v[42:43], v[207:208]
	v_fma_f64 v[205:206], v[2:3], v[42:43], -v[44:45]
	ds_load_b128 v[2:5], v1 offset:1248
	scratch_load_b128 v[42:45], off, off offset:640
	v_fma_f64 v[195:196], v[195:196], v[6:7], v[201:202]
	v_fma_f64 v[193:194], v[193:194], v[6:7], -v[8:9]
	scratch_load_b128 v[6:9], off, off offset:656
	v_add_f64 v[199:200], v[199:200], v[189:190]
	v_add_f64 v[197:198], v[197:198], v[191:192]
	ds_load_b128 v[189:192], v1 offset:1264
	s_waitcnt vmcnt(9) lgkmcnt(1)
	v_mul_f64 v[207:208], v[2:3], v[12:13]
	v_mul_f64 v[12:13], v[4:5], v[12:13]
	s_waitcnt vmcnt(8) lgkmcnt(0)
	v_mul_f64 v[201:202], v[189:190], v[16:17]
	v_mul_f64 v[16:17], v[191:192], v[16:17]
	v_add_f64 v[199:200], v[199:200], v[205:206]
	v_add_f64 v[197:198], v[197:198], v[203:204]
	v_fma_f64 v[203:204], v[4:5], v[10:11], v[207:208]
	v_fma_f64 v[205:206], v[2:3], v[10:11], -v[12:13]
	ds_load_b128 v[2:5], v1 offset:1280
	scratch_load_b128 v[10:13], off, off offset:672
	v_fma_f64 v[191:192], v[191:192], v[14:15], v[201:202]
	v_fma_f64 v[189:190], v[189:190], v[14:15], -v[16:17]
	scratch_load_b128 v[14:17], off, off offset:688
	v_add_f64 v[199:200], v[199:200], v[193:194]
	v_add_f64 v[197:198], v[197:198], v[195:196]
	ds_load_b128 v[193:196], v1 offset:1296
	s_waitcnt vmcnt(9) lgkmcnt(1)
	v_mul_f64 v[207:208], v[2:3], v[20:21]
	v_mul_f64 v[20:21], v[4:5], v[20:21]
	s_waitcnt vmcnt(8) lgkmcnt(0)
	v_mul_f64 v[201:202], v[193:194], v[24:25]
	v_mul_f64 v[24:25], v[195:196], v[24:25]
	v_add_f64 v[199:200], v[199:200], v[205:206]
	v_add_f64 v[197:198], v[197:198], v[203:204]
	v_fma_f64 v[203:204], v[4:5], v[18:19], v[207:208]
	v_fma_f64 v[205:206], v[2:3], v[18:19], -v[20:21]
	ds_load_b128 v[2:5], v1 offset:1312
	scratch_load_b128 v[18:21], off, off offset:704
	v_fma_f64 v[195:196], v[195:196], v[22:23], v[201:202]
	v_fma_f64 v[193:194], v[193:194], v[22:23], -v[24:25]
	scratch_load_b128 v[22:25], off, off offset:720
	v_add_f64 v[199:200], v[199:200], v[189:190]
	v_add_f64 v[197:198], v[197:198], v[191:192]
	ds_load_b128 v[189:192], v1 offset:1328
	s_waitcnt vmcnt(9) lgkmcnt(1)
	v_mul_f64 v[207:208], v[2:3], v[28:29]
	v_mul_f64 v[28:29], v[4:5], v[28:29]
	s_waitcnt vmcnt(8) lgkmcnt(0)
	v_mul_f64 v[201:202], v[189:190], v[32:33]
	v_mul_f64 v[32:33], v[191:192], v[32:33]
	v_add_f64 v[199:200], v[199:200], v[205:206]
	v_add_f64 v[197:198], v[197:198], v[203:204]
	v_fma_f64 v[203:204], v[4:5], v[26:27], v[207:208]
	v_fma_f64 v[205:206], v[2:3], v[26:27], -v[28:29]
	ds_load_b128 v[2:5], v1 offset:1344
	ds_load_b128 v[26:29], v1 offset:1360
	v_fma_f64 v[191:192], v[191:192], v[30:31], v[201:202]
	v_fma_f64 v[30:31], v[189:190], v[30:31], -v[32:33]
	v_add_f64 v[193:194], v[199:200], v[193:194]
	v_add_f64 v[195:196], v[197:198], v[195:196]
	s_waitcnt vmcnt(7) lgkmcnt(1)
	v_mul_f64 v[197:198], v[2:3], v[36:37]
	v_mul_f64 v[36:37], v[4:5], v[36:37]
	s_delay_alu instid0(VALU_DEP_4) | instskip(NEXT) | instid1(VALU_DEP_4)
	v_add_f64 v[32:33], v[193:194], v[205:206]
	v_add_f64 v[189:190], v[195:196], v[203:204]
	s_waitcnt vmcnt(6) lgkmcnt(0)
	v_mul_f64 v[193:194], v[26:27], v[40:41]
	v_mul_f64 v[40:41], v[28:29], v[40:41]
	v_fma_f64 v[195:196], v[4:5], v[34:35], v[197:198]
	v_fma_f64 v[34:35], v[2:3], v[34:35], -v[36:37]
	v_add_f64 v[36:37], v[32:33], v[30:31]
	v_add_f64 v[189:190], v[189:190], v[191:192]
	ds_load_b128 v[2:5], v1 offset:1376
	ds_load_b128 v[30:33], v1 offset:1392
	v_fma_f64 v[28:29], v[28:29], v[38:39], v[193:194]
	v_fma_f64 v[26:27], v[26:27], v[38:39], -v[40:41]
	s_waitcnt vmcnt(5) lgkmcnt(1)
	v_mul_f64 v[191:192], v[2:3], v[44:45]
	v_mul_f64 v[44:45], v[4:5], v[44:45]
	s_waitcnt vmcnt(4) lgkmcnt(0)
	v_mul_f64 v[38:39], v[30:31], v[8:9]
	v_mul_f64 v[8:9], v[32:33], v[8:9]
	v_add_f64 v[34:35], v[36:37], v[34:35]
	v_add_f64 v[36:37], v[189:190], v[195:196]
	v_fma_f64 v[40:41], v[4:5], v[42:43], v[191:192]
	v_fma_f64 v[42:43], v[2:3], v[42:43], -v[44:45]
	v_fma_f64 v[32:33], v[32:33], v[6:7], v[38:39]
	v_fma_f64 v[6:7], v[30:31], v[6:7], -v[8:9]
	v_add_f64 v[34:35], v[34:35], v[26:27]
	v_add_f64 v[36:37], v[36:37], v[28:29]
	ds_load_b128 v[2:5], v1 offset:1408
	ds_load_b128 v[26:29], v1 offset:1424
	s_waitcnt vmcnt(3) lgkmcnt(1)
	v_mul_f64 v[44:45], v[2:3], v[12:13]
	v_mul_f64 v[12:13], v[4:5], v[12:13]
	v_add_f64 v[8:9], v[34:35], v[42:43]
	v_add_f64 v[30:31], v[36:37], v[40:41]
	s_waitcnt vmcnt(2) lgkmcnt(0)
	v_mul_f64 v[34:35], v[26:27], v[16:17]
	v_mul_f64 v[16:17], v[28:29], v[16:17]
	v_fma_f64 v[36:37], v[4:5], v[10:11], v[44:45]
	v_fma_f64 v[10:11], v[2:3], v[10:11], -v[12:13]
	v_add_f64 v[12:13], v[8:9], v[6:7]
	v_add_f64 v[30:31], v[30:31], v[32:33]
	ds_load_b128 v[2:5], v1 offset:1440
	ds_load_b128 v[6:9], v1 offset:1456
	v_fma_f64 v[28:29], v[28:29], v[14:15], v[34:35]
	v_fma_f64 v[14:15], v[26:27], v[14:15], -v[16:17]
	s_waitcnt vmcnt(1) lgkmcnt(1)
	v_mul_f64 v[32:33], v[2:3], v[20:21]
	v_mul_f64 v[20:21], v[4:5], v[20:21]
	s_waitcnt vmcnt(0) lgkmcnt(0)
	v_mul_f64 v[16:17], v[6:7], v[24:25]
	v_mul_f64 v[24:25], v[8:9], v[24:25]
	v_add_f64 v[10:11], v[12:13], v[10:11]
	v_add_f64 v[12:13], v[30:31], v[36:37]
	v_fma_f64 v[4:5], v[4:5], v[18:19], v[32:33]
	v_fma_f64 v[1:2], v[2:3], v[18:19], -v[20:21]
	v_fma_f64 v[8:9], v[8:9], v[22:23], v[16:17]
	v_fma_f64 v[6:7], v[6:7], v[22:23], -v[24:25]
	v_add_f64 v[10:11], v[10:11], v[14:15]
	v_add_f64 v[12:13], v[12:13], v[28:29]
	s_delay_alu instid0(VALU_DEP_2) | instskip(NEXT) | instid1(VALU_DEP_2)
	v_add_f64 v[1:2], v[10:11], v[1:2]
	v_add_f64 v[3:4], v[12:13], v[4:5]
	s_delay_alu instid0(VALU_DEP_2) | instskip(NEXT) | instid1(VALU_DEP_2)
	;; [unrolled: 3-line block ×3, first 2 shown]
	v_add_f64 v[1:2], v[185:186], -v[1:2]
	v_add_f64 v[3:4], v[187:188], -v[3:4]
	scratch_store_b128 off, v[1:4], off offset:144
	v_cmpx_lt_u32_e32 8, v138
	s_cbranch_execz .LBB45_273
; %bb.272:
	scratch_load_b128 v[1:4], v176, off
	v_mov_b32_e32 v5, 0
	s_delay_alu instid0(VALU_DEP_1)
	v_mov_b32_e32 v6, v5
	v_mov_b32_e32 v7, v5
	;; [unrolled: 1-line block ×3, first 2 shown]
	scratch_store_b128 off, v[5:8], off offset:128
	s_waitcnt vmcnt(0)
	ds_store_b128 v184, v[1:4]
.LBB45_273:
	s_or_b32 exec_lo, exec_lo, s2
	s_waitcnt lgkmcnt(0)
	s_waitcnt_vscnt null, 0x0
	s_barrier
	buffer_gl0_inv
	s_clause 0x7
	scratch_load_b128 v[2:5], off, off offset:144
	scratch_load_b128 v[6:9], off, off offset:160
	;; [unrolled: 1-line block ×8, first 2 shown]
	v_mov_b32_e32 v1, 0
	s_mov_b32 s2, exec_lo
	ds_load_b128 v[38:41], v1 offset:880
	s_clause 0x1
	scratch_load_b128 v[34:37], off, off offset:272
	scratch_load_b128 v[42:45], off, off offset:128
	ds_load_b128 v[185:188], v1 offset:896
	scratch_load_b128 v[189:192], off, off offset:288
	s_waitcnt vmcnt(10) lgkmcnt(1)
	v_mul_f64 v[193:194], v[40:41], v[4:5]
	v_mul_f64 v[4:5], v[38:39], v[4:5]
	s_delay_alu instid0(VALU_DEP_2) | instskip(NEXT) | instid1(VALU_DEP_2)
	v_fma_f64 v[199:200], v[38:39], v[2:3], -v[193:194]
	v_fma_f64 v[201:202], v[40:41], v[2:3], v[4:5]
	scratch_load_b128 v[38:41], off, off offset:304
	ds_load_b128 v[2:5], v1 offset:912
	s_waitcnt vmcnt(10) lgkmcnt(1)
	v_mul_f64 v[197:198], v[185:186], v[8:9]
	v_mul_f64 v[8:9], v[187:188], v[8:9]
	ds_load_b128 v[193:196], v1 offset:928
	s_waitcnt vmcnt(9) lgkmcnt(1)
	v_mul_f64 v[203:204], v[2:3], v[12:13]
	v_mul_f64 v[12:13], v[4:5], v[12:13]
	v_fma_f64 v[187:188], v[187:188], v[6:7], v[197:198]
	v_fma_f64 v[185:186], v[185:186], v[6:7], -v[8:9]
	v_add_f64 v[197:198], v[199:200], 0
	v_add_f64 v[199:200], v[201:202], 0
	scratch_load_b128 v[6:9], off, off offset:320
	v_fma_f64 v[203:204], v[4:5], v[10:11], v[203:204]
	v_fma_f64 v[205:206], v[2:3], v[10:11], -v[12:13]
	scratch_load_b128 v[10:13], off, off offset:336
	ds_load_b128 v[2:5], v1 offset:944
	s_waitcnt vmcnt(10) lgkmcnt(1)
	v_mul_f64 v[201:202], v[193:194], v[16:17]
	v_mul_f64 v[16:17], v[195:196], v[16:17]
	v_add_f64 v[197:198], v[197:198], v[185:186]
	v_add_f64 v[199:200], v[199:200], v[187:188]
	s_waitcnt vmcnt(9) lgkmcnt(0)
	v_mul_f64 v[207:208], v[2:3], v[20:21]
	v_mul_f64 v[20:21], v[4:5], v[20:21]
	ds_load_b128 v[185:188], v1 offset:960
	v_fma_f64 v[195:196], v[195:196], v[14:15], v[201:202]
	v_fma_f64 v[193:194], v[193:194], v[14:15], -v[16:17]
	scratch_load_b128 v[14:17], off, off offset:352
	v_add_f64 v[197:198], v[197:198], v[205:206]
	v_add_f64 v[199:200], v[199:200], v[203:204]
	v_fma_f64 v[203:204], v[4:5], v[18:19], v[207:208]
	v_fma_f64 v[205:206], v[2:3], v[18:19], -v[20:21]
	scratch_load_b128 v[18:21], off, off offset:368
	ds_load_b128 v[2:5], v1 offset:976
	s_waitcnt vmcnt(10) lgkmcnt(1)
	v_mul_f64 v[201:202], v[185:186], v[24:25]
	v_mul_f64 v[24:25], v[187:188], v[24:25]
	s_waitcnt vmcnt(9) lgkmcnt(0)
	v_mul_f64 v[207:208], v[2:3], v[28:29]
	v_mul_f64 v[28:29], v[4:5], v[28:29]
	v_add_f64 v[197:198], v[197:198], v[193:194]
	v_add_f64 v[199:200], v[199:200], v[195:196]
	ds_load_b128 v[193:196], v1 offset:992
	v_fma_f64 v[187:188], v[187:188], v[22:23], v[201:202]
	v_fma_f64 v[185:186], v[185:186], v[22:23], -v[24:25]
	scratch_load_b128 v[22:25], off, off offset:384
	v_add_f64 v[197:198], v[197:198], v[205:206]
	v_add_f64 v[199:200], v[199:200], v[203:204]
	v_fma_f64 v[203:204], v[4:5], v[26:27], v[207:208]
	v_fma_f64 v[205:206], v[2:3], v[26:27], -v[28:29]
	scratch_load_b128 v[26:29], off, off offset:400
	ds_load_b128 v[2:5], v1 offset:1008
	s_waitcnt vmcnt(10) lgkmcnt(1)
	v_mul_f64 v[201:202], v[193:194], v[32:33]
	v_mul_f64 v[32:33], v[195:196], v[32:33]
	s_waitcnt vmcnt(9) lgkmcnt(0)
	v_mul_f64 v[207:208], v[2:3], v[36:37]
	v_mul_f64 v[36:37], v[4:5], v[36:37]
	v_add_f64 v[197:198], v[197:198], v[185:186]
	v_add_f64 v[199:200], v[199:200], v[187:188]
	ds_load_b128 v[185:188], v1 offset:1024
	v_fma_f64 v[195:196], v[195:196], v[30:31], v[201:202]
	v_fma_f64 v[193:194], v[193:194], v[30:31], -v[32:33]
	scratch_load_b128 v[30:33], off, off offset:416
	v_add_f64 v[197:198], v[197:198], v[205:206]
	v_add_f64 v[199:200], v[199:200], v[203:204]
	v_fma_f64 v[205:206], v[4:5], v[34:35], v[207:208]
	v_fma_f64 v[207:208], v[2:3], v[34:35], -v[36:37]
	scratch_load_b128 v[34:37], off, off offset:432
	ds_load_b128 v[2:5], v1 offset:1040
	s_waitcnt vmcnt(9) lgkmcnt(1)
	v_mul_f64 v[201:202], v[185:186], v[191:192]
	v_mul_f64 v[203:204], v[187:188], v[191:192]
	v_add_f64 v[197:198], v[197:198], v[193:194]
	v_add_f64 v[195:196], v[199:200], v[195:196]
	ds_load_b128 v[191:194], v1 offset:1056
	v_fma_f64 v[201:202], v[187:188], v[189:190], v[201:202]
	v_fma_f64 v[189:190], v[185:186], v[189:190], -v[203:204]
	scratch_load_b128 v[185:188], off, off offset:448
	s_waitcnt vmcnt(9) lgkmcnt(1)
	v_mul_f64 v[199:200], v[2:3], v[40:41]
	v_mul_f64 v[40:41], v[4:5], v[40:41]
	v_add_f64 v[197:198], v[197:198], v[207:208]
	v_add_f64 v[195:196], v[195:196], v[205:206]
	s_delay_alu instid0(VALU_DEP_4) | instskip(NEXT) | instid1(VALU_DEP_4)
	v_fma_f64 v[199:200], v[4:5], v[38:39], v[199:200]
	v_fma_f64 v[205:206], v[2:3], v[38:39], -v[40:41]
	scratch_load_b128 v[38:41], off, off offset:464
	ds_load_b128 v[2:5], v1 offset:1072
	s_waitcnt vmcnt(9) lgkmcnt(1)
	v_mul_f64 v[203:204], v[191:192], v[8:9]
	v_mul_f64 v[8:9], v[193:194], v[8:9]
	s_waitcnt vmcnt(8) lgkmcnt(0)
	v_mul_f64 v[207:208], v[2:3], v[12:13]
	v_mul_f64 v[12:13], v[4:5], v[12:13]
	v_add_f64 v[189:190], v[197:198], v[189:190]
	v_add_f64 v[201:202], v[195:196], v[201:202]
	ds_load_b128 v[195:198], v1 offset:1088
	v_fma_f64 v[193:194], v[193:194], v[6:7], v[203:204]
	v_fma_f64 v[191:192], v[191:192], v[6:7], -v[8:9]
	scratch_load_b128 v[6:9], off, off offset:480
	v_fma_f64 v[203:204], v[4:5], v[10:11], v[207:208]
	v_add_f64 v[189:190], v[189:190], v[205:206]
	v_add_f64 v[199:200], v[201:202], v[199:200]
	v_fma_f64 v[205:206], v[2:3], v[10:11], -v[12:13]
	scratch_load_b128 v[10:13], off, off offset:496
	ds_load_b128 v[2:5], v1 offset:1104
	s_waitcnt vmcnt(9) lgkmcnt(1)
	v_mul_f64 v[201:202], v[195:196], v[16:17]
	v_mul_f64 v[16:17], v[197:198], v[16:17]
	v_add_f64 v[207:208], v[189:190], v[191:192]
	v_add_f64 v[193:194], v[199:200], v[193:194]
	s_waitcnt vmcnt(8) lgkmcnt(0)
	v_mul_f64 v[199:200], v[2:3], v[20:21]
	v_mul_f64 v[20:21], v[4:5], v[20:21]
	ds_load_b128 v[189:192], v1 offset:1120
	v_fma_f64 v[197:198], v[197:198], v[14:15], v[201:202]
	v_fma_f64 v[195:196], v[195:196], v[14:15], -v[16:17]
	scratch_load_b128 v[14:17], off, off offset:512
	v_add_f64 v[201:202], v[207:208], v[205:206]
	v_add_f64 v[193:194], v[193:194], v[203:204]
	v_fma_f64 v[199:200], v[4:5], v[18:19], v[199:200]
	v_fma_f64 v[205:206], v[2:3], v[18:19], -v[20:21]
	scratch_load_b128 v[18:21], off, off offset:528
	ds_load_b128 v[2:5], v1 offset:1136
	s_waitcnt vmcnt(9) lgkmcnt(1)
	v_mul_f64 v[203:204], v[189:190], v[24:25]
	v_mul_f64 v[24:25], v[191:192], v[24:25]
	s_waitcnt vmcnt(8) lgkmcnt(0)
	v_mul_f64 v[207:208], v[2:3], v[28:29]
	v_mul_f64 v[28:29], v[4:5], v[28:29]
	v_add_f64 v[201:202], v[201:202], v[195:196]
	v_add_f64 v[197:198], v[193:194], v[197:198]
	ds_load_b128 v[193:196], v1 offset:1152
	v_fma_f64 v[191:192], v[191:192], v[22:23], v[203:204]
	v_fma_f64 v[189:190], v[189:190], v[22:23], -v[24:25]
	scratch_load_b128 v[22:25], off, off offset:544
	v_fma_f64 v[203:204], v[4:5], v[26:27], v[207:208]
	v_add_f64 v[201:202], v[201:202], v[205:206]
	v_add_f64 v[197:198], v[197:198], v[199:200]
	v_fma_f64 v[205:206], v[2:3], v[26:27], -v[28:29]
	scratch_load_b128 v[26:29], off, off offset:560
	ds_load_b128 v[2:5], v1 offset:1168
	s_waitcnt vmcnt(9) lgkmcnt(1)
	v_mul_f64 v[199:200], v[193:194], v[32:33]
	v_mul_f64 v[32:33], v[195:196], v[32:33]
	s_waitcnt vmcnt(8) lgkmcnt(0)
	v_mul_f64 v[207:208], v[2:3], v[36:37]
	v_mul_f64 v[36:37], v[4:5], v[36:37]
	v_add_f64 v[201:202], v[201:202], v[189:190]
	v_add_f64 v[197:198], v[197:198], v[191:192]
	ds_load_b128 v[189:192], v1 offset:1184
	v_fma_f64 v[195:196], v[195:196], v[30:31], v[199:200]
	v_fma_f64 v[193:194], v[193:194], v[30:31], -v[32:33]
	scratch_load_b128 v[30:33], off, off offset:576
	v_add_f64 v[199:200], v[201:202], v[205:206]
	v_add_f64 v[197:198], v[197:198], v[203:204]
	v_fma_f64 v[203:204], v[4:5], v[34:35], v[207:208]
	v_fma_f64 v[205:206], v[2:3], v[34:35], -v[36:37]
	scratch_load_b128 v[34:37], off, off offset:592
	ds_load_b128 v[2:5], v1 offset:1200
	s_waitcnt vmcnt(9) lgkmcnt(1)
	v_mul_f64 v[201:202], v[189:190], v[187:188]
	v_mul_f64 v[187:188], v[191:192], v[187:188]
	s_waitcnt vmcnt(8) lgkmcnt(0)
	v_mul_f64 v[207:208], v[2:3], v[40:41]
	v_mul_f64 v[40:41], v[4:5], v[40:41]
	v_add_f64 v[199:200], v[199:200], v[193:194]
	v_add_f64 v[197:198], v[197:198], v[195:196]
	ds_load_b128 v[193:196], v1 offset:1216
	v_fma_f64 v[191:192], v[191:192], v[185:186], v[201:202]
	v_fma_f64 v[189:190], v[189:190], v[185:186], -v[187:188]
	scratch_load_b128 v[185:188], off, off offset:608
	v_add_f64 v[199:200], v[199:200], v[205:206]
	v_add_f64 v[197:198], v[197:198], v[203:204]
	v_fma_f64 v[203:204], v[4:5], v[38:39], v[207:208]
	;; [unrolled: 18-line block ×5, first 2 shown]
	v_fma_f64 v[205:206], v[2:3], v[26:27], -v[28:29]
	scratch_load_b128 v[26:29], off, off offset:720
	ds_load_b128 v[2:5], v1 offset:1328
	s_waitcnt vmcnt(9) lgkmcnt(1)
	v_mul_f64 v[201:202], v[189:190], v[32:33]
	v_mul_f64 v[32:33], v[191:192], v[32:33]
	s_waitcnt vmcnt(8) lgkmcnt(0)
	v_mul_f64 v[207:208], v[2:3], v[36:37]
	v_mul_f64 v[36:37], v[4:5], v[36:37]
	v_add_f64 v[199:200], v[199:200], v[193:194]
	v_add_f64 v[197:198], v[197:198], v[195:196]
	ds_load_b128 v[193:196], v1 offset:1344
	v_fma_f64 v[191:192], v[191:192], v[30:31], v[201:202]
	v_fma_f64 v[30:31], v[189:190], v[30:31], -v[32:33]
	v_add_f64 v[32:33], v[199:200], v[205:206]
	v_add_f64 v[189:190], v[197:198], v[203:204]
	s_waitcnt vmcnt(7) lgkmcnt(0)
	v_mul_f64 v[197:198], v[193:194], v[187:188]
	v_mul_f64 v[187:188], v[195:196], v[187:188]
	v_fma_f64 v[199:200], v[4:5], v[34:35], v[207:208]
	v_fma_f64 v[34:35], v[2:3], v[34:35], -v[36:37]
	v_add_f64 v[36:37], v[32:33], v[30:31]
	v_add_f64 v[189:190], v[189:190], v[191:192]
	ds_load_b128 v[2:5], v1 offset:1360
	ds_load_b128 v[30:33], v1 offset:1376
	v_fma_f64 v[195:196], v[195:196], v[185:186], v[197:198]
	v_fma_f64 v[185:186], v[193:194], v[185:186], -v[187:188]
	s_waitcnt vmcnt(6) lgkmcnt(1)
	v_mul_f64 v[191:192], v[2:3], v[40:41]
	v_mul_f64 v[40:41], v[4:5], v[40:41]
	s_waitcnt vmcnt(5) lgkmcnt(0)
	v_mul_f64 v[187:188], v[30:31], v[8:9]
	v_mul_f64 v[8:9], v[32:33], v[8:9]
	v_add_f64 v[34:35], v[36:37], v[34:35]
	v_add_f64 v[36:37], v[189:190], v[199:200]
	v_fma_f64 v[189:190], v[4:5], v[38:39], v[191:192]
	v_fma_f64 v[38:39], v[2:3], v[38:39], -v[40:41]
	v_fma_f64 v[32:33], v[32:33], v[6:7], v[187:188]
	v_fma_f64 v[6:7], v[30:31], v[6:7], -v[8:9]
	v_add_f64 v[40:41], v[34:35], v[185:186]
	v_add_f64 v[185:186], v[36:37], v[195:196]
	ds_load_b128 v[2:5], v1 offset:1392
	ds_load_b128 v[34:37], v1 offset:1408
	s_waitcnt vmcnt(4) lgkmcnt(1)
	v_mul_f64 v[191:192], v[2:3], v[12:13]
	v_mul_f64 v[12:13], v[4:5], v[12:13]
	v_add_f64 v[8:9], v[40:41], v[38:39]
	v_add_f64 v[30:31], v[185:186], v[189:190]
	s_waitcnt vmcnt(3) lgkmcnt(0)
	v_mul_f64 v[38:39], v[34:35], v[16:17]
	v_mul_f64 v[16:17], v[36:37], v[16:17]
	v_fma_f64 v[40:41], v[4:5], v[10:11], v[191:192]
	v_fma_f64 v[10:11], v[2:3], v[10:11], -v[12:13]
	v_add_f64 v[12:13], v[8:9], v[6:7]
	v_add_f64 v[30:31], v[30:31], v[32:33]
	ds_load_b128 v[2:5], v1 offset:1424
	ds_load_b128 v[6:9], v1 offset:1440
	v_fma_f64 v[36:37], v[36:37], v[14:15], v[38:39]
	v_fma_f64 v[14:15], v[34:35], v[14:15], -v[16:17]
	s_waitcnt vmcnt(2) lgkmcnt(1)
	v_mul_f64 v[32:33], v[2:3], v[20:21]
	v_mul_f64 v[20:21], v[4:5], v[20:21]
	s_waitcnt vmcnt(1) lgkmcnt(0)
	v_mul_f64 v[16:17], v[6:7], v[24:25]
	v_mul_f64 v[24:25], v[8:9], v[24:25]
	v_add_f64 v[10:11], v[12:13], v[10:11]
	v_add_f64 v[12:13], v[30:31], v[40:41]
	v_fma_f64 v[30:31], v[4:5], v[18:19], v[32:33]
	v_fma_f64 v[18:19], v[2:3], v[18:19], -v[20:21]
	ds_load_b128 v[2:5], v1 offset:1456
	v_fma_f64 v[8:9], v[8:9], v[22:23], v[16:17]
	v_fma_f64 v[6:7], v[6:7], v[22:23], -v[24:25]
	v_add_f64 v[10:11], v[10:11], v[14:15]
	v_add_f64 v[12:13], v[12:13], v[36:37]
	s_waitcnt vmcnt(0) lgkmcnt(0)
	v_mul_f64 v[14:15], v[2:3], v[28:29]
	v_mul_f64 v[20:21], v[4:5], v[28:29]
	s_delay_alu instid0(VALU_DEP_4) | instskip(NEXT) | instid1(VALU_DEP_4)
	v_add_f64 v[10:11], v[10:11], v[18:19]
	v_add_f64 v[12:13], v[12:13], v[30:31]
	s_delay_alu instid0(VALU_DEP_4) | instskip(NEXT) | instid1(VALU_DEP_4)
	v_fma_f64 v[4:5], v[4:5], v[26:27], v[14:15]
	v_fma_f64 v[2:3], v[2:3], v[26:27], -v[20:21]
	s_delay_alu instid0(VALU_DEP_4) | instskip(NEXT) | instid1(VALU_DEP_4)
	v_add_f64 v[6:7], v[10:11], v[6:7]
	v_add_f64 v[8:9], v[12:13], v[8:9]
	s_delay_alu instid0(VALU_DEP_2) | instskip(NEXT) | instid1(VALU_DEP_2)
	v_add_f64 v[2:3], v[6:7], v[2:3]
	v_add_f64 v[4:5], v[8:9], v[4:5]
	s_delay_alu instid0(VALU_DEP_2) | instskip(NEXT) | instid1(VALU_DEP_2)
	v_add_f64 v[2:3], v[42:43], -v[2:3]
	v_add_f64 v[4:5], v[44:45], -v[4:5]
	scratch_store_b128 off, v[2:5], off offset:128
	v_cmpx_lt_u32_e32 7, v138
	s_cbranch_execz .LBB45_275
; %bb.274:
	scratch_load_b128 v[5:8], v177, off
	v_mov_b32_e32 v2, v1
	v_mov_b32_e32 v3, v1
	;; [unrolled: 1-line block ×3, first 2 shown]
	scratch_store_b128 off, v[1:4], off offset:112
	s_waitcnt vmcnt(0)
	ds_store_b128 v184, v[5:8]
.LBB45_275:
	s_or_b32 exec_lo, exec_lo, s2
	s_waitcnt lgkmcnt(0)
	s_waitcnt_vscnt null, 0x0
	s_barrier
	buffer_gl0_inv
	s_clause 0x8
	scratch_load_b128 v[2:5], off, off offset:128
	scratch_load_b128 v[6:9], off, off offset:144
	;; [unrolled: 1-line block ×9, first 2 shown]
	ds_load_b128 v[42:45], v1 offset:864
	ds_load_b128 v[38:41], v1 offset:880
	s_clause 0x1
	scratch_load_b128 v[185:188], off, off offset:112
	scratch_load_b128 v[189:192], off, off offset:272
	s_mov_b32 s2, exec_lo
	s_waitcnt vmcnt(10) lgkmcnt(1)
	v_mul_f64 v[193:194], v[44:45], v[4:5]
	v_mul_f64 v[4:5], v[42:43], v[4:5]
	s_waitcnt vmcnt(9) lgkmcnt(0)
	v_mul_f64 v[197:198], v[38:39], v[8:9]
	v_mul_f64 v[8:9], v[40:41], v[8:9]
	s_delay_alu instid0(VALU_DEP_4) | instskip(NEXT) | instid1(VALU_DEP_4)
	v_fma_f64 v[199:200], v[42:43], v[2:3], -v[193:194]
	v_fma_f64 v[201:202], v[44:45], v[2:3], v[4:5]
	ds_load_b128 v[2:5], v1 offset:896
	ds_load_b128 v[193:196], v1 offset:912
	scratch_load_b128 v[42:45], off, off offset:288
	v_fma_f64 v[40:41], v[40:41], v[6:7], v[197:198]
	v_fma_f64 v[38:39], v[38:39], v[6:7], -v[8:9]
	scratch_load_b128 v[6:9], off, off offset:304
	s_waitcnt vmcnt(10) lgkmcnt(1)
	v_mul_f64 v[203:204], v[2:3], v[12:13]
	v_mul_f64 v[12:13], v[4:5], v[12:13]
	v_add_f64 v[197:198], v[199:200], 0
	v_add_f64 v[199:200], v[201:202], 0
	s_waitcnt vmcnt(9) lgkmcnt(0)
	v_mul_f64 v[201:202], v[193:194], v[16:17]
	v_mul_f64 v[16:17], v[195:196], v[16:17]
	v_fma_f64 v[203:204], v[4:5], v[10:11], v[203:204]
	v_fma_f64 v[205:206], v[2:3], v[10:11], -v[12:13]
	ds_load_b128 v[2:5], v1 offset:928
	scratch_load_b128 v[10:13], off, off offset:320
	v_add_f64 v[197:198], v[197:198], v[38:39]
	v_add_f64 v[199:200], v[199:200], v[40:41]
	ds_load_b128 v[38:41], v1 offset:944
	v_fma_f64 v[195:196], v[195:196], v[14:15], v[201:202]
	v_fma_f64 v[193:194], v[193:194], v[14:15], -v[16:17]
	scratch_load_b128 v[14:17], off, off offset:336
	s_waitcnt vmcnt(10) lgkmcnt(1)
	v_mul_f64 v[207:208], v[2:3], v[20:21]
	v_mul_f64 v[20:21], v[4:5], v[20:21]
	s_waitcnt vmcnt(9) lgkmcnt(0)
	v_mul_f64 v[201:202], v[38:39], v[24:25]
	v_mul_f64 v[24:25], v[40:41], v[24:25]
	v_add_f64 v[197:198], v[197:198], v[205:206]
	v_add_f64 v[199:200], v[199:200], v[203:204]
	v_fma_f64 v[203:204], v[4:5], v[18:19], v[207:208]
	v_fma_f64 v[205:206], v[2:3], v[18:19], -v[20:21]
	ds_load_b128 v[2:5], v1 offset:960
	scratch_load_b128 v[18:21], off, off offset:352
	v_fma_f64 v[40:41], v[40:41], v[22:23], v[201:202]
	v_fma_f64 v[38:39], v[38:39], v[22:23], -v[24:25]
	scratch_load_b128 v[22:25], off, off offset:368
	v_add_f64 v[197:198], v[197:198], v[193:194]
	v_add_f64 v[199:200], v[199:200], v[195:196]
	ds_load_b128 v[193:196], v1 offset:976
	s_waitcnt vmcnt(10) lgkmcnt(1)
	v_mul_f64 v[207:208], v[2:3], v[28:29]
	v_mul_f64 v[28:29], v[4:5], v[28:29]
	s_waitcnt vmcnt(9) lgkmcnt(0)
	v_mul_f64 v[201:202], v[193:194], v[32:33]
	v_mul_f64 v[32:33], v[195:196], v[32:33]
	v_add_f64 v[197:198], v[197:198], v[205:206]
	v_add_f64 v[199:200], v[199:200], v[203:204]
	v_fma_f64 v[203:204], v[4:5], v[26:27], v[207:208]
	v_fma_f64 v[205:206], v[2:3], v[26:27], -v[28:29]
	ds_load_b128 v[2:5], v1 offset:992
	scratch_load_b128 v[26:29], off, off offset:384
	v_fma_f64 v[195:196], v[195:196], v[30:31], v[201:202]
	v_fma_f64 v[193:194], v[193:194], v[30:31], -v[32:33]
	scratch_load_b128 v[30:33], off, off offset:400
	v_add_f64 v[197:198], v[197:198], v[38:39]
	v_add_f64 v[199:200], v[199:200], v[40:41]
	ds_load_b128 v[38:41], v1 offset:1008
	s_waitcnt vmcnt(10) lgkmcnt(1)
	v_mul_f64 v[207:208], v[2:3], v[36:37]
	v_mul_f64 v[36:37], v[4:5], v[36:37]
	s_waitcnt vmcnt(8) lgkmcnt(0)
	v_mul_f64 v[201:202], v[38:39], v[191:192]
	v_add_f64 v[197:198], v[197:198], v[205:206]
	v_add_f64 v[199:200], v[199:200], v[203:204]
	v_mul_f64 v[203:204], v[40:41], v[191:192]
	v_fma_f64 v[205:206], v[4:5], v[34:35], v[207:208]
	v_fma_f64 v[207:208], v[2:3], v[34:35], -v[36:37]
	ds_load_b128 v[2:5], v1 offset:1024
	scratch_load_b128 v[34:37], off, off offset:416
	v_fma_f64 v[201:202], v[40:41], v[189:190], v[201:202]
	v_add_f64 v[197:198], v[197:198], v[193:194]
	v_add_f64 v[195:196], v[199:200], v[195:196]
	ds_load_b128 v[191:194], v1 offset:1040
	v_fma_f64 v[189:190], v[38:39], v[189:190], -v[203:204]
	scratch_load_b128 v[38:41], off, off offset:432
	s_waitcnt vmcnt(9) lgkmcnt(1)
	v_mul_f64 v[199:200], v[2:3], v[44:45]
	v_mul_f64 v[44:45], v[4:5], v[44:45]
	s_waitcnt vmcnt(8) lgkmcnt(0)
	v_mul_f64 v[203:204], v[191:192], v[8:9]
	v_mul_f64 v[8:9], v[193:194], v[8:9]
	v_add_f64 v[197:198], v[197:198], v[207:208]
	v_add_f64 v[195:196], v[195:196], v[205:206]
	v_fma_f64 v[199:200], v[4:5], v[42:43], v[199:200]
	v_fma_f64 v[205:206], v[2:3], v[42:43], -v[44:45]
	ds_load_b128 v[2:5], v1 offset:1056
	scratch_load_b128 v[42:45], off, off offset:448
	v_fma_f64 v[193:194], v[193:194], v[6:7], v[203:204]
	v_fma_f64 v[191:192], v[191:192], v[6:7], -v[8:9]
	scratch_load_b128 v[6:9], off, off offset:464
	v_add_f64 v[189:190], v[197:198], v[189:190]
	v_add_f64 v[201:202], v[195:196], v[201:202]
	ds_load_b128 v[195:198], v1 offset:1072
	s_waitcnt vmcnt(9) lgkmcnt(1)
	v_mul_f64 v[207:208], v[2:3], v[12:13]
	v_mul_f64 v[12:13], v[4:5], v[12:13]
	v_add_f64 v[189:190], v[189:190], v[205:206]
	v_add_f64 v[199:200], v[201:202], v[199:200]
	s_waitcnt vmcnt(8) lgkmcnt(0)
	v_mul_f64 v[201:202], v[195:196], v[16:17]
	v_mul_f64 v[16:17], v[197:198], v[16:17]
	v_fma_f64 v[203:204], v[4:5], v[10:11], v[207:208]
	v_fma_f64 v[205:206], v[2:3], v[10:11], -v[12:13]
	ds_load_b128 v[2:5], v1 offset:1088
	scratch_load_b128 v[10:13], off, off offset:480
	v_add_f64 v[207:208], v[189:190], v[191:192]
	v_add_f64 v[193:194], v[199:200], v[193:194]
	ds_load_b128 v[189:192], v1 offset:1104
	s_waitcnt vmcnt(8) lgkmcnt(1)
	v_mul_f64 v[199:200], v[2:3], v[20:21]
	v_mul_f64 v[20:21], v[4:5], v[20:21]
	v_fma_f64 v[197:198], v[197:198], v[14:15], v[201:202]
	v_fma_f64 v[195:196], v[195:196], v[14:15], -v[16:17]
	scratch_load_b128 v[14:17], off, off offset:496
	v_add_f64 v[201:202], v[207:208], v[205:206]
	v_add_f64 v[193:194], v[193:194], v[203:204]
	s_waitcnt vmcnt(8) lgkmcnt(0)
	v_mul_f64 v[203:204], v[189:190], v[24:25]
	v_mul_f64 v[24:25], v[191:192], v[24:25]
	v_fma_f64 v[199:200], v[4:5], v[18:19], v[199:200]
	v_fma_f64 v[205:206], v[2:3], v[18:19], -v[20:21]
	ds_load_b128 v[2:5], v1 offset:1120
	scratch_load_b128 v[18:21], off, off offset:512
	v_add_f64 v[201:202], v[201:202], v[195:196]
	v_add_f64 v[197:198], v[193:194], v[197:198]
	ds_load_b128 v[193:196], v1 offset:1136
	s_waitcnt vmcnt(8) lgkmcnt(1)
	v_mul_f64 v[207:208], v[2:3], v[28:29]
	v_mul_f64 v[28:29], v[4:5], v[28:29]
	v_fma_f64 v[191:192], v[191:192], v[22:23], v[203:204]
	v_fma_f64 v[189:190], v[189:190], v[22:23], -v[24:25]
	scratch_load_b128 v[22:25], off, off offset:528
	;; [unrolled: 18-line block ×4, first 2 shown]
	s_waitcnt vmcnt(8) lgkmcnt(0)
	v_mul_f64 v[201:202], v[193:194], v[8:9]
	v_mul_f64 v[8:9], v[195:196], v[8:9]
	v_add_f64 v[199:200], v[199:200], v[205:206]
	v_add_f64 v[197:198], v[197:198], v[203:204]
	v_fma_f64 v[203:204], v[4:5], v[42:43], v[207:208]
	v_fma_f64 v[205:206], v[2:3], v[42:43], -v[44:45]
	ds_load_b128 v[2:5], v1 offset:1216
	scratch_load_b128 v[42:45], off, off offset:608
	v_fma_f64 v[195:196], v[195:196], v[6:7], v[201:202]
	v_fma_f64 v[193:194], v[193:194], v[6:7], -v[8:9]
	scratch_load_b128 v[6:9], off, off offset:624
	v_add_f64 v[199:200], v[199:200], v[189:190]
	v_add_f64 v[197:198], v[197:198], v[191:192]
	ds_load_b128 v[189:192], v1 offset:1232
	s_waitcnt vmcnt(9) lgkmcnt(1)
	v_mul_f64 v[207:208], v[2:3], v[12:13]
	v_mul_f64 v[12:13], v[4:5], v[12:13]
	s_waitcnt vmcnt(8) lgkmcnt(0)
	v_mul_f64 v[201:202], v[189:190], v[16:17]
	v_mul_f64 v[16:17], v[191:192], v[16:17]
	v_add_f64 v[199:200], v[199:200], v[205:206]
	v_add_f64 v[197:198], v[197:198], v[203:204]
	v_fma_f64 v[203:204], v[4:5], v[10:11], v[207:208]
	v_fma_f64 v[205:206], v[2:3], v[10:11], -v[12:13]
	ds_load_b128 v[2:5], v1 offset:1248
	scratch_load_b128 v[10:13], off, off offset:640
	v_fma_f64 v[191:192], v[191:192], v[14:15], v[201:202]
	v_fma_f64 v[189:190], v[189:190], v[14:15], -v[16:17]
	scratch_load_b128 v[14:17], off, off offset:656
	v_add_f64 v[199:200], v[199:200], v[193:194]
	v_add_f64 v[197:198], v[197:198], v[195:196]
	ds_load_b128 v[193:196], v1 offset:1264
	s_waitcnt vmcnt(9) lgkmcnt(1)
	v_mul_f64 v[207:208], v[2:3], v[20:21]
	v_mul_f64 v[20:21], v[4:5], v[20:21]
	;; [unrolled: 18-line block ×4, first 2 shown]
	s_waitcnt vmcnt(8) lgkmcnt(0)
	v_mul_f64 v[201:202], v[193:194], v[40:41]
	v_mul_f64 v[40:41], v[195:196], v[40:41]
	v_add_f64 v[199:200], v[199:200], v[205:206]
	v_add_f64 v[197:198], v[197:198], v[203:204]
	v_fma_f64 v[203:204], v[4:5], v[34:35], v[207:208]
	v_fma_f64 v[205:206], v[2:3], v[34:35], -v[36:37]
	ds_load_b128 v[2:5], v1 offset:1344
	ds_load_b128 v[34:37], v1 offset:1360
	v_fma_f64 v[195:196], v[195:196], v[38:39], v[201:202]
	v_fma_f64 v[38:39], v[193:194], v[38:39], -v[40:41]
	v_add_f64 v[189:190], v[199:200], v[189:190]
	v_add_f64 v[191:192], v[197:198], v[191:192]
	s_waitcnt vmcnt(7) lgkmcnt(1)
	v_mul_f64 v[197:198], v[2:3], v[44:45]
	v_mul_f64 v[44:45], v[4:5], v[44:45]
	s_delay_alu instid0(VALU_DEP_4) | instskip(NEXT) | instid1(VALU_DEP_4)
	v_add_f64 v[40:41], v[189:190], v[205:206]
	v_add_f64 v[189:190], v[191:192], v[203:204]
	s_waitcnt vmcnt(6) lgkmcnt(0)
	v_mul_f64 v[191:192], v[34:35], v[8:9]
	v_mul_f64 v[8:9], v[36:37], v[8:9]
	v_fma_f64 v[193:194], v[4:5], v[42:43], v[197:198]
	v_fma_f64 v[42:43], v[2:3], v[42:43], -v[44:45]
	v_add_f64 v[44:45], v[40:41], v[38:39]
	v_add_f64 v[189:190], v[189:190], v[195:196]
	ds_load_b128 v[2:5], v1 offset:1376
	ds_load_b128 v[38:41], v1 offset:1392
	v_fma_f64 v[36:37], v[36:37], v[6:7], v[191:192]
	v_fma_f64 v[6:7], v[34:35], v[6:7], -v[8:9]
	s_waitcnt vmcnt(5) lgkmcnt(1)
	v_mul_f64 v[195:196], v[2:3], v[12:13]
	v_mul_f64 v[12:13], v[4:5], v[12:13]
	v_add_f64 v[8:9], v[44:45], v[42:43]
	v_add_f64 v[34:35], v[189:190], v[193:194]
	s_waitcnt vmcnt(4) lgkmcnt(0)
	v_mul_f64 v[42:43], v[38:39], v[16:17]
	v_mul_f64 v[16:17], v[40:41], v[16:17]
	v_fma_f64 v[44:45], v[4:5], v[10:11], v[195:196]
	v_fma_f64 v[10:11], v[2:3], v[10:11], -v[12:13]
	v_add_f64 v[12:13], v[8:9], v[6:7]
	v_add_f64 v[34:35], v[34:35], v[36:37]
	ds_load_b128 v[2:5], v1 offset:1408
	ds_load_b128 v[6:9], v1 offset:1424
	v_fma_f64 v[40:41], v[40:41], v[14:15], v[42:43]
	v_fma_f64 v[14:15], v[38:39], v[14:15], -v[16:17]
	s_waitcnt vmcnt(3) lgkmcnt(1)
	v_mul_f64 v[36:37], v[2:3], v[20:21]
	v_mul_f64 v[20:21], v[4:5], v[20:21]
	s_waitcnt vmcnt(2) lgkmcnt(0)
	v_mul_f64 v[16:17], v[6:7], v[24:25]
	v_mul_f64 v[24:25], v[8:9], v[24:25]
	v_add_f64 v[10:11], v[12:13], v[10:11]
	v_add_f64 v[12:13], v[34:35], v[44:45]
	v_fma_f64 v[34:35], v[4:5], v[18:19], v[36:37]
	v_fma_f64 v[18:19], v[2:3], v[18:19], -v[20:21]
	v_fma_f64 v[8:9], v[8:9], v[22:23], v[16:17]
	v_fma_f64 v[6:7], v[6:7], v[22:23], -v[24:25]
	v_add_f64 v[14:15], v[10:11], v[14:15]
	v_add_f64 v[20:21], v[12:13], v[40:41]
	ds_load_b128 v[2:5], v1 offset:1440
	ds_load_b128 v[10:13], v1 offset:1456
	s_waitcnt vmcnt(1) lgkmcnt(1)
	v_mul_f64 v[36:37], v[2:3], v[28:29]
	v_mul_f64 v[28:29], v[4:5], v[28:29]
	v_add_f64 v[14:15], v[14:15], v[18:19]
	v_add_f64 v[16:17], v[20:21], v[34:35]
	s_waitcnt vmcnt(0) lgkmcnt(0)
	v_mul_f64 v[18:19], v[10:11], v[32:33]
	v_mul_f64 v[20:21], v[12:13], v[32:33]
	v_fma_f64 v[4:5], v[4:5], v[26:27], v[36:37]
	v_fma_f64 v[1:2], v[2:3], v[26:27], -v[28:29]
	v_add_f64 v[6:7], v[14:15], v[6:7]
	v_add_f64 v[8:9], v[16:17], v[8:9]
	v_fma_f64 v[12:13], v[12:13], v[30:31], v[18:19]
	v_fma_f64 v[10:11], v[10:11], v[30:31], -v[20:21]
	s_delay_alu instid0(VALU_DEP_4) | instskip(NEXT) | instid1(VALU_DEP_4)
	v_add_f64 v[1:2], v[6:7], v[1:2]
	v_add_f64 v[3:4], v[8:9], v[4:5]
	s_delay_alu instid0(VALU_DEP_2) | instskip(NEXT) | instid1(VALU_DEP_2)
	v_add_f64 v[1:2], v[1:2], v[10:11]
	v_add_f64 v[3:4], v[3:4], v[12:13]
	s_delay_alu instid0(VALU_DEP_2) | instskip(NEXT) | instid1(VALU_DEP_2)
	v_add_f64 v[1:2], v[185:186], -v[1:2]
	v_add_f64 v[3:4], v[187:188], -v[3:4]
	scratch_store_b128 off, v[1:4], off offset:112
	v_cmpx_lt_u32_e32 6, v138
	s_cbranch_execz .LBB45_277
; %bb.276:
	scratch_load_b128 v[1:4], v178, off
	v_mov_b32_e32 v5, 0
	s_delay_alu instid0(VALU_DEP_1)
	v_mov_b32_e32 v6, v5
	v_mov_b32_e32 v7, v5
	;; [unrolled: 1-line block ×3, first 2 shown]
	scratch_store_b128 off, v[5:8], off offset:96
	s_waitcnt vmcnt(0)
	ds_store_b128 v184, v[1:4]
.LBB45_277:
	s_or_b32 exec_lo, exec_lo, s2
	s_waitcnt lgkmcnt(0)
	s_waitcnt_vscnt null, 0x0
	s_barrier
	buffer_gl0_inv
	s_clause 0x7
	scratch_load_b128 v[2:5], off, off offset:112
	scratch_load_b128 v[6:9], off, off offset:128
	;; [unrolled: 1-line block ×8, first 2 shown]
	v_mov_b32_e32 v1, 0
	s_mov_b32 s2, exec_lo
	ds_load_b128 v[38:41], v1 offset:848
	s_clause 0x1
	scratch_load_b128 v[34:37], off, off offset:240
	scratch_load_b128 v[42:45], off, off offset:96
	ds_load_b128 v[185:188], v1 offset:864
	scratch_load_b128 v[189:192], off, off offset:256
	s_waitcnt vmcnt(10) lgkmcnt(1)
	v_mul_f64 v[193:194], v[40:41], v[4:5]
	v_mul_f64 v[4:5], v[38:39], v[4:5]
	s_delay_alu instid0(VALU_DEP_2) | instskip(NEXT) | instid1(VALU_DEP_2)
	v_fma_f64 v[199:200], v[38:39], v[2:3], -v[193:194]
	v_fma_f64 v[201:202], v[40:41], v[2:3], v[4:5]
	scratch_load_b128 v[38:41], off, off offset:272
	ds_load_b128 v[2:5], v1 offset:880
	s_waitcnt vmcnt(10) lgkmcnt(1)
	v_mul_f64 v[197:198], v[185:186], v[8:9]
	v_mul_f64 v[8:9], v[187:188], v[8:9]
	ds_load_b128 v[193:196], v1 offset:896
	s_waitcnt vmcnt(9) lgkmcnt(1)
	v_mul_f64 v[203:204], v[2:3], v[12:13]
	v_mul_f64 v[12:13], v[4:5], v[12:13]
	v_fma_f64 v[187:188], v[187:188], v[6:7], v[197:198]
	v_fma_f64 v[185:186], v[185:186], v[6:7], -v[8:9]
	v_add_f64 v[197:198], v[199:200], 0
	v_add_f64 v[199:200], v[201:202], 0
	scratch_load_b128 v[6:9], off, off offset:288
	v_fma_f64 v[203:204], v[4:5], v[10:11], v[203:204]
	v_fma_f64 v[205:206], v[2:3], v[10:11], -v[12:13]
	scratch_load_b128 v[10:13], off, off offset:304
	ds_load_b128 v[2:5], v1 offset:912
	s_waitcnt vmcnt(10) lgkmcnt(1)
	v_mul_f64 v[201:202], v[193:194], v[16:17]
	v_mul_f64 v[16:17], v[195:196], v[16:17]
	v_add_f64 v[197:198], v[197:198], v[185:186]
	v_add_f64 v[199:200], v[199:200], v[187:188]
	s_waitcnt vmcnt(9) lgkmcnt(0)
	v_mul_f64 v[207:208], v[2:3], v[20:21]
	v_mul_f64 v[20:21], v[4:5], v[20:21]
	ds_load_b128 v[185:188], v1 offset:928
	v_fma_f64 v[195:196], v[195:196], v[14:15], v[201:202]
	v_fma_f64 v[193:194], v[193:194], v[14:15], -v[16:17]
	scratch_load_b128 v[14:17], off, off offset:320
	v_add_f64 v[197:198], v[197:198], v[205:206]
	v_add_f64 v[199:200], v[199:200], v[203:204]
	v_fma_f64 v[203:204], v[4:5], v[18:19], v[207:208]
	v_fma_f64 v[205:206], v[2:3], v[18:19], -v[20:21]
	scratch_load_b128 v[18:21], off, off offset:336
	ds_load_b128 v[2:5], v1 offset:944
	s_waitcnt vmcnt(10) lgkmcnt(1)
	v_mul_f64 v[201:202], v[185:186], v[24:25]
	v_mul_f64 v[24:25], v[187:188], v[24:25]
	s_waitcnt vmcnt(9) lgkmcnt(0)
	v_mul_f64 v[207:208], v[2:3], v[28:29]
	v_mul_f64 v[28:29], v[4:5], v[28:29]
	v_add_f64 v[197:198], v[197:198], v[193:194]
	v_add_f64 v[199:200], v[199:200], v[195:196]
	ds_load_b128 v[193:196], v1 offset:960
	v_fma_f64 v[187:188], v[187:188], v[22:23], v[201:202]
	v_fma_f64 v[185:186], v[185:186], v[22:23], -v[24:25]
	scratch_load_b128 v[22:25], off, off offset:352
	v_add_f64 v[197:198], v[197:198], v[205:206]
	v_add_f64 v[199:200], v[199:200], v[203:204]
	v_fma_f64 v[203:204], v[4:5], v[26:27], v[207:208]
	v_fma_f64 v[205:206], v[2:3], v[26:27], -v[28:29]
	scratch_load_b128 v[26:29], off, off offset:368
	ds_load_b128 v[2:5], v1 offset:976
	s_waitcnt vmcnt(10) lgkmcnt(1)
	v_mul_f64 v[201:202], v[193:194], v[32:33]
	v_mul_f64 v[32:33], v[195:196], v[32:33]
	s_waitcnt vmcnt(9) lgkmcnt(0)
	v_mul_f64 v[207:208], v[2:3], v[36:37]
	v_mul_f64 v[36:37], v[4:5], v[36:37]
	v_add_f64 v[197:198], v[197:198], v[185:186]
	v_add_f64 v[199:200], v[199:200], v[187:188]
	ds_load_b128 v[185:188], v1 offset:992
	v_fma_f64 v[195:196], v[195:196], v[30:31], v[201:202]
	v_fma_f64 v[193:194], v[193:194], v[30:31], -v[32:33]
	scratch_load_b128 v[30:33], off, off offset:384
	v_add_f64 v[197:198], v[197:198], v[205:206]
	v_add_f64 v[199:200], v[199:200], v[203:204]
	v_fma_f64 v[205:206], v[4:5], v[34:35], v[207:208]
	v_fma_f64 v[207:208], v[2:3], v[34:35], -v[36:37]
	scratch_load_b128 v[34:37], off, off offset:400
	ds_load_b128 v[2:5], v1 offset:1008
	s_waitcnt vmcnt(9) lgkmcnt(1)
	v_mul_f64 v[201:202], v[185:186], v[191:192]
	v_mul_f64 v[203:204], v[187:188], v[191:192]
	v_add_f64 v[197:198], v[197:198], v[193:194]
	v_add_f64 v[195:196], v[199:200], v[195:196]
	ds_load_b128 v[191:194], v1 offset:1024
	v_fma_f64 v[201:202], v[187:188], v[189:190], v[201:202]
	v_fma_f64 v[189:190], v[185:186], v[189:190], -v[203:204]
	scratch_load_b128 v[185:188], off, off offset:416
	s_waitcnt vmcnt(9) lgkmcnt(1)
	v_mul_f64 v[199:200], v[2:3], v[40:41]
	v_mul_f64 v[40:41], v[4:5], v[40:41]
	v_add_f64 v[197:198], v[197:198], v[207:208]
	v_add_f64 v[195:196], v[195:196], v[205:206]
	s_delay_alu instid0(VALU_DEP_4) | instskip(NEXT) | instid1(VALU_DEP_4)
	v_fma_f64 v[199:200], v[4:5], v[38:39], v[199:200]
	v_fma_f64 v[205:206], v[2:3], v[38:39], -v[40:41]
	scratch_load_b128 v[38:41], off, off offset:432
	ds_load_b128 v[2:5], v1 offset:1040
	s_waitcnt vmcnt(9) lgkmcnt(1)
	v_mul_f64 v[203:204], v[191:192], v[8:9]
	v_mul_f64 v[8:9], v[193:194], v[8:9]
	s_waitcnt vmcnt(8) lgkmcnt(0)
	v_mul_f64 v[207:208], v[2:3], v[12:13]
	v_mul_f64 v[12:13], v[4:5], v[12:13]
	v_add_f64 v[189:190], v[197:198], v[189:190]
	v_add_f64 v[201:202], v[195:196], v[201:202]
	ds_load_b128 v[195:198], v1 offset:1056
	v_fma_f64 v[193:194], v[193:194], v[6:7], v[203:204]
	v_fma_f64 v[191:192], v[191:192], v[6:7], -v[8:9]
	scratch_load_b128 v[6:9], off, off offset:448
	v_fma_f64 v[203:204], v[4:5], v[10:11], v[207:208]
	v_add_f64 v[189:190], v[189:190], v[205:206]
	v_add_f64 v[199:200], v[201:202], v[199:200]
	v_fma_f64 v[205:206], v[2:3], v[10:11], -v[12:13]
	scratch_load_b128 v[10:13], off, off offset:464
	ds_load_b128 v[2:5], v1 offset:1072
	s_waitcnt vmcnt(9) lgkmcnt(1)
	v_mul_f64 v[201:202], v[195:196], v[16:17]
	v_mul_f64 v[16:17], v[197:198], v[16:17]
	v_add_f64 v[207:208], v[189:190], v[191:192]
	v_add_f64 v[193:194], v[199:200], v[193:194]
	s_waitcnt vmcnt(8) lgkmcnt(0)
	v_mul_f64 v[199:200], v[2:3], v[20:21]
	v_mul_f64 v[20:21], v[4:5], v[20:21]
	ds_load_b128 v[189:192], v1 offset:1088
	v_fma_f64 v[197:198], v[197:198], v[14:15], v[201:202]
	v_fma_f64 v[195:196], v[195:196], v[14:15], -v[16:17]
	scratch_load_b128 v[14:17], off, off offset:480
	v_add_f64 v[201:202], v[207:208], v[205:206]
	v_add_f64 v[193:194], v[193:194], v[203:204]
	v_fma_f64 v[199:200], v[4:5], v[18:19], v[199:200]
	v_fma_f64 v[205:206], v[2:3], v[18:19], -v[20:21]
	scratch_load_b128 v[18:21], off, off offset:496
	ds_load_b128 v[2:5], v1 offset:1104
	s_waitcnt vmcnt(9) lgkmcnt(1)
	v_mul_f64 v[203:204], v[189:190], v[24:25]
	v_mul_f64 v[24:25], v[191:192], v[24:25]
	s_waitcnt vmcnt(8) lgkmcnt(0)
	v_mul_f64 v[207:208], v[2:3], v[28:29]
	v_mul_f64 v[28:29], v[4:5], v[28:29]
	v_add_f64 v[201:202], v[201:202], v[195:196]
	v_add_f64 v[197:198], v[193:194], v[197:198]
	ds_load_b128 v[193:196], v1 offset:1120
	v_fma_f64 v[191:192], v[191:192], v[22:23], v[203:204]
	v_fma_f64 v[189:190], v[189:190], v[22:23], -v[24:25]
	scratch_load_b128 v[22:25], off, off offset:512
	v_fma_f64 v[203:204], v[4:5], v[26:27], v[207:208]
	v_add_f64 v[201:202], v[201:202], v[205:206]
	v_add_f64 v[197:198], v[197:198], v[199:200]
	v_fma_f64 v[205:206], v[2:3], v[26:27], -v[28:29]
	scratch_load_b128 v[26:29], off, off offset:528
	ds_load_b128 v[2:5], v1 offset:1136
	s_waitcnt vmcnt(9) lgkmcnt(1)
	v_mul_f64 v[199:200], v[193:194], v[32:33]
	v_mul_f64 v[32:33], v[195:196], v[32:33]
	s_waitcnt vmcnt(8) lgkmcnt(0)
	v_mul_f64 v[207:208], v[2:3], v[36:37]
	v_mul_f64 v[36:37], v[4:5], v[36:37]
	v_add_f64 v[201:202], v[201:202], v[189:190]
	v_add_f64 v[197:198], v[197:198], v[191:192]
	ds_load_b128 v[189:192], v1 offset:1152
	v_fma_f64 v[195:196], v[195:196], v[30:31], v[199:200]
	v_fma_f64 v[193:194], v[193:194], v[30:31], -v[32:33]
	scratch_load_b128 v[30:33], off, off offset:544
	v_add_f64 v[199:200], v[201:202], v[205:206]
	v_add_f64 v[197:198], v[197:198], v[203:204]
	v_fma_f64 v[203:204], v[4:5], v[34:35], v[207:208]
	v_fma_f64 v[205:206], v[2:3], v[34:35], -v[36:37]
	scratch_load_b128 v[34:37], off, off offset:560
	ds_load_b128 v[2:5], v1 offset:1168
	s_waitcnt vmcnt(9) lgkmcnt(1)
	v_mul_f64 v[201:202], v[189:190], v[187:188]
	v_mul_f64 v[187:188], v[191:192], v[187:188]
	s_waitcnt vmcnt(8) lgkmcnt(0)
	v_mul_f64 v[207:208], v[2:3], v[40:41]
	v_mul_f64 v[40:41], v[4:5], v[40:41]
	v_add_f64 v[199:200], v[199:200], v[193:194]
	v_add_f64 v[197:198], v[197:198], v[195:196]
	ds_load_b128 v[193:196], v1 offset:1184
	v_fma_f64 v[191:192], v[191:192], v[185:186], v[201:202]
	v_fma_f64 v[189:190], v[189:190], v[185:186], -v[187:188]
	scratch_load_b128 v[185:188], off, off offset:576
	v_add_f64 v[199:200], v[199:200], v[205:206]
	v_add_f64 v[197:198], v[197:198], v[203:204]
	v_fma_f64 v[203:204], v[4:5], v[38:39], v[207:208]
	;; [unrolled: 18-line block ×6, first 2 shown]
	v_fma_f64 v[207:208], v[2:3], v[34:35], -v[36:37]
	scratch_load_b128 v[34:37], off, off offset:720
	ds_load_b128 v[2:5], v1 offset:1328
	s_waitcnt vmcnt(9) lgkmcnt(1)
	v_mul_f64 v[201:202], v[193:194], v[187:188]
	v_mul_f64 v[203:204], v[195:196], v[187:188]
	v_add_f64 v[199:200], v[199:200], v[189:190]
	v_add_f64 v[191:192], v[197:198], v[191:192]
	s_waitcnt vmcnt(8) lgkmcnt(0)
	v_mul_f64 v[197:198], v[2:3], v[40:41]
	v_mul_f64 v[40:41], v[4:5], v[40:41]
	ds_load_b128 v[187:190], v1 offset:1344
	v_fma_f64 v[195:196], v[195:196], v[185:186], v[201:202]
	v_fma_f64 v[185:186], v[193:194], v[185:186], -v[203:204]
	v_add_f64 v[193:194], v[199:200], v[207:208]
	v_add_f64 v[191:192], v[191:192], v[205:206]
	s_waitcnt vmcnt(7) lgkmcnt(0)
	v_mul_f64 v[199:200], v[187:188], v[8:9]
	v_mul_f64 v[8:9], v[189:190], v[8:9]
	v_fma_f64 v[197:198], v[4:5], v[38:39], v[197:198]
	v_fma_f64 v[201:202], v[2:3], v[38:39], -v[40:41]
	ds_load_b128 v[2:5], v1 offset:1360
	ds_load_b128 v[38:41], v1 offset:1376
	v_add_f64 v[185:186], v[193:194], v[185:186]
	v_add_f64 v[191:192], v[191:192], v[195:196]
	s_waitcnt vmcnt(6) lgkmcnt(1)
	v_mul_f64 v[193:194], v[2:3], v[12:13]
	v_mul_f64 v[12:13], v[4:5], v[12:13]
	v_fma_f64 v[189:190], v[189:190], v[6:7], v[199:200]
	v_fma_f64 v[6:7], v[187:188], v[6:7], -v[8:9]
	s_waitcnt vmcnt(5) lgkmcnt(0)
	v_mul_f64 v[187:188], v[38:39], v[16:17]
	v_mul_f64 v[16:17], v[40:41], v[16:17]
	v_add_f64 v[8:9], v[185:186], v[201:202]
	v_add_f64 v[185:186], v[191:192], v[197:198]
	v_fma_f64 v[191:192], v[4:5], v[10:11], v[193:194]
	v_fma_f64 v[10:11], v[2:3], v[10:11], -v[12:13]
	v_fma_f64 v[40:41], v[40:41], v[14:15], v[187:188]
	v_fma_f64 v[14:15], v[38:39], v[14:15], -v[16:17]
	v_add_f64 v[12:13], v[8:9], v[6:7]
	v_add_f64 v[185:186], v[185:186], v[189:190]
	ds_load_b128 v[2:5], v1 offset:1392
	ds_load_b128 v[6:9], v1 offset:1408
	s_waitcnt vmcnt(4) lgkmcnt(1)
	v_mul_f64 v[189:190], v[2:3], v[20:21]
	v_mul_f64 v[20:21], v[4:5], v[20:21]
	s_waitcnt vmcnt(3) lgkmcnt(0)
	v_mul_f64 v[16:17], v[6:7], v[24:25]
	v_mul_f64 v[24:25], v[8:9], v[24:25]
	v_add_f64 v[10:11], v[12:13], v[10:11]
	v_add_f64 v[12:13], v[185:186], v[191:192]
	v_fma_f64 v[38:39], v[4:5], v[18:19], v[189:190]
	v_fma_f64 v[18:19], v[2:3], v[18:19], -v[20:21]
	v_fma_f64 v[8:9], v[8:9], v[22:23], v[16:17]
	v_fma_f64 v[6:7], v[6:7], v[22:23], -v[24:25]
	v_add_f64 v[14:15], v[10:11], v[14:15]
	v_add_f64 v[20:21], v[12:13], v[40:41]
	ds_load_b128 v[2:5], v1 offset:1424
	ds_load_b128 v[10:13], v1 offset:1440
	s_waitcnt vmcnt(2) lgkmcnt(1)
	v_mul_f64 v[40:41], v[2:3], v[28:29]
	v_mul_f64 v[28:29], v[4:5], v[28:29]
	v_add_f64 v[14:15], v[14:15], v[18:19]
	v_add_f64 v[16:17], v[20:21], v[38:39]
	s_waitcnt vmcnt(1) lgkmcnt(0)
	v_mul_f64 v[18:19], v[10:11], v[32:33]
	v_mul_f64 v[20:21], v[12:13], v[32:33]
	v_fma_f64 v[22:23], v[4:5], v[26:27], v[40:41]
	v_fma_f64 v[24:25], v[2:3], v[26:27], -v[28:29]
	ds_load_b128 v[2:5], v1 offset:1456
	v_add_f64 v[6:7], v[14:15], v[6:7]
	v_add_f64 v[8:9], v[16:17], v[8:9]
	v_fma_f64 v[12:13], v[12:13], v[30:31], v[18:19]
	v_fma_f64 v[10:11], v[10:11], v[30:31], -v[20:21]
	s_waitcnt vmcnt(0) lgkmcnt(0)
	v_mul_f64 v[14:15], v[2:3], v[36:37]
	v_mul_f64 v[16:17], v[4:5], v[36:37]
	v_add_f64 v[6:7], v[6:7], v[24:25]
	v_add_f64 v[8:9], v[8:9], v[22:23]
	s_delay_alu instid0(VALU_DEP_4) | instskip(NEXT) | instid1(VALU_DEP_4)
	v_fma_f64 v[4:5], v[4:5], v[34:35], v[14:15]
	v_fma_f64 v[2:3], v[2:3], v[34:35], -v[16:17]
	s_delay_alu instid0(VALU_DEP_4) | instskip(NEXT) | instid1(VALU_DEP_4)
	v_add_f64 v[6:7], v[6:7], v[10:11]
	v_add_f64 v[8:9], v[8:9], v[12:13]
	s_delay_alu instid0(VALU_DEP_2) | instskip(NEXT) | instid1(VALU_DEP_2)
	v_add_f64 v[2:3], v[6:7], v[2:3]
	v_add_f64 v[4:5], v[8:9], v[4:5]
	s_delay_alu instid0(VALU_DEP_2) | instskip(NEXT) | instid1(VALU_DEP_2)
	v_add_f64 v[2:3], v[42:43], -v[2:3]
	v_add_f64 v[4:5], v[44:45], -v[4:5]
	scratch_store_b128 off, v[2:5], off offset:96
	v_cmpx_lt_u32_e32 5, v138
	s_cbranch_execz .LBB45_279
; %bb.278:
	scratch_load_b128 v[5:8], v179, off
	v_mov_b32_e32 v2, v1
	v_mov_b32_e32 v3, v1
	;; [unrolled: 1-line block ×3, first 2 shown]
	scratch_store_b128 off, v[1:4], off offset:80
	s_waitcnt vmcnt(0)
	ds_store_b128 v184, v[5:8]
.LBB45_279:
	s_or_b32 exec_lo, exec_lo, s2
	s_waitcnt lgkmcnt(0)
	s_waitcnt_vscnt null, 0x0
	s_barrier
	buffer_gl0_inv
	s_clause 0x8
	scratch_load_b128 v[2:5], off, off offset:96
	scratch_load_b128 v[6:9], off, off offset:112
	scratch_load_b128 v[10:13], off, off offset:128
	scratch_load_b128 v[14:17], off, off offset:144
	scratch_load_b128 v[18:21], off, off offset:160
	scratch_load_b128 v[22:25], off, off offset:176
	scratch_load_b128 v[26:29], off, off offset:192
	scratch_load_b128 v[30:33], off, off offset:208
	scratch_load_b128 v[34:37], off, off offset:224
	ds_load_b128 v[42:45], v1 offset:832
	ds_load_b128 v[38:41], v1 offset:848
	s_clause 0x1
	scratch_load_b128 v[185:188], off, off offset:80
	scratch_load_b128 v[189:192], off, off offset:240
	s_mov_b32 s2, exec_lo
	s_waitcnt vmcnt(10) lgkmcnt(1)
	v_mul_f64 v[193:194], v[44:45], v[4:5]
	v_mul_f64 v[4:5], v[42:43], v[4:5]
	s_waitcnt vmcnt(9) lgkmcnt(0)
	v_mul_f64 v[197:198], v[38:39], v[8:9]
	v_mul_f64 v[8:9], v[40:41], v[8:9]
	s_delay_alu instid0(VALU_DEP_4) | instskip(NEXT) | instid1(VALU_DEP_4)
	v_fma_f64 v[199:200], v[42:43], v[2:3], -v[193:194]
	v_fma_f64 v[201:202], v[44:45], v[2:3], v[4:5]
	ds_load_b128 v[2:5], v1 offset:864
	ds_load_b128 v[193:196], v1 offset:880
	scratch_load_b128 v[42:45], off, off offset:256
	v_fma_f64 v[40:41], v[40:41], v[6:7], v[197:198]
	v_fma_f64 v[38:39], v[38:39], v[6:7], -v[8:9]
	scratch_load_b128 v[6:9], off, off offset:272
	s_waitcnt vmcnt(10) lgkmcnt(1)
	v_mul_f64 v[203:204], v[2:3], v[12:13]
	v_mul_f64 v[12:13], v[4:5], v[12:13]
	v_add_f64 v[197:198], v[199:200], 0
	v_add_f64 v[199:200], v[201:202], 0
	s_waitcnt vmcnt(9) lgkmcnt(0)
	v_mul_f64 v[201:202], v[193:194], v[16:17]
	v_mul_f64 v[16:17], v[195:196], v[16:17]
	v_fma_f64 v[203:204], v[4:5], v[10:11], v[203:204]
	v_fma_f64 v[205:206], v[2:3], v[10:11], -v[12:13]
	ds_load_b128 v[2:5], v1 offset:896
	scratch_load_b128 v[10:13], off, off offset:288
	v_add_f64 v[197:198], v[197:198], v[38:39]
	v_add_f64 v[199:200], v[199:200], v[40:41]
	ds_load_b128 v[38:41], v1 offset:912
	v_fma_f64 v[195:196], v[195:196], v[14:15], v[201:202]
	v_fma_f64 v[193:194], v[193:194], v[14:15], -v[16:17]
	scratch_load_b128 v[14:17], off, off offset:304
	s_waitcnt vmcnt(10) lgkmcnt(1)
	v_mul_f64 v[207:208], v[2:3], v[20:21]
	v_mul_f64 v[20:21], v[4:5], v[20:21]
	s_waitcnt vmcnt(9) lgkmcnt(0)
	v_mul_f64 v[201:202], v[38:39], v[24:25]
	v_mul_f64 v[24:25], v[40:41], v[24:25]
	v_add_f64 v[197:198], v[197:198], v[205:206]
	v_add_f64 v[199:200], v[199:200], v[203:204]
	v_fma_f64 v[203:204], v[4:5], v[18:19], v[207:208]
	v_fma_f64 v[205:206], v[2:3], v[18:19], -v[20:21]
	ds_load_b128 v[2:5], v1 offset:928
	scratch_load_b128 v[18:21], off, off offset:320
	v_fma_f64 v[40:41], v[40:41], v[22:23], v[201:202]
	v_fma_f64 v[38:39], v[38:39], v[22:23], -v[24:25]
	scratch_load_b128 v[22:25], off, off offset:336
	v_add_f64 v[197:198], v[197:198], v[193:194]
	v_add_f64 v[199:200], v[199:200], v[195:196]
	ds_load_b128 v[193:196], v1 offset:944
	s_waitcnt vmcnt(10) lgkmcnt(1)
	v_mul_f64 v[207:208], v[2:3], v[28:29]
	v_mul_f64 v[28:29], v[4:5], v[28:29]
	s_waitcnt vmcnt(9) lgkmcnt(0)
	v_mul_f64 v[201:202], v[193:194], v[32:33]
	v_mul_f64 v[32:33], v[195:196], v[32:33]
	v_add_f64 v[197:198], v[197:198], v[205:206]
	v_add_f64 v[199:200], v[199:200], v[203:204]
	v_fma_f64 v[203:204], v[4:5], v[26:27], v[207:208]
	v_fma_f64 v[205:206], v[2:3], v[26:27], -v[28:29]
	ds_load_b128 v[2:5], v1 offset:960
	scratch_load_b128 v[26:29], off, off offset:352
	v_fma_f64 v[195:196], v[195:196], v[30:31], v[201:202]
	v_fma_f64 v[193:194], v[193:194], v[30:31], -v[32:33]
	scratch_load_b128 v[30:33], off, off offset:368
	v_add_f64 v[197:198], v[197:198], v[38:39]
	v_add_f64 v[199:200], v[199:200], v[40:41]
	ds_load_b128 v[38:41], v1 offset:976
	s_waitcnt vmcnt(10) lgkmcnt(1)
	v_mul_f64 v[207:208], v[2:3], v[36:37]
	v_mul_f64 v[36:37], v[4:5], v[36:37]
	s_waitcnt vmcnt(8) lgkmcnt(0)
	v_mul_f64 v[201:202], v[38:39], v[191:192]
	v_add_f64 v[197:198], v[197:198], v[205:206]
	v_add_f64 v[199:200], v[199:200], v[203:204]
	v_mul_f64 v[203:204], v[40:41], v[191:192]
	v_fma_f64 v[205:206], v[4:5], v[34:35], v[207:208]
	v_fma_f64 v[207:208], v[2:3], v[34:35], -v[36:37]
	ds_load_b128 v[2:5], v1 offset:992
	scratch_load_b128 v[34:37], off, off offset:384
	v_fma_f64 v[201:202], v[40:41], v[189:190], v[201:202]
	v_add_f64 v[197:198], v[197:198], v[193:194]
	v_add_f64 v[195:196], v[199:200], v[195:196]
	ds_load_b128 v[191:194], v1 offset:1008
	v_fma_f64 v[189:190], v[38:39], v[189:190], -v[203:204]
	scratch_load_b128 v[38:41], off, off offset:400
	s_waitcnt vmcnt(9) lgkmcnt(1)
	v_mul_f64 v[199:200], v[2:3], v[44:45]
	v_mul_f64 v[44:45], v[4:5], v[44:45]
	s_waitcnt vmcnt(8) lgkmcnt(0)
	v_mul_f64 v[203:204], v[191:192], v[8:9]
	v_mul_f64 v[8:9], v[193:194], v[8:9]
	v_add_f64 v[197:198], v[197:198], v[207:208]
	v_add_f64 v[195:196], v[195:196], v[205:206]
	v_fma_f64 v[199:200], v[4:5], v[42:43], v[199:200]
	v_fma_f64 v[205:206], v[2:3], v[42:43], -v[44:45]
	ds_load_b128 v[2:5], v1 offset:1024
	scratch_load_b128 v[42:45], off, off offset:416
	v_fma_f64 v[193:194], v[193:194], v[6:7], v[203:204]
	v_fma_f64 v[191:192], v[191:192], v[6:7], -v[8:9]
	scratch_load_b128 v[6:9], off, off offset:432
	v_add_f64 v[189:190], v[197:198], v[189:190]
	v_add_f64 v[201:202], v[195:196], v[201:202]
	ds_load_b128 v[195:198], v1 offset:1040
	s_waitcnt vmcnt(9) lgkmcnt(1)
	v_mul_f64 v[207:208], v[2:3], v[12:13]
	v_mul_f64 v[12:13], v[4:5], v[12:13]
	v_add_f64 v[189:190], v[189:190], v[205:206]
	v_add_f64 v[199:200], v[201:202], v[199:200]
	s_waitcnt vmcnt(8) lgkmcnt(0)
	v_mul_f64 v[201:202], v[195:196], v[16:17]
	v_mul_f64 v[16:17], v[197:198], v[16:17]
	v_fma_f64 v[203:204], v[4:5], v[10:11], v[207:208]
	v_fma_f64 v[205:206], v[2:3], v[10:11], -v[12:13]
	ds_load_b128 v[2:5], v1 offset:1056
	scratch_load_b128 v[10:13], off, off offset:448
	v_add_f64 v[207:208], v[189:190], v[191:192]
	v_add_f64 v[193:194], v[199:200], v[193:194]
	ds_load_b128 v[189:192], v1 offset:1072
	s_waitcnt vmcnt(8) lgkmcnt(1)
	v_mul_f64 v[199:200], v[2:3], v[20:21]
	v_mul_f64 v[20:21], v[4:5], v[20:21]
	v_fma_f64 v[197:198], v[197:198], v[14:15], v[201:202]
	v_fma_f64 v[195:196], v[195:196], v[14:15], -v[16:17]
	scratch_load_b128 v[14:17], off, off offset:464
	v_add_f64 v[201:202], v[207:208], v[205:206]
	v_add_f64 v[193:194], v[193:194], v[203:204]
	s_waitcnt vmcnt(8) lgkmcnt(0)
	v_mul_f64 v[203:204], v[189:190], v[24:25]
	v_mul_f64 v[24:25], v[191:192], v[24:25]
	v_fma_f64 v[199:200], v[4:5], v[18:19], v[199:200]
	v_fma_f64 v[205:206], v[2:3], v[18:19], -v[20:21]
	ds_load_b128 v[2:5], v1 offset:1088
	scratch_load_b128 v[18:21], off, off offset:480
	v_add_f64 v[201:202], v[201:202], v[195:196]
	v_add_f64 v[197:198], v[193:194], v[197:198]
	ds_load_b128 v[193:196], v1 offset:1104
	s_waitcnt vmcnt(8) lgkmcnt(1)
	v_mul_f64 v[207:208], v[2:3], v[28:29]
	v_mul_f64 v[28:29], v[4:5], v[28:29]
	v_fma_f64 v[191:192], v[191:192], v[22:23], v[203:204]
	v_fma_f64 v[189:190], v[189:190], v[22:23], -v[24:25]
	scratch_load_b128 v[22:25], off, off offset:496
	;; [unrolled: 18-line block ×4, first 2 shown]
	s_waitcnt vmcnt(8) lgkmcnt(0)
	v_mul_f64 v[201:202], v[193:194], v[8:9]
	v_mul_f64 v[8:9], v[195:196], v[8:9]
	v_add_f64 v[199:200], v[199:200], v[205:206]
	v_add_f64 v[197:198], v[197:198], v[203:204]
	v_fma_f64 v[203:204], v[4:5], v[42:43], v[207:208]
	v_fma_f64 v[205:206], v[2:3], v[42:43], -v[44:45]
	ds_load_b128 v[2:5], v1 offset:1184
	scratch_load_b128 v[42:45], off, off offset:576
	v_fma_f64 v[195:196], v[195:196], v[6:7], v[201:202]
	v_fma_f64 v[193:194], v[193:194], v[6:7], -v[8:9]
	scratch_load_b128 v[6:9], off, off offset:592
	v_add_f64 v[199:200], v[199:200], v[189:190]
	v_add_f64 v[197:198], v[197:198], v[191:192]
	ds_load_b128 v[189:192], v1 offset:1200
	s_waitcnt vmcnt(9) lgkmcnt(1)
	v_mul_f64 v[207:208], v[2:3], v[12:13]
	v_mul_f64 v[12:13], v[4:5], v[12:13]
	s_waitcnt vmcnt(8) lgkmcnt(0)
	v_mul_f64 v[201:202], v[189:190], v[16:17]
	v_mul_f64 v[16:17], v[191:192], v[16:17]
	v_add_f64 v[199:200], v[199:200], v[205:206]
	v_add_f64 v[197:198], v[197:198], v[203:204]
	v_fma_f64 v[203:204], v[4:5], v[10:11], v[207:208]
	v_fma_f64 v[205:206], v[2:3], v[10:11], -v[12:13]
	ds_load_b128 v[2:5], v1 offset:1216
	scratch_load_b128 v[10:13], off, off offset:608
	v_fma_f64 v[191:192], v[191:192], v[14:15], v[201:202]
	v_fma_f64 v[189:190], v[189:190], v[14:15], -v[16:17]
	scratch_load_b128 v[14:17], off, off offset:624
	v_add_f64 v[199:200], v[199:200], v[193:194]
	v_add_f64 v[197:198], v[197:198], v[195:196]
	ds_load_b128 v[193:196], v1 offset:1232
	s_waitcnt vmcnt(9) lgkmcnt(1)
	v_mul_f64 v[207:208], v[2:3], v[20:21]
	v_mul_f64 v[20:21], v[4:5], v[20:21]
	s_waitcnt vmcnt(8) lgkmcnt(0)
	v_mul_f64 v[201:202], v[193:194], v[24:25]
	v_mul_f64 v[24:25], v[195:196], v[24:25]
	v_add_f64 v[199:200], v[199:200], v[205:206]
	v_add_f64 v[197:198], v[197:198], v[203:204]
	v_fma_f64 v[203:204], v[4:5], v[18:19], v[207:208]
	v_fma_f64 v[205:206], v[2:3], v[18:19], -v[20:21]
	ds_load_b128 v[2:5], v1 offset:1248
	scratch_load_b128 v[18:21], off, off offset:640
	v_fma_f64 v[195:196], v[195:196], v[22:23], v[201:202]
	v_fma_f64 v[193:194], v[193:194], v[22:23], -v[24:25]
	scratch_load_b128 v[22:25], off, off offset:656
	v_add_f64 v[199:200], v[199:200], v[189:190]
	v_add_f64 v[197:198], v[197:198], v[191:192]
	ds_load_b128 v[189:192], v1 offset:1264
	s_waitcnt vmcnt(9) lgkmcnt(1)
	v_mul_f64 v[207:208], v[2:3], v[28:29]
	v_mul_f64 v[28:29], v[4:5], v[28:29]
	s_waitcnt vmcnt(8) lgkmcnt(0)
	v_mul_f64 v[201:202], v[189:190], v[32:33]
	v_mul_f64 v[32:33], v[191:192], v[32:33]
	v_add_f64 v[199:200], v[199:200], v[205:206]
	v_add_f64 v[197:198], v[197:198], v[203:204]
	v_fma_f64 v[203:204], v[4:5], v[26:27], v[207:208]
	v_fma_f64 v[205:206], v[2:3], v[26:27], -v[28:29]
	ds_load_b128 v[2:5], v1 offset:1280
	scratch_load_b128 v[26:29], off, off offset:672
	v_fma_f64 v[191:192], v[191:192], v[30:31], v[201:202]
	v_fma_f64 v[189:190], v[189:190], v[30:31], -v[32:33]
	scratch_load_b128 v[30:33], off, off offset:688
	v_add_f64 v[199:200], v[199:200], v[193:194]
	v_add_f64 v[197:198], v[197:198], v[195:196]
	ds_load_b128 v[193:196], v1 offset:1296
	s_waitcnt vmcnt(9) lgkmcnt(1)
	v_mul_f64 v[207:208], v[2:3], v[36:37]
	v_mul_f64 v[36:37], v[4:5], v[36:37]
	s_waitcnt vmcnt(8) lgkmcnt(0)
	v_mul_f64 v[201:202], v[193:194], v[40:41]
	v_mul_f64 v[40:41], v[195:196], v[40:41]
	v_add_f64 v[199:200], v[199:200], v[205:206]
	v_add_f64 v[197:198], v[197:198], v[203:204]
	v_fma_f64 v[203:204], v[4:5], v[34:35], v[207:208]
	v_fma_f64 v[205:206], v[2:3], v[34:35], -v[36:37]
	ds_load_b128 v[2:5], v1 offset:1312
	scratch_load_b128 v[34:37], off, off offset:704
	v_fma_f64 v[195:196], v[195:196], v[38:39], v[201:202]
	v_fma_f64 v[193:194], v[193:194], v[38:39], -v[40:41]
	scratch_load_b128 v[38:41], off, off offset:720
	v_add_f64 v[199:200], v[199:200], v[189:190]
	v_add_f64 v[197:198], v[197:198], v[191:192]
	ds_load_b128 v[189:192], v1 offset:1328
	s_waitcnt vmcnt(9) lgkmcnt(1)
	v_mul_f64 v[207:208], v[2:3], v[44:45]
	v_mul_f64 v[44:45], v[4:5], v[44:45]
	s_waitcnt vmcnt(8) lgkmcnt(0)
	v_mul_f64 v[201:202], v[189:190], v[8:9]
	v_mul_f64 v[8:9], v[191:192], v[8:9]
	v_add_f64 v[199:200], v[199:200], v[205:206]
	v_add_f64 v[197:198], v[197:198], v[203:204]
	v_fma_f64 v[203:204], v[4:5], v[42:43], v[207:208]
	v_fma_f64 v[205:206], v[2:3], v[42:43], -v[44:45]
	ds_load_b128 v[2:5], v1 offset:1344
	ds_load_b128 v[42:45], v1 offset:1360
	v_fma_f64 v[191:192], v[191:192], v[6:7], v[201:202]
	v_fma_f64 v[6:7], v[189:190], v[6:7], -v[8:9]
	v_add_f64 v[193:194], v[199:200], v[193:194]
	v_add_f64 v[195:196], v[197:198], v[195:196]
	s_waitcnt vmcnt(7) lgkmcnt(1)
	v_mul_f64 v[197:198], v[2:3], v[12:13]
	v_mul_f64 v[12:13], v[4:5], v[12:13]
	s_delay_alu instid0(VALU_DEP_4) | instskip(NEXT) | instid1(VALU_DEP_4)
	v_add_f64 v[8:9], v[193:194], v[205:206]
	v_add_f64 v[189:190], v[195:196], v[203:204]
	s_waitcnt vmcnt(6) lgkmcnt(0)
	v_mul_f64 v[193:194], v[42:43], v[16:17]
	v_mul_f64 v[16:17], v[44:45], v[16:17]
	v_fma_f64 v[195:196], v[4:5], v[10:11], v[197:198]
	v_fma_f64 v[10:11], v[2:3], v[10:11], -v[12:13]
	v_add_f64 v[12:13], v[8:9], v[6:7]
	v_add_f64 v[189:190], v[189:190], v[191:192]
	ds_load_b128 v[2:5], v1 offset:1376
	ds_load_b128 v[6:9], v1 offset:1392
	v_fma_f64 v[44:45], v[44:45], v[14:15], v[193:194]
	v_fma_f64 v[14:15], v[42:43], v[14:15], -v[16:17]
	s_waitcnt vmcnt(5) lgkmcnt(1)
	v_mul_f64 v[191:192], v[2:3], v[20:21]
	v_mul_f64 v[20:21], v[4:5], v[20:21]
	s_waitcnt vmcnt(4) lgkmcnt(0)
	v_mul_f64 v[16:17], v[6:7], v[24:25]
	v_mul_f64 v[24:25], v[8:9], v[24:25]
	v_add_f64 v[10:11], v[12:13], v[10:11]
	v_add_f64 v[12:13], v[189:190], v[195:196]
	v_fma_f64 v[42:43], v[4:5], v[18:19], v[191:192]
	v_fma_f64 v[18:19], v[2:3], v[18:19], -v[20:21]
	v_fma_f64 v[8:9], v[8:9], v[22:23], v[16:17]
	v_fma_f64 v[6:7], v[6:7], v[22:23], -v[24:25]
	v_add_f64 v[14:15], v[10:11], v[14:15]
	v_add_f64 v[20:21], v[12:13], v[44:45]
	ds_load_b128 v[2:5], v1 offset:1408
	ds_load_b128 v[10:13], v1 offset:1424
	s_waitcnt vmcnt(3) lgkmcnt(1)
	v_mul_f64 v[44:45], v[2:3], v[28:29]
	v_mul_f64 v[28:29], v[4:5], v[28:29]
	v_add_f64 v[14:15], v[14:15], v[18:19]
	v_add_f64 v[16:17], v[20:21], v[42:43]
	s_waitcnt vmcnt(2) lgkmcnt(0)
	v_mul_f64 v[18:19], v[10:11], v[32:33]
	v_mul_f64 v[20:21], v[12:13], v[32:33]
	v_fma_f64 v[22:23], v[4:5], v[26:27], v[44:45]
	v_fma_f64 v[24:25], v[2:3], v[26:27], -v[28:29]
	v_add_f64 v[14:15], v[14:15], v[6:7]
	v_add_f64 v[16:17], v[16:17], v[8:9]
	ds_load_b128 v[2:5], v1 offset:1440
	ds_load_b128 v[6:9], v1 offset:1456
	v_fma_f64 v[12:13], v[12:13], v[30:31], v[18:19]
	v_fma_f64 v[10:11], v[10:11], v[30:31], -v[20:21]
	s_waitcnt vmcnt(1) lgkmcnt(1)
	v_mul_f64 v[26:27], v[2:3], v[36:37]
	v_mul_f64 v[28:29], v[4:5], v[36:37]
	s_waitcnt vmcnt(0) lgkmcnt(0)
	v_mul_f64 v[18:19], v[6:7], v[40:41]
	v_mul_f64 v[20:21], v[8:9], v[40:41]
	v_add_f64 v[14:15], v[14:15], v[24:25]
	v_add_f64 v[16:17], v[16:17], v[22:23]
	v_fma_f64 v[4:5], v[4:5], v[34:35], v[26:27]
	v_fma_f64 v[1:2], v[2:3], v[34:35], -v[28:29]
	v_fma_f64 v[8:9], v[8:9], v[38:39], v[18:19]
	v_fma_f64 v[6:7], v[6:7], v[38:39], -v[20:21]
	v_add_f64 v[10:11], v[14:15], v[10:11]
	v_add_f64 v[12:13], v[16:17], v[12:13]
	s_delay_alu instid0(VALU_DEP_2) | instskip(NEXT) | instid1(VALU_DEP_2)
	v_add_f64 v[1:2], v[10:11], v[1:2]
	v_add_f64 v[3:4], v[12:13], v[4:5]
	s_delay_alu instid0(VALU_DEP_2) | instskip(NEXT) | instid1(VALU_DEP_2)
	;; [unrolled: 3-line block ×3, first 2 shown]
	v_add_f64 v[1:2], v[185:186], -v[1:2]
	v_add_f64 v[3:4], v[187:188], -v[3:4]
	scratch_store_b128 off, v[1:4], off offset:80
	v_cmpx_lt_u32_e32 4, v138
	s_cbranch_execz .LBB45_281
; %bb.280:
	scratch_load_b128 v[1:4], v180, off
	v_mov_b32_e32 v5, 0
	s_delay_alu instid0(VALU_DEP_1)
	v_mov_b32_e32 v6, v5
	v_mov_b32_e32 v7, v5
	;; [unrolled: 1-line block ×3, first 2 shown]
	scratch_store_b128 off, v[5:8], off offset:64
	s_waitcnt vmcnt(0)
	ds_store_b128 v184, v[1:4]
.LBB45_281:
	s_or_b32 exec_lo, exec_lo, s2
	s_waitcnt lgkmcnt(0)
	s_waitcnt_vscnt null, 0x0
	s_barrier
	buffer_gl0_inv
	s_clause 0x7
	scratch_load_b128 v[2:5], off, off offset:80
	scratch_load_b128 v[6:9], off, off offset:96
	;; [unrolled: 1-line block ×8, first 2 shown]
	v_mov_b32_e32 v1, 0
	s_mov_b32 s2, exec_lo
	ds_load_b128 v[38:41], v1 offset:816
	s_clause 0x1
	scratch_load_b128 v[34:37], off, off offset:208
	scratch_load_b128 v[42:45], off, off offset:64
	ds_load_b128 v[185:188], v1 offset:832
	scratch_load_b128 v[189:192], off, off offset:224
	s_waitcnt vmcnt(10) lgkmcnt(1)
	v_mul_f64 v[193:194], v[40:41], v[4:5]
	v_mul_f64 v[4:5], v[38:39], v[4:5]
	s_delay_alu instid0(VALU_DEP_2) | instskip(NEXT) | instid1(VALU_DEP_2)
	v_fma_f64 v[199:200], v[38:39], v[2:3], -v[193:194]
	v_fma_f64 v[201:202], v[40:41], v[2:3], v[4:5]
	scratch_load_b128 v[38:41], off, off offset:240
	ds_load_b128 v[2:5], v1 offset:848
	s_waitcnt vmcnt(10) lgkmcnt(1)
	v_mul_f64 v[197:198], v[185:186], v[8:9]
	v_mul_f64 v[8:9], v[187:188], v[8:9]
	ds_load_b128 v[193:196], v1 offset:864
	s_waitcnt vmcnt(9) lgkmcnt(1)
	v_mul_f64 v[203:204], v[2:3], v[12:13]
	v_mul_f64 v[12:13], v[4:5], v[12:13]
	v_fma_f64 v[187:188], v[187:188], v[6:7], v[197:198]
	v_fma_f64 v[185:186], v[185:186], v[6:7], -v[8:9]
	v_add_f64 v[197:198], v[199:200], 0
	v_add_f64 v[199:200], v[201:202], 0
	scratch_load_b128 v[6:9], off, off offset:256
	v_fma_f64 v[203:204], v[4:5], v[10:11], v[203:204]
	v_fma_f64 v[205:206], v[2:3], v[10:11], -v[12:13]
	scratch_load_b128 v[10:13], off, off offset:272
	ds_load_b128 v[2:5], v1 offset:880
	s_waitcnt vmcnt(10) lgkmcnt(1)
	v_mul_f64 v[201:202], v[193:194], v[16:17]
	v_mul_f64 v[16:17], v[195:196], v[16:17]
	v_add_f64 v[197:198], v[197:198], v[185:186]
	v_add_f64 v[199:200], v[199:200], v[187:188]
	s_waitcnt vmcnt(9) lgkmcnt(0)
	v_mul_f64 v[207:208], v[2:3], v[20:21]
	v_mul_f64 v[20:21], v[4:5], v[20:21]
	ds_load_b128 v[185:188], v1 offset:896
	v_fma_f64 v[195:196], v[195:196], v[14:15], v[201:202]
	v_fma_f64 v[193:194], v[193:194], v[14:15], -v[16:17]
	scratch_load_b128 v[14:17], off, off offset:288
	v_add_f64 v[197:198], v[197:198], v[205:206]
	v_add_f64 v[199:200], v[199:200], v[203:204]
	v_fma_f64 v[203:204], v[4:5], v[18:19], v[207:208]
	v_fma_f64 v[205:206], v[2:3], v[18:19], -v[20:21]
	scratch_load_b128 v[18:21], off, off offset:304
	ds_load_b128 v[2:5], v1 offset:912
	s_waitcnt vmcnt(10) lgkmcnt(1)
	v_mul_f64 v[201:202], v[185:186], v[24:25]
	v_mul_f64 v[24:25], v[187:188], v[24:25]
	s_waitcnt vmcnt(9) lgkmcnt(0)
	v_mul_f64 v[207:208], v[2:3], v[28:29]
	v_mul_f64 v[28:29], v[4:5], v[28:29]
	v_add_f64 v[197:198], v[197:198], v[193:194]
	v_add_f64 v[199:200], v[199:200], v[195:196]
	ds_load_b128 v[193:196], v1 offset:928
	v_fma_f64 v[187:188], v[187:188], v[22:23], v[201:202]
	v_fma_f64 v[185:186], v[185:186], v[22:23], -v[24:25]
	scratch_load_b128 v[22:25], off, off offset:320
	v_add_f64 v[197:198], v[197:198], v[205:206]
	v_add_f64 v[199:200], v[199:200], v[203:204]
	v_fma_f64 v[203:204], v[4:5], v[26:27], v[207:208]
	v_fma_f64 v[205:206], v[2:3], v[26:27], -v[28:29]
	scratch_load_b128 v[26:29], off, off offset:336
	ds_load_b128 v[2:5], v1 offset:944
	s_waitcnt vmcnt(10) lgkmcnt(1)
	v_mul_f64 v[201:202], v[193:194], v[32:33]
	v_mul_f64 v[32:33], v[195:196], v[32:33]
	s_waitcnt vmcnt(9) lgkmcnt(0)
	v_mul_f64 v[207:208], v[2:3], v[36:37]
	v_mul_f64 v[36:37], v[4:5], v[36:37]
	v_add_f64 v[197:198], v[197:198], v[185:186]
	v_add_f64 v[199:200], v[199:200], v[187:188]
	ds_load_b128 v[185:188], v1 offset:960
	v_fma_f64 v[195:196], v[195:196], v[30:31], v[201:202]
	v_fma_f64 v[193:194], v[193:194], v[30:31], -v[32:33]
	scratch_load_b128 v[30:33], off, off offset:352
	v_add_f64 v[197:198], v[197:198], v[205:206]
	v_add_f64 v[199:200], v[199:200], v[203:204]
	v_fma_f64 v[205:206], v[4:5], v[34:35], v[207:208]
	v_fma_f64 v[207:208], v[2:3], v[34:35], -v[36:37]
	scratch_load_b128 v[34:37], off, off offset:368
	ds_load_b128 v[2:5], v1 offset:976
	s_waitcnt vmcnt(9) lgkmcnt(1)
	v_mul_f64 v[201:202], v[185:186], v[191:192]
	v_mul_f64 v[203:204], v[187:188], v[191:192]
	v_add_f64 v[197:198], v[197:198], v[193:194]
	v_add_f64 v[195:196], v[199:200], v[195:196]
	ds_load_b128 v[191:194], v1 offset:992
	v_fma_f64 v[201:202], v[187:188], v[189:190], v[201:202]
	v_fma_f64 v[189:190], v[185:186], v[189:190], -v[203:204]
	scratch_load_b128 v[185:188], off, off offset:384
	s_waitcnt vmcnt(9) lgkmcnt(1)
	v_mul_f64 v[199:200], v[2:3], v[40:41]
	v_mul_f64 v[40:41], v[4:5], v[40:41]
	v_add_f64 v[197:198], v[197:198], v[207:208]
	v_add_f64 v[195:196], v[195:196], v[205:206]
	s_delay_alu instid0(VALU_DEP_4) | instskip(NEXT) | instid1(VALU_DEP_4)
	v_fma_f64 v[199:200], v[4:5], v[38:39], v[199:200]
	v_fma_f64 v[205:206], v[2:3], v[38:39], -v[40:41]
	scratch_load_b128 v[38:41], off, off offset:400
	ds_load_b128 v[2:5], v1 offset:1008
	s_waitcnt vmcnt(9) lgkmcnt(1)
	v_mul_f64 v[203:204], v[191:192], v[8:9]
	v_mul_f64 v[8:9], v[193:194], v[8:9]
	s_waitcnt vmcnt(8) lgkmcnt(0)
	v_mul_f64 v[207:208], v[2:3], v[12:13]
	v_mul_f64 v[12:13], v[4:5], v[12:13]
	v_add_f64 v[189:190], v[197:198], v[189:190]
	v_add_f64 v[201:202], v[195:196], v[201:202]
	ds_load_b128 v[195:198], v1 offset:1024
	v_fma_f64 v[193:194], v[193:194], v[6:7], v[203:204]
	v_fma_f64 v[191:192], v[191:192], v[6:7], -v[8:9]
	scratch_load_b128 v[6:9], off, off offset:416
	v_fma_f64 v[203:204], v[4:5], v[10:11], v[207:208]
	v_add_f64 v[189:190], v[189:190], v[205:206]
	v_add_f64 v[199:200], v[201:202], v[199:200]
	v_fma_f64 v[205:206], v[2:3], v[10:11], -v[12:13]
	scratch_load_b128 v[10:13], off, off offset:432
	ds_load_b128 v[2:5], v1 offset:1040
	s_waitcnt vmcnt(9) lgkmcnt(1)
	v_mul_f64 v[201:202], v[195:196], v[16:17]
	v_mul_f64 v[16:17], v[197:198], v[16:17]
	v_add_f64 v[207:208], v[189:190], v[191:192]
	v_add_f64 v[193:194], v[199:200], v[193:194]
	s_waitcnt vmcnt(8) lgkmcnt(0)
	v_mul_f64 v[199:200], v[2:3], v[20:21]
	v_mul_f64 v[20:21], v[4:5], v[20:21]
	ds_load_b128 v[189:192], v1 offset:1056
	v_fma_f64 v[197:198], v[197:198], v[14:15], v[201:202]
	v_fma_f64 v[195:196], v[195:196], v[14:15], -v[16:17]
	scratch_load_b128 v[14:17], off, off offset:448
	v_add_f64 v[201:202], v[207:208], v[205:206]
	v_add_f64 v[193:194], v[193:194], v[203:204]
	v_fma_f64 v[199:200], v[4:5], v[18:19], v[199:200]
	v_fma_f64 v[205:206], v[2:3], v[18:19], -v[20:21]
	scratch_load_b128 v[18:21], off, off offset:464
	ds_load_b128 v[2:5], v1 offset:1072
	s_waitcnt vmcnt(9) lgkmcnt(1)
	v_mul_f64 v[203:204], v[189:190], v[24:25]
	v_mul_f64 v[24:25], v[191:192], v[24:25]
	s_waitcnt vmcnt(8) lgkmcnt(0)
	v_mul_f64 v[207:208], v[2:3], v[28:29]
	v_mul_f64 v[28:29], v[4:5], v[28:29]
	v_add_f64 v[201:202], v[201:202], v[195:196]
	v_add_f64 v[197:198], v[193:194], v[197:198]
	ds_load_b128 v[193:196], v1 offset:1088
	v_fma_f64 v[191:192], v[191:192], v[22:23], v[203:204]
	v_fma_f64 v[189:190], v[189:190], v[22:23], -v[24:25]
	scratch_load_b128 v[22:25], off, off offset:480
	v_fma_f64 v[203:204], v[4:5], v[26:27], v[207:208]
	v_add_f64 v[201:202], v[201:202], v[205:206]
	v_add_f64 v[197:198], v[197:198], v[199:200]
	v_fma_f64 v[205:206], v[2:3], v[26:27], -v[28:29]
	scratch_load_b128 v[26:29], off, off offset:496
	ds_load_b128 v[2:5], v1 offset:1104
	s_waitcnt vmcnt(9) lgkmcnt(1)
	v_mul_f64 v[199:200], v[193:194], v[32:33]
	v_mul_f64 v[32:33], v[195:196], v[32:33]
	s_waitcnt vmcnt(8) lgkmcnt(0)
	v_mul_f64 v[207:208], v[2:3], v[36:37]
	v_mul_f64 v[36:37], v[4:5], v[36:37]
	v_add_f64 v[201:202], v[201:202], v[189:190]
	v_add_f64 v[197:198], v[197:198], v[191:192]
	ds_load_b128 v[189:192], v1 offset:1120
	v_fma_f64 v[195:196], v[195:196], v[30:31], v[199:200]
	v_fma_f64 v[193:194], v[193:194], v[30:31], -v[32:33]
	scratch_load_b128 v[30:33], off, off offset:512
	v_add_f64 v[199:200], v[201:202], v[205:206]
	v_add_f64 v[197:198], v[197:198], v[203:204]
	v_fma_f64 v[203:204], v[4:5], v[34:35], v[207:208]
	v_fma_f64 v[205:206], v[2:3], v[34:35], -v[36:37]
	scratch_load_b128 v[34:37], off, off offset:528
	ds_load_b128 v[2:5], v1 offset:1136
	s_waitcnt vmcnt(9) lgkmcnt(1)
	v_mul_f64 v[201:202], v[189:190], v[187:188]
	v_mul_f64 v[187:188], v[191:192], v[187:188]
	s_waitcnt vmcnt(8) lgkmcnt(0)
	v_mul_f64 v[207:208], v[2:3], v[40:41]
	v_mul_f64 v[40:41], v[4:5], v[40:41]
	v_add_f64 v[199:200], v[199:200], v[193:194]
	v_add_f64 v[197:198], v[197:198], v[195:196]
	ds_load_b128 v[193:196], v1 offset:1152
	v_fma_f64 v[191:192], v[191:192], v[185:186], v[201:202]
	v_fma_f64 v[189:190], v[189:190], v[185:186], -v[187:188]
	scratch_load_b128 v[185:188], off, off offset:544
	v_add_f64 v[199:200], v[199:200], v[205:206]
	v_add_f64 v[197:198], v[197:198], v[203:204]
	v_fma_f64 v[203:204], v[4:5], v[38:39], v[207:208]
	;; [unrolled: 18-line block ×6, first 2 shown]
	v_fma_f64 v[207:208], v[2:3], v[34:35], -v[36:37]
	scratch_load_b128 v[34:37], off, off offset:688
	ds_load_b128 v[2:5], v1 offset:1296
	s_waitcnt vmcnt(9) lgkmcnt(1)
	v_mul_f64 v[201:202], v[193:194], v[187:188]
	v_mul_f64 v[203:204], v[195:196], v[187:188]
	v_add_f64 v[199:200], v[199:200], v[189:190]
	v_add_f64 v[191:192], v[197:198], v[191:192]
	s_waitcnt vmcnt(8) lgkmcnt(0)
	v_mul_f64 v[197:198], v[2:3], v[40:41]
	v_mul_f64 v[40:41], v[4:5], v[40:41]
	ds_load_b128 v[187:190], v1 offset:1312
	v_fma_f64 v[195:196], v[195:196], v[185:186], v[201:202]
	v_fma_f64 v[185:186], v[193:194], v[185:186], -v[203:204]
	v_add_f64 v[199:200], v[199:200], v[207:208]
	v_add_f64 v[201:202], v[191:192], v[205:206]
	scratch_load_b128 v[191:194], off, off offset:704
	v_fma_f64 v[205:206], v[4:5], v[38:39], v[197:198]
	v_fma_f64 v[207:208], v[2:3], v[38:39], -v[40:41]
	scratch_load_b128 v[38:41], off, off offset:720
	ds_load_b128 v[2:5], v1 offset:1328
	s_waitcnt vmcnt(9) lgkmcnt(1)
	v_mul_f64 v[203:204], v[187:188], v[8:9]
	v_mul_f64 v[8:9], v[189:190], v[8:9]
	v_add_f64 v[185:186], v[199:200], v[185:186]
	v_add_f64 v[199:200], v[201:202], v[195:196]
	s_waitcnt vmcnt(8) lgkmcnt(0)
	v_mul_f64 v[201:202], v[2:3], v[12:13]
	v_mul_f64 v[12:13], v[4:5], v[12:13]
	ds_load_b128 v[195:198], v1 offset:1344
	v_fma_f64 v[189:190], v[189:190], v[6:7], v[203:204]
	v_fma_f64 v[6:7], v[187:188], v[6:7], -v[8:9]
	s_waitcnt vmcnt(7) lgkmcnt(0)
	v_mul_f64 v[187:188], v[195:196], v[16:17]
	v_mul_f64 v[16:17], v[197:198], v[16:17]
	v_add_f64 v[8:9], v[185:186], v[207:208]
	v_add_f64 v[185:186], v[199:200], v[205:206]
	v_fma_f64 v[199:200], v[4:5], v[10:11], v[201:202]
	v_fma_f64 v[10:11], v[2:3], v[10:11], -v[12:13]
	v_fma_f64 v[187:188], v[197:198], v[14:15], v[187:188]
	v_fma_f64 v[14:15], v[195:196], v[14:15], -v[16:17]
	v_add_f64 v[12:13], v[8:9], v[6:7]
	v_add_f64 v[185:186], v[185:186], v[189:190]
	ds_load_b128 v[2:5], v1 offset:1360
	ds_load_b128 v[6:9], v1 offset:1376
	s_waitcnt vmcnt(6) lgkmcnt(1)
	v_mul_f64 v[189:190], v[2:3], v[20:21]
	v_mul_f64 v[20:21], v[4:5], v[20:21]
	s_waitcnt vmcnt(5) lgkmcnt(0)
	v_mul_f64 v[16:17], v[6:7], v[24:25]
	v_mul_f64 v[24:25], v[8:9], v[24:25]
	v_add_f64 v[10:11], v[12:13], v[10:11]
	v_add_f64 v[12:13], v[185:186], v[199:200]
	v_fma_f64 v[185:186], v[4:5], v[18:19], v[189:190]
	v_fma_f64 v[18:19], v[2:3], v[18:19], -v[20:21]
	v_fma_f64 v[8:9], v[8:9], v[22:23], v[16:17]
	v_fma_f64 v[6:7], v[6:7], v[22:23], -v[24:25]
	v_add_f64 v[14:15], v[10:11], v[14:15]
	v_add_f64 v[20:21], v[12:13], v[187:188]
	ds_load_b128 v[2:5], v1 offset:1392
	ds_load_b128 v[10:13], v1 offset:1408
	s_waitcnt vmcnt(4) lgkmcnt(1)
	v_mul_f64 v[187:188], v[2:3], v[28:29]
	v_mul_f64 v[28:29], v[4:5], v[28:29]
	v_add_f64 v[14:15], v[14:15], v[18:19]
	v_add_f64 v[16:17], v[20:21], v[185:186]
	s_waitcnt vmcnt(3) lgkmcnt(0)
	v_mul_f64 v[18:19], v[10:11], v[32:33]
	v_mul_f64 v[20:21], v[12:13], v[32:33]
	v_fma_f64 v[22:23], v[4:5], v[26:27], v[187:188]
	v_fma_f64 v[24:25], v[2:3], v[26:27], -v[28:29]
	v_add_f64 v[14:15], v[14:15], v[6:7]
	v_add_f64 v[16:17], v[16:17], v[8:9]
	ds_load_b128 v[2:5], v1 offset:1424
	ds_load_b128 v[6:9], v1 offset:1440
	v_fma_f64 v[12:13], v[12:13], v[30:31], v[18:19]
	v_fma_f64 v[10:11], v[10:11], v[30:31], -v[20:21]
	s_waitcnt vmcnt(2) lgkmcnt(1)
	v_mul_f64 v[26:27], v[2:3], v[36:37]
	v_mul_f64 v[28:29], v[4:5], v[36:37]
	v_add_f64 v[14:15], v[14:15], v[24:25]
	v_add_f64 v[16:17], v[16:17], v[22:23]
	s_waitcnt vmcnt(1) lgkmcnt(0)
	v_mul_f64 v[18:19], v[6:7], v[193:194]
	v_mul_f64 v[20:21], v[8:9], v[193:194]
	v_fma_f64 v[22:23], v[4:5], v[34:35], v[26:27]
	v_fma_f64 v[24:25], v[2:3], v[34:35], -v[28:29]
	ds_load_b128 v[2:5], v1 offset:1456
	v_add_f64 v[10:11], v[14:15], v[10:11]
	v_add_f64 v[12:13], v[16:17], v[12:13]
	s_waitcnt vmcnt(0) lgkmcnt(0)
	v_mul_f64 v[14:15], v[2:3], v[40:41]
	v_mul_f64 v[16:17], v[4:5], v[40:41]
	v_fma_f64 v[8:9], v[8:9], v[191:192], v[18:19]
	v_fma_f64 v[6:7], v[6:7], v[191:192], -v[20:21]
	v_add_f64 v[10:11], v[10:11], v[24:25]
	v_add_f64 v[12:13], v[12:13], v[22:23]
	v_fma_f64 v[4:5], v[4:5], v[38:39], v[14:15]
	v_fma_f64 v[2:3], v[2:3], v[38:39], -v[16:17]
	s_delay_alu instid0(VALU_DEP_4) | instskip(NEXT) | instid1(VALU_DEP_4)
	v_add_f64 v[6:7], v[10:11], v[6:7]
	v_add_f64 v[8:9], v[12:13], v[8:9]
	s_delay_alu instid0(VALU_DEP_2) | instskip(NEXT) | instid1(VALU_DEP_2)
	v_add_f64 v[2:3], v[6:7], v[2:3]
	v_add_f64 v[4:5], v[8:9], v[4:5]
	s_delay_alu instid0(VALU_DEP_2) | instskip(NEXT) | instid1(VALU_DEP_2)
	v_add_f64 v[2:3], v[42:43], -v[2:3]
	v_add_f64 v[4:5], v[44:45], -v[4:5]
	scratch_store_b128 off, v[2:5], off offset:64
	v_cmpx_lt_u32_e32 3, v138
	s_cbranch_execz .LBB45_283
; %bb.282:
	scratch_load_b128 v[5:8], v181, off
	v_mov_b32_e32 v2, v1
	v_mov_b32_e32 v3, v1
	;; [unrolled: 1-line block ×3, first 2 shown]
	scratch_store_b128 off, v[1:4], off offset:48
	s_waitcnt vmcnt(0)
	ds_store_b128 v184, v[5:8]
.LBB45_283:
	s_or_b32 exec_lo, exec_lo, s2
	s_waitcnt lgkmcnt(0)
	s_waitcnt_vscnt null, 0x0
	s_barrier
	buffer_gl0_inv
	s_clause 0x8
	scratch_load_b128 v[2:5], off, off offset:64
	scratch_load_b128 v[6:9], off, off offset:80
	;; [unrolled: 1-line block ×9, first 2 shown]
	ds_load_b128 v[42:45], v1 offset:800
	ds_load_b128 v[38:41], v1 offset:816
	s_clause 0x1
	scratch_load_b128 v[185:188], off, off offset:48
	scratch_load_b128 v[189:192], off, off offset:208
	s_mov_b32 s2, exec_lo
	s_waitcnt vmcnt(10) lgkmcnt(1)
	v_mul_f64 v[193:194], v[44:45], v[4:5]
	v_mul_f64 v[4:5], v[42:43], v[4:5]
	s_waitcnt vmcnt(9) lgkmcnt(0)
	v_mul_f64 v[197:198], v[38:39], v[8:9]
	v_mul_f64 v[8:9], v[40:41], v[8:9]
	s_delay_alu instid0(VALU_DEP_4) | instskip(NEXT) | instid1(VALU_DEP_4)
	v_fma_f64 v[199:200], v[42:43], v[2:3], -v[193:194]
	v_fma_f64 v[201:202], v[44:45], v[2:3], v[4:5]
	ds_load_b128 v[2:5], v1 offset:832
	ds_load_b128 v[193:196], v1 offset:848
	scratch_load_b128 v[42:45], off, off offset:224
	v_fma_f64 v[40:41], v[40:41], v[6:7], v[197:198]
	v_fma_f64 v[38:39], v[38:39], v[6:7], -v[8:9]
	scratch_load_b128 v[6:9], off, off offset:240
	s_waitcnt vmcnt(10) lgkmcnt(1)
	v_mul_f64 v[203:204], v[2:3], v[12:13]
	v_mul_f64 v[12:13], v[4:5], v[12:13]
	v_add_f64 v[197:198], v[199:200], 0
	v_add_f64 v[199:200], v[201:202], 0
	s_waitcnt vmcnt(9) lgkmcnt(0)
	v_mul_f64 v[201:202], v[193:194], v[16:17]
	v_mul_f64 v[16:17], v[195:196], v[16:17]
	v_fma_f64 v[203:204], v[4:5], v[10:11], v[203:204]
	v_fma_f64 v[205:206], v[2:3], v[10:11], -v[12:13]
	ds_load_b128 v[2:5], v1 offset:864
	scratch_load_b128 v[10:13], off, off offset:256
	v_add_f64 v[197:198], v[197:198], v[38:39]
	v_add_f64 v[199:200], v[199:200], v[40:41]
	ds_load_b128 v[38:41], v1 offset:880
	v_fma_f64 v[195:196], v[195:196], v[14:15], v[201:202]
	v_fma_f64 v[193:194], v[193:194], v[14:15], -v[16:17]
	scratch_load_b128 v[14:17], off, off offset:272
	s_waitcnt vmcnt(10) lgkmcnt(1)
	v_mul_f64 v[207:208], v[2:3], v[20:21]
	v_mul_f64 v[20:21], v[4:5], v[20:21]
	s_waitcnt vmcnt(9) lgkmcnt(0)
	v_mul_f64 v[201:202], v[38:39], v[24:25]
	v_mul_f64 v[24:25], v[40:41], v[24:25]
	v_add_f64 v[197:198], v[197:198], v[205:206]
	v_add_f64 v[199:200], v[199:200], v[203:204]
	v_fma_f64 v[203:204], v[4:5], v[18:19], v[207:208]
	v_fma_f64 v[205:206], v[2:3], v[18:19], -v[20:21]
	ds_load_b128 v[2:5], v1 offset:896
	scratch_load_b128 v[18:21], off, off offset:288
	v_fma_f64 v[40:41], v[40:41], v[22:23], v[201:202]
	v_fma_f64 v[38:39], v[38:39], v[22:23], -v[24:25]
	scratch_load_b128 v[22:25], off, off offset:304
	v_add_f64 v[197:198], v[197:198], v[193:194]
	v_add_f64 v[199:200], v[199:200], v[195:196]
	ds_load_b128 v[193:196], v1 offset:912
	s_waitcnt vmcnt(10) lgkmcnt(1)
	v_mul_f64 v[207:208], v[2:3], v[28:29]
	v_mul_f64 v[28:29], v[4:5], v[28:29]
	s_waitcnt vmcnt(9) lgkmcnt(0)
	v_mul_f64 v[201:202], v[193:194], v[32:33]
	v_mul_f64 v[32:33], v[195:196], v[32:33]
	v_add_f64 v[197:198], v[197:198], v[205:206]
	v_add_f64 v[199:200], v[199:200], v[203:204]
	v_fma_f64 v[203:204], v[4:5], v[26:27], v[207:208]
	v_fma_f64 v[205:206], v[2:3], v[26:27], -v[28:29]
	ds_load_b128 v[2:5], v1 offset:928
	scratch_load_b128 v[26:29], off, off offset:320
	v_fma_f64 v[195:196], v[195:196], v[30:31], v[201:202]
	v_fma_f64 v[193:194], v[193:194], v[30:31], -v[32:33]
	scratch_load_b128 v[30:33], off, off offset:336
	v_add_f64 v[197:198], v[197:198], v[38:39]
	v_add_f64 v[199:200], v[199:200], v[40:41]
	ds_load_b128 v[38:41], v1 offset:944
	s_waitcnt vmcnt(10) lgkmcnt(1)
	v_mul_f64 v[207:208], v[2:3], v[36:37]
	v_mul_f64 v[36:37], v[4:5], v[36:37]
	s_waitcnt vmcnt(8) lgkmcnt(0)
	v_mul_f64 v[201:202], v[38:39], v[191:192]
	v_add_f64 v[197:198], v[197:198], v[205:206]
	v_add_f64 v[199:200], v[199:200], v[203:204]
	v_mul_f64 v[203:204], v[40:41], v[191:192]
	v_fma_f64 v[205:206], v[4:5], v[34:35], v[207:208]
	v_fma_f64 v[207:208], v[2:3], v[34:35], -v[36:37]
	ds_load_b128 v[2:5], v1 offset:960
	scratch_load_b128 v[34:37], off, off offset:352
	v_fma_f64 v[201:202], v[40:41], v[189:190], v[201:202]
	v_add_f64 v[197:198], v[197:198], v[193:194]
	v_add_f64 v[195:196], v[199:200], v[195:196]
	ds_load_b128 v[191:194], v1 offset:976
	v_fma_f64 v[189:190], v[38:39], v[189:190], -v[203:204]
	scratch_load_b128 v[38:41], off, off offset:368
	s_waitcnt vmcnt(9) lgkmcnt(1)
	v_mul_f64 v[199:200], v[2:3], v[44:45]
	v_mul_f64 v[44:45], v[4:5], v[44:45]
	s_waitcnt vmcnt(8) lgkmcnt(0)
	v_mul_f64 v[203:204], v[191:192], v[8:9]
	v_mul_f64 v[8:9], v[193:194], v[8:9]
	v_add_f64 v[197:198], v[197:198], v[207:208]
	v_add_f64 v[195:196], v[195:196], v[205:206]
	v_fma_f64 v[199:200], v[4:5], v[42:43], v[199:200]
	v_fma_f64 v[205:206], v[2:3], v[42:43], -v[44:45]
	ds_load_b128 v[2:5], v1 offset:992
	scratch_load_b128 v[42:45], off, off offset:384
	v_fma_f64 v[193:194], v[193:194], v[6:7], v[203:204]
	v_fma_f64 v[191:192], v[191:192], v[6:7], -v[8:9]
	scratch_load_b128 v[6:9], off, off offset:400
	v_add_f64 v[189:190], v[197:198], v[189:190]
	v_add_f64 v[201:202], v[195:196], v[201:202]
	ds_load_b128 v[195:198], v1 offset:1008
	s_waitcnt vmcnt(9) lgkmcnt(1)
	v_mul_f64 v[207:208], v[2:3], v[12:13]
	v_mul_f64 v[12:13], v[4:5], v[12:13]
	v_add_f64 v[189:190], v[189:190], v[205:206]
	v_add_f64 v[199:200], v[201:202], v[199:200]
	s_waitcnt vmcnt(8) lgkmcnt(0)
	v_mul_f64 v[201:202], v[195:196], v[16:17]
	v_mul_f64 v[16:17], v[197:198], v[16:17]
	v_fma_f64 v[203:204], v[4:5], v[10:11], v[207:208]
	v_fma_f64 v[205:206], v[2:3], v[10:11], -v[12:13]
	ds_load_b128 v[2:5], v1 offset:1024
	scratch_load_b128 v[10:13], off, off offset:416
	v_add_f64 v[207:208], v[189:190], v[191:192]
	v_add_f64 v[193:194], v[199:200], v[193:194]
	ds_load_b128 v[189:192], v1 offset:1040
	s_waitcnt vmcnt(8) lgkmcnt(1)
	v_mul_f64 v[199:200], v[2:3], v[20:21]
	v_mul_f64 v[20:21], v[4:5], v[20:21]
	v_fma_f64 v[197:198], v[197:198], v[14:15], v[201:202]
	v_fma_f64 v[195:196], v[195:196], v[14:15], -v[16:17]
	scratch_load_b128 v[14:17], off, off offset:432
	v_add_f64 v[201:202], v[207:208], v[205:206]
	v_add_f64 v[193:194], v[193:194], v[203:204]
	s_waitcnt vmcnt(8) lgkmcnt(0)
	v_mul_f64 v[203:204], v[189:190], v[24:25]
	v_mul_f64 v[24:25], v[191:192], v[24:25]
	v_fma_f64 v[199:200], v[4:5], v[18:19], v[199:200]
	v_fma_f64 v[205:206], v[2:3], v[18:19], -v[20:21]
	ds_load_b128 v[2:5], v1 offset:1056
	scratch_load_b128 v[18:21], off, off offset:448
	v_add_f64 v[201:202], v[201:202], v[195:196]
	v_add_f64 v[197:198], v[193:194], v[197:198]
	ds_load_b128 v[193:196], v1 offset:1072
	s_waitcnt vmcnt(8) lgkmcnt(1)
	v_mul_f64 v[207:208], v[2:3], v[28:29]
	v_mul_f64 v[28:29], v[4:5], v[28:29]
	v_fma_f64 v[191:192], v[191:192], v[22:23], v[203:204]
	v_fma_f64 v[189:190], v[189:190], v[22:23], -v[24:25]
	scratch_load_b128 v[22:25], off, off offset:464
	;; [unrolled: 18-line block ×4, first 2 shown]
	s_waitcnt vmcnt(8) lgkmcnt(0)
	v_mul_f64 v[201:202], v[193:194], v[8:9]
	v_mul_f64 v[8:9], v[195:196], v[8:9]
	v_add_f64 v[199:200], v[199:200], v[205:206]
	v_add_f64 v[197:198], v[197:198], v[203:204]
	v_fma_f64 v[203:204], v[4:5], v[42:43], v[207:208]
	v_fma_f64 v[205:206], v[2:3], v[42:43], -v[44:45]
	ds_load_b128 v[2:5], v1 offset:1152
	scratch_load_b128 v[42:45], off, off offset:544
	v_fma_f64 v[195:196], v[195:196], v[6:7], v[201:202]
	v_fma_f64 v[193:194], v[193:194], v[6:7], -v[8:9]
	scratch_load_b128 v[6:9], off, off offset:560
	v_add_f64 v[199:200], v[199:200], v[189:190]
	v_add_f64 v[197:198], v[197:198], v[191:192]
	ds_load_b128 v[189:192], v1 offset:1168
	s_waitcnt vmcnt(9) lgkmcnt(1)
	v_mul_f64 v[207:208], v[2:3], v[12:13]
	v_mul_f64 v[12:13], v[4:5], v[12:13]
	s_waitcnt vmcnt(8) lgkmcnt(0)
	v_mul_f64 v[201:202], v[189:190], v[16:17]
	v_mul_f64 v[16:17], v[191:192], v[16:17]
	v_add_f64 v[199:200], v[199:200], v[205:206]
	v_add_f64 v[197:198], v[197:198], v[203:204]
	v_fma_f64 v[203:204], v[4:5], v[10:11], v[207:208]
	v_fma_f64 v[205:206], v[2:3], v[10:11], -v[12:13]
	ds_load_b128 v[2:5], v1 offset:1184
	scratch_load_b128 v[10:13], off, off offset:576
	v_fma_f64 v[191:192], v[191:192], v[14:15], v[201:202]
	v_fma_f64 v[189:190], v[189:190], v[14:15], -v[16:17]
	scratch_load_b128 v[14:17], off, off offset:592
	v_add_f64 v[199:200], v[199:200], v[193:194]
	v_add_f64 v[197:198], v[197:198], v[195:196]
	ds_load_b128 v[193:196], v1 offset:1200
	s_waitcnt vmcnt(9) lgkmcnt(1)
	v_mul_f64 v[207:208], v[2:3], v[20:21]
	v_mul_f64 v[20:21], v[4:5], v[20:21]
	;; [unrolled: 18-line block ×6, first 2 shown]
	s_waitcnt vmcnt(8) lgkmcnt(0)
	v_mul_f64 v[201:202], v[193:194], v[16:17]
	v_mul_f64 v[16:17], v[195:196], v[16:17]
	v_add_f64 v[199:200], v[199:200], v[205:206]
	v_add_f64 v[197:198], v[197:198], v[203:204]
	v_fma_f64 v[203:204], v[4:5], v[10:11], v[207:208]
	v_fma_f64 v[205:206], v[2:3], v[10:11], -v[12:13]
	ds_load_b128 v[2:5], v1 offset:1344
	ds_load_b128 v[10:13], v1 offset:1360
	v_fma_f64 v[195:196], v[195:196], v[14:15], v[201:202]
	v_fma_f64 v[14:15], v[193:194], v[14:15], -v[16:17]
	v_add_f64 v[189:190], v[199:200], v[189:190]
	v_add_f64 v[191:192], v[197:198], v[191:192]
	s_waitcnt vmcnt(7) lgkmcnt(1)
	v_mul_f64 v[197:198], v[2:3], v[20:21]
	v_mul_f64 v[20:21], v[4:5], v[20:21]
	s_delay_alu instid0(VALU_DEP_4) | instskip(NEXT) | instid1(VALU_DEP_4)
	v_add_f64 v[16:17], v[189:190], v[205:206]
	v_add_f64 v[189:190], v[191:192], v[203:204]
	s_waitcnt vmcnt(6) lgkmcnt(0)
	v_mul_f64 v[191:192], v[10:11], v[24:25]
	v_mul_f64 v[24:25], v[12:13], v[24:25]
	v_fma_f64 v[193:194], v[4:5], v[18:19], v[197:198]
	v_fma_f64 v[18:19], v[2:3], v[18:19], -v[20:21]
	v_add_f64 v[20:21], v[16:17], v[14:15]
	v_add_f64 v[189:190], v[189:190], v[195:196]
	ds_load_b128 v[2:5], v1 offset:1376
	ds_load_b128 v[14:17], v1 offset:1392
	v_fma_f64 v[12:13], v[12:13], v[22:23], v[191:192]
	v_fma_f64 v[10:11], v[10:11], v[22:23], -v[24:25]
	s_waitcnt vmcnt(5) lgkmcnt(1)
	v_mul_f64 v[195:196], v[2:3], v[28:29]
	v_mul_f64 v[28:29], v[4:5], v[28:29]
	s_waitcnt vmcnt(4) lgkmcnt(0)
	v_mul_f64 v[22:23], v[14:15], v[32:33]
	v_mul_f64 v[24:25], v[16:17], v[32:33]
	v_add_f64 v[18:19], v[20:21], v[18:19]
	v_add_f64 v[20:21], v[189:190], v[193:194]
	v_fma_f64 v[32:33], v[4:5], v[26:27], v[195:196]
	v_fma_f64 v[26:27], v[2:3], v[26:27], -v[28:29]
	v_fma_f64 v[16:17], v[16:17], v[30:31], v[22:23]
	v_fma_f64 v[14:15], v[14:15], v[30:31], -v[24:25]
	v_add_f64 v[18:19], v[18:19], v[10:11]
	v_add_f64 v[20:21], v[20:21], v[12:13]
	ds_load_b128 v[2:5], v1 offset:1408
	ds_load_b128 v[10:13], v1 offset:1424
	s_waitcnt vmcnt(3) lgkmcnt(1)
	v_mul_f64 v[28:29], v[2:3], v[36:37]
	v_mul_f64 v[36:37], v[4:5], v[36:37]
	s_waitcnt vmcnt(2) lgkmcnt(0)
	v_mul_f64 v[22:23], v[10:11], v[40:41]
	v_mul_f64 v[24:25], v[12:13], v[40:41]
	v_add_f64 v[18:19], v[18:19], v[26:27]
	v_add_f64 v[20:21], v[20:21], v[32:33]
	v_fma_f64 v[26:27], v[4:5], v[34:35], v[28:29]
	v_fma_f64 v[28:29], v[2:3], v[34:35], -v[36:37]
	v_fma_f64 v[12:13], v[12:13], v[38:39], v[22:23]
	v_fma_f64 v[10:11], v[10:11], v[38:39], -v[24:25]
	v_add_f64 v[18:19], v[18:19], v[14:15]
	v_add_f64 v[20:21], v[20:21], v[16:17]
	ds_load_b128 v[2:5], v1 offset:1440
	ds_load_b128 v[14:17], v1 offset:1456
	s_waitcnt vmcnt(1) lgkmcnt(1)
	v_mul_f64 v[30:31], v[2:3], v[44:45]
	v_mul_f64 v[32:33], v[4:5], v[44:45]
	s_waitcnt vmcnt(0) lgkmcnt(0)
	v_mul_f64 v[22:23], v[14:15], v[8:9]
	v_mul_f64 v[8:9], v[16:17], v[8:9]
	v_add_f64 v[18:19], v[18:19], v[28:29]
	v_add_f64 v[20:21], v[20:21], v[26:27]
	v_fma_f64 v[4:5], v[4:5], v[42:43], v[30:31]
	v_fma_f64 v[1:2], v[2:3], v[42:43], -v[32:33]
	v_fma_f64 v[16:17], v[16:17], v[6:7], v[22:23]
	v_fma_f64 v[6:7], v[14:15], v[6:7], -v[8:9]
	v_add_f64 v[10:11], v[18:19], v[10:11]
	v_add_f64 v[12:13], v[20:21], v[12:13]
	s_delay_alu instid0(VALU_DEP_2) | instskip(NEXT) | instid1(VALU_DEP_2)
	v_add_f64 v[1:2], v[10:11], v[1:2]
	v_add_f64 v[3:4], v[12:13], v[4:5]
	s_delay_alu instid0(VALU_DEP_2) | instskip(NEXT) | instid1(VALU_DEP_2)
	;; [unrolled: 3-line block ×3, first 2 shown]
	v_add_f64 v[1:2], v[185:186], -v[1:2]
	v_add_f64 v[3:4], v[187:188], -v[3:4]
	scratch_store_b128 off, v[1:4], off offset:48
	v_cmpx_lt_u32_e32 2, v138
	s_cbranch_execz .LBB45_285
; %bb.284:
	scratch_load_b128 v[1:4], v182, off
	v_mov_b32_e32 v5, 0
	s_delay_alu instid0(VALU_DEP_1)
	v_mov_b32_e32 v6, v5
	v_mov_b32_e32 v7, v5
	;; [unrolled: 1-line block ×3, first 2 shown]
	scratch_store_b128 off, v[5:8], off offset:32
	s_waitcnt vmcnt(0)
	ds_store_b128 v184, v[1:4]
.LBB45_285:
	s_or_b32 exec_lo, exec_lo, s2
	s_waitcnt lgkmcnt(0)
	s_waitcnt_vscnt null, 0x0
	s_barrier
	buffer_gl0_inv
	s_clause 0x7
	scratch_load_b128 v[2:5], off, off offset:48
	scratch_load_b128 v[6:9], off, off offset:64
	;; [unrolled: 1-line block ×8, first 2 shown]
	v_mov_b32_e32 v1, 0
	s_mov_b32 s2, exec_lo
	ds_load_b128 v[38:41], v1 offset:784
	s_clause 0x1
	scratch_load_b128 v[34:37], off, off offset:176
	scratch_load_b128 v[42:45], off, off offset:32
	ds_load_b128 v[185:188], v1 offset:800
	scratch_load_b128 v[189:192], off, off offset:192
	s_waitcnt vmcnt(10) lgkmcnt(1)
	v_mul_f64 v[193:194], v[40:41], v[4:5]
	v_mul_f64 v[4:5], v[38:39], v[4:5]
	s_delay_alu instid0(VALU_DEP_2) | instskip(NEXT) | instid1(VALU_DEP_2)
	v_fma_f64 v[199:200], v[38:39], v[2:3], -v[193:194]
	v_fma_f64 v[201:202], v[40:41], v[2:3], v[4:5]
	scratch_load_b128 v[38:41], off, off offset:208
	ds_load_b128 v[2:5], v1 offset:816
	s_waitcnt vmcnt(10) lgkmcnt(1)
	v_mul_f64 v[197:198], v[185:186], v[8:9]
	v_mul_f64 v[8:9], v[187:188], v[8:9]
	ds_load_b128 v[193:196], v1 offset:832
	s_waitcnt vmcnt(9) lgkmcnt(1)
	v_mul_f64 v[203:204], v[2:3], v[12:13]
	v_mul_f64 v[12:13], v[4:5], v[12:13]
	v_fma_f64 v[187:188], v[187:188], v[6:7], v[197:198]
	v_fma_f64 v[185:186], v[185:186], v[6:7], -v[8:9]
	v_add_f64 v[197:198], v[199:200], 0
	v_add_f64 v[199:200], v[201:202], 0
	scratch_load_b128 v[6:9], off, off offset:224
	v_fma_f64 v[203:204], v[4:5], v[10:11], v[203:204]
	v_fma_f64 v[205:206], v[2:3], v[10:11], -v[12:13]
	scratch_load_b128 v[10:13], off, off offset:240
	ds_load_b128 v[2:5], v1 offset:848
	s_waitcnt vmcnt(10) lgkmcnt(1)
	v_mul_f64 v[201:202], v[193:194], v[16:17]
	v_mul_f64 v[16:17], v[195:196], v[16:17]
	v_add_f64 v[197:198], v[197:198], v[185:186]
	v_add_f64 v[199:200], v[199:200], v[187:188]
	s_waitcnt vmcnt(9) lgkmcnt(0)
	v_mul_f64 v[207:208], v[2:3], v[20:21]
	v_mul_f64 v[20:21], v[4:5], v[20:21]
	ds_load_b128 v[185:188], v1 offset:864
	v_fma_f64 v[195:196], v[195:196], v[14:15], v[201:202]
	v_fma_f64 v[193:194], v[193:194], v[14:15], -v[16:17]
	scratch_load_b128 v[14:17], off, off offset:256
	v_add_f64 v[197:198], v[197:198], v[205:206]
	v_add_f64 v[199:200], v[199:200], v[203:204]
	v_fma_f64 v[203:204], v[4:5], v[18:19], v[207:208]
	v_fma_f64 v[205:206], v[2:3], v[18:19], -v[20:21]
	scratch_load_b128 v[18:21], off, off offset:272
	ds_load_b128 v[2:5], v1 offset:880
	s_waitcnt vmcnt(10) lgkmcnt(1)
	v_mul_f64 v[201:202], v[185:186], v[24:25]
	v_mul_f64 v[24:25], v[187:188], v[24:25]
	s_waitcnt vmcnt(9) lgkmcnt(0)
	v_mul_f64 v[207:208], v[2:3], v[28:29]
	v_mul_f64 v[28:29], v[4:5], v[28:29]
	v_add_f64 v[197:198], v[197:198], v[193:194]
	v_add_f64 v[199:200], v[199:200], v[195:196]
	ds_load_b128 v[193:196], v1 offset:896
	v_fma_f64 v[187:188], v[187:188], v[22:23], v[201:202]
	v_fma_f64 v[185:186], v[185:186], v[22:23], -v[24:25]
	scratch_load_b128 v[22:25], off, off offset:288
	v_add_f64 v[197:198], v[197:198], v[205:206]
	v_add_f64 v[199:200], v[199:200], v[203:204]
	v_fma_f64 v[203:204], v[4:5], v[26:27], v[207:208]
	v_fma_f64 v[205:206], v[2:3], v[26:27], -v[28:29]
	scratch_load_b128 v[26:29], off, off offset:304
	ds_load_b128 v[2:5], v1 offset:912
	s_waitcnt vmcnt(10) lgkmcnt(1)
	v_mul_f64 v[201:202], v[193:194], v[32:33]
	v_mul_f64 v[32:33], v[195:196], v[32:33]
	s_waitcnt vmcnt(9) lgkmcnt(0)
	v_mul_f64 v[207:208], v[2:3], v[36:37]
	v_mul_f64 v[36:37], v[4:5], v[36:37]
	v_add_f64 v[197:198], v[197:198], v[185:186]
	v_add_f64 v[199:200], v[199:200], v[187:188]
	ds_load_b128 v[185:188], v1 offset:928
	v_fma_f64 v[195:196], v[195:196], v[30:31], v[201:202]
	v_fma_f64 v[193:194], v[193:194], v[30:31], -v[32:33]
	scratch_load_b128 v[30:33], off, off offset:320
	v_add_f64 v[197:198], v[197:198], v[205:206]
	v_add_f64 v[199:200], v[199:200], v[203:204]
	v_fma_f64 v[205:206], v[4:5], v[34:35], v[207:208]
	v_fma_f64 v[207:208], v[2:3], v[34:35], -v[36:37]
	scratch_load_b128 v[34:37], off, off offset:336
	ds_load_b128 v[2:5], v1 offset:944
	s_waitcnt vmcnt(9) lgkmcnt(1)
	v_mul_f64 v[201:202], v[185:186], v[191:192]
	v_mul_f64 v[203:204], v[187:188], v[191:192]
	v_add_f64 v[197:198], v[197:198], v[193:194]
	v_add_f64 v[195:196], v[199:200], v[195:196]
	ds_load_b128 v[191:194], v1 offset:960
	v_fma_f64 v[201:202], v[187:188], v[189:190], v[201:202]
	v_fma_f64 v[189:190], v[185:186], v[189:190], -v[203:204]
	scratch_load_b128 v[185:188], off, off offset:352
	s_waitcnt vmcnt(9) lgkmcnt(1)
	v_mul_f64 v[199:200], v[2:3], v[40:41]
	v_mul_f64 v[40:41], v[4:5], v[40:41]
	v_add_f64 v[197:198], v[197:198], v[207:208]
	v_add_f64 v[195:196], v[195:196], v[205:206]
	s_delay_alu instid0(VALU_DEP_4) | instskip(NEXT) | instid1(VALU_DEP_4)
	v_fma_f64 v[199:200], v[4:5], v[38:39], v[199:200]
	v_fma_f64 v[205:206], v[2:3], v[38:39], -v[40:41]
	scratch_load_b128 v[38:41], off, off offset:368
	ds_load_b128 v[2:5], v1 offset:976
	s_waitcnt vmcnt(9) lgkmcnt(1)
	v_mul_f64 v[203:204], v[191:192], v[8:9]
	v_mul_f64 v[8:9], v[193:194], v[8:9]
	s_waitcnt vmcnt(8) lgkmcnt(0)
	v_mul_f64 v[207:208], v[2:3], v[12:13]
	v_mul_f64 v[12:13], v[4:5], v[12:13]
	v_add_f64 v[189:190], v[197:198], v[189:190]
	v_add_f64 v[201:202], v[195:196], v[201:202]
	ds_load_b128 v[195:198], v1 offset:992
	v_fma_f64 v[193:194], v[193:194], v[6:7], v[203:204]
	v_fma_f64 v[191:192], v[191:192], v[6:7], -v[8:9]
	scratch_load_b128 v[6:9], off, off offset:384
	v_fma_f64 v[203:204], v[4:5], v[10:11], v[207:208]
	v_add_f64 v[189:190], v[189:190], v[205:206]
	v_add_f64 v[199:200], v[201:202], v[199:200]
	v_fma_f64 v[205:206], v[2:3], v[10:11], -v[12:13]
	scratch_load_b128 v[10:13], off, off offset:400
	ds_load_b128 v[2:5], v1 offset:1008
	s_waitcnt vmcnt(9) lgkmcnt(1)
	v_mul_f64 v[201:202], v[195:196], v[16:17]
	v_mul_f64 v[16:17], v[197:198], v[16:17]
	v_add_f64 v[207:208], v[189:190], v[191:192]
	v_add_f64 v[193:194], v[199:200], v[193:194]
	s_waitcnt vmcnt(8) lgkmcnt(0)
	v_mul_f64 v[199:200], v[2:3], v[20:21]
	v_mul_f64 v[20:21], v[4:5], v[20:21]
	ds_load_b128 v[189:192], v1 offset:1024
	v_fma_f64 v[197:198], v[197:198], v[14:15], v[201:202]
	v_fma_f64 v[195:196], v[195:196], v[14:15], -v[16:17]
	scratch_load_b128 v[14:17], off, off offset:416
	v_add_f64 v[201:202], v[207:208], v[205:206]
	v_add_f64 v[193:194], v[193:194], v[203:204]
	v_fma_f64 v[199:200], v[4:5], v[18:19], v[199:200]
	v_fma_f64 v[205:206], v[2:3], v[18:19], -v[20:21]
	scratch_load_b128 v[18:21], off, off offset:432
	ds_load_b128 v[2:5], v1 offset:1040
	s_waitcnt vmcnt(9) lgkmcnt(1)
	v_mul_f64 v[203:204], v[189:190], v[24:25]
	v_mul_f64 v[24:25], v[191:192], v[24:25]
	s_waitcnt vmcnt(8) lgkmcnt(0)
	v_mul_f64 v[207:208], v[2:3], v[28:29]
	v_mul_f64 v[28:29], v[4:5], v[28:29]
	v_add_f64 v[201:202], v[201:202], v[195:196]
	v_add_f64 v[197:198], v[193:194], v[197:198]
	ds_load_b128 v[193:196], v1 offset:1056
	v_fma_f64 v[191:192], v[191:192], v[22:23], v[203:204]
	v_fma_f64 v[189:190], v[189:190], v[22:23], -v[24:25]
	scratch_load_b128 v[22:25], off, off offset:448
	v_fma_f64 v[203:204], v[4:5], v[26:27], v[207:208]
	v_add_f64 v[201:202], v[201:202], v[205:206]
	v_add_f64 v[197:198], v[197:198], v[199:200]
	v_fma_f64 v[205:206], v[2:3], v[26:27], -v[28:29]
	scratch_load_b128 v[26:29], off, off offset:464
	ds_load_b128 v[2:5], v1 offset:1072
	s_waitcnt vmcnt(9) lgkmcnt(1)
	v_mul_f64 v[199:200], v[193:194], v[32:33]
	v_mul_f64 v[32:33], v[195:196], v[32:33]
	s_waitcnt vmcnt(8) lgkmcnt(0)
	v_mul_f64 v[207:208], v[2:3], v[36:37]
	v_mul_f64 v[36:37], v[4:5], v[36:37]
	v_add_f64 v[201:202], v[201:202], v[189:190]
	v_add_f64 v[197:198], v[197:198], v[191:192]
	ds_load_b128 v[189:192], v1 offset:1088
	v_fma_f64 v[195:196], v[195:196], v[30:31], v[199:200]
	v_fma_f64 v[193:194], v[193:194], v[30:31], -v[32:33]
	scratch_load_b128 v[30:33], off, off offset:480
	v_add_f64 v[199:200], v[201:202], v[205:206]
	v_add_f64 v[197:198], v[197:198], v[203:204]
	v_fma_f64 v[203:204], v[4:5], v[34:35], v[207:208]
	v_fma_f64 v[205:206], v[2:3], v[34:35], -v[36:37]
	scratch_load_b128 v[34:37], off, off offset:496
	ds_load_b128 v[2:5], v1 offset:1104
	s_waitcnt vmcnt(9) lgkmcnt(1)
	v_mul_f64 v[201:202], v[189:190], v[187:188]
	v_mul_f64 v[187:188], v[191:192], v[187:188]
	s_waitcnt vmcnt(8) lgkmcnt(0)
	v_mul_f64 v[207:208], v[2:3], v[40:41]
	v_mul_f64 v[40:41], v[4:5], v[40:41]
	v_add_f64 v[199:200], v[199:200], v[193:194]
	v_add_f64 v[197:198], v[197:198], v[195:196]
	ds_load_b128 v[193:196], v1 offset:1120
	v_fma_f64 v[191:192], v[191:192], v[185:186], v[201:202]
	v_fma_f64 v[189:190], v[189:190], v[185:186], -v[187:188]
	scratch_load_b128 v[185:188], off, off offset:512
	v_add_f64 v[199:200], v[199:200], v[205:206]
	v_add_f64 v[197:198], v[197:198], v[203:204]
	v_fma_f64 v[203:204], v[4:5], v[38:39], v[207:208]
	;; [unrolled: 18-line block ×6, first 2 shown]
	v_fma_f64 v[207:208], v[2:3], v[34:35], -v[36:37]
	scratch_load_b128 v[34:37], off, off offset:656
	ds_load_b128 v[2:5], v1 offset:1264
	s_waitcnt vmcnt(9) lgkmcnt(1)
	v_mul_f64 v[201:202], v[193:194], v[187:188]
	v_mul_f64 v[203:204], v[195:196], v[187:188]
	v_add_f64 v[199:200], v[199:200], v[189:190]
	v_add_f64 v[191:192], v[197:198], v[191:192]
	s_waitcnt vmcnt(8) lgkmcnt(0)
	v_mul_f64 v[197:198], v[2:3], v[40:41]
	v_mul_f64 v[40:41], v[4:5], v[40:41]
	ds_load_b128 v[187:190], v1 offset:1280
	v_fma_f64 v[195:196], v[195:196], v[185:186], v[201:202]
	v_fma_f64 v[185:186], v[193:194], v[185:186], -v[203:204]
	v_add_f64 v[199:200], v[199:200], v[207:208]
	v_add_f64 v[201:202], v[191:192], v[205:206]
	scratch_load_b128 v[191:194], off, off offset:672
	v_fma_f64 v[205:206], v[4:5], v[38:39], v[197:198]
	v_fma_f64 v[207:208], v[2:3], v[38:39], -v[40:41]
	scratch_load_b128 v[38:41], off, off offset:688
	ds_load_b128 v[2:5], v1 offset:1296
	s_waitcnt vmcnt(9) lgkmcnt(1)
	v_mul_f64 v[203:204], v[187:188], v[8:9]
	v_mul_f64 v[8:9], v[189:190], v[8:9]
	v_add_f64 v[185:186], v[199:200], v[185:186]
	v_add_f64 v[199:200], v[201:202], v[195:196]
	s_waitcnt vmcnt(8) lgkmcnt(0)
	v_mul_f64 v[201:202], v[2:3], v[12:13]
	v_mul_f64 v[12:13], v[4:5], v[12:13]
	ds_load_b128 v[195:198], v1 offset:1312
	v_fma_f64 v[189:190], v[189:190], v[6:7], v[203:204]
	v_fma_f64 v[187:188], v[187:188], v[6:7], -v[8:9]
	scratch_load_b128 v[6:9], off, off offset:704
	v_add_f64 v[185:186], v[185:186], v[207:208]
	v_add_f64 v[199:200], v[199:200], v[205:206]
	v_fma_f64 v[201:202], v[4:5], v[10:11], v[201:202]
	v_fma_f64 v[205:206], v[2:3], v[10:11], -v[12:13]
	scratch_load_b128 v[10:13], off, off offset:720
	ds_load_b128 v[2:5], v1 offset:1328
	s_waitcnt vmcnt(9) lgkmcnt(1)
	v_mul_f64 v[203:204], v[195:196], v[16:17]
	v_mul_f64 v[16:17], v[197:198], v[16:17]
	v_add_f64 v[207:208], v[185:186], v[187:188]
	v_add_f64 v[189:190], v[199:200], v[189:190]
	s_waitcnt vmcnt(8) lgkmcnt(0)
	v_mul_f64 v[199:200], v[2:3], v[20:21]
	v_mul_f64 v[20:21], v[4:5], v[20:21]
	ds_load_b128 v[185:188], v1 offset:1344
	v_fma_f64 v[197:198], v[197:198], v[14:15], v[203:204]
	v_fma_f64 v[14:15], v[195:196], v[14:15], -v[16:17]
	s_waitcnt vmcnt(7) lgkmcnt(0)
	v_mul_f64 v[195:196], v[185:186], v[24:25]
	v_mul_f64 v[24:25], v[187:188], v[24:25]
	v_add_f64 v[16:17], v[207:208], v[205:206]
	v_add_f64 v[189:190], v[189:190], v[201:202]
	v_fma_f64 v[199:200], v[4:5], v[18:19], v[199:200]
	v_fma_f64 v[18:19], v[2:3], v[18:19], -v[20:21]
	v_fma_f64 v[187:188], v[187:188], v[22:23], v[195:196]
	v_fma_f64 v[22:23], v[185:186], v[22:23], -v[24:25]
	v_add_f64 v[20:21], v[16:17], v[14:15]
	v_add_f64 v[189:190], v[189:190], v[197:198]
	ds_load_b128 v[2:5], v1 offset:1360
	ds_load_b128 v[14:17], v1 offset:1376
	s_waitcnt vmcnt(6) lgkmcnt(1)
	v_mul_f64 v[197:198], v[2:3], v[28:29]
	v_mul_f64 v[28:29], v[4:5], v[28:29]
	s_waitcnt vmcnt(5) lgkmcnt(0)
	v_mul_f64 v[24:25], v[14:15], v[32:33]
	v_mul_f64 v[32:33], v[16:17], v[32:33]
	v_add_f64 v[18:19], v[20:21], v[18:19]
	v_add_f64 v[20:21], v[189:190], v[199:200]
	v_fma_f64 v[185:186], v[4:5], v[26:27], v[197:198]
	v_fma_f64 v[26:27], v[2:3], v[26:27], -v[28:29]
	v_fma_f64 v[16:17], v[16:17], v[30:31], v[24:25]
	v_fma_f64 v[14:15], v[14:15], v[30:31], -v[32:33]
	v_add_f64 v[22:23], v[18:19], v[22:23]
	v_add_f64 v[28:29], v[20:21], v[187:188]
	ds_load_b128 v[2:5], v1 offset:1392
	ds_load_b128 v[18:21], v1 offset:1408
	s_waitcnt vmcnt(4) lgkmcnt(1)
	v_mul_f64 v[187:188], v[2:3], v[36:37]
	v_mul_f64 v[36:37], v[4:5], v[36:37]
	v_add_f64 v[22:23], v[22:23], v[26:27]
	v_add_f64 v[24:25], v[28:29], v[185:186]
	s_waitcnt vmcnt(3) lgkmcnt(0)
	v_mul_f64 v[26:27], v[18:19], v[193:194]
	v_mul_f64 v[28:29], v[20:21], v[193:194]
	v_fma_f64 v[30:31], v[4:5], v[34:35], v[187:188]
	v_fma_f64 v[32:33], v[2:3], v[34:35], -v[36:37]
	v_add_f64 v[22:23], v[22:23], v[14:15]
	v_add_f64 v[24:25], v[24:25], v[16:17]
	ds_load_b128 v[2:5], v1 offset:1424
	ds_load_b128 v[14:17], v1 offset:1440
	v_fma_f64 v[20:21], v[20:21], v[191:192], v[26:27]
	v_fma_f64 v[18:19], v[18:19], v[191:192], -v[28:29]
	s_waitcnt vmcnt(2) lgkmcnt(1)
	v_mul_f64 v[34:35], v[2:3], v[40:41]
	v_mul_f64 v[36:37], v[4:5], v[40:41]
	s_waitcnt vmcnt(1) lgkmcnt(0)
	v_mul_f64 v[26:27], v[14:15], v[8:9]
	v_mul_f64 v[8:9], v[16:17], v[8:9]
	v_add_f64 v[22:23], v[22:23], v[32:33]
	v_add_f64 v[24:25], v[24:25], v[30:31]
	v_fma_f64 v[28:29], v[4:5], v[38:39], v[34:35]
	v_fma_f64 v[30:31], v[2:3], v[38:39], -v[36:37]
	ds_load_b128 v[2:5], v1 offset:1456
	v_fma_f64 v[16:17], v[16:17], v[6:7], v[26:27]
	v_fma_f64 v[6:7], v[14:15], v[6:7], -v[8:9]
	v_add_f64 v[18:19], v[22:23], v[18:19]
	v_add_f64 v[20:21], v[24:25], v[20:21]
	s_waitcnt vmcnt(0) lgkmcnt(0)
	v_mul_f64 v[22:23], v[2:3], v[12:13]
	v_mul_f64 v[12:13], v[4:5], v[12:13]
	s_delay_alu instid0(VALU_DEP_4) | instskip(NEXT) | instid1(VALU_DEP_4)
	v_add_f64 v[8:9], v[18:19], v[30:31]
	v_add_f64 v[14:15], v[20:21], v[28:29]
	s_delay_alu instid0(VALU_DEP_4) | instskip(NEXT) | instid1(VALU_DEP_4)
	v_fma_f64 v[4:5], v[4:5], v[10:11], v[22:23]
	v_fma_f64 v[2:3], v[2:3], v[10:11], -v[12:13]
	s_delay_alu instid0(VALU_DEP_4) | instskip(NEXT) | instid1(VALU_DEP_4)
	v_add_f64 v[6:7], v[8:9], v[6:7]
	v_add_f64 v[8:9], v[14:15], v[16:17]
	s_delay_alu instid0(VALU_DEP_2) | instskip(NEXT) | instid1(VALU_DEP_2)
	v_add_f64 v[2:3], v[6:7], v[2:3]
	v_add_f64 v[4:5], v[8:9], v[4:5]
	s_delay_alu instid0(VALU_DEP_2) | instskip(NEXT) | instid1(VALU_DEP_2)
	v_add_f64 v[2:3], v[42:43], -v[2:3]
	v_add_f64 v[4:5], v[44:45], -v[4:5]
	scratch_store_b128 off, v[2:5], off offset:32
	v_cmpx_lt_u32_e32 1, v138
	s_cbranch_execz .LBB45_287
; %bb.286:
	scratch_load_b128 v[5:8], v183, off
	v_mov_b32_e32 v2, v1
	v_mov_b32_e32 v3, v1
	v_mov_b32_e32 v4, v1
	scratch_store_b128 off, v[1:4], off offset:16
	s_waitcnt vmcnt(0)
	ds_store_b128 v184, v[5:8]
.LBB45_287:
	s_or_b32 exec_lo, exec_lo, s2
	s_waitcnt lgkmcnt(0)
	s_waitcnt_vscnt null, 0x0
	s_barrier
	buffer_gl0_inv
	s_clause 0x8
	scratch_load_b128 v[2:5], off, off offset:32
	scratch_load_b128 v[6:9], off, off offset:48
	;; [unrolled: 1-line block ×9, first 2 shown]
	ds_load_b128 v[42:45], v1 offset:768
	ds_load_b128 v[38:41], v1 offset:784
	s_clause 0x1
	scratch_load_b128 v[185:188], off, off offset:16
	scratch_load_b128 v[189:192], off, off offset:176
	s_mov_b32 s2, exec_lo
	s_waitcnt vmcnt(10) lgkmcnt(1)
	v_mul_f64 v[193:194], v[44:45], v[4:5]
	v_mul_f64 v[4:5], v[42:43], v[4:5]
	s_waitcnt vmcnt(9) lgkmcnt(0)
	v_mul_f64 v[197:198], v[38:39], v[8:9]
	v_mul_f64 v[8:9], v[40:41], v[8:9]
	s_delay_alu instid0(VALU_DEP_4) | instskip(NEXT) | instid1(VALU_DEP_4)
	v_fma_f64 v[199:200], v[42:43], v[2:3], -v[193:194]
	v_fma_f64 v[201:202], v[44:45], v[2:3], v[4:5]
	ds_load_b128 v[2:5], v1 offset:800
	ds_load_b128 v[193:196], v1 offset:816
	scratch_load_b128 v[42:45], off, off offset:192
	v_fma_f64 v[40:41], v[40:41], v[6:7], v[197:198]
	v_fma_f64 v[38:39], v[38:39], v[6:7], -v[8:9]
	scratch_load_b128 v[6:9], off, off offset:208
	s_waitcnt vmcnt(10) lgkmcnt(1)
	v_mul_f64 v[203:204], v[2:3], v[12:13]
	v_mul_f64 v[12:13], v[4:5], v[12:13]
	v_add_f64 v[197:198], v[199:200], 0
	v_add_f64 v[199:200], v[201:202], 0
	s_waitcnt vmcnt(9) lgkmcnt(0)
	v_mul_f64 v[201:202], v[193:194], v[16:17]
	v_mul_f64 v[16:17], v[195:196], v[16:17]
	v_fma_f64 v[203:204], v[4:5], v[10:11], v[203:204]
	v_fma_f64 v[205:206], v[2:3], v[10:11], -v[12:13]
	ds_load_b128 v[2:5], v1 offset:832
	scratch_load_b128 v[10:13], off, off offset:224
	v_add_f64 v[197:198], v[197:198], v[38:39]
	v_add_f64 v[199:200], v[199:200], v[40:41]
	ds_load_b128 v[38:41], v1 offset:848
	v_fma_f64 v[195:196], v[195:196], v[14:15], v[201:202]
	v_fma_f64 v[193:194], v[193:194], v[14:15], -v[16:17]
	scratch_load_b128 v[14:17], off, off offset:240
	s_waitcnt vmcnt(10) lgkmcnt(1)
	v_mul_f64 v[207:208], v[2:3], v[20:21]
	v_mul_f64 v[20:21], v[4:5], v[20:21]
	s_waitcnt vmcnt(9) lgkmcnt(0)
	v_mul_f64 v[201:202], v[38:39], v[24:25]
	v_mul_f64 v[24:25], v[40:41], v[24:25]
	v_add_f64 v[197:198], v[197:198], v[205:206]
	v_add_f64 v[199:200], v[199:200], v[203:204]
	v_fma_f64 v[203:204], v[4:5], v[18:19], v[207:208]
	v_fma_f64 v[205:206], v[2:3], v[18:19], -v[20:21]
	ds_load_b128 v[2:5], v1 offset:864
	scratch_load_b128 v[18:21], off, off offset:256
	v_fma_f64 v[40:41], v[40:41], v[22:23], v[201:202]
	v_fma_f64 v[38:39], v[38:39], v[22:23], -v[24:25]
	scratch_load_b128 v[22:25], off, off offset:272
	v_add_f64 v[197:198], v[197:198], v[193:194]
	v_add_f64 v[199:200], v[199:200], v[195:196]
	ds_load_b128 v[193:196], v1 offset:880
	s_waitcnt vmcnt(10) lgkmcnt(1)
	v_mul_f64 v[207:208], v[2:3], v[28:29]
	v_mul_f64 v[28:29], v[4:5], v[28:29]
	s_waitcnt vmcnt(9) lgkmcnt(0)
	v_mul_f64 v[201:202], v[193:194], v[32:33]
	v_mul_f64 v[32:33], v[195:196], v[32:33]
	v_add_f64 v[197:198], v[197:198], v[205:206]
	v_add_f64 v[199:200], v[199:200], v[203:204]
	v_fma_f64 v[203:204], v[4:5], v[26:27], v[207:208]
	v_fma_f64 v[205:206], v[2:3], v[26:27], -v[28:29]
	ds_load_b128 v[2:5], v1 offset:896
	scratch_load_b128 v[26:29], off, off offset:288
	v_fma_f64 v[195:196], v[195:196], v[30:31], v[201:202]
	v_fma_f64 v[193:194], v[193:194], v[30:31], -v[32:33]
	scratch_load_b128 v[30:33], off, off offset:304
	v_add_f64 v[197:198], v[197:198], v[38:39]
	v_add_f64 v[199:200], v[199:200], v[40:41]
	ds_load_b128 v[38:41], v1 offset:912
	s_waitcnt vmcnt(10) lgkmcnt(1)
	v_mul_f64 v[207:208], v[2:3], v[36:37]
	v_mul_f64 v[36:37], v[4:5], v[36:37]
	s_waitcnt vmcnt(8) lgkmcnt(0)
	v_mul_f64 v[201:202], v[38:39], v[191:192]
	v_add_f64 v[197:198], v[197:198], v[205:206]
	v_add_f64 v[199:200], v[199:200], v[203:204]
	v_mul_f64 v[203:204], v[40:41], v[191:192]
	v_fma_f64 v[205:206], v[4:5], v[34:35], v[207:208]
	v_fma_f64 v[207:208], v[2:3], v[34:35], -v[36:37]
	ds_load_b128 v[2:5], v1 offset:928
	scratch_load_b128 v[34:37], off, off offset:320
	v_fma_f64 v[201:202], v[40:41], v[189:190], v[201:202]
	v_add_f64 v[197:198], v[197:198], v[193:194]
	v_add_f64 v[195:196], v[199:200], v[195:196]
	ds_load_b128 v[191:194], v1 offset:944
	v_fma_f64 v[189:190], v[38:39], v[189:190], -v[203:204]
	scratch_load_b128 v[38:41], off, off offset:336
	s_waitcnt vmcnt(9) lgkmcnt(1)
	v_mul_f64 v[199:200], v[2:3], v[44:45]
	v_mul_f64 v[44:45], v[4:5], v[44:45]
	s_waitcnt vmcnt(8) lgkmcnt(0)
	v_mul_f64 v[203:204], v[191:192], v[8:9]
	v_mul_f64 v[8:9], v[193:194], v[8:9]
	v_add_f64 v[197:198], v[197:198], v[207:208]
	v_add_f64 v[195:196], v[195:196], v[205:206]
	v_fma_f64 v[199:200], v[4:5], v[42:43], v[199:200]
	v_fma_f64 v[205:206], v[2:3], v[42:43], -v[44:45]
	ds_load_b128 v[2:5], v1 offset:960
	scratch_load_b128 v[42:45], off, off offset:352
	v_fma_f64 v[193:194], v[193:194], v[6:7], v[203:204]
	v_fma_f64 v[191:192], v[191:192], v[6:7], -v[8:9]
	scratch_load_b128 v[6:9], off, off offset:368
	v_add_f64 v[189:190], v[197:198], v[189:190]
	v_add_f64 v[201:202], v[195:196], v[201:202]
	ds_load_b128 v[195:198], v1 offset:976
	s_waitcnt vmcnt(9) lgkmcnt(1)
	v_mul_f64 v[207:208], v[2:3], v[12:13]
	v_mul_f64 v[12:13], v[4:5], v[12:13]
	v_add_f64 v[189:190], v[189:190], v[205:206]
	v_add_f64 v[199:200], v[201:202], v[199:200]
	s_waitcnt vmcnt(8) lgkmcnt(0)
	v_mul_f64 v[201:202], v[195:196], v[16:17]
	v_mul_f64 v[16:17], v[197:198], v[16:17]
	v_fma_f64 v[203:204], v[4:5], v[10:11], v[207:208]
	v_fma_f64 v[205:206], v[2:3], v[10:11], -v[12:13]
	ds_load_b128 v[2:5], v1 offset:992
	scratch_load_b128 v[10:13], off, off offset:384
	v_add_f64 v[207:208], v[189:190], v[191:192]
	v_add_f64 v[193:194], v[199:200], v[193:194]
	ds_load_b128 v[189:192], v1 offset:1008
	s_waitcnt vmcnt(8) lgkmcnt(1)
	v_mul_f64 v[199:200], v[2:3], v[20:21]
	v_mul_f64 v[20:21], v[4:5], v[20:21]
	v_fma_f64 v[197:198], v[197:198], v[14:15], v[201:202]
	v_fma_f64 v[195:196], v[195:196], v[14:15], -v[16:17]
	scratch_load_b128 v[14:17], off, off offset:400
	v_add_f64 v[201:202], v[207:208], v[205:206]
	v_add_f64 v[193:194], v[193:194], v[203:204]
	s_waitcnt vmcnt(8) lgkmcnt(0)
	v_mul_f64 v[203:204], v[189:190], v[24:25]
	v_mul_f64 v[24:25], v[191:192], v[24:25]
	v_fma_f64 v[199:200], v[4:5], v[18:19], v[199:200]
	v_fma_f64 v[205:206], v[2:3], v[18:19], -v[20:21]
	ds_load_b128 v[2:5], v1 offset:1024
	scratch_load_b128 v[18:21], off, off offset:416
	v_add_f64 v[201:202], v[201:202], v[195:196]
	v_add_f64 v[197:198], v[193:194], v[197:198]
	ds_load_b128 v[193:196], v1 offset:1040
	s_waitcnt vmcnt(8) lgkmcnt(1)
	v_mul_f64 v[207:208], v[2:3], v[28:29]
	v_mul_f64 v[28:29], v[4:5], v[28:29]
	v_fma_f64 v[191:192], v[191:192], v[22:23], v[203:204]
	v_fma_f64 v[189:190], v[189:190], v[22:23], -v[24:25]
	scratch_load_b128 v[22:25], off, off offset:432
	;; [unrolled: 18-line block ×4, first 2 shown]
	s_waitcnt vmcnt(8) lgkmcnt(0)
	v_mul_f64 v[201:202], v[193:194], v[8:9]
	v_mul_f64 v[8:9], v[195:196], v[8:9]
	v_add_f64 v[199:200], v[199:200], v[205:206]
	v_add_f64 v[197:198], v[197:198], v[203:204]
	v_fma_f64 v[203:204], v[4:5], v[42:43], v[207:208]
	v_fma_f64 v[205:206], v[2:3], v[42:43], -v[44:45]
	ds_load_b128 v[2:5], v1 offset:1120
	scratch_load_b128 v[42:45], off, off offset:512
	v_fma_f64 v[195:196], v[195:196], v[6:7], v[201:202]
	v_fma_f64 v[193:194], v[193:194], v[6:7], -v[8:9]
	scratch_load_b128 v[6:9], off, off offset:528
	v_add_f64 v[199:200], v[199:200], v[189:190]
	v_add_f64 v[197:198], v[197:198], v[191:192]
	ds_load_b128 v[189:192], v1 offset:1136
	s_waitcnt vmcnt(9) lgkmcnt(1)
	v_mul_f64 v[207:208], v[2:3], v[12:13]
	v_mul_f64 v[12:13], v[4:5], v[12:13]
	s_waitcnt vmcnt(8) lgkmcnt(0)
	v_mul_f64 v[201:202], v[189:190], v[16:17]
	v_mul_f64 v[16:17], v[191:192], v[16:17]
	v_add_f64 v[199:200], v[199:200], v[205:206]
	v_add_f64 v[197:198], v[197:198], v[203:204]
	v_fma_f64 v[203:204], v[4:5], v[10:11], v[207:208]
	v_fma_f64 v[205:206], v[2:3], v[10:11], -v[12:13]
	ds_load_b128 v[2:5], v1 offset:1152
	scratch_load_b128 v[10:13], off, off offset:544
	v_fma_f64 v[191:192], v[191:192], v[14:15], v[201:202]
	v_fma_f64 v[189:190], v[189:190], v[14:15], -v[16:17]
	scratch_load_b128 v[14:17], off, off offset:560
	v_add_f64 v[199:200], v[199:200], v[193:194]
	v_add_f64 v[197:198], v[197:198], v[195:196]
	ds_load_b128 v[193:196], v1 offset:1168
	s_waitcnt vmcnt(9) lgkmcnt(1)
	v_mul_f64 v[207:208], v[2:3], v[20:21]
	v_mul_f64 v[20:21], v[4:5], v[20:21]
	;; [unrolled: 18-line block ×7, first 2 shown]
	s_waitcnt vmcnt(8) lgkmcnt(0)
	v_mul_f64 v[201:202], v[189:190], v[24:25]
	v_mul_f64 v[24:25], v[191:192], v[24:25]
	v_add_f64 v[199:200], v[199:200], v[205:206]
	v_add_f64 v[197:198], v[197:198], v[203:204]
	v_fma_f64 v[203:204], v[4:5], v[18:19], v[207:208]
	v_fma_f64 v[205:206], v[2:3], v[18:19], -v[20:21]
	ds_load_b128 v[2:5], v1 offset:1344
	ds_load_b128 v[18:21], v1 offset:1360
	v_fma_f64 v[191:192], v[191:192], v[22:23], v[201:202]
	v_fma_f64 v[22:23], v[189:190], v[22:23], -v[24:25]
	v_add_f64 v[193:194], v[199:200], v[193:194]
	v_add_f64 v[195:196], v[197:198], v[195:196]
	s_waitcnt vmcnt(7) lgkmcnt(1)
	v_mul_f64 v[197:198], v[2:3], v[28:29]
	v_mul_f64 v[28:29], v[4:5], v[28:29]
	s_delay_alu instid0(VALU_DEP_4) | instskip(NEXT) | instid1(VALU_DEP_4)
	v_add_f64 v[24:25], v[193:194], v[205:206]
	v_add_f64 v[189:190], v[195:196], v[203:204]
	s_waitcnt vmcnt(6) lgkmcnt(0)
	v_mul_f64 v[193:194], v[18:19], v[32:33]
	v_mul_f64 v[32:33], v[20:21], v[32:33]
	v_fma_f64 v[195:196], v[4:5], v[26:27], v[197:198]
	v_fma_f64 v[26:27], v[2:3], v[26:27], -v[28:29]
	v_add_f64 v[28:29], v[24:25], v[22:23]
	v_add_f64 v[189:190], v[189:190], v[191:192]
	ds_load_b128 v[2:5], v1 offset:1376
	ds_load_b128 v[22:25], v1 offset:1392
	v_fma_f64 v[20:21], v[20:21], v[30:31], v[193:194]
	v_fma_f64 v[18:19], v[18:19], v[30:31], -v[32:33]
	s_waitcnt vmcnt(5) lgkmcnt(1)
	v_mul_f64 v[191:192], v[2:3], v[36:37]
	v_mul_f64 v[36:37], v[4:5], v[36:37]
	s_waitcnt vmcnt(4) lgkmcnt(0)
	v_mul_f64 v[30:31], v[22:23], v[40:41]
	v_mul_f64 v[32:33], v[24:25], v[40:41]
	v_add_f64 v[26:27], v[28:29], v[26:27]
	v_add_f64 v[28:29], v[189:190], v[195:196]
	v_fma_f64 v[40:41], v[4:5], v[34:35], v[191:192]
	v_fma_f64 v[34:35], v[2:3], v[34:35], -v[36:37]
	v_fma_f64 v[24:25], v[24:25], v[38:39], v[30:31]
	v_fma_f64 v[22:23], v[22:23], v[38:39], -v[32:33]
	v_add_f64 v[26:27], v[26:27], v[18:19]
	v_add_f64 v[28:29], v[28:29], v[20:21]
	ds_load_b128 v[2:5], v1 offset:1408
	ds_load_b128 v[18:21], v1 offset:1424
	s_waitcnt vmcnt(3) lgkmcnt(1)
	v_mul_f64 v[36:37], v[2:3], v[44:45]
	v_mul_f64 v[44:45], v[4:5], v[44:45]
	s_waitcnt vmcnt(2) lgkmcnt(0)
	v_mul_f64 v[30:31], v[18:19], v[8:9]
	v_mul_f64 v[8:9], v[20:21], v[8:9]
	v_add_f64 v[26:27], v[26:27], v[34:35]
	v_add_f64 v[28:29], v[28:29], v[40:41]
	v_fma_f64 v[32:33], v[4:5], v[42:43], v[36:37]
	v_fma_f64 v[34:35], v[2:3], v[42:43], -v[44:45]
	v_fma_f64 v[20:21], v[20:21], v[6:7], v[30:31]
	v_fma_f64 v[6:7], v[18:19], v[6:7], -v[8:9]
	v_add_f64 v[26:27], v[26:27], v[22:23]
	v_add_f64 v[28:29], v[28:29], v[24:25]
	ds_load_b128 v[2:5], v1 offset:1440
	ds_load_b128 v[22:25], v1 offset:1456
	s_waitcnt vmcnt(1) lgkmcnt(1)
	v_mul_f64 v[36:37], v[2:3], v[12:13]
	v_mul_f64 v[12:13], v[4:5], v[12:13]
	v_add_f64 v[8:9], v[26:27], v[34:35]
	v_add_f64 v[18:19], v[28:29], v[32:33]
	s_waitcnt vmcnt(0) lgkmcnt(0)
	v_mul_f64 v[26:27], v[22:23], v[16:17]
	v_mul_f64 v[16:17], v[24:25], v[16:17]
	v_fma_f64 v[4:5], v[4:5], v[10:11], v[36:37]
	v_fma_f64 v[1:2], v[2:3], v[10:11], -v[12:13]
	v_add_f64 v[6:7], v[8:9], v[6:7]
	v_add_f64 v[8:9], v[18:19], v[20:21]
	v_fma_f64 v[10:11], v[24:25], v[14:15], v[26:27]
	v_fma_f64 v[12:13], v[22:23], v[14:15], -v[16:17]
	s_delay_alu instid0(VALU_DEP_4) | instskip(NEXT) | instid1(VALU_DEP_4)
	v_add_f64 v[1:2], v[6:7], v[1:2]
	v_add_f64 v[3:4], v[8:9], v[4:5]
	s_delay_alu instid0(VALU_DEP_2) | instskip(NEXT) | instid1(VALU_DEP_2)
	v_add_f64 v[1:2], v[1:2], v[12:13]
	v_add_f64 v[3:4], v[3:4], v[10:11]
	s_delay_alu instid0(VALU_DEP_2) | instskip(NEXT) | instid1(VALU_DEP_2)
	v_add_f64 v[1:2], v[185:186], -v[1:2]
	v_add_f64 v[3:4], v[187:188], -v[3:4]
	scratch_store_b128 off, v[1:4], off offset:16
	v_cmpx_ne_u32_e32 0, v138
	s_cbranch_execz .LBB45_289
; %bb.288:
	scratch_load_b128 v[1:4], off, off
	v_mov_b32_e32 v5, 0
	s_delay_alu instid0(VALU_DEP_1)
	v_mov_b32_e32 v6, v5
	v_mov_b32_e32 v7, v5
	;; [unrolled: 1-line block ×3, first 2 shown]
	scratch_store_b128 off, v[5:8], off
	s_waitcnt vmcnt(0)
	ds_store_b128 v184, v[1:4]
.LBB45_289:
	s_or_b32 exec_lo, exec_lo, s2
	s_waitcnt lgkmcnt(0)
	s_waitcnt_vscnt null, 0x0
	s_barrier
	buffer_gl0_inv
	s_clause 0x7
	scratch_load_b128 v[1:4], off, off offset:16
	scratch_load_b128 v[5:8], off, off offset:32
	;; [unrolled: 1-line block ×8, first 2 shown]
	v_mov_b32_e32 v41, 0
	s_and_b32 vcc_lo, exec_lo, s20
	ds_load_b128 v[37:40], v41 offset:752
	s_clause 0x1
	scratch_load_b128 v[33:36], off, off offset:144
	scratch_load_b128 v[42:45], off, off
	ds_load_b128 v[184:187], v41 offset:768
	scratch_load_b128 v[188:191], off, off offset:160
	s_waitcnt vmcnt(10) lgkmcnt(1)
	v_mul_f64 v[192:193], v[39:40], v[3:4]
	v_mul_f64 v[3:4], v[37:38], v[3:4]
	s_delay_alu instid0(VALU_DEP_2) | instskip(NEXT) | instid1(VALU_DEP_2)
	v_fma_f64 v[198:199], v[37:38], v[1:2], -v[192:193]
	v_fma_f64 v[200:201], v[39:40], v[1:2], v[3:4]
	scratch_load_b128 v[37:40], off, off offset:176
	ds_load_b128 v[1:4], v41 offset:784
	s_waitcnt vmcnt(10) lgkmcnt(1)
	v_mul_f64 v[196:197], v[184:185], v[7:8]
	v_mul_f64 v[7:8], v[186:187], v[7:8]
	ds_load_b128 v[192:195], v41 offset:800
	s_waitcnt vmcnt(9) lgkmcnt(1)
	v_mul_f64 v[202:203], v[1:2], v[11:12]
	v_mul_f64 v[11:12], v[3:4], v[11:12]
	v_fma_f64 v[186:187], v[186:187], v[5:6], v[196:197]
	v_fma_f64 v[184:185], v[184:185], v[5:6], -v[7:8]
	v_add_f64 v[196:197], v[198:199], 0
	v_add_f64 v[198:199], v[200:201], 0
	scratch_load_b128 v[5:8], off, off offset:192
	v_fma_f64 v[202:203], v[3:4], v[9:10], v[202:203]
	v_fma_f64 v[204:205], v[1:2], v[9:10], -v[11:12]
	scratch_load_b128 v[9:12], off, off offset:208
	ds_load_b128 v[1:4], v41 offset:816
	s_waitcnt vmcnt(10) lgkmcnt(1)
	v_mul_f64 v[200:201], v[192:193], v[15:16]
	v_mul_f64 v[15:16], v[194:195], v[15:16]
	v_add_f64 v[196:197], v[196:197], v[184:185]
	v_add_f64 v[198:199], v[198:199], v[186:187]
	s_waitcnt vmcnt(9) lgkmcnt(0)
	v_mul_f64 v[206:207], v[1:2], v[19:20]
	v_mul_f64 v[19:20], v[3:4], v[19:20]
	ds_load_b128 v[184:187], v41 offset:832
	v_fma_f64 v[194:195], v[194:195], v[13:14], v[200:201]
	v_fma_f64 v[192:193], v[192:193], v[13:14], -v[15:16]
	scratch_load_b128 v[13:16], off, off offset:224
	v_add_f64 v[196:197], v[196:197], v[204:205]
	v_add_f64 v[198:199], v[198:199], v[202:203]
	v_fma_f64 v[202:203], v[3:4], v[17:18], v[206:207]
	v_fma_f64 v[204:205], v[1:2], v[17:18], -v[19:20]
	scratch_load_b128 v[17:20], off, off offset:240
	ds_load_b128 v[1:4], v41 offset:848
	s_waitcnt vmcnt(10) lgkmcnt(1)
	v_mul_f64 v[200:201], v[184:185], v[23:24]
	v_mul_f64 v[23:24], v[186:187], v[23:24]
	s_waitcnt vmcnt(9) lgkmcnt(0)
	v_mul_f64 v[206:207], v[1:2], v[27:28]
	v_mul_f64 v[27:28], v[3:4], v[27:28]
	v_add_f64 v[196:197], v[196:197], v[192:193]
	v_add_f64 v[198:199], v[198:199], v[194:195]
	ds_load_b128 v[192:195], v41 offset:864
	v_fma_f64 v[186:187], v[186:187], v[21:22], v[200:201]
	v_fma_f64 v[184:185], v[184:185], v[21:22], -v[23:24]
	scratch_load_b128 v[21:24], off, off offset:256
	v_add_f64 v[196:197], v[196:197], v[204:205]
	v_add_f64 v[198:199], v[198:199], v[202:203]
	v_fma_f64 v[202:203], v[3:4], v[25:26], v[206:207]
	v_fma_f64 v[204:205], v[1:2], v[25:26], -v[27:28]
	scratch_load_b128 v[25:28], off, off offset:272
	ds_load_b128 v[1:4], v41 offset:880
	s_waitcnt vmcnt(10) lgkmcnt(1)
	v_mul_f64 v[200:201], v[192:193], v[31:32]
	v_mul_f64 v[31:32], v[194:195], v[31:32]
	s_waitcnt vmcnt(9) lgkmcnt(0)
	v_mul_f64 v[206:207], v[1:2], v[35:36]
	v_mul_f64 v[35:36], v[3:4], v[35:36]
	v_add_f64 v[196:197], v[196:197], v[184:185]
	v_add_f64 v[198:199], v[198:199], v[186:187]
	ds_load_b128 v[184:187], v41 offset:896
	v_fma_f64 v[194:195], v[194:195], v[29:30], v[200:201]
	v_fma_f64 v[192:193], v[192:193], v[29:30], -v[31:32]
	scratch_load_b128 v[29:32], off, off offset:288
	v_add_f64 v[196:197], v[196:197], v[204:205]
	v_add_f64 v[198:199], v[198:199], v[202:203]
	v_fma_f64 v[204:205], v[3:4], v[33:34], v[206:207]
	v_fma_f64 v[206:207], v[1:2], v[33:34], -v[35:36]
	scratch_load_b128 v[33:36], off, off offset:304
	ds_load_b128 v[1:4], v41 offset:912
	s_waitcnt vmcnt(9) lgkmcnt(1)
	v_mul_f64 v[200:201], v[184:185], v[190:191]
	v_mul_f64 v[202:203], v[186:187], v[190:191]
	v_add_f64 v[196:197], v[196:197], v[192:193]
	v_add_f64 v[194:195], v[198:199], v[194:195]
	ds_load_b128 v[190:193], v41 offset:928
	v_fma_f64 v[200:201], v[186:187], v[188:189], v[200:201]
	v_fma_f64 v[188:189], v[184:185], v[188:189], -v[202:203]
	scratch_load_b128 v[184:187], off, off offset:320
	s_waitcnt vmcnt(9) lgkmcnt(1)
	v_mul_f64 v[198:199], v[1:2], v[39:40]
	v_mul_f64 v[39:40], v[3:4], v[39:40]
	v_add_f64 v[196:197], v[196:197], v[206:207]
	v_add_f64 v[194:195], v[194:195], v[204:205]
	s_delay_alu instid0(VALU_DEP_4) | instskip(NEXT) | instid1(VALU_DEP_4)
	v_fma_f64 v[198:199], v[3:4], v[37:38], v[198:199]
	v_fma_f64 v[204:205], v[1:2], v[37:38], -v[39:40]
	scratch_load_b128 v[37:40], off, off offset:336
	ds_load_b128 v[1:4], v41 offset:944
	s_waitcnt vmcnt(9) lgkmcnt(1)
	v_mul_f64 v[202:203], v[190:191], v[7:8]
	v_mul_f64 v[7:8], v[192:193], v[7:8]
	s_waitcnt vmcnt(8) lgkmcnt(0)
	v_mul_f64 v[206:207], v[1:2], v[11:12]
	v_mul_f64 v[11:12], v[3:4], v[11:12]
	v_add_f64 v[188:189], v[196:197], v[188:189]
	v_add_f64 v[200:201], v[194:195], v[200:201]
	ds_load_b128 v[194:197], v41 offset:960
	v_fma_f64 v[192:193], v[192:193], v[5:6], v[202:203]
	v_fma_f64 v[190:191], v[190:191], v[5:6], -v[7:8]
	scratch_load_b128 v[5:8], off, off offset:352
	v_fma_f64 v[202:203], v[3:4], v[9:10], v[206:207]
	v_add_f64 v[188:189], v[188:189], v[204:205]
	v_add_f64 v[198:199], v[200:201], v[198:199]
	v_fma_f64 v[204:205], v[1:2], v[9:10], -v[11:12]
	scratch_load_b128 v[9:12], off, off offset:368
	ds_load_b128 v[1:4], v41 offset:976
	s_waitcnt vmcnt(9) lgkmcnt(1)
	v_mul_f64 v[200:201], v[194:195], v[15:16]
	v_mul_f64 v[15:16], v[196:197], v[15:16]
	v_add_f64 v[206:207], v[188:189], v[190:191]
	v_add_f64 v[192:193], v[198:199], v[192:193]
	s_waitcnt vmcnt(8) lgkmcnt(0)
	v_mul_f64 v[198:199], v[1:2], v[19:20]
	v_mul_f64 v[19:20], v[3:4], v[19:20]
	ds_load_b128 v[188:191], v41 offset:992
	v_fma_f64 v[196:197], v[196:197], v[13:14], v[200:201]
	v_fma_f64 v[194:195], v[194:195], v[13:14], -v[15:16]
	scratch_load_b128 v[13:16], off, off offset:384
	v_add_f64 v[200:201], v[206:207], v[204:205]
	v_add_f64 v[192:193], v[192:193], v[202:203]
	v_fma_f64 v[198:199], v[3:4], v[17:18], v[198:199]
	v_fma_f64 v[204:205], v[1:2], v[17:18], -v[19:20]
	scratch_load_b128 v[17:20], off, off offset:400
	ds_load_b128 v[1:4], v41 offset:1008
	s_waitcnt vmcnt(9) lgkmcnt(1)
	v_mul_f64 v[202:203], v[188:189], v[23:24]
	v_mul_f64 v[23:24], v[190:191], v[23:24]
	s_waitcnt vmcnt(8) lgkmcnt(0)
	v_mul_f64 v[206:207], v[1:2], v[27:28]
	v_mul_f64 v[27:28], v[3:4], v[27:28]
	v_add_f64 v[200:201], v[200:201], v[194:195]
	v_add_f64 v[196:197], v[192:193], v[196:197]
	ds_load_b128 v[192:195], v41 offset:1024
	v_fma_f64 v[190:191], v[190:191], v[21:22], v[202:203]
	v_fma_f64 v[188:189], v[188:189], v[21:22], -v[23:24]
	scratch_load_b128 v[21:24], off, off offset:416
	v_fma_f64 v[202:203], v[3:4], v[25:26], v[206:207]
	v_add_f64 v[200:201], v[200:201], v[204:205]
	v_add_f64 v[196:197], v[196:197], v[198:199]
	v_fma_f64 v[204:205], v[1:2], v[25:26], -v[27:28]
	scratch_load_b128 v[25:28], off, off offset:432
	ds_load_b128 v[1:4], v41 offset:1040
	s_waitcnt vmcnt(9) lgkmcnt(1)
	v_mul_f64 v[198:199], v[192:193], v[31:32]
	v_mul_f64 v[31:32], v[194:195], v[31:32]
	s_waitcnt vmcnt(8) lgkmcnt(0)
	v_mul_f64 v[206:207], v[1:2], v[35:36]
	v_mul_f64 v[35:36], v[3:4], v[35:36]
	v_add_f64 v[200:201], v[200:201], v[188:189]
	v_add_f64 v[196:197], v[196:197], v[190:191]
	ds_load_b128 v[188:191], v41 offset:1056
	v_fma_f64 v[194:195], v[194:195], v[29:30], v[198:199]
	v_fma_f64 v[192:193], v[192:193], v[29:30], -v[31:32]
	scratch_load_b128 v[29:32], off, off offset:448
	v_add_f64 v[198:199], v[200:201], v[204:205]
	v_add_f64 v[196:197], v[196:197], v[202:203]
	v_fma_f64 v[202:203], v[3:4], v[33:34], v[206:207]
	v_fma_f64 v[204:205], v[1:2], v[33:34], -v[35:36]
	scratch_load_b128 v[33:36], off, off offset:464
	ds_load_b128 v[1:4], v41 offset:1072
	s_waitcnt vmcnt(9) lgkmcnt(1)
	v_mul_f64 v[200:201], v[188:189], v[186:187]
	v_mul_f64 v[186:187], v[190:191], v[186:187]
	s_waitcnt vmcnt(8) lgkmcnt(0)
	v_mul_f64 v[206:207], v[1:2], v[39:40]
	v_mul_f64 v[39:40], v[3:4], v[39:40]
	v_add_f64 v[198:199], v[198:199], v[192:193]
	v_add_f64 v[196:197], v[196:197], v[194:195]
	ds_load_b128 v[192:195], v41 offset:1088
	v_fma_f64 v[190:191], v[190:191], v[184:185], v[200:201]
	v_fma_f64 v[188:189], v[188:189], v[184:185], -v[186:187]
	scratch_load_b128 v[184:187], off, off offset:480
	v_add_f64 v[198:199], v[198:199], v[204:205]
	v_add_f64 v[196:197], v[196:197], v[202:203]
	v_fma_f64 v[202:203], v[3:4], v[37:38], v[206:207]
	;; [unrolled: 18-line block ×6, first 2 shown]
	v_fma_f64 v[206:207], v[1:2], v[33:34], -v[35:36]
	scratch_load_b128 v[33:36], off, off offset:624
	ds_load_b128 v[1:4], v41 offset:1232
	s_waitcnt vmcnt(9) lgkmcnt(1)
	v_mul_f64 v[200:201], v[192:193], v[186:187]
	v_mul_f64 v[202:203], v[194:195], v[186:187]
	v_add_f64 v[198:199], v[198:199], v[188:189]
	v_add_f64 v[190:191], v[196:197], v[190:191]
	s_waitcnt vmcnt(8) lgkmcnt(0)
	v_mul_f64 v[196:197], v[1:2], v[39:40]
	v_mul_f64 v[39:40], v[3:4], v[39:40]
	ds_load_b128 v[186:189], v41 offset:1248
	v_fma_f64 v[194:195], v[194:195], v[184:185], v[200:201]
	v_fma_f64 v[184:185], v[192:193], v[184:185], -v[202:203]
	v_add_f64 v[198:199], v[198:199], v[206:207]
	v_add_f64 v[200:201], v[190:191], v[204:205]
	scratch_load_b128 v[190:193], off, off offset:640
	v_fma_f64 v[204:205], v[3:4], v[37:38], v[196:197]
	v_fma_f64 v[206:207], v[1:2], v[37:38], -v[39:40]
	scratch_load_b128 v[37:40], off, off offset:656
	ds_load_b128 v[1:4], v41 offset:1264
	s_waitcnt vmcnt(9) lgkmcnt(1)
	v_mul_f64 v[202:203], v[186:187], v[7:8]
	v_mul_f64 v[7:8], v[188:189], v[7:8]
	v_add_f64 v[184:185], v[198:199], v[184:185]
	v_add_f64 v[198:199], v[200:201], v[194:195]
	s_waitcnt vmcnt(8) lgkmcnt(0)
	v_mul_f64 v[200:201], v[1:2], v[11:12]
	v_mul_f64 v[11:12], v[3:4], v[11:12]
	ds_load_b128 v[194:197], v41 offset:1280
	v_fma_f64 v[188:189], v[188:189], v[5:6], v[202:203]
	v_fma_f64 v[186:187], v[186:187], v[5:6], -v[7:8]
	scratch_load_b128 v[5:8], off, off offset:672
	v_add_f64 v[184:185], v[184:185], v[206:207]
	v_add_f64 v[198:199], v[198:199], v[204:205]
	v_fma_f64 v[200:201], v[3:4], v[9:10], v[200:201]
	v_fma_f64 v[204:205], v[1:2], v[9:10], -v[11:12]
	scratch_load_b128 v[9:12], off, off offset:688
	ds_load_b128 v[1:4], v41 offset:1296
	s_waitcnt vmcnt(9) lgkmcnt(1)
	v_mul_f64 v[202:203], v[194:195], v[15:16]
	v_mul_f64 v[15:16], v[196:197], v[15:16]
	v_add_f64 v[206:207], v[184:185], v[186:187]
	v_add_f64 v[188:189], v[198:199], v[188:189]
	s_waitcnt vmcnt(8) lgkmcnt(0)
	v_mul_f64 v[198:199], v[1:2], v[19:20]
	v_mul_f64 v[19:20], v[3:4], v[19:20]
	ds_load_b128 v[184:187], v41 offset:1312
	v_fma_f64 v[196:197], v[196:197], v[13:14], v[202:203]
	v_fma_f64 v[194:195], v[194:195], v[13:14], -v[15:16]
	scratch_load_b128 v[13:16], off, off offset:704
	v_add_f64 v[202:203], v[206:207], v[204:205]
	v_add_f64 v[188:189], v[188:189], v[200:201]
	v_fma_f64 v[198:199], v[3:4], v[17:18], v[198:199]
	v_fma_f64 v[204:205], v[1:2], v[17:18], -v[19:20]
	scratch_load_b128 v[17:20], off, off offset:720
	ds_load_b128 v[1:4], v41 offset:1328
	s_waitcnt vmcnt(9) lgkmcnt(1)
	v_mul_f64 v[200:201], v[184:185], v[23:24]
	v_mul_f64 v[23:24], v[186:187], v[23:24]
	s_waitcnt vmcnt(8) lgkmcnt(0)
	v_mul_f64 v[206:207], v[1:2], v[27:28]
	v_mul_f64 v[27:28], v[3:4], v[27:28]
	v_add_f64 v[202:203], v[202:203], v[194:195]
	v_add_f64 v[188:189], v[188:189], v[196:197]
	ds_load_b128 v[194:197], v41 offset:1344
	v_fma_f64 v[186:187], v[186:187], v[21:22], v[200:201]
	v_fma_f64 v[21:22], v[184:185], v[21:22], -v[23:24]
	v_add_f64 v[23:24], v[202:203], v[204:205]
	v_add_f64 v[184:185], v[188:189], v[198:199]
	s_waitcnt vmcnt(7) lgkmcnt(0)
	v_mul_f64 v[188:189], v[194:195], v[31:32]
	v_mul_f64 v[31:32], v[196:197], v[31:32]
	v_fma_f64 v[198:199], v[3:4], v[25:26], v[206:207]
	v_fma_f64 v[25:26], v[1:2], v[25:26], -v[27:28]
	v_add_f64 v[27:28], v[23:24], v[21:22]
	v_add_f64 v[184:185], v[184:185], v[186:187]
	ds_load_b128 v[1:4], v41 offset:1360
	ds_load_b128 v[21:24], v41 offset:1376
	v_fma_f64 v[188:189], v[196:197], v[29:30], v[188:189]
	v_fma_f64 v[29:30], v[194:195], v[29:30], -v[31:32]
	s_waitcnt vmcnt(6) lgkmcnt(1)
	v_mul_f64 v[186:187], v[1:2], v[35:36]
	v_mul_f64 v[35:36], v[3:4], v[35:36]
	v_add_f64 v[25:26], v[27:28], v[25:26]
	v_add_f64 v[27:28], v[184:185], v[198:199]
	s_waitcnt vmcnt(5) lgkmcnt(0)
	v_mul_f64 v[31:32], v[21:22], v[192:193]
	v_mul_f64 v[184:185], v[23:24], v[192:193]
	v_fma_f64 v[186:187], v[3:4], v[33:34], v[186:187]
	v_fma_f64 v[33:34], v[1:2], v[33:34], -v[35:36]
	v_add_f64 v[29:30], v[25:26], v[29:30]
	v_add_f64 v[35:36], v[27:28], v[188:189]
	ds_load_b128 v[1:4], v41 offset:1392
	ds_load_b128 v[25:28], v41 offset:1408
	v_fma_f64 v[23:24], v[23:24], v[190:191], v[31:32]
	v_fma_f64 v[21:22], v[21:22], v[190:191], -v[184:185]
	s_waitcnt vmcnt(4) lgkmcnt(1)
	v_mul_f64 v[188:189], v[1:2], v[39:40]
	v_mul_f64 v[39:40], v[3:4], v[39:40]
	;; [unrolled: 16-line block ×3, first 2 shown]
	v_add_f64 v[7:8], v[29:30], v[37:38]
	v_add_f64 v[25:26], v[31:32], v[35:36]
	s_waitcnt vmcnt(1) lgkmcnt(0)
	v_mul_f64 v[29:30], v[21:22], v[15:16]
	v_mul_f64 v[15:16], v[23:24], v[15:16]
	v_fma_f64 v[31:32], v[3:4], v[9:10], v[39:40]
	v_fma_f64 v[9:10], v[1:2], v[9:10], -v[11:12]
	ds_load_b128 v[1:4], v41 offset:1456
	v_add_f64 v[5:6], v[7:8], v[5:6]
	v_add_f64 v[7:8], v[25:26], v[27:28]
	v_fma_f64 v[23:24], v[23:24], v[13:14], v[29:30]
	v_fma_f64 v[13:14], v[21:22], v[13:14], -v[15:16]
	s_waitcnt vmcnt(0) lgkmcnt(0)
	v_mul_f64 v[11:12], v[1:2], v[19:20]
	v_mul_f64 v[19:20], v[3:4], v[19:20]
	v_add_f64 v[5:6], v[5:6], v[9:10]
	v_add_f64 v[7:8], v[7:8], v[31:32]
	s_delay_alu instid0(VALU_DEP_4) | instskip(NEXT) | instid1(VALU_DEP_4)
	v_fma_f64 v[3:4], v[3:4], v[17:18], v[11:12]
	v_fma_f64 v[1:2], v[1:2], v[17:18], -v[19:20]
	s_delay_alu instid0(VALU_DEP_4) | instskip(NEXT) | instid1(VALU_DEP_4)
	v_add_f64 v[5:6], v[5:6], v[13:14]
	v_add_f64 v[7:8], v[7:8], v[23:24]
	s_delay_alu instid0(VALU_DEP_2) | instskip(NEXT) | instid1(VALU_DEP_2)
	v_add_f64 v[1:2], v[5:6], v[1:2]
	v_add_f64 v[3:4], v[7:8], v[3:4]
	s_delay_alu instid0(VALU_DEP_2) | instskip(NEXT) | instid1(VALU_DEP_2)
	v_add_f64 v[1:2], v[42:43], -v[1:2]
	v_add_f64 v[3:4], v[44:45], -v[3:4]
	scratch_store_b128 off, v[1:4], off
	s_cbranch_vccz .LBB45_381
; %bb.290:
	v_dual_mov_b32 v1, s16 :: v_dual_mov_b32 v2, s17
	s_load_b64 s[0:1], s[0:1], 0x4
	flat_load_b32 v1, v[1:2] offset:176
	v_bfe_u32 v2, v0, 10, 10
	v_bfe_u32 v0, v0, 20, 10
	s_waitcnt lgkmcnt(0)
	s_lshr_b32 s0, s0, 16
	s_delay_alu instid0(VALU_DEP_2) | instskip(SKIP_1) | instid1(SALU_CYCLE_1)
	v_mul_u32_u24_e32 v2, s1, v2
	s_mul_i32 s0, s0, s1
	v_mul_u32_u24_e32 v3, s0, v138
	s_mov_b32 s0, exec_lo
	s_delay_alu instid0(VALU_DEP_1) | instskip(NEXT) | instid1(VALU_DEP_1)
	v_add3_u32 v0, v3, v2, v0
	v_lshl_add_u32 v0, v0, 4, 0x5c8
	s_waitcnt vmcnt(0)
	v_cmpx_ne_u32_e32 45, v1
	s_cbranch_execz .LBB45_292
; %bb.291:
	v_lshl_add_u32 v9, v1, 4, 0
	s_clause 0x1
	scratch_load_b128 v[1:4], v147, off
	scratch_load_b128 v[5:8], v9, off offset:-16
	s_waitcnt vmcnt(1)
	ds_store_2addr_b64 v0, v[1:2], v[3:4] offset1:1
	s_waitcnt vmcnt(0)
	s_clause 0x1
	scratch_store_b128 v147, v[5:8], off
	scratch_store_b128 v9, v[1:4], off offset:-16
.LBB45_292:
	s_or_b32 exec_lo, exec_lo, s0
	v_dual_mov_b32 v1, s16 :: v_dual_mov_b32 v2, s17
	s_mov_b32 s0, exec_lo
	flat_load_b32 v1, v[1:2] offset:172
	s_waitcnt vmcnt(0) lgkmcnt(0)
	v_cmpx_ne_u32_e32 44, v1
	s_cbranch_execz .LBB45_294
; %bb.293:
	v_lshl_add_u32 v9, v1, 4, 0
	s_clause 0x1
	scratch_load_b128 v[1:4], v150, off
	scratch_load_b128 v[5:8], v9, off offset:-16
	s_waitcnt vmcnt(1)
	ds_store_2addr_b64 v0, v[1:2], v[3:4] offset1:1
	s_waitcnt vmcnt(0)
	s_clause 0x1
	scratch_store_b128 v150, v[5:8], off
	scratch_store_b128 v9, v[1:4], off offset:-16
.LBB45_294:
	s_or_b32 exec_lo, exec_lo, s0
	v_dual_mov_b32 v1, s16 :: v_dual_mov_b32 v2, s17
	s_mov_b32 s0, exec_lo
	flat_load_b32 v1, v[1:2] offset:168
	s_waitcnt vmcnt(0) lgkmcnt(0)
	;; [unrolled: 19-line block ×43, first 2 shown]
	v_cmpx_ne_u32_e32 2, v1
	s_cbranch_execz .LBB45_378
; %bb.377:
	v_lshl_add_u32 v9, v1, 4, 0
	s_clause 0x1
	scratch_load_b128 v[1:4], v183, off
	scratch_load_b128 v[5:8], v9, off offset:-16
	s_waitcnt vmcnt(1)
	ds_store_2addr_b64 v0, v[1:2], v[3:4] offset1:1
	s_waitcnt vmcnt(0)
	s_clause 0x1
	scratch_store_b128 v183, v[5:8], off
	scratch_store_b128 v9, v[1:4], off offset:-16
.LBB45_378:
	s_or_b32 exec_lo, exec_lo, s0
	v_dual_mov_b32 v1, s16 :: v_dual_mov_b32 v2, s17
	s_mov_b32 s0, exec_lo
	flat_load_b32 v1, v[1:2]
	s_waitcnt vmcnt(0) lgkmcnt(0)
	v_cmpx_ne_u32_e32 1, v1
	s_cbranch_execz .LBB45_380
; %bb.379:
	v_lshl_add_u32 v9, v1, 4, 0
	scratch_load_b128 v[1:4], off, off
	scratch_load_b128 v[5:8], v9, off offset:-16
	s_waitcnt vmcnt(1)
	ds_store_2addr_b64 v0, v[1:2], v[3:4] offset1:1
	s_waitcnt vmcnt(0)
	scratch_store_b128 off, v[5:8], off
	scratch_store_b128 v9, v[1:4], off offset:-16
.LBB45_380:
	s_or_b32 exec_lo, exec_lo, s0
.LBB45_381:
	scratch_load_b128 v[0:3], off, off
	s_clause 0x16
	scratch_load_b128 v[4:7], v183, off
	scratch_load_b128 v[8:11], v182, off
	;; [unrolled: 1-line block ×23, first 2 shown]
	s_waitcnt vmcnt(23)
	global_store_b128 v[46:47], v[0:3], off
	s_clause 0x1
	scratch_load_b128 v[0:3], v160, off
	scratch_load_b128 v[44:47], v159, off
	s_waitcnt vmcnt(24)
	global_store_b128 v[50:51], v[4:7], off
	s_clause 0x1
	scratch_load_b128 v[4:7], v157, off
	scratch_load_b128 v[213:216], v156, off
	;; [unrolled: 5-line block ×11, first 2 shown]
	s_waitcnt vmcnt(34)
	global_store_b128 v[68:69], v[173:176], off
	s_waitcnt vmcnt(33)
	global_store_b128 v[70:71], v[177:180], off
	;; [unrolled: 2-line block ×35, first 2 shown]
	s_endpgm
	.section	.rodata,"a",@progbits
	.p2align	6, 0x0
	.amdhsa_kernel _ZN9rocsolver6v33100L18getri_kernel_smallILi46E19rocblas_complex_numIdEPS3_EEvT1_iilPiilS6_bb
		.amdhsa_group_segment_fixed_size 2504
		.amdhsa_private_segment_fixed_size 752
		.amdhsa_kernarg_size 60
		.amdhsa_user_sgpr_count 15
		.amdhsa_user_sgpr_dispatch_ptr 1
		.amdhsa_user_sgpr_queue_ptr 0
		.amdhsa_user_sgpr_kernarg_segment_ptr 1
		.amdhsa_user_sgpr_dispatch_id 0
		.amdhsa_user_sgpr_private_segment_size 0
		.amdhsa_wavefront_size32 1
		.amdhsa_uses_dynamic_stack 0
		.amdhsa_enable_private_segment 1
		.amdhsa_system_sgpr_workgroup_id_x 1
		.amdhsa_system_sgpr_workgroup_id_y 0
		.amdhsa_system_sgpr_workgroup_id_z 0
		.amdhsa_system_sgpr_workgroup_info 0
		.amdhsa_system_vgpr_workitem_id 2
		.amdhsa_next_free_vgpr 244
		.amdhsa_next_free_sgpr 52
		.amdhsa_reserve_vcc 1
		.amdhsa_float_round_mode_32 0
		.amdhsa_float_round_mode_16_64 0
		.amdhsa_float_denorm_mode_32 3
		.amdhsa_float_denorm_mode_16_64 3
		.amdhsa_dx10_clamp 1
		.amdhsa_ieee_mode 1
		.amdhsa_fp16_overflow 0
		.amdhsa_workgroup_processor_mode 1
		.amdhsa_memory_ordered 1
		.amdhsa_forward_progress 0
		.amdhsa_shared_vgpr_count 0
		.amdhsa_exception_fp_ieee_invalid_op 0
		.amdhsa_exception_fp_denorm_src 0
		.amdhsa_exception_fp_ieee_div_zero 0
		.amdhsa_exception_fp_ieee_overflow 0
		.amdhsa_exception_fp_ieee_underflow 0
		.amdhsa_exception_fp_ieee_inexact 0
		.amdhsa_exception_int_div_zero 0
	.end_amdhsa_kernel
	.section	.text._ZN9rocsolver6v33100L18getri_kernel_smallILi46E19rocblas_complex_numIdEPS3_EEvT1_iilPiilS6_bb,"axG",@progbits,_ZN9rocsolver6v33100L18getri_kernel_smallILi46E19rocblas_complex_numIdEPS3_EEvT1_iilPiilS6_bb,comdat
.Lfunc_end45:
	.size	_ZN9rocsolver6v33100L18getri_kernel_smallILi46E19rocblas_complex_numIdEPS3_EEvT1_iilPiilS6_bb, .Lfunc_end45-_ZN9rocsolver6v33100L18getri_kernel_smallILi46E19rocblas_complex_numIdEPS3_EEvT1_iilPiilS6_bb
                                        ; -- End function
	.section	.AMDGPU.csdata,"",@progbits
; Kernel info:
; codeLenInByte = 99000
; NumSgprs: 54
; NumVgprs: 244
; ScratchSize: 752
; MemoryBound: 0
; FloatMode: 240
; IeeeMode: 1
; LDSByteSize: 2504 bytes/workgroup (compile time only)
; SGPRBlocks: 6
; VGPRBlocks: 30
; NumSGPRsForWavesPerEU: 54
; NumVGPRsForWavesPerEU: 244
; Occupancy: 5
; WaveLimiterHint : 1
; COMPUTE_PGM_RSRC2:SCRATCH_EN: 1
; COMPUTE_PGM_RSRC2:USER_SGPR: 15
; COMPUTE_PGM_RSRC2:TRAP_HANDLER: 0
; COMPUTE_PGM_RSRC2:TGID_X_EN: 1
; COMPUTE_PGM_RSRC2:TGID_Y_EN: 0
; COMPUTE_PGM_RSRC2:TGID_Z_EN: 0
; COMPUTE_PGM_RSRC2:TIDIG_COMP_CNT: 2
	.section	.text._ZN9rocsolver6v33100L18getri_kernel_smallILi47E19rocblas_complex_numIdEPS3_EEvT1_iilPiilS6_bb,"axG",@progbits,_ZN9rocsolver6v33100L18getri_kernel_smallILi47E19rocblas_complex_numIdEPS3_EEvT1_iilPiilS6_bb,comdat
	.globl	_ZN9rocsolver6v33100L18getri_kernel_smallILi47E19rocblas_complex_numIdEPS3_EEvT1_iilPiilS6_bb ; -- Begin function _ZN9rocsolver6v33100L18getri_kernel_smallILi47E19rocblas_complex_numIdEPS3_EEvT1_iilPiilS6_bb
	.p2align	8
	.type	_ZN9rocsolver6v33100L18getri_kernel_smallILi47E19rocblas_complex_numIdEPS3_EEvT1_iilPiilS6_bb,@function
_ZN9rocsolver6v33100L18getri_kernel_smallILi47E19rocblas_complex_numIdEPS3_EEvT1_iilPiilS6_bb: ; @_ZN9rocsolver6v33100L18getri_kernel_smallILi47E19rocblas_complex_numIdEPS3_EEvT1_iilPiilS6_bb
; %bb.0:
	v_and_b32_e32 v140, 0x3ff, v0
	s_mov_b32 s4, exec_lo
	s_delay_alu instid0(VALU_DEP_1)
	v_cmpx_gt_u32_e32 47, v140
	s_cbranch_execz .LBB46_202
; %bb.1:
	s_mov_b32 s18, s15
	s_clause 0x2
	s_load_b32 s21, s[2:3], 0x38
	s_load_b128 s[12:15], s[2:3], 0x10
	s_load_b128 s[4:7], s[2:3], 0x28
                                        ; implicit-def: $sgpr16_sgpr17
	s_waitcnt lgkmcnt(0)
	s_bitcmp1_b32 s21, 8
	s_cselect_b32 s20, -1, 0
	s_bfe_u32 s8, s21, 0x10008
	s_ashr_i32 s19, s18, 31
	s_cmp_eq_u32 s8, 0
	s_cbranch_scc1 .LBB46_3
; %bb.2:
	s_load_b32 s8, s[2:3], 0x20
	s_mul_i32 s5, s18, s5
	s_mul_hi_u32 s9, s18, s4
	s_mul_i32 s10, s19, s4
	s_add_i32 s5, s9, s5
	s_mul_i32 s4, s18, s4
	s_add_i32 s5, s5, s10
	s_delay_alu instid0(SALU_CYCLE_1)
	s_lshl_b64 s[4:5], s[4:5], 2
	s_waitcnt lgkmcnt(0)
	s_ashr_i32 s9, s8, 31
	s_add_u32 s10, s14, s4
	s_addc_u32 s11, s15, s5
	s_lshl_b64 s[4:5], s[8:9], 2
	s_delay_alu instid0(SALU_CYCLE_1)
	s_add_u32 s16, s10, s4
	s_addc_u32 s17, s11, s5
.LBB46_3:
	s_load_b128 s[8:11], s[2:3], 0x0
	s_mul_i32 s2, s18, s13
	s_mul_hi_u32 s3, s18, s12
	s_mul_i32 s4, s19, s12
	s_add_i32 s3, s3, s2
	s_mul_i32 s2, s18, s12
	s_add_i32 s3, s3, s4
	v_lshlrev_b32_e32 v13, 4, v140
	s_lshl_b64 s[2:3], s[2:3], 4
	s_movk_i32 s12, 0xd0
	s_movk_i32 s13, 0xe0
	;; [unrolled: 1-line block ×11, first 2 shown]
	s_waitcnt lgkmcnt(0)
	v_add3_u32 v5, s11, s11, v140
	s_ashr_i32 s5, s10, 31
	s_mov_b32 s4, s10
	s_add_u32 s8, s8, s2
	s_addc_u32 s9, s9, s3
	v_add_nc_u32_e32 v7, s11, v5
	s_lshl_b64 s[2:3], s[4:5], 4
	v_ashrrev_i32_e32 v6, 31, v5
	s_add_u32 s2, s8, s2
	s_addc_u32 s3, s9, s3
	v_add_nc_u32_e32 v9, s11, v7
	v_add_co_u32 v46, s8, s2, v13
	v_ashrrev_i32_e32 v8, 31, v7
	s_mov_b32 s4, s11
	s_ashr_i32 s5, s11, 31
	v_add_co_ci_u32_e64 v47, null, s3, 0, s8
	v_lshlrev_b64 v[11:12], 4, v[5:6]
	s_lshl_b64 s[4:5], s[4:5], 4
	v_add_nc_u32_e32 v16, s11, v9
	v_add_co_u32 v48, vcc_lo, v46, s4
	v_lshlrev_b64 v[14:15], 4, v[7:8]
	v_ashrrev_i32_e32 v10, 31, v9
	v_add_co_ci_u32_e32 v49, vcc_lo, s5, v47, vcc_lo
	v_add_co_u32 v50, vcc_lo, s2, v11
	v_ashrrev_i32_e32 v17, 31, v16
	v_add_nc_u32_e32 v11, s11, v16
	v_add_co_ci_u32_e32 v51, vcc_lo, s3, v12, vcc_lo
	v_lshlrev_b64 v[9:10], 4, v[9:10]
	v_add_co_u32 v52, vcc_lo, s2, v14
	v_add_co_ci_u32_e32 v53, vcc_lo, s3, v15, vcc_lo
	v_lshlrev_b64 v[14:15], 4, v[16:17]
	v_ashrrev_i32_e32 v12, 31, v11
	v_add_nc_u32_e32 v16, s11, v11
	v_add_co_u32 v54, vcc_lo, s2, v9
	v_add_co_ci_u32_e32 v55, vcc_lo, s3, v10, vcc_lo
	s_delay_alu instid0(VALU_DEP_4) | instskip(NEXT) | instid1(VALU_DEP_4)
	v_lshlrev_b64 v[9:10], 4, v[11:12]
	v_ashrrev_i32_e32 v17, 31, v16
	v_add_nc_u32_e32 v11, s11, v16
	v_add_co_u32 v56, vcc_lo, s2, v14
	v_add_co_ci_u32_e32 v57, vcc_lo, s3, v15, vcc_lo
	s_delay_alu instid0(VALU_DEP_4) | instskip(NEXT) | instid1(VALU_DEP_4)
	;; [unrolled: 6-line block ×7, first 2 shown]
	v_lshlrev_b64 v[9:10], 4, v[11:12]
	v_add_nc_u32_e32 v11, s11, v16
	v_ashrrev_i32_e32 v17, 31, v16
	v_add_co_u32 v68, vcc_lo, s2, v14
	v_add_co_ci_u32_e32 v69, vcc_lo, s3, v15, vcc_lo
	s_delay_alu instid0(VALU_DEP_4) | instskip(SKIP_3) | instid1(VALU_DEP_4)
	v_add_nc_u32_e32 v18, s11, v11
	v_ashrrev_i32_e32 v12, 31, v11
	v_lshlrev_b64 v[14:15], 4, v[16:17]
	v_add_co_u32 v70, vcc_lo, s2, v9
	v_add_nc_u32_e32 v44, s11, v18
	s_delay_alu instid0(VALU_DEP_4)
	v_lshlrev_b64 v[42:43], 4, v[11:12]
	v_ashrrev_i32_e32 v19, 31, v18
	v_add_co_ci_u32_e32 v71, vcc_lo, s3, v10, vcc_lo
	v_add_co_u32 v72, vcc_lo, s2, v14
	s_clause 0x1
	global_load_b128 v[1:4], v13, s[2:3]
	global_load_b128 v[5:8], v[48:49], off
	v_ashrrev_i32_e32 v45, 31, v44
	v_add_co_ci_u32_e32 v73, vcc_lo, s3, v15, vcc_lo
	s_clause 0x1
	global_load_b128 v[9:12], v[50:51], off
	global_load_b128 v[14:17], v[52:53], off
	v_lshlrev_b64 v[76:77], 4, v[18:19]
	s_clause 0x1
	global_load_b128 v[18:21], v[54:55], off
	global_load_b128 v[22:25], v[56:57], off
	v_add_co_u32 v74, vcc_lo, s2, v42
	s_clause 0x3
	global_load_b128 v[26:29], v[58:59], off
	global_load_b128 v[30:33], v[60:61], off
	;; [unrolled: 1-line block ×4, first 2 shown]
	v_add_co_ci_u32_e32 v75, vcc_lo, s3, v43, vcc_lo
	v_add_nc_u32_e32 v82, s11, v44
	v_lshlrev_b64 v[78:79], 4, v[44:45]
	s_clause 0x4
	global_load_b128 v[42:45], v[66:67], off
	global_load_b128 v[141:144], v[68:69], off
	global_load_b128 v[145:148], v[70:71], off
	global_load_b128 v[149:152], v[72:73], off
	global_load_b128 v[153:156], v[74:75], off
	v_add_co_u32 v76, vcc_lo, s2, v76
	v_ashrrev_i32_e32 v83, 31, v82
	v_add_co_ci_u32_e32 v77, vcc_lo, s3, v77, vcc_lo
	v_add_co_u32 v78, vcc_lo, s2, v78
	s_delay_alu instid0(VALU_DEP_3) | instskip(SKIP_4) | instid1(VALU_DEP_2)
	v_lshlrev_b64 v[80:81], 4, v[82:83]
	v_add_nc_u32_e32 v82, s11, v82
	v_add_co_ci_u32_e32 v79, vcc_lo, s3, v79, vcc_lo
	s_movk_i32 s4, 0x70
	s_movk_i32 s5, 0x80
	v_add_nc_u32_e32 v84, s11, v82
	v_ashrrev_i32_e32 v83, 31, v82
	v_add_co_u32 v80, vcc_lo, s2, v80
	v_add_co_ci_u32_e32 v81, vcc_lo, s3, v81, vcc_lo
	s_delay_alu instid0(VALU_DEP_4)
	v_add_nc_u32_e32 v86, s11, v84
	v_ashrrev_i32_e32 v85, 31, v84
	v_lshlrev_b64 v[82:83], 4, v[82:83]
	s_clause 0x2
	global_load_b128 v[157:160], v[76:77], off
	global_load_b128 v[161:164], v[78:79], off
	;; [unrolled: 1-line block ×3, first 2 shown]
	s_movk_i32 s8, 0x90
	v_add_nc_u32_e32 v88, s11, v86
	v_ashrrev_i32_e32 v87, 31, v86
	v_lshlrev_b64 v[84:85], 4, v[84:85]
	v_add_co_u32 v82, vcc_lo, s2, v82
	s_delay_alu instid0(VALU_DEP_4) | instskip(SKIP_3) | instid1(VALU_DEP_4)
	v_add_nc_u32_e32 v90, s11, v88
	v_ashrrev_i32_e32 v89, 31, v88
	v_lshlrev_b64 v[86:87], 4, v[86:87]
	v_add_co_ci_u32_e32 v83, vcc_lo, s3, v83, vcc_lo
	v_add_nc_u32_e32 v92, s11, v90
	v_ashrrev_i32_e32 v91, 31, v90
	v_add_co_u32 v84, vcc_lo, s2, v84
	v_lshlrev_b64 v[88:89], 4, v[88:89]
	s_delay_alu instid0(VALU_DEP_4) | instskip(SKIP_3) | instid1(VALU_DEP_4)
	v_add_nc_u32_e32 v94, s11, v92
	v_ashrrev_i32_e32 v93, 31, v92
	v_add_co_ci_u32_e32 v85, vcc_lo, s3, v85, vcc_lo
	v_add_co_u32 v86, vcc_lo, s2, v86
	v_add_nc_u32_e32 v96, s11, v94
	v_lshlrev_b64 v[90:91], 4, v[90:91]
	v_ashrrev_i32_e32 v95, 31, v94
	v_add_co_ci_u32_e32 v87, vcc_lo, s3, v87, vcc_lo
	s_delay_alu instid0(VALU_DEP_4) | instskip(SKIP_3) | instid1(VALU_DEP_4)
	v_add_nc_u32_e32 v98, s11, v96
	v_add_co_u32 v88, vcc_lo, s2, v88
	v_lshlrev_b64 v[92:93], 4, v[92:93]
	v_ashrrev_i32_e32 v97, 31, v96
	v_add_nc_u32_e32 v100, s11, v98
	v_add_co_ci_u32_e32 v89, vcc_lo, s3, v89, vcc_lo
	v_add_co_u32 v90, vcc_lo, s2, v90
	s_delay_alu instid0(VALU_DEP_3) | instskip(SKIP_3) | instid1(VALU_DEP_4)
	v_add_nc_u32_e32 v102, s11, v100
	v_lshlrev_b64 v[94:95], 4, v[94:95]
	v_ashrrev_i32_e32 v99, 31, v98
	v_add_co_ci_u32_e32 v91, vcc_lo, s3, v91, vcc_lo
	v_add_nc_u32_e32 v104, s11, v102
	v_add_co_u32 v92, vcc_lo, s2, v92
	v_lshlrev_b64 v[96:97], 4, v[96:97]
	v_ashrrev_i32_e32 v101, 31, v100
	s_delay_alu instid0(VALU_DEP_4) | instskip(SKIP_2) | instid1(VALU_DEP_3)
	v_add_nc_u32_e32 v106, s11, v104
	v_add_co_ci_u32_e32 v93, vcc_lo, s3, v93, vcc_lo
	v_add_co_u32 v94, vcc_lo, s2, v94
	v_add_nc_u32_e32 v108, s11, v106
	v_lshlrev_b64 v[98:99], 4, v[98:99]
	v_ashrrev_i32_e32 v103, 31, v102
	v_add_co_ci_u32_e32 v95, vcc_lo, s3, v95, vcc_lo
	s_delay_alu instid0(VALU_DEP_4) | instskip(SKIP_3) | instid1(VALU_DEP_4)
	v_add_nc_u32_e32 v110, s11, v108
	v_add_co_u32 v96, vcc_lo, s2, v96
	v_lshlrev_b64 v[100:101], 4, v[100:101]
	v_ashrrev_i32_e32 v105, 31, v104
	v_add_nc_u32_e32 v112, s11, v110
	v_add_co_ci_u32_e32 v97, vcc_lo, s3, v97, vcc_lo
	v_add_co_u32 v98, vcc_lo, s2, v98
	s_delay_alu instid0(VALU_DEP_3) | instskip(SKIP_3) | instid1(VALU_DEP_4)
	v_add_nc_u32_e32 v114, s11, v112
	v_lshlrev_b64 v[102:103], 4, v[102:103]
	v_ashrrev_i32_e32 v107, 31, v106
	v_add_co_ci_u32_e32 v99, vcc_lo, s3, v99, vcc_lo
	v_add_nc_u32_e32 v116, s11, v114
	v_add_co_u32 v100, vcc_lo, s2, v100
	v_lshlrev_b64 v[104:105], 4, v[104:105]
	v_ashrrev_i32_e32 v109, 31, v108
	s_delay_alu instid0(VALU_DEP_4) | instskip(SKIP_2) | instid1(VALU_DEP_3)
	v_add_nc_u32_e32 v118, s11, v116
	v_add_co_ci_u32_e32 v101, vcc_lo, s3, v101, vcc_lo
	v_add_co_u32 v102, vcc_lo, s2, v102
	v_add_nc_u32_e32 v120, s11, v118
	v_lshlrev_b64 v[106:107], 4, v[106:107]
	v_ashrrev_i32_e32 v111, 31, v110
	v_add_co_ci_u32_e32 v103, vcc_lo, s3, v103, vcc_lo
	s_delay_alu instid0(VALU_DEP_4) | instskip(SKIP_3) | instid1(VALU_DEP_4)
	v_add_nc_u32_e32 v122, s11, v120
	v_add_co_u32 v104, vcc_lo, s2, v104
	v_lshlrev_b64 v[108:109], 4, v[108:109]
	v_ashrrev_i32_e32 v113, 31, v112
	v_add_nc_u32_e32 v124, s11, v122
	v_add_co_ci_u32_e32 v105, vcc_lo, s3, v105, vcc_lo
	v_add_co_u32 v106, vcc_lo, s2, v106
	v_lshlrev_b64 v[110:111], 4, v[110:111]
	v_ashrrev_i32_e32 v115, 31, v114
	v_add_co_ci_u32_e32 v107, vcc_lo, s3, v107, vcc_lo
	v_add_nc_u32_e32 v126, s11, v124
	v_add_co_u32 v108, vcc_lo, s2, v108
	v_lshlrev_b64 v[112:113], 4, v[112:113]
	v_ashrrev_i32_e32 v117, 31, v116
	v_add_co_ci_u32_e32 v109, vcc_lo, s3, v109, vcc_lo
	v_add_co_u32 v110, vcc_lo, s2, v110
	v_lshlrev_b64 v[114:115], 4, v[114:115]
	v_ashrrev_i32_e32 v119, 31, v118
	v_add_nc_u32_e32 v128, s11, v126
	v_add_co_ci_u32_e32 v111, vcc_lo, s3, v111, vcc_lo
	v_add_co_u32 v112, vcc_lo, s2, v112
	v_lshlrev_b64 v[116:117], 4, v[116:117]
	v_ashrrev_i32_e32 v121, 31, v120
	v_add_co_ci_u32_e32 v113, vcc_lo, s3, v113, vcc_lo
	v_add_co_u32 v114, vcc_lo, s2, v114
	v_lshlrev_b64 v[118:119], 4, v[118:119]
	v_add_nc_u32_e32 v130, s11, v128
	v_ashrrev_i32_e32 v123, 31, v122
	v_add_co_ci_u32_e32 v115, vcc_lo, s3, v115, vcc_lo
	v_add_co_u32 v116, vcc_lo, s2, v116
	v_lshlrev_b64 v[120:121], 4, v[120:121]
	v_ashrrev_i32_e32 v125, 31, v124
	v_add_co_ci_u32_e32 v117, vcc_lo, s3, v117, vcc_lo
	v_add_nc_u32_e32 v132, s11, v130
	v_add_co_u32 v118, vcc_lo, s2, v118
	v_lshlrev_b64 v[122:123], 4, v[122:123]
	v_ashrrev_i32_e32 v127, 31, v126
	v_add_co_ci_u32_e32 v119, vcc_lo, s3, v119, vcc_lo
	v_add_co_u32 v120, vcc_lo, s2, v120
	v_lshlrev_b64 v[124:125], 4, v[124:125]
	v_ashrrev_i32_e32 v129, 31, v128
	v_add_nc_u32_e32 v134, s11, v132
	v_add_co_ci_u32_e32 v121, vcc_lo, s3, v121, vcc_lo
	v_add_co_u32 v122, vcc_lo, s2, v122
	v_lshlrev_b64 v[126:127], 4, v[126:127]
	v_ashrrev_i32_e32 v131, 31, v130
	v_add_co_ci_u32_e32 v123, vcc_lo, s3, v123, vcc_lo
	v_add_co_u32 v124, vcc_lo, s2, v124
	v_lshlrev_b64 v[128:129], 4, v[128:129]
	v_add_nc_u32_e32 v136, s11, v134
	v_ashrrev_i32_e32 v133, 31, v132
	v_add_co_ci_u32_e32 v125, vcc_lo, s3, v125, vcc_lo
	v_add_co_u32 v126, vcc_lo, s2, v126
	v_lshlrev_b64 v[130:131], 4, v[130:131]
	v_ashrrev_i32_e32 v135, 31, v134
	v_add_co_ci_u32_e32 v127, vcc_lo, s3, v127, vcc_lo
	v_add_nc_u32_e32 v138, s11, v136
	v_add_co_u32 v128, vcc_lo, s2, v128
	v_lshlrev_b64 v[132:133], 4, v[132:133]
	v_ashrrev_i32_e32 v137, 31, v136
	v_add_co_ci_u32_e32 v129, vcc_lo, s3, v129, vcc_lo
	v_add_co_u32 v130, vcc_lo, s2, v130
	v_lshlrev_b64 v[134:135], 4, v[134:135]
	v_ashrrev_i32_e32 v139, 31, v138
	v_add_co_ci_u32_e32 v131, vcc_lo, s3, v131, vcc_lo
	v_add_co_u32 v132, vcc_lo, s2, v132
	v_lshlrev_b64 v[136:137], 4, v[136:137]
	v_add_co_ci_u32_e32 v133, vcc_lo, s3, v133, vcc_lo
	v_add_co_u32 v134, vcc_lo, s2, v134
	v_lshlrev_b64 v[138:139], 4, v[138:139]
	v_add_co_ci_u32_e32 v135, vcc_lo, s3, v135, vcc_lo
	v_add_co_u32 v136, vcc_lo, s2, v136
	v_add_co_ci_u32_e32 v137, vcc_lo, s3, v137, vcc_lo
	s_clause 0x8
	global_load_b128 v[169:172], v[82:83], off
	global_load_b128 v[173:176], v[84:85], off
	;; [unrolled: 1-line block ×9, first 2 shown]
	v_add_co_u32 v138, vcc_lo, s2, v138
	s_clause 0x1
	global_load_b128 v[215:218], v[100:101], off
	global_load_b128 v[219:222], v[102:103], off
	s_waitcnt vmcnt(28)
	scratch_store_b128 off, v[1:4], off
	s_waitcnt vmcnt(27)
	scratch_store_b128 off, v[5:8], off offset:16
	s_clause 0x1
	global_load_b128 v[1:4], v[104:105], off
	global_load_b128 v[5:8], v[106:107], off
	s_waitcnt vmcnt(28)
	scratch_store_b128 off, v[9:12], off offset:32
	s_waitcnt vmcnt(27)
	scratch_store_b128 off, v[14:17], off offset:48
	v_add_co_ci_u32_e32 v139, vcc_lo, s3, v139, vcc_lo
	s_clause 0x1
	global_load_b128 v[9:12], v[108:109], off
	global_load_b128 v[14:17], v[110:111], off
	s_waitcnt vmcnt(28)
	scratch_store_b128 off, v[18:21], off offset:64
	s_waitcnt vmcnt(27)
	scratch_store_b128 off, v[22:25], off offset:80
	s_clause 0x1
	global_load_b128 v[18:21], v[112:113], off
	global_load_b128 v[22:25], v[114:115], off
	s_waitcnt vmcnt(28)
	scratch_store_b128 off, v[26:29], off offset:96
	s_waitcnt vmcnt(27)
	scratch_store_b128 off, v[30:33], off offset:112
	s_clause 0x1
	global_load_b128 v[26:29], v[116:117], off
	global_load_b128 v[30:33], v[118:119], off
	s_waitcnt vmcnt(28)
	scratch_store_b128 off, v[34:37], off offset:128
	s_waitcnt vmcnt(27)
	scratch_store_b128 off, v[38:41], off offset:144
	s_clause 0x1
	global_load_b128 v[34:37], v[120:121], off
	global_load_b128 v[38:41], v[122:123], off
	s_waitcnt vmcnt(28)
	scratch_store_b128 off, v[42:45], off offset:160
	s_waitcnt vmcnt(27)
	scratch_store_b128 off, v[141:144], off offset:176
	s_clause 0x1
	global_load_b128 v[42:45], v[124:125], off
	global_load_b128 v[223:226], v[126:127], off
	s_waitcnt vmcnt(28)
	scratch_store_b128 off, v[145:148], off offset:192
	s_waitcnt vmcnt(27)
	scratch_store_b128 off, v[149:152], off offset:208
	s_clause 0x5
	global_load_b128 v[227:230], v[128:129], off
	global_load_b128 v[231:234], v[130:131], off
	;; [unrolled: 1-line block ×6, first 2 shown]
	s_movk_i32 s2, 0x50
	s_movk_i32 s3, 0x60
	;; [unrolled: 1-line block ×28, first 2 shown]
	s_waitcnt vmcnt(32)
	scratch_store_b128 off, v[153:156], off offset:224
	s_waitcnt vmcnt(31)
	scratch_store_b128 off, v[157:160], off offset:240
	s_waitcnt vmcnt(30)
	scratch_store_b128 off, v[161:164], off offset:256
	s_waitcnt vmcnt(29)
	scratch_store_b128 off, v[165:168], off offset:272
	v_add_nc_u32_e64 v186, 0, 16
	v_add_nc_u32_e64 v185, 0, 32
	;; [unrolled: 1-line block ×38, first 2 shown]
	s_bitcmp0_b32 s21, 0
	s_mov_b32 s3, -1
	s_waitcnt vmcnt(28)
	scratch_store_b128 off, v[169:172], off offset:288
	s_waitcnt vmcnt(27)
	scratch_store_b128 off, v[173:176], off offset:304
	v_add_nc_u32_e64 v176, s10, 0
	v_add_nc_u32_e64 v175, s11, 0
	;; [unrolled: 1-line block ×8, first 2 shown]
	s_waitcnt vmcnt(26)
	scratch_store_b128 off, v[187:190], off offset:320
	s_waitcnt vmcnt(25)
	scratch_store_b128 off, v[191:194], off offset:336
	;; [unrolled: 2-line block ×27, first 2 shown]
	s_cbranch_scc1 .LBB46_200
; %bb.4:
	v_cmp_eq_u32_e64 s2, 0, v140
	s_delay_alu instid0(VALU_DEP_1)
	s_and_saveexec_b32 s3, s2
	s_cbranch_execz .LBB46_6
; %bb.5:
	v_mov_b32_e32 v1, 0
	ds_store_b32 v1, v1 offset:1504
.LBB46_6:
	s_or_b32 exec_lo, exec_lo, s3
	s_waitcnt lgkmcnt(0)
	s_waitcnt_vscnt null, 0x0
	s_barrier
	buffer_gl0_inv
	scratch_load_b128 v[1:4], v13, off
	s_waitcnt vmcnt(0)
	v_cmp_eq_f64_e32 vcc_lo, 0, v[1:2]
	v_cmp_eq_f64_e64 s3, 0, v[3:4]
	s_delay_alu instid0(VALU_DEP_1) | instskip(NEXT) | instid1(SALU_CYCLE_1)
	s_and_b32 s3, vcc_lo, s3
	s_and_saveexec_b32 s4, s3
	s_cbranch_execz .LBB46_10
; %bb.7:
	v_mov_b32_e32 v1, 0
	s_mov_b32 s5, 0
	ds_load_b32 v2, v1 offset:1504
	s_waitcnt lgkmcnt(0)
	v_readfirstlane_b32 s3, v2
	v_add_nc_u32_e32 v2, 1, v140
	s_delay_alu instid0(VALU_DEP_2) | instskip(NEXT) | instid1(VALU_DEP_1)
	s_cmp_eq_u32 s3, 0
	v_cmp_gt_i32_e32 vcc_lo, s3, v2
	s_cselect_b32 s8, -1, 0
	s_delay_alu instid0(SALU_CYCLE_1) | instskip(NEXT) | instid1(SALU_CYCLE_1)
	s_or_b32 s8, s8, vcc_lo
	s_and_b32 exec_lo, exec_lo, s8
	s_cbranch_execz .LBB46_10
; %bb.8:
	v_mov_b32_e32 v3, s3
.LBB46_9:                               ; =>This Inner Loop Header: Depth=1
	ds_cmpstore_rtn_b32 v3, v1, v2, v3 offset:1504
	s_waitcnt lgkmcnt(0)
	v_cmp_ne_u32_e32 vcc_lo, 0, v3
	v_cmp_le_i32_e64 s3, v3, v2
	s_delay_alu instid0(VALU_DEP_1) | instskip(NEXT) | instid1(SALU_CYCLE_1)
	s_and_b32 s3, vcc_lo, s3
	s_and_b32 s3, exec_lo, s3
	s_delay_alu instid0(SALU_CYCLE_1) | instskip(NEXT) | instid1(SALU_CYCLE_1)
	s_or_b32 s5, s3, s5
	s_and_not1_b32 exec_lo, exec_lo, s5
	s_cbranch_execnz .LBB46_9
.LBB46_10:
	s_or_b32 exec_lo, exec_lo, s4
	v_mov_b32_e32 v1, 0
	s_barrier
	buffer_gl0_inv
	ds_load_b32 v2, v1 offset:1504
	s_and_saveexec_b32 s3, s2
	s_cbranch_execz .LBB46_12
; %bb.11:
	s_lshl_b64 s[4:5], s[18:19], 2
	s_delay_alu instid0(SALU_CYCLE_1)
	s_add_u32 s4, s6, s4
	s_addc_u32 s5, s7, s5
	s_waitcnt lgkmcnt(0)
	global_store_b32 v1, v2, s[4:5]
.LBB46_12:
	s_or_b32 exec_lo, exec_lo, s3
	s_waitcnt lgkmcnt(0)
	v_cmp_ne_u32_e32 vcc_lo, 0, v2
	s_mov_b32 s3, 0
	s_cbranch_vccnz .LBB46_200
; %bb.13:
	v_add_nc_u32_e32 v14, 0, v13
                                        ; implicit-def: $vgpr9_vgpr10
	scratch_load_b128 v[1:4], v14, off
	s_waitcnt vmcnt(0)
	v_mov_b32_e32 v5, v1
	v_cmp_gt_f64_e32 vcc_lo, 0, v[1:2]
	v_xor_b32_e32 v6, 0x80000000, v2
	v_xor_b32_e32 v7, 0x80000000, v4
	s_delay_alu instid0(VALU_DEP_2) | instskip(SKIP_1) | instid1(VALU_DEP_3)
	v_cndmask_b32_e32 v6, v2, v6, vcc_lo
	v_cmp_gt_f64_e32 vcc_lo, 0, v[3:4]
	v_dual_cndmask_b32 v8, v4, v7 :: v_dual_mov_b32 v7, v3
	s_delay_alu instid0(VALU_DEP_1) | instskip(SKIP_1) | instid1(SALU_CYCLE_1)
	v_cmp_ngt_f64_e32 vcc_lo, v[5:6], v[7:8]
                                        ; implicit-def: $vgpr5_vgpr6
	s_and_saveexec_b32 s3, vcc_lo
	s_xor_b32 s3, exec_lo, s3
	s_cbranch_execz .LBB46_15
; %bb.14:
	v_div_scale_f64 v[5:6], null, v[3:4], v[3:4], v[1:2]
	v_div_scale_f64 v[11:12], vcc_lo, v[1:2], v[3:4], v[1:2]
	s_delay_alu instid0(VALU_DEP_2) | instskip(SKIP_2) | instid1(VALU_DEP_1)
	v_rcp_f64_e32 v[7:8], v[5:6]
	s_waitcnt_depctr 0xfff
	v_fma_f64 v[9:10], -v[5:6], v[7:8], 1.0
	v_fma_f64 v[7:8], v[7:8], v[9:10], v[7:8]
	s_delay_alu instid0(VALU_DEP_1) | instskip(NEXT) | instid1(VALU_DEP_1)
	v_fma_f64 v[9:10], -v[5:6], v[7:8], 1.0
	v_fma_f64 v[7:8], v[7:8], v[9:10], v[7:8]
	s_delay_alu instid0(VALU_DEP_1) | instskip(NEXT) | instid1(VALU_DEP_1)
	v_mul_f64 v[9:10], v[11:12], v[7:8]
	v_fma_f64 v[5:6], -v[5:6], v[9:10], v[11:12]
	s_delay_alu instid0(VALU_DEP_1) | instskip(NEXT) | instid1(VALU_DEP_1)
	v_div_fmas_f64 v[5:6], v[5:6], v[7:8], v[9:10]
	v_div_fixup_f64 v[5:6], v[5:6], v[3:4], v[1:2]
	s_delay_alu instid0(VALU_DEP_1) | instskip(NEXT) | instid1(VALU_DEP_1)
	v_fma_f64 v[1:2], v[1:2], v[5:6], v[3:4]
	v_div_scale_f64 v[3:4], null, v[1:2], v[1:2], 1.0
	v_div_scale_f64 v[11:12], vcc_lo, 1.0, v[1:2], 1.0
	s_delay_alu instid0(VALU_DEP_2) | instskip(SKIP_2) | instid1(VALU_DEP_1)
	v_rcp_f64_e32 v[7:8], v[3:4]
	s_waitcnt_depctr 0xfff
	v_fma_f64 v[9:10], -v[3:4], v[7:8], 1.0
	v_fma_f64 v[7:8], v[7:8], v[9:10], v[7:8]
	s_delay_alu instid0(VALU_DEP_1) | instskip(NEXT) | instid1(VALU_DEP_1)
	v_fma_f64 v[9:10], -v[3:4], v[7:8], 1.0
	v_fma_f64 v[7:8], v[7:8], v[9:10], v[7:8]
	s_delay_alu instid0(VALU_DEP_1) | instskip(NEXT) | instid1(VALU_DEP_1)
	v_mul_f64 v[9:10], v[11:12], v[7:8]
	v_fma_f64 v[3:4], -v[3:4], v[9:10], v[11:12]
	s_delay_alu instid0(VALU_DEP_1) | instskip(NEXT) | instid1(VALU_DEP_1)
	v_div_fmas_f64 v[3:4], v[3:4], v[7:8], v[9:10]
	v_div_fixup_f64 v[7:8], v[3:4], v[1:2], 1.0
                                        ; implicit-def: $vgpr1_vgpr2
	s_delay_alu instid0(VALU_DEP_1) | instskip(SKIP_1) | instid1(VALU_DEP_2)
	v_mul_f64 v[5:6], v[5:6], v[7:8]
	v_xor_b32_e32 v8, 0x80000000, v8
	v_xor_b32_e32 v10, 0x80000000, v6
	s_delay_alu instid0(VALU_DEP_3)
	v_mov_b32_e32 v9, v5
.LBB46_15:
	s_and_not1_saveexec_b32 s3, s3
	s_cbranch_execz .LBB46_17
; %bb.16:
	v_div_scale_f64 v[5:6], null, v[1:2], v[1:2], v[3:4]
	v_div_scale_f64 v[11:12], vcc_lo, v[3:4], v[1:2], v[3:4]
	s_delay_alu instid0(VALU_DEP_2) | instskip(SKIP_2) | instid1(VALU_DEP_1)
	v_rcp_f64_e32 v[7:8], v[5:6]
	s_waitcnt_depctr 0xfff
	v_fma_f64 v[9:10], -v[5:6], v[7:8], 1.0
	v_fma_f64 v[7:8], v[7:8], v[9:10], v[7:8]
	s_delay_alu instid0(VALU_DEP_1) | instskip(NEXT) | instid1(VALU_DEP_1)
	v_fma_f64 v[9:10], -v[5:6], v[7:8], 1.0
	v_fma_f64 v[7:8], v[7:8], v[9:10], v[7:8]
	s_delay_alu instid0(VALU_DEP_1) | instskip(NEXT) | instid1(VALU_DEP_1)
	v_mul_f64 v[9:10], v[11:12], v[7:8]
	v_fma_f64 v[5:6], -v[5:6], v[9:10], v[11:12]
	s_delay_alu instid0(VALU_DEP_1) | instskip(NEXT) | instid1(VALU_DEP_1)
	v_div_fmas_f64 v[5:6], v[5:6], v[7:8], v[9:10]
	v_div_fixup_f64 v[7:8], v[5:6], v[1:2], v[3:4]
	s_delay_alu instid0(VALU_DEP_1) | instskip(NEXT) | instid1(VALU_DEP_1)
	v_fma_f64 v[1:2], v[3:4], v[7:8], v[1:2]
	v_div_scale_f64 v[3:4], null, v[1:2], v[1:2], 1.0
	s_delay_alu instid0(VALU_DEP_1) | instskip(SKIP_2) | instid1(VALU_DEP_1)
	v_rcp_f64_e32 v[5:6], v[3:4]
	s_waitcnt_depctr 0xfff
	v_fma_f64 v[9:10], -v[3:4], v[5:6], 1.0
	v_fma_f64 v[5:6], v[5:6], v[9:10], v[5:6]
	s_delay_alu instid0(VALU_DEP_1) | instskip(NEXT) | instid1(VALU_DEP_1)
	v_fma_f64 v[9:10], -v[3:4], v[5:6], 1.0
	v_fma_f64 v[5:6], v[5:6], v[9:10], v[5:6]
	v_div_scale_f64 v[9:10], vcc_lo, 1.0, v[1:2], 1.0
	s_delay_alu instid0(VALU_DEP_1) | instskip(NEXT) | instid1(VALU_DEP_1)
	v_mul_f64 v[11:12], v[9:10], v[5:6]
	v_fma_f64 v[3:4], -v[3:4], v[11:12], v[9:10]
	s_delay_alu instid0(VALU_DEP_1) | instskip(NEXT) | instid1(VALU_DEP_1)
	v_div_fmas_f64 v[3:4], v[3:4], v[5:6], v[11:12]
	v_div_fixup_f64 v[5:6], v[3:4], v[1:2], 1.0
	s_delay_alu instid0(VALU_DEP_1)
	v_mul_f64 v[7:8], v[7:8], -v[5:6]
	v_xor_b32_e32 v10, 0x80000000, v6
	v_mov_b32_e32 v9, v5
.LBB46_17:
	s_or_b32 exec_lo, exec_lo, s3
	scratch_store_b128 v14, v[5:8], off
	scratch_load_b128 v[1:4], v186, off
	v_xor_b32_e32 v12, 0x80000000, v8
	v_mov_b32_e32 v11, v7
	v_add_nc_u32_e32 v5, 0x2f0, v13
	ds_store_b128 v13, v[9:12]
	s_waitcnt vmcnt(0)
	ds_store_b128 v13, v[1:4] offset:752
	s_waitcnt lgkmcnt(0)
	s_waitcnt_vscnt null, 0x0
	s_barrier
	buffer_gl0_inv
	s_and_saveexec_b32 s3, s2
	s_cbranch_execz .LBB46_19
; %bb.18:
	scratch_load_b128 v[1:4], v14, off
	ds_load_b128 v[6:9], v5
	v_mov_b32_e32 v10, 0
	ds_load_b128 v[15:18], v10 offset:16
	s_waitcnt vmcnt(0) lgkmcnt(1)
	v_mul_f64 v[10:11], v[6:7], v[3:4]
	v_mul_f64 v[3:4], v[8:9], v[3:4]
	s_delay_alu instid0(VALU_DEP_2) | instskip(NEXT) | instid1(VALU_DEP_2)
	v_fma_f64 v[8:9], v[8:9], v[1:2], v[10:11]
	v_fma_f64 v[1:2], v[6:7], v[1:2], -v[3:4]
	s_delay_alu instid0(VALU_DEP_2) | instskip(NEXT) | instid1(VALU_DEP_2)
	v_add_f64 v[3:4], v[8:9], 0
	v_add_f64 v[1:2], v[1:2], 0
	s_waitcnt lgkmcnt(0)
	s_delay_alu instid0(VALU_DEP_2) | instskip(NEXT) | instid1(VALU_DEP_2)
	v_mul_f64 v[6:7], v[3:4], v[17:18]
	v_mul_f64 v[8:9], v[1:2], v[17:18]
	s_delay_alu instid0(VALU_DEP_2) | instskip(NEXT) | instid1(VALU_DEP_2)
	v_fma_f64 v[1:2], v[1:2], v[15:16], -v[6:7]
	v_fma_f64 v[3:4], v[3:4], v[15:16], v[8:9]
	scratch_store_b128 off, v[1:4], off offset:16
.LBB46_19:
	s_or_b32 exec_lo, exec_lo, s3
	s_waitcnt_vscnt null, 0x0
	s_barrier
	buffer_gl0_inv
	scratch_load_b128 v[1:4], v185, off
	s_mov_b32 s3, exec_lo
	s_waitcnt vmcnt(0)
	ds_store_b128 v5, v[1:4]
	s_waitcnt lgkmcnt(0)
	s_barrier
	buffer_gl0_inv
	v_cmpx_gt_u32_e32 2, v140
	s_cbranch_execz .LBB46_23
; %bb.20:
	scratch_load_b128 v[1:4], v14, off
	ds_load_b128 v[6:9], v5
	s_waitcnt vmcnt(0) lgkmcnt(0)
	v_mul_f64 v[10:11], v[8:9], v[3:4]
	v_mul_f64 v[3:4], v[6:7], v[3:4]
	s_delay_alu instid0(VALU_DEP_2) | instskip(NEXT) | instid1(VALU_DEP_2)
	v_fma_f64 v[6:7], v[6:7], v[1:2], -v[10:11]
	v_fma_f64 v[3:4], v[8:9], v[1:2], v[3:4]
	s_delay_alu instid0(VALU_DEP_2) | instskip(NEXT) | instid1(VALU_DEP_2)
	v_add_f64 v[1:2], v[6:7], 0
	v_add_f64 v[3:4], v[3:4], 0
	s_and_saveexec_b32 s4, s2
	s_cbranch_execz .LBB46_22
; %bb.21:
	scratch_load_b128 v[6:9], off, off offset:16
	v_mov_b32_e32 v10, 0
	ds_load_b128 v[15:18], v10 offset:768
	s_waitcnt vmcnt(0) lgkmcnt(0)
	v_mul_f64 v[10:11], v[15:16], v[8:9]
	v_mul_f64 v[8:9], v[17:18], v[8:9]
	s_delay_alu instid0(VALU_DEP_2) | instskip(NEXT) | instid1(VALU_DEP_2)
	v_fma_f64 v[10:11], v[17:18], v[6:7], v[10:11]
	v_fma_f64 v[6:7], v[15:16], v[6:7], -v[8:9]
	s_delay_alu instid0(VALU_DEP_2) | instskip(NEXT) | instid1(VALU_DEP_2)
	v_add_f64 v[3:4], v[3:4], v[10:11]
	v_add_f64 v[1:2], v[1:2], v[6:7]
.LBB46_22:
	s_or_b32 exec_lo, exec_lo, s4
	v_mov_b32_e32 v6, 0
	ds_load_b128 v[6:9], v6 offset:32
	s_waitcnt lgkmcnt(0)
	v_mul_f64 v[10:11], v[3:4], v[8:9]
	v_mul_f64 v[8:9], v[1:2], v[8:9]
	s_delay_alu instid0(VALU_DEP_2) | instskip(NEXT) | instid1(VALU_DEP_2)
	v_fma_f64 v[1:2], v[1:2], v[6:7], -v[10:11]
	v_fma_f64 v[3:4], v[3:4], v[6:7], v[8:9]
	scratch_store_b128 off, v[1:4], off offset:32
.LBB46_23:
	s_or_b32 exec_lo, exec_lo, s3
	s_waitcnt_vscnt null, 0x0
	s_barrier
	buffer_gl0_inv
	scratch_load_b128 v[1:4], v184, off
	v_add_nc_u32_e32 v6, -1, v140
	s_mov_b32 s2, exec_lo
	s_waitcnt vmcnt(0)
	ds_store_b128 v5, v[1:4]
	s_waitcnt lgkmcnt(0)
	s_barrier
	buffer_gl0_inv
	v_cmpx_gt_u32_e32 3, v140
	s_cbranch_execz .LBB46_27
; %bb.24:
	v_dual_mov_b32 v1, 0 :: v_dual_add_nc_u32 v8, 0x2f0, v13
	v_dual_mov_b32 v2, 0 :: v_dual_add_nc_u32 v7, -1, v140
	v_or_b32_e32 v9, 8, v14
	s_mov_b32 s3, 0
	s_delay_alu instid0(VALU_DEP_2)
	v_dual_mov_b32 v4, v2 :: v_dual_mov_b32 v3, v1
	.p2align	6
.LBB46_25:                              ; =>This Inner Loop Header: Depth=1
	scratch_load_b128 v[15:18], v9, off offset:-8
	ds_load_b128 v[19:22], v8
	v_add_nc_u32_e32 v7, 1, v7
	v_add_nc_u32_e32 v8, 16, v8
	;; [unrolled: 1-line block ×3, first 2 shown]
	s_delay_alu instid0(VALU_DEP_3) | instskip(SKIP_4) | instid1(VALU_DEP_2)
	v_cmp_lt_u32_e32 vcc_lo, 1, v7
	s_or_b32 s3, vcc_lo, s3
	s_waitcnt vmcnt(0) lgkmcnt(0)
	v_mul_f64 v[10:11], v[21:22], v[17:18]
	v_mul_f64 v[17:18], v[19:20], v[17:18]
	v_fma_f64 v[10:11], v[19:20], v[15:16], -v[10:11]
	s_delay_alu instid0(VALU_DEP_2) | instskip(NEXT) | instid1(VALU_DEP_2)
	v_fma_f64 v[15:16], v[21:22], v[15:16], v[17:18]
	v_add_f64 v[3:4], v[3:4], v[10:11]
	s_delay_alu instid0(VALU_DEP_2)
	v_add_f64 v[1:2], v[1:2], v[15:16]
	s_and_not1_b32 exec_lo, exec_lo, s3
	s_cbranch_execnz .LBB46_25
; %bb.26:
	s_or_b32 exec_lo, exec_lo, s3
	v_mov_b32_e32 v7, 0
	ds_load_b128 v[7:10], v7 offset:48
	s_waitcnt lgkmcnt(0)
	v_mul_f64 v[11:12], v[1:2], v[9:10]
	v_mul_f64 v[15:16], v[3:4], v[9:10]
	s_delay_alu instid0(VALU_DEP_2) | instskip(NEXT) | instid1(VALU_DEP_2)
	v_fma_f64 v[9:10], v[3:4], v[7:8], -v[11:12]
	v_fma_f64 v[11:12], v[1:2], v[7:8], v[15:16]
	scratch_store_b128 off, v[9:12], off offset:48
.LBB46_27:
	s_or_b32 exec_lo, exec_lo, s2
	s_waitcnt_vscnt null, 0x0
	s_barrier
	buffer_gl0_inv
	scratch_load_b128 v[1:4], v183, off
	s_mov_b32 s2, exec_lo
	s_waitcnt vmcnt(0)
	ds_store_b128 v5, v[1:4]
	s_waitcnt lgkmcnt(0)
	s_barrier
	buffer_gl0_inv
	v_cmpx_gt_u32_e32 4, v140
	s_cbranch_execz .LBB46_31
; %bb.28:
	v_dual_mov_b32 v1, 0 :: v_dual_add_nc_u32 v8, 0x2f0, v13
	v_dual_mov_b32 v2, 0 :: v_dual_add_nc_u32 v7, -1, v140
	v_or_b32_e32 v9, 8, v14
	s_mov_b32 s3, 0
	s_delay_alu instid0(VALU_DEP_2)
	v_dual_mov_b32 v4, v2 :: v_dual_mov_b32 v3, v1
	.p2align	6
.LBB46_29:                              ; =>This Inner Loop Header: Depth=1
	scratch_load_b128 v[15:18], v9, off offset:-8
	ds_load_b128 v[19:22], v8
	v_add_nc_u32_e32 v7, 1, v7
	v_add_nc_u32_e32 v8, 16, v8
	;; [unrolled: 1-line block ×3, first 2 shown]
	s_delay_alu instid0(VALU_DEP_3) | instskip(SKIP_4) | instid1(VALU_DEP_2)
	v_cmp_lt_u32_e32 vcc_lo, 2, v7
	s_or_b32 s3, vcc_lo, s3
	s_waitcnt vmcnt(0) lgkmcnt(0)
	v_mul_f64 v[10:11], v[21:22], v[17:18]
	v_mul_f64 v[17:18], v[19:20], v[17:18]
	v_fma_f64 v[10:11], v[19:20], v[15:16], -v[10:11]
	s_delay_alu instid0(VALU_DEP_2) | instskip(NEXT) | instid1(VALU_DEP_2)
	v_fma_f64 v[15:16], v[21:22], v[15:16], v[17:18]
	v_add_f64 v[3:4], v[3:4], v[10:11]
	s_delay_alu instid0(VALU_DEP_2)
	v_add_f64 v[1:2], v[1:2], v[15:16]
	s_and_not1_b32 exec_lo, exec_lo, s3
	s_cbranch_execnz .LBB46_29
; %bb.30:
	s_or_b32 exec_lo, exec_lo, s3
	v_mov_b32_e32 v7, 0
	ds_load_b128 v[7:10], v7 offset:64
	s_waitcnt lgkmcnt(0)
	v_mul_f64 v[11:12], v[1:2], v[9:10]
	v_mul_f64 v[15:16], v[3:4], v[9:10]
	s_delay_alu instid0(VALU_DEP_2) | instskip(NEXT) | instid1(VALU_DEP_2)
	v_fma_f64 v[9:10], v[3:4], v[7:8], -v[11:12]
	v_fma_f64 v[11:12], v[1:2], v[7:8], v[15:16]
	scratch_store_b128 off, v[9:12], off offset:64
.LBB46_31:
	s_or_b32 exec_lo, exec_lo, s2
	s_waitcnt_vscnt null, 0x0
	s_barrier
	buffer_gl0_inv
	scratch_load_b128 v[1:4], v182, off
	s_mov_b32 s2, exec_lo
	s_waitcnt vmcnt(0)
	ds_store_b128 v5, v[1:4]
	s_waitcnt lgkmcnt(0)
	s_barrier
	buffer_gl0_inv
	v_cmpx_gt_u32_e32 5, v140
	s_cbranch_execz .LBB46_35
; %bb.32:
	v_dual_mov_b32 v1, 0 :: v_dual_add_nc_u32 v8, 0x2f0, v13
	v_dual_mov_b32 v2, 0 :: v_dual_add_nc_u32 v7, -1, v140
	v_or_b32_e32 v9, 8, v14
	s_mov_b32 s3, 0
	s_delay_alu instid0(VALU_DEP_2)
	v_dual_mov_b32 v4, v2 :: v_dual_mov_b32 v3, v1
	.p2align	6
.LBB46_33:                              ; =>This Inner Loop Header: Depth=1
	scratch_load_b128 v[15:18], v9, off offset:-8
	ds_load_b128 v[19:22], v8
	v_add_nc_u32_e32 v7, 1, v7
	v_add_nc_u32_e32 v8, 16, v8
	;; [unrolled: 1-line block ×3, first 2 shown]
	s_delay_alu instid0(VALU_DEP_3) | instskip(SKIP_4) | instid1(VALU_DEP_2)
	v_cmp_lt_u32_e32 vcc_lo, 3, v7
	s_or_b32 s3, vcc_lo, s3
	s_waitcnt vmcnt(0) lgkmcnt(0)
	v_mul_f64 v[10:11], v[21:22], v[17:18]
	v_mul_f64 v[17:18], v[19:20], v[17:18]
	v_fma_f64 v[10:11], v[19:20], v[15:16], -v[10:11]
	s_delay_alu instid0(VALU_DEP_2) | instskip(NEXT) | instid1(VALU_DEP_2)
	v_fma_f64 v[15:16], v[21:22], v[15:16], v[17:18]
	v_add_f64 v[3:4], v[3:4], v[10:11]
	s_delay_alu instid0(VALU_DEP_2)
	v_add_f64 v[1:2], v[1:2], v[15:16]
	s_and_not1_b32 exec_lo, exec_lo, s3
	s_cbranch_execnz .LBB46_33
; %bb.34:
	s_or_b32 exec_lo, exec_lo, s3
	v_mov_b32_e32 v7, 0
	ds_load_b128 v[7:10], v7 offset:80
	s_waitcnt lgkmcnt(0)
	v_mul_f64 v[11:12], v[1:2], v[9:10]
	v_mul_f64 v[15:16], v[3:4], v[9:10]
	s_delay_alu instid0(VALU_DEP_2) | instskip(NEXT) | instid1(VALU_DEP_2)
	v_fma_f64 v[9:10], v[3:4], v[7:8], -v[11:12]
	v_fma_f64 v[11:12], v[1:2], v[7:8], v[15:16]
	scratch_store_b128 off, v[9:12], off offset:80
.LBB46_35:
	s_or_b32 exec_lo, exec_lo, s2
	s_waitcnt_vscnt null, 0x0
	s_barrier
	buffer_gl0_inv
	scratch_load_b128 v[1:4], v181, off
	s_mov_b32 s2, exec_lo
	s_waitcnt vmcnt(0)
	ds_store_b128 v5, v[1:4]
	s_waitcnt lgkmcnt(0)
	s_barrier
	buffer_gl0_inv
	v_cmpx_gt_u32_e32 6, v140
	s_cbranch_execz .LBB46_39
; %bb.36:
	v_dual_mov_b32 v1, 0 :: v_dual_add_nc_u32 v8, 0x2f0, v13
	v_dual_mov_b32 v2, 0 :: v_dual_add_nc_u32 v7, -1, v140
	v_or_b32_e32 v9, 8, v14
	s_mov_b32 s3, 0
	s_delay_alu instid0(VALU_DEP_2)
	v_dual_mov_b32 v4, v2 :: v_dual_mov_b32 v3, v1
	.p2align	6
.LBB46_37:                              ; =>This Inner Loop Header: Depth=1
	scratch_load_b128 v[15:18], v9, off offset:-8
	ds_load_b128 v[19:22], v8
	v_add_nc_u32_e32 v7, 1, v7
	v_add_nc_u32_e32 v8, 16, v8
	;; [unrolled: 1-line block ×3, first 2 shown]
	s_delay_alu instid0(VALU_DEP_3) | instskip(SKIP_4) | instid1(VALU_DEP_2)
	v_cmp_lt_u32_e32 vcc_lo, 4, v7
	s_or_b32 s3, vcc_lo, s3
	s_waitcnt vmcnt(0) lgkmcnt(0)
	v_mul_f64 v[10:11], v[21:22], v[17:18]
	v_mul_f64 v[17:18], v[19:20], v[17:18]
	v_fma_f64 v[10:11], v[19:20], v[15:16], -v[10:11]
	s_delay_alu instid0(VALU_DEP_2) | instskip(NEXT) | instid1(VALU_DEP_2)
	v_fma_f64 v[15:16], v[21:22], v[15:16], v[17:18]
	v_add_f64 v[3:4], v[3:4], v[10:11]
	s_delay_alu instid0(VALU_DEP_2)
	v_add_f64 v[1:2], v[1:2], v[15:16]
	s_and_not1_b32 exec_lo, exec_lo, s3
	s_cbranch_execnz .LBB46_37
; %bb.38:
	s_or_b32 exec_lo, exec_lo, s3
	v_mov_b32_e32 v7, 0
	ds_load_b128 v[7:10], v7 offset:96
	s_waitcnt lgkmcnt(0)
	v_mul_f64 v[11:12], v[1:2], v[9:10]
	v_mul_f64 v[15:16], v[3:4], v[9:10]
	s_delay_alu instid0(VALU_DEP_2) | instskip(NEXT) | instid1(VALU_DEP_2)
	v_fma_f64 v[9:10], v[3:4], v[7:8], -v[11:12]
	v_fma_f64 v[11:12], v[1:2], v[7:8], v[15:16]
	scratch_store_b128 off, v[9:12], off offset:96
.LBB46_39:
	s_or_b32 exec_lo, exec_lo, s2
	s_waitcnt_vscnt null, 0x0
	s_barrier
	buffer_gl0_inv
	scratch_load_b128 v[1:4], v180, off
	s_mov_b32 s2, exec_lo
	s_waitcnt vmcnt(0)
	ds_store_b128 v5, v[1:4]
	s_waitcnt lgkmcnt(0)
	s_barrier
	buffer_gl0_inv
	v_cmpx_gt_u32_e32 7, v140
	s_cbranch_execz .LBB46_43
; %bb.40:
	v_dual_mov_b32 v1, 0 :: v_dual_add_nc_u32 v8, 0x2f0, v13
	v_dual_mov_b32 v2, 0 :: v_dual_add_nc_u32 v7, -1, v140
	v_or_b32_e32 v9, 8, v14
	s_mov_b32 s3, 0
	s_delay_alu instid0(VALU_DEP_2)
	v_dual_mov_b32 v4, v2 :: v_dual_mov_b32 v3, v1
	.p2align	6
.LBB46_41:                              ; =>This Inner Loop Header: Depth=1
	scratch_load_b128 v[15:18], v9, off offset:-8
	ds_load_b128 v[19:22], v8
	v_add_nc_u32_e32 v7, 1, v7
	v_add_nc_u32_e32 v8, 16, v8
	;; [unrolled: 1-line block ×3, first 2 shown]
	s_delay_alu instid0(VALU_DEP_3) | instskip(SKIP_4) | instid1(VALU_DEP_2)
	v_cmp_lt_u32_e32 vcc_lo, 5, v7
	s_or_b32 s3, vcc_lo, s3
	s_waitcnt vmcnt(0) lgkmcnt(0)
	v_mul_f64 v[10:11], v[21:22], v[17:18]
	v_mul_f64 v[17:18], v[19:20], v[17:18]
	v_fma_f64 v[10:11], v[19:20], v[15:16], -v[10:11]
	s_delay_alu instid0(VALU_DEP_2) | instskip(NEXT) | instid1(VALU_DEP_2)
	v_fma_f64 v[15:16], v[21:22], v[15:16], v[17:18]
	v_add_f64 v[3:4], v[3:4], v[10:11]
	s_delay_alu instid0(VALU_DEP_2)
	v_add_f64 v[1:2], v[1:2], v[15:16]
	s_and_not1_b32 exec_lo, exec_lo, s3
	s_cbranch_execnz .LBB46_41
; %bb.42:
	s_or_b32 exec_lo, exec_lo, s3
	v_mov_b32_e32 v7, 0
	ds_load_b128 v[7:10], v7 offset:112
	s_waitcnt lgkmcnt(0)
	v_mul_f64 v[11:12], v[1:2], v[9:10]
	v_mul_f64 v[15:16], v[3:4], v[9:10]
	s_delay_alu instid0(VALU_DEP_2) | instskip(NEXT) | instid1(VALU_DEP_2)
	v_fma_f64 v[9:10], v[3:4], v[7:8], -v[11:12]
	v_fma_f64 v[11:12], v[1:2], v[7:8], v[15:16]
	scratch_store_b128 off, v[9:12], off offset:112
.LBB46_43:
	s_or_b32 exec_lo, exec_lo, s2
	s_waitcnt_vscnt null, 0x0
	s_barrier
	buffer_gl0_inv
	scratch_load_b128 v[1:4], v179, off
	s_mov_b32 s2, exec_lo
	s_waitcnt vmcnt(0)
	ds_store_b128 v5, v[1:4]
	s_waitcnt lgkmcnt(0)
	s_barrier
	buffer_gl0_inv
	v_cmpx_gt_u32_e32 8, v140
	s_cbranch_execz .LBB46_47
; %bb.44:
	v_dual_mov_b32 v1, 0 :: v_dual_add_nc_u32 v8, 0x2f0, v13
	v_dual_mov_b32 v2, 0 :: v_dual_add_nc_u32 v7, -1, v140
	v_or_b32_e32 v9, 8, v14
	s_mov_b32 s3, 0
	s_delay_alu instid0(VALU_DEP_2)
	v_dual_mov_b32 v4, v2 :: v_dual_mov_b32 v3, v1
	.p2align	6
.LBB46_45:                              ; =>This Inner Loop Header: Depth=1
	scratch_load_b128 v[15:18], v9, off offset:-8
	ds_load_b128 v[19:22], v8
	v_add_nc_u32_e32 v7, 1, v7
	v_add_nc_u32_e32 v8, 16, v8
	;; [unrolled: 1-line block ×3, first 2 shown]
	s_delay_alu instid0(VALU_DEP_3) | instskip(SKIP_4) | instid1(VALU_DEP_2)
	v_cmp_lt_u32_e32 vcc_lo, 6, v7
	s_or_b32 s3, vcc_lo, s3
	s_waitcnt vmcnt(0) lgkmcnt(0)
	v_mul_f64 v[10:11], v[21:22], v[17:18]
	v_mul_f64 v[17:18], v[19:20], v[17:18]
	v_fma_f64 v[10:11], v[19:20], v[15:16], -v[10:11]
	s_delay_alu instid0(VALU_DEP_2) | instskip(NEXT) | instid1(VALU_DEP_2)
	v_fma_f64 v[15:16], v[21:22], v[15:16], v[17:18]
	v_add_f64 v[3:4], v[3:4], v[10:11]
	s_delay_alu instid0(VALU_DEP_2)
	v_add_f64 v[1:2], v[1:2], v[15:16]
	s_and_not1_b32 exec_lo, exec_lo, s3
	s_cbranch_execnz .LBB46_45
; %bb.46:
	s_or_b32 exec_lo, exec_lo, s3
	v_mov_b32_e32 v7, 0
	ds_load_b128 v[7:10], v7 offset:128
	s_waitcnt lgkmcnt(0)
	v_mul_f64 v[11:12], v[1:2], v[9:10]
	v_mul_f64 v[15:16], v[3:4], v[9:10]
	s_delay_alu instid0(VALU_DEP_2) | instskip(NEXT) | instid1(VALU_DEP_2)
	v_fma_f64 v[9:10], v[3:4], v[7:8], -v[11:12]
	v_fma_f64 v[11:12], v[1:2], v[7:8], v[15:16]
	scratch_store_b128 off, v[9:12], off offset:128
.LBB46_47:
	s_or_b32 exec_lo, exec_lo, s2
	s_waitcnt_vscnt null, 0x0
	s_barrier
	buffer_gl0_inv
	scratch_load_b128 v[1:4], v178, off
	s_mov_b32 s2, exec_lo
	s_waitcnt vmcnt(0)
	ds_store_b128 v5, v[1:4]
	s_waitcnt lgkmcnt(0)
	s_barrier
	buffer_gl0_inv
	v_cmpx_gt_u32_e32 9, v140
	s_cbranch_execz .LBB46_51
; %bb.48:
	v_dual_mov_b32 v1, 0 :: v_dual_add_nc_u32 v8, 0x2f0, v13
	v_dual_mov_b32 v2, 0 :: v_dual_add_nc_u32 v7, -1, v140
	v_or_b32_e32 v9, 8, v14
	s_mov_b32 s3, 0
	s_delay_alu instid0(VALU_DEP_2)
	v_dual_mov_b32 v4, v2 :: v_dual_mov_b32 v3, v1
	.p2align	6
.LBB46_49:                              ; =>This Inner Loop Header: Depth=1
	scratch_load_b128 v[15:18], v9, off offset:-8
	ds_load_b128 v[19:22], v8
	v_add_nc_u32_e32 v7, 1, v7
	v_add_nc_u32_e32 v8, 16, v8
	v_add_nc_u32_e32 v9, 16, v9
	s_delay_alu instid0(VALU_DEP_3) | instskip(SKIP_4) | instid1(VALU_DEP_2)
	v_cmp_lt_u32_e32 vcc_lo, 7, v7
	s_or_b32 s3, vcc_lo, s3
	s_waitcnt vmcnt(0) lgkmcnt(0)
	v_mul_f64 v[10:11], v[21:22], v[17:18]
	v_mul_f64 v[17:18], v[19:20], v[17:18]
	v_fma_f64 v[10:11], v[19:20], v[15:16], -v[10:11]
	s_delay_alu instid0(VALU_DEP_2) | instskip(NEXT) | instid1(VALU_DEP_2)
	v_fma_f64 v[15:16], v[21:22], v[15:16], v[17:18]
	v_add_f64 v[3:4], v[3:4], v[10:11]
	s_delay_alu instid0(VALU_DEP_2)
	v_add_f64 v[1:2], v[1:2], v[15:16]
	s_and_not1_b32 exec_lo, exec_lo, s3
	s_cbranch_execnz .LBB46_49
; %bb.50:
	s_or_b32 exec_lo, exec_lo, s3
	v_mov_b32_e32 v7, 0
	ds_load_b128 v[7:10], v7 offset:144
	s_waitcnt lgkmcnt(0)
	v_mul_f64 v[11:12], v[1:2], v[9:10]
	v_mul_f64 v[15:16], v[3:4], v[9:10]
	s_delay_alu instid0(VALU_DEP_2) | instskip(NEXT) | instid1(VALU_DEP_2)
	v_fma_f64 v[9:10], v[3:4], v[7:8], -v[11:12]
	v_fma_f64 v[11:12], v[1:2], v[7:8], v[15:16]
	scratch_store_b128 off, v[9:12], off offset:144
.LBB46_51:
	s_or_b32 exec_lo, exec_lo, s2
	s_waitcnt_vscnt null, 0x0
	s_barrier
	buffer_gl0_inv
	scratch_load_b128 v[1:4], v177, off
	s_mov_b32 s2, exec_lo
	s_waitcnt vmcnt(0)
	ds_store_b128 v5, v[1:4]
	s_waitcnt lgkmcnt(0)
	s_barrier
	buffer_gl0_inv
	v_cmpx_gt_u32_e32 10, v140
	s_cbranch_execz .LBB46_55
; %bb.52:
	v_dual_mov_b32 v1, 0 :: v_dual_add_nc_u32 v8, 0x2f0, v13
	v_dual_mov_b32 v2, 0 :: v_dual_add_nc_u32 v7, -1, v140
	v_or_b32_e32 v9, 8, v14
	s_mov_b32 s3, 0
	s_delay_alu instid0(VALU_DEP_2)
	v_dual_mov_b32 v4, v2 :: v_dual_mov_b32 v3, v1
	.p2align	6
.LBB46_53:                              ; =>This Inner Loop Header: Depth=1
	scratch_load_b128 v[15:18], v9, off offset:-8
	ds_load_b128 v[19:22], v8
	v_add_nc_u32_e32 v7, 1, v7
	v_add_nc_u32_e32 v8, 16, v8
	;; [unrolled: 1-line block ×3, first 2 shown]
	s_delay_alu instid0(VALU_DEP_3) | instskip(SKIP_4) | instid1(VALU_DEP_2)
	v_cmp_lt_u32_e32 vcc_lo, 8, v7
	s_or_b32 s3, vcc_lo, s3
	s_waitcnt vmcnt(0) lgkmcnt(0)
	v_mul_f64 v[10:11], v[21:22], v[17:18]
	v_mul_f64 v[17:18], v[19:20], v[17:18]
	v_fma_f64 v[10:11], v[19:20], v[15:16], -v[10:11]
	s_delay_alu instid0(VALU_DEP_2) | instskip(NEXT) | instid1(VALU_DEP_2)
	v_fma_f64 v[15:16], v[21:22], v[15:16], v[17:18]
	v_add_f64 v[3:4], v[3:4], v[10:11]
	s_delay_alu instid0(VALU_DEP_2)
	v_add_f64 v[1:2], v[1:2], v[15:16]
	s_and_not1_b32 exec_lo, exec_lo, s3
	s_cbranch_execnz .LBB46_53
; %bb.54:
	s_or_b32 exec_lo, exec_lo, s3
	v_mov_b32_e32 v7, 0
	ds_load_b128 v[7:10], v7 offset:160
	s_waitcnt lgkmcnt(0)
	v_mul_f64 v[11:12], v[1:2], v[9:10]
	v_mul_f64 v[15:16], v[3:4], v[9:10]
	s_delay_alu instid0(VALU_DEP_2) | instskip(NEXT) | instid1(VALU_DEP_2)
	v_fma_f64 v[9:10], v[3:4], v[7:8], -v[11:12]
	v_fma_f64 v[11:12], v[1:2], v[7:8], v[15:16]
	scratch_store_b128 off, v[9:12], off offset:160
.LBB46_55:
	s_or_b32 exec_lo, exec_lo, s2
	s_waitcnt_vscnt null, 0x0
	s_barrier
	buffer_gl0_inv
	scratch_load_b128 v[1:4], v176, off
	s_mov_b32 s2, exec_lo
	s_waitcnt vmcnt(0)
	ds_store_b128 v5, v[1:4]
	s_waitcnt lgkmcnt(0)
	s_barrier
	buffer_gl0_inv
	v_cmpx_gt_u32_e32 11, v140
	s_cbranch_execz .LBB46_59
; %bb.56:
	v_dual_mov_b32 v1, 0 :: v_dual_add_nc_u32 v8, 0x2f0, v13
	v_dual_mov_b32 v2, 0 :: v_dual_add_nc_u32 v7, -1, v140
	v_or_b32_e32 v9, 8, v14
	s_mov_b32 s3, 0
	s_delay_alu instid0(VALU_DEP_2)
	v_dual_mov_b32 v4, v2 :: v_dual_mov_b32 v3, v1
	.p2align	6
.LBB46_57:                              ; =>This Inner Loop Header: Depth=1
	scratch_load_b128 v[15:18], v9, off offset:-8
	ds_load_b128 v[19:22], v8
	v_add_nc_u32_e32 v7, 1, v7
	v_add_nc_u32_e32 v8, 16, v8
	;; [unrolled: 1-line block ×3, first 2 shown]
	s_delay_alu instid0(VALU_DEP_3) | instskip(SKIP_4) | instid1(VALU_DEP_2)
	v_cmp_lt_u32_e32 vcc_lo, 9, v7
	s_or_b32 s3, vcc_lo, s3
	s_waitcnt vmcnt(0) lgkmcnt(0)
	v_mul_f64 v[10:11], v[21:22], v[17:18]
	v_mul_f64 v[17:18], v[19:20], v[17:18]
	v_fma_f64 v[10:11], v[19:20], v[15:16], -v[10:11]
	s_delay_alu instid0(VALU_DEP_2) | instskip(NEXT) | instid1(VALU_DEP_2)
	v_fma_f64 v[15:16], v[21:22], v[15:16], v[17:18]
	v_add_f64 v[3:4], v[3:4], v[10:11]
	s_delay_alu instid0(VALU_DEP_2)
	v_add_f64 v[1:2], v[1:2], v[15:16]
	s_and_not1_b32 exec_lo, exec_lo, s3
	s_cbranch_execnz .LBB46_57
; %bb.58:
	s_or_b32 exec_lo, exec_lo, s3
	v_mov_b32_e32 v7, 0
	ds_load_b128 v[7:10], v7 offset:176
	s_waitcnt lgkmcnt(0)
	v_mul_f64 v[11:12], v[1:2], v[9:10]
	v_mul_f64 v[15:16], v[3:4], v[9:10]
	s_delay_alu instid0(VALU_DEP_2) | instskip(NEXT) | instid1(VALU_DEP_2)
	v_fma_f64 v[9:10], v[3:4], v[7:8], -v[11:12]
	v_fma_f64 v[11:12], v[1:2], v[7:8], v[15:16]
	scratch_store_b128 off, v[9:12], off offset:176
.LBB46_59:
	s_or_b32 exec_lo, exec_lo, s2
	s_waitcnt_vscnt null, 0x0
	s_barrier
	buffer_gl0_inv
	scratch_load_b128 v[1:4], v175, off
	s_mov_b32 s2, exec_lo
	s_waitcnt vmcnt(0)
	ds_store_b128 v5, v[1:4]
	s_waitcnt lgkmcnt(0)
	s_barrier
	buffer_gl0_inv
	v_cmpx_gt_u32_e32 12, v140
	s_cbranch_execz .LBB46_63
; %bb.60:
	v_dual_mov_b32 v1, 0 :: v_dual_add_nc_u32 v8, 0x2f0, v13
	v_dual_mov_b32 v2, 0 :: v_dual_add_nc_u32 v7, -1, v140
	v_or_b32_e32 v9, 8, v14
	s_mov_b32 s3, 0
	s_delay_alu instid0(VALU_DEP_2)
	v_dual_mov_b32 v4, v2 :: v_dual_mov_b32 v3, v1
	.p2align	6
.LBB46_61:                              ; =>This Inner Loop Header: Depth=1
	scratch_load_b128 v[15:18], v9, off offset:-8
	ds_load_b128 v[19:22], v8
	v_add_nc_u32_e32 v7, 1, v7
	v_add_nc_u32_e32 v8, 16, v8
	;; [unrolled: 1-line block ×3, first 2 shown]
	s_delay_alu instid0(VALU_DEP_3) | instskip(SKIP_4) | instid1(VALU_DEP_2)
	v_cmp_lt_u32_e32 vcc_lo, 10, v7
	s_or_b32 s3, vcc_lo, s3
	s_waitcnt vmcnt(0) lgkmcnt(0)
	v_mul_f64 v[10:11], v[21:22], v[17:18]
	v_mul_f64 v[17:18], v[19:20], v[17:18]
	v_fma_f64 v[10:11], v[19:20], v[15:16], -v[10:11]
	s_delay_alu instid0(VALU_DEP_2) | instskip(NEXT) | instid1(VALU_DEP_2)
	v_fma_f64 v[15:16], v[21:22], v[15:16], v[17:18]
	v_add_f64 v[3:4], v[3:4], v[10:11]
	s_delay_alu instid0(VALU_DEP_2)
	v_add_f64 v[1:2], v[1:2], v[15:16]
	s_and_not1_b32 exec_lo, exec_lo, s3
	s_cbranch_execnz .LBB46_61
; %bb.62:
	s_or_b32 exec_lo, exec_lo, s3
	v_mov_b32_e32 v7, 0
	ds_load_b128 v[7:10], v7 offset:192
	s_waitcnt lgkmcnt(0)
	v_mul_f64 v[11:12], v[1:2], v[9:10]
	v_mul_f64 v[15:16], v[3:4], v[9:10]
	s_delay_alu instid0(VALU_DEP_2) | instskip(NEXT) | instid1(VALU_DEP_2)
	v_fma_f64 v[9:10], v[3:4], v[7:8], -v[11:12]
	v_fma_f64 v[11:12], v[1:2], v[7:8], v[15:16]
	scratch_store_b128 off, v[9:12], off offset:192
.LBB46_63:
	s_or_b32 exec_lo, exec_lo, s2
	s_waitcnt_vscnt null, 0x0
	s_barrier
	buffer_gl0_inv
	scratch_load_b128 v[1:4], v174, off
	s_mov_b32 s2, exec_lo
	s_waitcnt vmcnt(0)
	ds_store_b128 v5, v[1:4]
	s_waitcnt lgkmcnt(0)
	s_barrier
	buffer_gl0_inv
	v_cmpx_gt_u32_e32 13, v140
	s_cbranch_execz .LBB46_67
; %bb.64:
	v_dual_mov_b32 v1, 0 :: v_dual_add_nc_u32 v8, 0x2f0, v13
	v_dual_mov_b32 v2, 0 :: v_dual_add_nc_u32 v7, -1, v140
	v_or_b32_e32 v9, 8, v14
	s_mov_b32 s3, 0
	s_delay_alu instid0(VALU_DEP_2)
	v_dual_mov_b32 v4, v2 :: v_dual_mov_b32 v3, v1
	.p2align	6
.LBB46_65:                              ; =>This Inner Loop Header: Depth=1
	scratch_load_b128 v[15:18], v9, off offset:-8
	ds_load_b128 v[19:22], v8
	v_add_nc_u32_e32 v7, 1, v7
	v_add_nc_u32_e32 v8, 16, v8
	;; [unrolled: 1-line block ×3, first 2 shown]
	s_delay_alu instid0(VALU_DEP_3) | instskip(SKIP_4) | instid1(VALU_DEP_2)
	v_cmp_lt_u32_e32 vcc_lo, 11, v7
	s_or_b32 s3, vcc_lo, s3
	s_waitcnt vmcnt(0) lgkmcnt(0)
	v_mul_f64 v[10:11], v[21:22], v[17:18]
	v_mul_f64 v[17:18], v[19:20], v[17:18]
	v_fma_f64 v[10:11], v[19:20], v[15:16], -v[10:11]
	s_delay_alu instid0(VALU_DEP_2) | instskip(NEXT) | instid1(VALU_DEP_2)
	v_fma_f64 v[15:16], v[21:22], v[15:16], v[17:18]
	v_add_f64 v[3:4], v[3:4], v[10:11]
	s_delay_alu instid0(VALU_DEP_2)
	v_add_f64 v[1:2], v[1:2], v[15:16]
	s_and_not1_b32 exec_lo, exec_lo, s3
	s_cbranch_execnz .LBB46_65
; %bb.66:
	s_or_b32 exec_lo, exec_lo, s3
	v_mov_b32_e32 v7, 0
	ds_load_b128 v[7:10], v7 offset:208
	s_waitcnt lgkmcnt(0)
	v_mul_f64 v[11:12], v[1:2], v[9:10]
	v_mul_f64 v[15:16], v[3:4], v[9:10]
	s_delay_alu instid0(VALU_DEP_2) | instskip(NEXT) | instid1(VALU_DEP_2)
	v_fma_f64 v[9:10], v[3:4], v[7:8], -v[11:12]
	v_fma_f64 v[11:12], v[1:2], v[7:8], v[15:16]
	scratch_store_b128 off, v[9:12], off offset:208
.LBB46_67:
	s_or_b32 exec_lo, exec_lo, s2
	s_waitcnt_vscnt null, 0x0
	s_barrier
	buffer_gl0_inv
	scratch_load_b128 v[1:4], v173, off
	s_mov_b32 s2, exec_lo
	s_waitcnt vmcnt(0)
	ds_store_b128 v5, v[1:4]
	s_waitcnt lgkmcnt(0)
	s_barrier
	buffer_gl0_inv
	v_cmpx_gt_u32_e32 14, v140
	s_cbranch_execz .LBB46_71
; %bb.68:
	v_dual_mov_b32 v1, 0 :: v_dual_add_nc_u32 v8, 0x2f0, v13
	v_dual_mov_b32 v2, 0 :: v_dual_add_nc_u32 v7, -1, v140
	v_or_b32_e32 v9, 8, v14
	s_mov_b32 s3, 0
	s_delay_alu instid0(VALU_DEP_2)
	v_dual_mov_b32 v4, v2 :: v_dual_mov_b32 v3, v1
	.p2align	6
.LBB46_69:                              ; =>This Inner Loop Header: Depth=1
	scratch_load_b128 v[15:18], v9, off offset:-8
	ds_load_b128 v[19:22], v8
	v_add_nc_u32_e32 v7, 1, v7
	v_add_nc_u32_e32 v8, 16, v8
	;; [unrolled: 1-line block ×3, first 2 shown]
	s_delay_alu instid0(VALU_DEP_3) | instskip(SKIP_4) | instid1(VALU_DEP_2)
	v_cmp_lt_u32_e32 vcc_lo, 12, v7
	s_or_b32 s3, vcc_lo, s3
	s_waitcnt vmcnt(0) lgkmcnt(0)
	v_mul_f64 v[10:11], v[21:22], v[17:18]
	v_mul_f64 v[17:18], v[19:20], v[17:18]
	v_fma_f64 v[10:11], v[19:20], v[15:16], -v[10:11]
	s_delay_alu instid0(VALU_DEP_2) | instskip(NEXT) | instid1(VALU_DEP_2)
	v_fma_f64 v[15:16], v[21:22], v[15:16], v[17:18]
	v_add_f64 v[3:4], v[3:4], v[10:11]
	s_delay_alu instid0(VALU_DEP_2)
	v_add_f64 v[1:2], v[1:2], v[15:16]
	s_and_not1_b32 exec_lo, exec_lo, s3
	s_cbranch_execnz .LBB46_69
; %bb.70:
	s_or_b32 exec_lo, exec_lo, s3
	v_mov_b32_e32 v7, 0
	ds_load_b128 v[7:10], v7 offset:224
	s_waitcnt lgkmcnt(0)
	v_mul_f64 v[11:12], v[1:2], v[9:10]
	v_mul_f64 v[15:16], v[3:4], v[9:10]
	s_delay_alu instid0(VALU_DEP_2) | instskip(NEXT) | instid1(VALU_DEP_2)
	v_fma_f64 v[9:10], v[3:4], v[7:8], -v[11:12]
	v_fma_f64 v[11:12], v[1:2], v[7:8], v[15:16]
	scratch_store_b128 off, v[9:12], off offset:224
.LBB46_71:
	s_or_b32 exec_lo, exec_lo, s2
	s_waitcnt_vscnt null, 0x0
	s_barrier
	buffer_gl0_inv
	scratch_load_b128 v[1:4], v172, off
	s_mov_b32 s2, exec_lo
	s_waitcnt vmcnt(0)
	ds_store_b128 v5, v[1:4]
	s_waitcnt lgkmcnt(0)
	s_barrier
	buffer_gl0_inv
	v_cmpx_gt_u32_e32 15, v140
	s_cbranch_execz .LBB46_75
; %bb.72:
	v_dual_mov_b32 v1, 0 :: v_dual_add_nc_u32 v8, 0x2f0, v13
	v_dual_mov_b32 v2, 0 :: v_dual_add_nc_u32 v7, -1, v140
	v_or_b32_e32 v9, 8, v14
	s_mov_b32 s3, 0
	s_delay_alu instid0(VALU_DEP_2)
	v_dual_mov_b32 v4, v2 :: v_dual_mov_b32 v3, v1
	.p2align	6
.LBB46_73:                              ; =>This Inner Loop Header: Depth=1
	scratch_load_b128 v[15:18], v9, off offset:-8
	ds_load_b128 v[19:22], v8
	v_add_nc_u32_e32 v7, 1, v7
	v_add_nc_u32_e32 v8, 16, v8
	;; [unrolled: 1-line block ×3, first 2 shown]
	s_delay_alu instid0(VALU_DEP_3) | instskip(SKIP_4) | instid1(VALU_DEP_2)
	v_cmp_lt_u32_e32 vcc_lo, 13, v7
	s_or_b32 s3, vcc_lo, s3
	s_waitcnt vmcnt(0) lgkmcnt(0)
	v_mul_f64 v[10:11], v[21:22], v[17:18]
	v_mul_f64 v[17:18], v[19:20], v[17:18]
	v_fma_f64 v[10:11], v[19:20], v[15:16], -v[10:11]
	s_delay_alu instid0(VALU_DEP_2) | instskip(NEXT) | instid1(VALU_DEP_2)
	v_fma_f64 v[15:16], v[21:22], v[15:16], v[17:18]
	v_add_f64 v[3:4], v[3:4], v[10:11]
	s_delay_alu instid0(VALU_DEP_2)
	v_add_f64 v[1:2], v[1:2], v[15:16]
	s_and_not1_b32 exec_lo, exec_lo, s3
	s_cbranch_execnz .LBB46_73
; %bb.74:
	s_or_b32 exec_lo, exec_lo, s3
	v_mov_b32_e32 v7, 0
	ds_load_b128 v[7:10], v7 offset:240
	s_waitcnt lgkmcnt(0)
	v_mul_f64 v[11:12], v[1:2], v[9:10]
	v_mul_f64 v[15:16], v[3:4], v[9:10]
	s_delay_alu instid0(VALU_DEP_2) | instskip(NEXT) | instid1(VALU_DEP_2)
	v_fma_f64 v[9:10], v[3:4], v[7:8], -v[11:12]
	v_fma_f64 v[11:12], v[1:2], v[7:8], v[15:16]
	scratch_store_b128 off, v[9:12], off offset:240
.LBB46_75:
	s_or_b32 exec_lo, exec_lo, s2
	s_waitcnt_vscnt null, 0x0
	s_barrier
	buffer_gl0_inv
	scratch_load_b128 v[1:4], v171, off
	s_mov_b32 s2, exec_lo
	s_waitcnt vmcnt(0)
	ds_store_b128 v5, v[1:4]
	s_waitcnt lgkmcnt(0)
	s_barrier
	buffer_gl0_inv
	v_cmpx_gt_u32_e32 16, v140
	s_cbranch_execz .LBB46_79
; %bb.76:
	v_dual_mov_b32 v1, 0 :: v_dual_add_nc_u32 v8, 0x2f0, v13
	v_dual_mov_b32 v2, 0 :: v_dual_add_nc_u32 v7, -1, v140
	v_or_b32_e32 v9, 8, v14
	s_mov_b32 s3, 0
	s_delay_alu instid0(VALU_DEP_2)
	v_dual_mov_b32 v4, v2 :: v_dual_mov_b32 v3, v1
	.p2align	6
.LBB46_77:                              ; =>This Inner Loop Header: Depth=1
	scratch_load_b128 v[15:18], v9, off offset:-8
	ds_load_b128 v[19:22], v8
	v_add_nc_u32_e32 v7, 1, v7
	v_add_nc_u32_e32 v8, 16, v8
	;; [unrolled: 1-line block ×3, first 2 shown]
	s_delay_alu instid0(VALU_DEP_3) | instskip(SKIP_4) | instid1(VALU_DEP_2)
	v_cmp_lt_u32_e32 vcc_lo, 14, v7
	s_or_b32 s3, vcc_lo, s3
	s_waitcnt vmcnt(0) lgkmcnt(0)
	v_mul_f64 v[10:11], v[21:22], v[17:18]
	v_mul_f64 v[17:18], v[19:20], v[17:18]
	v_fma_f64 v[10:11], v[19:20], v[15:16], -v[10:11]
	s_delay_alu instid0(VALU_DEP_2) | instskip(NEXT) | instid1(VALU_DEP_2)
	v_fma_f64 v[15:16], v[21:22], v[15:16], v[17:18]
	v_add_f64 v[3:4], v[3:4], v[10:11]
	s_delay_alu instid0(VALU_DEP_2)
	v_add_f64 v[1:2], v[1:2], v[15:16]
	s_and_not1_b32 exec_lo, exec_lo, s3
	s_cbranch_execnz .LBB46_77
; %bb.78:
	s_or_b32 exec_lo, exec_lo, s3
	v_mov_b32_e32 v7, 0
	ds_load_b128 v[7:10], v7 offset:256
	s_waitcnt lgkmcnt(0)
	v_mul_f64 v[11:12], v[1:2], v[9:10]
	v_mul_f64 v[15:16], v[3:4], v[9:10]
	s_delay_alu instid0(VALU_DEP_2) | instskip(NEXT) | instid1(VALU_DEP_2)
	v_fma_f64 v[9:10], v[3:4], v[7:8], -v[11:12]
	v_fma_f64 v[11:12], v[1:2], v[7:8], v[15:16]
	scratch_store_b128 off, v[9:12], off offset:256
.LBB46_79:
	s_or_b32 exec_lo, exec_lo, s2
	s_waitcnt_vscnt null, 0x0
	s_barrier
	buffer_gl0_inv
	scratch_load_b128 v[1:4], v170, off
	s_mov_b32 s2, exec_lo
	s_waitcnt vmcnt(0)
	ds_store_b128 v5, v[1:4]
	s_waitcnt lgkmcnt(0)
	s_barrier
	buffer_gl0_inv
	v_cmpx_gt_u32_e32 17, v140
	s_cbranch_execz .LBB46_83
; %bb.80:
	v_dual_mov_b32 v1, 0 :: v_dual_add_nc_u32 v8, 0x2f0, v13
	v_dual_mov_b32 v2, 0 :: v_dual_add_nc_u32 v7, -1, v140
	v_or_b32_e32 v9, 8, v14
	s_mov_b32 s3, 0
	s_delay_alu instid0(VALU_DEP_2)
	v_dual_mov_b32 v4, v2 :: v_dual_mov_b32 v3, v1
	.p2align	6
.LBB46_81:                              ; =>This Inner Loop Header: Depth=1
	scratch_load_b128 v[15:18], v9, off offset:-8
	ds_load_b128 v[19:22], v8
	v_add_nc_u32_e32 v7, 1, v7
	v_add_nc_u32_e32 v8, 16, v8
	;; [unrolled: 1-line block ×3, first 2 shown]
	s_delay_alu instid0(VALU_DEP_3) | instskip(SKIP_4) | instid1(VALU_DEP_2)
	v_cmp_lt_u32_e32 vcc_lo, 15, v7
	s_or_b32 s3, vcc_lo, s3
	s_waitcnt vmcnt(0) lgkmcnt(0)
	v_mul_f64 v[10:11], v[21:22], v[17:18]
	v_mul_f64 v[17:18], v[19:20], v[17:18]
	v_fma_f64 v[10:11], v[19:20], v[15:16], -v[10:11]
	s_delay_alu instid0(VALU_DEP_2) | instskip(NEXT) | instid1(VALU_DEP_2)
	v_fma_f64 v[15:16], v[21:22], v[15:16], v[17:18]
	v_add_f64 v[3:4], v[3:4], v[10:11]
	s_delay_alu instid0(VALU_DEP_2)
	v_add_f64 v[1:2], v[1:2], v[15:16]
	s_and_not1_b32 exec_lo, exec_lo, s3
	s_cbranch_execnz .LBB46_81
; %bb.82:
	s_or_b32 exec_lo, exec_lo, s3
	v_mov_b32_e32 v7, 0
	ds_load_b128 v[7:10], v7 offset:272
	s_waitcnt lgkmcnt(0)
	v_mul_f64 v[11:12], v[1:2], v[9:10]
	v_mul_f64 v[15:16], v[3:4], v[9:10]
	s_delay_alu instid0(VALU_DEP_2) | instskip(NEXT) | instid1(VALU_DEP_2)
	v_fma_f64 v[9:10], v[3:4], v[7:8], -v[11:12]
	v_fma_f64 v[11:12], v[1:2], v[7:8], v[15:16]
	scratch_store_b128 off, v[9:12], off offset:272
.LBB46_83:
	s_or_b32 exec_lo, exec_lo, s2
	s_waitcnt_vscnt null, 0x0
	s_barrier
	buffer_gl0_inv
	scratch_load_b128 v[1:4], v169, off
	s_mov_b32 s2, exec_lo
	s_waitcnt vmcnt(0)
	ds_store_b128 v5, v[1:4]
	s_waitcnt lgkmcnt(0)
	s_barrier
	buffer_gl0_inv
	v_cmpx_gt_u32_e32 18, v140
	s_cbranch_execz .LBB46_87
; %bb.84:
	v_dual_mov_b32 v1, 0 :: v_dual_add_nc_u32 v8, 0x2f0, v13
	v_dual_mov_b32 v2, 0 :: v_dual_add_nc_u32 v7, -1, v140
	v_or_b32_e32 v9, 8, v14
	s_mov_b32 s3, 0
	s_delay_alu instid0(VALU_DEP_2)
	v_dual_mov_b32 v4, v2 :: v_dual_mov_b32 v3, v1
	.p2align	6
.LBB46_85:                              ; =>This Inner Loop Header: Depth=1
	scratch_load_b128 v[15:18], v9, off offset:-8
	ds_load_b128 v[19:22], v8
	v_add_nc_u32_e32 v7, 1, v7
	v_add_nc_u32_e32 v8, 16, v8
	;; [unrolled: 1-line block ×3, first 2 shown]
	s_delay_alu instid0(VALU_DEP_3) | instskip(SKIP_4) | instid1(VALU_DEP_2)
	v_cmp_lt_u32_e32 vcc_lo, 16, v7
	s_or_b32 s3, vcc_lo, s3
	s_waitcnt vmcnt(0) lgkmcnt(0)
	v_mul_f64 v[10:11], v[21:22], v[17:18]
	v_mul_f64 v[17:18], v[19:20], v[17:18]
	v_fma_f64 v[10:11], v[19:20], v[15:16], -v[10:11]
	s_delay_alu instid0(VALU_DEP_2) | instskip(NEXT) | instid1(VALU_DEP_2)
	v_fma_f64 v[15:16], v[21:22], v[15:16], v[17:18]
	v_add_f64 v[3:4], v[3:4], v[10:11]
	s_delay_alu instid0(VALU_DEP_2)
	v_add_f64 v[1:2], v[1:2], v[15:16]
	s_and_not1_b32 exec_lo, exec_lo, s3
	s_cbranch_execnz .LBB46_85
; %bb.86:
	s_or_b32 exec_lo, exec_lo, s3
	v_mov_b32_e32 v7, 0
	ds_load_b128 v[7:10], v7 offset:288
	s_waitcnt lgkmcnt(0)
	v_mul_f64 v[11:12], v[1:2], v[9:10]
	v_mul_f64 v[15:16], v[3:4], v[9:10]
	s_delay_alu instid0(VALU_DEP_2) | instskip(NEXT) | instid1(VALU_DEP_2)
	v_fma_f64 v[9:10], v[3:4], v[7:8], -v[11:12]
	v_fma_f64 v[11:12], v[1:2], v[7:8], v[15:16]
	scratch_store_b128 off, v[9:12], off offset:288
.LBB46_87:
	s_or_b32 exec_lo, exec_lo, s2
	s_waitcnt_vscnt null, 0x0
	s_barrier
	buffer_gl0_inv
	scratch_load_b128 v[1:4], v168, off
	s_mov_b32 s2, exec_lo
	s_waitcnt vmcnt(0)
	ds_store_b128 v5, v[1:4]
	s_waitcnt lgkmcnt(0)
	s_barrier
	buffer_gl0_inv
	v_cmpx_gt_u32_e32 19, v140
	s_cbranch_execz .LBB46_91
; %bb.88:
	v_dual_mov_b32 v1, 0 :: v_dual_add_nc_u32 v8, 0x2f0, v13
	v_dual_mov_b32 v2, 0 :: v_dual_add_nc_u32 v7, -1, v140
	v_or_b32_e32 v9, 8, v14
	s_mov_b32 s3, 0
	s_delay_alu instid0(VALU_DEP_2)
	v_dual_mov_b32 v4, v2 :: v_dual_mov_b32 v3, v1
	.p2align	6
.LBB46_89:                              ; =>This Inner Loop Header: Depth=1
	scratch_load_b128 v[15:18], v9, off offset:-8
	ds_load_b128 v[19:22], v8
	v_add_nc_u32_e32 v7, 1, v7
	v_add_nc_u32_e32 v8, 16, v8
	;; [unrolled: 1-line block ×3, first 2 shown]
	s_delay_alu instid0(VALU_DEP_3) | instskip(SKIP_4) | instid1(VALU_DEP_2)
	v_cmp_lt_u32_e32 vcc_lo, 17, v7
	s_or_b32 s3, vcc_lo, s3
	s_waitcnt vmcnt(0) lgkmcnt(0)
	v_mul_f64 v[10:11], v[21:22], v[17:18]
	v_mul_f64 v[17:18], v[19:20], v[17:18]
	v_fma_f64 v[10:11], v[19:20], v[15:16], -v[10:11]
	s_delay_alu instid0(VALU_DEP_2) | instskip(NEXT) | instid1(VALU_DEP_2)
	v_fma_f64 v[15:16], v[21:22], v[15:16], v[17:18]
	v_add_f64 v[3:4], v[3:4], v[10:11]
	s_delay_alu instid0(VALU_DEP_2)
	v_add_f64 v[1:2], v[1:2], v[15:16]
	s_and_not1_b32 exec_lo, exec_lo, s3
	s_cbranch_execnz .LBB46_89
; %bb.90:
	s_or_b32 exec_lo, exec_lo, s3
	v_mov_b32_e32 v7, 0
	ds_load_b128 v[7:10], v7 offset:304
	s_waitcnt lgkmcnt(0)
	v_mul_f64 v[11:12], v[1:2], v[9:10]
	v_mul_f64 v[15:16], v[3:4], v[9:10]
	s_delay_alu instid0(VALU_DEP_2) | instskip(NEXT) | instid1(VALU_DEP_2)
	v_fma_f64 v[9:10], v[3:4], v[7:8], -v[11:12]
	v_fma_f64 v[11:12], v[1:2], v[7:8], v[15:16]
	scratch_store_b128 off, v[9:12], off offset:304
.LBB46_91:
	s_or_b32 exec_lo, exec_lo, s2
	s_waitcnt_vscnt null, 0x0
	s_barrier
	buffer_gl0_inv
	scratch_load_b128 v[1:4], v167, off
	s_mov_b32 s2, exec_lo
	s_waitcnt vmcnt(0)
	ds_store_b128 v5, v[1:4]
	s_waitcnt lgkmcnt(0)
	s_barrier
	buffer_gl0_inv
	v_cmpx_gt_u32_e32 20, v140
	s_cbranch_execz .LBB46_95
; %bb.92:
	v_dual_mov_b32 v1, 0 :: v_dual_add_nc_u32 v8, 0x2f0, v13
	v_dual_mov_b32 v2, 0 :: v_dual_add_nc_u32 v7, -1, v140
	v_or_b32_e32 v9, 8, v14
	s_mov_b32 s3, 0
	s_delay_alu instid0(VALU_DEP_2)
	v_dual_mov_b32 v4, v2 :: v_dual_mov_b32 v3, v1
	.p2align	6
.LBB46_93:                              ; =>This Inner Loop Header: Depth=1
	scratch_load_b128 v[15:18], v9, off offset:-8
	ds_load_b128 v[19:22], v8
	v_add_nc_u32_e32 v7, 1, v7
	v_add_nc_u32_e32 v8, 16, v8
	;; [unrolled: 1-line block ×3, first 2 shown]
	s_delay_alu instid0(VALU_DEP_3) | instskip(SKIP_4) | instid1(VALU_DEP_2)
	v_cmp_lt_u32_e32 vcc_lo, 18, v7
	s_or_b32 s3, vcc_lo, s3
	s_waitcnt vmcnt(0) lgkmcnt(0)
	v_mul_f64 v[10:11], v[21:22], v[17:18]
	v_mul_f64 v[17:18], v[19:20], v[17:18]
	v_fma_f64 v[10:11], v[19:20], v[15:16], -v[10:11]
	s_delay_alu instid0(VALU_DEP_2) | instskip(NEXT) | instid1(VALU_DEP_2)
	v_fma_f64 v[15:16], v[21:22], v[15:16], v[17:18]
	v_add_f64 v[3:4], v[3:4], v[10:11]
	s_delay_alu instid0(VALU_DEP_2)
	v_add_f64 v[1:2], v[1:2], v[15:16]
	s_and_not1_b32 exec_lo, exec_lo, s3
	s_cbranch_execnz .LBB46_93
; %bb.94:
	s_or_b32 exec_lo, exec_lo, s3
	v_mov_b32_e32 v7, 0
	ds_load_b128 v[7:10], v7 offset:320
	s_waitcnt lgkmcnt(0)
	v_mul_f64 v[11:12], v[1:2], v[9:10]
	v_mul_f64 v[15:16], v[3:4], v[9:10]
	s_delay_alu instid0(VALU_DEP_2) | instskip(NEXT) | instid1(VALU_DEP_2)
	v_fma_f64 v[9:10], v[3:4], v[7:8], -v[11:12]
	v_fma_f64 v[11:12], v[1:2], v[7:8], v[15:16]
	scratch_store_b128 off, v[9:12], off offset:320
.LBB46_95:
	s_or_b32 exec_lo, exec_lo, s2
	s_waitcnt_vscnt null, 0x0
	s_barrier
	buffer_gl0_inv
	scratch_load_b128 v[1:4], v166, off
	s_mov_b32 s2, exec_lo
	s_waitcnt vmcnt(0)
	ds_store_b128 v5, v[1:4]
	s_waitcnt lgkmcnt(0)
	s_barrier
	buffer_gl0_inv
	v_cmpx_gt_u32_e32 21, v140
	s_cbranch_execz .LBB46_99
; %bb.96:
	v_dual_mov_b32 v1, 0 :: v_dual_add_nc_u32 v8, 0x2f0, v13
	v_dual_mov_b32 v2, 0 :: v_dual_add_nc_u32 v7, -1, v140
	v_or_b32_e32 v9, 8, v14
	s_mov_b32 s3, 0
	s_delay_alu instid0(VALU_DEP_2)
	v_dual_mov_b32 v4, v2 :: v_dual_mov_b32 v3, v1
	.p2align	6
.LBB46_97:                              ; =>This Inner Loop Header: Depth=1
	scratch_load_b128 v[15:18], v9, off offset:-8
	ds_load_b128 v[19:22], v8
	v_add_nc_u32_e32 v7, 1, v7
	v_add_nc_u32_e32 v8, 16, v8
	;; [unrolled: 1-line block ×3, first 2 shown]
	s_delay_alu instid0(VALU_DEP_3) | instskip(SKIP_4) | instid1(VALU_DEP_2)
	v_cmp_lt_u32_e32 vcc_lo, 19, v7
	s_or_b32 s3, vcc_lo, s3
	s_waitcnt vmcnt(0) lgkmcnt(0)
	v_mul_f64 v[10:11], v[21:22], v[17:18]
	v_mul_f64 v[17:18], v[19:20], v[17:18]
	v_fma_f64 v[10:11], v[19:20], v[15:16], -v[10:11]
	s_delay_alu instid0(VALU_DEP_2) | instskip(NEXT) | instid1(VALU_DEP_2)
	v_fma_f64 v[15:16], v[21:22], v[15:16], v[17:18]
	v_add_f64 v[3:4], v[3:4], v[10:11]
	s_delay_alu instid0(VALU_DEP_2)
	v_add_f64 v[1:2], v[1:2], v[15:16]
	s_and_not1_b32 exec_lo, exec_lo, s3
	s_cbranch_execnz .LBB46_97
; %bb.98:
	s_or_b32 exec_lo, exec_lo, s3
	v_mov_b32_e32 v7, 0
	ds_load_b128 v[7:10], v7 offset:336
	s_waitcnt lgkmcnt(0)
	v_mul_f64 v[11:12], v[1:2], v[9:10]
	v_mul_f64 v[15:16], v[3:4], v[9:10]
	s_delay_alu instid0(VALU_DEP_2) | instskip(NEXT) | instid1(VALU_DEP_2)
	v_fma_f64 v[9:10], v[3:4], v[7:8], -v[11:12]
	v_fma_f64 v[11:12], v[1:2], v[7:8], v[15:16]
	scratch_store_b128 off, v[9:12], off offset:336
.LBB46_99:
	s_or_b32 exec_lo, exec_lo, s2
	s_waitcnt_vscnt null, 0x0
	s_barrier
	buffer_gl0_inv
	scratch_load_b128 v[1:4], v165, off
	s_mov_b32 s2, exec_lo
	s_waitcnt vmcnt(0)
	ds_store_b128 v5, v[1:4]
	s_waitcnt lgkmcnt(0)
	s_barrier
	buffer_gl0_inv
	v_cmpx_gt_u32_e32 22, v140
	s_cbranch_execz .LBB46_103
; %bb.100:
	v_dual_mov_b32 v1, 0 :: v_dual_add_nc_u32 v8, 0x2f0, v13
	v_dual_mov_b32 v2, 0 :: v_dual_add_nc_u32 v7, -1, v140
	v_or_b32_e32 v9, 8, v14
	s_mov_b32 s3, 0
	s_delay_alu instid0(VALU_DEP_2)
	v_dual_mov_b32 v4, v2 :: v_dual_mov_b32 v3, v1
	.p2align	6
.LBB46_101:                             ; =>This Inner Loop Header: Depth=1
	scratch_load_b128 v[15:18], v9, off offset:-8
	ds_load_b128 v[19:22], v8
	v_add_nc_u32_e32 v7, 1, v7
	v_add_nc_u32_e32 v8, 16, v8
	;; [unrolled: 1-line block ×3, first 2 shown]
	s_delay_alu instid0(VALU_DEP_3) | instskip(SKIP_4) | instid1(VALU_DEP_2)
	v_cmp_lt_u32_e32 vcc_lo, 20, v7
	s_or_b32 s3, vcc_lo, s3
	s_waitcnt vmcnt(0) lgkmcnt(0)
	v_mul_f64 v[10:11], v[21:22], v[17:18]
	v_mul_f64 v[17:18], v[19:20], v[17:18]
	v_fma_f64 v[10:11], v[19:20], v[15:16], -v[10:11]
	s_delay_alu instid0(VALU_DEP_2) | instskip(NEXT) | instid1(VALU_DEP_2)
	v_fma_f64 v[15:16], v[21:22], v[15:16], v[17:18]
	v_add_f64 v[3:4], v[3:4], v[10:11]
	s_delay_alu instid0(VALU_DEP_2)
	v_add_f64 v[1:2], v[1:2], v[15:16]
	s_and_not1_b32 exec_lo, exec_lo, s3
	s_cbranch_execnz .LBB46_101
; %bb.102:
	s_or_b32 exec_lo, exec_lo, s3
	v_mov_b32_e32 v7, 0
	ds_load_b128 v[7:10], v7 offset:352
	s_waitcnt lgkmcnt(0)
	v_mul_f64 v[11:12], v[1:2], v[9:10]
	v_mul_f64 v[15:16], v[3:4], v[9:10]
	s_delay_alu instid0(VALU_DEP_2) | instskip(NEXT) | instid1(VALU_DEP_2)
	v_fma_f64 v[9:10], v[3:4], v[7:8], -v[11:12]
	v_fma_f64 v[11:12], v[1:2], v[7:8], v[15:16]
	scratch_store_b128 off, v[9:12], off offset:352
.LBB46_103:
	s_or_b32 exec_lo, exec_lo, s2
	s_waitcnt_vscnt null, 0x0
	s_barrier
	buffer_gl0_inv
	scratch_load_b128 v[1:4], v163, off
	s_mov_b32 s2, exec_lo
	s_waitcnt vmcnt(0)
	ds_store_b128 v5, v[1:4]
	s_waitcnt lgkmcnt(0)
	s_barrier
	buffer_gl0_inv
	v_cmpx_gt_u32_e32 23, v140
	s_cbranch_execz .LBB46_107
; %bb.104:
	v_dual_mov_b32 v1, 0 :: v_dual_add_nc_u32 v8, 0x2f0, v13
	v_dual_mov_b32 v2, 0 :: v_dual_add_nc_u32 v7, -1, v140
	v_or_b32_e32 v9, 8, v14
	s_mov_b32 s3, 0
	s_delay_alu instid0(VALU_DEP_2)
	v_dual_mov_b32 v4, v2 :: v_dual_mov_b32 v3, v1
	.p2align	6
.LBB46_105:                             ; =>This Inner Loop Header: Depth=1
	scratch_load_b128 v[15:18], v9, off offset:-8
	ds_load_b128 v[19:22], v8
	v_add_nc_u32_e32 v7, 1, v7
	v_add_nc_u32_e32 v8, 16, v8
	;; [unrolled: 1-line block ×3, first 2 shown]
	s_delay_alu instid0(VALU_DEP_3) | instskip(SKIP_4) | instid1(VALU_DEP_2)
	v_cmp_lt_u32_e32 vcc_lo, 21, v7
	s_or_b32 s3, vcc_lo, s3
	s_waitcnt vmcnt(0) lgkmcnt(0)
	v_mul_f64 v[10:11], v[21:22], v[17:18]
	v_mul_f64 v[17:18], v[19:20], v[17:18]
	v_fma_f64 v[10:11], v[19:20], v[15:16], -v[10:11]
	s_delay_alu instid0(VALU_DEP_2) | instskip(NEXT) | instid1(VALU_DEP_2)
	v_fma_f64 v[15:16], v[21:22], v[15:16], v[17:18]
	v_add_f64 v[3:4], v[3:4], v[10:11]
	s_delay_alu instid0(VALU_DEP_2)
	v_add_f64 v[1:2], v[1:2], v[15:16]
	s_and_not1_b32 exec_lo, exec_lo, s3
	s_cbranch_execnz .LBB46_105
; %bb.106:
	s_or_b32 exec_lo, exec_lo, s3
	v_mov_b32_e32 v7, 0
	ds_load_b128 v[7:10], v7 offset:368
	s_waitcnt lgkmcnt(0)
	v_mul_f64 v[11:12], v[1:2], v[9:10]
	v_mul_f64 v[15:16], v[3:4], v[9:10]
	s_delay_alu instid0(VALU_DEP_2) | instskip(NEXT) | instid1(VALU_DEP_2)
	v_fma_f64 v[9:10], v[3:4], v[7:8], -v[11:12]
	v_fma_f64 v[11:12], v[1:2], v[7:8], v[15:16]
	scratch_store_b128 off, v[9:12], off offset:368
.LBB46_107:
	s_or_b32 exec_lo, exec_lo, s2
	s_waitcnt_vscnt null, 0x0
	s_barrier
	buffer_gl0_inv
	scratch_load_b128 v[1:4], v162, off
	s_mov_b32 s2, exec_lo
	s_waitcnt vmcnt(0)
	ds_store_b128 v5, v[1:4]
	s_waitcnt lgkmcnt(0)
	s_barrier
	buffer_gl0_inv
	v_cmpx_gt_u32_e32 24, v140
	s_cbranch_execz .LBB46_111
; %bb.108:
	v_dual_mov_b32 v1, 0 :: v_dual_add_nc_u32 v8, 0x2f0, v13
	v_dual_mov_b32 v2, 0 :: v_dual_add_nc_u32 v7, -1, v140
	v_or_b32_e32 v9, 8, v14
	s_mov_b32 s3, 0
	s_delay_alu instid0(VALU_DEP_2)
	v_dual_mov_b32 v4, v2 :: v_dual_mov_b32 v3, v1
	.p2align	6
.LBB46_109:                             ; =>This Inner Loop Header: Depth=1
	scratch_load_b128 v[15:18], v9, off offset:-8
	ds_load_b128 v[19:22], v8
	v_add_nc_u32_e32 v7, 1, v7
	v_add_nc_u32_e32 v8, 16, v8
	v_add_nc_u32_e32 v9, 16, v9
	s_delay_alu instid0(VALU_DEP_3) | instskip(SKIP_4) | instid1(VALU_DEP_2)
	v_cmp_lt_u32_e32 vcc_lo, 22, v7
	s_or_b32 s3, vcc_lo, s3
	s_waitcnt vmcnt(0) lgkmcnt(0)
	v_mul_f64 v[10:11], v[21:22], v[17:18]
	v_mul_f64 v[17:18], v[19:20], v[17:18]
	v_fma_f64 v[10:11], v[19:20], v[15:16], -v[10:11]
	s_delay_alu instid0(VALU_DEP_2) | instskip(NEXT) | instid1(VALU_DEP_2)
	v_fma_f64 v[15:16], v[21:22], v[15:16], v[17:18]
	v_add_f64 v[3:4], v[3:4], v[10:11]
	s_delay_alu instid0(VALU_DEP_2)
	v_add_f64 v[1:2], v[1:2], v[15:16]
	s_and_not1_b32 exec_lo, exec_lo, s3
	s_cbranch_execnz .LBB46_109
; %bb.110:
	s_or_b32 exec_lo, exec_lo, s3
	v_mov_b32_e32 v7, 0
	ds_load_b128 v[7:10], v7 offset:384
	s_waitcnt lgkmcnt(0)
	v_mul_f64 v[11:12], v[1:2], v[9:10]
	v_mul_f64 v[15:16], v[3:4], v[9:10]
	s_delay_alu instid0(VALU_DEP_2) | instskip(NEXT) | instid1(VALU_DEP_2)
	v_fma_f64 v[9:10], v[3:4], v[7:8], -v[11:12]
	v_fma_f64 v[11:12], v[1:2], v[7:8], v[15:16]
	scratch_store_b128 off, v[9:12], off offset:384
.LBB46_111:
	s_or_b32 exec_lo, exec_lo, s2
	s_waitcnt_vscnt null, 0x0
	s_barrier
	buffer_gl0_inv
	scratch_load_b128 v[1:4], v160, off
	s_mov_b32 s2, exec_lo
	s_waitcnt vmcnt(0)
	ds_store_b128 v5, v[1:4]
	s_waitcnt lgkmcnt(0)
	s_barrier
	buffer_gl0_inv
	v_cmpx_gt_u32_e32 25, v140
	s_cbranch_execz .LBB46_115
; %bb.112:
	v_dual_mov_b32 v1, 0 :: v_dual_add_nc_u32 v8, 0x2f0, v13
	v_dual_mov_b32 v2, 0 :: v_dual_add_nc_u32 v7, -1, v140
	v_or_b32_e32 v9, 8, v14
	s_mov_b32 s3, 0
	s_delay_alu instid0(VALU_DEP_2)
	v_dual_mov_b32 v4, v2 :: v_dual_mov_b32 v3, v1
	.p2align	6
.LBB46_113:                             ; =>This Inner Loop Header: Depth=1
	scratch_load_b128 v[15:18], v9, off offset:-8
	ds_load_b128 v[19:22], v8
	v_add_nc_u32_e32 v7, 1, v7
	v_add_nc_u32_e32 v8, 16, v8
	;; [unrolled: 1-line block ×3, first 2 shown]
	s_delay_alu instid0(VALU_DEP_3) | instskip(SKIP_4) | instid1(VALU_DEP_2)
	v_cmp_lt_u32_e32 vcc_lo, 23, v7
	s_or_b32 s3, vcc_lo, s3
	s_waitcnt vmcnt(0) lgkmcnt(0)
	v_mul_f64 v[10:11], v[21:22], v[17:18]
	v_mul_f64 v[17:18], v[19:20], v[17:18]
	v_fma_f64 v[10:11], v[19:20], v[15:16], -v[10:11]
	s_delay_alu instid0(VALU_DEP_2) | instskip(NEXT) | instid1(VALU_DEP_2)
	v_fma_f64 v[15:16], v[21:22], v[15:16], v[17:18]
	v_add_f64 v[3:4], v[3:4], v[10:11]
	s_delay_alu instid0(VALU_DEP_2)
	v_add_f64 v[1:2], v[1:2], v[15:16]
	s_and_not1_b32 exec_lo, exec_lo, s3
	s_cbranch_execnz .LBB46_113
; %bb.114:
	s_or_b32 exec_lo, exec_lo, s3
	v_mov_b32_e32 v7, 0
	ds_load_b128 v[7:10], v7 offset:400
	s_waitcnt lgkmcnt(0)
	v_mul_f64 v[11:12], v[1:2], v[9:10]
	v_mul_f64 v[15:16], v[3:4], v[9:10]
	s_delay_alu instid0(VALU_DEP_2) | instskip(NEXT) | instid1(VALU_DEP_2)
	v_fma_f64 v[9:10], v[3:4], v[7:8], -v[11:12]
	v_fma_f64 v[11:12], v[1:2], v[7:8], v[15:16]
	scratch_store_b128 off, v[9:12], off offset:400
.LBB46_115:
	s_or_b32 exec_lo, exec_lo, s2
	s_waitcnt_vscnt null, 0x0
	s_barrier
	buffer_gl0_inv
	scratch_load_b128 v[1:4], v158, off
	s_mov_b32 s2, exec_lo
	s_waitcnt vmcnt(0)
	ds_store_b128 v5, v[1:4]
	s_waitcnt lgkmcnt(0)
	s_barrier
	buffer_gl0_inv
	v_cmpx_gt_u32_e32 26, v140
	s_cbranch_execz .LBB46_119
; %bb.116:
	v_dual_mov_b32 v1, 0 :: v_dual_add_nc_u32 v8, 0x2f0, v13
	v_dual_mov_b32 v2, 0 :: v_dual_add_nc_u32 v7, -1, v140
	v_or_b32_e32 v9, 8, v14
	s_mov_b32 s3, 0
	s_delay_alu instid0(VALU_DEP_2)
	v_dual_mov_b32 v4, v2 :: v_dual_mov_b32 v3, v1
	.p2align	6
.LBB46_117:                             ; =>This Inner Loop Header: Depth=1
	scratch_load_b128 v[15:18], v9, off offset:-8
	ds_load_b128 v[19:22], v8
	v_add_nc_u32_e32 v7, 1, v7
	v_add_nc_u32_e32 v8, 16, v8
	v_add_nc_u32_e32 v9, 16, v9
	s_delay_alu instid0(VALU_DEP_3) | instskip(SKIP_4) | instid1(VALU_DEP_2)
	v_cmp_lt_u32_e32 vcc_lo, 24, v7
	s_or_b32 s3, vcc_lo, s3
	s_waitcnt vmcnt(0) lgkmcnt(0)
	v_mul_f64 v[10:11], v[21:22], v[17:18]
	v_mul_f64 v[17:18], v[19:20], v[17:18]
	v_fma_f64 v[10:11], v[19:20], v[15:16], -v[10:11]
	s_delay_alu instid0(VALU_DEP_2) | instskip(NEXT) | instid1(VALU_DEP_2)
	v_fma_f64 v[15:16], v[21:22], v[15:16], v[17:18]
	v_add_f64 v[3:4], v[3:4], v[10:11]
	s_delay_alu instid0(VALU_DEP_2)
	v_add_f64 v[1:2], v[1:2], v[15:16]
	s_and_not1_b32 exec_lo, exec_lo, s3
	s_cbranch_execnz .LBB46_117
; %bb.118:
	s_or_b32 exec_lo, exec_lo, s3
	v_mov_b32_e32 v7, 0
	ds_load_b128 v[7:10], v7 offset:416
	s_waitcnt lgkmcnt(0)
	v_mul_f64 v[11:12], v[1:2], v[9:10]
	v_mul_f64 v[15:16], v[3:4], v[9:10]
	s_delay_alu instid0(VALU_DEP_2) | instskip(NEXT) | instid1(VALU_DEP_2)
	v_fma_f64 v[9:10], v[3:4], v[7:8], -v[11:12]
	v_fma_f64 v[11:12], v[1:2], v[7:8], v[15:16]
	scratch_store_b128 off, v[9:12], off offset:416
.LBB46_119:
	s_or_b32 exec_lo, exec_lo, s2
	s_waitcnt_vscnt null, 0x0
	s_barrier
	buffer_gl0_inv
	scratch_load_b128 v[1:4], v156, off
	s_mov_b32 s2, exec_lo
	s_waitcnt vmcnt(0)
	ds_store_b128 v5, v[1:4]
	s_waitcnt lgkmcnt(0)
	s_barrier
	buffer_gl0_inv
	v_cmpx_gt_u32_e32 27, v140
	s_cbranch_execz .LBB46_123
; %bb.120:
	v_dual_mov_b32 v1, 0 :: v_dual_add_nc_u32 v8, 0x2f0, v13
	v_dual_mov_b32 v2, 0 :: v_dual_add_nc_u32 v7, -1, v140
	v_or_b32_e32 v9, 8, v14
	s_mov_b32 s3, 0
	s_delay_alu instid0(VALU_DEP_2)
	v_dual_mov_b32 v4, v2 :: v_dual_mov_b32 v3, v1
	.p2align	6
.LBB46_121:                             ; =>This Inner Loop Header: Depth=1
	scratch_load_b128 v[15:18], v9, off offset:-8
	ds_load_b128 v[19:22], v8
	v_add_nc_u32_e32 v7, 1, v7
	v_add_nc_u32_e32 v8, 16, v8
	;; [unrolled: 1-line block ×3, first 2 shown]
	s_delay_alu instid0(VALU_DEP_3) | instskip(SKIP_4) | instid1(VALU_DEP_2)
	v_cmp_lt_u32_e32 vcc_lo, 25, v7
	s_or_b32 s3, vcc_lo, s3
	s_waitcnt vmcnt(0) lgkmcnt(0)
	v_mul_f64 v[10:11], v[21:22], v[17:18]
	v_mul_f64 v[17:18], v[19:20], v[17:18]
	v_fma_f64 v[10:11], v[19:20], v[15:16], -v[10:11]
	s_delay_alu instid0(VALU_DEP_2) | instskip(NEXT) | instid1(VALU_DEP_2)
	v_fma_f64 v[15:16], v[21:22], v[15:16], v[17:18]
	v_add_f64 v[3:4], v[3:4], v[10:11]
	s_delay_alu instid0(VALU_DEP_2)
	v_add_f64 v[1:2], v[1:2], v[15:16]
	s_and_not1_b32 exec_lo, exec_lo, s3
	s_cbranch_execnz .LBB46_121
; %bb.122:
	s_or_b32 exec_lo, exec_lo, s3
	v_mov_b32_e32 v7, 0
	ds_load_b128 v[7:10], v7 offset:432
	s_waitcnt lgkmcnt(0)
	v_mul_f64 v[11:12], v[1:2], v[9:10]
	v_mul_f64 v[15:16], v[3:4], v[9:10]
	s_delay_alu instid0(VALU_DEP_2) | instskip(NEXT) | instid1(VALU_DEP_2)
	v_fma_f64 v[9:10], v[3:4], v[7:8], -v[11:12]
	v_fma_f64 v[11:12], v[1:2], v[7:8], v[15:16]
	scratch_store_b128 off, v[9:12], off offset:432
.LBB46_123:
	s_or_b32 exec_lo, exec_lo, s2
	s_waitcnt_vscnt null, 0x0
	s_barrier
	buffer_gl0_inv
	scratch_load_b128 v[1:4], v154, off
	s_mov_b32 s2, exec_lo
	s_waitcnt vmcnt(0)
	ds_store_b128 v5, v[1:4]
	s_waitcnt lgkmcnt(0)
	s_barrier
	buffer_gl0_inv
	v_cmpx_gt_u32_e32 28, v140
	s_cbranch_execz .LBB46_127
; %bb.124:
	v_dual_mov_b32 v1, 0 :: v_dual_add_nc_u32 v8, 0x2f0, v13
	v_dual_mov_b32 v2, 0 :: v_dual_add_nc_u32 v7, -1, v140
	v_or_b32_e32 v9, 8, v14
	s_mov_b32 s3, 0
	s_delay_alu instid0(VALU_DEP_2)
	v_dual_mov_b32 v4, v2 :: v_dual_mov_b32 v3, v1
	.p2align	6
.LBB46_125:                             ; =>This Inner Loop Header: Depth=1
	scratch_load_b128 v[15:18], v9, off offset:-8
	ds_load_b128 v[19:22], v8
	v_add_nc_u32_e32 v7, 1, v7
	v_add_nc_u32_e32 v8, 16, v8
	;; [unrolled: 1-line block ×3, first 2 shown]
	s_delay_alu instid0(VALU_DEP_3) | instskip(SKIP_4) | instid1(VALU_DEP_2)
	v_cmp_lt_u32_e32 vcc_lo, 26, v7
	s_or_b32 s3, vcc_lo, s3
	s_waitcnt vmcnt(0) lgkmcnt(0)
	v_mul_f64 v[10:11], v[21:22], v[17:18]
	v_mul_f64 v[17:18], v[19:20], v[17:18]
	v_fma_f64 v[10:11], v[19:20], v[15:16], -v[10:11]
	s_delay_alu instid0(VALU_DEP_2) | instskip(NEXT) | instid1(VALU_DEP_2)
	v_fma_f64 v[15:16], v[21:22], v[15:16], v[17:18]
	v_add_f64 v[3:4], v[3:4], v[10:11]
	s_delay_alu instid0(VALU_DEP_2)
	v_add_f64 v[1:2], v[1:2], v[15:16]
	s_and_not1_b32 exec_lo, exec_lo, s3
	s_cbranch_execnz .LBB46_125
; %bb.126:
	s_or_b32 exec_lo, exec_lo, s3
	v_mov_b32_e32 v7, 0
	ds_load_b128 v[7:10], v7 offset:448
	s_waitcnt lgkmcnt(0)
	v_mul_f64 v[11:12], v[1:2], v[9:10]
	v_mul_f64 v[15:16], v[3:4], v[9:10]
	s_delay_alu instid0(VALU_DEP_2) | instskip(NEXT) | instid1(VALU_DEP_2)
	v_fma_f64 v[9:10], v[3:4], v[7:8], -v[11:12]
	v_fma_f64 v[11:12], v[1:2], v[7:8], v[15:16]
	scratch_store_b128 off, v[9:12], off offset:448
.LBB46_127:
	s_or_b32 exec_lo, exec_lo, s2
	s_waitcnt_vscnt null, 0x0
	s_barrier
	buffer_gl0_inv
	scratch_load_b128 v[1:4], v153, off
	s_mov_b32 s2, exec_lo
	s_waitcnt vmcnt(0)
	ds_store_b128 v5, v[1:4]
	s_waitcnt lgkmcnt(0)
	s_barrier
	buffer_gl0_inv
	v_cmpx_gt_u32_e32 29, v140
	s_cbranch_execz .LBB46_131
; %bb.128:
	v_dual_mov_b32 v1, 0 :: v_dual_add_nc_u32 v8, 0x2f0, v13
	v_dual_mov_b32 v2, 0 :: v_dual_add_nc_u32 v7, -1, v140
	v_or_b32_e32 v9, 8, v14
	s_mov_b32 s3, 0
	s_delay_alu instid0(VALU_DEP_2)
	v_dual_mov_b32 v4, v2 :: v_dual_mov_b32 v3, v1
	.p2align	6
.LBB46_129:                             ; =>This Inner Loop Header: Depth=1
	scratch_load_b128 v[15:18], v9, off offset:-8
	ds_load_b128 v[19:22], v8
	v_add_nc_u32_e32 v7, 1, v7
	v_add_nc_u32_e32 v8, 16, v8
	;; [unrolled: 1-line block ×3, first 2 shown]
	s_delay_alu instid0(VALU_DEP_3) | instskip(SKIP_4) | instid1(VALU_DEP_2)
	v_cmp_lt_u32_e32 vcc_lo, 27, v7
	s_or_b32 s3, vcc_lo, s3
	s_waitcnt vmcnt(0) lgkmcnt(0)
	v_mul_f64 v[10:11], v[21:22], v[17:18]
	v_mul_f64 v[17:18], v[19:20], v[17:18]
	v_fma_f64 v[10:11], v[19:20], v[15:16], -v[10:11]
	s_delay_alu instid0(VALU_DEP_2) | instskip(NEXT) | instid1(VALU_DEP_2)
	v_fma_f64 v[15:16], v[21:22], v[15:16], v[17:18]
	v_add_f64 v[3:4], v[3:4], v[10:11]
	s_delay_alu instid0(VALU_DEP_2)
	v_add_f64 v[1:2], v[1:2], v[15:16]
	s_and_not1_b32 exec_lo, exec_lo, s3
	s_cbranch_execnz .LBB46_129
; %bb.130:
	s_or_b32 exec_lo, exec_lo, s3
	v_mov_b32_e32 v7, 0
	ds_load_b128 v[7:10], v7 offset:464
	s_waitcnt lgkmcnt(0)
	v_mul_f64 v[11:12], v[1:2], v[9:10]
	v_mul_f64 v[15:16], v[3:4], v[9:10]
	s_delay_alu instid0(VALU_DEP_2) | instskip(NEXT) | instid1(VALU_DEP_2)
	v_fma_f64 v[9:10], v[3:4], v[7:8], -v[11:12]
	v_fma_f64 v[11:12], v[1:2], v[7:8], v[15:16]
	scratch_store_b128 off, v[9:12], off offset:464
.LBB46_131:
	s_or_b32 exec_lo, exec_lo, s2
	s_waitcnt_vscnt null, 0x0
	s_barrier
	buffer_gl0_inv
	scratch_load_b128 v[1:4], v151, off
	s_mov_b32 s2, exec_lo
	s_waitcnt vmcnt(0)
	ds_store_b128 v5, v[1:4]
	s_waitcnt lgkmcnt(0)
	s_barrier
	buffer_gl0_inv
	v_cmpx_gt_u32_e32 30, v140
	s_cbranch_execz .LBB46_135
; %bb.132:
	v_dual_mov_b32 v1, 0 :: v_dual_add_nc_u32 v8, 0x2f0, v13
	v_dual_mov_b32 v2, 0 :: v_dual_add_nc_u32 v7, -1, v140
	v_or_b32_e32 v9, 8, v14
	s_mov_b32 s3, 0
	s_delay_alu instid0(VALU_DEP_2)
	v_dual_mov_b32 v4, v2 :: v_dual_mov_b32 v3, v1
	.p2align	6
.LBB46_133:                             ; =>This Inner Loop Header: Depth=1
	scratch_load_b128 v[15:18], v9, off offset:-8
	ds_load_b128 v[19:22], v8
	v_add_nc_u32_e32 v7, 1, v7
	v_add_nc_u32_e32 v8, 16, v8
	;; [unrolled: 1-line block ×3, first 2 shown]
	s_delay_alu instid0(VALU_DEP_3) | instskip(SKIP_4) | instid1(VALU_DEP_2)
	v_cmp_lt_u32_e32 vcc_lo, 28, v7
	s_or_b32 s3, vcc_lo, s3
	s_waitcnt vmcnt(0) lgkmcnt(0)
	v_mul_f64 v[10:11], v[21:22], v[17:18]
	v_mul_f64 v[17:18], v[19:20], v[17:18]
	v_fma_f64 v[10:11], v[19:20], v[15:16], -v[10:11]
	s_delay_alu instid0(VALU_DEP_2) | instskip(NEXT) | instid1(VALU_DEP_2)
	v_fma_f64 v[15:16], v[21:22], v[15:16], v[17:18]
	v_add_f64 v[3:4], v[3:4], v[10:11]
	s_delay_alu instid0(VALU_DEP_2)
	v_add_f64 v[1:2], v[1:2], v[15:16]
	s_and_not1_b32 exec_lo, exec_lo, s3
	s_cbranch_execnz .LBB46_133
; %bb.134:
	s_or_b32 exec_lo, exec_lo, s3
	v_mov_b32_e32 v7, 0
	ds_load_b128 v[7:10], v7 offset:480
	s_waitcnt lgkmcnt(0)
	v_mul_f64 v[11:12], v[1:2], v[9:10]
	v_mul_f64 v[15:16], v[3:4], v[9:10]
	s_delay_alu instid0(VALU_DEP_2) | instskip(NEXT) | instid1(VALU_DEP_2)
	v_fma_f64 v[9:10], v[3:4], v[7:8], -v[11:12]
	v_fma_f64 v[11:12], v[1:2], v[7:8], v[15:16]
	scratch_store_b128 off, v[9:12], off offset:480
.LBB46_135:
	s_or_b32 exec_lo, exec_lo, s2
	s_waitcnt_vscnt null, 0x0
	s_barrier
	buffer_gl0_inv
	scratch_load_b128 v[1:4], v149, off
	s_mov_b32 s2, exec_lo
	s_waitcnt vmcnt(0)
	ds_store_b128 v5, v[1:4]
	s_waitcnt lgkmcnt(0)
	s_barrier
	buffer_gl0_inv
	v_cmpx_gt_u32_e32 31, v140
	s_cbranch_execz .LBB46_139
; %bb.136:
	v_dual_mov_b32 v1, 0 :: v_dual_add_nc_u32 v8, 0x2f0, v13
	v_dual_mov_b32 v2, 0 :: v_dual_add_nc_u32 v7, -1, v140
	v_or_b32_e32 v9, 8, v14
	s_mov_b32 s3, 0
	s_delay_alu instid0(VALU_DEP_2)
	v_dual_mov_b32 v4, v2 :: v_dual_mov_b32 v3, v1
	.p2align	6
.LBB46_137:                             ; =>This Inner Loop Header: Depth=1
	scratch_load_b128 v[15:18], v9, off offset:-8
	ds_load_b128 v[19:22], v8
	v_add_nc_u32_e32 v7, 1, v7
	v_add_nc_u32_e32 v8, 16, v8
	;; [unrolled: 1-line block ×3, first 2 shown]
	s_delay_alu instid0(VALU_DEP_3) | instskip(SKIP_4) | instid1(VALU_DEP_2)
	v_cmp_lt_u32_e32 vcc_lo, 29, v7
	s_or_b32 s3, vcc_lo, s3
	s_waitcnt vmcnt(0) lgkmcnt(0)
	v_mul_f64 v[10:11], v[21:22], v[17:18]
	v_mul_f64 v[17:18], v[19:20], v[17:18]
	v_fma_f64 v[10:11], v[19:20], v[15:16], -v[10:11]
	s_delay_alu instid0(VALU_DEP_2) | instskip(NEXT) | instid1(VALU_DEP_2)
	v_fma_f64 v[15:16], v[21:22], v[15:16], v[17:18]
	v_add_f64 v[3:4], v[3:4], v[10:11]
	s_delay_alu instid0(VALU_DEP_2)
	v_add_f64 v[1:2], v[1:2], v[15:16]
	s_and_not1_b32 exec_lo, exec_lo, s3
	s_cbranch_execnz .LBB46_137
; %bb.138:
	s_or_b32 exec_lo, exec_lo, s3
	v_mov_b32_e32 v7, 0
	ds_load_b128 v[7:10], v7 offset:496
	s_waitcnt lgkmcnt(0)
	v_mul_f64 v[11:12], v[1:2], v[9:10]
	v_mul_f64 v[15:16], v[3:4], v[9:10]
	s_delay_alu instid0(VALU_DEP_2) | instskip(NEXT) | instid1(VALU_DEP_2)
	v_fma_f64 v[9:10], v[3:4], v[7:8], -v[11:12]
	v_fma_f64 v[11:12], v[1:2], v[7:8], v[15:16]
	scratch_store_b128 off, v[9:12], off offset:496
.LBB46_139:
	s_or_b32 exec_lo, exec_lo, s2
	s_waitcnt_vscnt null, 0x0
	s_barrier
	buffer_gl0_inv
	scratch_load_b128 v[1:4], v147, off
	s_mov_b32 s2, exec_lo
	s_waitcnt vmcnt(0)
	ds_store_b128 v5, v[1:4]
	s_waitcnt lgkmcnt(0)
	s_barrier
	buffer_gl0_inv
	v_cmpx_gt_u32_e32 32, v140
	s_cbranch_execz .LBB46_143
; %bb.140:
	v_dual_mov_b32 v1, 0 :: v_dual_add_nc_u32 v8, 0x2f0, v13
	v_dual_mov_b32 v2, 0 :: v_dual_add_nc_u32 v7, -1, v140
	v_or_b32_e32 v9, 8, v14
	s_mov_b32 s3, 0
	s_delay_alu instid0(VALU_DEP_2)
	v_dual_mov_b32 v4, v2 :: v_dual_mov_b32 v3, v1
	.p2align	6
.LBB46_141:                             ; =>This Inner Loop Header: Depth=1
	scratch_load_b128 v[15:18], v9, off offset:-8
	ds_load_b128 v[19:22], v8
	v_add_nc_u32_e32 v7, 1, v7
	v_add_nc_u32_e32 v8, 16, v8
	;; [unrolled: 1-line block ×3, first 2 shown]
	s_delay_alu instid0(VALU_DEP_3) | instskip(SKIP_4) | instid1(VALU_DEP_2)
	v_cmp_lt_u32_e32 vcc_lo, 30, v7
	s_or_b32 s3, vcc_lo, s3
	s_waitcnt vmcnt(0) lgkmcnt(0)
	v_mul_f64 v[10:11], v[21:22], v[17:18]
	v_mul_f64 v[17:18], v[19:20], v[17:18]
	v_fma_f64 v[10:11], v[19:20], v[15:16], -v[10:11]
	s_delay_alu instid0(VALU_DEP_2) | instskip(NEXT) | instid1(VALU_DEP_2)
	v_fma_f64 v[15:16], v[21:22], v[15:16], v[17:18]
	v_add_f64 v[3:4], v[3:4], v[10:11]
	s_delay_alu instid0(VALU_DEP_2)
	v_add_f64 v[1:2], v[1:2], v[15:16]
	s_and_not1_b32 exec_lo, exec_lo, s3
	s_cbranch_execnz .LBB46_141
; %bb.142:
	s_or_b32 exec_lo, exec_lo, s3
	v_mov_b32_e32 v7, 0
	ds_load_b128 v[7:10], v7 offset:512
	s_waitcnt lgkmcnt(0)
	v_mul_f64 v[11:12], v[1:2], v[9:10]
	v_mul_f64 v[15:16], v[3:4], v[9:10]
	s_delay_alu instid0(VALU_DEP_2) | instskip(NEXT) | instid1(VALU_DEP_2)
	v_fma_f64 v[9:10], v[3:4], v[7:8], -v[11:12]
	v_fma_f64 v[11:12], v[1:2], v[7:8], v[15:16]
	scratch_store_b128 off, v[9:12], off offset:512
.LBB46_143:
	s_or_b32 exec_lo, exec_lo, s2
	s_waitcnt_vscnt null, 0x0
	s_barrier
	buffer_gl0_inv
	scratch_load_b128 v[1:4], v145, off
	s_mov_b32 s2, exec_lo
	s_waitcnt vmcnt(0)
	ds_store_b128 v5, v[1:4]
	s_waitcnt lgkmcnt(0)
	s_barrier
	buffer_gl0_inv
	v_cmpx_gt_u32_e32 33, v140
	s_cbranch_execz .LBB46_147
; %bb.144:
	v_dual_mov_b32 v1, 0 :: v_dual_add_nc_u32 v8, 0x2f0, v13
	v_dual_mov_b32 v2, 0 :: v_dual_add_nc_u32 v7, -1, v140
	v_or_b32_e32 v9, 8, v14
	s_mov_b32 s3, 0
	s_delay_alu instid0(VALU_DEP_2)
	v_dual_mov_b32 v4, v2 :: v_dual_mov_b32 v3, v1
	.p2align	6
.LBB46_145:                             ; =>This Inner Loop Header: Depth=1
	scratch_load_b128 v[15:18], v9, off offset:-8
	ds_load_b128 v[19:22], v8
	v_add_nc_u32_e32 v7, 1, v7
	v_add_nc_u32_e32 v8, 16, v8
	;; [unrolled: 1-line block ×3, first 2 shown]
	s_delay_alu instid0(VALU_DEP_3) | instskip(SKIP_4) | instid1(VALU_DEP_2)
	v_cmp_lt_u32_e32 vcc_lo, 31, v7
	s_or_b32 s3, vcc_lo, s3
	s_waitcnt vmcnt(0) lgkmcnt(0)
	v_mul_f64 v[10:11], v[21:22], v[17:18]
	v_mul_f64 v[17:18], v[19:20], v[17:18]
	v_fma_f64 v[10:11], v[19:20], v[15:16], -v[10:11]
	s_delay_alu instid0(VALU_DEP_2) | instskip(NEXT) | instid1(VALU_DEP_2)
	v_fma_f64 v[15:16], v[21:22], v[15:16], v[17:18]
	v_add_f64 v[3:4], v[3:4], v[10:11]
	s_delay_alu instid0(VALU_DEP_2)
	v_add_f64 v[1:2], v[1:2], v[15:16]
	s_and_not1_b32 exec_lo, exec_lo, s3
	s_cbranch_execnz .LBB46_145
; %bb.146:
	s_or_b32 exec_lo, exec_lo, s3
	v_mov_b32_e32 v7, 0
	ds_load_b128 v[7:10], v7 offset:528
	s_waitcnt lgkmcnt(0)
	v_mul_f64 v[11:12], v[1:2], v[9:10]
	v_mul_f64 v[15:16], v[3:4], v[9:10]
	s_delay_alu instid0(VALU_DEP_2) | instskip(NEXT) | instid1(VALU_DEP_2)
	v_fma_f64 v[9:10], v[3:4], v[7:8], -v[11:12]
	v_fma_f64 v[11:12], v[1:2], v[7:8], v[15:16]
	scratch_store_b128 off, v[9:12], off offset:528
.LBB46_147:
	s_or_b32 exec_lo, exec_lo, s2
	s_waitcnt_vscnt null, 0x0
	s_barrier
	buffer_gl0_inv
	scratch_load_b128 v[1:4], v144, off
	s_mov_b32 s2, exec_lo
	s_waitcnt vmcnt(0)
	ds_store_b128 v5, v[1:4]
	s_waitcnt lgkmcnt(0)
	s_barrier
	buffer_gl0_inv
	v_cmpx_gt_u32_e32 34, v140
	s_cbranch_execz .LBB46_151
; %bb.148:
	v_dual_mov_b32 v1, 0 :: v_dual_add_nc_u32 v8, 0x2f0, v13
	v_dual_mov_b32 v2, 0 :: v_dual_add_nc_u32 v7, -1, v140
	v_or_b32_e32 v9, 8, v14
	s_mov_b32 s3, 0
	s_delay_alu instid0(VALU_DEP_2)
	v_dual_mov_b32 v4, v2 :: v_dual_mov_b32 v3, v1
	.p2align	6
.LBB46_149:                             ; =>This Inner Loop Header: Depth=1
	scratch_load_b128 v[15:18], v9, off offset:-8
	ds_load_b128 v[19:22], v8
	v_add_nc_u32_e32 v7, 1, v7
	v_add_nc_u32_e32 v8, 16, v8
	;; [unrolled: 1-line block ×3, first 2 shown]
	s_delay_alu instid0(VALU_DEP_3) | instskip(SKIP_4) | instid1(VALU_DEP_2)
	v_cmp_lt_u32_e32 vcc_lo, 32, v7
	s_or_b32 s3, vcc_lo, s3
	s_waitcnt vmcnt(0) lgkmcnt(0)
	v_mul_f64 v[10:11], v[21:22], v[17:18]
	v_mul_f64 v[17:18], v[19:20], v[17:18]
	v_fma_f64 v[10:11], v[19:20], v[15:16], -v[10:11]
	s_delay_alu instid0(VALU_DEP_2) | instskip(NEXT) | instid1(VALU_DEP_2)
	v_fma_f64 v[15:16], v[21:22], v[15:16], v[17:18]
	v_add_f64 v[3:4], v[3:4], v[10:11]
	s_delay_alu instid0(VALU_DEP_2)
	v_add_f64 v[1:2], v[1:2], v[15:16]
	s_and_not1_b32 exec_lo, exec_lo, s3
	s_cbranch_execnz .LBB46_149
; %bb.150:
	s_or_b32 exec_lo, exec_lo, s3
	v_mov_b32_e32 v7, 0
	ds_load_b128 v[7:10], v7 offset:544
	s_waitcnt lgkmcnt(0)
	v_mul_f64 v[11:12], v[1:2], v[9:10]
	v_mul_f64 v[15:16], v[3:4], v[9:10]
	s_delay_alu instid0(VALU_DEP_2) | instskip(NEXT) | instid1(VALU_DEP_2)
	v_fma_f64 v[9:10], v[3:4], v[7:8], -v[11:12]
	v_fma_f64 v[11:12], v[1:2], v[7:8], v[15:16]
	scratch_store_b128 off, v[9:12], off offset:544
.LBB46_151:
	s_or_b32 exec_lo, exec_lo, s2
	s_waitcnt_vscnt null, 0x0
	s_barrier
	buffer_gl0_inv
	scratch_load_b128 v[1:4], v141, off
	s_mov_b32 s2, exec_lo
	s_waitcnt vmcnt(0)
	ds_store_b128 v5, v[1:4]
	s_waitcnt lgkmcnt(0)
	s_barrier
	buffer_gl0_inv
	v_cmpx_gt_u32_e32 35, v140
	s_cbranch_execz .LBB46_155
; %bb.152:
	v_dual_mov_b32 v1, 0 :: v_dual_add_nc_u32 v8, 0x2f0, v13
	v_dual_mov_b32 v2, 0 :: v_dual_add_nc_u32 v7, -1, v140
	v_or_b32_e32 v9, 8, v14
	s_mov_b32 s3, 0
	s_delay_alu instid0(VALU_DEP_2)
	v_dual_mov_b32 v4, v2 :: v_dual_mov_b32 v3, v1
	.p2align	6
.LBB46_153:                             ; =>This Inner Loop Header: Depth=1
	scratch_load_b128 v[15:18], v9, off offset:-8
	ds_load_b128 v[19:22], v8
	v_add_nc_u32_e32 v7, 1, v7
	v_add_nc_u32_e32 v8, 16, v8
	;; [unrolled: 1-line block ×3, first 2 shown]
	s_delay_alu instid0(VALU_DEP_3) | instskip(SKIP_4) | instid1(VALU_DEP_2)
	v_cmp_lt_u32_e32 vcc_lo, 33, v7
	s_or_b32 s3, vcc_lo, s3
	s_waitcnt vmcnt(0) lgkmcnt(0)
	v_mul_f64 v[10:11], v[21:22], v[17:18]
	v_mul_f64 v[17:18], v[19:20], v[17:18]
	v_fma_f64 v[10:11], v[19:20], v[15:16], -v[10:11]
	s_delay_alu instid0(VALU_DEP_2) | instskip(NEXT) | instid1(VALU_DEP_2)
	v_fma_f64 v[15:16], v[21:22], v[15:16], v[17:18]
	v_add_f64 v[3:4], v[3:4], v[10:11]
	s_delay_alu instid0(VALU_DEP_2)
	v_add_f64 v[1:2], v[1:2], v[15:16]
	s_and_not1_b32 exec_lo, exec_lo, s3
	s_cbranch_execnz .LBB46_153
; %bb.154:
	s_or_b32 exec_lo, exec_lo, s3
	v_mov_b32_e32 v7, 0
	ds_load_b128 v[7:10], v7 offset:560
	s_waitcnt lgkmcnt(0)
	v_mul_f64 v[11:12], v[1:2], v[9:10]
	v_mul_f64 v[15:16], v[3:4], v[9:10]
	s_delay_alu instid0(VALU_DEP_2) | instskip(NEXT) | instid1(VALU_DEP_2)
	v_fma_f64 v[9:10], v[3:4], v[7:8], -v[11:12]
	v_fma_f64 v[11:12], v[1:2], v[7:8], v[15:16]
	scratch_store_b128 off, v[9:12], off offset:560
.LBB46_155:
	s_or_b32 exec_lo, exec_lo, s2
	s_waitcnt_vscnt null, 0x0
	s_barrier
	buffer_gl0_inv
	scratch_load_b128 v[1:4], v164, off
	s_mov_b32 s2, exec_lo
	s_waitcnt vmcnt(0)
	ds_store_b128 v5, v[1:4]
	s_waitcnt lgkmcnt(0)
	s_barrier
	buffer_gl0_inv
	v_cmpx_gt_u32_e32 36, v140
	s_cbranch_execz .LBB46_159
; %bb.156:
	v_dual_mov_b32 v1, 0 :: v_dual_add_nc_u32 v8, 0x2f0, v13
	v_dual_mov_b32 v2, 0 :: v_dual_add_nc_u32 v7, -1, v140
	v_or_b32_e32 v9, 8, v14
	s_mov_b32 s3, 0
	s_delay_alu instid0(VALU_DEP_2)
	v_dual_mov_b32 v4, v2 :: v_dual_mov_b32 v3, v1
	.p2align	6
.LBB46_157:                             ; =>This Inner Loop Header: Depth=1
	scratch_load_b128 v[15:18], v9, off offset:-8
	ds_load_b128 v[19:22], v8
	v_add_nc_u32_e32 v7, 1, v7
	v_add_nc_u32_e32 v8, 16, v8
	;; [unrolled: 1-line block ×3, first 2 shown]
	s_delay_alu instid0(VALU_DEP_3) | instskip(SKIP_4) | instid1(VALU_DEP_2)
	v_cmp_lt_u32_e32 vcc_lo, 34, v7
	s_or_b32 s3, vcc_lo, s3
	s_waitcnt vmcnt(0) lgkmcnt(0)
	v_mul_f64 v[10:11], v[21:22], v[17:18]
	v_mul_f64 v[17:18], v[19:20], v[17:18]
	v_fma_f64 v[10:11], v[19:20], v[15:16], -v[10:11]
	s_delay_alu instid0(VALU_DEP_2) | instskip(NEXT) | instid1(VALU_DEP_2)
	v_fma_f64 v[15:16], v[21:22], v[15:16], v[17:18]
	v_add_f64 v[3:4], v[3:4], v[10:11]
	s_delay_alu instid0(VALU_DEP_2)
	v_add_f64 v[1:2], v[1:2], v[15:16]
	s_and_not1_b32 exec_lo, exec_lo, s3
	s_cbranch_execnz .LBB46_157
; %bb.158:
	s_or_b32 exec_lo, exec_lo, s3
	v_mov_b32_e32 v7, 0
	ds_load_b128 v[7:10], v7 offset:576
	s_waitcnt lgkmcnt(0)
	v_mul_f64 v[11:12], v[1:2], v[9:10]
	v_mul_f64 v[15:16], v[3:4], v[9:10]
	s_delay_alu instid0(VALU_DEP_2) | instskip(NEXT) | instid1(VALU_DEP_2)
	v_fma_f64 v[9:10], v[3:4], v[7:8], -v[11:12]
	v_fma_f64 v[11:12], v[1:2], v[7:8], v[15:16]
	scratch_store_b128 off, v[9:12], off offset:576
.LBB46_159:
	s_or_b32 exec_lo, exec_lo, s2
	s_waitcnt_vscnt null, 0x0
	s_barrier
	buffer_gl0_inv
	scratch_load_b128 v[1:4], v161, off
	s_mov_b32 s2, exec_lo
	s_waitcnt vmcnt(0)
	ds_store_b128 v5, v[1:4]
	s_waitcnt lgkmcnt(0)
	s_barrier
	buffer_gl0_inv
	v_cmpx_gt_u32_e32 37, v140
	s_cbranch_execz .LBB46_163
; %bb.160:
	v_dual_mov_b32 v1, 0 :: v_dual_add_nc_u32 v8, 0x2f0, v13
	v_dual_mov_b32 v2, 0 :: v_dual_add_nc_u32 v7, -1, v140
	v_or_b32_e32 v9, 8, v14
	s_mov_b32 s3, 0
	s_delay_alu instid0(VALU_DEP_2)
	v_dual_mov_b32 v4, v2 :: v_dual_mov_b32 v3, v1
	.p2align	6
.LBB46_161:                             ; =>This Inner Loop Header: Depth=1
	scratch_load_b128 v[15:18], v9, off offset:-8
	ds_load_b128 v[19:22], v8
	v_add_nc_u32_e32 v7, 1, v7
	v_add_nc_u32_e32 v8, 16, v8
	;; [unrolled: 1-line block ×3, first 2 shown]
	s_delay_alu instid0(VALU_DEP_3) | instskip(SKIP_4) | instid1(VALU_DEP_2)
	v_cmp_lt_u32_e32 vcc_lo, 35, v7
	s_or_b32 s3, vcc_lo, s3
	s_waitcnt vmcnt(0) lgkmcnt(0)
	v_mul_f64 v[10:11], v[21:22], v[17:18]
	v_mul_f64 v[17:18], v[19:20], v[17:18]
	v_fma_f64 v[10:11], v[19:20], v[15:16], -v[10:11]
	s_delay_alu instid0(VALU_DEP_2) | instskip(NEXT) | instid1(VALU_DEP_2)
	v_fma_f64 v[15:16], v[21:22], v[15:16], v[17:18]
	v_add_f64 v[3:4], v[3:4], v[10:11]
	s_delay_alu instid0(VALU_DEP_2)
	v_add_f64 v[1:2], v[1:2], v[15:16]
	s_and_not1_b32 exec_lo, exec_lo, s3
	s_cbranch_execnz .LBB46_161
; %bb.162:
	s_or_b32 exec_lo, exec_lo, s3
	v_mov_b32_e32 v7, 0
	ds_load_b128 v[7:10], v7 offset:592
	s_waitcnt lgkmcnt(0)
	v_mul_f64 v[11:12], v[1:2], v[9:10]
	v_mul_f64 v[15:16], v[3:4], v[9:10]
	s_delay_alu instid0(VALU_DEP_2) | instskip(NEXT) | instid1(VALU_DEP_2)
	v_fma_f64 v[9:10], v[3:4], v[7:8], -v[11:12]
	v_fma_f64 v[11:12], v[1:2], v[7:8], v[15:16]
	scratch_store_b128 off, v[9:12], off offset:592
.LBB46_163:
	s_or_b32 exec_lo, exec_lo, s2
	s_waitcnt_vscnt null, 0x0
	s_barrier
	buffer_gl0_inv
	scratch_load_b128 v[1:4], v159, off
	s_mov_b32 s2, exec_lo
	s_waitcnt vmcnt(0)
	ds_store_b128 v5, v[1:4]
	s_waitcnt lgkmcnt(0)
	s_barrier
	buffer_gl0_inv
	v_cmpx_gt_u32_e32 38, v140
	s_cbranch_execz .LBB46_167
; %bb.164:
	v_dual_mov_b32 v1, 0 :: v_dual_add_nc_u32 v8, 0x2f0, v13
	v_dual_mov_b32 v2, 0 :: v_dual_add_nc_u32 v7, -1, v140
	v_or_b32_e32 v9, 8, v14
	s_mov_b32 s3, 0
	s_delay_alu instid0(VALU_DEP_2)
	v_dual_mov_b32 v4, v2 :: v_dual_mov_b32 v3, v1
	.p2align	6
.LBB46_165:                             ; =>This Inner Loop Header: Depth=1
	scratch_load_b128 v[15:18], v9, off offset:-8
	ds_load_b128 v[19:22], v8
	v_add_nc_u32_e32 v7, 1, v7
	v_add_nc_u32_e32 v8, 16, v8
	;; [unrolled: 1-line block ×3, first 2 shown]
	s_delay_alu instid0(VALU_DEP_3) | instskip(SKIP_4) | instid1(VALU_DEP_2)
	v_cmp_lt_u32_e32 vcc_lo, 36, v7
	s_or_b32 s3, vcc_lo, s3
	s_waitcnt vmcnt(0) lgkmcnt(0)
	v_mul_f64 v[10:11], v[21:22], v[17:18]
	v_mul_f64 v[17:18], v[19:20], v[17:18]
	v_fma_f64 v[10:11], v[19:20], v[15:16], -v[10:11]
	s_delay_alu instid0(VALU_DEP_2) | instskip(NEXT) | instid1(VALU_DEP_2)
	v_fma_f64 v[15:16], v[21:22], v[15:16], v[17:18]
	v_add_f64 v[3:4], v[3:4], v[10:11]
	s_delay_alu instid0(VALU_DEP_2)
	v_add_f64 v[1:2], v[1:2], v[15:16]
	s_and_not1_b32 exec_lo, exec_lo, s3
	s_cbranch_execnz .LBB46_165
; %bb.166:
	s_or_b32 exec_lo, exec_lo, s3
	v_mov_b32_e32 v7, 0
	ds_load_b128 v[7:10], v7 offset:608
	s_waitcnt lgkmcnt(0)
	v_mul_f64 v[11:12], v[1:2], v[9:10]
	v_mul_f64 v[15:16], v[3:4], v[9:10]
	s_delay_alu instid0(VALU_DEP_2) | instskip(NEXT) | instid1(VALU_DEP_2)
	v_fma_f64 v[9:10], v[3:4], v[7:8], -v[11:12]
	v_fma_f64 v[11:12], v[1:2], v[7:8], v[15:16]
	scratch_store_b128 off, v[9:12], off offset:608
.LBB46_167:
	s_or_b32 exec_lo, exec_lo, s2
	s_waitcnt_vscnt null, 0x0
	s_barrier
	buffer_gl0_inv
	scratch_load_b128 v[1:4], v157, off
	s_mov_b32 s2, exec_lo
	s_waitcnt vmcnt(0)
	ds_store_b128 v5, v[1:4]
	s_waitcnt lgkmcnt(0)
	s_barrier
	buffer_gl0_inv
	v_cmpx_gt_u32_e32 39, v140
	s_cbranch_execz .LBB46_171
; %bb.168:
	v_dual_mov_b32 v1, 0 :: v_dual_add_nc_u32 v8, 0x2f0, v13
	v_dual_mov_b32 v2, 0 :: v_dual_add_nc_u32 v7, -1, v140
	v_or_b32_e32 v9, 8, v14
	s_mov_b32 s3, 0
	s_delay_alu instid0(VALU_DEP_2)
	v_dual_mov_b32 v4, v2 :: v_dual_mov_b32 v3, v1
	.p2align	6
.LBB46_169:                             ; =>This Inner Loop Header: Depth=1
	scratch_load_b128 v[15:18], v9, off offset:-8
	ds_load_b128 v[19:22], v8
	v_add_nc_u32_e32 v7, 1, v7
	v_add_nc_u32_e32 v8, 16, v8
	;; [unrolled: 1-line block ×3, first 2 shown]
	s_delay_alu instid0(VALU_DEP_3) | instskip(SKIP_4) | instid1(VALU_DEP_2)
	v_cmp_lt_u32_e32 vcc_lo, 37, v7
	s_or_b32 s3, vcc_lo, s3
	s_waitcnt vmcnt(0) lgkmcnt(0)
	v_mul_f64 v[10:11], v[21:22], v[17:18]
	v_mul_f64 v[17:18], v[19:20], v[17:18]
	v_fma_f64 v[10:11], v[19:20], v[15:16], -v[10:11]
	s_delay_alu instid0(VALU_DEP_2) | instskip(NEXT) | instid1(VALU_DEP_2)
	v_fma_f64 v[15:16], v[21:22], v[15:16], v[17:18]
	v_add_f64 v[3:4], v[3:4], v[10:11]
	s_delay_alu instid0(VALU_DEP_2)
	v_add_f64 v[1:2], v[1:2], v[15:16]
	s_and_not1_b32 exec_lo, exec_lo, s3
	s_cbranch_execnz .LBB46_169
; %bb.170:
	s_or_b32 exec_lo, exec_lo, s3
	v_mov_b32_e32 v7, 0
	ds_load_b128 v[7:10], v7 offset:624
	s_waitcnt lgkmcnt(0)
	v_mul_f64 v[11:12], v[1:2], v[9:10]
	v_mul_f64 v[15:16], v[3:4], v[9:10]
	s_delay_alu instid0(VALU_DEP_2) | instskip(NEXT) | instid1(VALU_DEP_2)
	v_fma_f64 v[9:10], v[3:4], v[7:8], -v[11:12]
	v_fma_f64 v[11:12], v[1:2], v[7:8], v[15:16]
	scratch_store_b128 off, v[9:12], off offset:624
.LBB46_171:
	s_or_b32 exec_lo, exec_lo, s2
	s_waitcnt_vscnt null, 0x0
	s_barrier
	buffer_gl0_inv
	scratch_load_b128 v[1:4], v155, off
	s_mov_b32 s2, exec_lo
	s_waitcnt vmcnt(0)
	ds_store_b128 v5, v[1:4]
	s_waitcnt lgkmcnt(0)
	s_barrier
	buffer_gl0_inv
	v_cmpx_gt_u32_e32 40, v140
	s_cbranch_execz .LBB46_175
; %bb.172:
	v_dual_mov_b32 v1, 0 :: v_dual_add_nc_u32 v8, 0x2f0, v13
	v_dual_mov_b32 v2, 0 :: v_dual_add_nc_u32 v7, -1, v140
	v_or_b32_e32 v9, 8, v14
	s_mov_b32 s3, 0
	s_delay_alu instid0(VALU_DEP_2)
	v_dual_mov_b32 v4, v2 :: v_dual_mov_b32 v3, v1
	.p2align	6
.LBB46_173:                             ; =>This Inner Loop Header: Depth=1
	scratch_load_b128 v[15:18], v9, off offset:-8
	ds_load_b128 v[19:22], v8
	v_add_nc_u32_e32 v7, 1, v7
	v_add_nc_u32_e32 v8, 16, v8
	;; [unrolled: 1-line block ×3, first 2 shown]
	s_delay_alu instid0(VALU_DEP_3) | instskip(SKIP_4) | instid1(VALU_DEP_2)
	v_cmp_lt_u32_e32 vcc_lo, 38, v7
	s_or_b32 s3, vcc_lo, s3
	s_waitcnt vmcnt(0) lgkmcnt(0)
	v_mul_f64 v[10:11], v[21:22], v[17:18]
	v_mul_f64 v[17:18], v[19:20], v[17:18]
	v_fma_f64 v[10:11], v[19:20], v[15:16], -v[10:11]
	s_delay_alu instid0(VALU_DEP_2) | instskip(NEXT) | instid1(VALU_DEP_2)
	v_fma_f64 v[15:16], v[21:22], v[15:16], v[17:18]
	v_add_f64 v[3:4], v[3:4], v[10:11]
	s_delay_alu instid0(VALU_DEP_2)
	v_add_f64 v[1:2], v[1:2], v[15:16]
	s_and_not1_b32 exec_lo, exec_lo, s3
	s_cbranch_execnz .LBB46_173
; %bb.174:
	s_or_b32 exec_lo, exec_lo, s3
	v_mov_b32_e32 v7, 0
	ds_load_b128 v[7:10], v7 offset:640
	s_waitcnt lgkmcnt(0)
	v_mul_f64 v[11:12], v[1:2], v[9:10]
	v_mul_f64 v[15:16], v[3:4], v[9:10]
	s_delay_alu instid0(VALU_DEP_2) | instskip(NEXT) | instid1(VALU_DEP_2)
	v_fma_f64 v[9:10], v[3:4], v[7:8], -v[11:12]
	v_fma_f64 v[11:12], v[1:2], v[7:8], v[15:16]
	scratch_store_b128 off, v[9:12], off offset:640
.LBB46_175:
	s_or_b32 exec_lo, exec_lo, s2
	s_waitcnt_vscnt null, 0x0
	s_barrier
	buffer_gl0_inv
	scratch_load_b128 v[1:4], v152, off
	s_mov_b32 s2, exec_lo
	s_waitcnt vmcnt(0)
	ds_store_b128 v5, v[1:4]
	s_waitcnt lgkmcnt(0)
	s_barrier
	buffer_gl0_inv
	v_cmpx_gt_u32_e32 41, v140
	s_cbranch_execz .LBB46_179
; %bb.176:
	v_dual_mov_b32 v1, 0 :: v_dual_add_nc_u32 v8, 0x2f0, v13
	v_dual_mov_b32 v2, 0 :: v_dual_add_nc_u32 v7, -1, v140
	v_or_b32_e32 v9, 8, v14
	s_mov_b32 s3, 0
	s_delay_alu instid0(VALU_DEP_2)
	v_dual_mov_b32 v4, v2 :: v_dual_mov_b32 v3, v1
	.p2align	6
.LBB46_177:                             ; =>This Inner Loop Header: Depth=1
	scratch_load_b128 v[15:18], v9, off offset:-8
	ds_load_b128 v[19:22], v8
	v_add_nc_u32_e32 v7, 1, v7
	v_add_nc_u32_e32 v8, 16, v8
	;; [unrolled: 1-line block ×3, first 2 shown]
	s_delay_alu instid0(VALU_DEP_3) | instskip(SKIP_4) | instid1(VALU_DEP_2)
	v_cmp_lt_u32_e32 vcc_lo, 39, v7
	s_or_b32 s3, vcc_lo, s3
	s_waitcnt vmcnt(0) lgkmcnt(0)
	v_mul_f64 v[10:11], v[21:22], v[17:18]
	v_mul_f64 v[17:18], v[19:20], v[17:18]
	v_fma_f64 v[10:11], v[19:20], v[15:16], -v[10:11]
	s_delay_alu instid0(VALU_DEP_2) | instskip(NEXT) | instid1(VALU_DEP_2)
	v_fma_f64 v[15:16], v[21:22], v[15:16], v[17:18]
	v_add_f64 v[3:4], v[3:4], v[10:11]
	s_delay_alu instid0(VALU_DEP_2)
	v_add_f64 v[1:2], v[1:2], v[15:16]
	s_and_not1_b32 exec_lo, exec_lo, s3
	s_cbranch_execnz .LBB46_177
; %bb.178:
	s_or_b32 exec_lo, exec_lo, s3
	v_mov_b32_e32 v7, 0
	ds_load_b128 v[7:10], v7 offset:656
	s_waitcnt lgkmcnt(0)
	v_mul_f64 v[11:12], v[1:2], v[9:10]
	v_mul_f64 v[15:16], v[3:4], v[9:10]
	s_delay_alu instid0(VALU_DEP_2) | instskip(NEXT) | instid1(VALU_DEP_2)
	v_fma_f64 v[9:10], v[3:4], v[7:8], -v[11:12]
	v_fma_f64 v[11:12], v[1:2], v[7:8], v[15:16]
	scratch_store_b128 off, v[9:12], off offset:656
.LBB46_179:
	s_or_b32 exec_lo, exec_lo, s2
	s_waitcnt_vscnt null, 0x0
	s_barrier
	buffer_gl0_inv
	scratch_load_b128 v[1:4], v150, off
	s_mov_b32 s2, exec_lo
	s_waitcnt vmcnt(0)
	ds_store_b128 v5, v[1:4]
	s_waitcnt lgkmcnt(0)
	s_barrier
	buffer_gl0_inv
	v_cmpx_gt_u32_e32 42, v140
	s_cbranch_execz .LBB46_183
; %bb.180:
	v_dual_mov_b32 v1, 0 :: v_dual_add_nc_u32 v8, 0x2f0, v13
	v_dual_mov_b32 v2, 0 :: v_dual_add_nc_u32 v7, -1, v140
	v_or_b32_e32 v9, 8, v14
	s_mov_b32 s3, 0
	s_delay_alu instid0(VALU_DEP_2)
	v_dual_mov_b32 v4, v2 :: v_dual_mov_b32 v3, v1
	.p2align	6
.LBB46_181:                             ; =>This Inner Loop Header: Depth=1
	scratch_load_b128 v[15:18], v9, off offset:-8
	ds_load_b128 v[19:22], v8
	v_add_nc_u32_e32 v7, 1, v7
	v_add_nc_u32_e32 v8, 16, v8
	;; [unrolled: 1-line block ×3, first 2 shown]
	s_delay_alu instid0(VALU_DEP_3) | instskip(SKIP_4) | instid1(VALU_DEP_2)
	v_cmp_lt_u32_e32 vcc_lo, 40, v7
	s_or_b32 s3, vcc_lo, s3
	s_waitcnt vmcnt(0) lgkmcnt(0)
	v_mul_f64 v[10:11], v[21:22], v[17:18]
	v_mul_f64 v[17:18], v[19:20], v[17:18]
	v_fma_f64 v[10:11], v[19:20], v[15:16], -v[10:11]
	s_delay_alu instid0(VALU_DEP_2) | instskip(NEXT) | instid1(VALU_DEP_2)
	v_fma_f64 v[15:16], v[21:22], v[15:16], v[17:18]
	v_add_f64 v[3:4], v[3:4], v[10:11]
	s_delay_alu instid0(VALU_DEP_2)
	v_add_f64 v[1:2], v[1:2], v[15:16]
	s_and_not1_b32 exec_lo, exec_lo, s3
	s_cbranch_execnz .LBB46_181
; %bb.182:
	s_or_b32 exec_lo, exec_lo, s3
	v_mov_b32_e32 v7, 0
	ds_load_b128 v[7:10], v7 offset:672
	s_waitcnt lgkmcnt(0)
	v_mul_f64 v[11:12], v[1:2], v[9:10]
	v_mul_f64 v[15:16], v[3:4], v[9:10]
	s_delay_alu instid0(VALU_DEP_2) | instskip(NEXT) | instid1(VALU_DEP_2)
	v_fma_f64 v[9:10], v[3:4], v[7:8], -v[11:12]
	v_fma_f64 v[11:12], v[1:2], v[7:8], v[15:16]
	scratch_store_b128 off, v[9:12], off offset:672
.LBB46_183:
	s_or_b32 exec_lo, exec_lo, s2
	s_waitcnt_vscnt null, 0x0
	s_barrier
	buffer_gl0_inv
	scratch_load_b128 v[1:4], v148, off
	s_mov_b32 s2, exec_lo
	s_waitcnt vmcnt(0)
	ds_store_b128 v5, v[1:4]
	s_waitcnt lgkmcnt(0)
	s_barrier
	buffer_gl0_inv
	v_cmpx_gt_u32_e32 43, v140
	s_cbranch_execz .LBB46_187
; %bb.184:
	v_dual_mov_b32 v1, 0 :: v_dual_add_nc_u32 v8, 0x2f0, v13
	v_dual_mov_b32 v2, 0 :: v_dual_add_nc_u32 v7, -1, v140
	v_or_b32_e32 v9, 8, v14
	s_mov_b32 s3, 0
	s_delay_alu instid0(VALU_DEP_2)
	v_dual_mov_b32 v4, v2 :: v_dual_mov_b32 v3, v1
	.p2align	6
.LBB46_185:                             ; =>This Inner Loop Header: Depth=1
	scratch_load_b128 v[15:18], v9, off offset:-8
	ds_load_b128 v[19:22], v8
	v_add_nc_u32_e32 v7, 1, v7
	v_add_nc_u32_e32 v8, 16, v8
	;; [unrolled: 1-line block ×3, first 2 shown]
	s_delay_alu instid0(VALU_DEP_3) | instskip(SKIP_4) | instid1(VALU_DEP_2)
	v_cmp_lt_u32_e32 vcc_lo, 41, v7
	s_or_b32 s3, vcc_lo, s3
	s_waitcnt vmcnt(0) lgkmcnt(0)
	v_mul_f64 v[10:11], v[21:22], v[17:18]
	v_mul_f64 v[17:18], v[19:20], v[17:18]
	v_fma_f64 v[10:11], v[19:20], v[15:16], -v[10:11]
	s_delay_alu instid0(VALU_DEP_2) | instskip(NEXT) | instid1(VALU_DEP_2)
	v_fma_f64 v[15:16], v[21:22], v[15:16], v[17:18]
	v_add_f64 v[3:4], v[3:4], v[10:11]
	s_delay_alu instid0(VALU_DEP_2)
	v_add_f64 v[1:2], v[1:2], v[15:16]
	s_and_not1_b32 exec_lo, exec_lo, s3
	s_cbranch_execnz .LBB46_185
; %bb.186:
	s_or_b32 exec_lo, exec_lo, s3
	v_mov_b32_e32 v7, 0
	ds_load_b128 v[7:10], v7 offset:688
	s_waitcnt lgkmcnt(0)
	v_mul_f64 v[11:12], v[1:2], v[9:10]
	v_mul_f64 v[15:16], v[3:4], v[9:10]
	s_delay_alu instid0(VALU_DEP_2) | instskip(NEXT) | instid1(VALU_DEP_2)
	v_fma_f64 v[9:10], v[3:4], v[7:8], -v[11:12]
	v_fma_f64 v[11:12], v[1:2], v[7:8], v[15:16]
	scratch_store_b128 off, v[9:12], off offset:688
.LBB46_187:
	s_or_b32 exec_lo, exec_lo, s2
	s_waitcnt_vscnt null, 0x0
	s_barrier
	buffer_gl0_inv
	scratch_load_b128 v[1:4], v146, off
	s_mov_b32 s2, exec_lo
	s_waitcnt vmcnt(0)
	ds_store_b128 v5, v[1:4]
	s_waitcnt lgkmcnt(0)
	s_barrier
	buffer_gl0_inv
	v_cmpx_gt_u32_e32 44, v140
	s_cbranch_execz .LBB46_191
; %bb.188:
	v_dual_mov_b32 v1, 0 :: v_dual_add_nc_u32 v8, 0x2f0, v13
	v_dual_mov_b32 v2, 0 :: v_dual_add_nc_u32 v7, -1, v140
	v_or_b32_e32 v9, 8, v14
	s_mov_b32 s3, 0
	s_delay_alu instid0(VALU_DEP_2)
	v_dual_mov_b32 v4, v2 :: v_dual_mov_b32 v3, v1
	.p2align	6
.LBB46_189:                             ; =>This Inner Loop Header: Depth=1
	scratch_load_b128 v[15:18], v9, off offset:-8
	ds_load_b128 v[19:22], v8
	v_add_nc_u32_e32 v7, 1, v7
	v_add_nc_u32_e32 v8, 16, v8
	;; [unrolled: 1-line block ×3, first 2 shown]
	s_delay_alu instid0(VALU_DEP_3) | instskip(SKIP_4) | instid1(VALU_DEP_2)
	v_cmp_lt_u32_e32 vcc_lo, 42, v7
	s_or_b32 s3, vcc_lo, s3
	s_waitcnt vmcnt(0) lgkmcnt(0)
	v_mul_f64 v[10:11], v[21:22], v[17:18]
	v_mul_f64 v[17:18], v[19:20], v[17:18]
	v_fma_f64 v[10:11], v[19:20], v[15:16], -v[10:11]
	s_delay_alu instid0(VALU_DEP_2) | instskip(NEXT) | instid1(VALU_DEP_2)
	v_fma_f64 v[15:16], v[21:22], v[15:16], v[17:18]
	v_add_f64 v[3:4], v[3:4], v[10:11]
	s_delay_alu instid0(VALU_DEP_2)
	v_add_f64 v[1:2], v[1:2], v[15:16]
	s_and_not1_b32 exec_lo, exec_lo, s3
	s_cbranch_execnz .LBB46_189
; %bb.190:
	s_or_b32 exec_lo, exec_lo, s3
	v_mov_b32_e32 v7, 0
	ds_load_b128 v[7:10], v7 offset:704
	s_waitcnt lgkmcnt(0)
	v_mul_f64 v[11:12], v[1:2], v[9:10]
	v_mul_f64 v[15:16], v[3:4], v[9:10]
	s_delay_alu instid0(VALU_DEP_2) | instskip(NEXT) | instid1(VALU_DEP_2)
	v_fma_f64 v[9:10], v[3:4], v[7:8], -v[11:12]
	v_fma_f64 v[11:12], v[1:2], v[7:8], v[15:16]
	scratch_store_b128 off, v[9:12], off offset:704
.LBB46_191:
	s_or_b32 exec_lo, exec_lo, s2
	s_waitcnt_vscnt null, 0x0
	s_barrier
	buffer_gl0_inv
	scratch_load_b128 v[1:4], v143, off
	s_mov_b32 s2, exec_lo
	s_waitcnt vmcnt(0)
	ds_store_b128 v5, v[1:4]
	s_waitcnt lgkmcnt(0)
	s_barrier
	buffer_gl0_inv
	v_cmpx_gt_u32_e32 45, v140
	s_cbranch_execz .LBB46_195
; %bb.192:
	v_dual_mov_b32 v1, 0 :: v_dual_add_nc_u32 v8, 0x2f0, v13
	v_dual_mov_b32 v2, 0 :: v_dual_add_nc_u32 v7, -1, v140
	v_or_b32_e32 v9, 8, v14
	s_mov_b32 s3, 0
	s_delay_alu instid0(VALU_DEP_2)
	v_dual_mov_b32 v4, v2 :: v_dual_mov_b32 v3, v1
	.p2align	6
.LBB46_193:                             ; =>This Inner Loop Header: Depth=1
	scratch_load_b128 v[10:13], v9, off offset:-8
	ds_load_b128 v[15:18], v8
	v_add_nc_u32_e32 v7, 1, v7
	v_add_nc_u32_e32 v8, 16, v8
	;; [unrolled: 1-line block ×3, first 2 shown]
	s_delay_alu instid0(VALU_DEP_3) | instskip(SKIP_4) | instid1(VALU_DEP_2)
	v_cmp_lt_u32_e32 vcc_lo, 43, v7
	s_or_b32 s3, vcc_lo, s3
	s_waitcnt vmcnt(0) lgkmcnt(0)
	v_mul_f64 v[19:20], v[17:18], v[12:13]
	v_mul_f64 v[12:13], v[15:16], v[12:13]
	v_fma_f64 v[15:16], v[15:16], v[10:11], -v[19:20]
	s_delay_alu instid0(VALU_DEP_2) | instskip(NEXT) | instid1(VALU_DEP_2)
	v_fma_f64 v[10:11], v[17:18], v[10:11], v[12:13]
	v_add_f64 v[3:4], v[3:4], v[15:16]
	s_delay_alu instid0(VALU_DEP_2)
	v_add_f64 v[1:2], v[1:2], v[10:11]
	s_and_not1_b32 exec_lo, exec_lo, s3
	s_cbranch_execnz .LBB46_193
; %bb.194:
	s_or_b32 exec_lo, exec_lo, s3
	v_mov_b32_e32 v7, 0
	ds_load_b128 v[7:10], v7 offset:720
	s_waitcnt lgkmcnt(0)
	v_mul_f64 v[11:12], v[1:2], v[9:10]
	v_mul_f64 v[15:16], v[3:4], v[9:10]
	s_delay_alu instid0(VALU_DEP_2) | instskip(NEXT) | instid1(VALU_DEP_2)
	v_fma_f64 v[9:10], v[3:4], v[7:8], -v[11:12]
	v_fma_f64 v[11:12], v[1:2], v[7:8], v[15:16]
	scratch_store_b128 off, v[9:12], off offset:720
.LBB46_195:
	s_or_b32 exec_lo, exec_lo, s2
	s_waitcnt_vscnt null, 0x0
	s_barrier
	buffer_gl0_inv
	scratch_load_b128 v[1:4], v142, off
	s_mov_b32 s2, exec_lo
	s_waitcnt vmcnt(0)
	ds_store_b128 v5, v[1:4]
	s_waitcnt lgkmcnt(0)
	s_barrier
	buffer_gl0_inv
	v_cmpx_ne_u32_e32 46, v140
	s_cbranch_execz .LBB46_199
; %bb.196:
	v_mov_b32_e32 v1, 0
	v_mov_b32_e32 v2, 0
	v_or_b32_e32 v7, 8, v14
	s_mov_b32 s3, 0
	s_delay_alu instid0(VALU_DEP_2)
	v_dual_mov_b32 v4, v2 :: v_dual_mov_b32 v3, v1
	.p2align	6
.LBB46_197:                             ; =>This Inner Loop Header: Depth=1
	scratch_load_b128 v[8:11], v7, off offset:-8
	ds_load_b128 v[12:15], v5
	v_add_nc_u32_e32 v6, 1, v6
	v_add_nc_u32_e32 v5, 16, v5
	;; [unrolled: 1-line block ×3, first 2 shown]
	s_delay_alu instid0(VALU_DEP_3) | instskip(SKIP_4) | instid1(VALU_DEP_2)
	v_cmp_lt_u32_e32 vcc_lo, 44, v6
	s_or_b32 s3, vcc_lo, s3
	s_waitcnt vmcnt(0) lgkmcnt(0)
	v_mul_f64 v[16:17], v[14:15], v[10:11]
	v_mul_f64 v[10:11], v[12:13], v[10:11]
	v_fma_f64 v[12:13], v[12:13], v[8:9], -v[16:17]
	s_delay_alu instid0(VALU_DEP_2) | instskip(NEXT) | instid1(VALU_DEP_2)
	v_fma_f64 v[8:9], v[14:15], v[8:9], v[10:11]
	v_add_f64 v[3:4], v[3:4], v[12:13]
	s_delay_alu instid0(VALU_DEP_2)
	v_add_f64 v[1:2], v[1:2], v[8:9]
	s_and_not1_b32 exec_lo, exec_lo, s3
	s_cbranch_execnz .LBB46_197
; %bb.198:
	s_or_b32 exec_lo, exec_lo, s3
	v_mov_b32_e32 v5, 0
	ds_load_b128 v[5:8], v5 offset:736
	s_waitcnt lgkmcnt(0)
	v_mul_f64 v[9:10], v[1:2], v[7:8]
	v_mul_f64 v[7:8], v[3:4], v[7:8]
	s_delay_alu instid0(VALU_DEP_2) | instskip(NEXT) | instid1(VALU_DEP_2)
	v_fma_f64 v[3:4], v[3:4], v[5:6], -v[9:10]
	v_fma_f64 v[5:6], v[1:2], v[5:6], v[7:8]
	scratch_store_b128 off, v[3:6], off offset:736
.LBB46_199:
	s_or_b32 exec_lo, exec_lo, s2
	s_mov_b32 s3, -1
	s_waitcnt_vscnt null, 0x0
	s_barrier
	buffer_gl0_inv
.LBB46_200:
	s_and_b32 vcc_lo, exec_lo, s3
	s_cbranch_vccz .LBB46_202
; %bb.201:
	s_lshl_b64 s[2:3], s[18:19], 2
	v_mov_b32_e32 v1, 0
	s_add_u32 s2, s6, s2
	s_addc_u32 s3, s7, s3
	global_load_b32 v1, v1, s[2:3]
	s_waitcnt vmcnt(0)
	v_cmp_ne_u32_e32 vcc_lo, 0, v1
	s_cbranch_vccz .LBB46_203
.LBB46_202:
	s_endpgm
.LBB46_203:
	v_lshl_add_u32 v187, v140, 4, 0x2f0
	s_mov_b32 s2, exec_lo
	v_cmpx_eq_u32_e32 46, v140
	s_cbranch_execz .LBB46_205
; %bb.204:
	scratch_load_b128 v[1:4], v143, off
	v_mov_b32_e32 v5, 0
	s_delay_alu instid0(VALU_DEP_1)
	v_mov_b32_e32 v6, v5
	v_mov_b32_e32 v7, v5
	;; [unrolled: 1-line block ×3, first 2 shown]
	scratch_store_b128 off, v[5:8], off offset:720
	s_waitcnt vmcnt(0)
	ds_store_b128 v187, v[1:4]
.LBB46_205:
	s_or_b32 exec_lo, exec_lo, s2
	s_waitcnt lgkmcnt(0)
	s_waitcnt_vscnt null, 0x0
	s_barrier
	buffer_gl0_inv
	s_clause 0x1
	scratch_load_b128 v[2:5], off, off offset:736
	scratch_load_b128 v[6:9], off, off offset:720
	v_mov_b32_e32 v1, 0
	s_mov_b32 s2, exec_lo
	ds_load_b128 v[10:13], v1 offset:1488
	s_waitcnt vmcnt(1) lgkmcnt(0)
	v_mul_f64 v[14:15], v[12:13], v[4:5]
	v_mul_f64 v[4:5], v[10:11], v[4:5]
	s_delay_alu instid0(VALU_DEP_2) | instskip(NEXT) | instid1(VALU_DEP_2)
	v_fma_f64 v[10:11], v[10:11], v[2:3], -v[14:15]
	v_fma_f64 v[2:3], v[12:13], v[2:3], v[4:5]
	s_delay_alu instid0(VALU_DEP_2) | instskip(NEXT) | instid1(VALU_DEP_2)
	v_add_f64 v[4:5], v[10:11], 0
	v_add_f64 v[10:11], v[2:3], 0
	s_waitcnt vmcnt(0)
	s_delay_alu instid0(VALU_DEP_2) | instskip(NEXT) | instid1(VALU_DEP_2)
	v_add_f64 v[2:3], v[6:7], -v[4:5]
	v_add_f64 v[4:5], v[8:9], -v[10:11]
	scratch_store_b128 off, v[2:5], off offset:720
	v_cmpx_lt_u32_e32 44, v140
	s_cbranch_execz .LBB46_207
; %bb.206:
	scratch_load_b128 v[5:8], v146, off
	v_mov_b32_e32 v2, v1
	v_mov_b32_e32 v3, v1
	;; [unrolled: 1-line block ×3, first 2 shown]
	scratch_store_b128 off, v[1:4], off offset:704
	s_waitcnt vmcnt(0)
	ds_store_b128 v187, v[5:8]
.LBB46_207:
	s_or_b32 exec_lo, exec_lo, s2
	s_waitcnt lgkmcnt(0)
	s_waitcnt_vscnt null, 0x0
	s_barrier
	buffer_gl0_inv
	s_clause 0x2
	scratch_load_b128 v[2:5], off, off offset:720
	scratch_load_b128 v[6:9], off, off offset:736
	;; [unrolled: 1-line block ×3, first 2 shown]
	ds_load_b128 v[14:17], v1 offset:1472
	ds_load_b128 v[18:21], v1 offset:1488
	s_mov_b32 s2, exec_lo
	s_waitcnt vmcnt(2) lgkmcnt(1)
	v_mul_f64 v[22:23], v[16:17], v[4:5]
	v_mul_f64 v[4:5], v[14:15], v[4:5]
	s_waitcnt vmcnt(1) lgkmcnt(0)
	v_mul_f64 v[24:25], v[18:19], v[8:9]
	v_mul_f64 v[8:9], v[20:21], v[8:9]
	s_delay_alu instid0(VALU_DEP_4) | instskip(NEXT) | instid1(VALU_DEP_4)
	v_fma_f64 v[14:15], v[14:15], v[2:3], -v[22:23]
	v_fma_f64 v[1:2], v[16:17], v[2:3], v[4:5]
	s_delay_alu instid0(VALU_DEP_4) | instskip(NEXT) | instid1(VALU_DEP_4)
	v_fma_f64 v[3:4], v[20:21], v[6:7], v[24:25]
	v_fma_f64 v[5:6], v[18:19], v[6:7], -v[8:9]
	s_delay_alu instid0(VALU_DEP_4) | instskip(NEXT) | instid1(VALU_DEP_4)
	v_add_f64 v[7:8], v[14:15], 0
	v_add_f64 v[1:2], v[1:2], 0
	s_delay_alu instid0(VALU_DEP_2) | instskip(NEXT) | instid1(VALU_DEP_2)
	v_add_f64 v[5:6], v[7:8], v[5:6]
	v_add_f64 v[3:4], v[1:2], v[3:4]
	s_waitcnt vmcnt(0)
	s_delay_alu instid0(VALU_DEP_2) | instskip(NEXT) | instid1(VALU_DEP_2)
	v_add_f64 v[1:2], v[10:11], -v[5:6]
	v_add_f64 v[3:4], v[12:13], -v[3:4]
	scratch_store_b128 off, v[1:4], off offset:704
	v_cmpx_lt_u32_e32 43, v140
	s_cbranch_execz .LBB46_209
; %bb.208:
	scratch_load_b128 v[1:4], v148, off
	v_mov_b32_e32 v5, 0
	s_delay_alu instid0(VALU_DEP_1)
	v_mov_b32_e32 v6, v5
	v_mov_b32_e32 v7, v5
	;; [unrolled: 1-line block ×3, first 2 shown]
	scratch_store_b128 off, v[5:8], off offset:688
	s_waitcnt vmcnt(0)
	ds_store_b128 v187, v[1:4]
.LBB46_209:
	s_or_b32 exec_lo, exec_lo, s2
	s_waitcnt lgkmcnt(0)
	s_waitcnt_vscnt null, 0x0
	s_barrier
	buffer_gl0_inv
	s_clause 0x3
	scratch_load_b128 v[2:5], off, off offset:704
	scratch_load_b128 v[6:9], off, off offset:720
	;; [unrolled: 1-line block ×4, first 2 shown]
	v_mov_b32_e32 v1, 0
	ds_load_b128 v[18:21], v1 offset:1456
	ds_load_b128 v[22:25], v1 offset:1472
	s_mov_b32 s2, exec_lo
	s_waitcnt vmcnt(3) lgkmcnt(1)
	v_mul_f64 v[26:27], v[20:21], v[4:5]
	v_mul_f64 v[4:5], v[18:19], v[4:5]
	s_waitcnt vmcnt(2) lgkmcnt(0)
	v_mul_f64 v[28:29], v[22:23], v[8:9]
	v_mul_f64 v[8:9], v[24:25], v[8:9]
	s_delay_alu instid0(VALU_DEP_4) | instskip(NEXT) | instid1(VALU_DEP_4)
	v_fma_f64 v[18:19], v[18:19], v[2:3], -v[26:27]
	v_fma_f64 v[20:21], v[20:21], v[2:3], v[4:5]
	ds_load_b128 v[2:5], v1 offset:1488
	v_fma_f64 v[24:25], v[24:25], v[6:7], v[28:29]
	v_fma_f64 v[6:7], v[22:23], v[6:7], -v[8:9]
	s_waitcnt vmcnt(1) lgkmcnt(0)
	v_mul_f64 v[26:27], v[2:3], v[12:13]
	v_mul_f64 v[12:13], v[4:5], v[12:13]
	v_add_f64 v[8:9], v[18:19], 0
	v_add_f64 v[18:19], v[20:21], 0
	s_delay_alu instid0(VALU_DEP_4) | instskip(NEXT) | instid1(VALU_DEP_4)
	v_fma_f64 v[4:5], v[4:5], v[10:11], v[26:27]
	v_fma_f64 v[2:3], v[2:3], v[10:11], -v[12:13]
	s_delay_alu instid0(VALU_DEP_4) | instskip(NEXT) | instid1(VALU_DEP_4)
	v_add_f64 v[6:7], v[8:9], v[6:7]
	v_add_f64 v[8:9], v[18:19], v[24:25]
	s_delay_alu instid0(VALU_DEP_2) | instskip(NEXT) | instid1(VALU_DEP_2)
	v_add_f64 v[2:3], v[6:7], v[2:3]
	v_add_f64 v[4:5], v[8:9], v[4:5]
	s_waitcnt vmcnt(0)
	s_delay_alu instid0(VALU_DEP_2) | instskip(NEXT) | instid1(VALU_DEP_2)
	v_add_f64 v[2:3], v[14:15], -v[2:3]
	v_add_f64 v[4:5], v[16:17], -v[4:5]
	scratch_store_b128 off, v[2:5], off offset:688
	v_cmpx_lt_u32_e32 42, v140
	s_cbranch_execz .LBB46_211
; %bb.210:
	scratch_load_b128 v[5:8], v150, off
	v_mov_b32_e32 v2, v1
	v_mov_b32_e32 v3, v1
	v_mov_b32_e32 v4, v1
	scratch_store_b128 off, v[1:4], off offset:672
	s_waitcnt vmcnt(0)
	ds_store_b128 v187, v[5:8]
.LBB46_211:
	s_or_b32 exec_lo, exec_lo, s2
	s_waitcnt lgkmcnt(0)
	s_waitcnt_vscnt null, 0x0
	s_barrier
	buffer_gl0_inv
	s_clause 0x4
	scratch_load_b128 v[2:5], off, off offset:688
	scratch_load_b128 v[6:9], off, off offset:704
	scratch_load_b128 v[10:13], off, off offset:720
	scratch_load_b128 v[14:17], off, off offset:736
	scratch_load_b128 v[18:21], off, off offset:672
	ds_load_b128 v[22:25], v1 offset:1440
	ds_load_b128 v[26:29], v1 offset:1456
	s_mov_b32 s2, exec_lo
	s_waitcnt vmcnt(4) lgkmcnt(1)
	v_mul_f64 v[30:31], v[24:25], v[4:5]
	v_mul_f64 v[4:5], v[22:23], v[4:5]
	s_waitcnt vmcnt(3) lgkmcnt(0)
	v_mul_f64 v[32:33], v[26:27], v[8:9]
	v_mul_f64 v[8:9], v[28:29], v[8:9]
	s_delay_alu instid0(VALU_DEP_4) | instskip(NEXT) | instid1(VALU_DEP_4)
	v_fma_f64 v[30:31], v[22:23], v[2:3], -v[30:31]
	v_fma_f64 v[34:35], v[24:25], v[2:3], v[4:5]
	ds_load_b128 v[2:5], v1 offset:1472
	ds_load_b128 v[22:25], v1 offset:1488
	v_fma_f64 v[28:29], v[28:29], v[6:7], v[32:33]
	v_fma_f64 v[6:7], v[26:27], v[6:7], -v[8:9]
	s_waitcnt vmcnt(2) lgkmcnt(1)
	v_mul_f64 v[36:37], v[2:3], v[12:13]
	v_mul_f64 v[12:13], v[4:5], v[12:13]
	v_add_f64 v[8:9], v[30:31], 0
	v_add_f64 v[26:27], v[34:35], 0
	s_waitcnt vmcnt(1) lgkmcnt(0)
	v_mul_f64 v[30:31], v[22:23], v[16:17]
	v_mul_f64 v[16:17], v[24:25], v[16:17]
	v_fma_f64 v[4:5], v[4:5], v[10:11], v[36:37]
	v_fma_f64 v[1:2], v[2:3], v[10:11], -v[12:13]
	v_add_f64 v[6:7], v[8:9], v[6:7]
	v_add_f64 v[8:9], v[26:27], v[28:29]
	v_fma_f64 v[10:11], v[24:25], v[14:15], v[30:31]
	v_fma_f64 v[12:13], v[22:23], v[14:15], -v[16:17]
	s_delay_alu instid0(VALU_DEP_4) | instskip(NEXT) | instid1(VALU_DEP_4)
	v_add_f64 v[1:2], v[6:7], v[1:2]
	v_add_f64 v[3:4], v[8:9], v[4:5]
	s_delay_alu instid0(VALU_DEP_2) | instskip(NEXT) | instid1(VALU_DEP_2)
	v_add_f64 v[1:2], v[1:2], v[12:13]
	v_add_f64 v[3:4], v[3:4], v[10:11]
	s_waitcnt vmcnt(0)
	s_delay_alu instid0(VALU_DEP_2) | instskip(NEXT) | instid1(VALU_DEP_2)
	v_add_f64 v[1:2], v[18:19], -v[1:2]
	v_add_f64 v[3:4], v[20:21], -v[3:4]
	scratch_store_b128 off, v[1:4], off offset:672
	v_cmpx_lt_u32_e32 41, v140
	s_cbranch_execz .LBB46_213
; %bb.212:
	scratch_load_b128 v[1:4], v152, off
	v_mov_b32_e32 v5, 0
	s_delay_alu instid0(VALU_DEP_1)
	v_mov_b32_e32 v6, v5
	v_mov_b32_e32 v7, v5
	;; [unrolled: 1-line block ×3, first 2 shown]
	scratch_store_b128 off, v[5:8], off offset:656
	s_waitcnt vmcnt(0)
	ds_store_b128 v187, v[1:4]
.LBB46_213:
	s_or_b32 exec_lo, exec_lo, s2
	s_waitcnt lgkmcnt(0)
	s_waitcnt_vscnt null, 0x0
	s_barrier
	buffer_gl0_inv
	s_clause 0x5
	scratch_load_b128 v[2:5], off, off offset:672
	scratch_load_b128 v[6:9], off, off offset:688
	;; [unrolled: 1-line block ×6, first 2 shown]
	v_mov_b32_e32 v1, 0
	ds_load_b128 v[26:29], v1 offset:1424
	ds_load_b128 v[30:33], v1 offset:1440
	s_mov_b32 s2, exec_lo
	s_waitcnt vmcnt(5) lgkmcnt(1)
	v_mul_f64 v[34:35], v[28:29], v[4:5]
	v_mul_f64 v[4:5], v[26:27], v[4:5]
	s_waitcnt vmcnt(4) lgkmcnt(0)
	v_mul_f64 v[36:37], v[30:31], v[8:9]
	v_mul_f64 v[8:9], v[32:33], v[8:9]
	s_delay_alu instid0(VALU_DEP_4) | instskip(NEXT) | instid1(VALU_DEP_4)
	v_fma_f64 v[34:35], v[26:27], v[2:3], -v[34:35]
	v_fma_f64 v[38:39], v[28:29], v[2:3], v[4:5]
	ds_load_b128 v[2:5], v1 offset:1456
	ds_load_b128 v[26:29], v1 offset:1472
	v_fma_f64 v[32:33], v[32:33], v[6:7], v[36:37]
	v_fma_f64 v[6:7], v[30:31], v[6:7], -v[8:9]
	s_waitcnt vmcnt(3) lgkmcnt(1)
	v_mul_f64 v[40:41], v[2:3], v[12:13]
	v_mul_f64 v[12:13], v[4:5], v[12:13]
	v_add_f64 v[8:9], v[34:35], 0
	v_add_f64 v[30:31], v[38:39], 0
	s_waitcnt vmcnt(2) lgkmcnt(0)
	v_mul_f64 v[34:35], v[26:27], v[16:17]
	v_mul_f64 v[16:17], v[28:29], v[16:17]
	v_fma_f64 v[36:37], v[4:5], v[10:11], v[40:41]
	v_fma_f64 v[10:11], v[2:3], v[10:11], -v[12:13]
	ds_load_b128 v[2:5], v1 offset:1488
	v_add_f64 v[6:7], v[8:9], v[6:7]
	v_add_f64 v[8:9], v[30:31], v[32:33]
	v_fma_f64 v[28:29], v[28:29], v[14:15], v[34:35]
	v_fma_f64 v[14:15], v[26:27], v[14:15], -v[16:17]
	s_waitcnt vmcnt(1) lgkmcnt(0)
	v_mul_f64 v[12:13], v[2:3], v[20:21]
	v_mul_f64 v[20:21], v[4:5], v[20:21]
	v_add_f64 v[6:7], v[6:7], v[10:11]
	v_add_f64 v[8:9], v[8:9], v[36:37]
	s_delay_alu instid0(VALU_DEP_4) | instskip(NEXT) | instid1(VALU_DEP_4)
	v_fma_f64 v[4:5], v[4:5], v[18:19], v[12:13]
	v_fma_f64 v[2:3], v[2:3], v[18:19], -v[20:21]
	s_delay_alu instid0(VALU_DEP_4) | instskip(NEXT) | instid1(VALU_DEP_4)
	v_add_f64 v[6:7], v[6:7], v[14:15]
	v_add_f64 v[8:9], v[8:9], v[28:29]
	s_delay_alu instid0(VALU_DEP_2) | instskip(NEXT) | instid1(VALU_DEP_2)
	v_add_f64 v[2:3], v[6:7], v[2:3]
	v_add_f64 v[4:5], v[8:9], v[4:5]
	s_waitcnt vmcnt(0)
	s_delay_alu instid0(VALU_DEP_2) | instskip(NEXT) | instid1(VALU_DEP_2)
	v_add_f64 v[2:3], v[22:23], -v[2:3]
	v_add_f64 v[4:5], v[24:25], -v[4:5]
	scratch_store_b128 off, v[2:5], off offset:656
	v_cmpx_lt_u32_e32 40, v140
	s_cbranch_execz .LBB46_215
; %bb.214:
	scratch_load_b128 v[5:8], v155, off
	v_mov_b32_e32 v2, v1
	v_mov_b32_e32 v3, v1
	;; [unrolled: 1-line block ×3, first 2 shown]
	scratch_store_b128 off, v[1:4], off offset:640
	s_waitcnt vmcnt(0)
	ds_store_b128 v187, v[5:8]
.LBB46_215:
	s_or_b32 exec_lo, exec_lo, s2
	s_waitcnt lgkmcnt(0)
	s_waitcnt_vscnt null, 0x0
	s_barrier
	buffer_gl0_inv
	s_clause 0x5
	scratch_load_b128 v[2:5], off, off offset:656
	scratch_load_b128 v[6:9], off, off offset:672
	;; [unrolled: 1-line block ×6, first 2 shown]
	ds_load_b128 v[26:29], v1 offset:1408
	ds_load_b128 v[34:37], v1 offset:1424
	scratch_load_b128 v[30:33], off, off offset:640
	s_mov_b32 s2, exec_lo
	s_waitcnt vmcnt(6) lgkmcnt(1)
	v_mul_f64 v[38:39], v[28:29], v[4:5]
	v_mul_f64 v[4:5], v[26:27], v[4:5]
	s_waitcnt vmcnt(5) lgkmcnt(0)
	v_mul_f64 v[40:41], v[34:35], v[8:9]
	v_mul_f64 v[8:9], v[36:37], v[8:9]
	s_delay_alu instid0(VALU_DEP_4) | instskip(NEXT) | instid1(VALU_DEP_4)
	v_fma_f64 v[38:39], v[26:27], v[2:3], -v[38:39]
	v_fma_f64 v[42:43], v[28:29], v[2:3], v[4:5]
	ds_load_b128 v[2:5], v1 offset:1440
	ds_load_b128 v[26:29], v1 offset:1456
	v_fma_f64 v[36:37], v[36:37], v[6:7], v[40:41]
	v_fma_f64 v[6:7], v[34:35], v[6:7], -v[8:9]
	s_waitcnt vmcnt(4) lgkmcnt(1)
	v_mul_f64 v[44:45], v[2:3], v[12:13]
	v_mul_f64 v[12:13], v[4:5], v[12:13]
	v_add_f64 v[8:9], v[38:39], 0
	v_add_f64 v[34:35], v[42:43], 0
	s_waitcnt vmcnt(3) lgkmcnt(0)
	v_mul_f64 v[38:39], v[26:27], v[16:17]
	v_mul_f64 v[16:17], v[28:29], v[16:17]
	v_fma_f64 v[40:41], v[4:5], v[10:11], v[44:45]
	v_fma_f64 v[10:11], v[2:3], v[10:11], -v[12:13]
	v_add_f64 v[12:13], v[8:9], v[6:7]
	v_add_f64 v[34:35], v[34:35], v[36:37]
	ds_load_b128 v[2:5], v1 offset:1472
	ds_load_b128 v[6:9], v1 offset:1488
	v_fma_f64 v[28:29], v[28:29], v[14:15], v[38:39]
	v_fma_f64 v[14:15], v[26:27], v[14:15], -v[16:17]
	s_waitcnt vmcnt(2) lgkmcnt(1)
	v_mul_f64 v[36:37], v[2:3], v[20:21]
	v_mul_f64 v[20:21], v[4:5], v[20:21]
	s_waitcnt vmcnt(1) lgkmcnt(0)
	v_mul_f64 v[16:17], v[6:7], v[24:25]
	v_mul_f64 v[24:25], v[8:9], v[24:25]
	v_add_f64 v[10:11], v[12:13], v[10:11]
	v_add_f64 v[12:13], v[34:35], v[40:41]
	v_fma_f64 v[4:5], v[4:5], v[18:19], v[36:37]
	v_fma_f64 v[1:2], v[2:3], v[18:19], -v[20:21]
	v_fma_f64 v[8:9], v[8:9], v[22:23], v[16:17]
	v_fma_f64 v[6:7], v[6:7], v[22:23], -v[24:25]
	v_add_f64 v[10:11], v[10:11], v[14:15]
	v_add_f64 v[12:13], v[12:13], v[28:29]
	s_delay_alu instid0(VALU_DEP_2) | instskip(NEXT) | instid1(VALU_DEP_2)
	v_add_f64 v[1:2], v[10:11], v[1:2]
	v_add_f64 v[3:4], v[12:13], v[4:5]
	s_delay_alu instid0(VALU_DEP_2) | instskip(NEXT) | instid1(VALU_DEP_2)
	v_add_f64 v[1:2], v[1:2], v[6:7]
	v_add_f64 v[3:4], v[3:4], v[8:9]
	s_waitcnt vmcnt(0)
	s_delay_alu instid0(VALU_DEP_2) | instskip(NEXT) | instid1(VALU_DEP_2)
	v_add_f64 v[1:2], v[30:31], -v[1:2]
	v_add_f64 v[3:4], v[32:33], -v[3:4]
	scratch_store_b128 off, v[1:4], off offset:640
	v_cmpx_lt_u32_e32 39, v140
	s_cbranch_execz .LBB46_217
; %bb.216:
	scratch_load_b128 v[1:4], v157, off
	v_mov_b32_e32 v5, 0
	s_delay_alu instid0(VALU_DEP_1)
	v_mov_b32_e32 v6, v5
	v_mov_b32_e32 v7, v5
	;; [unrolled: 1-line block ×3, first 2 shown]
	scratch_store_b128 off, v[5:8], off offset:624
	s_waitcnt vmcnt(0)
	ds_store_b128 v187, v[1:4]
.LBB46_217:
	s_or_b32 exec_lo, exec_lo, s2
	s_waitcnt lgkmcnt(0)
	s_waitcnt_vscnt null, 0x0
	s_barrier
	buffer_gl0_inv
	s_clause 0x6
	scratch_load_b128 v[2:5], off, off offset:640
	scratch_load_b128 v[6:9], off, off offset:656
	;; [unrolled: 1-line block ×7, first 2 shown]
	v_mov_b32_e32 v1, 0
	scratch_load_b128 v[38:41], off, off offset:624
	s_mov_b32 s2, exec_lo
	ds_load_b128 v[30:33], v1 offset:1392
	ds_load_b128 v[34:37], v1 offset:1408
	s_waitcnt vmcnt(7) lgkmcnt(1)
	v_mul_f64 v[42:43], v[32:33], v[4:5]
	v_mul_f64 v[4:5], v[30:31], v[4:5]
	s_waitcnt vmcnt(6) lgkmcnt(0)
	v_mul_f64 v[44:45], v[34:35], v[8:9]
	v_mul_f64 v[8:9], v[36:37], v[8:9]
	s_delay_alu instid0(VALU_DEP_4) | instskip(NEXT) | instid1(VALU_DEP_4)
	v_fma_f64 v[30:31], v[30:31], v[2:3], -v[42:43]
	v_fma_f64 v[32:33], v[32:33], v[2:3], v[4:5]
	ds_load_b128 v[2:5], v1 offset:1424
	v_fma_f64 v[36:37], v[36:37], v[6:7], v[44:45]
	v_fma_f64 v[34:35], v[34:35], v[6:7], -v[8:9]
	ds_load_b128 v[6:9], v1 offset:1440
	s_waitcnt vmcnt(5) lgkmcnt(1)
	v_mul_f64 v[42:43], v[2:3], v[12:13]
	v_mul_f64 v[12:13], v[4:5], v[12:13]
	s_waitcnt vmcnt(4) lgkmcnt(0)
	v_mul_f64 v[44:45], v[6:7], v[16:17]
	v_mul_f64 v[16:17], v[8:9], v[16:17]
	v_add_f64 v[30:31], v[30:31], 0
	v_add_f64 v[32:33], v[32:33], 0
	v_fma_f64 v[42:43], v[4:5], v[10:11], v[42:43]
	v_fma_f64 v[10:11], v[2:3], v[10:11], -v[12:13]
	ds_load_b128 v[2:5], v1 offset:1456
	v_add_f64 v[12:13], v[30:31], v[34:35]
	v_add_f64 v[30:31], v[32:33], v[36:37]
	v_fma_f64 v[34:35], v[8:9], v[14:15], v[44:45]
	v_fma_f64 v[14:15], v[6:7], v[14:15], -v[16:17]
	ds_load_b128 v[6:9], v1 offset:1472
	s_waitcnt vmcnt(3) lgkmcnt(1)
	v_mul_f64 v[32:33], v[2:3], v[20:21]
	v_mul_f64 v[20:21], v[4:5], v[20:21]
	s_waitcnt vmcnt(2) lgkmcnt(0)
	v_mul_f64 v[16:17], v[6:7], v[24:25]
	v_mul_f64 v[24:25], v[8:9], v[24:25]
	v_add_f64 v[10:11], v[12:13], v[10:11]
	v_add_f64 v[12:13], v[30:31], v[42:43]
	v_fma_f64 v[30:31], v[4:5], v[18:19], v[32:33]
	v_fma_f64 v[18:19], v[2:3], v[18:19], -v[20:21]
	ds_load_b128 v[2:5], v1 offset:1488
	v_fma_f64 v[8:9], v[8:9], v[22:23], v[16:17]
	v_fma_f64 v[6:7], v[6:7], v[22:23], -v[24:25]
	s_waitcnt vmcnt(1) lgkmcnt(0)
	v_mul_f64 v[20:21], v[4:5], v[28:29]
	v_add_f64 v[10:11], v[10:11], v[14:15]
	v_add_f64 v[12:13], v[12:13], v[34:35]
	v_mul_f64 v[14:15], v[2:3], v[28:29]
	s_delay_alu instid0(VALU_DEP_4) | instskip(NEXT) | instid1(VALU_DEP_4)
	v_fma_f64 v[2:3], v[2:3], v[26:27], -v[20:21]
	v_add_f64 v[10:11], v[10:11], v[18:19]
	s_delay_alu instid0(VALU_DEP_4) | instskip(NEXT) | instid1(VALU_DEP_4)
	v_add_f64 v[12:13], v[12:13], v[30:31]
	v_fma_f64 v[4:5], v[4:5], v[26:27], v[14:15]
	s_delay_alu instid0(VALU_DEP_3) | instskip(NEXT) | instid1(VALU_DEP_3)
	v_add_f64 v[6:7], v[10:11], v[6:7]
	v_add_f64 v[8:9], v[12:13], v[8:9]
	s_delay_alu instid0(VALU_DEP_2) | instskip(NEXT) | instid1(VALU_DEP_2)
	v_add_f64 v[2:3], v[6:7], v[2:3]
	v_add_f64 v[4:5], v[8:9], v[4:5]
	s_waitcnt vmcnt(0)
	s_delay_alu instid0(VALU_DEP_2) | instskip(NEXT) | instid1(VALU_DEP_2)
	v_add_f64 v[2:3], v[38:39], -v[2:3]
	v_add_f64 v[4:5], v[40:41], -v[4:5]
	scratch_store_b128 off, v[2:5], off offset:624
	v_cmpx_lt_u32_e32 38, v140
	s_cbranch_execz .LBB46_219
; %bb.218:
	scratch_load_b128 v[5:8], v159, off
	v_mov_b32_e32 v2, v1
	v_mov_b32_e32 v3, v1
	;; [unrolled: 1-line block ×3, first 2 shown]
	scratch_store_b128 off, v[1:4], off offset:608
	s_waitcnt vmcnt(0)
	ds_store_b128 v187, v[5:8]
.LBB46_219:
	s_or_b32 exec_lo, exec_lo, s2
	s_waitcnt lgkmcnt(0)
	s_waitcnt_vscnt null, 0x0
	s_barrier
	buffer_gl0_inv
	s_clause 0x7
	scratch_load_b128 v[2:5], off, off offset:624
	scratch_load_b128 v[6:9], off, off offset:640
	;; [unrolled: 1-line block ×8, first 2 shown]
	ds_load_b128 v[34:37], v1 offset:1376
	ds_load_b128 v[38:41], v1 offset:1392
	s_mov_b32 s2, exec_lo
	s_waitcnt vmcnt(7) lgkmcnt(1)
	v_mul_f64 v[42:43], v[36:37], v[4:5]
	v_mul_f64 v[4:5], v[34:35], v[4:5]
	s_waitcnt vmcnt(6) lgkmcnt(0)
	v_mul_f64 v[44:45], v[38:39], v[8:9]
	v_mul_f64 v[8:9], v[40:41], v[8:9]
	s_delay_alu instid0(VALU_DEP_4) | instskip(NEXT) | instid1(VALU_DEP_4)
	v_fma_f64 v[42:43], v[34:35], v[2:3], -v[42:43]
	v_fma_f64 v[188:189], v[36:37], v[2:3], v[4:5]
	ds_load_b128 v[2:5], v1 offset:1408
	scratch_load_b128 v[34:37], off, off offset:608
	v_fma_f64 v[40:41], v[40:41], v[6:7], v[44:45]
	v_fma_f64 v[38:39], v[38:39], v[6:7], -v[8:9]
	ds_load_b128 v[6:9], v1 offset:1424
	s_waitcnt vmcnt(6) lgkmcnt(1)
	v_mul_f64 v[190:191], v[2:3], v[12:13]
	v_mul_f64 v[12:13], v[4:5], v[12:13]
	v_add_f64 v[42:43], v[42:43], 0
	v_add_f64 v[44:45], v[188:189], 0
	s_waitcnt vmcnt(5) lgkmcnt(0)
	v_mul_f64 v[188:189], v[6:7], v[16:17]
	v_mul_f64 v[16:17], v[8:9], v[16:17]
	v_fma_f64 v[190:191], v[4:5], v[10:11], v[190:191]
	v_fma_f64 v[10:11], v[2:3], v[10:11], -v[12:13]
	ds_load_b128 v[2:5], v1 offset:1440
	v_add_f64 v[12:13], v[42:43], v[38:39]
	v_add_f64 v[38:39], v[44:45], v[40:41]
	v_fma_f64 v[42:43], v[8:9], v[14:15], v[188:189]
	v_fma_f64 v[14:15], v[6:7], v[14:15], -v[16:17]
	ds_load_b128 v[6:9], v1 offset:1456
	s_waitcnt vmcnt(4) lgkmcnt(1)
	v_mul_f64 v[40:41], v[2:3], v[20:21]
	v_mul_f64 v[20:21], v[4:5], v[20:21]
	s_waitcnt vmcnt(3) lgkmcnt(0)
	v_mul_f64 v[16:17], v[6:7], v[24:25]
	v_mul_f64 v[24:25], v[8:9], v[24:25]
	v_add_f64 v[10:11], v[12:13], v[10:11]
	v_add_f64 v[12:13], v[38:39], v[190:191]
	v_fma_f64 v[38:39], v[4:5], v[18:19], v[40:41]
	v_fma_f64 v[18:19], v[2:3], v[18:19], -v[20:21]
	ds_load_b128 v[2:5], v1 offset:1472
	v_fma_f64 v[16:17], v[8:9], v[22:23], v[16:17]
	v_fma_f64 v[22:23], v[6:7], v[22:23], -v[24:25]
	ds_load_b128 v[6:9], v1 offset:1488
	s_waitcnt vmcnt(2) lgkmcnt(1)
	v_mul_f64 v[20:21], v[4:5], v[28:29]
	v_add_f64 v[10:11], v[10:11], v[14:15]
	v_add_f64 v[12:13], v[12:13], v[42:43]
	v_mul_f64 v[14:15], v[2:3], v[28:29]
	s_waitcnt vmcnt(1) lgkmcnt(0)
	v_mul_f64 v[24:25], v[8:9], v[32:33]
	v_fma_f64 v[1:2], v[2:3], v[26:27], -v[20:21]
	v_add_f64 v[10:11], v[10:11], v[18:19]
	v_add_f64 v[12:13], v[12:13], v[38:39]
	v_mul_f64 v[18:19], v[6:7], v[32:33]
	v_fma_f64 v[4:5], v[4:5], v[26:27], v[14:15]
	v_fma_f64 v[6:7], v[6:7], v[30:31], -v[24:25]
	v_add_f64 v[10:11], v[10:11], v[22:23]
	v_add_f64 v[12:13], v[12:13], v[16:17]
	v_fma_f64 v[8:9], v[8:9], v[30:31], v[18:19]
	s_delay_alu instid0(VALU_DEP_3) | instskip(NEXT) | instid1(VALU_DEP_3)
	v_add_f64 v[1:2], v[10:11], v[1:2]
	v_add_f64 v[3:4], v[12:13], v[4:5]
	s_delay_alu instid0(VALU_DEP_2) | instskip(NEXT) | instid1(VALU_DEP_2)
	v_add_f64 v[1:2], v[1:2], v[6:7]
	v_add_f64 v[3:4], v[3:4], v[8:9]
	s_waitcnt vmcnt(0)
	s_delay_alu instid0(VALU_DEP_2) | instskip(NEXT) | instid1(VALU_DEP_2)
	v_add_f64 v[1:2], v[34:35], -v[1:2]
	v_add_f64 v[3:4], v[36:37], -v[3:4]
	scratch_store_b128 off, v[1:4], off offset:608
	v_cmpx_lt_u32_e32 37, v140
	s_cbranch_execz .LBB46_221
; %bb.220:
	scratch_load_b128 v[1:4], v161, off
	v_mov_b32_e32 v5, 0
	s_delay_alu instid0(VALU_DEP_1)
	v_mov_b32_e32 v6, v5
	v_mov_b32_e32 v7, v5
	;; [unrolled: 1-line block ×3, first 2 shown]
	scratch_store_b128 off, v[5:8], off offset:592
	s_waitcnt vmcnt(0)
	ds_store_b128 v187, v[1:4]
.LBB46_221:
	s_or_b32 exec_lo, exec_lo, s2
	s_waitcnt lgkmcnt(0)
	s_waitcnt_vscnt null, 0x0
	s_barrier
	buffer_gl0_inv
	s_clause 0x7
	scratch_load_b128 v[2:5], off, off offset:608
	scratch_load_b128 v[6:9], off, off offset:624
	;; [unrolled: 1-line block ×8, first 2 shown]
	v_mov_b32_e32 v1, 0
	s_mov_b32 s2, exec_lo
	ds_load_b128 v[34:37], v1 offset:1360
	s_clause 0x1
	scratch_load_b128 v[38:41], off, off offset:736
	scratch_load_b128 v[42:45], off, off offset:592
	ds_load_b128 v[188:191], v1 offset:1376
	s_waitcnt vmcnt(9) lgkmcnt(1)
	v_mul_f64 v[192:193], v[36:37], v[4:5]
	v_mul_f64 v[4:5], v[34:35], v[4:5]
	s_waitcnt vmcnt(8) lgkmcnt(0)
	v_mul_f64 v[194:195], v[188:189], v[8:9]
	v_mul_f64 v[8:9], v[190:191], v[8:9]
	s_delay_alu instid0(VALU_DEP_4) | instskip(NEXT) | instid1(VALU_DEP_4)
	v_fma_f64 v[192:193], v[34:35], v[2:3], -v[192:193]
	v_fma_f64 v[196:197], v[36:37], v[2:3], v[4:5]
	ds_load_b128 v[2:5], v1 offset:1392
	ds_load_b128 v[34:37], v1 offset:1408
	v_fma_f64 v[190:191], v[190:191], v[6:7], v[194:195]
	v_fma_f64 v[6:7], v[188:189], v[6:7], -v[8:9]
	s_waitcnt vmcnt(7) lgkmcnt(1)
	v_mul_f64 v[198:199], v[2:3], v[12:13]
	v_mul_f64 v[12:13], v[4:5], v[12:13]
	v_add_f64 v[8:9], v[192:193], 0
	v_add_f64 v[188:189], v[196:197], 0
	s_waitcnt vmcnt(6) lgkmcnt(0)
	v_mul_f64 v[192:193], v[34:35], v[16:17]
	v_mul_f64 v[16:17], v[36:37], v[16:17]
	v_fma_f64 v[194:195], v[4:5], v[10:11], v[198:199]
	v_fma_f64 v[10:11], v[2:3], v[10:11], -v[12:13]
	v_add_f64 v[12:13], v[8:9], v[6:7]
	v_add_f64 v[188:189], v[188:189], v[190:191]
	ds_load_b128 v[2:5], v1 offset:1424
	ds_load_b128 v[6:9], v1 offset:1440
	v_fma_f64 v[36:37], v[36:37], v[14:15], v[192:193]
	v_fma_f64 v[14:15], v[34:35], v[14:15], -v[16:17]
	s_waitcnt vmcnt(5) lgkmcnt(1)
	v_mul_f64 v[190:191], v[2:3], v[20:21]
	v_mul_f64 v[20:21], v[4:5], v[20:21]
	s_waitcnt vmcnt(4) lgkmcnt(0)
	v_mul_f64 v[16:17], v[6:7], v[24:25]
	v_mul_f64 v[24:25], v[8:9], v[24:25]
	v_add_f64 v[10:11], v[12:13], v[10:11]
	v_add_f64 v[12:13], v[188:189], v[194:195]
	v_fma_f64 v[34:35], v[4:5], v[18:19], v[190:191]
	v_fma_f64 v[18:19], v[2:3], v[18:19], -v[20:21]
	v_fma_f64 v[8:9], v[8:9], v[22:23], v[16:17]
	v_fma_f64 v[6:7], v[6:7], v[22:23], -v[24:25]
	v_add_f64 v[14:15], v[10:11], v[14:15]
	v_add_f64 v[20:21], v[12:13], v[36:37]
	ds_load_b128 v[2:5], v1 offset:1456
	ds_load_b128 v[10:13], v1 offset:1472
	s_waitcnt vmcnt(3) lgkmcnt(1)
	v_mul_f64 v[36:37], v[2:3], v[28:29]
	v_mul_f64 v[28:29], v[4:5], v[28:29]
	v_add_f64 v[14:15], v[14:15], v[18:19]
	v_add_f64 v[16:17], v[20:21], v[34:35]
	s_waitcnt vmcnt(2) lgkmcnt(0)
	v_mul_f64 v[18:19], v[10:11], v[32:33]
	v_mul_f64 v[20:21], v[12:13], v[32:33]
	v_fma_f64 v[22:23], v[4:5], v[26:27], v[36:37]
	v_fma_f64 v[24:25], v[2:3], v[26:27], -v[28:29]
	ds_load_b128 v[2:5], v1 offset:1488
	v_add_f64 v[6:7], v[14:15], v[6:7]
	v_add_f64 v[8:9], v[16:17], v[8:9]
	v_fma_f64 v[12:13], v[12:13], v[30:31], v[18:19]
	v_fma_f64 v[10:11], v[10:11], v[30:31], -v[20:21]
	s_waitcnt vmcnt(1) lgkmcnt(0)
	v_mul_f64 v[14:15], v[2:3], v[40:41]
	v_mul_f64 v[16:17], v[4:5], v[40:41]
	v_add_f64 v[6:7], v[6:7], v[24:25]
	v_add_f64 v[8:9], v[8:9], v[22:23]
	s_delay_alu instid0(VALU_DEP_4) | instskip(NEXT) | instid1(VALU_DEP_4)
	v_fma_f64 v[4:5], v[4:5], v[38:39], v[14:15]
	v_fma_f64 v[2:3], v[2:3], v[38:39], -v[16:17]
	s_delay_alu instid0(VALU_DEP_4) | instskip(NEXT) | instid1(VALU_DEP_4)
	v_add_f64 v[6:7], v[6:7], v[10:11]
	v_add_f64 v[8:9], v[8:9], v[12:13]
	s_delay_alu instid0(VALU_DEP_2) | instskip(NEXT) | instid1(VALU_DEP_2)
	v_add_f64 v[2:3], v[6:7], v[2:3]
	v_add_f64 v[4:5], v[8:9], v[4:5]
	s_waitcnt vmcnt(0)
	s_delay_alu instid0(VALU_DEP_2) | instskip(NEXT) | instid1(VALU_DEP_2)
	v_add_f64 v[2:3], v[42:43], -v[2:3]
	v_add_f64 v[4:5], v[44:45], -v[4:5]
	scratch_store_b128 off, v[2:5], off offset:592
	v_cmpx_lt_u32_e32 36, v140
	s_cbranch_execz .LBB46_223
; %bb.222:
	scratch_load_b128 v[5:8], v164, off
	v_mov_b32_e32 v2, v1
	v_mov_b32_e32 v3, v1
	;; [unrolled: 1-line block ×3, first 2 shown]
	scratch_store_b128 off, v[1:4], off offset:576
	s_waitcnt vmcnt(0)
	ds_store_b128 v187, v[5:8]
.LBB46_223:
	s_or_b32 exec_lo, exec_lo, s2
	s_waitcnt lgkmcnt(0)
	s_waitcnt_vscnt null, 0x0
	s_barrier
	buffer_gl0_inv
	s_clause 0x8
	scratch_load_b128 v[2:5], off, off offset:592
	scratch_load_b128 v[6:9], off, off offset:608
	;; [unrolled: 1-line block ×9, first 2 shown]
	ds_load_b128 v[38:41], v1 offset:1344
	ds_load_b128 v[42:45], v1 offset:1360
	s_clause 0x1
	scratch_load_b128 v[188:191], off, off offset:576
	scratch_load_b128 v[192:195], off, off offset:736
	s_mov_b32 s2, exec_lo
	s_waitcnt vmcnt(10) lgkmcnt(1)
	v_mul_f64 v[196:197], v[40:41], v[4:5]
	v_mul_f64 v[4:5], v[38:39], v[4:5]
	s_waitcnt vmcnt(9) lgkmcnt(0)
	v_mul_f64 v[198:199], v[42:43], v[8:9]
	v_mul_f64 v[8:9], v[44:45], v[8:9]
	s_delay_alu instid0(VALU_DEP_4) | instskip(NEXT) | instid1(VALU_DEP_4)
	v_fma_f64 v[196:197], v[38:39], v[2:3], -v[196:197]
	v_fma_f64 v[200:201], v[40:41], v[2:3], v[4:5]
	ds_load_b128 v[2:5], v1 offset:1376
	ds_load_b128 v[38:41], v1 offset:1392
	v_fma_f64 v[44:45], v[44:45], v[6:7], v[198:199]
	v_fma_f64 v[6:7], v[42:43], v[6:7], -v[8:9]
	s_waitcnt vmcnt(8) lgkmcnt(1)
	v_mul_f64 v[202:203], v[2:3], v[12:13]
	v_mul_f64 v[12:13], v[4:5], v[12:13]
	v_add_f64 v[8:9], v[196:197], 0
	v_add_f64 v[42:43], v[200:201], 0
	s_waitcnt vmcnt(7) lgkmcnt(0)
	v_mul_f64 v[196:197], v[38:39], v[16:17]
	v_mul_f64 v[16:17], v[40:41], v[16:17]
	v_fma_f64 v[198:199], v[4:5], v[10:11], v[202:203]
	v_fma_f64 v[10:11], v[2:3], v[10:11], -v[12:13]
	v_add_f64 v[12:13], v[8:9], v[6:7]
	v_add_f64 v[42:43], v[42:43], v[44:45]
	ds_load_b128 v[2:5], v1 offset:1408
	ds_load_b128 v[6:9], v1 offset:1424
	v_fma_f64 v[40:41], v[40:41], v[14:15], v[196:197]
	v_fma_f64 v[14:15], v[38:39], v[14:15], -v[16:17]
	s_waitcnt vmcnt(6) lgkmcnt(1)
	v_mul_f64 v[44:45], v[2:3], v[20:21]
	v_mul_f64 v[20:21], v[4:5], v[20:21]
	s_waitcnt vmcnt(5) lgkmcnt(0)
	v_mul_f64 v[16:17], v[6:7], v[24:25]
	v_mul_f64 v[24:25], v[8:9], v[24:25]
	v_add_f64 v[10:11], v[12:13], v[10:11]
	v_add_f64 v[12:13], v[42:43], v[198:199]
	v_fma_f64 v[38:39], v[4:5], v[18:19], v[44:45]
	v_fma_f64 v[18:19], v[2:3], v[18:19], -v[20:21]
	v_fma_f64 v[8:9], v[8:9], v[22:23], v[16:17]
	v_fma_f64 v[6:7], v[6:7], v[22:23], -v[24:25]
	v_add_f64 v[14:15], v[10:11], v[14:15]
	v_add_f64 v[20:21], v[12:13], v[40:41]
	ds_load_b128 v[2:5], v1 offset:1440
	ds_load_b128 v[10:13], v1 offset:1456
	s_waitcnt vmcnt(4) lgkmcnt(1)
	v_mul_f64 v[40:41], v[2:3], v[28:29]
	v_mul_f64 v[28:29], v[4:5], v[28:29]
	v_add_f64 v[14:15], v[14:15], v[18:19]
	v_add_f64 v[16:17], v[20:21], v[38:39]
	s_waitcnt vmcnt(3) lgkmcnt(0)
	v_mul_f64 v[18:19], v[10:11], v[32:33]
	v_mul_f64 v[20:21], v[12:13], v[32:33]
	v_fma_f64 v[22:23], v[4:5], v[26:27], v[40:41]
	v_fma_f64 v[24:25], v[2:3], v[26:27], -v[28:29]
	v_add_f64 v[14:15], v[14:15], v[6:7]
	v_add_f64 v[16:17], v[16:17], v[8:9]
	ds_load_b128 v[2:5], v1 offset:1472
	ds_load_b128 v[6:9], v1 offset:1488
	v_fma_f64 v[12:13], v[12:13], v[30:31], v[18:19]
	v_fma_f64 v[10:11], v[10:11], v[30:31], -v[20:21]
	s_waitcnt vmcnt(2) lgkmcnt(1)
	v_mul_f64 v[26:27], v[2:3], v[36:37]
	v_mul_f64 v[28:29], v[4:5], v[36:37]
	s_waitcnt vmcnt(0) lgkmcnt(0)
	v_mul_f64 v[18:19], v[6:7], v[194:195]
	v_mul_f64 v[20:21], v[8:9], v[194:195]
	v_add_f64 v[14:15], v[14:15], v[24:25]
	v_add_f64 v[16:17], v[16:17], v[22:23]
	v_fma_f64 v[4:5], v[4:5], v[34:35], v[26:27]
	v_fma_f64 v[1:2], v[2:3], v[34:35], -v[28:29]
	v_fma_f64 v[8:9], v[8:9], v[192:193], v[18:19]
	v_fma_f64 v[6:7], v[6:7], v[192:193], -v[20:21]
	v_add_f64 v[10:11], v[14:15], v[10:11]
	v_add_f64 v[12:13], v[16:17], v[12:13]
	s_delay_alu instid0(VALU_DEP_2) | instskip(NEXT) | instid1(VALU_DEP_2)
	v_add_f64 v[1:2], v[10:11], v[1:2]
	v_add_f64 v[3:4], v[12:13], v[4:5]
	s_delay_alu instid0(VALU_DEP_2) | instskip(NEXT) | instid1(VALU_DEP_2)
	;; [unrolled: 3-line block ×3, first 2 shown]
	v_add_f64 v[1:2], v[188:189], -v[1:2]
	v_add_f64 v[3:4], v[190:191], -v[3:4]
	scratch_store_b128 off, v[1:4], off offset:576
	v_cmpx_lt_u32_e32 35, v140
	s_cbranch_execz .LBB46_225
; %bb.224:
	scratch_load_b128 v[1:4], v141, off
	v_mov_b32_e32 v5, 0
	s_delay_alu instid0(VALU_DEP_1)
	v_mov_b32_e32 v6, v5
	v_mov_b32_e32 v7, v5
	;; [unrolled: 1-line block ×3, first 2 shown]
	scratch_store_b128 off, v[5:8], off offset:560
	s_waitcnt vmcnt(0)
	ds_store_b128 v187, v[1:4]
.LBB46_225:
	s_or_b32 exec_lo, exec_lo, s2
	s_waitcnt lgkmcnt(0)
	s_waitcnt_vscnt null, 0x0
	s_barrier
	buffer_gl0_inv
	s_clause 0x7
	scratch_load_b128 v[2:5], off, off offset:576
	scratch_load_b128 v[6:9], off, off offset:592
	;; [unrolled: 1-line block ×8, first 2 shown]
	v_mov_b32_e32 v1, 0
	s_mov_b32 s2, exec_lo
	ds_load_b128 v[34:37], v1 offset:1328
	s_clause 0x1
	scratch_load_b128 v[38:41], off, off offset:704
	scratch_load_b128 v[42:45], off, off offset:560
	ds_load_b128 v[188:191], v1 offset:1344
	scratch_load_b128 v[192:195], off, off offset:720
	s_waitcnt vmcnt(10) lgkmcnt(1)
	v_mul_f64 v[196:197], v[36:37], v[4:5]
	v_mul_f64 v[4:5], v[34:35], v[4:5]
	s_delay_alu instid0(VALU_DEP_2) | instskip(NEXT) | instid1(VALU_DEP_2)
	v_fma_f64 v[202:203], v[34:35], v[2:3], -v[196:197]
	v_fma_f64 v[204:205], v[36:37], v[2:3], v[4:5]
	scratch_load_b128 v[34:37], off, off offset:736
	ds_load_b128 v[2:5], v1 offset:1360
	s_waitcnt vmcnt(10) lgkmcnt(1)
	v_mul_f64 v[200:201], v[188:189], v[8:9]
	v_mul_f64 v[8:9], v[190:191], v[8:9]
	ds_load_b128 v[196:199], v1 offset:1376
	s_waitcnt vmcnt(9) lgkmcnt(1)
	v_mul_f64 v[206:207], v[2:3], v[12:13]
	v_mul_f64 v[12:13], v[4:5], v[12:13]
	v_fma_f64 v[190:191], v[190:191], v[6:7], v[200:201]
	v_fma_f64 v[6:7], v[188:189], v[6:7], -v[8:9]
	v_add_f64 v[8:9], v[202:203], 0
	v_add_f64 v[188:189], v[204:205], 0
	s_waitcnt vmcnt(8) lgkmcnt(0)
	v_mul_f64 v[200:201], v[196:197], v[16:17]
	v_mul_f64 v[16:17], v[198:199], v[16:17]
	v_fma_f64 v[202:203], v[4:5], v[10:11], v[206:207]
	v_fma_f64 v[10:11], v[2:3], v[10:11], -v[12:13]
	v_add_f64 v[12:13], v[8:9], v[6:7]
	v_add_f64 v[188:189], v[188:189], v[190:191]
	ds_load_b128 v[2:5], v1 offset:1392
	ds_load_b128 v[6:9], v1 offset:1408
	v_fma_f64 v[198:199], v[198:199], v[14:15], v[200:201]
	v_fma_f64 v[14:15], v[196:197], v[14:15], -v[16:17]
	s_waitcnt vmcnt(7) lgkmcnt(1)
	v_mul_f64 v[190:191], v[2:3], v[20:21]
	v_mul_f64 v[20:21], v[4:5], v[20:21]
	s_waitcnt vmcnt(6) lgkmcnt(0)
	v_mul_f64 v[16:17], v[6:7], v[24:25]
	v_mul_f64 v[24:25], v[8:9], v[24:25]
	v_add_f64 v[10:11], v[12:13], v[10:11]
	v_add_f64 v[12:13], v[188:189], v[202:203]
	v_fma_f64 v[188:189], v[4:5], v[18:19], v[190:191]
	v_fma_f64 v[18:19], v[2:3], v[18:19], -v[20:21]
	v_fma_f64 v[8:9], v[8:9], v[22:23], v[16:17]
	v_fma_f64 v[6:7], v[6:7], v[22:23], -v[24:25]
	v_add_f64 v[14:15], v[10:11], v[14:15]
	v_add_f64 v[20:21], v[12:13], v[198:199]
	ds_load_b128 v[2:5], v1 offset:1424
	ds_load_b128 v[10:13], v1 offset:1440
	s_waitcnt vmcnt(5) lgkmcnt(1)
	v_mul_f64 v[190:191], v[2:3], v[28:29]
	v_mul_f64 v[28:29], v[4:5], v[28:29]
	v_add_f64 v[14:15], v[14:15], v[18:19]
	v_add_f64 v[16:17], v[20:21], v[188:189]
	s_waitcnt vmcnt(4) lgkmcnt(0)
	v_mul_f64 v[18:19], v[10:11], v[32:33]
	v_mul_f64 v[20:21], v[12:13], v[32:33]
	v_fma_f64 v[22:23], v[4:5], v[26:27], v[190:191]
	v_fma_f64 v[24:25], v[2:3], v[26:27], -v[28:29]
	v_add_f64 v[14:15], v[14:15], v[6:7]
	v_add_f64 v[16:17], v[16:17], v[8:9]
	ds_load_b128 v[2:5], v1 offset:1456
	ds_load_b128 v[6:9], v1 offset:1472
	v_fma_f64 v[12:13], v[12:13], v[30:31], v[18:19]
	v_fma_f64 v[10:11], v[10:11], v[30:31], -v[20:21]
	s_waitcnt vmcnt(3) lgkmcnt(1)
	v_mul_f64 v[26:27], v[2:3], v[40:41]
	v_mul_f64 v[28:29], v[4:5], v[40:41]
	s_waitcnt vmcnt(1) lgkmcnt(0)
	v_mul_f64 v[18:19], v[6:7], v[194:195]
	v_mul_f64 v[20:21], v[8:9], v[194:195]
	v_add_f64 v[14:15], v[14:15], v[24:25]
	v_add_f64 v[16:17], v[16:17], v[22:23]
	v_fma_f64 v[22:23], v[4:5], v[38:39], v[26:27]
	v_fma_f64 v[24:25], v[2:3], v[38:39], -v[28:29]
	ds_load_b128 v[2:5], v1 offset:1488
	v_fma_f64 v[8:9], v[8:9], v[192:193], v[18:19]
	v_fma_f64 v[6:7], v[6:7], v[192:193], -v[20:21]
	v_add_f64 v[10:11], v[14:15], v[10:11]
	v_add_f64 v[12:13], v[16:17], v[12:13]
	s_waitcnt vmcnt(0) lgkmcnt(0)
	v_mul_f64 v[14:15], v[2:3], v[36:37]
	v_mul_f64 v[16:17], v[4:5], v[36:37]
	s_delay_alu instid0(VALU_DEP_4) | instskip(NEXT) | instid1(VALU_DEP_4)
	v_add_f64 v[10:11], v[10:11], v[24:25]
	v_add_f64 v[12:13], v[12:13], v[22:23]
	s_delay_alu instid0(VALU_DEP_4) | instskip(NEXT) | instid1(VALU_DEP_4)
	v_fma_f64 v[4:5], v[4:5], v[34:35], v[14:15]
	v_fma_f64 v[2:3], v[2:3], v[34:35], -v[16:17]
	s_delay_alu instid0(VALU_DEP_4) | instskip(NEXT) | instid1(VALU_DEP_4)
	v_add_f64 v[6:7], v[10:11], v[6:7]
	v_add_f64 v[8:9], v[12:13], v[8:9]
	s_delay_alu instid0(VALU_DEP_2) | instskip(NEXT) | instid1(VALU_DEP_2)
	v_add_f64 v[2:3], v[6:7], v[2:3]
	v_add_f64 v[4:5], v[8:9], v[4:5]
	s_delay_alu instid0(VALU_DEP_2) | instskip(NEXT) | instid1(VALU_DEP_2)
	v_add_f64 v[2:3], v[42:43], -v[2:3]
	v_add_f64 v[4:5], v[44:45], -v[4:5]
	scratch_store_b128 off, v[2:5], off offset:560
	v_cmpx_lt_u32_e32 34, v140
	s_cbranch_execz .LBB46_227
; %bb.226:
	scratch_load_b128 v[5:8], v144, off
	v_mov_b32_e32 v2, v1
	v_mov_b32_e32 v3, v1
	v_mov_b32_e32 v4, v1
	scratch_store_b128 off, v[1:4], off offset:544
	s_waitcnt vmcnt(0)
	ds_store_b128 v187, v[5:8]
.LBB46_227:
	s_or_b32 exec_lo, exec_lo, s2
	s_waitcnt lgkmcnt(0)
	s_waitcnt_vscnt null, 0x0
	s_barrier
	buffer_gl0_inv
	s_clause 0x8
	scratch_load_b128 v[2:5], off, off offset:560
	scratch_load_b128 v[6:9], off, off offset:576
	;; [unrolled: 1-line block ×9, first 2 shown]
	ds_load_b128 v[38:41], v1 offset:1312
	ds_load_b128 v[42:45], v1 offset:1328
	s_clause 0x1
	scratch_load_b128 v[188:191], off, off offset:544
	scratch_load_b128 v[192:195], off, off offset:704
	s_mov_b32 s2, exec_lo
	s_waitcnt vmcnt(10) lgkmcnt(1)
	v_mul_f64 v[196:197], v[40:41], v[4:5]
	v_mul_f64 v[4:5], v[38:39], v[4:5]
	s_waitcnt vmcnt(9) lgkmcnt(0)
	v_mul_f64 v[200:201], v[42:43], v[8:9]
	v_mul_f64 v[8:9], v[44:45], v[8:9]
	s_delay_alu instid0(VALU_DEP_4) | instskip(NEXT) | instid1(VALU_DEP_4)
	v_fma_f64 v[202:203], v[38:39], v[2:3], -v[196:197]
	v_fma_f64 v[204:205], v[40:41], v[2:3], v[4:5]
	ds_load_b128 v[2:5], v1 offset:1344
	ds_load_b128 v[196:199], v1 offset:1360
	scratch_load_b128 v[38:41], off, off offset:720
	v_fma_f64 v[44:45], v[44:45], v[6:7], v[200:201]
	v_fma_f64 v[42:43], v[42:43], v[6:7], -v[8:9]
	scratch_load_b128 v[6:9], off, off offset:736
	s_waitcnt vmcnt(10) lgkmcnt(1)
	v_mul_f64 v[206:207], v[2:3], v[12:13]
	v_mul_f64 v[12:13], v[4:5], v[12:13]
	v_add_f64 v[200:201], v[202:203], 0
	v_add_f64 v[202:203], v[204:205], 0
	s_waitcnt vmcnt(9) lgkmcnt(0)
	v_mul_f64 v[204:205], v[196:197], v[16:17]
	v_mul_f64 v[16:17], v[198:199], v[16:17]
	v_fma_f64 v[206:207], v[4:5], v[10:11], v[206:207]
	v_fma_f64 v[208:209], v[2:3], v[10:11], -v[12:13]
	ds_load_b128 v[2:5], v1 offset:1376
	ds_load_b128 v[10:13], v1 offset:1392
	v_add_f64 v[42:43], v[200:201], v[42:43]
	v_add_f64 v[44:45], v[202:203], v[44:45]
	v_fma_f64 v[198:199], v[198:199], v[14:15], v[204:205]
	v_fma_f64 v[14:15], v[196:197], v[14:15], -v[16:17]
	s_waitcnt vmcnt(8) lgkmcnt(1)
	v_mul_f64 v[200:201], v[2:3], v[20:21]
	v_mul_f64 v[20:21], v[4:5], v[20:21]
	v_add_f64 v[16:17], v[42:43], v[208:209]
	v_add_f64 v[42:43], v[44:45], v[206:207]
	s_waitcnt vmcnt(7) lgkmcnt(0)
	v_mul_f64 v[44:45], v[10:11], v[24:25]
	v_mul_f64 v[24:25], v[12:13], v[24:25]
	v_fma_f64 v[196:197], v[4:5], v[18:19], v[200:201]
	v_fma_f64 v[18:19], v[2:3], v[18:19], -v[20:21]
	v_add_f64 v[20:21], v[16:17], v[14:15]
	v_add_f64 v[42:43], v[42:43], v[198:199]
	ds_load_b128 v[2:5], v1 offset:1408
	ds_load_b128 v[14:17], v1 offset:1424
	v_fma_f64 v[12:13], v[12:13], v[22:23], v[44:45]
	v_fma_f64 v[10:11], v[10:11], v[22:23], -v[24:25]
	s_waitcnt vmcnt(6) lgkmcnt(1)
	v_mul_f64 v[198:199], v[2:3], v[28:29]
	v_mul_f64 v[28:29], v[4:5], v[28:29]
	s_waitcnt vmcnt(5) lgkmcnt(0)
	v_mul_f64 v[22:23], v[14:15], v[32:33]
	v_mul_f64 v[24:25], v[16:17], v[32:33]
	v_add_f64 v[18:19], v[20:21], v[18:19]
	v_add_f64 v[20:21], v[42:43], v[196:197]
	v_fma_f64 v[32:33], v[4:5], v[26:27], v[198:199]
	v_fma_f64 v[26:27], v[2:3], v[26:27], -v[28:29]
	v_fma_f64 v[16:17], v[16:17], v[30:31], v[22:23]
	v_fma_f64 v[14:15], v[14:15], v[30:31], -v[24:25]
	v_add_f64 v[18:19], v[18:19], v[10:11]
	v_add_f64 v[20:21], v[20:21], v[12:13]
	ds_load_b128 v[2:5], v1 offset:1440
	ds_load_b128 v[10:13], v1 offset:1456
	s_waitcnt vmcnt(4) lgkmcnt(1)
	v_mul_f64 v[28:29], v[2:3], v[36:37]
	v_mul_f64 v[36:37], v[4:5], v[36:37]
	s_waitcnt vmcnt(2) lgkmcnt(0)
	v_mul_f64 v[22:23], v[10:11], v[194:195]
	v_mul_f64 v[24:25], v[12:13], v[194:195]
	v_add_f64 v[18:19], v[18:19], v[26:27]
	v_add_f64 v[20:21], v[20:21], v[32:33]
	v_fma_f64 v[26:27], v[4:5], v[34:35], v[28:29]
	v_fma_f64 v[28:29], v[2:3], v[34:35], -v[36:37]
	v_fma_f64 v[12:13], v[12:13], v[192:193], v[22:23]
	v_fma_f64 v[10:11], v[10:11], v[192:193], -v[24:25]
	v_add_f64 v[18:19], v[18:19], v[14:15]
	v_add_f64 v[20:21], v[20:21], v[16:17]
	ds_load_b128 v[2:5], v1 offset:1472
	ds_load_b128 v[14:17], v1 offset:1488
	s_waitcnt vmcnt(1) lgkmcnt(1)
	v_mul_f64 v[30:31], v[2:3], v[40:41]
	v_mul_f64 v[32:33], v[4:5], v[40:41]
	s_waitcnt vmcnt(0) lgkmcnt(0)
	v_mul_f64 v[22:23], v[14:15], v[8:9]
	v_mul_f64 v[8:9], v[16:17], v[8:9]
	v_add_f64 v[18:19], v[18:19], v[28:29]
	v_add_f64 v[20:21], v[20:21], v[26:27]
	v_fma_f64 v[4:5], v[4:5], v[38:39], v[30:31]
	v_fma_f64 v[1:2], v[2:3], v[38:39], -v[32:33]
	v_fma_f64 v[16:17], v[16:17], v[6:7], v[22:23]
	v_fma_f64 v[6:7], v[14:15], v[6:7], -v[8:9]
	v_add_f64 v[10:11], v[18:19], v[10:11]
	v_add_f64 v[12:13], v[20:21], v[12:13]
	s_delay_alu instid0(VALU_DEP_2) | instskip(NEXT) | instid1(VALU_DEP_2)
	v_add_f64 v[1:2], v[10:11], v[1:2]
	v_add_f64 v[3:4], v[12:13], v[4:5]
	s_delay_alu instid0(VALU_DEP_2) | instskip(NEXT) | instid1(VALU_DEP_2)
	;; [unrolled: 3-line block ×3, first 2 shown]
	v_add_f64 v[1:2], v[188:189], -v[1:2]
	v_add_f64 v[3:4], v[190:191], -v[3:4]
	scratch_store_b128 off, v[1:4], off offset:544
	v_cmpx_lt_u32_e32 33, v140
	s_cbranch_execz .LBB46_229
; %bb.228:
	scratch_load_b128 v[1:4], v145, off
	v_mov_b32_e32 v5, 0
	s_delay_alu instid0(VALU_DEP_1)
	v_mov_b32_e32 v6, v5
	v_mov_b32_e32 v7, v5
	;; [unrolled: 1-line block ×3, first 2 shown]
	scratch_store_b128 off, v[5:8], off offset:528
	s_waitcnt vmcnt(0)
	ds_store_b128 v187, v[1:4]
.LBB46_229:
	s_or_b32 exec_lo, exec_lo, s2
	s_waitcnt lgkmcnt(0)
	s_waitcnt_vscnt null, 0x0
	s_barrier
	buffer_gl0_inv
	s_clause 0x7
	scratch_load_b128 v[2:5], off, off offset:544
	scratch_load_b128 v[6:9], off, off offset:560
	scratch_load_b128 v[10:13], off, off offset:576
	scratch_load_b128 v[14:17], off, off offset:592
	scratch_load_b128 v[18:21], off, off offset:608
	scratch_load_b128 v[22:25], off, off offset:624
	scratch_load_b128 v[26:29], off, off offset:640
	scratch_load_b128 v[30:33], off, off offset:656
	v_mov_b32_e32 v1, 0
	s_mov_b32 s2, exec_lo
	ds_load_b128 v[34:37], v1 offset:1296
	s_clause 0x1
	scratch_load_b128 v[38:41], off, off offset:672
	scratch_load_b128 v[42:45], off, off offset:528
	ds_load_b128 v[188:191], v1 offset:1312
	scratch_load_b128 v[192:195], off, off offset:688
	s_waitcnt vmcnt(10) lgkmcnt(1)
	v_mul_f64 v[196:197], v[36:37], v[4:5]
	v_mul_f64 v[4:5], v[34:35], v[4:5]
	s_delay_alu instid0(VALU_DEP_2) | instskip(NEXT) | instid1(VALU_DEP_2)
	v_fma_f64 v[202:203], v[34:35], v[2:3], -v[196:197]
	v_fma_f64 v[204:205], v[36:37], v[2:3], v[4:5]
	scratch_load_b128 v[34:37], off, off offset:704
	ds_load_b128 v[2:5], v1 offset:1328
	s_waitcnt vmcnt(10) lgkmcnt(1)
	v_mul_f64 v[200:201], v[188:189], v[8:9]
	v_mul_f64 v[8:9], v[190:191], v[8:9]
	ds_load_b128 v[196:199], v1 offset:1344
	s_waitcnt vmcnt(9) lgkmcnt(1)
	v_mul_f64 v[206:207], v[2:3], v[12:13]
	v_mul_f64 v[12:13], v[4:5], v[12:13]
	v_fma_f64 v[190:191], v[190:191], v[6:7], v[200:201]
	v_fma_f64 v[188:189], v[188:189], v[6:7], -v[8:9]
	v_add_f64 v[200:201], v[202:203], 0
	v_add_f64 v[202:203], v[204:205], 0
	scratch_load_b128 v[6:9], off, off offset:720
	v_fma_f64 v[206:207], v[4:5], v[10:11], v[206:207]
	v_fma_f64 v[208:209], v[2:3], v[10:11], -v[12:13]
	scratch_load_b128 v[10:13], off, off offset:736
	ds_load_b128 v[2:5], v1 offset:1360
	s_waitcnt vmcnt(10) lgkmcnt(1)
	v_mul_f64 v[204:205], v[196:197], v[16:17]
	v_mul_f64 v[16:17], v[198:199], v[16:17]
	v_add_f64 v[200:201], v[200:201], v[188:189]
	v_add_f64 v[202:203], v[202:203], v[190:191]
	s_waitcnt vmcnt(9) lgkmcnt(0)
	v_mul_f64 v[210:211], v[2:3], v[20:21]
	v_mul_f64 v[20:21], v[4:5], v[20:21]
	ds_load_b128 v[188:191], v1 offset:1376
	v_fma_f64 v[198:199], v[198:199], v[14:15], v[204:205]
	v_fma_f64 v[14:15], v[196:197], v[14:15], -v[16:17]
	v_add_f64 v[16:17], v[200:201], v[208:209]
	v_add_f64 v[196:197], v[202:203], v[206:207]
	s_waitcnt vmcnt(8) lgkmcnt(0)
	v_mul_f64 v[200:201], v[188:189], v[24:25]
	v_mul_f64 v[24:25], v[190:191], v[24:25]
	v_fma_f64 v[202:203], v[4:5], v[18:19], v[210:211]
	v_fma_f64 v[18:19], v[2:3], v[18:19], -v[20:21]
	v_add_f64 v[20:21], v[16:17], v[14:15]
	v_add_f64 v[196:197], v[196:197], v[198:199]
	ds_load_b128 v[2:5], v1 offset:1392
	ds_load_b128 v[14:17], v1 offset:1408
	v_fma_f64 v[190:191], v[190:191], v[22:23], v[200:201]
	v_fma_f64 v[22:23], v[188:189], v[22:23], -v[24:25]
	s_waitcnt vmcnt(7) lgkmcnt(1)
	v_mul_f64 v[198:199], v[2:3], v[28:29]
	v_mul_f64 v[28:29], v[4:5], v[28:29]
	s_waitcnt vmcnt(6) lgkmcnt(0)
	v_mul_f64 v[24:25], v[14:15], v[32:33]
	v_mul_f64 v[32:33], v[16:17], v[32:33]
	v_add_f64 v[18:19], v[20:21], v[18:19]
	v_add_f64 v[20:21], v[196:197], v[202:203]
	v_fma_f64 v[188:189], v[4:5], v[26:27], v[198:199]
	v_fma_f64 v[26:27], v[2:3], v[26:27], -v[28:29]
	v_fma_f64 v[16:17], v[16:17], v[30:31], v[24:25]
	v_fma_f64 v[14:15], v[14:15], v[30:31], -v[32:33]
	v_add_f64 v[22:23], v[18:19], v[22:23]
	v_add_f64 v[28:29], v[20:21], v[190:191]
	ds_load_b128 v[2:5], v1 offset:1424
	ds_load_b128 v[18:21], v1 offset:1440
	s_waitcnt vmcnt(5) lgkmcnt(1)
	v_mul_f64 v[190:191], v[2:3], v[40:41]
	v_mul_f64 v[40:41], v[4:5], v[40:41]
	v_add_f64 v[22:23], v[22:23], v[26:27]
	v_add_f64 v[24:25], v[28:29], v[188:189]
	s_waitcnt vmcnt(3) lgkmcnt(0)
	v_mul_f64 v[26:27], v[18:19], v[194:195]
	v_mul_f64 v[28:29], v[20:21], v[194:195]
	v_fma_f64 v[30:31], v[4:5], v[38:39], v[190:191]
	v_fma_f64 v[32:33], v[2:3], v[38:39], -v[40:41]
	v_add_f64 v[22:23], v[22:23], v[14:15]
	v_add_f64 v[24:25], v[24:25], v[16:17]
	ds_load_b128 v[2:5], v1 offset:1456
	ds_load_b128 v[14:17], v1 offset:1472
	v_fma_f64 v[20:21], v[20:21], v[192:193], v[26:27]
	v_fma_f64 v[18:19], v[18:19], v[192:193], -v[28:29]
	s_waitcnt vmcnt(2) lgkmcnt(1)
	v_mul_f64 v[38:39], v[2:3], v[36:37]
	v_mul_f64 v[36:37], v[4:5], v[36:37]
	v_add_f64 v[22:23], v[22:23], v[32:33]
	v_add_f64 v[24:25], v[24:25], v[30:31]
	s_waitcnt vmcnt(1) lgkmcnt(0)
	v_mul_f64 v[26:27], v[14:15], v[8:9]
	v_mul_f64 v[8:9], v[16:17], v[8:9]
	v_fma_f64 v[28:29], v[4:5], v[34:35], v[38:39]
	v_fma_f64 v[30:31], v[2:3], v[34:35], -v[36:37]
	ds_load_b128 v[2:5], v1 offset:1488
	v_add_f64 v[18:19], v[22:23], v[18:19]
	v_add_f64 v[20:21], v[24:25], v[20:21]
	s_waitcnt vmcnt(0) lgkmcnt(0)
	v_mul_f64 v[22:23], v[2:3], v[12:13]
	v_mul_f64 v[12:13], v[4:5], v[12:13]
	v_fma_f64 v[16:17], v[16:17], v[6:7], v[26:27]
	v_fma_f64 v[6:7], v[14:15], v[6:7], -v[8:9]
	v_add_f64 v[8:9], v[18:19], v[30:31]
	v_add_f64 v[14:15], v[20:21], v[28:29]
	v_fma_f64 v[4:5], v[4:5], v[10:11], v[22:23]
	v_fma_f64 v[2:3], v[2:3], v[10:11], -v[12:13]
	s_delay_alu instid0(VALU_DEP_4) | instskip(NEXT) | instid1(VALU_DEP_4)
	v_add_f64 v[6:7], v[8:9], v[6:7]
	v_add_f64 v[8:9], v[14:15], v[16:17]
	s_delay_alu instid0(VALU_DEP_2) | instskip(NEXT) | instid1(VALU_DEP_2)
	v_add_f64 v[2:3], v[6:7], v[2:3]
	v_add_f64 v[4:5], v[8:9], v[4:5]
	s_delay_alu instid0(VALU_DEP_2) | instskip(NEXT) | instid1(VALU_DEP_2)
	v_add_f64 v[2:3], v[42:43], -v[2:3]
	v_add_f64 v[4:5], v[44:45], -v[4:5]
	scratch_store_b128 off, v[2:5], off offset:528
	v_cmpx_lt_u32_e32 32, v140
	s_cbranch_execz .LBB46_231
; %bb.230:
	scratch_load_b128 v[5:8], v147, off
	v_mov_b32_e32 v2, v1
	v_mov_b32_e32 v3, v1
	v_mov_b32_e32 v4, v1
	scratch_store_b128 off, v[1:4], off offset:512
	s_waitcnt vmcnt(0)
	ds_store_b128 v187, v[5:8]
.LBB46_231:
	s_or_b32 exec_lo, exec_lo, s2
	s_waitcnt lgkmcnt(0)
	s_waitcnt_vscnt null, 0x0
	s_barrier
	buffer_gl0_inv
	s_clause 0x8
	scratch_load_b128 v[2:5], off, off offset:528
	scratch_load_b128 v[6:9], off, off offset:544
	;; [unrolled: 1-line block ×9, first 2 shown]
	ds_load_b128 v[38:41], v1 offset:1280
	ds_load_b128 v[42:45], v1 offset:1296
	s_clause 0x1
	scratch_load_b128 v[188:191], off, off offset:512
	scratch_load_b128 v[192:195], off, off offset:672
	s_mov_b32 s2, exec_lo
	s_waitcnt vmcnt(10) lgkmcnt(1)
	v_mul_f64 v[196:197], v[40:41], v[4:5]
	v_mul_f64 v[4:5], v[38:39], v[4:5]
	s_waitcnt vmcnt(9) lgkmcnt(0)
	v_mul_f64 v[200:201], v[42:43], v[8:9]
	v_mul_f64 v[8:9], v[44:45], v[8:9]
	s_delay_alu instid0(VALU_DEP_4) | instskip(NEXT) | instid1(VALU_DEP_4)
	v_fma_f64 v[202:203], v[38:39], v[2:3], -v[196:197]
	v_fma_f64 v[204:205], v[40:41], v[2:3], v[4:5]
	ds_load_b128 v[2:5], v1 offset:1312
	ds_load_b128 v[196:199], v1 offset:1328
	scratch_load_b128 v[38:41], off, off offset:688
	v_fma_f64 v[44:45], v[44:45], v[6:7], v[200:201]
	v_fma_f64 v[42:43], v[42:43], v[6:7], -v[8:9]
	scratch_load_b128 v[6:9], off, off offset:704
	s_waitcnt vmcnt(10) lgkmcnt(1)
	v_mul_f64 v[206:207], v[2:3], v[12:13]
	v_mul_f64 v[12:13], v[4:5], v[12:13]
	v_add_f64 v[200:201], v[202:203], 0
	v_add_f64 v[202:203], v[204:205], 0
	s_waitcnt vmcnt(9) lgkmcnt(0)
	v_mul_f64 v[204:205], v[196:197], v[16:17]
	v_mul_f64 v[16:17], v[198:199], v[16:17]
	v_fma_f64 v[206:207], v[4:5], v[10:11], v[206:207]
	v_fma_f64 v[208:209], v[2:3], v[10:11], -v[12:13]
	ds_load_b128 v[2:5], v1 offset:1344
	scratch_load_b128 v[10:13], off, off offset:720
	v_add_f64 v[200:201], v[200:201], v[42:43]
	v_add_f64 v[202:203], v[202:203], v[44:45]
	ds_load_b128 v[42:45], v1 offset:1360
	v_fma_f64 v[198:199], v[198:199], v[14:15], v[204:205]
	v_fma_f64 v[196:197], v[196:197], v[14:15], -v[16:17]
	scratch_load_b128 v[14:17], off, off offset:736
	s_waitcnt vmcnt(10) lgkmcnt(1)
	v_mul_f64 v[210:211], v[2:3], v[20:21]
	v_mul_f64 v[20:21], v[4:5], v[20:21]
	s_waitcnt vmcnt(9) lgkmcnt(0)
	v_mul_f64 v[204:205], v[42:43], v[24:25]
	v_mul_f64 v[24:25], v[44:45], v[24:25]
	v_add_f64 v[200:201], v[200:201], v[208:209]
	v_add_f64 v[202:203], v[202:203], v[206:207]
	v_fma_f64 v[206:207], v[4:5], v[18:19], v[210:211]
	v_fma_f64 v[208:209], v[2:3], v[18:19], -v[20:21]
	ds_load_b128 v[2:5], v1 offset:1376
	ds_load_b128 v[18:21], v1 offset:1392
	v_fma_f64 v[44:45], v[44:45], v[22:23], v[204:205]
	v_fma_f64 v[22:23], v[42:43], v[22:23], -v[24:25]
	v_add_f64 v[196:197], v[200:201], v[196:197]
	v_add_f64 v[198:199], v[202:203], v[198:199]
	s_waitcnt vmcnt(8) lgkmcnt(1)
	v_mul_f64 v[200:201], v[2:3], v[28:29]
	v_mul_f64 v[28:29], v[4:5], v[28:29]
	s_delay_alu instid0(VALU_DEP_4) | instskip(NEXT) | instid1(VALU_DEP_4)
	v_add_f64 v[24:25], v[196:197], v[208:209]
	v_add_f64 v[42:43], v[198:199], v[206:207]
	s_waitcnt vmcnt(7) lgkmcnt(0)
	v_mul_f64 v[196:197], v[18:19], v[32:33]
	v_mul_f64 v[32:33], v[20:21], v[32:33]
	v_fma_f64 v[198:199], v[4:5], v[26:27], v[200:201]
	v_fma_f64 v[26:27], v[2:3], v[26:27], -v[28:29]
	v_add_f64 v[28:29], v[24:25], v[22:23]
	v_add_f64 v[42:43], v[42:43], v[44:45]
	ds_load_b128 v[2:5], v1 offset:1408
	ds_load_b128 v[22:25], v1 offset:1424
	v_fma_f64 v[20:21], v[20:21], v[30:31], v[196:197]
	v_fma_f64 v[18:19], v[18:19], v[30:31], -v[32:33]
	s_waitcnt vmcnt(6) lgkmcnt(1)
	v_mul_f64 v[44:45], v[2:3], v[36:37]
	v_mul_f64 v[36:37], v[4:5], v[36:37]
	s_waitcnt vmcnt(4) lgkmcnt(0)
	v_mul_f64 v[30:31], v[22:23], v[194:195]
	v_mul_f64 v[32:33], v[24:25], v[194:195]
	v_add_f64 v[26:27], v[28:29], v[26:27]
	v_add_f64 v[28:29], v[42:43], v[198:199]
	v_fma_f64 v[42:43], v[4:5], v[34:35], v[44:45]
	v_fma_f64 v[34:35], v[2:3], v[34:35], -v[36:37]
	v_fma_f64 v[24:25], v[24:25], v[192:193], v[30:31]
	v_fma_f64 v[22:23], v[22:23], v[192:193], -v[32:33]
	v_add_f64 v[26:27], v[26:27], v[18:19]
	v_add_f64 v[28:29], v[28:29], v[20:21]
	ds_load_b128 v[2:5], v1 offset:1440
	ds_load_b128 v[18:21], v1 offset:1456
	s_waitcnt vmcnt(3) lgkmcnt(1)
	v_mul_f64 v[36:37], v[2:3], v[40:41]
	v_mul_f64 v[40:41], v[4:5], v[40:41]
	s_waitcnt vmcnt(2) lgkmcnt(0)
	v_mul_f64 v[30:31], v[18:19], v[8:9]
	v_mul_f64 v[8:9], v[20:21], v[8:9]
	v_add_f64 v[26:27], v[26:27], v[34:35]
	v_add_f64 v[28:29], v[28:29], v[42:43]
	v_fma_f64 v[32:33], v[4:5], v[38:39], v[36:37]
	v_fma_f64 v[34:35], v[2:3], v[38:39], -v[40:41]
	v_fma_f64 v[20:21], v[20:21], v[6:7], v[30:31]
	v_fma_f64 v[6:7], v[18:19], v[6:7], -v[8:9]
	v_add_f64 v[26:27], v[26:27], v[22:23]
	v_add_f64 v[28:29], v[28:29], v[24:25]
	ds_load_b128 v[2:5], v1 offset:1472
	ds_load_b128 v[22:25], v1 offset:1488
	s_waitcnt vmcnt(1) lgkmcnt(1)
	v_mul_f64 v[36:37], v[2:3], v[12:13]
	v_mul_f64 v[12:13], v[4:5], v[12:13]
	v_add_f64 v[8:9], v[26:27], v[34:35]
	v_add_f64 v[18:19], v[28:29], v[32:33]
	s_waitcnt vmcnt(0) lgkmcnt(0)
	v_mul_f64 v[26:27], v[22:23], v[16:17]
	v_mul_f64 v[16:17], v[24:25], v[16:17]
	v_fma_f64 v[4:5], v[4:5], v[10:11], v[36:37]
	v_fma_f64 v[1:2], v[2:3], v[10:11], -v[12:13]
	v_add_f64 v[6:7], v[8:9], v[6:7]
	v_add_f64 v[8:9], v[18:19], v[20:21]
	v_fma_f64 v[10:11], v[24:25], v[14:15], v[26:27]
	v_fma_f64 v[12:13], v[22:23], v[14:15], -v[16:17]
	s_delay_alu instid0(VALU_DEP_4) | instskip(NEXT) | instid1(VALU_DEP_4)
	v_add_f64 v[1:2], v[6:7], v[1:2]
	v_add_f64 v[3:4], v[8:9], v[4:5]
	s_delay_alu instid0(VALU_DEP_2) | instskip(NEXT) | instid1(VALU_DEP_2)
	v_add_f64 v[1:2], v[1:2], v[12:13]
	v_add_f64 v[3:4], v[3:4], v[10:11]
	s_delay_alu instid0(VALU_DEP_2) | instskip(NEXT) | instid1(VALU_DEP_2)
	v_add_f64 v[1:2], v[188:189], -v[1:2]
	v_add_f64 v[3:4], v[190:191], -v[3:4]
	scratch_store_b128 off, v[1:4], off offset:512
	v_cmpx_lt_u32_e32 31, v140
	s_cbranch_execz .LBB46_233
; %bb.232:
	scratch_load_b128 v[1:4], v149, off
	v_mov_b32_e32 v5, 0
	s_delay_alu instid0(VALU_DEP_1)
	v_mov_b32_e32 v6, v5
	v_mov_b32_e32 v7, v5
	;; [unrolled: 1-line block ×3, first 2 shown]
	scratch_store_b128 off, v[5:8], off offset:496
	s_waitcnt vmcnt(0)
	ds_store_b128 v187, v[1:4]
.LBB46_233:
	s_or_b32 exec_lo, exec_lo, s2
	s_waitcnt lgkmcnt(0)
	s_waitcnt_vscnt null, 0x0
	s_barrier
	buffer_gl0_inv
	s_clause 0x7
	scratch_load_b128 v[2:5], off, off offset:512
	scratch_load_b128 v[6:9], off, off offset:528
	;; [unrolled: 1-line block ×8, first 2 shown]
	v_mov_b32_e32 v1, 0
	s_mov_b32 s2, exec_lo
	ds_load_b128 v[34:37], v1 offset:1264
	s_clause 0x1
	scratch_load_b128 v[38:41], off, off offset:640
	scratch_load_b128 v[42:45], off, off offset:496
	ds_load_b128 v[188:191], v1 offset:1280
	scratch_load_b128 v[192:195], off, off offset:656
	s_waitcnt vmcnt(10) lgkmcnt(1)
	v_mul_f64 v[196:197], v[36:37], v[4:5]
	v_mul_f64 v[4:5], v[34:35], v[4:5]
	s_delay_alu instid0(VALU_DEP_2) | instskip(NEXT) | instid1(VALU_DEP_2)
	v_fma_f64 v[202:203], v[34:35], v[2:3], -v[196:197]
	v_fma_f64 v[204:205], v[36:37], v[2:3], v[4:5]
	scratch_load_b128 v[34:37], off, off offset:672
	ds_load_b128 v[2:5], v1 offset:1296
	s_waitcnt vmcnt(10) lgkmcnt(1)
	v_mul_f64 v[200:201], v[188:189], v[8:9]
	v_mul_f64 v[8:9], v[190:191], v[8:9]
	ds_load_b128 v[196:199], v1 offset:1312
	s_waitcnt vmcnt(9) lgkmcnt(1)
	v_mul_f64 v[206:207], v[2:3], v[12:13]
	v_mul_f64 v[12:13], v[4:5], v[12:13]
	v_fma_f64 v[190:191], v[190:191], v[6:7], v[200:201]
	v_fma_f64 v[188:189], v[188:189], v[6:7], -v[8:9]
	v_add_f64 v[200:201], v[202:203], 0
	v_add_f64 v[202:203], v[204:205], 0
	scratch_load_b128 v[6:9], off, off offset:688
	v_fma_f64 v[206:207], v[4:5], v[10:11], v[206:207]
	v_fma_f64 v[208:209], v[2:3], v[10:11], -v[12:13]
	scratch_load_b128 v[10:13], off, off offset:704
	ds_load_b128 v[2:5], v1 offset:1328
	s_waitcnt vmcnt(10) lgkmcnt(1)
	v_mul_f64 v[204:205], v[196:197], v[16:17]
	v_mul_f64 v[16:17], v[198:199], v[16:17]
	v_add_f64 v[200:201], v[200:201], v[188:189]
	v_add_f64 v[202:203], v[202:203], v[190:191]
	s_waitcnt vmcnt(9) lgkmcnt(0)
	v_mul_f64 v[210:211], v[2:3], v[20:21]
	v_mul_f64 v[20:21], v[4:5], v[20:21]
	ds_load_b128 v[188:191], v1 offset:1344
	v_fma_f64 v[198:199], v[198:199], v[14:15], v[204:205]
	v_fma_f64 v[196:197], v[196:197], v[14:15], -v[16:17]
	scratch_load_b128 v[14:17], off, off offset:720
	v_add_f64 v[200:201], v[200:201], v[208:209]
	v_add_f64 v[202:203], v[202:203], v[206:207]
	v_fma_f64 v[206:207], v[4:5], v[18:19], v[210:211]
	v_fma_f64 v[208:209], v[2:3], v[18:19], -v[20:21]
	scratch_load_b128 v[18:21], off, off offset:736
	ds_load_b128 v[2:5], v1 offset:1360
	s_waitcnt vmcnt(10) lgkmcnt(1)
	v_mul_f64 v[204:205], v[188:189], v[24:25]
	v_mul_f64 v[24:25], v[190:191], v[24:25]
	s_waitcnt vmcnt(9) lgkmcnt(0)
	v_mul_f64 v[210:211], v[2:3], v[28:29]
	v_mul_f64 v[28:29], v[4:5], v[28:29]
	v_add_f64 v[200:201], v[200:201], v[196:197]
	v_add_f64 v[202:203], v[202:203], v[198:199]
	ds_load_b128 v[196:199], v1 offset:1376
	v_fma_f64 v[190:191], v[190:191], v[22:23], v[204:205]
	v_fma_f64 v[22:23], v[188:189], v[22:23], -v[24:25]
	v_add_f64 v[24:25], v[200:201], v[208:209]
	v_add_f64 v[188:189], v[202:203], v[206:207]
	s_waitcnt vmcnt(8) lgkmcnt(0)
	v_mul_f64 v[200:201], v[196:197], v[32:33]
	v_mul_f64 v[32:33], v[198:199], v[32:33]
	v_fma_f64 v[202:203], v[4:5], v[26:27], v[210:211]
	v_fma_f64 v[26:27], v[2:3], v[26:27], -v[28:29]
	v_add_f64 v[28:29], v[24:25], v[22:23]
	v_add_f64 v[188:189], v[188:189], v[190:191]
	ds_load_b128 v[2:5], v1 offset:1392
	ds_load_b128 v[22:25], v1 offset:1408
	v_fma_f64 v[198:199], v[198:199], v[30:31], v[200:201]
	v_fma_f64 v[30:31], v[196:197], v[30:31], -v[32:33]
	s_waitcnt vmcnt(7) lgkmcnt(1)
	v_mul_f64 v[190:191], v[2:3], v[40:41]
	v_mul_f64 v[40:41], v[4:5], v[40:41]
	s_waitcnt vmcnt(5) lgkmcnt(0)
	v_mul_f64 v[32:33], v[22:23], v[194:195]
	v_add_f64 v[26:27], v[28:29], v[26:27]
	v_add_f64 v[28:29], v[188:189], v[202:203]
	v_mul_f64 v[188:189], v[24:25], v[194:195]
	v_fma_f64 v[190:191], v[4:5], v[38:39], v[190:191]
	v_fma_f64 v[38:39], v[2:3], v[38:39], -v[40:41]
	v_fma_f64 v[24:25], v[24:25], v[192:193], v[32:33]
	v_add_f64 v[30:31], v[26:27], v[30:31]
	v_add_f64 v[40:41], v[28:29], v[198:199]
	ds_load_b128 v[2:5], v1 offset:1424
	ds_load_b128 v[26:29], v1 offset:1440
	v_fma_f64 v[22:23], v[22:23], v[192:193], -v[188:189]
	s_waitcnt vmcnt(4) lgkmcnt(1)
	v_mul_f64 v[194:195], v[2:3], v[36:37]
	v_mul_f64 v[36:37], v[4:5], v[36:37]
	v_add_f64 v[30:31], v[30:31], v[38:39]
	v_add_f64 v[32:33], v[40:41], v[190:191]
	s_waitcnt vmcnt(3) lgkmcnt(0)
	v_mul_f64 v[38:39], v[26:27], v[8:9]
	v_mul_f64 v[8:9], v[28:29], v[8:9]
	v_fma_f64 v[40:41], v[4:5], v[34:35], v[194:195]
	v_fma_f64 v[34:35], v[2:3], v[34:35], -v[36:37]
	v_add_f64 v[30:31], v[30:31], v[22:23]
	v_add_f64 v[32:33], v[32:33], v[24:25]
	ds_load_b128 v[2:5], v1 offset:1456
	ds_load_b128 v[22:25], v1 offset:1472
	v_fma_f64 v[28:29], v[28:29], v[6:7], v[38:39]
	v_fma_f64 v[6:7], v[26:27], v[6:7], -v[8:9]
	s_waitcnt vmcnt(2) lgkmcnt(1)
	v_mul_f64 v[36:37], v[2:3], v[12:13]
	v_mul_f64 v[12:13], v[4:5], v[12:13]
	v_add_f64 v[8:9], v[30:31], v[34:35]
	v_add_f64 v[26:27], v[32:33], v[40:41]
	s_waitcnt vmcnt(1) lgkmcnt(0)
	v_mul_f64 v[30:31], v[22:23], v[16:17]
	v_mul_f64 v[16:17], v[24:25], v[16:17]
	v_fma_f64 v[32:33], v[4:5], v[10:11], v[36:37]
	v_fma_f64 v[10:11], v[2:3], v[10:11], -v[12:13]
	ds_load_b128 v[2:5], v1 offset:1488
	v_add_f64 v[6:7], v[8:9], v[6:7]
	v_add_f64 v[8:9], v[26:27], v[28:29]
	v_fma_f64 v[24:25], v[24:25], v[14:15], v[30:31]
	v_fma_f64 v[14:15], v[22:23], v[14:15], -v[16:17]
	s_waitcnt vmcnt(0) lgkmcnt(0)
	v_mul_f64 v[12:13], v[2:3], v[20:21]
	v_mul_f64 v[20:21], v[4:5], v[20:21]
	v_add_f64 v[6:7], v[6:7], v[10:11]
	v_add_f64 v[8:9], v[8:9], v[32:33]
	s_delay_alu instid0(VALU_DEP_4) | instskip(NEXT) | instid1(VALU_DEP_4)
	v_fma_f64 v[4:5], v[4:5], v[18:19], v[12:13]
	v_fma_f64 v[2:3], v[2:3], v[18:19], -v[20:21]
	s_delay_alu instid0(VALU_DEP_4) | instskip(NEXT) | instid1(VALU_DEP_4)
	v_add_f64 v[6:7], v[6:7], v[14:15]
	v_add_f64 v[8:9], v[8:9], v[24:25]
	s_delay_alu instid0(VALU_DEP_2) | instskip(NEXT) | instid1(VALU_DEP_2)
	v_add_f64 v[2:3], v[6:7], v[2:3]
	v_add_f64 v[4:5], v[8:9], v[4:5]
	s_delay_alu instid0(VALU_DEP_2) | instskip(NEXT) | instid1(VALU_DEP_2)
	v_add_f64 v[2:3], v[42:43], -v[2:3]
	v_add_f64 v[4:5], v[44:45], -v[4:5]
	scratch_store_b128 off, v[2:5], off offset:496
	v_cmpx_lt_u32_e32 30, v140
	s_cbranch_execz .LBB46_235
; %bb.234:
	scratch_load_b128 v[5:8], v151, off
	v_mov_b32_e32 v2, v1
	v_mov_b32_e32 v3, v1
	;; [unrolled: 1-line block ×3, first 2 shown]
	scratch_store_b128 off, v[1:4], off offset:480
	s_waitcnt vmcnt(0)
	ds_store_b128 v187, v[5:8]
.LBB46_235:
	s_or_b32 exec_lo, exec_lo, s2
	s_waitcnt lgkmcnt(0)
	s_waitcnt_vscnt null, 0x0
	s_barrier
	buffer_gl0_inv
	s_clause 0x8
	scratch_load_b128 v[2:5], off, off offset:496
	scratch_load_b128 v[6:9], off, off offset:512
	;; [unrolled: 1-line block ×9, first 2 shown]
	ds_load_b128 v[38:41], v1 offset:1248
	ds_load_b128 v[42:45], v1 offset:1264
	s_clause 0x1
	scratch_load_b128 v[188:191], off, off offset:480
	scratch_load_b128 v[192:195], off, off offset:640
	s_mov_b32 s2, exec_lo
	s_waitcnt vmcnt(10) lgkmcnt(1)
	v_mul_f64 v[196:197], v[40:41], v[4:5]
	v_mul_f64 v[4:5], v[38:39], v[4:5]
	s_waitcnt vmcnt(9) lgkmcnt(0)
	v_mul_f64 v[200:201], v[42:43], v[8:9]
	v_mul_f64 v[8:9], v[44:45], v[8:9]
	s_delay_alu instid0(VALU_DEP_4) | instskip(NEXT) | instid1(VALU_DEP_4)
	v_fma_f64 v[202:203], v[38:39], v[2:3], -v[196:197]
	v_fma_f64 v[204:205], v[40:41], v[2:3], v[4:5]
	ds_load_b128 v[2:5], v1 offset:1280
	ds_load_b128 v[196:199], v1 offset:1296
	scratch_load_b128 v[38:41], off, off offset:656
	v_fma_f64 v[44:45], v[44:45], v[6:7], v[200:201]
	v_fma_f64 v[42:43], v[42:43], v[6:7], -v[8:9]
	scratch_load_b128 v[6:9], off, off offset:672
	s_waitcnt vmcnt(10) lgkmcnt(1)
	v_mul_f64 v[206:207], v[2:3], v[12:13]
	v_mul_f64 v[12:13], v[4:5], v[12:13]
	v_add_f64 v[200:201], v[202:203], 0
	v_add_f64 v[202:203], v[204:205], 0
	s_waitcnt vmcnt(9) lgkmcnt(0)
	v_mul_f64 v[204:205], v[196:197], v[16:17]
	v_mul_f64 v[16:17], v[198:199], v[16:17]
	v_fma_f64 v[206:207], v[4:5], v[10:11], v[206:207]
	v_fma_f64 v[208:209], v[2:3], v[10:11], -v[12:13]
	ds_load_b128 v[2:5], v1 offset:1312
	scratch_load_b128 v[10:13], off, off offset:688
	v_add_f64 v[200:201], v[200:201], v[42:43]
	v_add_f64 v[202:203], v[202:203], v[44:45]
	ds_load_b128 v[42:45], v1 offset:1328
	v_fma_f64 v[198:199], v[198:199], v[14:15], v[204:205]
	v_fma_f64 v[196:197], v[196:197], v[14:15], -v[16:17]
	scratch_load_b128 v[14:17], off, off offset:704
	s_waitcnt vmcnt(10) lgkmcnt(1)
	v_mul_f64 v[210:211], v[2:3], v[20:21]
	v_mul_f64 v[20:21], v[4:5], v[20:21]
	s_waitcnt vmcnt(9) lgkmcnt(0)
	v_mul_f64 v[204:205], v[42:43], v[24:25]
	v_mul_f64 v[24:25], v[44:45], v[24:25]
	v_add_f64 v[200:201], v[200:201], v[208:209]
	v_add_f64 v[202:203], v[202:203], v[206:207]
	v_fma_f64 v[206:207], v[4:5], v[18:19], v[210:211]
	v_fma_f64 v[208:209], v[2:3], v[18:19], -v[20:21]
	ds_load_b128 v[2:5], v1 offset:1344
	scratch_load_b128 v[18:21], off, off offset:720
	v_fma_f64 v[44:45], v[44:45], v[22:23], v[204:205]
	v_fma_f64 v[42:43], v[42:43], v[22:23], -v[24:25]
	scratch_load_b128 v[22:25], off, off offset:736
	v_add_f64 v[200:201], v[200:201], v[196:197]
	v_add_f64 v[202:203], v[202:203], v[198:199]
	ds_load_b128 v[196:199], v1 offset:1360
	s_waitcnt vmcnt(10) lgkmcnt(1)
	v_mul_f64 v[210:211], v[2:3], v[28:29]
	v_mul_f64 v[28:29], v[4:5], v[28:29]
	s_waitcnt vmcnt(9) lgkmcnt(0)
	v_mul_f64 v[204:205], v[196:197], v[32:33]
	v_mul_f64 v[32:33], v[198:199], v[32:33]
	v_add_f64 v[200:201], v[200:201], v[208:209]
	v_add_f64 v[202:203], v[202:203], v[206:207]
	v_fma_f64 v[206:207], v[4:5], v[26:27], v[210:211]
	v_fma_f64 v[208:209], v[2:3], v[26:27], -v[28:29]
	ds_load_b128 v[2:5], v1 offset:1376
	ds_load_b128 v[26:29], v1 offset:1392
	v_fma_f64 v[198:199], v[198:199], v[30:31], v[204:205]
	v_fma_f64 v[30:31], v[196:197], v[30:31], -v[32:33]
	v_add_f64 v[42:43], v[200:201], v[42:43]
	v_add_f64 v[44:45], v[202:203], v[44:45]
	s_waitcnt vmcnt(8) lgkmcnt(1)
	v_mul_f64 v[200:201], v[2:3], v[36:37]
	v_mul_f64 v[36:37], v[4:5], v[36:37]
	s_delay_alu instid0(VALU_DEP_4) | instskip(NEXT) | instid1(VALU_DEP_4)
	v_add_f64 v[32:33], v[42:43], v[208:209]
	v_add_f64 v[42:43], v[44:45], v[206:207]
	s_waitcnt vmcnt(6) lgkmcnt(0)
	v_mul_f64 v[44:45], v[26:27], v[194:195]
	v_mul_f64 v[194:195], v[28:29], v[194:195]
	v_fma_f64 v[196:197], v[4:5], v[34:35], v[200:201]
	v_fma_f64 v[34:35], v[2:3], v[34:35], -v[36:37]
	v_add_f64 v[36:37], v[32:33], v[30:31]
	v_add_f64 v[42:43], v[42:43], v[198:199]
	ds_load_b128 v[2:5], v1 offset:1408
	ds_load_b128 v[30:33], v1 offset:1424
	v_fma_f64 v[28:29], v[28:29], v[192:193], v[44:45]
	v_fma_f64 v[26:27], v[26:27], v[192:193], -v[194:195]
	s_waitcnt vmcnt(5) lgkmcnt(1)
	v_mul_f64 v[198:199], v[2:3], v[40:41]
	v_mul_f64 v[40:41], v[4:5], v[40:41]
	v_add_f64 v[34:35], v[36:37], v[34:35]
	v_add_f64 v[36:37], v[42:43], v[196:197]
	s_waitcnt vmcnt(4) lgkmcnt(0)
	v_mul_f64 v[42:43], v[30:31], v[8:9]
	v_mul_f64 v[8:9], v[32:33], v[8:9]
	v_fma_f64 v[44:45], v[4:5], v[38:39], v[198:199]
	v_fma_f64 v[38:39], v[2:3], v[38:39], -v[40:41]
	v_add_f64 v[34:35], v[34:35], v[26:27]
	v_add_f64 v[36:37], v[36:37], v[28:29]
	ds_load_b128 v[2:5], v1 offset:1440
	ds_load_b128 v[26:29], v1 offset:1456
	v_fma_f64 v[32:33], v[32:33], v[6:7], v[42:43]
	v_fma_f64 v[6:7], v[30:31], v[6:7], -v[8:9]
	s_waitcnt vmcnt(3) lgkmcnt(1)
	v_mul_f64 v[40:41], v[2:3], v[12:13]
	v_mul_f64 v[12:13], v[4:5], v[12:13]
	;; [unrolled: 16-line block ×3, first 2 shown]
	s_waitcnt vmcnt(0) lgkmcnt(0)
	v_mul_f64 v[16:17], v[6:7], v[24:25]
	v_mul_f64 v[24:25], v[8:9], v[24:25]
	v_add_f64 v[10:11], v[12:13], v[10:11]
	v_add_f64 v[12:13], v[30:31], v[36:37]
	v_fma_f64 v[4:5], v[4:5], v[18:19], v[32:33]
	v_fma_f64 v[1:2], v[2:3], v[18:19], -v[20:21]
	v_fma_f64 v[8:9], v[8:9], v[22:23], v[16:17]
	v_fma_f64 v[6:7], v[6:7], v[22:23], -v[24:25]
	v_add_f64 v[10:11], v[10:11], v[14:15]
	v_add_f64 v[12:13], v[12:13], v[28:29]
	s_delay_alu instid0(VALU_DEP_2) | instskip(NEXT) | instid1(VALU_DEP_2)
	v_add_f64 v[1:2], v[10:11], v[1:2]
	v_add_f64 v[3:4], v[12:13], v[4:5]
	s_delay_alu instid0(VALU_DEP_2) | instskip(NEXT) | instid1(VALU_DEP_2)
	;; [unrolled: 3-line block ×3, first 2 shown]
	v_add_f64 v[1:2], v[188:189], -v[1:2]
	v_add_f64 v[3:4], v[190:191], -v[3:4]
	scratch_store_b128 off, v[1:4], off offset:480
	v_cmpx_lt_u32_e32 29, v140
	s_cbranch_execz .LBB46_237
; %bb.236:
	scratch_load_b128 v[1:4], v153, off
	v_mov_b32_e32 v5, 0
	s_delay_alu instid0(VALU_DEP_1)
	v_mov_b32_e32 v6, v5
	v_mov_b32_e32 v7, v5
	v_mov_b32_e32 v8, v5
	scratch_store_b128 off, v[5:8], off offset:464
	s_waitcnt vmcnt(0)
	ds_store_b128 v187, v[1:4]
.LBB46_237:
	s_or_b32 exec_lo, exec_lo, s2
	s_waitcnt lgkmcnt(0)
	s_waitcnt_vscnt null, 0x0
	s_barrier
	buffer_gl0_inv
	s_clause 0x7
	scratch_load_b128 v[2:5], off, off offset:480
	scratch_load_b128 v[6:9], off, off offset:496
	;; [unrolled: 1-line block ×8, first 2 shown]
	v_mov_b32_e32 v1, 0
	s_mov_b32 s2, exec_lo
	ds_load_b128 v[34:37], v1 offset:1232
	s_clause 0x1
	scratch_load_b128 v[38:41], off, off offset:608
	scratch_load_b128 v[42:45], off, off offset:464
	ds_load_b128 v[188:191], v1 offset:1248
	scratch_load_b128 v[192:195], off, off offset:624
	s_waitcnt vmcnt(10) lgkmcnt(1)
	v_mul_f64 v[196:197], v[36:37], v[4:5]
	v_mul_f64 v[4:5], v[34:35], v[4:5]
	s_delay_alu instid0(VALU_DEP_2) | instskip(NEXT) | instid1(VALU_DEP_2)
	v_fma_f64 v[202:203], v[34:35], v[2:3], -v[196:197]
	v_fma_f64 v[204:205], v[36:37], v[2:3], v[4:5]
	scratch_load_b128 v[34:37], off, off offset:640
	ds_load_b128 v[2:5], v1 offset:1264
	s_waitcnt vmcnt(10) lgkmcnt(1)
	v_mul_f64 v[200:201], v[188:189], v[8:9]
	v_mul_f64 v[8:9], v[190:191], v[8:9]
	ds_load_b128 v[196:199], v1 offset:1280
	s_waitcnt vmcnt(9) lgkmcnt(1)
	v_mul_f64 v[206:207], v[2:3], v[12:13]
	v_mul_f64 v[12:13], v[4:5], v[12:13]
	v_fma_f64 v[190:191], v[190:191], v[6:7], v[200:201]
	v_fma_f64 v[188:189], v[188:189], v[6:7], -v[8:9]
	v_add_f64 v[200:201], v[202:203], 0
	v_add_f64 v[202:203], v[204:205], 0
	scratch_load_b128 v[6:9], off, off offset:656
	v_fma_f64 v[206:207], v[4:5], v[10:11], v[206:207]
	v_fma_f64 v[208:209], v[2:3], v[10:11], -v[12:13]
	scratch_load_b128 v[10:13], off, off offset:672
	ds_load_b128 v[2:5], v1 offset:1296
	s_waitcnt vmcnt(10) lgkmcnt(1)
	v_mul_f64 v[204:205], v[196:197], v[16:17]
	v_mul_f64 v[16:17], v[198:199], v[16:17]
	v_add_f64 v[200:201], v[200:201], v[188:189]
	v_add_f64 v[202:203], v[202:203], v[190:191]
	s_waitcnt vmcnt(9) lgkmcnt(0)
	v_mul_f64 v[210:211], v[2:3], v[20:21]
	v_mul_f64 v[20:21], v[4:5], v[20:21]
	ds_load_b128 v[188:191], v1 offset:1312
	v_fma_f64 v[198:199], v[198:199], v[14:15], v[204:205]
	v_fma_f64 v[196:197], v[196:197], v[14:15], -v[16:17]
	scratch_load_b128 v[14:17], off, off offset:688
	v_add_f64 v[200:201], v[200:201], v[208:209]
	v_add_f64 v[202:203], v[202:203], v[206:207]
	v_fma_f64 v[206:207], v[4:5], v[18:19], v[210:211]
	v_fma_f64 v[208:209], v[2:3], v[18:19], -v[20:21]
	scratch_load_b128 v[18:21], off, off offset:704
	ds_load_b128 v[2:5], v1 offset:1328
	s_waitcnt vmcnt(10) lgkmcnt(1)
	v_mul_f64 v[204:205], v[188:189], v[24:25]
	v_mul_f64 v[24:25], v[190:191], v[24:25]
	s_waitcnt vmcnt(9) lgkmcnt(0)
	v_mul_f64 v[210:211], v[2:3], v[28:29]
	v_mul_f64 v[28:29], v[4:5], v[28:29]
	v_add_f64 v[200:201], v[200:201], v[196:197]
	v_add_f64 v[202:203], v[202:203], v[198:199]
	ds_load_b128 v[196:199], v1 offset:1344
	v_fma_f64 v[190:191], v[190:191], v[22:23], v[204:205]
	v_fma_f64 v[188:189], v[188:189], v[22:23], -v[24:25]
	scratch_load_b128 v[22:25], off, off offset:720
	v_add_f64 v[200:201], v[200:201], v[208:209]
	v_add_f64 v[202:203], v[202:203], v[206:207]
	v_fma_f64 v[206:207], v[4:5], v[26:27], v[210:211]
	v_fma_f64 v[208:209], v[2:3], v[26:27], -v[28:29]
	scratch_load_b128 v[26:29], off, off offset:736
	ds_load_b128 v[2:5], v1 offset:1360
	s_waitcnt vmcnt(10) lgkmcnt(1)
	v_mul_f64 v[204:205], v[196:197], v[32:33]
	v_mul_f64 v[32:33], v[198:199], v[32:33]
	s_waitcnt vmcnt(9) lgkmcnt(0)
	v_mul_f64 v[210:211], v[2:3], v[40:41]
	v_mul_f64 v[40:41], v[4:5], v[40:41]
	v_add_f64 v[200:201], v[200:201], v[188:189]
	v_add_f64 v[202:203], v[202:203], v[190:191]
	ds_load_b128 v[188:191], v1 offset:1376
	v_fma_f64 v[198:199], v[198:199], v[30:31], v[204:205]
	v_fma_f64 v[30:31], v[196:197], v[30:31], -v[32:33]
	v_add_f64 v[32:33], v[200:201], v[208:209]
	v_add_f64 v[196:197], v[202:203], v[206:207]
	s_waitcnt vmcnt(7) lgkmcnt(0)
	v_mul_f64 v[200:201], v[188:189], v[194:195]
	v_mul_f64 v[194:195], v[190:191], v[194:195]
	v_fma_f64 v[202:203], v[4:5], v[38:39], v[210:211]
	v_fma_f64 v[38:39], v[2:3], v[38:39], -v[40:41]
	v_add_f64 v[40:41], v[32:33], v[30:31]
	v_add_f64 v[196:197], v[196:197], v[198:199]
	ds_load_b128 v[2:5], v1 offset:1392
	ds_load_b128 v[30:33], v1 offset:1408
	v_fma_f64 v[190:191], v[190:191], v[192:193], v[200:201]
	v_fma_f64 v[188:189], v[188:189], v[192:193], -v[194:195]
	s_waitcnt vmcnt(6) lgkmcnt(1)
	v_mul_f64 v[198:199], v[2:3], v[36:37]
	v_mul_f64 v[36:37], v[4:5], v[36:37]
	v_add_f64 v[38:39], v[40:41], v[38:39]
	v_add_f64 v[40:41], v[196:197], v[202:203]
	s_waitcnt vmcnt(5) lgkmcnt(0)
	v_mul_f64 v[192:193], v[30:31], v[8:9]
	v_mul_f64 v[8:9], v[32:33], v[8:9]
	v_fma_f64 v[194:195], v[4:5], v[34:35], v[198:199]
	v_fma_f64 v[196:197], v[2:3], v[34:35], -v[36:37]
	ds_load_b128 v[2:5], v1 offset:1424
	ds_load_b128 v[34:37], v1 offset:1440
	v_add_f64 v[38:39], v[38:39], v[188:189]
	v_add_f64 v[40:41], v[40:41], v[190:191]
	s_waitcnt vmcnt(4) lgkmcnt(1)
	v_mul_f64 v[188:189], v[2:3], v[12:13]
	v_mul_f64 v[12:13], v[4:5], v[12:13]
	v_fma_f64 v[32:33], v[32:33], v[6:7], v[192:193]
	v_fma_f64 v[6:7], v[30:31], v[6:7], -v[8:9]
	v_add_f64 v[8:9], v[38:39], v[196:197]
	v_add_f64 v[30:31], v[40:41], v[194:195]
	s_waitcnt vmcnt(3) lgkmcnt(0)
	v_mul_f64 v[38:39], v[34:35], v[16:17]
	v_mul_f64 v[16:17], v[36:37], v[16:17]
	v_fma_f64 v[40:41], v[4:5], v[10:11], v[188:189]
	v_fma_f64 v[10:11], v[2:3], v[10:11], -v[12:13]
	v_add_f64 v[12:13], v[8:9], v[6:7]
	v_add_f64 v[30:31], v[30:31], v[32:33]
	ds_load_b128 v[2:5], v1 offset:1456
	ds_load_b128 v[6:9], v1 offset:1472
	v_fma_f64 v[36:37], v[36:37], v[14:15], v[38:39]
	v_fma_f64 v[14:15], v[34:35], v[14:15], -v[16:17]
	s_waitcnt vmcnt(2) lgkmcnt(1)
	v_mul_f64 v[32:33], v[2:3], v[20:21]
	v_mul_f64 v[20:21], v[4:5], v[20:21]
	s_waitcnt vmcnt(1) lgkmcnt(0)
	v_mul_f64 v[16:17], v[6:7], v[24:25]
	v_mul_f64 v[24:25], v[8:9], v[24:25]
	v_add_f64 v[10:11], v[12:13], v[10:11]
	v_add_f64 v[12:13], v[30:31], v[40:41]
	v_fma_f64 v[30:31], v[4:5], v[18:19], v[32:33]
	v_fma_f64 v[18:19], v[2:3], v[18:19], -v[20:21]
	ds_load_b128 v[2:5], v1 offset:1488
	v_fma_f64 v[8:9], v[8:9], v[22:23], v[16:17]
	v_fma_f64 v[6:7], v[6:7], v[22:23], -v[24:25]
	v_add_f64 v[10:11], v[10:11], v[14:15]
	v_add_f64 v[12:13], v[12:13], v[36:37]
	s_waitcnt vmcnt(0) lgkmcnt(0)
	v_mul_f64 v[14:15], v[2:3], v[28:29]
	v_mul_f64 v[20:21], v[4:5], v[28:29]
	s_delay_alu instid0(VALU_DEP_4) | instskip(NEXT) | instid1(VALU_DEP_4)
	v_add_f64 v[10:11], v[10:11], v[18:19]
	v_add_f64 v[12:13], v[12:13], v[30:31]
	s_delay_alu instid0(VALU_DEP_4) | instskip(NEXT) | instid1(VALU_DEP_4)
	v_fma_f64 v[4:5], v[4:5], v[26:27], v[14:15]
	v_fma_f64 v[2:3], v[2:3], v[26:27], -v[20:21]
	s_delay_alu instid0(VALU_DEP_4) | instskip(NEXT) | instid1(VALU_DEP_4)
	v_add_f64 v[6:7], v[10:11], v[6:7]
	v_add_f64 v[8:9], v[12:13], v[8:9]
	s_delay_alu instid0(VALU_DEP_2) | instskip(NEXT) | instid1(VALU_DEP_2)
	v_add_f64 v[2:3], v[6:7], v[2:3]
	v_add_f64 v[4:5], v[8:9], v[4:5]
	s_delay_alu instid0(VALU_DEP_2) | instskip(NEXT) | instid1(VALU_DEP_2)
	v_add_f64 v[2:3], v[42:43], -v[2:3]
	v_add_f64 v[4:5], v[44:45], -v[4:5]
	scratch_store_b128 off, v[2:5], off offset:464
	v_cmpx_lt_u32_e32 28, v140
	s_cbranch_execz .LBB46_239
; %bb.238:
	scratch_load_b128 v[5:8], v154, off
	v_mov_b32_e32 v2, v1
	v_mov_b32_e32 v3, v1
	;; [unrolled: 1-line block ×3, first 2 shown]
	scratch_store_b128 off, v[1:4], off offset:448
	s_waitcnt vmcnt(0)
	ds_store_b128 v187, v[5:8]
.LBB46_239:
	s_or_b32 exec_lo, exec_lo, s2
	s_waitcnt lgkmcnt(0)
	s_waitcnt_vscnt null, 0x0
	s_barrier
	buffer_gl0_inv
	s_clause 0x8
	scratch_load_b128 v[2:5], off, off offset:464
	scratch_load_b128 v[6:9], off, off offset:480
	;; [unrolled: 1-line block ×9, first 2 shown]
	ds_load_b128 v[38:41], v1 offset:1216
	ds_load_b128 v[42:45], v1 offset:1232
	s_clause 0x1
	scratch_load_b128 v[188:191], off, off offset:448
	scratch_load_b128 v[192:195], off, off offset:608
	s_mov_b32 s2, exec_lo
	s_waitcnt vmcnt(10) lgkmcnt(1)
	v_mul_f64 v[196:197], v[40:41], v[4:5]
	v_mul_f64 v[4:5], v[38:39], v[4:5]
	s_waitcnt vmcnt(9) lgkmcnt(0)
	v_mul_f64 v[200:201], v[42:43], v[8:9]
	v_mul_f64 v[8:9], v[44:45], v[8:9]
	s_delay_alu instid0(VALU_DEP_4) | instskip(NEXT) | instid1(VALU_DEP_4)
	v_fma_f64 v[202:203], v[38:39], v[2:3], -v[196:197]
	v_fma_f64 v[204:205], v[40:41], v[2:3], v[4:5]
	ds_load_b128 v[2:5], v1 offset:1248
	ds_load_b128 v[196:199], v1 offset:1264
	scratch_load_b128 v[38:41], off, off offset:624
	v_fma_f64 v[44:45], v[44:45], v[6:7], v[200:201]
	v_fma_f64 v[42:43], v[42:43], v[6:7], -v[8:9]
	scratch_load_b128 v[6:9], off, off offset:640
	s_waitcnt vmcnt(10) lgkmcnt(1)
	v_mul_f64 v[206:207], v[2:3], v[12:13]
	v_mul_f64 v[12:13], v[4:5], v[12:13]
	v_add_f64 v[200:201], v[202:203], 0
	v_add_f64 v[202:203], v[204:205], 0
	s_waitcnt vmcnt(9) lgkmcnt(0)
	v_mul_f64 v[204:205], v[196:197], v[16:17]
	v_mul_f64 v[16:17], v[198:199], v[16:17]
	v_fma_f64 v[206:207], v[4:5], v[10:11], v[206:207]
	v_fma_f64 v[208:209], v[2:3], v[10:11], -v[12:13]
	ds_load_b128 v[2:5], v1 offset:1280
	scratch_load_b128 v[10:13], off, off offset:656
	v_add_f64 v[200:201], v[200:201], v[42:43]
	v_add_f64 v[202:203], v[202:203], v[44:45]
	ds_load_b128 v[42:45], v1 offset:1296
	v_fma_f64 v[198:199], v[198:199], v[14:15], v[204:205]
	v_fma_f64 v[196:197], v[196:197], v[14:15], -v[16:17]
	scratch_load_b128 v[14:17], off, off offset:672
	s_waitcnt vmcnt(10) lgkmcnt(1)
	v_mul_f64 v[210:211], v[2:3], v[20:21]
	v_mul_f64 v[20:21], v[4:5], v[20:21]
	s_waitcnt vmcnt(9) lgkmcnt(0)
	v_mul_f64 v[204:205], v[42:43], v[24:25]
	v_mul_f64 v[24:25], v[44:45], v[24:25]
	v_add_f64 v[200:201], v[200:201], v[208:209]
	v_add_f64 v[202:203], v[202:203], v[206:207]
	v_fma_f64 v[206:207], v[4:5], v[18:19], v[210:211]
	v_fma_f64 v[208:209], v[2:3], v[18:19], -v[20:21]
	ds_load_b128 v[2:5], v1 offset:1312
	scratch_load_b128 v[18:21], off, off offset:688
	v_fma_f64 v[44:45], v[44:45], v[22:23], v[204:205]
	v_fma_f64 v[42:43], v[42:43], v[22:23], -v[24:25]
	scratch_load_b128 v[22:25], off, off offset:704
	v_add_f64 v[200:201], v[200:201], v[196:197]
	v_add_f64 v[202:203], v[202:203], v[198:199]
	ds_load_b128 v[196:199], v1 offset:1328
	s_waitcnt vmcnt(10) lgkmcnt(1)
	v_mul_f64 v[210:211], v[2:3], v[28:29]
	v_mul_f64 v[28:29], v[4:5], v[28:29]
	s_waitcnt vmcnt(9) lgkmcnt(0)
	v_mul_f64 v[204:205], v[196:197], v[32:33]
	v_mul_f64 v[32:33], v[198:199], v[32:33]
	v_add_f64 v[200:201], v[200:201], v[208:209]
	v_add_f64 v[202:203], v[202:203], v[206:207]
	v_fma_f64 v[206:207], v[4:5], v[26:27], v[210:211]
	v_fma_f64 v[208:209], v[2:3], v[26:27], -v[28:29]
	ds_load_b128 v[2:5], v1 offset:1344
	scratch_load_b128 v[26:29], off, off offset:720
	v_fma_f64 v[198:199], v[198:199], v[30:31], v[204:205]
	v_fma_f64 v[196:197], v[196:197], v[30:31], -v[32:33]
	scratch_load_b128 v[30:33], off, off offset:736
	v_add_f64 v[200:201], v[200:201], v[42:43]
	v_add_f64 v[202:203], v[202:203], v[44:45]
	ds_load_b128 v[42:45], v1 offset:1360
	s_waitcnt vmcnt(10) lgkmcnt(1)
	v_mul_f64 v[210:211], v[2:3], v[36:37]
	v_mul_f64 v[36:37], v[4:5], v[36:37]
	s_waitcnt vmcnt(8) lgkmcnt(0)
	v_mul_f64 v[204:205], v[42:43], v[194:195]
	v_mul_f64 v[194:195], v[44:45], v[194:195]
	v_add_f64 v[200:201], v[200:201], v[208:209]
	v_add_f64 v[202:203], v[202:203], v[206:207]
	v_fma_f64 v[206:207], v[4:5], v[34:35], v[210:211]
	v_fma_f64 v[208:209], v[2:3], v[34:35], -v[36:37]
	ds_load_b128 v[2:5], v1 offset:1376
	ds_load_b128 v[34:37], v1 offset:1392
	v_fma_f64 v[44:45], v[44:45], v[192:193], v[204:205]
	v_fma_f64 v[42:43], v[42:43], v[192:193], -v[194:195]
	v_add_f64 v[196:197], v[200:201], v[196:197]
	v_add_f64 v[198:199], v[202:203], v[198:199]
	s_waitcnt vmcnt(7) lgkmcnt(1)
	v_mul_f64 v[200:201], v[2:3], v[40:41]
	v_mul_f64 v[40:41], v[4:5], v[40:41]
	s_delay_alu instid0(VALU_DEP_4) | instskip(NEXT) | instid1(VALU_DEP_4)
	v_add_f64 v[192:193], v[196:197], v[208:209]
	v_add_f64 v[194:195], v[198:199], v[206:207]
	s_waitcnt vmcnt(6) lgkmcnt(0)
	v_mul_f64 v[196:197], v[34:35], v[8:9]
	v_mul_f64 v[8:9], v[36:37], v[8:9]
	v_fma_f64 v[198:199], v[4:5], v[38:39], v[200:201]
	v_fma_f64 v[200:201], v[2:3], v[38:39], -v[40:41]
	ds_load_b128 v[2:5], v1 offset:1408
	ds_load_b128 v[38:41], v1 offset:1424
	v_add_f64 v[42:43], v[192:193], v[42:43]
	v_add_f64 v[44:45], v[194:195], v[44:45]
	v_fma_f64 v[36:37], v[36:37], v[6:7], v[196:197]
	s_waitcnt vmcnt(5) lgkmcnt(1)
	v_mul_f64 v[192:193], v[2:3], v[12:13]
	v_mul_f64 v[12:13], v[4:5], v[12:13]
	v_fma_f64 v[6:7], v[34:35], v[6:7], -v[8:9]
	v_add_f64 v[8:9], v[42:43], v[200:201]
	v_add_f64 v[34:35], v[44:45], v[198:199]
	s_waitcnt vmcnt(4) lgkmcnt(0)
	v_mul_f64 v[42:43], v[38:39], v[16:17]
	v_mul_f64 v[16:17], v[40:41], v[16:17]
	v_fma_f64 v[44:45], v[4:5], v[10:11], v[192:193]
	v_fma_f64 v[10:11], v[2:3], v[10:11], -v[12:13]
	v_add_f64 v[12:13], v[8:9], v[6:7]
	v_add_f64 v[34:35], v[34:35], v[36:37]
	ds_load_b128 v[2:5], v1 offset:1440
	ds_load_b128 v[6:9], v1 offset:1456
	v_fma_f64 v[40:41], v[40:41], v[14:15], v[42:43]
	v_fma_f64 v[14:15], v[38:39], v[14:15], -v[16:17]
	s_waitcnt vmcnt(3) lgkmcnt(1)
	v_mul_f64 v[36:37], v[2:3], v[20:21]
	v_mul_f64 v[20:21], v[4:5], v[20:21]
	s_waitcnt vmcnt(2) lgkmcnt(0)
	v_mul_f64 v[16:17], v[6:7], v[24:25]
	v_mul_f64 v[24:25], v[8:9], v[24:25]
	v_add_f64 v[10:11], v[12:13], v[10:11]
	v_add_f64 v[12:13], v[34:35], v[44:45]
	v_fma_f64 v[34:35], v[4:5], v[18:19], v[36:37]
	v_fma_f64 v[18:19], v[2:3], v[18:19], -v[20:21]
	v_fma_f64 v[8:9], v[8:9], v[22:23], v[16:17]
	v_fma_f64 v[6:7], v[6:7], v[22:23], -v[24:25]
	v_add_f64 v[14:15], v[10:11], v[14:15]
	v_add_f64 v[20:21], v[12:13], v[40:41]
	ds_load_b128 v[2:5], v1 offset:1472
	ds_load_b128 v[10:13], v1 offset:1488
	s_waitcnt vmcnt(1) lgkmcnt(1)
	v_mul_f64 v[36:37], v[2:3], v[28:29]
	v_mul_f64 v[28:29], v[4:5], v[28:29]
	v_add_f64 v[14:15], v[14:15], v[18:19]
	v_add_f64 v[16:17], v[20:21], v[34:35]
	s_waitcnt vmcnt(0) lgkmcnt(0)
	v_mul_f64 v[18:19], v[10:11], v[32:33]
	v_mul_f64 v[20:21], v[12:13], v[32:33]
	v_fma_f64 v[4:5], v[4:5], v[26:27], v[36:37]
	v_fma_f64 v[1:2], v[2:3], v[26:27], -v[28:29]
	v_add_f64 v[6:7], v[14:15], v[6:7]
	v_add_f64 v[8:9], v[16:17], v[8:9]
	v_fma_f64 v[12:13], v[12:13], v[30:31], v[18:19]
	v_fma_f64 v[10:11], v[10:11], v[30:31], -v[20:21]
	s_delay_alu instid0(VALU_DEP_4) | instskip(NEXT) | instid1(VALU_DEP_4)
	v_add_f64 v[1:2], v[6:7], v[1:2]
	v_add_f64 v[3:4], v[8:9], v[4:5]
	s_delay_alu instid0(VALU_DEP_2) | instskip(NEXT) | instid1(VALU_DEP_2)
	v_add_f64 v[1:2], v[1:2], v[10:11]
	v_add_f64 v[3:4], v[3:4], v[12:13]
	s_delay_alu instid0(VALU_DEP_2) | instskip(NEXT) | instid1(VALU_DEP_2)
	v_add_f64 v[1:2], v[188:189], -v[1:2]
	v_add_f64 v[3:4], v[190:191], -v[3:4]
	scratch_store_b128 off, v[1:4], off offset:448
	v_cmpx_lt_u32_e32 27, v140
	s_cbranch_execz .LBB46_241
; %bb.240:
	scratch_load_b128 v[1:4], v156, off
	v_mov_b32_e32 v5, 0
	s_delay_alu instid0(VALU_DEP_1)
	v_mov_b32_e32 v6, v5
	v_mov_b32_e32 v7, v5
	;; [unrolled: 1-line block ×3, first 2 shown]
	scratch_store_b128 off, v[5:8], off offset:432
	s_waitcnt vmcnt(0)
	ds_store_b128 v187, v[1:4]
.LBB46_241:
	s_or_b32 exec_lo, exec_lo, s2
	s_waitcnt lgkmcnt(0)
	s_waitcnt_vscnt null, 0x0
	s_barrier
	buffer_gl0_inv
	s_clause 0x7
	scratch_load_b128 v[2:5], off, off offset:448
	scratch_load_b128 v[6:9], off, off offset:464
	;; [unrolled: 1-line block ×8, first 2 shown]
	v_mov_b32_e32 v1, 0
	s_mov_b32 s2, exec_lo
	ds_load_b128 v[34:37], v1 offset:1200
	s_clause 0x1
	scratch_load_b128 v[38:41], off, off offset:576
	scratch_load_b128 v[42:45], off, off offset:432
	ds_load_b128 v[188:191], v1 offset:1216
	scratch_load_b128 v[192:195], off, off offset:592
	s_waitcnt vmcnt(10) lgkmcnt(1)
	v_mul_f64 v[196:197], v[36:37], v[4:5]
	v_mul_f64 v[4:5], v[34:35], v[4:5]
	s_delay_alu instid0(VALU_DEP_2) | instskip(NEXT) | instid1(VALU_DEP_2)
	v_fma_f64 v[202:203], v[34:35], v[2:3], -v[196:197]
	v_fma_f64 v[204:205], v[36:37], v[2:3], v[4:5]
	scratch_load_b128 v[34:37], off, off offset:608
	ds_load_b128 v[2:5], v1 offset:1232
	s_waitcnt vmcnt(10) lgkmcnt(1)
	v_mul_f64 v[200:201], v[188:189], v[8:9]
	v_mul_f64 v[8:9], v[190:191], v[8:9]
	ds_load_b128 v[196:199], v1 offset:1248
	s_waitcnt vmcnt(9) lgkmcnt(1)
	v_mul_f64 v[206:207], v[2:3], v[12:13]
	v_mul_f64 v[12:13], v[4:5], v[12:13]
	v_fma_f64 v[190:191], v[190:191], v[6:7], v[200:201]
	v_fma_f64 v[188:189], v[188:189], v[6:7], -v[8:9]
	v_add_f64 v[200:201], v[202:203], 0
	v_add_f64 v[202:203], v[204:205], 0
	scratch_load_b128 v[6:9], off, off offset:624
	v_fma_f64 v[206:207], v[4:5], v[10:11], v[206:207]
	v_fma_f64 v[208:209], v[2:3], v[10:11], -v[12:13]
	scratch_load_b128 v[10:13], off, off offset:640
	ds_load_b128 v[2:5], v1 offset:1264
	s_waitcnt vmcnt(10) lgkmcnt(1)
	v_mul_f64 v[204:205], v[196:197], v[16:17]
	v_mul_f64 v[16:17], v[198:199], v[16:17]
	v_add_f64 v[200:201], v[200:201], v[188:189]
	v_add_f64 v[202:203], v[202:203], v[190:191]
	s_waitcnt vmcnt(9) lgkmcnt(0)
	v_mul_f64 v[210:211], v[2:3], v[20:21]
	v_mul_f64 v[20:21], v[4:5], v[20:21]
	ds_load_b128 v[188:191], v1 offset:1280
	v_fma_f64 v[198:199], v[198:199], v[14:15], v[204:205]
	v_fma_f64 v[196:197], v[196:197], v[14:15], -v[16:17]
	scratch_load_b128 v[14:17], off, off offset:656
	v_add_f64 v[200:201], v[200:201], v[208:209]
	v_add_f64 v[202:203], v[202:203], v[206:207]
	v_fma_f64 v[206:207], v[4:5], v[18:19], v[210:211]
	v_fma_f64 v[208:209], v[2:3], v[18:19], -v[20:21]
	scratch_load_b128 v[18:21], off, off offset:672
	ds_load_b128 v[2:5], v1 offset:1296
	s_waitcnt vmcnt(10) lgkmcnt(1)
	v_mul_f64 v[204:205], v[188:189], v[24:25]
	v_mul_f64 v[24:25], v[190:191], v[24:25]
	s_waitcnt vmcnt(9) lgkmcnt(0)
	v_mul_f64 v[210:211], v[2:3], v[28:29]
	v_mul_f64 v[28:29], v[4:5], v[28:29]
	v_add_f64 v[200:201], v[200:201], v[196:197]
	v_add_f64 v[202:203], v[202:203], v[198:199]
	ds_load_b128 v[196:199], v1 offset:1312
	v_fma_f64 v[190:191], v[190:191], v[22:23], v[204:205]
	v_fma_f64 v[188:189], v[188:189], v[22:23], -v[24:25]
	scratch_load_b128 v[22:25], off, off offset:688
	v_add_f64 v[200:201], v[200:201], v[208:209]
	v_add_f64 v[202:203], v[202:203], v[206:207]
	v_fma_f64 v[206:207], v[4:5], v[26:27], v[210:211]
	v_fma_f64 v[208:209], v[2:3], v[26:27], -v[28:29]
	scratch_load_b128 v[26:29], off, off offset:704
	ds_load_b128 v[2:5], v1 offset:1328
	s_waitcnt vmcnt(10) lgkmcnt(1)
	v_mul_f64 v[204:205], v[196:197], v[32:33]
	v_mul_f64 v[32:33], v[198:199], v[32:33]
	s_waitcnt vmcnt(9) lgkmcnt(0)
	v_mul_f64 v[210:211], v[2:3], v[40:41]
	v_mul_f64 v[40:41], v[4:5], v[40:41]
	v_add_f64 v[200:201], v[200:201], v[188:189]
	v_add_f64 v[202:203], v[202:203], v[190:191]
	ds_load_b128 v[188:191], v1 offset:1344
	v_fma_f64 v[198:199], v[198:199], v[30:31], v[204:205]
	v_fma_f64 v[196:197], v[196:197], v[30:31], -v[32:33]
	scratch_load_b128 v[30:33], off, off offset:720
	v_add_f64 v[200:201], v[200:201], v[208:209]
	v_add_f64 v[202:203], v[202:203], v[206:207]
	v_fma_f64 v[208:209], v[4:5], v[38:39], v[210:211]
	v_fma_f64 v[210:211], v[2:3], v[38:39], -v[40:41]
	scratch_load_b128 v[38:41], off, off offset:736
	ds_load_b128 v[2:5], v1 offset:1360
	s_waitcnt vmcnt(9) lgkmcnt(1)
	v_mul_f64 v[204:205], v[188:189], v[194:195]
	v_mul_f64 v[206:207], v[190:191], v[194:195]
	v_add_f64 v[200:201], v[200:201], v[196:197]
	v_add_f64 v[198:199], v[202:203], v[198:199]
	ds_load_b128 v[194:197], v1 offset:1376
	v_fma_f64 v[190:191], v[190:191], v[192:193], v[204:205]
	v_fma_f64 v[188:189], v[188:189], v[192:193], -v[206:207]
	s_waitcnt vmcnt(8) lgkmcnt(1)
	v_mul_f64 v[202:203], v[2:3], v[36:37]
	v_mul_f64 v[36:37], v[4:5], v[36:37]
	v_add_f64 v[192:193], v[200:201], v[210:211]
	v_add_f64 v[198:199], v[198:199], v[208:209]
	s_delay_alu instid0(VALU_DEP_4) | instskip(NEXT) | instid1(VALU_DEP_4)
	v_fma_f64 v[202:203], v[4:5], v[34:35], v[202:203]
	v_fma_f64 v[204:205], v[2:3], v[34:35], -v[36:37]
	ds_load_b128 v[2:5], v1 offset:1392
	ds_load_b128 v[34:37], v1 offset:1408
	s_waitcnt vmcnt(7) lgkmcnt(2)
	v_mul_f64 v[200:201], v[194:195], v[8:9]
	v_mul_f64 v[8:9], v[196:197], v[8:9]
	v_add_f64 v[188:189], v[192:193], v[188:189]
	v_add_f64 v[190:191], v[198:199], v[190:191]
	s_waitcnt vmcnt(6) lgkmcnt(1)
	v_mul_f64 v[192:193], v[2:3], v[12:13]
	v_mul_f64 v[12:13], v[4:5], v[12:13]
	v_fma_f64 v[196:197], v[196:197], v[6:7], v[200:201]
	v_fma_f64 v[6:7], v[194:195], v[6:7], -v[8:9]
	v_add_f64 v[8:9], v[188:189], v[204:205]
	v_add_f64 v[188:189], v[190:191], v[202:203]
	s_waitcnt vmcnt(5) lgkmcnt(0)
	v_mul_f64 v[190:191], v[34:35], v[16:17]
	v_mul_f64 v[16:17], v[36:37], v[16:17]
	v_fma_f64 v[192:193], v[4:5], v[10:11], v[192:193]
	v_fma_f64 v[10:11], v[2:3], v[10:11], -v[12:13]
	v_add_f64 v[12:13], v[8:9], v[6:7]
	v_add_f64 v[188:189], v[188:189], v[196:197]
	ds_load_b128 v[2:5], v1 offset:1424
	ds_load_b128 v[6:9], v1 offset:1440
	v_fma_f64 v[36:37], v[36:37], v[14:15], v[190:191]
	v_fma_f64 v[14:15], v[34:35], v[14:15], -v[16:17]
	s_waitcnt vmcnt(4) lgkmcnt(1)
	v_mul_f64 v[194:195], v[2:3], v[20:21]
	v_mul_f64 v[20:21], v[4:5], v[20:21]
	s_waitcnt vmcnt(3) lgkmcnt(0)
	v_mul_f64 v[16:17], v[6:7], v[24:25]
	v_mul_f64 v[24:25], v[8:9], v[24:25]
	v_add_f64 v[10:11], v[12:13], v[10:11]
	v_add_f64 v[12:13], v[188:189], v[192:193]
	v_fma_f64 v[34:35], v[4:5], v[18:19], v[194:195]
	v_fma_f64 v[18:19], v[2:3], v[18:19], -v[20:21]
	v_fma_f64 v[8:9], v[8:9], v[22:23], v[16:17]
	v_fma_f64 v[6:7], v[6:7], v[22:23], -v[24:25]
	v_add_f64 v[14:15], v[10:11], v[14:15]
	v_add_f64 v[20:21], v[12:13], v[36:37]
	ds_load_b128 v[2:5], v1 offset:1456
	ds_load_b128 v[10:13], v1 offset:1472
	s_waitcnt vmcnt(2) lgkmcnt(1)
	v_mul_f64 v[36:37], v[2:3], v[28:29]
	v_mul_f64 v[28:29], v[4:5], v[28:29]
	v_add_f64 v[14:15], v[14:15], v[18:19]
	v_add_f64 v[16:17], v[20:21], v[34:35]
	s_waitcnt vmcnt(1) lgkmcnt(0)
	v_mul_f64 v[18:19], v[10:11], v[32:33]
	v_mul_f64 v[20:21], v[12:13], v[32:33]
	v_fma_f64 v[22:23], v[4:5], v[26:27], v[36:37]
	v_fma_f64 v[24:25], v[2:3], v[26:27], -v[28:29]
	ds_load_b128 v[2:5], v1 offset:1488
	v_add_f64 v[6:7], v[14:15], v[6:7]
	v_add_f64 v[8:9], v[16:17], v[8:9]
	v_fma_f64 v[12:13], v[12:13], v[30:31], v[18:19]
	v_fma_f64 v[10:11], v[10:11], v[30:31], -v[20:21]
	s_waitcnt vmcnt(0) lgkmcnt(0)
	v_mul_f64 v[14:15], v[2:3], v[40:41]
	v_mul_f64 v[16:17], v[4:5], v[40:41]
	v_add_f64 v[6:7], v[6:7], v[24:25]
	v_add_f64 v[8:9], v[8:9], v[22:23]
	s_delay_alu instid0(VALU_DEP_4) | instskip(NEXT) | instid1(VALU_DEP_4)
	v_fma_f64 v[4:5], v[4:5], v[38:39], v[14:15]
	v_fma_f64 v[2:3], v[2:3], v[38:39], -v[16:17]
	s_delay_alu instid0(VALU_DEP_4) | instskip(NEXT) | instid1(VALU_DEP_4)
	v_add_f64 v[6:7], v[6:7], v[10:11]
	v_add_f64 v[8:9], v[8:9], v[12:13]
	s_delay_alu instid0(VALU_DEP_2) | instskip(NEXT) | instid1(VALU_DEP_2)
	v_add_f64 v[2:3], v[6:7], v[2:3]
	v_add_f64 v[4:5], v[8:9], v[4:5]
	s_delay_alu instid0(VALU_DEP_2) | instskip(NEXT) | instid1(VALU_DEP_2)
	v_add_f64 v[2:3], v[42:43], -v[2:3]
	v_add_f64 v[4:5], v[44:45], -v[4:5]
	scratch_store_b128 off, v[2:5], off offset:432
	v_cmpx_lt_u32_e32 26, v140
	s_cbranch_execz .LBB46_243
; %bb.242:
	scratch_load_b128 v[5:8], v158, off
	v_mov_b32_e32 v2, v1
	v_mov_b32_e32 v3, v1
	v_mov_b32_e32 v4, v1
	scratch_store_b128 off, v[1:4], off offset:416
	s_waitcnt vmcnt(0)
	ds_store_b128 v187, v[5:8]
.LBB46_243:
	s_or_b32 exec_lo, exec_lo, s2
	s_waitcnt lgkmcnt(0)
	s_waitcnt_vscnt null, 0x0
	s_barrier
	buffer_gl0_inv
	s_clause 0x8
	scratch_load_b128 v[2:5], off, off offset:432
	scratch_load_b128 v[6:9], off, off offset:448
	;; [unrolled: 1-line block ×9, first 2 shown]
	ds_load_b128 v[38:41], v1 offset:1184
	ds_load_b128 v[42:45], v1 offset:1200
	s_clause 0x1
	scratch_load_b128 v[188:191], off, off offset:416
	scratch_load_b128 v[192:195], off, off offset:576
	s_mov_b32 s2, exec_lo
	s_waitcnt vmcnt(10) lgkmcnt(1)
	v_mul_f64 v[196:197], v[40:41], v[4:5]
	v_mul_f64 v[4:5], v[38:39], v[4:5]
	s_waitcnt vmcnt(9) lgkmcnt(0)
	v_mul_f64 v[200:201], v[42:43], v[8:9]
	v_mul_f64 v[8:9], v[44:45], v[8:9]
	s_delay_alu instid0(VALU_DEP_4) | instskip(NEXT) | instid1(VALU_DEP_4)
	v_fma_f64 v[202:203], v[38:39], v[2:3], -v[196:197]
	v_fma_f64 v[204:205], v[40:41], v[2:3], v[4:5]
	ds_load_b128 v[2:5], v1 offset:1216
	ds_load_b128 v[196:199], v1 offset:1232
	scratch_load_b128 v[38:41], off, off offset:592
	v_fma_f64 v[44:45], v[44:45], v[6:7], v[200:201]
	v_fma_f64 v[42:43], v[42:43], v[6:7], -v[8:9]
	scratch_load_b128 v[6:9], off, off offset:608
	s_waitcnt vmcnt(10) lgkmcnt(1)
	v_mul_f64 v[206:207], v[2:3], v[12:13]
	v_mul_f64 v[12:13], v[4:5], v[12:13]
	v_add_f64 v[200:201], v[202:203], 0
	v_add_f64 v[202:203], v[204:205], 0
	s_waitcnt vmcnt(9) lgkmcnt(0)
	v_mul_f64 v[204:205], v[196:197], v[16:17]
	v_mul_f64 v[16:17], v[198:199], v[16:17]
	v_fma_f64 v[206:207], v[4:5], v[10:11], v[206:207]
	v_fma_f64 v[208:209], v[2:3], v[10:11], -v[12:13]
	ds_load_b128 v[2:5], v1 offset:1248
	scratch_load_b128 v[10:13], off, off offset:624
	v_add_f64 v[200:201], v[200:201], v[42:43]
	v_add_f64 v[202:203], v[202:203], v[44:45]
	ds_load_b128 v[42:45], v1 offset:1264
	v_fma_f64 v[198:199], v[198:199], v[14:15], v[204:205]
	v_fma_f64 v[196:197], v[196:197], v[14:15], -v[16:17]
	scratch_load_b128 v[14:17], off, off offset:640
	s_waitcnt vmcnt(10) lgkmcnt(1)
	v_mul_f64 v[210:211], v[2:3], v[20:21]
	v_mul_f64 v[20:21], v[4:5], v[20:21]
	s_waitcnt vmcnt(9) lgkmcnt(0)
	v_mul_f64 v[204:205], v[42:43], v[24:25]
	v_mul_f64 v[24:25], v[44:45], v[24:25]
	v_add_f64 v[200:201], v[200:201], v[208:209]
	v_add_f64 v[202:203], v[202:203], v[206:207]
	v_fma_f64 v[206:207], v[4:5], v[18:19], v[210:211]
	v_fma_f64 v[208:209], v[2:3], v[18:19], -v[20:21]
	ds_load_b128 v[2:5], v1 offset:1280
	scratch_load_b128 v[18:21], off, off offset:656
	v_fma_f64 v[44:45], v[44:45], v[22:23], v[204:205]
	v_fma_f64 v[42:43], v[42:43], v[22:23], -v[24:25]
	scratch_load_b128 v[22:25], off, off offset:672
	v_add_f64 v[200:201], v[200:201], v[196:197]
	v_add_f64 v[202:203], v[202:203], v[198:199]
	ds_load_b128 v[196:199], v1 offset:1296
	s_waitcnt vmcnt(10) lgkmcnt(1)
	v_mul_f64 v[210:211], v[2:3], v[28:29]
	v_mul_f64 v[28:29], v[4:5], v[28:29]
	s_waitcnt vmcnt(9) lgkmcnt(0)
	v_mul_f64 v[204:205], v[196:197], v[32:33]
	v_mul_f64 v[32:33], v[198:199], v[32:33]
	v_add_f64 v[200:201], v[200:201], v[208:209]
	v_add_f64 v[202:203], v[202:203], v[206:207]
	v_fma_f64 v[206:207], v[4:5], v[26:27], v[210:211]
	v_fma_f64 v[208:209], v[2:3], v[26:27], -v[28:29]
	ds_load_b128 v[2:5], v1 offset:1312
	scratch_load_b128 v[26:29], off, off offset:688
	v_fma_f64 v[198:199], v[198:199], v[30:31], v[204:205]
	v_fma_f64 v[196:197], v[196:197], v[30:31], -v[32:33]
	scratch_load_b128 v[30:33], off, off offset:704
	v_add_f64 v[200:201], v[200:201], v[42:43]
	v_add_f64 v[202:203], v[202:203], v[44:45]
	ds_load_b128 v[42:45], v1 offset:1328
	s_waitcnt vmcnt(10) lgkmcnt(1)
	v_mul_f64 v[210:211], v[2:3], v[36:37]
	v_mul_f64 v[36:37], v[4:5], v[36:37]
	s_waitcnt vmcnt(8) lgkmcnt(0)
	v_mul_f64 v[204:205], v[42:43], v[194:195]
	v_add_f64 v[200:201], v[200:201], v[208:209]
	v_add_f64 v[202:203], v[202:203], v[206:207]
	v_mul_f64 v[206:207], v[44:45], v[194:195]
	v_fma_f64 v[208:209], v[4:5], v[34:35], v[210:211]
	v_fma_f64 v[210:211], v[2:3], v[34:35], -v[36:37]
	ds_load_b128 v[2:5], v1 offset:1344
	scratch_load_b128 v[34:37], off, off offset:720
	v_fma_f64 v[44:45], v[44:45], v[192:193], v[204:205]
	v_add_f64 v[200:201], v[200:201], v[196:197]
	v_add_f64 v[198:199], v[202:203], v[198:199]
	ds_load_b128 v[194:197], v1 offset:1360
	v_fma_f64 v[192:193], v[42:43], v[192:193], -v[206:207]
	s_waitcnt vmcnt(8) lgkmcnt(1)
	v_mul_f64 v[202:203], v[2:3], v[40:41]
	v_mul_f64 v[212:213], v[4:5], v[40:41]
	scratch_load_b128 v[40:43], off, off offset:736
	s_waitcnt vmcnt(8) lgkmcnt(0)
	v_mul_f64 v[204:205], v[194:195], v[8:9]
	v_mul_f64 v[8:9], v[196:197], v[8:9]
	v_add_f64 v[200:201], v[200:201], v[210:211]
	v_add_f64 v[198:199], v[198:199], v[208:209]
	v_fma_f64 v[202:203], v[4:5], v[38:39], v[202:203]
	v_fma_f64 v[38:39], v[2:3], v[38:39], -v[212:213]
	v_fma_f64 v[196:197], v[196:197], v[6:7], v[204:205]
	v_fma_f64 v[6:7], v[194:195], v[6:7], -v[8:9]
	v_add_f64 v[192:193], v[200:201], v[192:193]
	v_add_f64 v[44:45], v[198:199], v[44:45]
	ds_load_b128 v[2:5], v1 offset:1376
	ds_load_b128 v[198:201], v1 offset:1392
	s_waitcnt vmcnt(7) lgkmcnt(1)
	v_mul_f64 v[206:207], v[2:3], v[12:13]
	v_mul_f64 v[12:13], v[4:5], v[12:13]
	v_add_f64 v[8:9], v[192:193], v[38:39]
	v_add_f64 v[38:39], v[44:45], v[202:203]
	s_waitcnt vmcnt(6) lgkmcnt(0)
	v_mul_f64 v[44:45], v[198:199], v[16:17]
	v_mul_f64 v[16:17], v[200:201], v[16:17]
	v_fma_f64 v[192:193], v[4:5], v[10:11], v[206:207]
	v_fma_f64 v[10:11], v[2:3], v[10:11], -v[12:13]
	v_add_f64 v[12:13], v[8:9], v[6:7]
	v_add_f64 v[38:39], v[38:39], v[196:197]
	ds_load_b128 v[2:5], v1 offset:1408
	ds_load_b128 v[6:9], v1 offset:1424
	v_fma_f64 v[44:45], v[200:201], v[14:15], v[44:45]
	v_fma_f64 v[14:15], v[198:199], v[14:15], -v[16:17]
	s_waitcnt vmcnt(5) lgkmcnt(1)
	v_mul_f64 v[194:195], v[2:3], v[20:21]
	v_mul_f64 v[20:21], v[4:5], v[20:21]
	s_waitcnt vmcnt(4) lgkmcnt(0)
	v_mul_f64 v[16:17], v[6:7], v[24:25]
	v_mul_f64 v[24:25], v[8:9], v[24:25]
	v_add_f64 v[10:11], v[12:13], v[10:11]
	v_add_f64 v[12:13], v[38:39], v[192:193]
	v_fma_f64 v[38:39], v[4:5], v[18:19], v[194:195]
	v_fma_f64 v[18:19], v[2:3], v[18:19], -v[20:21]
	v_fma_f64 v[8:9], v[8:9], v[22:23], v[16:17]
	v_fma_f64 v[6:7], v[6:7], v[22:23], -v[24:25]
	v_add_f64 v[14:15], v[10:11], v[14:15]
	v_add_f64 v[20:21], v[12:13], v[44:45]
	ds_load_b128 v[2:5], v1 offset:1440
	ds_load_b128 v[10:13], v1 offset:1456
	s_waitcnt vmcnt(3) lgkmcnt(1)
	v_mul_f64 v[44:45], v[2:3], v[28:29]
	v_mul_f64 v[28:29], v[4:5], v[28:29]
	v_add_f64 v[14:15], v[14:15], v[18:19]
	v_add_f64 v[16:17], v[20:21], v[38:39]
	s_waitcnt vmcnt(2) lgkmcnt(0)
	v_mul_f64 v[18:19], v[10:11], v[32:33]
	v_mul_f64 v[20:21], v[12:13], v[32:33]
	v_fma_f64 v[22:23], v[4:5], v[26:27], v[44:45]
	v_fma_f64 v[24:25], v[2:3], v[26:27], -v[28:29]
	v_add_f64 v[14:15], v[14:15], v[6:7]
	v_add_f64 v[16:17], v[16:17], v[8:9]
	ds_load_b128 v[2:5], v1 offset:1472
	ds_load_b128 v[6:9], v1 offset:1488
	v_fma_f64 v[12:13], v[12:13], v[30:31], v[18:19]
	v_fma_f64 v[10:11], v[10:11], v[30:31], -v[20:21]
	s_waitcnt vmcnt(1) lgkmcnt(1)
	v_mul_f64 v[26:27], v[2:3], v[36:37]
	v_mul_f64 v[28:29], v[4:5], v[36:37]
	s_waitcnt vmcnt(0) lgkmcnt(0)
	v_mul_f64 v[18:19], v[6:7], v[42:43]
	v_add_f64 v[14:15], v[14:15], v[24:25]
	v_add_f64 v[16:17], v[16:17], v[22:23]
	v_mul_f64 v[20:21], v[8:9], v[42:43]
	v_fma_f64 v[4:5], v[4:5], v[34:35], v[26:27]
	v_fma_f64 v[1:2], v[2:3], v[34:35], -v[28:29]
	v_fma_f64 v[8:9], v[8:9], v[40:41], v[18:19]
	v_add_f64 v[10:11], v[14:15], v[10:11]
	v_add_f64 v[12:13], v[16:17], v[12:13]
	v_fma_f64 v[6:7], v[6:7], v[40:41], -v[20:21]
	s_delay_alu instid0(VALU_DEP_3) | instskip(NEXT) | instid1(VALU_DEP_3)
	v_add_f64 v[1:2], v[10:11], v[1:2]
	v_add_f64 v[3:4], v[12:13], v[4:5]
	s_delay_alu instid0(VALU_DEP_2) | instskip(NEXT) | instid1(VALU_DEP_2)
	v_add_f64 v[1:2], v[1:2], v[6:7]
	v_add_f64 v[3:4], v[3:4], v[8:9]
	s_delay_alu instid0(VALU_DEP_2) | instskip(NEXT) | instid1(VALU_DEP_2)
	v_add_f64 v[1:2], v[188:189], -v[1:2]
	v_add_f64 v[3:4], v[190:191], -v[3:4]
	scratch_store_b128 off, v[1:4], off offset:416
	v_cmpx_lt_u32_e32 25, v140
	s_cbranch_execz .LBB46_245
; %bb.244:
	scratch_load_b128 v[1:4], v160, off
	v_mov_b32_e32 v5, 0
	s_delay_alu instid0(VALU_DEP_1)
	v_mov_b32_e32 v6, v5
	v_mov_b32_e32 v7, v5
	;; [unrolled: 1-line block ×3, first 2 shown]
	scratch_store_b128 off, v[5:8], off offset:400
	s_waitcnt vmcnt(0)
	ds_store_b128 v187, v[1:4]
.LBB46_245:
	s_or_b32 exec_lo, exec_lo, s2
	s_waitcnt lgkmcnt(0)
	s_waitcnt_vscnt null, 0x0
	s_barrier
	buffer_gl0_inv
	s_clause 0x7
	scratch_load_b128 v[2:5], off, off offset:416
	scratch_load_b128 v[6:9], off, off offset:432
	;; [unrolled: 1-line block ×8, first 2 shown]
	v_mov_b32_e32 v1, 0
	s_mov_b32 s2, exec_lo
	ds_load_b128 v[34:37], v1 offset:1168
	s_clause 0x1
	scratch_load_b128 v[38:41], off, off offset:544
	scratch_load_b128 v[42:45], off, off offset:400
	ds_load_b128 v[188:191], v1 offset:1184
	scratch_load_b128 v[192:195], off, off offset:560
	s_waitcnt vmcnt(10) lgkmcnt(1)
	v_mul_f64 v[196:197], v[36:37], v[4:5]
	v_mul_f64 v[4:5], v[34:35], v[4:5]
	s_delay_alu instid0(VALU_DEP_2) | instskip(NEXT) | instid1(VALU_DEP_2)
	v_fma_f64 v[202:203], v[34:35], v[2:3], -v[196:197]
	v_fma_f64 v[204:205], v[36:37], v[2:3], v[4:5]
	scratch_load_b128 v[34:37], off, off offset:576
	ds_load_b128 v[2:5], v1 offset:1200
	s_waitcnt vmcnt(10) lgkmcnt(1)
	v_mul_f64 v[200:201], v[188:189], v[8:9]
	v_mul_f64 v[8:9], v[190:191], v[8:9]
	ds_load_b128 v[196:199], v1 offset:1216
	s_waitcnt vmcnt(9) lgkmcnt(1)
	v_mul_f64 v[206:207], v[2:3], v[12:13]
	v_mul_f64 v[12:13], v[4:5], v[12:13]
	v_fma_f64 v[190:191], v[190:191], v[6:7], v[200:201]
	v_fma_f64 v[188:189], v[188:189], v[6:7], -v[8:9]
	v_add_f64 v[200:201], v[202:203], 0
	v_add_f64 v[202:203], v[204:205], 0
	scratch_load_b128 v[6:9], off, off offset:592
	v_fma_f64 v[206:207], v[4:5], v[10:11], v[206:207]
	v_fma_f64 v[208:209], v[2:3], v[10:11], -v[12:13]
	scratch_load_b128 v[10:13], off, off offset:608
	ds_load_b128 v[2:5], v1 offset:1232
	s_waitcnt vmcnt(10) lgkmcnt(1)
	v_mul_f64 v[204:205], v[196:197], v[16:17]
	v_mul_f64 v[16:17], v[198:199], v[16:17]
	v_add_f64 v[200:201], v[200:201], v[188:189]
	v_add_f64 v[202:203], v[202:203], v[190:191]
	s_waitcnt vmcnt(9) lgkmcnt(0)
	v_mul_f64 v[210:211], v[2:3], v[20:21]
	v_mul_f64 v[20:21], v[4:5], v[20:21]
	ds_load_b128 v[188:191], v1 offset:1248
	v_fma_f64 v[198:199], v[198:199], v[14:15], v[204:205]
	v_fma_f64 v[196:197], v[196:197], v[14:15], -v[16:17]
	scratch_load_b128 v[14:17], off, off offset:624
	v_add_f64 v[200:201], v[200:201], v[208:209]
	v_add_f64 v[202:203], v[202:203], v[206:207]
	v_fma_f64 v[206:207], v[4:5], v[18:19], v[210:211]
	v_fma_f64 v[208:209], v[2:3], v[18:19], -v[20:21]
	scratch_load_b128 v[18:21], off, off offset:640
	ds_load_b128 v[2:5], v1 offset:1264
	s_waitcnt vmcnt(10) lgkmcnt(1)
	v_mul_f64 v[204:205], v[188:189], v[24:25]
	v_mul_f64 v[24:25], v[190:191], v[24:25]
	s_waitcnt vmcnt(9) lgkmcnt(0)
	v_mul_f64 v[210:211], v[2:3], v[28:29]
	v_mul_f64 v[28:29], v[4:5], v[28:29]
	v_add_f64 v[200:201], v[200:201], v[196:197]
	v_add_f64 v[202:203], v[202:203], v[198:199]
	ds_load_b128 v[196:199], v1 offset:1280
	v_fma_f64 v[190:191], v[190:191], v[22:23], v[204:205]
	v_fma_f64 v[188:189], v[188:189], v[22:23], -v[24:25]
	scratch_load_b128 v[22:25], off, off offset:656
	v_add_f64 v[200:201], v[200:201], v[208:209]
	v_add_f64 v[202:203], v[202:203], v[206:207]
	v_fma_f64 v[206:207], v[4:5], v[26:27], v[210:211]
	v_fma_f64 v[208:209], v[2:3], v[26:27], -v[28:29]
	scratch_load_b128 v[26:29], off, off offset:672
	ds_load_b128 v[2:5], v1 offset:1296
	s_waitcnt vmcnt(10) lgkmcnt(1)
	v_mul_f64 v[204:205], v[196:197], v[32:33]
	v_mul_f64 v[32:33], v[198:199], v[32:33]
	s_waitcnt vmcnt(9) lgkmcnt(0)
	v_mul_f64 v[210:211], v[2:3], v[40:41]
	v_mul_f64 v[40:41], v[4:5], v[40:41]
	v_add_f64 v[200:201], v[200:201], v[188:189]
	v_add_f64 v[202:203], v[202:203], v[190:191]
	ds_load_b128 v[188:191], v1 offset:1312
	v_fma_f64 v[198:199], v[198:199], v[30:31], v[204:205]
	v_fma_f64 v[196:197], v[196:197], v[30:31], -v[32:33]
	scratch_load_b128 v[30:33], off, off offset:688
	v_add_f64 v[200:201], v[200:201], v[208:209]
	v_add_f64 v[202:203], v[202:203], v[206:207]
	v_fma_f64 v[208:209], v[4:5], v[38:39], v[210:211]
	v_fma_f64 v[210:211], v[2:3], v[38:39], -v[40:41]
	scratch_load_b128 v[38:41], off, off offset:704
	ds_load_b128 v[2:5], v1 offset:1328
	s_waitcnt vmcnt(9) lgkmcnt(1)
	v_mul_f64 v[204:205], v[188:189], v[194:195]
	v_mul_f64 v[206:207], v[190:191], v[194:195]
	v_add_f64 v[200:201], v[200:201], v[196:197]
	v_add_f64 v[198:199], v[202:203], v[198:199]
	ds_load_b128 v[194:197], v1 offset:1344
	v_fma_f64 v[204:205], v[190:191], v[192:193], v[204:205]
	v_fma_f64 v[192:193], v[188:189], v[192:193], -v[206:207]
	scratch_load_b128 v[188:191], off, off offset:720
	s_waitcnt vmcnt(9) lgkmcnt(1)
	v_mul_f64 v[202:203], v[2:3], v[36:37]
	v_mul_f64 v[36:37], v[4:5], v[36:37]
	v_add_f64 v[200:201], v[200:201], v[210:211]
	v_add_f64 v[198:199], v[198:199], v[208:209]
	s_delay_alu instid0(VALU_DEP_4) | instskip(NEXT) | instid1(VALU_DEP_4)
	v_fma_f64 v[202:203], v[4:5], v[34:35], v[202:203]
	v_fma_f64 v[208:209], v[2:3], v[34:35], -v[36:37]
	scratch_load_b128 v[34:37], off, off offset:736
	ds_load_b128 v[2:5], v1 offset:1360
	s_waitcnt vmcnt(9) lgkmcnt(1)
	v_mul_f64 v[206:207], v[194:195], v[8:9]
	v_mul_f64 v[8:9], v[196:197], v[8:9]
	s_waitcnt vmcnt(8) lgkmcnt(0)
	v_mul_f64 v[210:211], v[2:3], v[12:13]
	v_mul_f64 v[12:13], v[4:5], v[12:13]
	v_add_f64 v[192:193], v[200:201], v[192:193]
	v_add_f64 v[204:205], v[198:199], v[204:205]
	ds_load_b128 v[198:201], v1 offset:1376
	v_fma_f64 v[196:197], v[196:197], v[6:7], v[206:207]
	v_fma_f64 v[6:7], v[194:195], v[6:7], -v[8:9]
	v_add_f64 v[8:9], v[192:193], v[208:209]
	v_add_f64 v[192:193], v[204:205], v[202:203]
	s_waitcnt vmcnt(7) lgkmcnt(0)
	v_mul_f64 v[194:195], v[198:199], v[16:17]
	v_mul_f64 v[16:17], v[200:201], v[16:17]
	v_fma_f64 v[202:203], v[4:5], v[10:11], v[210:211]
	v_fma_f64 v[10:11], v[2:3], v[10:11], -v[12:13]
	v_add_f64 v[12:13], v[8:9], v[6:7]
	v_add_f64 v[192:193], v[192:193], v[196:197]
	ds_load_b128 v[2:5], v1 offset:1392
	ds_load_b128 v[6:9], v1 offset:1408
	v_fma_f64 v[194:195], v[200:201], v[14:15], v[194:195]
	v_fma_f64 v[14:15], v[198:199], v[14:15], -v[16:17]
	s_waitcnt vmcnt(6) lgkmcnt(1)
	v_mul_f64 v[196:197], v[2:3], v[20:21]
	v_mul_f64 v[20:21], v[4:5], v[20:21]
	s_waitcnt vmcnt(5) lgkmcnt(0)
	v_mul_f64 v[16:17], v[6:7], v[24:25]
	v_mul_f64 v[24:25], v[8:9], v[24:25]
	v_add_f64 v[10:11], v[12:13], v[10:11]
	v_add_f64 v[12:13], v[192:193], v[202:203]
	v_fma_f64 v[192:193], v[4:5], v[18:19], v[196:197]
	v_fma_f64 v[18:19], v[2:3], v[18:19], -v[20:21]
	v_fma_f64 v[8:9], v[8:9], v[22:23], v[16:17]
	v_fma_f64 v[6:7], v[6:7], v[22:23], -v[24:25]
	v_add_f64 v[14:15], v[10:11], v[14:15]
	v_add_f64 v[20:21], v[12:13], v[194:195]
	ds_load_b128 v[2:5], v1 offset:1424
	ds_load_b128 v[10:13], v1 offset:1440
	s_waitcnt vmcnt(4) lgkmcnt(1)
	v_mul_f64 v[194:195], v[2:3], v[28:29]
	v_mul_f64 v[28:29], v[4:5], v[28:29]
	v_add_f64 v[14:15], v[14:15], v[18:19]
	v_add_f64 v[16:17], v[20:21], v[192:193]
	s_waitcnt vmcnt(3) lgkmcnt(0)
	v_mul_f64 v[18:19], v[10:11], v[32:33]
	v_mul_f64 v[20:21], v[12:13], v[32:33]
	v_fma_f64 v[22:23], v[4:5], v[26:27], v[194:195]
	v_fma_f64 v[24:25], v[2:3], v[26:27], -v[28:29]
	v_add_f64 v[14:15], v[14:15], v[6:7]
	v_add_f64 v[16:17], v[16:17], v[8:9]
	ds_load_b128 v[2:5], v1 offset:1456
	ds_load_b128 v[6:9], v1 offset:1472
	v_fma_f64 v[12:13], v[12:13], v[30:31], v[18:19]
	v_fma_f64 v[10:11], v[10:11], v[30:31], -v[20:21]
	s_waitcnt vmcnt(2) lgkmcnt(1)
	v_mul_f64 v[26:27], v[2:3], v[40:41]
	v_mul_f64 v[28:29], v[4:5], v[40:41]
	s_waitcnt vmcnt(1) lgkmcnt(0)
	v_mul_f64 v[18:19], v[6:7], v[190:191]
	v_mul_f64 v[20:21], v[8:9], v[190:191]
	v_add_f64 v[14:15], v[14:15], v[24:25]
	v_add_f64 v[16:17], v[16:17], v[22:23]
	v_fma_f64 v[22:23], v[4:5], v[38:39], v[26:27]
	v_fma_f64 v[24:25], v[2:3], v[38:39], -v[28:29]
	ds_load_b128 v[2:5], v1 offset:1488
	v_fma_f64 v[8:9], v[8:9], v[188:189], v[18:19]
	v_fma_f64 v[6:7], v[6:7], v[188:189], -v[20:21]
	v_add_f64 v[10:11], v[14:15], v[10:11]
	v_add_f64 v[12:13], v[16:17], v[12:13]
	s_waitcnt vmcnt(0) lgkmcnt(0)
	v_mul_f64 v[14:15], v[2:3], v[36:37]
	v_mul_f64 v[16:17], v[4:5], v[36:37]
	s_delay_alu instid0(VALU_DEP_4) | instskip(NEXT) | instid1(VALU_DEP_4)
	v_add_f64 v[10:11], v[10:11], v[24:25]
	v_add_f64 v[12:13], v[12:13], v[22:23]
	s_delay_alu instid0(VALU_DEP_4) | instskip(NEXT) | instid1(VALU_DEP_4)
	v_fma_f64 v[4:5], v[4:5], v[34:35], v[14:15]
	v_fma_f64 v[2:3], v[2:3], v[34:35], -v[16:17]
	s_delay_alu instid0(VALU_DEP_4) | instskip(NEXT) | instid1(VALU_DEP_4)
	v_add_f64 v[6:7], v[10:11], v[6:7]
	v_add_f64 v[8:9], v[12:13], v[8:9]
	s_delay_alu instid0(VALU_DEP_2) | instskip(NEXT) | instid1(VALU_DEP_2)
	v_add_f64 v[2:3], v[6:7], v[2:3]
	v_add_f64 v[4:5], v[8:9], v[4:5]
	s_delay_alu instid0(VALU_DEP_2) | instskip(NEXT) | instid1(VALU_DEP_2)
	v_add_f64 v[2:3], v[42:43], -v[2:3]
	v_add_f64 v[4:5], v[44:45], -v[4:5]
	scratch_store_b128 off, v[2:5], off offset:400
	v_cmpx_lt_u32_e32 24, v140
	s_cbranch_execz .LBB46_247
; %bb.246:
	scratch_load_b128 v[5:8], v162, off
	v_mov_b32_e32 v2, v1
	v_mov_b32_e32 v3, v1
	;; [unrolled: 1-line block ×3, first 2 shown]
	scratch_store_b128 off, v[1:4], off offset:384
	s_waitcnt vmcnt(0)
	ds_store_b128 v187, v[5:8]
.LBB46_247:
	s_or_b32 exec_lo, exec_lo, s2
	s_waitcnt lgkmcnt(0)
	s_waitcnt_vscnt null, 0x0
	s_barrier
	buffer_gl0_inv
	s_clause 0x8
	scratch_load_b128 v[2:5], off, off offset:400
	scratch_load_b128 v[6:9], off, off offset:416
	;; [unrolled: 1-line block ×9, first 2 shown]
	ds_load_b128 v[38:41], v1 offset:1152
	ds_load_b128 v[42:45], v1 offset:1168
	s_clause 0x1
	scratch_load_b128 v[188:191], off, off offset:384
	scratch_load_b128 v[192:195], off, off offset:544
	s_mov_b32 s2, exec_lo
	s_waitcnt vmcnt(10) lgkmcnt(1)
	v_mul_f64 v[196:197], v[40:41], v[4:5]
	v_mul_f64 v[4:5], v[38:39], v[4:5]
	s_waitcnt vmcnt(9) lgkmcnt(0)
	v_mul_f64 v[200:201], v[42:43], v[8:9]
	v_mul_f64 v[8:9], v[44:45], v[8:9]
	s_delay_alu instid0(VALU_DEP_4) | instskip(NEXT) | instid1(VALU_DEP_4)
	v_fma_f64 v[202:203], v[38:39], v[2:3], -v[196:197]
	v_fma_f64 v[204:205], v[40:41], v[2:3], v[4:5]
	ds_load_b128 v[2:5], v1 offset:1184
	ds_load_b128 v[196:199], v1 offset:1200
	scratch_load_b128 v[38:41], off, off offset:560
	v_fma_f64 v[44:45], v[44:45], v[6:7], v[200:201]
	v_fma_f64 v[42:43], v[42:43], v[6:7], -v[8:9]
	scratch_load_b128 v[6:9], off, off offset:576
	s_waitcnt vmcnt(10) lgkmcnt(1)
	v_mul_f64 v[206:207], v[2:3], v[12:13]
	v_mul_f64 v[12:13], v[4:5], v[12:13]
	v_add_f64 v[200:201], v[202:203], 0
	v_add_f64 v[202:203], v[204:205], 0
	s_waitcnt vmcnt(9) lgkmcnt(0)
	v_mul_f64 v[204:205], v[196:197], v[16:17]
	v_mul_f64 v[16:17], v[198:199], v[16:17]
	v_fma_f64 v[206:207], v[4:5], v[10:11], v[206:207]
	v_fma_f64 v[208:209], v[2:3], v[10:11], -v[12:13]
	ds_load_b128 v[2:5], v1 offset:1216
	scratch_load_b128 v[10:13], off, off offset:592
	v_add_f64 v[200:201], v[200:201], v[42:43]
	v_add_f64 v[202:203], v[202:203], v[44:45]
	ds_load_b128 v[42:45], v1 offset:1232
	v_fma_f64 v[198:199], v[198:199], v[14:15], v[204:205]
	v_fma_f64 v[196:197], v[196:197], v[14:15], -v[16:17]
	scratch_load_b128 v[14:17], off, off offset:608
	s_waitcnt vmcnt(10) lgkmcnt(1)
	v_mul_f64 v[210:211], v[2:3], v[20:21]
	v_mul_f64 v[20:21], v[4:5], v[20:21]
	s_waitcnt vmcnt(9) lgkmcnt(0)
	v_mul_f64 v[204:205], v[42:43], v[24:25]
	v_mul_f64 v[24:25], v[44:45], v[24:25]
	v_add_f64 v[200:201], v[200:201], v[208:209]
	v_add_f64 v[202:203], v[202:203], v[206:207]
	v_fma_f64 v[206:207], v[4:5], v[18:19], v[210:211]
	v_fma_f64 v[208:209], v[2:3], v[18:19], -v[20:21]
	ds_load_b128 v[2:5], v1 offset:1248
	scratch_load_b128 v[18:21], off, off offset:624
	v_fma_f64 v[44:45], v[44:45], v[22:23], v[204:205]
	v_fma_f64 v[42:43], v[42:43], v[22:23], -v[24:25]
	scratch_load_b128 v[22:25], off, off offset:640
	v_add_f64 v[200:201], v[200:201], v[196:197]
	v_add_f64 v[202:203], v[202:203], v[198:199]
	ds_load_b128 v[196:199], v1 offset:1264
	s_waitcnt vmcnt(10) lgkmcnt(1)
	v_mul_f64 v[210:211], v[2:3], v[28:29]
	v_mul_f64 v[28:29], v[4:5], v[28:29]
	s_waitcnt vmcnt(9) lgkmcnt(0)
	v_mul_f64 v[204:205], v[196:197], v[32:33]
	v_mul_f64 v[32:33], v[198:199], v[32:33]
	v_add_f64 v[200:201], v[200:201], v[208:209]
	v_add_f64 v[202:203], v[202:203], v[206:207]
	v_fma_f64 v[206:207], v[4:5], v[26:27], v[210:211]
	v_fma_f64 v[208:209], v[2:3], v[26:27], -v[28:29]
	ds_load_b128 v[2:5], v1 offset:1280
	scratch_load_b128 v[26:29], off, off offset:656
	v_fma_f64 v[198:199], v[198:199], v[30:31], v[204:205]
	v_fma_f64 v[196:197], v[196:197], v[30:31], -v[32:33]
	scratch_load_b128 v[30:33], off, off offset:672
	v_add_f64 v[200:201], v[200:201], v[42:43]
	v_add_f64 v[202:203], v[202:203], v[44:45]
	ds_load_b128 v[42:45], v1 offset:1296
	s_waitcnt vmcnt(10) lgkmcnt(1)
	v_mul_f64 v[210:211], v[2:3], v[36:37]
	v_mul_f64 v[36:37], v[4:5], v[36:37]
	s_waitcnt vmcnt(8) lgkmcnt(0)
	v_mul_f64 v[204:205], v[42:43], v[194:195]
	v_add_f64 v[200:201], v[200:201], v[208:209]
	v_add_f64 v[202:203], v[202:203], v[206:207]
	v_mul_f64 v[206:207], v[44:45], v[194:195]
	v_fma_f64 v[208:209], v[4:5], v[34:35], v[210:211]
	v_fma_f64 v[210:211], v[2:3], v[34:35], -v[36:37]
	ds_load_b128 v[2:5], v1 offset:1312
	scratch_load_b128 v[34:37], off, off offset:688
	v_fma_f64 v[44:45], v[44:45], v[192:193], v[204:205]
	v_add_f64 v[200:201], v[200:201], v[196:197]
	v_add_f64 v[198:199], v[202:203], v[198:199]
	ds_load_b128 v[194:197], v1 offset:1328
	v_fma_f64 v[192:193], v[42:43], v[192:193], -v[206:207]
	s_waitcnt vmcnt(8) lgkmcnt(1)
	v_mul_f64 v[202:203], v[2:3], v[40:41]
	v_mul_f64 v[212:213], v[4:5], v[40:41]
	scratch_load_b128 v[40:43], off, off offset:704
	s_waitcnt vmcnt(8) lgkmcnt(0)
	v_mul_f64 v[206:207], v[194:195], v[8:9]
	v_mul_f64 v[8:9], v[196:197], v[8:9]
	v_add_f64 v[200:201], v[200:201], v[210:211]
	v_add_f64 v[198:199], v[198:199], v[208:209]
	v_fma_f64 v[208:209], v[4:5], v[38:39], v[202:203]
	v_fma_f64 v[38:39], v[2:3], v[38:39], -v[212:213]
	ds_load_b128 v[2:5], v1 offset:1344
	ds_load_b128 v[202:205], v1 offset:1360
	v_fma_f64 v[196:197], v[196:197], v[6:7], v[206:207]
	v_fma_f64 v[194:195], v[194:195], v[6:7], -v[8:9]
	scratch_load_b128 v[6:9], off, off offset:736
	v_add_f64 v[192:193], v[200:201], v[192:193]
	v_add_f64 v[44:45], v[198:199], v[44:45]
	scratch_load_b128 v[198:201], off, off offset:720
	s_waitcnt vmcnt(9) lgkmcnt(1)
	v_mul_f64 v[210:211], v[2:3], v[12:13]
	v_mul_f64 v[12:13], v[4:5], v[12:13]
	v_add_f64 v[38:39], v[192:193], v[38:39]
	v_add_f64 v[44:45], v[44:45], v[208:209]
	s_waitcnt vmcnt(8) lgkmcnt(0)
	v_mul_f64 v[192:193], v[202:203], v[16:17]
	v_mul_f64 v[16:17], v[204:205], v[16:17]
	v_fma_f64 v[206:207], v[4:5], v[10:11], v[210:211]
	v_fma_f64 v[208:209], v[2:3], v[10:11], -v[12:13]
	ds_load_b128 v[2:5], v1 offset:1376
	ds_load_b128 v[10:13], v1 offset:1392
	v_add_f64 v[38:39], v[38:39], v[194:195]
	v_add_f64 v[44:45], v[44:45], v[196:197]
	s_waitcnt vmcnt(7) lgkmcnt(1)
	v_mul_f64 v[194:195], v[2:3], v[20:21]
	v_mul_f64 v[20:21], v[4:5], v[20:21]
	v_fma_f64 v[192:193], v[204:205], v[14:15], v[192:193]
	v_fma_f64 v[14:15], v[202:203], v[14:15], -v[16:17]
	v_add_f64 v[16:17], v[38:39], v[208:209]
	v_add_f64 v[38:39], v[44:45], v[206:207]
	s_waitcnt vmcnt(6) lgkmcnt(0)
	v_mul_f64 v[44:45], v[10:11], v[24:25]
	v_mul_f64 v[24:25], v[12:13], v[24:25]
	v_fma_f64 v[194:195], v[4:5], v[18:19], v[194:195]
	v_fma_f64 v[18:19], v[2:3], v[18:19], -v[20:21]
	v_add_f64 v[20:21], v[16:17], v[14:15]
	v_add_f64 v[38:39], v[38:39], v[192:193]
	ds_load_b128 v[2:5], v1 offset:1408
	ds_load_b128 v[14:17], v1 offset:1424
	v_fma_f64 v[12:13], v[12:13], v[22:23], v[44:45]
	v_fma_f64 v[10:11], v[10:11], v[22:23], -v[24:25]
	s_waitcnt vmcnt(5) lgkmcnt(1)
	v_mul_f64 v[192:193], v[2:3], v[28:29]
	v_mul_f64 v[28:29], v[4:5], v[28:29]
	s_waitcnt vmcnt(4) lgkmcnt(0)
	v_mul_f64 v[22:23], v[14:15], v[32:33]
	v_mul_f64 v[24:25], v[16:17], v[32:33]
	v_add_f64 v[18:19], v[20:21], v[18:19]
	v_add_f64 v[20:21], v[38:39], v[194:195]
	v_fma_f64 v[32:33], v[4:5], v[26:27], v[192:193]
	v_fma_f64 v[26:27], v[2:3], v[26:27], -v[28:29]
	v_fma_f64 v[16:17], v[16:17], v[30:31], v[22:23]
	v_fma_f64 v[14:15], v[14:15], v[30:31], -v[24:25]
	v_add_f64 v[18:19], v[18:19], v[10:11]
	v_add_f64 v[20:21], v[20:21], v[12:13]
	ds_load_b128 v[2:5], v1 offset:1440
	ds_load_b128 v[10:13], v1 offset:1456
	s_waitcnt vmcnt(3) lgkmcnt(1)
	v_mul_f64 v[28:29], v[2:3], v[36:37]
	v_mul_f64 v[36:37], v[4:5], v[36:37]
	s_waitcnt vmcnt(2) lgkmcnt(0)
	v_mul_f64 v[22:23], v[10:11], v[42:43]
	v_add_f64 v[18:19], v[18:19], v[26:27]
	v_add_f64 v[20:21], v[20:21], v[32:33]
	v_mul_f64 v[24:25], v[12:13], v[42:43]
	v_fma_f64 v[26:27], v[4:5], v[34:35], v[28:29]
	v_fma_f64 v[28:29], v[2:3], v[34:35], -v[36:37]
	v_fma_f64 v[12:13], v[12:13], v[40:41], v[22:23]
	v_add_f64 v[18:19], v[18:19], v[14:15]
	v_add_f64 v[20:21], v[20:21], v[16:17]
	ds_load_b128 v[2:5], v1 offset:1472
	ds_load_b128 v[14:17], v1 offset:1488
	v_fma_f64 v[10:11], v[10:11], v[40:41], -v[24:25]
	s_waitcnt vmcnt(0) lgkmcnt(1)
	v_mul_f64 v[30:31], v[2:3], v[200:201]
	v_mul_f64 v[32:33], v[4:5], v[200:201]
	s_waitcnt lgkmcnt(0)
	v_mul_f64 v[22:23], v[14:15], v[8:9]
	v_mul_f64 v[8:9], v[16:17], v[8:9]
	v_add_f64 v[18:19], v[18:19], v[28:29]
	v_add_f64 v[20:21], v[20:21], v[26:27]
	v_fma_f64 v[4:5], v[4:5], v[198:199], v[30:31]
	v_fma_f64 v[1:2], v[2:3], v[198:199], -v[32:33]
	v_fma_f64 v[16:17], v[16:17], v[6:7], v[22:23]
	v_fma_f64 v[6:7], v[14:15], v[6:7], -v[8:9]
	v_add_f64 v[10:11], v[18:19], v[10:11]
	v_add_f64 v[12:13], v[20:21], v[12:13]
	s_delay_alu instid0(VALU_DEP_2) | instskip(NEXT) | instid1(VALU_DEP_2)
	v_add_f64 v[1:2], v[10:11], v[1:2]
	v_add_f64 v[3:4], v[12:13], v[4:5]
	s_delay_alu instid0(VALU_DEP_2) | instskip(NEXT) | instid1(VALU_DEP_2)
	;; [unrolled: 3-line block ×3, first 2 shown]
	v_add_f64 v[1:2], v[188:189], -v[1:2]
	v_add_f64 v[3:4], v[190:191], -v[3:4]
	scratch_store_b128 off, v[1:4], off offset:384
	v_cmpx_lt_u32_e32 23, v140
	s_cbranch_execz .LBB46_249
; %bb.248:
	scratch_load_b128 v[1:4], v163, off
	v_mov_b32_e32 v5, 0
	s_delay_alu instid0(VALU_DEP_1)
	v_mov_b32_e32 v6, v5
	v_mov_b32_e32 v7, v5
	;; [unrolled: 1-line block ×3, first 2 shown]
	scratch_store_b128 off, v[5:8], off offset:368
	s_waitcnt vmcnt(0)
	ds_store_b128 v187, v[1:4]
.LBB46_249:
	s_or_b32 exec_lo, exec_lo, s2
	s_waitcnt lgkmcnt(0)
	s_waitcnt_vscnt null, 0x0
	s_barrier
	buffer_gl0_inv
	s_clause 0x7
	scratch_load_b128 v[2:5], off, off offset:384
	scratch_load_b128 v[6:9], off, off offset:400
	;; [unrolled: 1-line block ×8, first 2 shown]
	v_mov_b32_e32 v1, 0
	s_mov_b32 s2, exec_lo
	ds_load_b128 v[34:37], v1 offset:1136
	s_clause 0x1
	scratch_load_b128 v[38:41], off, off offset:512
	scratch_load_b128 v[42:45], off, off offset:368
	ds_load_b128 v[188:191], v1 offset:1152
	scratch_load_b128 v[192:195], off, off offset:528
	s_waitcnt vmcnt(10) lgkmcnt(1)
	v_mul_f64 v[196:197], v[36:37], v[4:5]
	v_mul_f64 v[4:5], v[34:35], v[4:5]
	s_delay_alu instid0(VALU_DEP_2) | instskip(NEXT) | instid1(VALU_DEP_2)
	v_fma_f64 v[202:203], v[34:35], v[2:3], -v[196:197]
	v_fma_f64 v[204:205], v[36:37], v[2:3], v[4:5]
	scratch_load_b128 v[34:37], off, off offset:544
	ds_load_b128 v[2:5], v1 offset:1168
	s_waitcnt vmcnt(10) lgkmcnt(1)
	v_mul_f64 v[200:201], v[188:189], v[8:9]
	v_mul_f64 v[8:9], v[190:191], v[8:9]
	ds_load_b128 v[196:199], v1 offset:1184
	s_waitcnt vmcnt(9) lgkmcnt(1)
	v_mul_f64 v[206:207], v[2:3], v[12:13]
	v_mul_f64 v[12:13], v[4:5], v[12:13]
	v_fma_f64 v[190:191], v[190:191], v[6:7], v[200:201]
	v_fma_f64 v[188:189], v[188:189], v[6:7], -v[8:9]
	v_add_f64 v[200:201], v[202:203], 0
	v_add_f64 v[202:203], v[204:205], 0
	scratch_load_b128 v[6:9], off, off offset:560
	v_fma_f64 v[206:207], v[4:5], v[10:11], v[206:207]
	v_fma_f64 v[208:209], v[2:3], v[10:11], -v[12:13]
	scratch_load_b128 v[10:13], off, off offset:576
	ds_load_b128 v[2:5], v1 offset:1200
	s_waitcnt vmcnt(10) lgkmcnt(1)
	v_mul_f64 v[204:205], v[196:197], v[16:17]
	v_mul_f64 v[16:17], v[198:199], v[16:17]
	v_add_f64 v[200:201], v[200:201], v[188:189]
	v_add_f64 v[202:203], v[202:203], v[190:191]
	s_waitcnt vmcnt(9) lgkmcnt(0)
	v_mul_f64 v[210:211], v[2:3], v[20:21]
	v_mul_f64 v[20:21], v[4:5], v[20:21]
	ds_load_b128 v[188:191], v1 offset:1216
	v_fma_f64 v[198:199], v[198:199], v[14:15], v[204:205]
	v_fma_f64 v[196:197], v[196:197], v[14:15], -v[16:17]
	scratch_load_b128 v[14:17], off, off offset:592
	v_add_f64 v[200:201], v[200:201], v[208:209]
	v_add_f64 v[202:203], v[202:203], v[206:207]
	v_fma_f64 v[206:207], v[4:5], v[18:19], v[210:211]
	v_fma_f64 v[208:209], v[2:3], v[18:19], -v[20:21]
	scratch_load_b128 v[18:21], off, off offset:608
	ds_load_b128 v[2:5], v1 offset:1232
	s_waitcnt vmcnt(10) lgkmcnt(1)
	v_mul_f64 v[204:205], v[188:189], v[24:25]
	v_mul_f64 v[24:25], v[190:191], v[24:25]
	s_waitcnt vmcnt(9) lgkmcnt(0)
	v_mul_f64 v[210:211], v[2:3], v[28:29]
	v_mul_f64 v[28:29], v[4:5], v[28:29]
	v_add_f64 v[200:201], v[200:201], v[196:197]
	v_add_f64 v[202:203], v[202:203], v[198:199]
	ds_load_b128 v[196:199], v1 offset:1248
	v_fma_f64 v[190:191], v[190:191], v[22:23], v[204:205]
	v_fma_f64 v[188:189], v[188:189], v[22:23], -v[24:25]
	scratch_load_b128 v[22:25], off, off offset:624
	v_add_f64 v[200:201], v[200:201], v[208:209]
	v_add_f64 v[202:203], v[202:203], v[206:207]
	v_fma_f64 v[206:207], v[4:5], v[26:27], v[210:211]
	v_fma_f64 v[208:209], v[2:3], v[26:27], -v[28:29]
	scratch_load_b128 v[26:29], off, off offset:640
	ds_load_b128 v[2:5], v1 offset:1264
	s_waitcnt vmcnt(10) lgkmcnt(1)
	v_mul_f64 v[204:205], v[196:197], v[32:33]
	v_mul_f64 v[32:33], v[198:199], v[32:33]
	s_waitcnt vmcnt(9) lgkmcnt(0)
	v_mul_f64 v[210:211], v[2:3], v[40:41]
	v_mul_f64 v[40:41], v[4:5], v[40:41]
	v_add_f64 v[200:201], v[200:201], v[188:189]
	v_add_f64 v[202:203], v[202:203], v[190:191]
	ds_load_b128 v[188:191], v1 offset:1280
	v_fma_f64 v[198:199], v[198:199], v[30:31], v[204:205]
	v_fma_f64 v[196:197], v[196:197], v[30:31], -v[32:33]
	scratch_load_b128 v[30:33], off, off offset:656
	v_add_f64 v[200:201], v[200:201], v[208:209]
	v_add_f64 v[202:203], v[202:203], v[206:207]
	v_fma_f64 v[208:209], v[4:5], v[38:39], v[210:211]
	v_fma_f64 v[210:211], v[2:3], v[38:39], -v[40:41]
	scratch_load_b128 v[38:41], off, off offset:672
	ds_load_b128 v[2:5], v1 offset:1296
	s_waitcnt vmcnt(9) lgkmcnt(1)
	v_mul_f64 v[204:205], v[188:189], v[194:195]
	v_mul_f64 v[206:207], v[190:191], v[194:195]
	v_add_f64 v[200:201], v[200:201], v[196:197]
	v_add_f64 v[198:199], v[202:203], v[198:199]
	ds_load_b128 v[194:197], v1 offset:1312
	v_fma_f64 v[204:205], v[190:191], v[192:193], v[204:205]
	v_fma_f64 v[192:193], v[188:189], v[192:193], -v[206:207]
	scratch_load_b128 v[188:191], off, off offset:688
	s_waitcnt vmcnt(9) lgkmcnt(1)
	v_mul_f64 v[202:203], v[2:3], v[36:37]
	v_mul_f64 v[36:37], v[4:5], v[36:37]
	v_add_f64 v[200:201], v[200:201], v[210:211]
	v_add_f64 v[198:199], v[198:199], v[208:209]
	s_delay_alu instid0(VALU_DEP_4) | instskip(NEXT) | instid1(VALU_DEP_4)
	v_fma_f64 v[202:203], v[4:5], v[34:35], v[202:203]
	v_fma_f64 v[208:209], v[2:3], v[34:35], -v[36:37]
	scratch_load_b128 v[34:37], off, off offset:704
	ds_load_b128 v[2:5], v1 offset:1328
	s_waitcnt vmcnt(9) lgkmcnt(1)
	v_mul_f64 v[206:207], v[194:195], v[8:9]
	v_mul_f64 v[8:9], v[196:197], v[8:9]
	s_waitcnt vmcnt(8) lgkmcnt(0)
	v_mul_f64 v[210:211], v[2:3], v[12:13]
	v_mul_f64 v[12:13], v[4:5], v[12:13]
	v_add_f64 v[192:193], v[200:201], v[192:193]
	v_add_f64 v[204:205], v[198:199], v[204:205]
	ds_load_b128 v[198:201], v1 offset:1344
	v_fma_f64 v[196:197], v[196:197], v[6:7], v[206:207]
	v_fma_f64 v[194:195], v[194:195], v[6:7], -v[8:9]
	scratch_load_b128 v[6:9], off, off offset:720
	v_fma_f64 v[206:207], v[4:5], v[10:11], v[210:211]
	v_add_f64 v[192:193], v[192:193], v[208:209]
	v_add_f64 v[202:203], v[204:205], v[202:203]
	v_fma_f64 v[208:209], v[2:3], v[10:11], -v[12:13]
	scratch_load_b128 v[10:13], off, off offset:736
	ds_load_b128 v[2:5], v1 offset:1360
	s_waitcnt vmcnt(9) lgkmcnt(1)
	v_mul_f64 v[204:205], v[198:199], v[16:17]
	v_mul_f64 v[16:17], v[200:201], v[16:17]
	v_add_f64 v[210:211], v[192:193], v[194:195]
	v_add_f64 v[196:197], v[202:203], v[196:197]
	s_waitcnt vmcnt(8) lgkmcnt(0)
	v_mul_f64 v[202:203], v[2:3], v[20:21]
	v_mul_f64 v[20:21], v[4:5], v[20:21]
	ds_load_b128 v[192:195], v1 offset:1376
	v_fma_f64 v[200:201], v[200:201], v[14:15], v[204:205]
	v_fma_f64 v[14:15], v[198:199], v[14:15], -v[16:17]
	s_waitcnt vmcnt(7) lgkmcnt(0)
	v_mul_f64 v[198:199], v[192:193], v[24:25]
	v_mul_f64 v[24:25], v[194:195], v[24:25]
	v_add_f64 v[16:17], v[210:211], v[208:209]
	v_add_f64 v[196:197], v[196:197], v[206:207]
	v_fma_f64 v[202:203], v[4:5], v[18:19], v[202:203]
	v_fma_f64 v[18:19], v[2:3], v[18:19], -v[20:21]
	v_fma_f64 v[194:195], v[194:195], v[22:23], v[198:199]
	v_fma_f64 v[22:23], v[192:193], v[22:23], -v[24:25]
	v_add_f64 v[20:21], v[16:17], v[14:15]
	v_add_f64 v[196:197], v[196:197], v[200:201]
	ds_load_b128 v[2:5], v1 offset:1392
	ds_load_b128 v[14:17], v1 offset:1408
	s_waitcnt vmcnt(6) lgkmcnt(1)
	v_mul_f64 v[200:201], v[2:3], v[28:29]
	v_mul_f64 v[28:29], v[4:5], v[28:29]
	s_waitcnt vmcnt(5) lgkmcnt(0)
	v_mul_f64 v[24:25], v[14:15], v[32:33]
	v_mul_f64 v[32:33], v[16:17], v[32:33]
	v_add_f64 v[18:19], v[20:21], v[18:19]
	v_add_f64 v[20:21], v[196:197], v[202:203]
	v_fma_f64 v[192:193], v[4:5], v[26:27], v[200:201]
	v_fma_f64 v[26:27], v[2:3], v[26:27], -v[28:29]
	v_fma_f64 v[16:17], v[16:17], v[30:31], v[24:25]
	v_fma_f64 v[14:15], v[14:15], v[30:31], -v[32:33]
	v_add_f64 v[22:23], v[18:19], v[22:23]
	v_add_f64 v[28:29], v[20:21], v[194:195]
	ds_load_b128 v[2:5], v1 offset:1424
	ds_load_b128 v[18:21], v1 offset:1440
	s_waitcnt vmcnt(4) lgkmcnt(1)
	v_mul_f64 v[194:195], v[2:3], v[40:41]
	v_mul_f64 v[40:41], v[4:5], v[40:41]
	v_add_f64 v[22:23], v[22:23], v[26:27]
	v_add_f64 v[24:25], v[28:29], v[192:193]
	s_waitcnt vmcnt(3) lgkmcnt(0)
	v_mul_f64 v[26:27], v[18:19], v[190:191]
	v_mul_f64 v[28:29], v[20:21], v[190:191]
	v_fma_f64 v[30:31], v[4:5], v[38:39], v[194:195]
	v_fma_f64 v[32:33], v[2:3], v[38:39], -v[40:41]
	v_add_f64 v[22:23], v[22:23], v[14:15]
	v_add_f64 v[24:25], v[24:25], v[16:17]
	ds_load_b128 v[2:5], v1 offset:1456
	ds_load_b128 v[14:17], v1 offset:1472
	v_fma_f64 v[20:21], v[20:21], v[188:189], v[26:27]
	v_fma_f64 v[18:19], v[18:19], v[188:189], -v[28:29]
	s_waitcnt vmcnt(2) lgkmcnt(1)
	v_mul_f64 v[38:39], v[2:3], v[36:37]
	v_mul_f64 v[36:37], v[4:5], v[36:37]
	s_waitcnt vmcnt(1) lgkmcnt(0)
	v_mul_f64 v[26:27], v[14:15], v[8:9]
	v_mul_f64 v[8:9], v[16:17], v[8:9]
	v_add_f64 v[22:23], v[22:23], v[32:33]
	v_add_f64 v[24:25], v[24:25], v[30:31]
	v_fma_f64 v[28:29], v[4:5], v[34:35], v[38:39]
	v_fma_f64 v[30:31], v[2:3], v[34:35], -v[36:37]
	ds_load_b128 v[2:5], v1 offset:1488
	v_fma_f64 v[16:17], v[16:17], v[6:7], v[26:27]
	v_fma_f64 v[6:7], v[14:15], v[6:7], -v[8:9]
	v_add_f64 v[18:19], v[22:23], v[18:19]
	v_add_f64 v[20:21], v[24:25], v[20:21]
	s_waitcnt vmcnt(0) lgkmcnt(0)
	v_mul_f64 v[22:23], v[2:3], v[12:13]
	v_mul_f64 v[12:13], v[4:5], v[12:13]
	s_delay_alu instid0(VALU_DEP_4) | instskip(NEXT) | instid1(VALU_DEP_4)
	v_add_f64 v[8:9], v[18:19], v[30:31]
	v_add_f64 v[14:15], v[20:21], v[28:29]
	s_delay_alu instid0(VALU_DEP_4) | instskip(NEXT) | instid1(VALU_DEP_4)
	v_fma_f64 v[4:5], v[4:5], v[10:11], v[22:23]
	v_fma_f64 v[2:3], v[2:3], v[10:11], -v[12:13]
	s_delay_alu instid0(VALU_DEP_4) | instskip(NEXT) | instid1(VALU_DEP_4)
	v_add_f64 v[6:7], v[8:9], v[6:7]
	v_add_f64 v[8:9], v[14:15], v[16:17]
	s_delay_alu instid0(VALU_DEP_2) | instskip(NEXT) | instid1(VALU_DEP_2)
	v_add_f64 v[2:3], v[6:7], v[2:3]
	v_add_f64 v[4:5], v[8:9], v[4:5]
	s_delay_alu instid0(VALU_DEP_2) | instskip(NEXT) | instid1(VALU_DEP_2)
	v_add_f64 v[2:3], v[42:43], -v[2:3]
	v_add_f64 v[4:5], v[44:45], -v[4:5]
	scratch_store_b128 off, v[2:5], off offset:368
	v_cmpx_lt_u32_e32 22, v140
	s_cbranch_execz .LBB46_251
; %bb.250:
	scratch_load_b128 v[5:8], v165, off
	v_mov_b32_e32 v2, v1
	v_mov_b32_e32 v3, v1
	;; [unrolled: 1-line block ×3, first 2 shown]
	scratch_store_b128 off, v[1:4], off offset:352
	s_waitcnt vmcnt(0)
	ds_store_b128 v187, v[5:8]
.LBB46_251:
	s_or_b32 exec_lo, exec_lo, s2
	s_waitcnt lgkmcnt(0)
	s_waitcnt_vscnt null, 0x0
	s_barrier
	buffer_gl0_inv
	s_clause 0x8
	scratch_load_b128 v[2:5], off, off offset:368
	scratch_load_b128 v[6:9], off, off offset:384
	;; [unrolled: 1-line block ×9, first 2 shown]
	ds_load_b128 v[38:41], v1 offset:1120
	ds_load_b128 v[42:45], v1 offset:1136
	s_clause 0x1
	scratch_load_b128 v[188:191], off, off offset:352
	scratch_load_b128 v[192:195], off, off offset:512
	s_mov_b32 s2, exec_lo
	s_waitcnt vmcnt(10) lgkmcnt(1)
	v_mul_f64 v[196:197], v[40:41], v[4:5]
	v_mul_f64 v[4:5], v[38:39], v[4:5]
	s_waitcnt vmcnt(9) lgkmcnt(0)
	v_mul_f64 v[200:201], v[42:43], v[8:9]
	v_mul_f64 v[8:9], v[44:45], v[8:9]
	s_delay_alu instid0(VALU_DEP_4) | instskip(NEXT) | instid1(VALU_DEP_4)
	v_fma_f64 v[202:203], v[38:39], v[2:3], -v[196:197]
	v_fma_f64 v[204:205], v[40:41], v[2:3], v[4:5]
	ds_load_b128 v[2:5], v1 offset:1152
	ds_load_b128 v[196:199], v1 offset:1168
	scratch_load_b128 v[38:41], off, off offset:528
	v_fma_f64 v[44:45], v[44:45], v[6:7], v[200:201]
	v_fma_f64 v[42:43], v[42:43], v[6:7], -v[8:9]
	scratch_load_b128 v[6:9], off, off offset:544
	s_waitcnt vmcnt(10) lgkmcnt(1)
	v_mul_f64 v[206:207], v[2:3], v[12:13]
	v_mul_f64 v[12:13], v[4:5], v[12:13]
	v_add_f64 v[200:201], v[202:203], 0
	v_add_f64 v[202:203], v[204:205], 0
	s_waitcnt vmcnt(9) lgkmcnt(0)
	v_mul_f64 v[204:205], v[196:197], v[16:17]
	v_mul_f64 v[16:17], v[198:199], v[16:17]
	v_fma_f64 v[206:207], v[4:5], v[10:11], v[206:207]
	v_fma_f64 v[208:209], v[2:3], v[10:11], -v[12:13]
	ds_load_b128 v[2:5], v1 offset:1184
	scratch_load_b128 v[10:13], off, off offset:560
	v_add_f64 v[200:201], v[200:201], v[42:43]
	v_add_f64 v[202:203], v[202:203], v[44:45]
	ds_load_b128 v[42:45], v1 offset:1200
	v_fma_f64 v[198:199], v[198:199], v[14:15], v[204:205]
	v_fma_f64 v[196:197], v[196:197], v[14:15], -v[16:17]
	scratch_load_b128 v[14:17], off, off offset:576
	s_waitcnt vmcnt(10) lgkmcnt(1)
	v_mul_f64 v[210:211], v[2:3], v[20:21]
	v_mul_f64 v[20:21], v[4:5], v[20:21]
	s_waitcnt vmcnt(9) lgkmcnt(0)
	v_mul_f64 v[204:205], v[42:43], v[24:25]
	v_mul_f64 v[24:25], v[44:45], v[24:25]
	v_add_f64 v[200:201], v[200:201], v[208:209]
	v_add_f64 v[202:203], v[202:203], v[206:207]
	v_fma_f64 v[206:207], v[4:5], v[18:19], v[210:211]
	v_fma_f64 v[208:209], v[2:3], v[18:19], -v[20:21]
	ds_load_b128 v[2:5], v1 offset:1216
	scratch_load_b128 v[18:21], off, off offset:592
	v_fma_f64 v[44:45], v[44:45], v[22:23], v[204:205]
	v_fma_f64 v[42:43], v[42:43], v[22:23], -v[24:25]
	scratch_load_b128 v[22:25], off, off offset:608
	v_add_f64 v[200:201], v[200:201], v[196:197]
	v_add_f64 v[202:203], v[202:203], v[198:199]
	ds_load_b128 v[196:199], v1 offset:1232
	s_waitcnt vmcnt(10) lgkmcnt(1)
	v_mul_f64 v[210:211], v[2:3], v[28:29]
	v_mul_f64 v[28:29], v[4:5], v[28:29]
	s_waitcnt vmcnt(9) lgkmcnt(0)
	v_mul_f64 v[204:205], v[196:197], v[32:33]
	v_mul_f64 v[32:33], v[198:199], v[32:33]
	v_add_f64 v[200:201], v[200:201], v[208:209]
	v_add_f64 v[202:203], v[202:203], v[206:207]
	v_fma_f64 v[206:207], v[4:5], v[26:27], v[210:211]
	v_fma_f64 v[208:209], v[2:3], v[26:27], -v[28:29]
	ds_load_b128 v[2:5], v1 offset:1248
	scratch_load_b128 v[26:29], off, off offset:624
	v_fma_f64 v[198:199], v[198:199], v[30:31], v[204:205]
	v_fma_f64 v[196:197], v[196:197], v[30:31], -v[32:33]
	scratch_load_b128 v[30:33], off, off offset:640
	v_add_f64 v[200:201], v[200:201], v[42:43]
	v_add_f64 v[202:203], v[202:203], v[44:45]
	ds_load_b128 v[42:45], v1 offset:1264
	s_waitcnt vmcnt(10) lgkmcnt(1)
	v_mul_f64 v[210:211], v[2:3], v[36:37]
	v_mul_f64 v[36:37], v[4:5], v[36:37]
	s_waitcnt vmcnt(8) lgkmcnt(0)
	v_mul_f64 v[204:205], v[42:43], v[194:195]
	v_add_f64 v[200:201], v[200:201], v[208:209]
	v_add_f64 v[202:203], v[202:203], v[206:207]
	v_mul_f64 v[206:207], v[44:45], v[194:195]
	v_fma_f64 v[208:209], v[4:5], v[34:35], v[210:211]
	v_fma_f64 v[210:211], v[2:3], v[34:35], -v[36:37]
	ds_load_b128 v[2:5], v1 offset:1280
	scratch_load_b128 v[34:37], off, off offset:656
	v_fma_f64 v[44:45], v[44:45], v[192:193], v[204:205]
	v_add_f64 v[200:201], v[200:201], v[196:197]
	v_add_f64 v[198:199], v[202:203], v[198:199]
	ds_load_b128 v[194:197], v1 offset:1296
	v_fma_f64 v[192:193], v[42:43], v[192:193], -v[206:207]
	s_waitcnt vmcnt(8) lgkmcnt(1)
	v_mul_f64 v[202:203], v[2:3], v[40:41]
	v_mul_f64 v[212:213], v[4:5], v[40:41]
	scratch_load_b128 v[40:43], off, off offset:672
	s_waitcnt vmcnt(8) lgkmcnt(0)
	v_mul_f64 v[206:207], v[194:195], v[8:9]
	v_mul_f64 v[8:9], v[196:197], v[8:9]
	v_add_f64 v[200:201], v[200:201], v[210:211]
	v_add_f64 v[198:199], v[198:199], v[208:209]
	v_fma_f64 v[208:209], v[4:5], v[38:39], v[202:203]
	v_fma_f64 v[38:39], v[2:3], v[38:39], -v[212:213]
	ds_load_b128 v[2:5], v1 offset:1312
	ds_load_b128 v[202:205], v1 offset:1328
	v_fma_f64 v[196:197], v[196:197], v[6:7], v[206:207]
	v_fma_f64 v[194:195], v[194:195], v[6:7], -v[8:9]
	scratch_load_b128 v[6:9], off, off offset:704
	v_add_f64 v[192:193], v[200:201], v[192:193]
	v_add_f64 v[44:45], v[198:199], v[44:45]
	scratch_load_b128 v[198:201], off, off offset:688
	s_waitcnt vmcnt(9) lgkmcnt(1)
	v_mul_f64 v[210:211], v[2:3], v[12:13]
	v_mul_f64 v[12:13], v[4:5], v[12:13]
	s_waitcnt vmcnt(8) lgkmcnt(0)
	v_mul_f64 v[206:207], v[202:203], v[16:17]
	v_mul_f64 v[16:17], v[204:205], v[16:17]
	v_add_f64 v[38:39], v[192:193], v[38:39]
	v_add_f64 v[44:45], v[44:45], v[208:209]
	v_fma_f64 v[208:209], v[4:5], v[10:11], v[210:211]
	v_fma_f64 v[210:211], v[2:3], v[10:11], -v[12:13]
	ds_load_b128 v[2:5], v1 offset:1344
	scratch_load_b128 v[10:13], off, off offset:720
	v_fma_f64 v[204:205], v[204:205], v[14:15], v[206:207]
	v_fma_f64 v[202:203], v[202:203], v[14:15], -v[16:17]
	scratch_load_b128 v[14:17], off, off offset:736
	v_add_f64 v[38:39], v[38:39], v[194:195]
	v_add_f64 v[44:45], v[44:45], v[196:197]
	ds_load_b128 v[192:195], v1 offset:1360
	s_waitcnt vmcnt(9) lgkmcnt(1)
	v_mul_f64 v[196:197], v[2:3], v[20:21]
	v_mul_f64 v[20:21], v[4:5], v[20:21]
	s_waitcnt vmcnt(8) lgkmcnt(0)
	v_mul_f64 v[206:207], v[192:193], v[24:25]
	v_mul_f64 v[24:25], v[194:195], v[24:25]
	v_add_f64 v[38:39], v[38:39], v[210:211]
	v_add_f64 v[44:45], v[44:45], v[208:209]
	v_fma_f64 v[196:197], v[4:5], v[18:19], v[196:197]
	v_fma_f64 v[208:209], v[2:3], v[18:19], -v[20:21]
	ds_load_b128 v[2:5], v1 offset:1376
	ds_load_b128 v[18:21], v1 offset:1392
	v_fma_f64 v[194:195], v[194:195], v[22:23], v[206:207]
	v_fma_f64 v[22:23], v[192:193], v[22:23], -v[24:25]
	v_add_f64 v[38:39], v[38:39], v[202:203]
	v_add_f64 v[44:45], v[44:45], v[204:205]
	s_waitcnt vmcnt(7) lgkmcnt(1)
	v_mul_f64 v[202:203], v[2:3], v[28:29]
	v_mul_f64 v[28:29], v[4:5], v[28:29]
	s_delay_alu instid0(VALU_DEP_4) | instskip(NEXT) | instid1(VALU_DEP_4)
	v_add_f64 v[24:25], v[38:39], v[208:209]
	v_add_f64 v[38:39], v[44:45], v[196:197]
	s_waitcnt vmcnt(6) lgkmcnt(0)
	v_mul_f64 v[44:45], v[18:19], v[32:33]
	v_mul_f64 v[32:33], v[20:21], v[32:33]
	v_fma_f64 v[192:193], v[4:5], v[26:27], v[202:203]
	v_fma_f64 v[26:27], v[2:3], v[26:27], -v[28:29]
	v_add_f64 v[28:29], v[24:25], v[22:23]
	v_add_f64 v[38:39], v[38:39], v[194:195]
	ds_load_b128 v[2:5], v1 offset:1408
	ds_load_b128 v[22:25], v1 offset:1424
	v_fma_f64 v[20:21], v[20:21], v[30:31], v[44:45]
	v_fma_f64 v[18:19], v[18:19], v[30:31], -v[32:33]
	s_waitcnt vmcnt(5) lgkmcnt(1)
	v_mul_f64 v[194:195], v[2:3], v[36:37]
	v_mul_f64 v[36:37], v[4:5], v[36:37]
	s_waitcnt vmcnt(4) lgkmcnt(0)
	v_mul_f64 v[30:31], v[22:23], v[42:43]
	v_add_f64 v[26:27], v[28:29], v[26:27]
	v_add_f64 v[28:29], v[38:39], v[192:193]
	v_mul_f64 v[32:33], v[24:25], v[42:43]
	v_fma_f64 v[38:39], v[4:5], v[34:35], v[194:195]
	v_fma_f64 v[34:35], v[2:3], v[34:35], -v[36:37]
	v_fma_f64 v[24:25], v[24:25], v[40:41], v[30:31]
	v_add_f64 v[26:27], v[26:27], v[18:19]
	v_add_f64 v[28:29], v[28:29], v[20:21]
	ds_load_b128 v[2:5], v1 offset:1440
	ds_load_b128 v[18:21], v1 offset:1456
	v_fma_f64 v[22:23], v[22:23], v[40:41], -v[32:33]
	s_waitcnt vmcnt(2) lgkmcnt(1)
	v_mul_f64 v[36:37], v[2:3], v[200:201]
	v_mul_f64 v[42:43], v[4:5], v[200:201]
	s_waitcnt lgkmcnt(0)
	v_mul_f64 v[30:31], v[18:19], v[8:9]
	v_mul_f64 v[8:9], v[20:21], v[8:9]
	v_add_f64 v[26:27], v[26:27], v[34:35]
	v_add_f64 v[28:29], v[28:29], v[38:39]
	v_fma_f64 v[32:33], v[4:5], v[198:199], v[36:37]
	v_fma_f64 v[34:35], v[2:3], v[198:199], -v[42:43]
	v_fma_f64 v[20:21], v[20:21], v[6:7], v[30:31]
	v_fma_f64 v[6:7], v[18:19], v[6:7], -v[8:9]
	v_add_f64 v[26:27], v[26:27], v[22:23]
	v_add_f64 v[28:29], v[28:29], v[24:25]
	ds_load_b128 v[2:5], v1 offset:1472
	ds_load_b128 v[22:25], v1 offset:1488
	s_waitcnt vmcnt(1) lgkmcnt(1)
	v_mul_f64 v[36:37], v[2:3], v[12:13]
	v_mul_f64 v[12:13], v[4:5], v[12:13]
	v_add_f64 v[8:9], v[26:27], v[34:35]
	v_add_f64 v[18:19], v[28:29], v[32:33]
	s_waitcnt vmcnt(0) lgkmcnt(0)
	v_mul_f64 v[26:27], v[22:23], v[16:17]
	v_mul_f64 v[16:17], v[24:25], v[16:17]
	v_fma_f64 v[4:5], v[4:5], v[10:11], v[36:37]
	v_fma_f64 v[1:2], v[2:3], v[10:11], -v[12:13]
	v_add_f64 v[6:7], v[8:9], v[6:7]
	v_add_f64 v[8:9], v[18:19], v[20:21]
	v_fma_f64 v[10:11], v[24:25], v[14:15], v[26:27]
	v_fma_f64 v[12:13], v[22:23], v[14:15], -v[16:17]
	s_delay_alu instid0(VALU_DEP_4) | instskip(NEXT) | instid1(VALU_DEP_4)
	v_add_f64 v[1:2], v[6:7], v[1:2]
	v_add_f64 v[3:4], v[8:9], v[4:5]
	s_delay_alu instid0(VALU_DEP_2) | instskip(NEXT) | instid1(VALU_DEP_2)
	v_add_f64 v[1:2], v[1:2], v[12:13]
	v_add_f64 v[3:4], v[3:4], v[10:11]
	s_delay_alu instid0(VALU_DEP_2) | instskip(NEXT) | instid1(VALU_DEP_2)
	v_add_f64 v[1:2], v[188:189], -v[1:2]
	v_add_f64 v[3:4], v[190:191], -v[3:4]
	scratch_store_b128 off, v[1:4], off offset:352
	v_cmpx_lt_u32_e32 21, v140
	s_cbranch_execz .LBB46_253
; %bb.252:
	scratch_load_b128 v[1:4], v166, off
	v_mov_b32_e32 v5, 0
	s_delay_alu instid0(VALU_DEP_1)
	v_mov_b32_e32 v6, v5
	v_mov_b32_e32 v7, v5
	;; [unrolled: 1-line block ×3, first 2 shown]
	scratch_store_b128 off, v[5:8], off offset:336
	s_waitcnt vmcnt(0)
	ds_store_b128 v187, v[1:4]
.LBB46_253:
	s_or_b32 exec_lo, exec_lo, s2
	s_waitcnt lgkmcnt(0)
	s_waitcnt_vscnt null, 0x0
	s_barrier
	buffer_gl0_inv
	s_clause 0x7
	scratch_load_b128 v[2:5], off, off offset:352
	scratch_load_b128 v[6:9], off, off offset:368
	;; [unrolled: 1-line block ×8, first 2 shown]
	v_mov_b32_e32 v1, 0
	s_mov_b32 s2, exec_lo
	ds_load_b128 v[34:37], v1 offset:1104
	s_clause 0x1
	scratch_load_b128 v[38:41], off, off offset:480
	scratch_load_b128 v[42:45], off, off offset:336
	ds_load_b128 v[188:191], v1 offset:1120
	scratch_load_b128 v[192:195], off, off offset:496
	s_waitcnt vmcnt(10) lgkmcnt(1)
	v_mul_f64 v[196:197], v[36:37], v[4:5]
	v_mul_f64 v[4:5], v[34:35], v[4:5]
	s_delay_alu instid0(VALU_DEP_2) | instskip(NEXT) | instid1(VALU_DEP_2)
	v_fma_f64 v[202:203], v[34:35], v[2:3], -v[196:197]
	v_fma_f64 v[204:205], v[36:37], v[2:3], v[4:5]
	scratch_load_b128 v[34:37], off, off offset:512
	ds_load_b128 v[2:5], v1 offset:1136
	s_waitcnt vmcnt(10) lgkmcnt(1)
	v_mul_f64 v[200:201], v[188:189], v[8:9]
	v_mul_f64 v[8:9], v[190:191], v[8:9]
	ds_load_b128 v[196:199], v1 offset:1152
	s_waitcnt vmcnt(9) lgkmcnt(1)
	v_mul_f64 v[206:207], v[2:3], v[12:13]
	v_mul_f64 v[12:13], v[4:5], v[12:13]
	v_fma_f64 v[190:191], v[190:191], v[6:7], v[200:201]
	v_fma_f64 v[188:189], v[188:189], v[6:7], -v[8:9]
	v_add_f64 v[200:201], v[202:203], 0
	v_add_f64 v[202:203], v[204:205], 0
	scratch_load_b128 v[6:9], off, off offset:528
	v_fma_f64 v[206:207], v[4:5], v[10:11], v[206:207]
	v_fma_f64 v[208:209], v[2:3], v[10:11], -v[12:13]
	scratch_load_b128 v[10:13], off, off offset:544
	ds_load_b128 v[2:5], v1 offset:1168
	s_waitcnt vmcnt(10) lgkmcnt(1)
	v_mul_f64 v[204:205], v[196:197], v[16:17]
	v_mul_f64 v[16:17], v[198:199], v[16:17]
	v_add_f64 v[200:201], v[200:201], v[188:189]
	v_add_f64 v[202:203], v[202:203], v[190:191]
	s_waitcnt vmcnt(9) lgkmcnt(0)
	v_mul_f64 v[210:211], v[2:3], v[20:21]
	v_mul_f64 v[20:21], v[4:5], v[20:21]
	ds_load_b128 v[188:191], v1 offset:1184
	v_fma_f64 v[198:199], v[198:199], v[14:15], v[204:205]
	v_fma_f64 v[196:197], v[196:197], v[14:15], -v[16:17]
	scratch_load_b128 v[14:17], off, off offset:560
	v_add_f64 v[200:201], v[200:201], v[208:209]
	v_add_f64 v[202:203], v[202:203], v[206:207]
	v_fma_f64 v[206:207], v[4:5], v[18:19], v[210:211]
	v_fma_f64 v[208:209], v[2:3], v[18:19], -v[20:21]
	scratch_load_b128 v[18:21], off, off offset:576
	ds_load_b128 v[2:5], v1 offset:1200
	s_waitcnt vmcnt(10) lgkmcnt(1)
	v_mul_f64 v[204:205], v[188:189], v[24:25]
	v_mul_f64 v[24:25], v[190:191], v[24:25]
	s_waitcnt vmcnt(9) lgkmcnt(0)
	v_mul_f64 v[210:211], v[2:3], v[28:29]
	v_mul_f64 v[28:29], v[4:5], v[28:29]
	v_add_f64 v[200:201], v[200:201], v[196:197]
	v_add_f64 v[202:203], v[202:203], v[198:199]
	ds_load_b128 v[196:199], v1 offset:1216
	v_fma_f64 v[190:191], v[190:191], v[22:23], v[204:205]
	v_fma_f64 v[188:189], v[188:189], v[22:23], -v[24:25]
	scratch_load_b128 v[22:25], off, off offset:592
	v_add_f64 v[200:201], v[200:201], v[208:209]
	v_add_f64 v[202:203], v[202:203], v[206:207]
	v_fma_f64 v[206:207], v[4:5], v[26:27], v[210:211]
	v_fma_f64 v[208:209], v[2:3], v[26:27], -v[28:29]
	scratch_load_b128 v[26:29], off, off offset:608
	ds_load_b128 v[2:5], v1 offset:1232
	s_waitcnt vmcnt(10) lgkmcnt(1)
	v_mul_f64 v[204:205], v[196:197], v[32:33]
	v_mul_f64 v[32:33], v[198:199], v[32:33]
	s_waitcnt vmcnt(9) lgkmcnt(0)
	v_mul_f64 v[210:211], v[2:3], v[40:41]
	v_mul_f64 v[40:41], v[4:5], v[40:41]
	v_add_f64 v[200:201], v[200:201], v[188:189]
	v_add_f64 v[202:203], v[202:203], v[190:191]
	ds_load_b128 v[188:191], v1 offset:1248
	v_fma_f64 v[198:199], v[198:199], v[30:31], v[204:205]
	v_fma_f64 v[196:197], v[196:197], v[30:31], -v[32:33]
	scratch_load_b128 v[30:33], off, off offset:624
	v_add_f64 v[200:201], v[200:201], v[208:209]
	v_add_f64 v[202:203], v[202:203], v[206:207]
	v_fma_f64 v[208:209], v[4:5], v[38:39], v[210:211]
	v_fma_f64 v[210:211], v[2:3], v[38:39], -v[40:41]
	scratch_load_b128 v[38:41], off, off offset:640
	ds_load_b128 v[2:5], v1 offset:1264
	s_waitcnt vmcnt(9) lgkmcnt(1)
	v_mul_f64 v[204:205], v[188:189], v[194:195]
	v_mul_f64 v[206:207], v[190:191], v[194:195]
	v_add_f64 v[200:201], v[200:201], v[196:197]
	v_add_f64 v[198:199], v[202:203], v[198:199]
	ds_load_b128 v[194:197], v1 offset:1280
	v_fma_f64 v[204:205], v[190:191], v[192:193], v[204:205]
	v_fma_f64 v[192:193], v[188:189], v[192:193], -v[206:207]
	scratch_load_b128 v[188:191], off, off offset:656
	s_waitcnt vmcnt(9) lgkmcnt(1)
	v_mul_f64 v[202:203], v[2:3], v[36:37]
	v_mul_f64 v[36:37], v[4:5], v[36:37]
	v_add_f64 v[200:201], v[200:201], v[210:211]
	v_add_f64 v[198:199], v[198:199], v[208:209]
	s_delay_alu instid0(VALU_DEP_4) | instskip(NEXT) | instid1(VALU_DEP_4)
	v_fma_f64 v[202:203], v[4:5], v[34:35], v[202:203]
	v_fma_f64 v[208:209], v[2:3], v[34:35], -v[36:37]
	scratch_load_b128 v[34:37], off, off offset:672
	ds_load_b128 v[2:5], v1 offset:1296
	s_waitcnt vmcnt(9) lgkmcnt(1)
	v_mul_f64 v[206:207], v[194:195], v[8:9]
	v_mul_f64 v[8:9], v[196:197], v[8:9]
	s_waitcnt vmcnt(8) lgkmcnt(0)
	v_mul_f64 v[210:211], v[2:3], v[12:13]
	v_mul_f64 v[12:13], v[4:5], v[12:13]
	v_add_f64 v[192:193], v[200:201], v[192:193]
	v_add_f64 v[204:205], v[198:199], v[204:205]
	ds_load_b128 v[198:201], v1 offset:1312
	v_fma_f64 v[196:197], v[196:197], v[6:7], v[206:207]
	v_fma_f64 v[194:195], v[194:195], v[6:7], -v[8:9]
	scratch_load_b128 v[6:9], off, off offset:688
	v_fma_f64 v[206:207], v[4:5], v[10:11], v[210:211]
	v_add_f64 v[192:193], v[192:193], v[208:209]
	v_add_f64 v[202:203], v[204:205], v[202:203]
	v_fma_f64 v[208:209], v[2:3], v[10:11], -v[12:13]
	scratch_load_b128 v[10:13], off, off offset:704
	ds_load_b128 v[2:5], v1 offset:1328
	s_waitcnt vmcnt(9) lgkmcnt(1)
	v_mul_f64 v[204:205], v[198:199], v[16:17]
	v_mul_f64 v[16:17], v[200:201], v[16:17]
	v_add_f64 v[210:211], v[192:193], v[194:195]
	v_add_f64 v[196:197], v[202:203], v[196:197]
	s_waitcnt vmcnt(8) lgkmcnt(0)
	v_mul_f64 v[202:203], v[2:3], v[20:21]
	v_mul_f64 v[20:21], v[4:5], v[20:21]
	ds_load_b128 v[192:195], v1 offset:1344
	v_fma_f64 v[200:201], v[200:201], v[14:15], v[204:205]
	v_fma_f64 v[198:199], v[198:199], v[14:15], -v[16:17]
	scratch_load_b128 v[14:17], off, off offset:720
	v_add_f64 v[204:205], v[210:211], v[208:209]
	v_add_f64 v[196:197], v[196:197], v[206:207]
	v_fma_f64 v[202:203], v[4:5], v[18:19], v[202:203]
	v_fma_f64 v[208:209], v[2:3], v[18:19], -v[20:21]
	scratch_load_b128 v[18:21], off, off offset:736
	ds_load_b128 v[2:5], v1 offset:1360
	s_waitcnt vmcnt(9) lgkmcnt(1)
	v_mul_f64 v[206:207], v[192:193], v[24:25]
	v_mul_f64 v[24:25], v[194:195], v[24:25]
	s_waitcnt vmcnt(8) lgkmcnt(0)
	v_mul_f64 v[210:211], v[2:3], v[28:29]
	v_mul_f64 v[28:29], v[4:5], v[28:29]
	v_add_f64 v[204:205], v[204:205], v[198:199]
	v_add_f64 v[200:201], v[196:197], v[200:201]
	ds_load_b128 v[196:199], v1 offset:1376
	v_fma_f64 v[194:195], v[194:195], v[22:23], v[206:207]
	v_fma_f64 v[22:23], v[192:193], v[22:23], -v[24:25]
	v_add_f64 v[24:25], v[204:205], v[208:209]
	v_add_f64 v[192:193], v[200:201], v[202:203]
	s_waitcnt vmcnt(7) lgkmcnt(0)
	v_mul_f64 v[200:201], v[196:197], v[32:33]
	v_mul_f64 v[32:33], v[198:199], v[32:33]
	v_fma_f64 v[202:203], v[4:5], v[26:27], v[210:211]
	v_fma_f64 v[26:27], v[2:3], v[26:27], -v[28:29]
	v_add_f64 v[28:29], v[24:25], v[22:23]
	v_add_f64 v[192:193], v[192:193], v[194:195]
	ds_load_b128 v[2:5], v1 offset:1392
	ds_load_b128 v[22:25], v1 offset:1408
	v_fma_f64 v[198:199], v[198:199], v[30:31], v[200:201]
	v_fma_f64 v[30:31], v[196:197], v[30:31], -v[32:33]
	s_waitcnt vmcnt(6) lgkmcnt(1)
	v_mul_f64 v[194:195], v[2:3], v[40:41]
	v_mul_f64 v[40:41], v[4:5], v[40:41]
	s_waitcnt vmcnt(5) lgkmcnt(0)
	v_mul_f64 v[32:33], v[22:23], v[190:191]
	v_mul_f64 v[190:191], v[24:25], v[190:191]
	v_add_f64 v[26:27], v[28:29], v[26:27]
	v_add_f64 v[28:29], v[192:193], v[202:203]
	v_fma_f64 v[192:193], v[4:5], v[38:39], v[194:195]
	v_fma_f64 v[38:39], v[2:3], v[38:39], -v[40:41]
	v_fma_f64 v[24:25], v[24:25], v[188:189], v[32:33]
	v_fma_f64 v[22:23], v[22:23], v[188:189], -v[190:191]
	v_add_f64 v[30:31], v[26:27], v[30:31]
	v_add_f64 v[40:41], v[28:29], v[198:199]
	ds_load_b128 v[2:5], v1 offset:1424
	ds_load_b128 v[26:29], v1 offset:1440
	s_waitcnt vmcnt(4) lgkmcnt(1)
	v_mul_f64 v[194:195], v[2:3], v[36:37]
	v_mul_f64 v[36:37], v[4:5], v[36:37]
	v_add_f64 v[30:31], v[30:31], v[38:39]
	v_add_f64 v[32:33], v[40:41], v[192:193]
	s_waitcnt vmcnt(3) lgkmcnt(0)
	v_mul_f64 v[38:39], v[26:27], v[8:9]
	v_mul_f64 v[8:9], v[28:29], v[8:9]
	v_fma_f64 v[40:41], v[4:5], v[34:35], v[194:195]
	v_fma_f64 v[34:35], v[2:3], v[34:35], -v[36:37]
	v_add_f64 v[30:31], v[30:31], v[22:23]
	v_add_f64 v[32:33], v[32:33], v[24:25]
	ds_load_b128 v[2:5], v1 offset:1456
	ds_load_b128 v[22:25], v1 offset:1472
	v_fma_f64 v[28:29], v[28:29], v[6:7], v[38:39]
	v_fma_f64 v[6:7], v[26:27], v[6:7], -v[8:9]
	s_waitcnt vmcnt(2) lgkmcnt(1)
	v_mul_f64 v[36:37], v[2:3], v[12:13]
	v_mul_f64 v[12:13], v[4:5], v[12:13]
	v_add_f64 v[8:9], v[30:31], v[34:35]
	v_add_f64 v[26:27], v[32:33], v[40:41]
	s_waitcnt vmcnt(1) lgkmcnt(0)
	v_mul_f64 v[30:31], v[22:23], v[16:17]
	v_mul_f64 v[16:17], v[24:25], v[16:17]
	v_fma_f64 v[32:33], v[4:5], v[10:11], v[36:37]
	v_fma_f64 v[10:11], v[2:3], v[10:11], -v[12:13]
	ds_load_b128 v[2:5], v1 offset:1488
	v_add_f64 v[6:7], v[8:9], v[6:7]
	v_add_f64 v[8:9], v[26:27], v[28:29]
	v_fma_f64 v[24:25], v[24:25], v[14:15], v[30:31]
	v_fma_f64 v[14:15], v[22:23], v[14:15], -v[16:17]
	s_waitcnt vmcnt(0) lgkmcnt(0)
	v_mul_f64 v[12:13], v[2:3], v[20:21]
	v_mul_f64 v[20:21], v[4:5], v[20:21]
	v_add_f64 v[6:7], v[6:7], v[10:11]
	v_add_f64 v[8:9], v[8:9], v[32:33]
	s_delay_alu instid0(VALU_DEP_4) | instskip(NEXT) | instid1(VALU_DEP_4)
	v_fma_f64 v[4:5], v[4:5], v[18:19], v[12:13]
	v_fma_f64 v[2:3], v[2:3], v[18:19], -v[20:21]
	s_delay_alu instid0(VALU_DEP_4) | instskip(NEXT) | instid1(VALU_DEP_4)
	v_add_f64 v[6:7], v[6:7], v[14:15]
	v_add_f64 v[8:9], v[8:9], v[24:25]
	s_delay_alu instid0(VALU_DEP_2) | instskip(NEXT) | instid1(VALU_DEP_2)
	v_add_f64 v[2:3], v[6:7], v[2:3]
	v_add_f64 v[4:5], v[8:9], v[4:5]
	s_delay_alu instid0(VALU_DEP_2) | instskip(NEXT) | instid1(VALU_DEP_2)
	v_add_f64 v[2:3], v[42:43], -v[2:3]
	v_add_f64 v[4:5], v[44:45], -v[4:5]
	scratch_store_b128 off, v[2:5], off offset:336
	v_cmpx_lt_u32_e32 20, v140
	s_cbranch_execz .LBB46_255
; %bb.254:
	scratch_load_b128 v[5:8], v167, off
	v_mov_b32_e32 v2, v1
	v_mov_b32_e32 v3, v1
	;; [unrolled: 1-line block ×3, first 2 shown]
	scratch_store_b128 off, v[1:4], off offset:320
	s_waitcnt vmcnt(0)
	ds_store_b128 v187, v[5:8]
.LBB46_255:
	s_or_b32 exec_lo, exec_lo, s2
	s_waitcnt lgkmcnt(0)
	s_waitcnt_vscnt null, 0x0
	s_barrier
	buffer_gl0_inv
	s_clause 0x8
	scratch_load_b128 v[2:5], off, off offset:336
	scratch_load_b128 v[6:9], off, off offset:352
	;; [unrolled: 1-line block ×9, first 2 shown]
	ds_load_b128 v[38:41], v1 offset:1088
	ds_load_b128 v[42:45], v1 offset:1104
	s_clause 0x1
	scratch_load_b128 v[188:191], off, off offset:320
	scratch_load_b128 v[192:195], off, off offset:480
	s_mov_b32 s2, exec_lo
	s_waitcnt vmcnt(10) lgkmcnt(1)
	v_mul_f64 v[196:197], v[40:41], v[4:5]
	v_mul_f64 v[4:5], v[38:39], v[4:5]
	s_waitcnt vmcnt(9) lgkmcnt(0)
	v_mul_f64 v[200:201], v[42:43], v[8:9]
	v_mul_f64 v[8:9], v[44:45], v[8:9]
	s_delay_alu instid0(VALU_DEP_4) | instskip(NEXT) | instid1(VALU_DEP_4)
	v_fma_f64 v[202:203], v[38:39], v[2:3], -v[196:197]
	v_fma_f64 v[204:205], v[40:41], v[2:3], v[4:5]
	ds_load_b128 v[2:5], v1 offset:1120
	ds_load_b128 v[196:199], v1 offset:1136
	scratch_load_b128 v[38:41], off, off offset:496
	v_fma_f64 v[44:45], v[44:45], v[6:7], v[200:201]
	v_fma_f64 v[42:43], v[42:43], v[6:7], -v[8:9]
	scratch_load_b128 v[6:9], off, off offset:512
	s_waitcnt vmcnt(10) lgkmcnt(1)
	v_mul_f64 v[206:207], v[2:3], v[12:13]
	v_mul_f64 v[12:13], v[4:5], v[12:13]
	v_add_f64 v[200:201], v[202:203], 0
	v_add_f64 v[202:203], v[204:205], 0
	s_waitcnt vmcnt(9) lgkmcnt(0)
	v_mul_f64 v[204:205], v[196:197], v[16:17]
	v_mul_f64 v[16:17], v[198:199], v[16:17]
	v_fma_f64 v[206:207], v[4:5], v[10:11], v[206:207]
	v_fma_f64 v[208:209], v[2:3], v[10:11], -v[12:13]
	ds_load_b128 v[2:5], v1 offset:1152
	scratch_load_b128 v[10:13], off, off offset:528
	v_add_f64 v[200:201], v[200:201], v[42:43]
	v_add_f64 v[202:203], v[202:203], v[44:45]
	ds_load_b128 v[42:45], v1 offset:1168
	v_fma_f64 v[198:199], v[198:199], v[14:15], v[204:205]
	v_fma_f64 v[196:197], v[196:197], v[14:15], -v[16:17]
	scratch_load_b128 v[14:17], off, off offset:544
	s_waitcnt vmcnt(10) lgkmcnt(1)
	v_mul_f64 v[210:211], v[2:3], v[20:21]
	v_mul_f64 v[20:21], v[4:5], v[20:21]
	s_waitcnt vmcnt(9) lgkmcnt(0)
	v_mul_f64 v[204:205], v[42:43], v[24:25]
	v_mul_f64 v[24:25], v[44:45], v[24:25]
	v_add_f64 v[200:201], v[200:201], v[208:209]
	v_add_f64 v[202:203], v[202:203], v[206:207]
	v_fma_f64 v[206:207], v[4:5], v[18:19], v[210:211]
	v_fma_f64 v[208:209], v[2:3], v[18:19], -v[20:21]
	ds_load_b128 v[2:5], v1 offset:1184
	scratch_load_b128 v[18:21], off, off offset:560
	v_fma_f64 v[44:45], v[44:45], v[22:23], v[204:205]
	v_fma_f64 v[42:43], v[42:43], v[22:23], -v[24:25]
	scratch_load_b128 v[22:25], off, off offset:576
	v_add_f64 v[200:201], v[200:201], v[196:197]
	v_add_f64 v[202:203], v[202:203], v[198:199]
	ds_load_b128 v[196:199], v1 offset:1200
	s_waitcnt vmcnt(10) lgkmcnt(1)
	v_mul_f64 v[210:211], v[2:3], v[28:29]
	v_mul_f64 v[28:29], v[4:5], v[28:29]
	s_waitcnt vmcnt(9) lgkmcnt(0)
	v_mul_f64 v[204:205], v[196:197], v[32:33]
	v_mul_f64 v[32:33], v[198:199], v[32:33]
	v_add_f64 v[200:201], v[200:201], v[208:209]
	v_add_f64 v[202:203], v[202:203], v[206:207]
	v_fma_f64 v[206:207], v[4:5], v[26:27], v[210:211]
	v_fma_f64 v[208:209], v[2:3], v[26:27], -v[28:29]
	ds_load_b128 v[2:5], v1 offset:1216
	scratch_load_b128 v[26:29], off, off offset:592
	v_fma_f64 v[198:199], v[198:199], v[30:31], v[204:205]
	v_fma_f64 v[196:197], v[196:197], v[30:31], -v[32:33]
	scratch_load_b128 v[30:33], off, off offset:608
	v_add_f64 v[200:201], v[200:201], v[42:43]
	v_add_f64 v[202:203], v[202:203], v[44:45]
	ds_load_b128 v[42:45], v1 offset:1232
	s_waitcnt vmcnt(10) lgkmcnt(1)
	v_mul_f64 v[210:211], v[2:3], v[36:37]
	v_mul_f64 v[36:37], v[4:5], v[36:37]
	s_waitcnt vmcnt(8) lgkmcnt(0)
	v_mul_f64 v[204:205], v[42:43], v[194:195]
	v_add_f64 v[200:201], v[200:201], v[208:209]
	v_add_f64 v[202:203], v[202:203], v[206:207]
	v_mul_f64 v[206:207], v[44:45], v[194:195]
	v_fma_f64 v[208:209], v[4:5], v[34:35], v[210:211]
	v_fma_f64 v[210:211], v[2:3], v[34:35], -v[36:37]
	ds_load_b128 v[2:5], v1 offset:1248
	scratch_load_b128 v[34:37], off, off offset:624
	v_fma_f64 v[44:45], v[44:45], v[192:193], v[204:205]
	v_add_f64 v[200:201], v[200:201], v[196:197]
	v_add_f64 v[198:199], v[202:203], v[198:199]
	ds_load_b128 v[194:197], v1 offset:1264
	v_fma_f64 v[192:193], v[42:43], v[192:193], -v[206:207]
	s_waitcnt vmcnt(8) lgkmcnt(1)
	v_mul_f64 v[202:203], v[2:3], v[40:41]
	v_mul_f64 v[212:213], v[4:5], v[40:41]
	scratch_load_b128 v[40:43], off, off offset:640
	s_waitcnt vmcnt(8) lgkmcnt(0)
	v_mul_f64 v[206:207], v[194:195], v[8:9]
	v_mul_f64 v[8:9], v[196:197], v[8:9]
	v_add_f64 v[200:201], v[200:201], v[210:211]
	v_add_f64 v[198:199], v[198:199], v[208:209]
	v_fma_f64 v[208:209], v[4:5], v[38:39], v[202:203]
	v_fma_f64 v[38:39], v[2:3], v[38:39], -v[212:213]
	ds_load_b128 v[2:5], v1 offset:1280
	ds_load_b128 v[202:205], v1 offset:1296
	v_fma_f64 v[196:197], v[196:197], v[6:7], v[206:207]
	v_fma_f64 v[194:195], v[194:195], v[6:7], -v[8:9]
	scratch_load_b128 v[6:9], off, off offset:672
	v_add_f64 v[192:193], v[200:201], v[192:193]
	v_add_f64 v[44:45], v[198:199], v[44:45]
	scratch_load_b128 v[198:201], off, off offset:656
	s_waitcnt vmcnt(9) lgkmcnt(1)
	v_mul_f64 v[210:211], v[2:3], v[12:13]
	v_mul_f64 v[12:13], v[4:5], v[12:13]
	s_waitcnt vmcnt(8) lgkmcnt(0)
	v_mul_f64 v[206:207], v[202:203], v[16:17]
	v_mul_f64 v[16:17], v[204:205], v[16:17]
	v_add_f64 v[38:39], v[192:193], v[38:39]
	v_add_f64 v[44:45], v[44:45], v[208:209]
	v_fma_f64 v[208:209], v[4:5], v[10:11], v[210:211]
	v_fma_f64 v[210:211], v[2:3], v[10:11], -v[12:13]
	ds_load_b128 v[2:5], v1 offset:1312
	scratch_load_b128 v[10:13], off, off offset:688
	v_fma_f64 v[204:205], v[204:205], v[14:15], v[206:207]
	v_fma_f64 v[202:203], v[202:203], v[14:15], -v[16:17]
	scratch_load_b128 v[14:17], off, off offset:704
	v_add_f64 v[38:39], v[38:39], v[194:195]
	v_add_f64 v[44:45], v[44:45], v[196:197]
	ds_load_b128 v[192:195], v1 offset:1328
	s_waitcnt vmcnt(9) lgkmcnt(1)
	v_mul_f64 v[196:197], v[2:3], v[20:21]
	v_mul_f64 v[20:21], v[4:5], v[20:21]
	s_waitcnt vmcnt(8) lgkmcnt(0)
	v_mul_f64 v[206:207], v[192:193], v[24:25]
	v_mul_f64 v[24:25], v[194:195], v[24:25]
	v_add_f64 v[38:39], v[38:39], v[210:211]
	v_add_f64 v[44:45], v[44:45], v[208:209]
	v_fma_f64 v[196:197], v[4:5], v[18:19], v[196:197]
	v_fma_f64 v[208:209], v[2:3], v[18:19], -v[20:21]
	ds_load_b128 v[2:5], v1 offset:1344
	scratch_load_b128 v[18:21], off, off offset:720
	v_fma_f64 v[194:195], v[194:195], v[22:23], v[206:207]
	v_fma_f64 v[192:193], v[192:193], v[22:23], -v[24:25]
	scratch_load_b128 v[22:25], off, off offset:736
	v_add_f64 v[38:39], v[38:39], v[202:203]
	v_add_f64 v[44:45], v[44:45], v[204:205]
	ds_load_b128 v[202:205], v1 offset:1360
	s_waitcnt vmcnt(9) lgkmcnt(1)
	v_mul_f64 v[210:211], v[2:3], v[28:29]
	v_mul_f64 v[28:29], v[4:5], v[28:29]
	v_add_f64 v[38:39], v[38:39], v[208:209]
	v_add_f64 v[44:45], v[44:45], v[196:197]
	s_waitcnt vmcnt(8) lgkmcnt(0)
	v_mul_f64 v[196:197], v[202:203], v[32:33]
	v_mul_f64 v[32:33], v[204:205], v[32:33]
	v_fma_f64 v[206:207], v[4:5], v[26:27], v[210:211]
	v_fma_f64 v[208:209], v[2:3], v[26:27], -v[28:29]
	ds_load_b128 v[2:5], v1 offset:1376
	ds_load_b128 v[26:29], v1 offset:1392
	v_add_f64 v[38:39], v[38:39], v[192:193]
	v_add_f64 v[44:45], v[44:45], v[194:195]
	s_waitcnt vmcnt(7) lgkmcnt(1)
	v_mul_f64 v[192:193], v[2:3], v[36:37]
	v_mul_f64 v[36:37], v[4:5], v[36:37]
	v_fma_f64 v[194:195], v[204:205], v[30:31], v[196:197]
	v_fma_f64 v[30:31], v[202:203], v[30:31], -v[32:33]
	v_add_f64 v[32:33], v[38:39], v[208:209]
	v_add_f64 v[38:39], v[44:45], v[206:207]
	s_waitcnt vmcnt(6) lgkmcnt(0)
	v_mul_f64 v[44:45], v[26:27], v[42:43]
	v_mul_f64 v[42:43], v[28:29], v[42:43]
	v_fma_f64 v[192:193], v[4:5], v[34:35], v[192:193]
	v_fma_f64 v[34:35], v[2:3], v[34:35], -v[36:37]
	v_add_f64 v[36:37], v[32:33], v[30:31]
	v_add_f64 v[38:39], v[38:39], v[194:195]
	ds_load_b128 v[2:5], v1 offset:1408
	ds_load_b128 v[30:33], v1 offset:1424
	v_fma_f64 v[28:29], v[28:29], v[40:41], v[44:45]
	v_fma_f64 v[26:27], v[26:27], v[40:41], -v[42:43]
	s_waitcnt vmcnt(4) lgkmcnt(1)
	v_mul_f64 v[194:195], v[2:3], v[200:201]
	v_mul_f64 v[196:197], v[4:5], v[200:201]
	v_add_f64 v[34:35], v[36:37], v[34:35]
	v_add_f64 v[36:37], v[38:39], v[192:193]
	s_waitcnt lgkmcnt(0)
	v_mul_f64 v[38:39], v[30:31], v[8:9]
	v_mul_f64 v[8:9], v[32:33], v[8:9]
	v_fma_f64 v[40:41], v[4:5], v[198:199], v[194:195]
	v_fma_f64 v[42:43], v[2:3], v[198:199], -v[196:197]
	v_add_f64 v[34:35], v[34:35], v[26:27]
	v_add_f64 v[36:37], v[36:37], v[28:29]
	ds_load_b128 v[2:5], v1 offset:1440
	ds_load_b128 v[26:29], v1 offset:1456
	v_fma_f64 v[32:33], v[32:33], v[6:7], v[38:39]
	v_fma_f64 v[6:7], v[30:31], v[6:7], -v[8:9]
	s_waitcnt vmcnt(3) lgkmcnt(1)
	v_mul_f64 v[44:45], v[2:3], v[12:13]
	v_mul_f64 v[12:13], v[4:5], v[12:13]
	v_add_f64 v[8:9], v[34:35], v[42:43]
	v_add_f64 v[30:31], v[36:37], v[40:41]
	s_waitcnt vmcnt(2) lgkmcnt(0)
	v_mul_f64 v[34:35], v[26:27], v[16:17]
	v_mul_f64 v[16:17], v[28:29], v[16:17]
	v_fma_f64 v[36:37], v[4:5], v[10:11], v[44:45]
	v_fma_f64 v[10:11], v[2:3], v[10:11], -v[12:13]
	v_add_f64 v[12:13], v[8:9], v[6:7]
	v_add_f64 v[30:31], v[30:31], v[32:33]
	ds_load_b128 v[2:5], v1 offset:1472
	ds_load_b128 v[6:9], v1 offset:1488
	v_fma_f64 v[28:29], v[28:29], v[14:15], v[34:35]
	v_fma_f64 v[14:15], v[26:27], v[14:15], -v[16:17]
	s_waitcnt vmcnt(1) lgkmcnt(1)
	v_mul_f64 v[32:33], v[2:3], v[20:21]
	v_mul_f64 v[20:21], v[4:5], v[20:21]
	s_waitcnt vmcnt(0) lgkmcnt(0)
	v_mul_f64 v[16:17], v[6:7], v[24:25]
	v_mul_f64 v[24:25], v[8:9], v[24:25]
	v_add_f64 v[10:11], v[12:13], v[10:11]
	v_add_f64 v[12:13], v[30:31], v[36:37]
	v_fma_f64 v[4:5], v[4:5], v[18:19], v[32:33]
	v_fma_f64 v[1:2], v[2:3], v[18:19], -v[20:21]
	v_fma_f64 v[8:9], v[8:9], v[22:23], v[16:17]
	v_fma_f64 v[6:7], v[6:7], v[22:23], -v[24:25]
	v_add_f64 v[10:11], v[10:11], v[14:15]
	v_add_f64 v[12:13], v[12:13], v[28:29]
	s_delay_alu instid0(VALU_DEP_2) | instskip(NEXT) | instid1(VALU_DEP_2)
	v_add_f64 v[1:2], v[10:11], v[1:2]
	v_add_f64 v[3:4], v[12:13], v[4:5]
	s_delay_alu instid0(VALU_DEP_2) | instskip(NEXT) | instid1(VALU_DEP_2)
	;; [unrolled: 3-line block ×3, first 2 shown]
	v_add_f64 v[1:2], v[188:189], -v[1:2]
	v_add_f64 v[3:4], v[190:191], -v[3:4]
	scratch_store_b128 off, v[1:4], off offset:320
	v_cmpx_lt_u32_e32 19, v140
	s_cbranch_execz .LBB46_257
; %bb.256:
	scratch_load_b128 v[1:4], v168, off
	v_mov_b32_e32 v5, 0
	s_delay_alu instid0(VALU_DEP_1)
	v_mov_b32_e32 v6, v5
	v_mov_b32_e32 v7, v5
	v_mov_b32_e32 v8, v5
	scratch_store_b128 off, v[5:8], off offset:304
	s_waitcnt vmcnt(0)
	ds_store_b128 v187, v[1:4]
.LBB46_257:
	s_or_b32 exec_lo, exec_lo, s2
	s_waitcnt lgkmcnt(0)
	s_waitcnt_vscnt null, 0x0
	s_barrier
	buffer_gl0_inv
	s_clause 0x7
	scratch_load_b128 v[2:5], off, off offset:320
	scratch_load_b128 v[6:9], off, off offset:336
	;; [unrolled: 1-line block ×8, first 2 shown]
	v_mov_b32_e32 v1, 0
	s_mov_b32 s2, exec_lo
	ds_load_b128 v[38:41], v1 offset:1072
	s_clause 0x1
	scratch_load_b128 v[34:37], off, off offset:448
	scratch_load_b128 v[42:45], off, off offset:304
	ds_load_b128 v[188:191], v1 offset:1088
	scratch_load_b128 v[192:195], off, off offset:464
	s_waitcnt vmcnt(10) lgkmcnt(1)
	v_mul_f64 v[196:197], v[40:41], v[4:5]
	v_mul_f64 v[4:5], v[38:39], v[4:5]
	s_delay_alu instid0(VALU_DEP_2) | instskip(NEXT) | instid1(VALU_DEP_2)
	v_fma_f64 v[202:203], v[38:39], v[2:3], -v[196:197]
	v_fma_f64 v[204:205], v[40:41], v[2:3], v[4:5]
	scratch_load_b128 v[38:41], off, off offset:480
	ds_load_b128 v[2:5], v1 offset:1104
	s_waitcnt vmcnt(10) lgkmcnt(1)
	v_mul_f64 v[200:201], v[188:189], v[8:9]
	v_mul_f64 v[8:9], v[190:191], v[8:9]
	ds_load_b128 v[196:199], v1 offset:1120
	s_waitcnt vmcnt(9) lgkmcnt(1)
	v_mul_f64 v[206:207], v[2:3], v[12:13]
	v_mul_f64 v[12:13], v[4:5], v[12:13]
	v_fma_f64 v[190:191], v[190:191], v[6:7], v[200:201]
	v_fma_f64 v[188:189], v[188:189], v[6:7], -v[8:9]
	v_add_f64 v[200:201], v[202:203], 0
	v_add_f64 v[202:203], v[204:205], 0
	scratch_load_b128 v[6:9], off, off offset:496
	v_fma_f64 v[206:207], v[4:5], v[10:11], v[206:207]
	v_fma_f64 v[208:209], v[2:3], v[10:11], -v[12:13]
	scratch_load_b128 v[10:13], off, off offset:512
	ds_load_b128 v[2:5], v1 offset:1136
	s_waitcnt vmcnt(10) lgkmcnt(1)
	v_mul_f64 v[204:205], v[196:197], v[16:17]
	v_mul_f64 v[16:17], v[198:199], v[16:17]
	v_add_f64 v[200:201], v[200:201], v[188:189]
	v_add_f64 v[202:203], v[202:203], v[190:191]
	s_waitcnt vmcnt(9) lgkmcnt(0)
	v_mul_f64 v[210:211], v[2:3], v[20:21]
	v_mul_f64 v[20:21], v[4:5], v[20:21]
	ds_load_b128 v[188:191], v1 offset:1152
	v_fma_f64 v[198:199], v[198:199], v[14:15], v[204:205]
	v_fma_f64 v[196:197], v[196:197], v[14:15], -v[16:17]
	scratch_load_b128 v[14:17], off, off offset:528
	v_add_f64 v[200:201], v[200:201], v[208:209]
	v_add_f64 v[202:203], v[202:203], v[206:207]
	v_fma_f64 v[206:207], v[4:5], v[18:19], v[210:211]
	v_fma_f64 v[208:209], v[2:3], v[18:19], -v[20:21]
	scratch_load_b128 v[18:21], off, off offset:544
	ds_load_b128 v[2:5], v1 offset:1168
	s_waitcnt vmcnt(10) lgkmcnt(1)
	v_mul_f64 v[204:205], v[188:189], v[24:25]
	v_mul_f64 v[24:25], v[190:191], v[24:25]
	s_waitcnt vmcnt(9) lgkmcnt(0)
	v_mul_f64 v[210:211], v[2:3], v[28:29]
	v_mul_f64 v[28:29], v[4:5], v[28:29]
	v_add_f64 v[200:201], v[200:201], v[196:197]
	v_add_f64 v[202:203], v[202:203], v[198:199]
	ds_load_b128 v[196:199], v1 offset:1184
	v_fma_f64 v[190:191], v[190:191], v[22:23], v[204:205]
	v_fma_f64 v[188:189], v[188:189], v[22:23], -v[24:25]
	scratch_load_b128 v[22:25], off, off offset:560
	v_add_f64 v[200:201], v[200:201], v[208:209]
	v_add_f64 v[202:203], v[202:203], v[206:207]
	v_fma_f64 v[206:207], v[4:5], v[26:27], v[210:211]
	v_fma_f64 v[208:209], v[2:3], v[26:27], -v[28:29]
	scratch_load_b128 v[26:29], off, off offset:576
	ds_load_b128 v[2:5], v1 offset:1200
	s_waitcnt vmcnt(10) lgkmcnt(1)
	v_mul_f64 v[204:205], v[196:197], v[32:33]
	v_mul_f64 v[32:33], v[198:199], v[32:33]
	s_waitcnt vmcnt(9) lgkmcnt(0)
	v_mul_f64 v[210:211], v[2:3], v[36:37]
	v_mul_f64 v[36:37], v[4:5], v[36:37]
	v_add_f64 v[200:201], v[200:201], v[188:189]
	v_add_f64 v[202:203], v[202:203], v[190:191]
	ds_load_b128 v[188:191], v1 offset:1216
	v_fma_f64 v[198:199], v[198:199], v[30:31], v[204:205]
	v_fma_f64 v[196:197], v[196:197], v[30:31], -v[32:33]
	scratch_load_b128 v[30:33], off, off offset:592
	v_add_f64 v[200:201], v[200:201], v[208:209]
	v_add_f64 v[202:203], v[202:203], v[206:207]
	v_fma_f64 v[208:209], v[4:5], v[34:35], v[210:211]
	v_fma_f64 v[210:211], v[2:3], v[34:35], -v[36:37]
	scratch_load_b128 v[34:37], off, off offset:608
	ds_load_b128 v[2:5], v1 offset:1232
	s_waitcnt vmcnt(9) lgkmcnt(1)
	v_mul_f64 v[204:205], v[188:189], v[194:195]
	v_mul_f64 v[206:207], v[190:191], v[194:195]
	v_add_f64 v[200:201], v[200:201], v[196:197]
	v_add_f64 v[198:199], v[202:203], v[198:199]
	ds_load_b128 v[194:197], v1 offset:1248
	v_fma_f64 v[204:205], v[190:191], v[192:193], v[204:205]
	v_fma_f64 v[192:193], v[188:189], v[192:193], -v[206:207]
	scratch_load_b128 v[188:191], off, off offset:624
	s_waitcnt vmcnt(9) lgkmcnt(1)
	v_mul_f64 v[202:203], v[2:3], v[40:41]
	v_mul_f64 v[40:41], v[4:5], v[40:41]
	v_add_f64 v[200:201], v[200:201], v[210:211]
	v_add_f64 v[198:199], v[198:199], v[208:209]
	s_delay_alu instid0(VALU_DEP_4) | instskip(NEXT) | instid1(VALU_DEP_4)
	v_fma_f64 v[202:203], v[4:5], v[38:39], v[202:203]
	v_fma_f64 v[208:209], v[2:3], v[38:39], -v[40:41]
	scratch_load_b128 v[38:41], off, off offset:640
	ds_load_b128 v[2:5], v1 offset:1264
	s_waitcnt vmcnt(9) lgkmcnt(1)
	v_mul_f64 v[206:207], v[194:195], v[8:9]
	v_mul_f64 v[8:9], v[196:197], v[8:9]
	s_waitcnt vmcnt(8) lgkmcnt(0)
	v_mul_f64 v[210:211], v[2:3], v[12:13]
	v_mul_f64 v[12:13], v[4:5], v[12:13]
	v_add_f64 v[192:193], v[200:201], v[192:193]
	v_add_f64 v[204:205], v[198:199], v[204:205]
	ds_load_b128 v[198:201], v1 offset:1280
	v_fma_f64 v[196:197], v[196:197], v[6:7], v[206:207]
	v_fma_f64 v[194:195], v[194:195], v[6:7], -v[8:9]
	scratch_load_b128 v[6:9], off, off offset:656
	v_fma_f64 v[206:207], v[4:5], v[10:11], v[210:211]
	v_add_f64 v[192:193], v[192:193], v[208:209]
	v_add_f64 v[202:203], v[204:205], v[202:203]
	v_fma_f64 v[208:209], v[2:3], v[10:11], -v[12:13]
	scratch_load_b128 v[10:13], off, off offset:672
	ds_load_b128 v[2:5], v1 offset:1296
	s_waitcnt vmcnt(9) lgkmcnt(1)
	v_mul_f64 v[204:205], v[198:199], v[16:17]
	v_mul_f64 v[16:17], v[200:201], v[16:17]
	v_add_f64 v[210:211], v[192:193], v[194:195]
	v_add_f64 v[196:197], v[202:203], v[196:197]
	s_waitcnt vmcnt(8) lgkmcnt(0)
	v_mul_f64 v[202:203], v[2:3], v[20:21]
	v_mul_f64 v[20:21], v[4:5], v[20:21]
	ds_load_b128 v[192:195], v1 offset:1312
	v_fma_f64 v[200:201], v[200:201], v[14:15], v[204:205]
	v_fma_f64 v[198:199], v[198:199], v[14:15], -v[16:17]
	scratch_load_b128 v[14:17], off, off offset:688
	v_add_f64 v[204:205], v[210:211], v[208:209]
	v_add_f64 v[196:197], v[196:197], v[206:207]
	v_fma_f64 v[202:203], v[4:5], v[18:19], v[202:203]
	v_fma_f64 v[208:209], v[2:3], v[18:19], -v[20:21]
	scratch_load_b128 v[18:21], off, off offset:704
	ds_load_b128 v[2:5], v1 offset:1328
	s_waitcnt vmcnt(9) lgkmcnt(1)
	v_mul_f64 v[206:207], v[192:193], v[24:25]
	v_mul_f64 v[24:25], v[194:195], v[24:25]
	s_waitcnt vmcnt(8) lgkmcnt(0)
	v_mul_f64 v[210:211], v[2:3], v[28:29]
	v_mul_f64 v[28:29], v[4:5], v[28:29]
	v_add_f64 v[204:205], v[204:205], v[198:199]
	v_add_f64 v[200:201], v[196:197], v[200:201]
	ds_load_b128 v[196:199], v1 offset:1344
	v_fma_f64 v[194:195], v[194:195], v[22:23], v[206:207]
	v_fma_f64 v[192:193], v[192:193], v[22:23], -v[24:25]
	scratch_load_b128 v[22:25], off, off offset:720
	v_fma_f64 v[206:207], v[4:5], v[26:27], v[210:211]
	v_add_f64 v[204:205], v[204:205], v[208:209]
	v_add_f64 v[200:201], v[200:201], v[202:203]
	v_fma_f64 v[208:209], v[2:3], v[26:27], -v[28:29]
	scratch_load_b128 v[26:29], off, off offset:736
	ds_load_b128 v[2:5], v1 offset:1360
	s_waitcnt vmcnt(9) lgkmcnt(1)
	v_mul_f64 v[202:203], v[196:197], v[32:33]
	v_mul_f64 v[32:33], v[198:199], v[32:33]
	s_waitcnt vmcnt(8) lgkmcnt(0)
	v_mul_f64 v[210:211], v[2:3], v[36:37]
	v_mul_f64 v[36:37], v[4:5], v[36:37]
	v_add_f64 v[204:205], v[204:205], v[192:193]
	v_add_f64 v[200:201], v[200:201], v[194:195]
	ds_load_b128 v[192:195], v1 offset:1376
	v_fma_f64 v[198:199], v[198:199], v[30:31], v[202:203]
	v_fma_f64 v[30:31], v[196:197], v[30:31], -v[32:33]
	v_fma_f64 v[202:203], v[4:5], v[34:35], v[210:211]
	v_fma_f64 v[34:35], v[2:3], v[34:35], -v[36:37]
	v_add_f64 v[32:33], v[204:205], v[208:209]
	v_add_f64 v[196:197], v[200:201], v[206:207]
	s_waitcnt vmcnt(7) lgkmcnt(0)
	v_mul_f64 v[200:201], v[192:193], v[190:191]
	v_mul_f64 v[190:191], v[194:195], v[190:191]
	s_delay_alu instid0(VALU_DEP_4) | instskip(NEXT) | instid1(VALU_DEP_4)
	v_add_f64 v[36:37], v[32:33], v[30:31]
	v_add_f64 v[196:197], v[196:197], v[198:199]
	ds_load_b128 v[2:5], v1 offset:1392
	ds_load_b128 v[30:33], v1 offset:1408
	v_fma_f64 v[194:195], v[194:195], v[188:189], v[200:201]
	v_fma_f64 v[188:189], v[192:193], v[188:189], -v[190:191]
	s_waitcnt vmcnt(6) lgkmcnt(1)
	v_mul_f64 v[198:199], v[2:3], v[40:41]
	v_mul_f64 v[40:41], v[4:5], v[40:41]
	s_waitcnt vmcnt(5) lgkmcnt(0)
	v_mul_f64 v[190:191], v[30:31], v[8:9]
	v_mul_f64 v[8:9], v[32:33], v[8:9]
	v_add_f64 v[34:35], v[36:37], v[34:35]
	v_add_f64 v[36:37], v[196:197], v[202:203]
	v_fma_f64 v[192:193], v[4:5], v[38:39], v[198:199]
	v_fma_f64 v[38:39], v[2:3], v[38:39], -v[40:41]
	v_fma_f64 v[32:33], v[32:33], v[6:7], v[190:191]
	v_fma_f64 v[6:7], v[30:31], v[6:7], -v[8:9]
	v_add_f64 v[40:41], v[34:35], v[188:189]
	v_add_f64 v[188:189], v[36:37], v[194:195]
	ds_load_b128 v[2:5], v1 offset:1424
	ds_load_b128 v[34:37], v1 offset:1440
	s_waitcnt vmcnt(4) lgkmcnt(1)
	v_mul_f64 v[194:195], v[2:3], v[12:13]
	v_mul_f64 v[12:13], v[4:5], v[12:13]
	v_add_f64 v[8:9], v[40:41], v[38:39]
	v_add_f64 v[30:31], v[188:189], v[192:193]
	s_waitcnt vmcnt(3) lgkmcnt(0)
	v_mul_f64 v[38:39], v[34:35], v[16:17]
	v_mul_f64 v[16:17], v[36:37], v[16:17]
	v_fma_f64 v[40:41], v[4:5], v[10:11], v[194:195]
	v_fma_f64 v[10:11], v[2:3], v[10:11], -v[12:13]
	v_add_f64 v[12:13], v[8:9], v[6:7]
	v_add_f64 v[30:31], v[30:31], v[32:33]
	ds_load_b128 v[2:5], v1 offset:1456
	ds_load_b128 v[6:9], v1 offset:1472
	v_fma_f64 v[36:37], v[36:37], v[14:15], v[38:39]
	v_fma_f64 v[14:15], v[34:35], v[14:15], -v[16:17]
	s_waitcnt vmcnt(2) lgkmcnt(1)
	v_mul_f64 v[32:33], v[2:3], v[20:21]
	v_mul_f64 v[20:21], v[4:5], v[20:21]
	s_waitcnt vmcnt(1) lgkmcnt(0)
	v_mul_f64 v[16:17], v[6:7], v[24:25]
	v_mul_f64 v[24:25], v[8:9], v[24:25]
	v_add_f64 v[10:11], v[12:13], v[10:11]
	v_add_f64 v[12:13], v[30:31], v[40:41]
	v_fma_f64 v[30:31], v[4:5], v[18:19], v[32:33]
	v_fma_f64 v[18:19], v[2:3], v[18:19], -v[20:21]
	ds_load_b128 v[2:5], v1 offset:1488
	v_fma_f64 v[8:9], v[8:9], v[22:23], v[16:17]
	v_fma_f64 v[6:7], v[6:7], v[22:23], -v[24:25]
	v_add_f64 v[10:11], v[10:11], v[14:15]
	v_add_f64 v[12:13], v[12:13], v[36:37]
	s_waitcnt vmcnt(0) lgkmcnt(0)
	v_mul_f64 v[14:15], v[2:3], v[28:29]
	v_mul_f64 v[20:21], v[4:5], v[28:29]
	s_delay_alu instid0(VALU_DEP_4) | instskip(NEXT) | instid1(VALU_DEP_4)
	v_add_f64 v[10:11], v[10:11], v[18:19]
	v_add_f64 v[12:13], v[12:13], v[30:31]
	s_delay_alu instid0(VALU_DEP_4) | instskip(NEXT) | instid1(VALU_DEP_4)
	v_fma_f64 v[4:5], v[4:5], v[26:27], v[14:15]
	v_fma_f64 v[2:3], v[2:3], v[26:27], -v[20:21]
	s_delay_alu instid0(VALU_DEP_4) | instskip(NEXT) | instid1(VALU_DEP_4)
	v_add_f64 v[6:7], v[10:11], v[6:7]
	v_add_f64 v[8:9], v[12:13], v[8:9]
	s_delay_alu instid0(VALU_DEP_2) | instskip(NEXT) | instid1(VALU_DEP_2)
	v_add_f64 v[2:3], v[6:7], v[2:3]
	v_add_f64 v[4:5], v[8:9], v[4:5]
	s_delay_alu instid0(VALU_DEP_2) | instskip(NEXT) | instid1(VALU_DEP_2)
	v_add_f64 v[2:3], v[42:43], -v[2:3]
	v_add_f64 v[4:5], v[44:45], -v[4:5]
	scratch_store_b128 off, v[2:5], off offset:304
	v_cmpx_lt_u32_e32 18, v140
	s_cbranch_execz .LBB46_259
; %bb.258:
	scratch_load_b128 v[5:8], v169, off
	v_mov_b32_e32 v2, v1
	v_mov_b32_e32 v3, v1
	;; [unrolled: 1-line block ×3, first 2 shown]
	scratch_store_b128 off, v[1:4], off offset:288
	s_waitcnt vmcnt(0)
	ds_store_b128 v187, v[5:8]
.LBB46_259:
	s_or_b32 exec_lo, exec_lo, s2
	s_waitcnt lgkmcnt(0)
	s_waitcnt_vscnt null, 0x0
	s_barrier
	buffer_gl0_inv
	s_clause 0x8
	scratch_load_b128 v[2:5], off, off offset:304
	scratch_load_b128 v[6:9], off, off offset:320
	;; [unrolled: 1-line block ×9, first 2 shown]
	ds_load_b128 v[42:45], v1 offset:1056
	ds_load_b128 v[38:41], v1 offset:1072
	s_clause 0x1
	scratch_load_b128 v[188:191], off, off offset:288
	scratch_load_b128 v[192:195], off, off offset:448
	s_mov_b32 s2, exec_lo
	s_waitcnt vmcnt(10) lgkmcnt(1)
	v_mul_f64 v[196:197], v[44:45], v[4:5]
	v_mul_f64 v[4:5], v[42:43], v[4:5]
	s_waitcnt vmcnt(9) lgkmcnt(0)
	v_mul_f64 v[200:201], v[38:39], v[8:9]
	v_mul_f64 v[8:9], v[40:41], v[8:9]
	s_delay_alu instid0(VALU_DEP_4) | instskip(NEXT) | instid1(VALU_DEP_4)
	v_fma_f64 v[202:203], v[42:43], v[2:3], -v[196:197]
	v_fma_f64 v[204:205], v[44:45], v[2:3], v[4:5]
	ds_load_b128 v[2:5], v1 offset:1088
	ds_load_b128 v[196:199], v1 offset:1104
	scratch_load_b128 v[42:45], off, off offset:464
	v_fma_f64 v[40:41], v[40:41], v[6:7], v[200:201]
	v_fma_f64 v[38:39], v[38:39], v[6:7], -v[8:9]
	scratch_load_b128 v[6:9], off, off offset:480
	s_waitcnt vmcnt(10) lgkmcnt(1)
	v_mul_f64 v[206:207], v[2:3], v[12:13]
	v_mul_f64 v[12:13], v[4:5], v[12:13]
	v_add_f64 v[200:201], v[202:203], 0
	v_add_f64 v[202:203], v[204:205], 0
	s_waitcnt vmcnt(9) lgkmcnt(0)
	v_mul_f64 v[204:205], v[196:197], v[16:17]
	v_mul_f64 v[16:17], v[198:199], v[16:17]
	v_fma_f64 v[206:207], v[4:5], v[10:11], v[206:207]
	v_fma_f64 v[208:209], v[2:3], v[10:11], -v[12:13]
	ds_load_b128 v[2:5], v1 offset:1120
	scratch_load_b128 v[10:13], off, off offset:496
	v_add_f64 v[200:201], v[200:201], v[38:39]
	v_add_f64 v[202:203], v[202:203], v[40:41]
	ds_load_b128 v[38:41], v1 offset:1136
	v_fma_f64 v[198:199], v[198:199], v[14:15], v[204:205]
	v_fma_f64 v[196:197], v[196:197], v[14:15], -v[16:17]
	scratch_load_b128 v[14:17], off, off offset:512
	s_waitcnt vmcnt(10) lgkmcnt(1)
	v_mul_f64 v[210:211], v[2:3], v[20:21]
	v_mul_f64 v[20:21], v[4:5], v[20:21]
	s_waitcnt vmcnt(9) lgkmcnt(0)
	v_mul_f64 v[204:205], v[38:39], v[24:25]
	v_mul_f64 v[24:25], v[40:41], v[24:25]
	v_add_f64 v[200:201], v[200:201], v[208:209]
	v_add_f64 v[202:203], v[202:203], v[206:207]
	v_fma_f64 v[206:207], v[4:5], v[18:19], v[210:211]
	v_fma_f64 v[208:209], v[2:3], v[18:19], -v[20:21]
	ds_load_b128 v[2:5], v1 offset:1152
	scratch_load_b128 v[18:21], off, off offset:528
	v_fma_f64 v[40:41], v[40:41], v[22:23], v[204:205]
	v_fma_f64 v[38:39], v[38:39], v[22:23], -v[24:25]
	scratch_load_b128 v[22:25], off, off offset:544
	v_add_f64 v[200:201], v[200:201], v[196:197]
	v_add_f64 v[202:203], v[202:203], v[198:199]
	ds_load_b128 v[196:199], v1 offset:1168
	s_waitcnt vmcnt(10) lgkmcnt(1)
	v_mul_f64 v[210:211], v[2:3], v[28:29]
	v_mul_f64 v[28:29], v[4:5], v[28:29]
	s_waitcnt vmcnt(9) lgkmcnt(0)
	v_mul_f64 v[204:205], v[196:197], v[32:33]
	v_mul_f64 v[32:33], v[198:199], v[32:33]
	v_add_f64 v[200:201], v[200:201], v[208:209]
	v_add_f64 v[202:203], v[202:203], v[206:207]
	v_fma_f64 v[206:207], v[4:5], v[26:27], v[210:211]
	v_fma_f64 v[208:209], v[2:3], v[26:27], -v[28:29]
	ds_load_b128 v[2:5], v1 offset:1184
	scratch_load_b128 v[26:29], off, off offset:560
	v_fma_f64 v[198:199], v[198:199], v[30:31], v[204:205]
	v_fma_f64 v[196:197], v[196:197], v[30:31], -v[32:33]
	scratch_load_b128 v[30:33], off, off offset:576
	v_add_f64 v[200:201], v[200:201], v[38:39]
	v_add_f64 v[202:203], v[202:203], v[40:41]
	ds_load_b128 v[38:41], v1 offset:1200
	s_waitcnt vmcnt(10) lgkmcnt(1)
	v_mul_f64 v[210:211], v[2:3], v[36:37]
	v_mul_f64 v[36:37], v[4:5], v[36:37]
	s_waitcnt vmcnt(8) lgkmcnt(0)
	v_mul_f64 v[204:205], v[38:39], v[194:195]
	v_add_f64 v[200:201], v[200:201], v[208:209]
	v_add_f64 v[202:203], v[202:203], v[206:207]
	v_mul_f64 v[206:207], v[40:41], v[194:195]
	v_fma_f64 v[208:209], v[4:5], v[34:35], v[210:211]
	v_fma_f64 v[210:211], v[2:3], v[34:35], -v[36:37]
	ds_load_b128 v[2:5], v1 offset:1216
	scratch_load_b128 v[34:37], off, off offset:592
	v_fma_f64 v[204:205], v[40:41], v[192:193], v[204:205]
	v_add_f64 v[200:201], v[200:201], v[196:197]
	v_add_f64 v[198:199], v[202:203], v[198:199]
	ds_load_b128 v[194:197], v1 offset:1232
	v_fma_f64 v[192:193], v[38:39], v[192:193], -v[206:207]
	scratch_load_b128 v[38:41], off, off offset:608
	s_waitcnt vmcnt(9) lgkmcnt(1)
	v_mul_f64 v[202:203], v[2:3], v[44:45]
	v_mul_f64 v[44:45], v[4:5], v[44:45]
	s_waitcnt vmcnt(8) lgkmcnt(0)
	v_mul_f64 v[206:207], v[194:195], v[8:9]
	v_mul_f64 v[8:9], v[196:197], v[8:9]
	v_add_f64 v[200:201], v[200:201], v[210:211]
	v_add_f64 v[198:199], v[198:199], v[208:209]
	v_fma_f64 v[202:203], v[4:5], v[42:43], v[202:203]
	v_fma_f64 v[208:209], v[2:3], v[42:43], -v[44:45]
	ds_load_b128 v[2:5], v1 offset:1248
	scratch_load_b128 v[42:45], off, off offset:624
	v_fma_f64 v[196:197], v[196:197], v[6:7], v[206:207]
	v_fma_f64 v[194:195], v[194:195], v[6:7], -v[8:9]
	scratch_load_b128 v[6:9], off, off offset:640
	v_add_f64 v[192:193], v[200:201], v[192:193]
	v_add_f64 v[204:205], v[198:199], v[204:205]
	ds_load_b128 v[198:201], v1 offset:1264
	s_waitcnt vmcnt(9) lgkmcnt(1)
	v_mul_f64 v[210:211], v[2:3], v[12:13]
	v_mul_f64 v[12:13], v[4:5], v[12:13]
	v_add_f64 v[192:193], v[192:193], v[208:209]
	v_add_f64 v[202:203], v[204:205], v[202:203]
	s_waitcnt vmcnt(8) lgkmcnt(0)
	v_mul_f64 v[204:205], v[198:199], v[16:17]
	v_mul_f64 v[16:17], v[200:201], v[16:17]
	v_fma_f64 v[206:207], v[4:5], v[10:11], v[210:211]
	v_fma_f64 v[208:209], v[2:3], v[10:11], -v[12:13]
	ds_load_b128 v[2:5], v1 offset:1280
	scratch_load_b128 v[10:13], off, off offset:656
	v_add_f64 v[210:211], v[192:193], v[194:195]
	v_add_f64 v[196:197], v[202:203], v[196:197]
	ds_load_b128 v[192:195], v1 offset:1296
	s_waitcnt vmcnt(8) lgkmcnt(1)
	v_mul_f64 v[202:203], v[2:3], v[20:21]
	v_mul_f64 v[20:21], v[4:5], v[20:21]
	v_fma_f64 v[200:201], v[200:201], v[14:15], v[204:205]
	v_fma_f64 v[198:199], v[198:199], v[14:15], -v[16:17]
	scratch_load_b128 v[14:17], off, off offset:672
	v_add_f64 v[204:205], v[210:211], v[208:209]
	v_add_f64 v[196:197], v[196:197], v[206:207]
	s_waitcnt vmcnt(8) lgkmcnt(0)
	v_mul_f64 v[206:207], v[192:193], v[24:25]
	v_mul_f64 v[24:25], v[194:195], v[24:25]
	v_fma_f64 v[202:203], v[4:5], v[18:19], v[202:203]
	v_fma_f64 v[208:209], v[2:3], v[18:19], -v[20:21]
	ds_load_b128 v[2:5], v1 offset:1312
	scratch_load_b128 v[18:21], off, off offset:688
	v_add_f64 v[204:205], v[204:205], v[198:199]
	v_add_f64 v[200:201], v[196:197], v[200:201]
	ds_load_b128 v[196:199], v1 offset:1328
	s_waitcnt vmcnt(8) lgkmcnt(1)
	v_mul_f64 v[210:211], v[2:3], v[28:29]
	v_mul_f64 v[28:29], v[4:5], v[28:29]
	v_fma_f64 v[194:195], v[194:195], v[22:23], v[206:207]
	v_fma_f64 v[192:193], v[192:193], v[22:23], -v[24:25]
	scratch_load_b128 v[22:25], off, off offset:704
	;; [unrolled: 18-line block ×3, first 2 shown]
	v_add_f64 v[202:203], v[204:205], v[208:209]
	v_add_f64 v[200:201], v[200:201], v[206:207]
	s_waitcnt vmcnt(8) lgkmcnt(0)
	v_mul_f64 v[204:205], v[192:193], v[40:41]
	v_mul_f64 v[40:41], v[194:195], v[40:41]
	v_fma_f64 v[206:207], v[4:5], v[34:35], v[210:211]
	v_fma_f64 v[208:209], v[2:3], v[34:35], -v[36:37]
	ds_load_b128 v[2:5], v1 offset:1376
	ds_load_b128 v[34:37], v1 offset:1392
	v_add_f64 v[196:197], v[202:203], v[196:197]
	v_add_f64 v[198:199], v[200:201], v[198:199]
	s_waitcnt vmcnt(7) lgkmcnt(1)
	v_mul_f64 v[200:201], v[2:3], v[44:45]
	v_mul_f64 v[44:45], v[4:5], v[44:45]
	v_fma_f64 v[194:195], v[194:195], v[38:39], v[204:205]
	v_fma_f64 v[38:39], v[192:193], v[38:39], -v[40:41]
	v_add_f64 v[40:41], v[196:197], v[208:209]
	v_add_f64 v[192:193], v[198:199], v[206:207]
	s_waitcnt vmcnt(6) lgkmcnt(0)
	v_mul_f64 v[196:197], v[34:35], v[8:9]
	v_mul_f64 v[8:9], v[36:37], v[8:9]
	v_fma_f64 v[198:199], v[4:5], v[42:43], v[200:201]
	v_fma_f64 v[42:43], v[2:3], v[42:43], -v[44:45]
	v_add_f64 v[44:45], v[40:41], v[38:39]
	v_add_f64 v[192:193], v[192:193], v[194:195]
	ds_load_b128 v[2:5], v1 offset:1408
	ds_load_b128 v[38:41], v1 offset:1424
	v_fma_f64 v[36:37], v[36:37], v[6:7], v[196:197]
	v_fma_f64 v[6:7], v[34:35], v[6:7], -v[8:9]
	s_waitcnt vmcnt(5) lgkmcnt(1)
	v_mul_f64 v[194:195], v[2:3], v[12:13]
	v_mul_f64 v[12:13], v[4:5], v[12:13]
	v_add_f64 v[8:9], v[44:45], v[42:43]
	v_add_f64 v[34:35], v[192:193], v[198:199]
	s_waitcnt vmcnt(4) lgkmcnt(0)
	v_mul_f64 v[42:43], v[38:39], v[16:17]
	v_mul_f64 v[16:17], v[40:41], v[16:17]
	v_fma_f64 v[44:45], v[4:5], v[10:11], v[194:195]
	v_fma_f64 v[10:11], v[2:3], v[10:11], -v[12:13]
	v_add_f64 v[12:13], v[8:9], v[6:7]
	v_add_f64 v[34:35], v[34:35], v[36:37]
	ds_load_b128 v[2:5], v1 offset:1440
	ds_load_b128 v[6:9], v1 offset:1456
	v_fma_f64 v[40:41], v[40:41], v[14:15], v[42:43]
	v_fma_f64 v[14:15], v[38:39], v[14:15], -v[16:17]
	s_waitcnt vmcnt(3) lgkmcnt(1)
	v_mul_f64 v[36:37], v[2:3], v[20:21]
	v_mul_f64 v[20:21], v[4:5], v[20:21]
	s_waitcnt vmcnt(2) lgkmcnt(0)
	v_mul_f64 v[16:17], v[6:7], v[24:25]
	v_mul_f64 v[24:25], v[8:9], v[24:25]
	v_add_f64 v[10:11], v[12:13], v[10:11]
	v_add_f64 v[12:13], v[34:35], v[44:45]
	v_fma_f64 v[34:35], v[4:5], v[18:19], v[36:37]
	v_fma_f64 v[18:19], v[2:3], v[18:19], -v[20:21]
	v_fma_f64 v[8:9], v[8:9], v[22:23], v[16:17]
	v_fma_f64 v[6:7], v[6:7], v[22:23], -v[24:25]
	v_add_f64 v[14:15], v[10:11], v[14:15]
	v_add_f64 v[20:21], v[12:13], v[40:41]
	ds_load_b128 v[2:5], v1 offset:1472
	ds_load_b128 v[10:13], v1 offset:1488
	s_waitcnt vmcnt(1) lgkmcnt(1)
	v_mul_f64 v[36:37], v[2:3], v[28:29]
	v_mul_f64 v[28:29], v[4:5], v[28:29]
	v_add_f64 v[14:15], v[14:15], v[18:19]
	v_add_f64 v[16:17], v[20:21], v[34:35]
	s_waitcnt vmcnt(0) lgkmcnt(0)
	v_mul_f64 v[18:19], v[10:11], v[32:33]
	v_mul_f64 v[20:21], v[12:13], v[32:33]
	v_fma_f64 v[4:5], v[4:5], v[26:27], v[36:37]
	v_fma_f64 v[1:2], v[2:3], v[26:27], -v[28:29]
	v_add_f64 v[6:7], v[14:15], v[6:7]
	v_add_f64 v[8:9], v[16:17], v[8:9]
	v_fma_f64 v[12:13], v[12:13], v[30:31], v[18:19]
	v_fma_f64 v[10:11], v[10:11], v[30:31], -v[20:21]
	s_delay_alu instid0(VALU_DEP_4) | instskip(NEXT) | instid1(VALU_DEP_4)
	v_add_f64 v[1:2], v[6:7], v[1:2]
	v_add_f64 v[3:4], v[8:9], v[4:5]
	s_delay_alu instid0(VALU_DEP_2) | instskip(NEXT) | instid1(VALU_DEP_2)
	v_add_f64 v[1:2], v[1:2], v[10:11]
	v_add_f64 v[3:4], v[3:4], v[12:13]
	s_delay_alu instid0(VALU_DEP_2) | instskip(NEXT) | instid1(VALU_DEP_2)
	v_add_f64 v[1:2], v[188:189], -v[1:2]
	v_add_f64 v[3:4], v[190:191], -v[3:4]
	scratch_store_b128 off, v[1:4], off offset:288
	v_cmpx_lt_u32_e32 17, v140
	s_cbranch_execz .LBB46_261
; %bb.260:
	scratch_load_b128 v[1:4], v170, off
	v_mov_b32_e32 v5, 0
	s_delay_alu instid0(VALU_DEP_1)
	v_mov_b32_e32 v6, v5
	v_mov_b32_e32 v7, v5
	;; [unrolled: 1-line block ×3, first 2 shown]
	scratch_store_b128 off, v[5:8], off offset:272
	s_waitcnt vmcnt(0)
	ds_store_b128 v187, v[1:4]
.LBB46_261:
	s_or_b32 exec_lo, exec_lo, s2
	s_waitcnt lgkmcnt(0)
	s_waitcnt_vscnt null, 0x0
	s_barrier
	buffer_gl0_inv
	s_clause 0x7
	scratch_load_b128 v[2:5], off, off offset:288
	scratch_load_b128 v[6:9], off, off offset:304
	;; [unrolled: 1-line block ×8, first 2 shown]
	v_mov_b32_e32 v1, 0
	s_mov_b32 s2, exec_lo
	ds_load_b128 v[38:41], v1 offset:1040
	s_clause 0x1
	scratch_load_b128 v[34:37], off, off offset:416
	scratch_load_b128 v[42:45], off, off offset:272
	ds_load_b128 v[188:191], v1 offset:1056
	scratch_load_b128 v[192:195], off, off offset:432
	s_waitcnt vmcnt(10) lgkmcnt(1)
	v_mul_f64 v[196:197], v[40:41], v[4:5]
	v_mul_f64 v[4:5], v[38:39], v[4:5]
	s_delay_alu instid0(VALU_DEP_2) | instskip(NEXT) | instid1(VALU_DEP_2)
	v_fma_f64 v[202:203], v[38:39], v[2:3], -v[196:197]
	v_fma_f64 v[204:205], v[40:41], v[2:3], v[4:5]
	scratch_load_b128 v[38:41], off, off offset:448
	ds_load_b128 v[2:5], v1 offset:1072
	s_waitcnt vmcnt(10) lgkmcnt(1)
	v_mul_f64 v[200:201], v[188:189], v[8:9]
	v_mul_f64 v[8:9], v[190:191], v[8:9]
	ds_load_b128 v[196:199], v1 offset:1088
	s_waitcnt vmcnt(9) lgkmcnt(1)
	v_mul_f64 v[206:207], v[2:3], v[12:13]
	v_mul_f64 v[12:13], v[4:5], v[12:13]
	v_fma_f64 v[190:191], v[190:191], v[6:7], v[200:201]
	v_fma_f64 v[188:189], v[188:189], v[6:7], -v[8:9]
	v_add_f64 v[200:201], v[202:203], 0
	v_add_f64 v[202:203], v[204:205], 0
	scratch_load_b128 v[6:9], off, off offset:464
	v_fma_f64 v[206:207], v[4:5], v[10:11], v[206:207]
	v_fma_f64 v[208:209], v[2:3], v[10:11], -v[12:13]
	scratch_load_b128 v[10:13], off, off offset:480
	ds_load_b128 v[2:5], v1 offset:1104
	s_waitcnt vmcnt(10) lgkmcnt(1)
	v_mul_f64 v[204:205], v[196:197], v[16:17]
	v_mul_f64 v[16:17], v[198:199], v[16:17]
	v_add_f64 v[200:201], v[200:201], v[188:189]
	v_add_f64 v[202:203], v[202:203], v[190:191]
	s_waitcnt vmcnt(9) lgkmcnt(0)
	v_mul_f64 v[210:211], v[2:3], v[20:21]
	v_mul_f64 v[20:21], v[4:5], v[20:21]
	ds_load_b128 v[188:191], v1 offset:1120
	v_fma_f64 v[198:199], v[198:199], v[14:15], v[204:205]
	v_fma_f64 v[196:197], v[196:197], v[14:15], -v[16:17]
	scratch_load_b128 v[14:17], off, off offset:496
	v_add_f64 v[200:201], v[200:201], v[208:209]
	v_add_f64 v[202:203], v[202:203], v[206:207]
	v_fma_f64 v[206:207], v[4:5], v[18:19], v[210:211]
	v_fma_f64 v[208:209], v[2:3], v[18:19], -v[20:21]
	scratch_load_b128 v[18:21], off, off offset:512
	ds_load_b128 v[2:5], v1 offset:1136
	s_waitcnt vmcnt(10) lgkmcnt(1)
	v_mul_f64 v[204:205], v[188:189], v[24:25]
	v_mul_f64 v[24:25], v[190:191], v[24:25]
	s_waitcnt vmcnt(9) lgkmcnt(0)
	v_mul_f64 v[210:211], v[2:3], v[28:29]
	v_mul_f64 v[28:29], v[4:5], v[28:29]
	v_add_f64 v[200:201], v[200:201], v[196:197]
	v_add_f64 v[202:203], v[202:203], v[198:199]
	ds_load_b128 v[196:199], v1 offset:1152
	v_fma_f64 v[190:191], v[190:191], v[22:23], v[204:205]
	v_fma_f64 v[188:189], v[188:189], v[22:23], -v[24:25]
	scratch_load_b128 v[22:25], off, off offset:528
	v_add_f64 v[200:201], v[200:201], v[208:209]
	v_add_f64 v[202:203], v[202:203], v[206:207]
	v_fma_f64 v[206:207], v[4:5], v[26:27], v[210:211]
	v_fma_f64 v[208:209], v[2:3], v[26:27], -v[28:29]
	scratch_load_b128 v[26:29], off, off offset:544
	ds_load_b128 v[2:5], v1 offset:1168
	s_waitcnt vmcnt(10) lgkmcnt(1)
	v_mul_f64 v[204:205], v[196:197], v[32:33]
	v_mul_f64 v[32:33], v[198:199], v[32:33]
	s_waitcnt vmcnt(9) lgkmcnt(0)
	v_mul_f64 v[210:211], v[2:3], v[36:37]
	v_mul_f64 v[36:37], v[4:5], v[36:37]
	v_add_f64 v[200:201], v[200:201], v[188:189]
	v_add_f64 v[202:203], v[202:203], v[190:191]
	ds_load_b128 v[188:191], v1 offset:1184
	v_fma_f64 v[198:199], v[198:199], v[30:31], v[204:205]
	v_fma_f64 v[196:197], v[196:197], v[30:31], -v[32:33]
	scratch_load_b128 v[30:33], off, off offset:560
	v_add_f64 v[200:201], v[200:201], v[208:209]
	v_add_f64 v[202:203], v[202:203], v[206:207]
	v_fma_f64 v[208:209], v[4:5], v[34:35], v[210:211]
	v_fma_f64 v[210:211], v[2:3], v[34:35], -v[36:37]
	scratch_load_b128 v[34:37], off, off offset:576
	ds_load_b128 v[2:5], v1 offset:1200
	s_waitcnt vmcnt(9) lgkmcnt(1)
	v_mul_f64 v[204:205], v[188:189], v[194:195]
	v_mul_f64 v[206:207], v[190:191], v[194:195]
	v_add_f64 v[200:201], v[200:201], v[196:197]
	v_add_f64 v[198:199], v[202:203], v[198:199]
	ds_load_b128 v[194:197], v1 offset:1216
	v_fma_f64 v[204:205], v[190:191], v[192:193], v[204:205]
	v_fma_f64 v[192:193], v[188:189], v[192:193], -v[206:207]
	scratch_load_b128 v[188:191], off, off offset:592
	s_waitcnt vmcnt(9) lgkmcnt(1)
	v_mul_f64 v[202:203], v[2:3], v[40:41]
	v_mul_f64 v[40:41], v[4:5], v[40:41]
	v_add_f64 v[200:201], v[200:201], v[210:211]
	v_add_f64 v[198:199], v[198:199], v[208:209]
	s_delay_alu instid0(VALU_DEP_4) | instskip(NEXT) | instid1(VALU_DEP_4)
	v_fma_f64 v[202:203], v[4:5], v[38:39], v[202:203]
	v_fma_f64 v[208:209], v[2:3], v[38:39], -v[40:41]
	scratch_load_b128 v[38:41], off, off offset:608
	ds_load_b128 v[2:5], v1 offset:1232
	s_waitcnt vmcnt(9) lgkmcnt(1)
	v_mul_f64 v[206:207], v[194:195], v[8:9]
	v_mul_f64 v[8:9], v[196:197], v[8:9]
	s_waitcnt vmcnt(8) lgkmcnt(0)
	v_mul_f64 v[210:211], v[2:3], v[12:13]
	v_mul_f64 v[12:13], v[4:5], v[12:13]
	v_add_f64 v[192:193], v[200:201], v[192:193]
	v_add_f64 v[204:205], v[198:199], v[204:205]
	ds_load_b128 v[198:201], v1 offset:1248
	v_fma_f64 v[196:197], v[196:197], v[6:7], v[206:207]
	v_fma_f64 v[194:195], v[194:195], v[6:7], -v[8:9]
	scratch_load_b128 v[6:9], off, off offset:624
	v_fma_f64 v[206:207], v[4:5], v[10:11], v[210:211]
	v_add_f64 v[192:193], v[192:193], v[208:209]
	v_add_f64 v[202:203], v[204:205], v[202:203]
	v_fma_f64 v[208:209], v[2:3], v[10:11], -v[12:13]
	scratch_load_b128 v[10:13], off, off offset:640
	ds_load_b128 v[2:5], v1 offset:1264
	s_waitcnt vmcnt(9) lgkmcnt(1)
	v_mul_f64 v[204:205], v[198:199], v[16:17]
	v_mul_f64 v[16:17], v[200:201], v[16:17]
	v_add_f64 v[210:211], v[192:193], v[194:195]
	v_add_f64 v[196:197], v[202:203], v[196:197]
	s_waitcnt vmcnt(8) lgkmcnt(0)
	v_mul_f64 v[202:203], v[2:3], v[20:21]
	v_mul_f64 v[20:21], v[4:5], v[20:21]
	ds_load_b128 v[192:195], v1 offset:1280
	v_fma_f64 v[200:201], v[200:201], v[14:15], v[204:205]
	v_fma_f64 v[198:199], v[198:199], v[14:15], -v[16:17]
	scratch_load_b128 v[14:17], off, off offset:656
	v_add_f64 v[204:205], v[210:211], v[208:209]
	v_add_f64 v[196:197], v[196:197], v[206:207]
	v_fma_f64 v[202:203], v[4:5], v[18:19], v[202:203]
	v_fma_f64 v[208:209], v[2:3], v[18:19], -v[20:21]
	scratch_load_b128 v[18:21], off, off offset:672
	ds_load_b128 v[2:5], v1 offset:1296
	s_waitcnt vmcnt(9) lgkmcnt(1)
	v_mul_f64 v[206:207], v[192:193], v[24:25]
	v_mul_f64 v[24:25], v[194:195], v[24:25]
	s_waitcnt vmcnt(8) lgkmcnt(0)
	v_mul_f64 v[210:211], v[2:3], v[28:29]
	v_mul_f64 v[28:29], v[4:5], v[28:29]
	v_add_f64 v[204:205], v[204:205], v[198:199]
	v_add_f64 v[200:201], v[196:197], v[200:201]
	ds_load_b128 v[196:199], v1 offset:1312
	v_fma_f64 v[194:195], v[194:195], v[22:23], v[206:207]
	v_fma_f64 v[192:193], v[192:193], v[22:23], -v[24:25]
	scratch_load_b128 v[22:25], off, off offset:688
	v_fma_f64 v[206:207], v[4:5], v[26:27], v[210:211]
	v_add_f64 v[204:205], v[204:205], v[208:209]
	v_add_f64 v[200:201], v[200:201], v[202:203]
	v_fma_f64 v[208:209], v[2:3], v[26:27], -v[28:29]
	scratch_load_b128 v[26:29], off, off offset:704
	ds_load_b128 v[2:5], v1 offset:1328
	s_waitcnt vmcnt(9) lgkmcnt(1)
	v_mul_f64 v[202:203], v[196:197], v[32:33]
	v_mul_f64 v[32:33], v[198:199], v[32:33]
	s_waitcnt vmcnt(8) lgkmcnt(0)
	v_mul_f64 v[210:211], v[2:3], v[36:37]
	v_mul_f64 v[36:37], v[4:5], v[36:37]
	v_add_f64 v[204:205], v[204:205], v[192:193]
	v_add_f64 v[200:201], v[200:201], v[194:195]
	ds_load_b128 v[192:195], v1 offset:1344
	v_fma_f64 v[198:199], v[198:199], v[30:31], v[202:203]
	v_fma_f64 v[196:197], v[196:197], v[30:31], -v[32:33]
	scratch_load_b128 v[30:33], off, off offset:720
	v_add_f64 v[202:203], v[204:205], v[208:209]
	v_add_f64 v[200:201], v[200:201], v[206:207]
	v_fma_f64 v[206:207], v[4:5], v[34:35], v[210:211]
	v_fma_f64 v[208:209], v[2:3], v[34:35], -v[36:37]
	scratch_load_b128 v[34:37], off, off offset:736
	ds_load_b128 v[2:5], v1 offset:1360
	s_waitcnt vmcnt(9) lgkmcnt(1)
	v_mul_f64 v[204:205], v[192:193], v[190:191]
	v_mul_f64 v[190:191], v[194:195], v[190:191]
	s_waitcnt vmcnt(8) lgkmcnt(0)
	v_mul_f64 v[210:211], v[2:3], v[40:41]
	v_mul_f64 v[40:41], v[4:5], v[40:41]
	v_add_f64 v[202:203], v[202:203], v[196:197]
	v_add_f64 v[200:201], v[200:201], v[198:199]
	ds_load_b128 v[196:199], v1 offset:1376
	v_fma_f64 v[194:195], v[194:195], v[188:189], v[204:205]
	v_fma_f64 v[188:189], v[192:193], v[188:189], -v[190:191]
	v_fma_f64 v[204:205], v[2:3], v[38:39], -v[40:41]
	v_add_f64 v[190:191], v[202:203], v[208:209]
	v_add_f64 v[192:193], v[200:201], v[206:207]
	s_waitcnt vmcnt(7) lgkmcnt(0)
	v_mul_f64 v[200:201], v[196:197], v[8:9]
	v_mul_f64 v[8:9], v[198:199], v[8:9]
	v_fma_f64 v[202:203], v[4:5], v[38:39], v[210:211]
	ds_load_b128 v[2:5], v1 offset:1392
	ds_load_b128 v[38:41], v1 offset:1408
	v_add_f64 v[188:189], v[190:191], v[188:189]
	v_add_f64 v[190:191], v[192:193], v[194:195]
	s_waitcnt vmcnt(6) lgkmcnt(1)
	v_mul_f64 v[192:193], v[2:3], v[12:13]
	v_mul_f64 v[12:13], v[4:5], v[12:13]
	v_fma_f64 v[194:195], v[198:199], v[6:7], v[200:201]
	v_fma_f64 v[6:7], v[196:197], v[6:7], -v[8:9]
	v_add_f64 v[8:9], v[188:189], v[204:205]
	v_add_f64 v[188:189], v[190:191], v[202:203]
	s_waitcnt vmcnt(5) lgkmcnt(0)
	v_mul_f64 v[190:191], v[38:39], v[16:17]
	v_mul_f64 v[16:17], v[40:41], v[16:17]
	v_fma_f64 v[192:193], v[4:5], v[10:11], v[192:193]
	v_fma_f64 v[10:11], v[2:3], v[10:11], -v[12:13]
	v_add_f64 v[12:13], v[8:9], v[6:7]
	v_add_f64 v[188:189], v[188:189], v[194:195]
	ds_load_b128 v[2:5], v1 offset:1424
	ds_load_b128 v[6:9], v1 offset:1440
	v_fma_f64 v[40:41], v[40:41], v[14:15], v[190:191]
	v_fma_f64 v[14:15], v[38:39], v[14:15], -v[16:17]
	s_waitcnt vmcnt(4) lgkmcnt(1)
	v_mul_f64 v[194:195], v[2:3], v[20:21]
	v_mul_f64 v[20:21], v[4:5], v[20:21]
	s_waitcnt vmcnt(3) lgkmcnt(0)
	v_mul_f64 v[16:17], v[6:7], v[24:25]
	v_mul_f64 v[24:25], v[8:9], v[24:25]
	v_add_f64 v[10:11], v[12:13], v[10:11]
	v_add_f64 v[12:13], v[188:189], v[192:193]
	v_fma_f64 v[38:39], v[4:5], v[18:19], v[194:195]
	v_fma_f64 v[18:19], v[2:3], v[18:19], -v[20:21]
	v_fma_f64 v[8:9], v[8:9], v[22:23], v[16:17]
	v_fma_f64 v[6:7], v[6:7], v[22:23], -v[24:25]
	v_add_f64 v[14:15], v[10:11], v[14:15]
	v_add_f64 v[20:21], v[12:13], v[40:41]
	ds_load_b128 v[2:5], v1 offset:1456
	ds_load_b128 v[10:13], v1 offset:1472
	s_waitcnt vmcnt(2) lgkmcnt(1)
	v_mul_f64 v[40:41], v[2:3], v[28:29]
	v_mul_f64 v[28:29], v[4:5], v[28:29]
	v_add_f64 v[14:15], v[14:15], v[18:19]
	v_add_f64 v[16:17], v[20:21], v[38:39]
	s_waitcnt vmcnt(1) lgkmcnt(0)
	v_mul_f64 v[18:19], v[10:11], v[32:33]
	v_mul_f64 v[20:21], v[12:13], v[32:33]
	v_fma_f64 v[22:23], v[4:5], v[26:27], v[40:41]
	v_fma_f64 v[24:25], v[2:3], v[26:27], -v[28:29]
	ds_load_b128 v[2:5], v1 offset:1488
	v_add_f64 v[6:7], v[14:15], v[6:7]
	v_add_f64 v[8:9], v[16:17], v[8:9]
	v_fma_f64 v[12:13], v[12:13], v[30:31], v[18:19]
	v_fma_f64 v[10:11], v[10:11], v[30:31], -v[20:21]
	s_waitcnt vmcnt(0) lgkmcnt(0)
	v_mul_f64 v[14:15], v[2:3], v[36:37]
	v_mul_f64 v[16:17], v[4:5], v[36:37]
	v_add_f64 v[6:7], v[6:7], v[24:25]
	v_add_f64 v[8:9], v[8:9], v[22:23]
	s_delay_alu instid0(VALU_DEP_4) | instskip(NEXT) | instid1(VALU_DEP_4)
	v_fma_f64 v[4:5], v[4:5], v[34:35], v[14:15]
	v_fma_f64 v[2:3], v[2:3], v[34:35], -v[16:17]
	s_delay_alu instid0(VALU_DEP_4) | instskip(NEXT) | instid1(VALU_DEP_4)
	v_add_f64 v[6:7], v[6:7], v[10:11]
	v_add_f64 v[8:9], v[8:9], v[12:13]
	s_delay_alu instid0(VALU_DEP_2) | instskip(NEXT) | instid1(VALU_DEP_2)
	v_add_f64 v[2:3], v[6:7], v[2:3]
	v_add_f64 v[4:5], v[8:9], v[4:5]
	s_delay_alu instid0(VALU_DEP_2) | instskip(NEXT) | instid1(VALU_DEP_2)
	v_add_f64 v[2:3], v[42:43], -v[2:3]
	v_add_f64 v[4:5], v[44:45], -v[4:5]
	scratch_store_b128 off, v[2:5], off offset:272
	v_cmpx_lt_u32_e32 16, v140
	s_cbranch_execz .LBB46_263
; %bb.262:
	scratch_load_b128 v[5:8], v171, off
	v_mov_b32_e32 v2, v1
	v_mov_b32_e32 v3, v1
	;; [unrolled: 1-line block ×3, first 2 shown]
	scratch_store_b128 off, v[1:4], off offset:256
	s_waitcnt vmcnt(0)
	ds_store_b128 v187, v[5:8]
.LBB46_263:
	s_or_b32 exec_lo, exec_lo, s2
	s_waitcnt lgkmcnt(0)
	s_waitcnt_vscnt null, 0x0
	s_barrier
	buffer_gl0_inv
	s_clause 0x8
	scratch_load_b128 v[2:5], off, off offset:272
	scratch_load_b128 v[6:9], off, off offset:288
	;; [unrolled: 1-line block ×9, first 2 shown]
	ds_load_b128 v[42:45], v1 offset:1024
	ds_load_b128 v[38:41], v1 offset:1040
	s_clause 0x1
	scratch_load_b128 v[188:191], off, off offset:256
	scratch_load_b128 v[192:195], off, off offset:416
	s_mov_b32 s2, exec_lo
	s_waitcnt vmcnt(10) lgkmcnt(1)
	v_mul_f64 v[196:197], v[44:45], v[4:5]
	v_mul_f64 v[4:5], v[42:43], v[4:5]
	s_waitcnt vmcnt(9) lgkmcnt(0)
	v_mul_f64 v[200:201], v[38:39], v[8:9]
	v_mul_f64 v[8:9], v[40:41], v[8:9]
	s_delay_alu instid0(VALU_DEP_4) | instskip(NEXT) | instid1(VALU_DEP_4)
	v_fma_f64 v[202:203], v[42:43], v[2:3], -v[196:197]
	v_fma_f64 v[204:205], v[44:45], v[2:3], v[4:5]
	ds_load_b128 v[2:5], v1 offset:1056
	ds_load_b128 v[196:199], v1 offset:1072
	scratch_load_b128 v[42:45], off, off offset:432
	v_fma_f64 v[40:41], v[40:41], v[6:7], v[200:201]
	v_fma_f64 v[38:39], v[38:39], v[6:7], -v[8:9]
	scratch_load_b128 v[6:9], off, off offset:448
	s_waitcnt vmcnt(10) lgkmcnt(1)
	v_mul_f64 v[206:207], v[2:3], v[12:13]
	v_mul_f64 v[12:13], v[4:5], v[12:13]
	v_add_f64 v[200:201], v[202:203], 0
	v_add_f64 v[202:203], v[204:205], 0
	s_waitcnt vmcnt(9) lgkmcnt(0)
	v_mul_f64 v[204:205], v[196:197], v[16:17]
	v_mul_f64 v[16:17], v[198:199], v[16:17]
	v_fma_f64 v[206:207], v[4:5], v[10:11], v[206:207]
	v_fma_f64 v[208:209], v[2:3], v[10:11], -v[12:13]
	ds_load_b128 v[2:5], v1 offset:1088
	scratch_load_b128 v[10:13], off, off offset:464
	v_add_f64 v[200:201], v[200:201], v[38:39]
	v_add_f64 v[202:203], v[202:203], v[40:41]
	ds_load_b128 v[38:41], v1 offset:1104
	v_fma_f64 v[198:199], v[198:199], v[14:15], v[204:205]
	v_fma_f64 v[196:197], v[196:197], v[14:15], -v[16:17]
	scratch_load_b128 v[14:17], off, off offset:480
	s_waitcnt vmcnt(10) lgkmcnt(1)
	v_mul_f64 v[210:211], v[2:3], v[20:21]
	v_mul_f64 v[20:21], v[4:5], v[20:21]
	s_waitcnt vmcnt(9) lgkmcnt(0)
	v_mul_f64 v[204:205], v[38:39], v[24:25]
	v_mul_f64 v[24:25], v[40:41], v[24:25]
	v_add_f64 v[200:201], v[200:201], v[208:209]
	v_add_f64 v[202:203], v[202:203], v[206:207]
	v_fma_f64 v[206:207], v[4:5], v[18:19], v[210:211]
	v_fma_f64 v[208:209], v[2:3], v[18:19], -v[20:21]
	ds_load_b128 v[2:5], v1 offset:1120
	scratch_load_b128 v[18:21], off, off offset:496
	v_fma_f64 v[40:41], v[40:41], v[22:23], v[204:205]
	v_fma_f64 v[38:39], v[38:39], v[22:23], -v[24:25]
	scratch_load_b128 v[22:25], off, off offset:512
	v_add_f64 v[200:201], v[200:201], v[196:197]
	v_add_f64 v[202:203], v[202:203], v[198:199]
	ds_load_b128 v[196:199], v1 offset:1136
	s_waitcnt vmcnt(10) lgkmcnt(1)
	v_mul_f64 v[210:211], v[2:3], v[28:29]
	v_mul_f64 v[28:29], v[4:5], v[28:29]
	s_waitcnt vmcnt(9) lgkmcnt(0)
	v_mul_f64 v[204:205], v[196:197], v[32:33]
	v_mul_f64 v[32:33], v[198:199], v[32:33]
	v_add_f64 v[200:201], v[200:201], v[208:209]
	v_add_f64 v[202:203], v[202:203], v[206:207]
	v_fma_f64 v[206:207], v[4:5], v[26:27], v[210:211]
	v_fma_f64 v[208:209], v[2:3], v[26:27], -v[28:29]
	ds_load_b128 v[2:5], v1 offset:1152
	scratch_load_b128 v[26:29], off, off offset:528
	v_fma_f64 v[198:199], v[198:199], v[30:31], v[204:205]
	v_fma_f64 v[196:197], v[196:197], v[30:31], -v[32:33]
	scratch_load_b128 v[30:33], off, off offset:544
	v_add_f64 v[200:201], v[200:201], v[38:39]
	v_add_f64 v[202:203], v[202:203], v[40:41]
	ds_load_b128 v[38:41], v1 offset:1168
	s_waitcnt vmcnt(10) lgkmcnt(1)
	v_mul_f64 v[210:211], v[2:3], v[36:37]
	v_mul_f64 v[36:37], v[4:5], v[36:37]
	s_waitcnt vmcnt(8) lgkmcnt(0)
	v_mul_f64 v[204:205], v[38:39], v[194:195]
	v_add_f64 v[200:201], v[200:201], v[208:209]
	v_add_f64 v[202:203], v[202:203], v[206:207]
	v_mul_f64 v[206:207], v[40:41], v[194:195]
	v_fma_f64 v[208:209], v[4:5], v[34:35], v[210:211]
	v_fma_f64 v[210:211], v[2:3], v[34:35], -v[36:37]
	ds_load_b128 v[2:5], v1 offset:1184
	scratch_load_b128 v[34:37], off, off offset:560
	v_fma_f64 v[204:205], v[40:41], v[192:193], v[204:205]
	v_add_f64 v[200:201], v[200:201], v[196:197]
	v_add_f64 v[198:199], v[202:203], v[198:199]
	ds_load_b128 v[194:197], v1 offset:1200
	v_fma_f64 v[192:193], v[38:39], v[192:193], -v[206:207]
	scratch_load_b128 v[38:41], off, off offset:576
	s_waitcnt vmcnt(9) lgkmcnt(1)
	v_mul_f64 v[202:203], v[2:3], v[44:45]
	v_mul_f64 v[44:45], v[4:5], v[44:45]
	s_waitcnt vmcnt(8) lgkmcnt(0)
	v_mul_f64 v[206:207], v[194:195], v[8:9]
	v_mul_f64 v[8:9], v[196:197], v[8:9]
	v_add_f64 v[200:201], v[200:201], v[210:211]
	v_add_f64 v[198:199], v[198:199], v[208:209]
	v_fma_f64 v[202:203], v[4:5], v[42:43], v[202:203]
	v_fma_f64 v[208:209], v[2:3], v[42:43], -v[44:45]
	ds_load_b128 v[2:5], v1 offset:1216
	scratch_load_b128 v[42:45], off, off offset:592
	v_fma_f64 v[196:197], v[196:197], v[6:7], v[206:207]
	v_fma_f64 v[194:195], v[194:195], v[6:7], -v[8:9]
	scratch_load_b128 v[6:9], off, off offset:608
	v_add_f64 v[192:193], v[200:201], v[192:193]
	v_add_f64 v[204:205], v[198:199], v[204:205]
	ds_load_b128 v[198:201], v1 offset:1232
	s_waitcnt vmcnt(9) lgkmcnt(1)
	v_mul_f64 v[210:211], v[2:3], v[12:13]
	v_mul_f64 v[12:13], v[4:5], v[12:13]
	v_add_f64 v[192:193], v[192:193], v[208:209]
	v_add_f64 v[202:203], v[204:205], v[202:203]
	s_waitcnt vmcnt(8) lgkmcnt(0)
	v_mul_f64 v[204:205], v[198:199], v[16:17]
	v_mul_f64 v[16:17], v[200:201], v[16:17]
	v_fma_f64 v[206:207], v[4:5], v[10:11], v[210:211]
	v_fma_f64 v[208:209], v[2:3], v[10:11], -v[12:13]
	ds_load_b128 v[2:5], v1 offset:1248
	scratch_load_b128 v[10:13], off, off offset:624
	v_add_f64 v[210:211], v[192:193], v[194:195]
	v_add_f64 v[196:197], v[202:203], v[196:197]
	ds_load_b128 v[192:195], v1 offset:1264
	s_waitcnt vmcnt(8) lgkmcnt(1)
	v_mul_f64 v[202:203], v[2:3], v[20:21]
	v_mul_f64 v[20:21], v[4:5], v[20:21]
	v_fma_f64 v[200:201], v[200:201], v[14:15], v[204:205]
	v_fma_f64 v[198:199], v[198:199], v[14:15], -v[16:17]
	scratch_load_b128 v[14:17], off, off offset:640
	v_add_f64 v[204:205], v[210:211], v[208:209]
	v_add_f64 v[196:197], v[196:197], v[206:207]
	s_waitcnt vmcnt(8) lgkmcnt(0)
	v_mul_f64 v[206:207], v[192:193], v[24:25]
	v_mul_f64 v[24:25], v[194:195], v[24:25]
	v_fma_f64 v[202:203], v[4:5], v[18:19], v[202:203]
	v_fma_f64 v[208:209], v[2:3], v[18:19], -v[20:21]
	ds_load_b128 v[2:5], v1 offset:1280
	scratch_load_b128 v[18:21], off, off offset:656
	v_add_f64 v[204:205], v[204:205], v[198:199]
	v_add_f64 v[200:201], v[196:197], v[200:201]
	ds_load_b128 v[196:199], v1 offset:1296
	s_waitcnt vmcnt(8) lgkmcnt(1)
	v_mul_f64 v[210:211], v[2:3], v[28:29]
	v_mul_f64 v[28:29], v[4:5], v[28:29]
	v_fma_f64 v[194:195], v[194:195], v[22:23], v[206:207]
	v_fma_f64 v[192:193], v[192:193], v[22:23], -v[24:25]
	scratch_load_b128 v[22:25], off, off offset:672
	;; [unrolled: 18-line block ×4, first 2 shown]
	s_waitcnt vmcnt(8) lgkmcnt(0)
	v_mul_f64 v[204:205], v[196:197], v[8:9]
	v_mul_f64 v[8:9], v[198:199], v[8:9]
	v_add_f64 v[202:203], v[202:203], v[208:209]
	v_add_f64 v[200:201], v[200:201], v[206:207]
	v_fma_f64 v[206:207], v[4:5], v[42:43], v[210:211]
	v_fma_f64 v[208:209], v[2:3], v[42:43], -v[44:45]
	ds_load_b128 v[2:5], v1 offset:1376
	ds_load_b128 v[42:45], v1 offset:1392
	v_fma_f64 v[198:199], v[198:199], v[6:7], v[204:205]
	v_fma_f64 v[6:7], v[196:197], v[6:7], -v[8:9]
	v_add_f64 v[192:193], v[202:203], v[192:193]
	v_add_f64 v[194:195], v[200:201], v[194:195]
	s_waitcnt vmcnt(7) lgkmcnt(1)
	v_mul_f64 v[200:201], v[2:3], v[12:13]
	v_mul_f64 v[12:13], v[4:5], v[12:13]
	s_delay_alu instid0(VALU_DEP_4) | instskip(NEXT) | instid1(VALU_DEP_4)
	v_add_f64 v[8:9], v[192:193], v[208:209]
	v_add_f64 v[192:193], v[194:195], v[206:207]
	s_waitcnt vmcnt(6) lgkmcnt(0)
	v_mul_f64 v[194:195], v[42:43], v[16:17]
	v_mul_f64 v[16:17], v[44:45], v[16:17]
	v_fma_f64 v[196:197], v[4:5], v[10:11], v[200:201]
	v_fma_f64 v[10:11], v[2:3], v[10:11], -v[12:13]
	v_add_f64 v[12:13], v[8:9], v[6:7]
	v_add_f64 v[192:193], v[192:193], v[198:199]
	ds_load_b128 v[2:5], v1 offset:1408
	ds_load_b128 v[6:9], v1 offset:1424
	v_fma_f64 v[44:45], v[44:45], v[14:15], v[194:195]
	v_fma_f64 v[14:15], v[42:43], v[14:15], -v[16:17]
	s_waitcnt vmcnt(5) lgkmcnt(1)
	v_mul_f64 v[198:199], v[2:3], v[20:21]
	v_mul_f64 v[20:21], v[4:5], v[20:21]
	s_waitcnt vmcnt(4) lgkmcnt(0)
	v_mul_f64 v[16:17], v[6:7], v[24:25]
	v_mul_f64 v[24:25], v[8:9], v[24:25]
	v_add_f64 v[10:11], v[12:13], v[10:11]
	v_add_f64 v[12:13], v[192:193], v[196:197]
	v_fma_f64 v[42:43], v[4:5], v[18:19], v[198:199]
	v_fma_f64 v[18:19], v[2:3], v[18:19], -v[20:21]
	v_fma_f64 v[8:9], v[8:9], v[22:23], v[16:17]
	v_fma_f64 v[6:7], v[6:7], v[22:23], -v[24:25]
	v_add_f64 v[14:15], v[10:11], v[14:15]
	v_add_f64 v[20:21], v[12:13], v[44:45]
	ds_load_b128 v[2:5], v1 offset:1440
	ds_load_b128 v[10:13], v1 offset:1456
	s_waitcnt vmcnt(3) lgkmcnt(1)
	v_mul_f64 v[44:45], v[2:3], v[28:29]
	v_mul_f64 v[28:29], v[4:5], v[28:29]
	v_add_f64 v[14:15], v[14:15], v[18:19]
	v_add_f64 v[16:17], v[20:21], v[42:43]
	s_waitcnt vmcnt(2) lgkmcnt(0)
	v_mul_f64 v[18:19], v[10:11], v[32:33]
	v_mul_f64 v[20:21], v[12:13], v[32:33]
	v_fma_f64 v[22:23], v[4:5], v[26:27], v[44:45]
	v_fma_f64 v[24:25], v[2:3], v[26:27], -v[28:29]
	v_add_f64 v[14:15], v[14:15], v[6:7]
	v_add_f64 v[16:17], v[16:17], v[8:9]
	ds_load_b128 v[2:5], v1 offset:1472
	ds_load_b128 v[6:9], v1 offset:1488
	v_fma_f64 v[12:13], v[12:13], v[30:31], v[18:19]
	v_fma_f64 v[10:11], v[10:11], v[30:31], -v[20:21]
	s_waitcnt vmcnt(1) lgkmcnt(1)
	v_mul_f64 v[26:27], v[2:3], v[36:37]
	v_mul_f64 v[28:29], v[4:5], v[36:37]
	s_waitcnt vmcnt(0) lgkmcnt(0)
	v_mul_f64 v[18:19], v[6:7], v[40:41]
	v_mul_f64 v[20:21], v[8:9], v[40:41]
	v_add_f64 v[14:15], v[14:15], v[24:25]
	v_add_f64 v[16:17], v[16:17], v[22:23]
	v_fma_f64 v[4:5], v[4:5], v[34:35], v[26:27]
	v_fma_f64 v[1:2], v[2:3], v[34:35], -v[28:29]
	v_fma_f64 v[8:9], v[8:9], v[38:39], v[18:19]
	v_fma_f64 v[6:7], v[6:7], v[38:39], -v[20:21]
	v_add_f64 v[10:11], v[14:15], v[10:11]
	v_add_f64 v[12:13], v[16:17], v[12:13]
	s_delay_alu instid0(VALU_DEP_2) | instskip(NEXT) | instid1(VALU_DEP_2)
	v_add_f64 v[1:2], v[10:11], v[1:2]
	v_add_f64 v[3:4], v[12:13], v[4:5]
	s_delay_alu instid0(VALU_DEP_2) | instskip(NEXT) | instid1(VALU_DEP_2)
	;; [unrolled: 3-line block ×3, first 2 shown]
	v_add_f64 v[1:2], v[188:189], -v[1:2]
	v_add_f64 v[3:4], v[190:191], -v[3:4]
	scratch_store_b128 off, v[1:4], off offset:256
	v_cmpx_lt_u32_e32 15, v140
	s_cbranch_execz .LBB46_265
; %bb.264:
	scratch_load_b128 v[1:4], v172, off
	v_mov_b32_e32 v5, 0
	s_delay_alu instid0(VALU_DEP_1)
	v_mov_b32_e32 v6, v5
	v_mov_b32_e32 v7, v5
	;; [unrolled: 1-line block ×3, first 2 shown]
	scratch_store_b128 off, v[5:8], off offset:240
	s_waitcnt vmcnt(0)
	ds_store_b128 v187, v[1:4]
.LBB46_265:
	s_or_b32 exec_lo, exec_lo, s2
	s_waitcnt lgkmcnt(0)
	s_waitcnt_vscnt null, 0x0
	s_barrier
	buffer_gl0_inv
	s_clause 0x7
	scratch_load_b128 v[2:5], off, off offset:256
	scratch_load_b128 v[6:9], off, off offset:272
	;; [unrolled: 1-line block ×8, first 2 shown]
	v_mov_b32_e32 v1, 0
	s_mov_b32 s2, exec_lo
	ds_load_b128 v[38:41], v1 offset:1008
	s_clause 0x1
	scratch_load_b128 v[34:37], off, off offset:384
	scratch_load_b128 v[42:45], off, off offset:240
	ds_load_b128 v[188:191], v1 offset:1024
	scratch_load_b128 v[192:195], off, off offset:400
	s_waitcnt vmcnt(10) lgkmcnt(1)
	v_mul_f64 v[196:197], v[40:41], v[4:5]
	v_mul_f64 v[4:5], v[38:39], v[4:5]
	s_delay_alu instid0(VALU_DEP_2) | instskip(NEXT) | instid1(VALU_DEP_2)
	v_fma_f64 v[202:203], v[38:39], v[2:3], -v[196:197]
	v_fma_f64 v[204:205], v[40:41], v[2:3], v[4:5]
	scratch_load_b128 v[38:41], off, off offset:416
	ds_load_b128 v[2:5], v1 offset:1040
	s_waitcnt vmcnt(10) lgkmcnt(1)
	v_mul_f64 v[200:201], v[188:189], v[8:9]
	v_mul_f64 v[8:9], v[190:191], v[8:9]
	ds_load_b128 v[196:199], v1 offset:1056
	s_waitcnt vmcnt(9) lgkmcnt(1)
	v_mul_f64 v[206:207], v[2:3], v[12:13]
	v_mul_f64 v[12:13], v[4:5], v[12:13]
	v_fma_f64 v[190:191], v[190:191], v[6:7], v[200:201]
	v_fma_f64 v[188:189], v[188:189], v[6:7], -v[8:9]
	v_add_f64 v[200:201], v[202:203], 0
	v_add_f64 v[202:203], v[204:205], 0
	scratch_load_b128 v[6:9], off, off offset:432
	v_fma_f64 v[206:207], v[4:5], v[10:11], v[206:207]
	v_fma_f64 v[208:209], v[2:3], v[10:11], -v[12:13]
	scratch_load_b128 v[10:13], off, off offset:448
	ds_load_b128 v[2:5], v1 offset:1072
	s_waitcnt vmcnt(10) lgkmcnt(1)
	v_mul_f64 v[204:205], v[196:197], v[16:17]
	v_mul_f64 v[16:17], v[198:199], v[16:17]
	v_add_f64 v[200:201], v[200:201], v[188:189]
	v_add_f64 v[202:203], v[202:203], v[190:191]
	s_waitcnt vmcnt(9) lgkmcnt(0)
	v_mul_f64 v[210:211], v[2:3], v[20:21]
	v_mul_f64 v[20:21], v[4:5], v[20:21]
	ds_load_b128 v[188:191], v1 offset:1088
	v_fma_f64 v[198:199], v[198:199], v[14:15], v[204:205]
	v_fma_f64 v[196:197], v[196:197], v[14:15], -v[16:17]
	scratch_load_b128 v[14:17], off, off offset:464
	v_add_f64 v[200:201], v[200:201], v[208:209]
	v_add_f64 v[202:203], v[202:203], v[206:207]
	v_fma_f64 v[206:207], v[4:5], v[18:19], v[210:211]
	v_fma_f64 v[208:209], v[2:3], v[18:19], -v[20:21]
	scratch_load_b128 v[18:21], off, off offset:480
	ds_load_b128 v[2:5], v1 offset:1104
	s_waitcnt vmcnt(10) lgkmcnt(1)
	v_mul_f64 v[204:205], v[188:189], v[24:25]
	v_mul_f64 v[24:25], v[190:191], v[24:25]
	s_waitcnt vmcnt(9) lgkmcnt(0)
	v_mul_f64 v[210:211], v[2:3], v[28:29]
	v_mul_f64 v[28:29], v[4:5], v[28:29]
	v_add_f64 v[200:201], v[200:201], v[196:197]
	v_add_f64 v[202:203], v[202:203], v[198:199]
	ds_load_b128 v[196:199], v1 offset:1120
	v_fma_f64 v[190:191], v[190:191], v[22:23], v[204:205]
	v_fma_f64 v[188:189], v[188:189], v[22:23], -v[24:25]
	scratch_load_b128 v[22:25], off, off offset:496
	v_add_f64 v[200:201], v[200:201], v[208:209]
	v_add_f64 v[202:203], v[202:203], v[206:207]
	v_fma_f64 v[206:207], v[4:5], v[26:27], v[210:211]
	v_fma_f64 v[208:209], v[2:3], v[26:27], -v[28:29]
	scratch_load_b128 v[26:29], off, off offset:512
	ds_load_b128 v[2:5], v1 offset:1136
	s_waitcnt vmcnt(10) lgkmcnt(1)
	v_mul_f64 v[204:205], v[196:197], v[32:33]
	v_mul_f64 v[32:33], v[198:199], v[32:33]
	s_waitcnt vmcnt(9) lgkmcnt(0)
	v_mul_f64 v[210:211], v[2:3], v[36:37]
	v_mul_f64 v[36:37], v[4:5], v[36:37]
	v_add_f64 v[200:201], v[200:201], v[188:189]
	v_add_f64 v[202:203], v[202:203], v[190:191]
	ds_load_b128 v[188:191], v1 offset:1152
	v_fma_f64 v[198:199], v[198:199], v[30:31], v[204:205]
	v_fma_f64 v[196:197], v[196:197], v[30:31], -v[32:33]
	scratch_load_b128 v[30:33], off, off offset:528
	v_add_f64 v[200:201], v[200:201], v[208:209]
	v_add_f64 v[202:203], v[202:203], v[206:207]
	v_fma_f64 v[208:209], v[4:5], v[34:35], v[210:211]
	v_fma_f64 v[210:211], v[2:3], v[34:35], -v[36:37]
	scratch_load_b128 v[34:37], off, off offset:544
	ds_load_b128 v[2:5], v1 offset:1168
	s_waitcnt vmcnt(9) lgkmcnt(1)
	v_mul_f64 v[204:205], v[188:189], v[194:195]
	v_mul_f64 v[206:207], v[190:191], v[194:195]
	v_add_f64 v[200:201], v[200:201], v[196:197]
	v_add_f64 v[198:199], v[202:203], v[198:199]
	ds_load_b128 v[194:197], v1 offset:1184
	v_fma_f64 v[204:205], v[190:191], v[192:193], v[204:205]
	v_fma_f64 v[192:193], v[188:189], v[192:193], -v[206:207]
	scratch_load_b128 v[188:191], off, off offset:560
	s_waitcnt vmcnt(9) lgkmcnt(1)
	v_mul_f64 v[202:203], v[2:3], v[40:41]
	v_mul_f64 v[40:41], v[4:5], v[40:41]
	v_add_f64 v[200:201], v[200:201], v[210:211]
	v_add_f64 v[198:199], v[198:199], v[208:209]
	s_delay_alu instid0(VALU_DEP_4) | instskip(NEXT) | instid1(VALU_DEP_4)
	v_fma_f64 v[202:203], v[4:5], v[38:39], v[202:203]
	v_fma_f64 v[208:209], v[2:3], v[38:39], -v[40:41]
	scratch_load_b128 v[38:41], off, off offset:576
	ds_load_b128 v[2:5], v1 offset:1200
	s_waitcnt vmcnt(9) lgkmcnt(1)
	v_mul_f64 v[206:207], v[194:195], v[8:9]
	v_mul_f64 v[8:9], v[196:197], v[8:9]
	s_waitcnt vmcnt(8) lgkmcnt(0)
	v_mul_f64 v[210:211], v[2:3], v[12:13]
	v_mul_f64 v[12:13], v[4:5], v[12:13]
	v_add_f64 v[192:193], v[200:201], v[192:193]
	v_add_f64 v[204:205], v[198:199], v[204:205]
	ds_load_b128 v[198:201], v1 offset:1216
	v_fma_f64 v[196:197], v[196:197], v[6:7], v[206:207]
	v_fma_f64 v[194:195], v[194:195], v[6:7], -v[8:9]
	scratch_load_b128 v[6:9], off, off offset:592
	v_fma_f64 v[206:207], v[4:5], v[10:11], v[210:211]
	v_add_f64 v[192:193], v[192:193], v[208:209]
	v_add_f64 v[202:203], v[204:205], v[202:203]
	v_fma_f64 v[208:209], v[2:3], v[10:11], -v[12:13]
	scratch_load_b128 v[10:13], off, off offset:608
	ds_load_b128 v[2:5], v1 offset:1232
	s_waitcnt vmcnt(9) lgkmcnt(1)
	v_mul_f64 v[204:205], v[198:199], v[16:17]
	v_mul_f64 v[16:17], v[200:201], v[16:17]
	v_add_f64 v[210:211], v[192:193], v[194:195]
	v_add_f64 v[196:197], v[202:203], v[196:197]
	s_waitcnt vmcnt(8) lgkmcnt(0)
	v_mul_f64 v[202:203], v[2:3], v[20:21]
	v_mul_f64 v[20:21], v[4:5], v[20:21]
	ds_load_b128 v[192:195], v1 offset:1248
	v_fma_f64 v[200:201], v[200:201], v[14:15], v[204:205]
	v_fma_f64 v[198:199], v[198:199], v[14:15], -v[16:17]
	scratch_load_b128 v[14:17], off, off offset:624
	v_add_f64 v[204:205], v[210:211], v[208:209]
	v_add_f64 v[196:197], v[196:197], v[206:207]
	v_fma_f64 v[202:203], v[4:5], v[18:19], v[202:203]
	v_fma_f64 v[208:209], v[2:3], v[18:19], -v[20:21]
	scratch_load_b128 v[18:21], off, off offset:640
	ds_load_b128 v[2:5], v1 offset:1264
	s_waitcnt vmcnt(9) lgkmcnt(1)
	v_mul_f64 v[206:207], v[192:193], v[24:25]
	v_mul_f64 v[24:25], v[194:195], v[24:25]
	s_waitcnt vmcnt(8) lgkmcnt(0)
	v_mul_f64 v[210:211], v[2:3], v[28:29]
	v_mul_f64 v[28:29], v[4:5], v[28:29]
	v_add_f64 v[204:205], v[204:205], v[198:199]
	v_add_f64 v[200:201], v[196:197], v[200:201]
	ds_load_b128 v[196:199], v1 offset:1280
	v_fma_f64 v[194:195], v[194:195], v[22:23], v[206:207]
	v_fma_f64 v[192:193], v[192:193], v[22:23], -v[24:25]
	scratch_load_b128 v[22:25], off, off offset:656
	v_fma_f64 v[206:207], v[4:5], v[26:27], v[210:211]
	v_add_f64 v[204:205], v[204:205], v[208:209]
	v_add_f64 v[200:201], v[200:201], v[202:203]
	v_fma_f64 v[208:209], v[2:3], v[26:27], -v[28:29]
	scratch_load_b128 v[26:29], off, off offset:672
	ds_load_b128 v[2:5], v1 offset:1296
	s_waitcnt vmcnt(9) lgkmcnt(1)
	v_mul_f64 v[202:203], v[196:197], v[32:33]
	v_mul_f64 v[32:33], v[198:199], v[32:33]
	s_waitcnt vmcnt(8) lgkmcnt(0)
	v_mul_f64 v[210:211], v[2:3], v[36:37]
	v_mul_f64 v[36:37], v[4:5], v[36:37]
	v_add_f64 v[204:205], v[204:205], v[192:193]
	v_add_f64 v[200:201], v[200:201], v[194:195]
	ds_load_b128 v[192:195], v1 offset:1312
	v_fma_f64 v[198:199], v[198:199], v[30:31], v[202:203]
	v_fma_f64 v[196:197], v[196:197], v[30:31], -v[32:33]
	scratch_load_b128 v[30:33], off, off offset:688
	v_add_f64 v[202:203], v[204:205], v[208:209]
	v_add_f64 v[200:201], v[200:201], v[206:207]
	v_fma_f64 v[206:207], v[4:5], v[34:35], v[210:211]
	v_fma_f64 v[208:209], v[2:3], v[34:35], -v[36:37]
	scratch_load_b128 v[34:37], off, off offset:704
	ds_load_b128 v[2:5], v1 offset:1328
	s_waitcnt vmcnt(9) lgkmcnt(1)
	v_mul_f64 v[204:205], v[192:193], v[190:191]
	v_mul_f64 v[190:191], v[194:195], v[190:191]
	s_waitcnt vmcnt(8) lgkmcnt(0)
	v_mul_f64 v[210:211], v[2:3], v[40:41]
	v_mul_f64 v[40:41], v[4:5], v[40:41]
	v_add_f64 v[202:203], v[202:203], v[196:197]
	v_add_f64 v[200:201], v[200:201], v[198:199]
	ds_load_b128 v[196:199], v1 offset:1344
	v_fma_f64 v[194:195], v[194:195], v[188:189], v[204:205]
	v_fma_f64 v[192:193], v[192:193], v[188:189], -v[190:191]
	scratch_load_b128 v[188:191], off, off offset:720
	v_add_f64 v[202:203], v[202:203], v[208:209]
	v_add_f64 v[200:201], v[200:201], v[206:207]
	v_fma_f64 v[206:207], v[4:5], v[38:39], v[210:211]
	v_fma_f64 v[208:209], v[2:3], v[38:39], -v[40:41]
	scratch_load_b128 v[38:41], off, off offset:736
	ds_load_b128 v[2:5], v1 offset:1360
	s_waitcnt vmcnt(9) lgkmcnt(1)
	v_mul_f64 v[204:205], v[196:197], v[8:9]
	v_mul_f64 v[8:9], v[198:199], v[8:9]
	s_waitcnt vmcnt(8) lgkmcnt(0)
	v_mul_f64 v[210:211], v[2:3], v[12:13]
	v_mul_f64 v[12:13], v[4:5], v[12:13]
	v_add_f64 v[202:203], v[202:203], v[192:193]
	v_add_f64 v[200:201], v[200:201], v[194:195]
	ds_load_b128 v[192:195], v1 offset:1376
	v_fma_f64 v[198:199], v[198:199], v[6:7], v[204:205]
	v_fma_f64 v[6:7], v[196:197], v[6:7], -v[8:9]
	v_add_f64 v[8:9], v[202:203], v[208:209]
	v_add_f64 v[196:197], v[200:201], v[206:207]
	s_waitcnt vmcnt(7) lgkmcnt(0)
	v_mul_f64 v[200:201], v[192:193], v[16:17]
	v_mul_f64 v[16:17], v[194:195], v[16:17]
	v_fma_f64 v[202:203], v[4:5], v[10:11], v[210:211]
	v_fma_f64 v[10:11], v[2:3], v[10:11], -v[12:13]
	v_add_f64 v[12:13], v[8:9], v[6:7]
	v_add_f64 v[196:197], v[196:197], v[198:199]
	ds_load_b128 v[2:5], v1 offset:1392
	ds_load_b128 v[6:9], v1 offset:1408
	v_fma_f64 v[194:195], v[194:195], v[14:15], v[200:201]
	v_fma_f64 v[14:15], v[192:193], v[14:15], -v[16:17]
	s_waitcnt vmcnt(6) lgkmcnt(1)
	v_mul_f64 v[198:199], v[2:3], v[20:21]
	v_mul_f64 v[20:21], v[4:5], v[20:21]
	s_waitcnt vmcnt(5) lgkmcnt(0)
	v_mul_f64 v[16:17], v[6:7], v[24:25]
	v_mul_f64 v[24:25], v[8:9], v[24:25]
	v_add_f64 v[10:11], v[12:13], v[10:11]
	v_add_f64 v[12:13], v[196:197], v[202:203]
	v_fma_f64 v[192:193], v[4:5], v[18:19], v[198:199]
	v_fma_f64 v[18:19], v[2:3], v[18:19], -v[20:21]
	v_fma_f64 v[8:9], v[8:9], v[22:23], v[16:17]
	v_fma_f64 v[6:7], v[6:7], v[22:23], -v[24:25]
	v_add_f64 v[14:15], v[10:11], v[14:15]
	v_add_f64 v[20:21], v[12:13], v[194:195]
	ds_load_b128 v[2:5], v1 offset:1424
	ds_load_b128 v[10:13], v1 offset:1440
	s_waitcnt vmcnt(4) lgkmcnt(1)
	v_mul_f64 v[194:195], v[2:3], v[28:29]
	v_mul_f64 v[28:29], v[4:5], v[28:29]
	v_add_f64 v[14:15], v[14:15], v[18:19]
	v_add_f64 v[16:17], v[20:21], v[192:193]
	s_waitcnt vmcnt(3) lgkmcnt(0)
	v_mul_f64 v[18:19], v[10:11], v[32:33]
	v_mul_f64 v[20:21], v[12:13], v[32:33]
	v_fma_f64 v[22:23], v[4:5], v[26:27], v[194:195]
	v_fma_f64 v[24:25], v[2:3], v[26:27], -v[28:29]
	v_add_f64 v[14:15], v[14:15], v[6:7]
	v_add_f64 v[16:17], v[16:17], v[8:9]
	ds_load_b128 v[2:5], v1 offset:1456
	ds_load_b128 v[6:9], v1 offset:1472
	v_fma_f64 v[12:13], v[12:13], v[30:31], v[18:19]
	v_fma_f64 v[10:11], v[10:11], v[30:31], -v[20:21]
	s_waitcnt vmcnt(2) lgkmcnt(1)
	v_mul_f64 v[26:27], v[2:3], v[36:37]
	v_mul_f64 v[28:29], v[4:5], v[36:37]
	s_waitcnt vmcnt(1) lgkmcnt(0)
	v_mul_f64 v[18:19], v[6:7], v[190:191]
	v_mul_f64 v[20:21], v[8:9], v[190:191]
	v_add_f64 v[14:15], v[14:15], v[24:25]
	v_add_f64 v[16:17], v[16:17], v[22:23]
	v_fma_f64 v[22:23], v[4:5], v[34:35], v[26:27]
	v_fma_f64 v[24:25], v[2:3], v[34:35], -v[28:29]
	ds_load_b128 v[2:5], v1 offset:1488
	v_fma_f64 v[8:9], v[8:9], v[188:189], v[18:19]
	v_fma_f64 v[6:7], v[6:7], v[188:189], -v[20:21]
	v_add_f64 v[10:11], v[14:15], v[10:11]
	v_add_f64 v[12:13], v[16:17], v[12:13]
	s_waitcnt vmcnt(0) lgkmcnt(0)
	v_mul_f64 v[14:15], v[2:3], v[40:41]
	v_mul_f64 v[16:17], v[4:5], v[40:41]
	s_delay_alu instid0(VALU_DEP_4) | instskip(NEXT) | instid1(VALU_DEP_4)
	v_add_f64 v[10:11], v[10:11], v[24:25]
	v_add_f64 v[12:13], v[12:13], v[22:23]
	s_delay_alu instid0(VALU_DEP_4) | instskip(NEXT) | instid1(VALU_DEP_4)
	v_fma_f64 v[4:5], v[4:5], v[38:39], v[14:15]
	v_fma_f64 v[2:3], v[2:3], v[38:39], -v[16:17]
	s_delay_alu instid0(VALU_DEP_4) | instskip(NEXT) | instid1(VALU_DEP_4)
	v_add_f64 v[6:7], v[10:11], v[6:7]
	v_add_f64 v[8:9], v[12:13], v[8:9]
	s_delay_alu instid0(VALU_DEP_2) | instskip(NEXT) | instid1(VALU_DEP_2)
	v_add_f64 v[2:3], v[6:7], v[2:3]
	v_add_f64 v[4:5], v[8:9], v[4:5]
	s_delay_alu instid0(VALU_DEP_2) | instskip(NEXT) | instid1(VALU_DEP_2)
	v_add_f64 v[2:3], v[42:43], -v[2:3]
	v_add_f64 v[4:5], v[44:45], -v[4:5]
	scratch_store_b128 off, v[2:5], off offset:240
	v_cmpx_lt_u32_e32 14, v140
	s_cbranch_execz .LBB46_267
; %bb.266:
	scratch_load_b128 v[5:8], v173, off
	v_mov_b32_e32 v2, v1
	v_mov_b32_e32 v3, v1
	;; [unrolled: 1-line block ×3, first 2 shown]
	scratch_store_b128 off, v[1:4], off offset:224
	s_waitcnt vmcnt(0)
	ds_store_b128 v187, v[5:8]
.LBB46_267:
	s_or_b32 exec_lo, exec_lo, s2
	s_waitcnt lgkmcnt(0)
	s_waitcnt_vscnt null, 0x0
	s_barrier
	buffer_gl0_inv
	s_clause 0x8
	scratch_load_b128 v[2:5], off, off offset:240
	scratch_load_b128 v[6:9], off, off offset:256
	;; [unrolled: 1-line block ×9, first 2 shown]
	ds_load_b128 v[42:45], v1 offset:992
	ds_load_b128 v[38:41], v1 offset:1008
	s_clause 0x1
	scratch_load_b128 v[188:191], off, off offset:224
	scratch_load_b128 v[192:195], off, off offset:384
	s_mov_b32 s2, exec_lo
	s_waitcnt vmcnt(10) lgkmcnt(1)
	v_mul_f64 v[196:197], v[44:45], v[4:5]
	v_mul_f64 v[4:5], v[42:43], v[4:5]
	s_waitcnt vmcnt(9) lgkmcnt(0)
	v_mul_f64 v[200:201], v[38:39], v[8:9]
	v_mul_f64 v[8:9], v[40:41], v[8:9]
	s_delay_alu instid0(VALU_DEP_4) | instskip(NEXT) | instid1(VALU_DEP_4)
	v_fma_f64 v[202:203], v[42:43], v[2:3], -v[196:197]
	v_fma_f64 v[204:205], v[44:45], v[2:3], v[4:5]
	ds_load_b128 v[2:5], v1 offset:1024
	ds_load_b128 v[196:199], v1 offset:1040
	scratch_load_b128 v[42:45], off, off offset:400
	v_fma_f64 v[40:41], v[40:41], v[6:7], v[200:201]
	v_fma_f64 v[38:39], v[38:39], v[6:7], -v[8:9]
	scratch_load_b128 v[6:9], off, off offset:416
	s_waitcnt vmcnt(10) lgkmcnt(1)
	v_mul_f64 v[206:207], v[2:3], v[12:13]
	v_mul_f64 v[12:13], v[4:5], v[12:13]
	v_add_f64 v[200:201], v[202:203], 0
	v_add_f64 v[202:203], v[204:205], 0
	s_waitcnt vmcnt(9) lgkmcnt(0)
	v_mul_f64 v[204:205], v[196:197], v[16:17]
	v_mul_f64 v[16:17], v[198:199], v[16:17]
	v_fma_f64 v[206:207], v[4:5], v[10:11], v[206:207]
	v_fma_f64 v[208:209], v[2:3], v[10:11], -v[12:13]
	ds_load_b128 v[2:5], v1 offset:1056
	scratch_load_b128 v[10:13], off, off offset:432
	v_add_f64 v[200:201], v[200:201], v[38:39]
	v_add_f64 v[202:203], v[202:203], v[40:41]
	ds_load_b128 v[38:41], v1 offset:1072
	v_fma_f64 v[198:199], v[198:199], v[14:15], v[204:205]
	v_fma_f64 v[196:197], v[196:197], v[14:15], -v[16:17]
	scratch_load_b128 v[14:17], off, off offset:448
	s_waitcnt vmcnt(10) lgkmcnt(1)
	v_mul_f64 v[210:211], v[2:3], v[20:21]
	v_mul_f64 v[20:21], v[4:5], v[20:21]
	s_waitcnt vmcnt(9) lgkmcnt(0)
	v_mul_f64 v[204:205], v[38:39], v[24:25]
	v_mul_f64 v[24:25], v[40:41], v[24:25]
	v_add_f64 v[200:201], v[200:201], v[208:209]
	v_add_f64 v[202:203], v[202:203], v[206:207]
	v_fma_f64 v[206:207], v[4:5], v[18:19], v[210:211]
	v_fma_f64 v[208:209], v[2:3], v[18:19], -v[20:21]
	ds_load_b128 v[2:5], v1 offset:1088
	scratch_load_b128 v[18:21], off, off offset:464
	v_fma_f64 v[40:41], v[40:41], v[22:23], v[204:205]
	v_fma_f64 v[38:39], v[38:39], v[22:23], -v[24:25]
	scratch_load_b128 v[22:25], off, off offset:480
	v_add_f64 v[200:201], v[200:201], v[196:197]
	v_add_f64 v[202:203], v[202:203], v[198:199]
	ds_load_b128 v[196:199], v1 offset:1104
	s_waitcnt vmcnt(10) lgkmcnt(1)
	v_mul_f64 v[210:211], v[2:3], v[28:29]
	v_mul_f64 v[28:29], v[4:5], v[28:29]
	s_waitcnt vmcnt(9) lgkmcnt(0)
	v_mul_f64 v[204:205], v[196:197], v[32:33]
	v_mul_f64 v[32:33], v[198:199], v[32:33]
	v_add_f64 v[200:201], v[200:201], v[208:209]
	v_add_f64 v[202:203], v[202:203], v[206:207]
	v_fma_f64 v[206:207], v[4:5], v[26:27], v[210:211]
	v_fma_f64 v[208:209], v[2:3], v[26:27], -v[28:29]
	ds_load_b128 v[2:5], v1 offset:1120
	scratch_load_b128 v[26:29], off, off offset:496
	v_fma_f64 v[198:199], v[198:199], v[30:31], v[204:205]
	v_fma_f64 v[196:197], v[196:197], v[30:31], -v[32:33]
	scratch_load_b128 v[30:33], off, off offset:512
	v_add_f64 v[200:201], v[200:201], v[38:39]
	v_add_f64 v[202:203], v[202:203], v[40:41]
	ds_load_b128 v[38:41], v1 offset:1136
	s_waitcnt vmcnt(10) lgkmcnt(1)
	v_mul_f64 v[210:211], v[2:3], v[36:37]
	v_mul_f64 v[36:37], v[4:5], v[36:37]
	s_waitcnt vmcnt(8) lgkmcnt(0)
	v_mul_f64 v[204:205], v[38:39], v[194:195]
	v_add_f64 v[200:201], v[200:201], v[208:209]
	v_add_f64 v[202:203], v[202:203], v[206:207]
	v_mul_f64 v[206:207], v[40:41], v[194:195]
	v_fma_f64 v[208:209], v[4:5], v[34:35], v[210:211]
	v_fma_f64 v[210:211], v[2:3], v[34:35], -v[36:37]
	ds_load_b128 v[2:5], v1 offset:1152
	scratch_load_b128 v[34:37], off, off offset:528
	v_fma_f64 v[204:205], v[40:41], v[192:193], v[204:205]
	v_add_f64 v[200:201], v[200:201], v[196:197]
	v_add_f64 v[198:199], v[202:203], v[198:199]
	ds_load_b128 v[194:197], v1 offset:1168
	v_fma_f64 v[192:193], v[38:39], v[192:193], -v[206:207]
	scratch_load_b128 v[38:41], off, off offset:544
	s_waitcnt vmcnt(9) lgkmcnt(1)
	v_mul_f64 v[202:203], v[2:3], v[44:45]
	v_mul_f64 v[44:45], v[4:5], v[44:45]
	s_waitcnt vmcnt(8) lgkmcnt(0)
	v_mul_f64 v[206:207], v[194:195], v[8:9]
	v_mul_f64 v[8:9], v[196:197], v[8:9]
	v_add_f64 v[200:201], v[200:201], v[210:211]
	v_add_f64 v[198:199], v[198:199], v[208:209]
	v_fma_f64 v[202:203], v[4:5], v[42:43], v[202:203]
	v_fma_f64 v[208:209], v[2:3], v[42:43], -v[44:45]
	ds_load_b128 v[2:5], v1 offset:1184
	scratch_load_b128 v[42:45], off, off offset:560
	v_fma_f64 v[196:197], v[196:197], v[6:7], v[206:207]
	v_fma_f64 v[194:195], v[194:195], v[6:7], -v[8:9]
	scratch_load_b128 v[6:9], off, off offset:576
	v_add_f64 v[192:193], v[200:201], v[192:193]
	v_add_f64 v[204:205], v[198:199], v[204:205]
	ds_load_b128 v[198:201], v1 offset:1200
	s_waitcnt vmcnt(9) lgkmcnt(1)
	v_mul_f64 v[210:211], v[2:3], v[12:13]
	v_mul_f64 v[12:13], v[4:5], v[12:13]
	v_add_f64 v[192:193], v[192:193], v[208:209]
	v_add_f64 v[202:203], v[204:205], v[202:203]
	s_waitcnt vmcnt(8) lgkmcnt(0)
	v_mul_f64 v[204:205], v[198:199], v[16:17]
	v_mul_f64 v[16:17], v[200:201], v[16:17]
	v_fma_f64 v[206:207], v[4:5], v[10:11], v[210:211]
	v_fma_f64 v[208:209], v[2:3], v[10:11], -v[12:13]
	ds_load_b128 v[2:5], v1 offset:1216
	scratch_load_b128 v[10:13], off, off offset:592
	v_add_f64 v[210:211], v[192:193], v[194:195]
	v_add_f64 v[196:197], v[202:203], v[196:197]
	ds_load_b128 v[192:195], v1 offset:1232
	s_waitcnt vmcnt(8) lgkmcnt(1)
	v_mul_f64 v[202:203], v[2:3], v[20:21]
	v_mul_f64 v[20:21], v[4:5], v[20:21]
	v_fma_f64 v[200:201], v[200:201], v[14:15], v[204:205]
	v_fma_f64 v[198:199], v[198:199], v[14:15], -v[16:17]
	scratch_load_b128 v[14:17], off, off offset:608
	v_add_f64 v[204:205], v[210:211], v[208:209]
	v_add_f64 v[196:197], v[196:197], v[206:207]
	s_waitcnt vmcnt(8) lgkmcnt(0)
	v_mul_f64 v[206:207], v[192:193], v[24:25]
	v_mul_f64 v[24:25], v[194:195], v[24:25]
	v_fma_f64 v[202:203], v[4:5], v[18:19], v[202:203]
	v_fma_f64 v[208:209], v[2:3], v[18:19], -v[20:21]
	ds_load_b128 v[2:5], v1 offset:1248
	scratch_load_b128 v[18:21], off, off offset:624
	v_add_f64 v[204:205], v[204:205], v[198:199]
	v_add_f64 v[200:201], v[196:197], v[200:201]
	ds_load_b128 v[196:199], v1 offset:1264
	s_waitcnt vmcnt(8) lgkmcnt(1)
	v_mul_f64 v[210:211], v[2:3], v[28:29]
	v_mul_f64 v[28:29], v[4:5], v[28:29]
	v_fma_f64 v[194:195], v[194:195], v[22:23], v[206:207]
	v_fma_f64 v[192:193], v[192:193], v[22:23], -v[24:25]
	scratch_load_b128 v[22:25], off, off offset:640
	;; [unrolled: 18-line block ×4, first 2 shown]
	s_waitcnt vmcnt(8) lgkmcnt(0)
	v_mul_f64 v[204:205], v[196:197], v[8:9]
	v_mul_f64 v[8:9], v[198:199], v[8:9]
	v_add_f64 v[202:203], v[202:203], v[208:209]
	v_add_f64 v[200:201], v[200:201], v[206:207]
	v_fma_f64 v[206:207], v[4:5], v[42:43], v[210:211]
	v_fma_f64 v[208:209], v[2:3], v[42:43], -v[44:45]
	ds_load_b128 v[2:5], v1 offset:1344
	scratch_load_b128 v[42:45], off, off offset:720
	v_fma_f64 v[198:199], v[198:199], v[6:7], v[204:205]
	v_fma_f64 v[196:197], v[196:197], v[6:7], -v[8:9]
	scratch_load_b128 v[6:9], off, off offset:736
	v_add_f64 v[202:203], v[202:203], v[192:193]
	v_add_f64 v[200:201], v[200:201], v[194:195]
	ds_load_b128 v[192:195], v1 offset:1360
	s_waitcnt vmcnt(9) lgkmcnt(1)
	v_mul_f64 v[210:211], v[2:3], v[12:13]
	v_mul_f64 v[12:13], v[4:5], v[12:13]
	s_waitcnt vmcnt(8) lgkmcnt(0)
	v_mul_f64 v[204:205], v[192:193], v[16:17]
	v_mul_f64 v[16:17], v[194:195], v[16:17]
	v_add_f64 v[202:203], v[202:203], v[208:209]
	v_add_f64 v[200:201], v[200:201], v[206:207]
	v_fma_f64 v[206:207], v[4:5], v[10:11], v[210:211]
	v_fma_f64 v[208:209], v[2:3], v[10:11], -v[12:13]
	ds_load_b128 v[2:5], v1 offset:1376
	ds_load_b128 v[10:13], v1 offset:1392
	v_fma_f64 v[194:195], v[194:195], v[14:15], v[204:205]
	v_fma_f64 v[14:15], v[192:193], v[14:15], -v[16:17]
	v_add_f64 v[196:197], v[202:203], v[196:197]
	v_add_f64 v[198:199], v[200:201], v[198:199]
	s_waitcnt vmcnt(7) lgkmcnt(1)
	v_mul_f64 v[200:201], v[2:3], v[20:21]
	v_mul_f64 v[20:21], v[4:5], v[20:21]
	s_delay_alu instid0(VALU_DEP_4) | instskip(NEXT) | instid1(VALU_DEP_4)
	v_add_f64 v[16:17], v[196:197], v[208:209]
	v_add_f64 v[192:193], v[198:199], v[206:207]
	s_waitcnt vmcnt(6) lgkmcnt(0)
	v_mul_f64 v[196:197], v[10:11], v[24:25]
	v_mul_f64 v[24:25], v[12:13], v[24:25]
	v_fma_f64 v[198:199], v[4:5], v[18:19], v[200:201]
	v_fma_f64 v[18:19], v[2:3], v[18:19], -v[20:21]
	v_add_f64 v[20:21], v[16:17], v[14:15]
	v_add_f64 v[192:193], v[192:193], v[194:195]
	ds_load_b128 v[2:5], v1 offset:1408
	ds_load_b128 v[14:17], v1 offset:1424
	v_fma_f64 v[12:13], v[12:13], v[22:23], v[196:197]
	v_fma_f64 v[10:11], v[10:11], v[22:23], -v[24:25]
	s_waitcnt vmcnt(5) lgkmcnt(1)
	v_mul_f64 v[194:195], v[2:3], v[28:29]
	v_mul_f64 v[28:29], v[4:5], v[28:29]
	s_waitcnt vmcnt(4) lgkmcnt(0)
	v_mul_f64 v[22:23], v[14:15], v[32:33]
	v_mul_f64 v[24:25], v[16:17], v[32:33]
	v_add_f64 v[18:19], v[20:21], v[18:19]
	v_add_f64 v[20:21], v[192:193], v[198:199]
	v_fma_f64 v[32:33], v[4:5], v[26:27], v[194:195]
	v_fma_f64 v[26:27], v[2:3], v[26:27], -v[28:29]
	v_fma_f64 v[16:17], v[16:17], v[30:31], v[22:23]
	v_fma_f64 v[14:15], v[14:15], v[30:31], -v[24:25]
	v_add_f64 v[18:19], v[18:19], v[10:11]
	v_add_f64 v[20:21], v[20:21], v[12:13]
	ds_load_b128 v[2:5], v1 offset:1440
	ds_load_b128 v[10:13], v1 offset:1456
	s_waitcnt vmcnt(3) lgkmcnt(1)
	v_mul_f64 v[28:29], v[2:3], v[36:37]
	v_mul_f64 v[36:37], v[4:5], v[36:37]
	s_waitcnt vmcnt(2) lgkmcnt(0)
	v_mul_f64 v[22:23], v[10:11], v[40:41]
	v_mul_f64 v[24:25], v[12:13], v[40:41]
	v_add_f64 v[18:19], v[18:19], v[26:27]
	v_add_f64 v[20:21], v[20:21], v[32:33]
	v_fma_f64 v[26:27], v[4:5], v[34:35], v[28:29]
	v_fma_f64 v[28:29], v[2:3], v[34:35], -v[36:37]
	v_fma_f64 v[12:13], v[12:13], v[38:39], v[22:23]
	v_fma_f64 v[10:11], v[10:11], v[38:39], -v[24:25]
	v_add_f64 v[18:19], v[18:19], v[14:15]
	v_add_f64 v[20:21], v[20:21], v[16:17]
	ds_load_b128 v[2:5], v1 offset:1472
	ds_load_b128 v[14:17], v1 offset:1488
	s_waitcnt vmcnt(1) lgkmcnt(1)
	v_mul_f64 v[30:31], v[2:3], v[44:45]
	v_mul_f64 v[32:33], v[4:5], v[44:45]
	s_waitcnt vmcnt(0) lgkmcnt(0)
	v_mul_f64 v[22:23], v[14:15], v[8:9]
	v_mul_f64 v[8:9], v[16:17], v[8:9]
	v_add_f64 v[18:19], v[18:19], v[28:29]
	v_add_f64 v[20:21], v[20:21], v[26:27]
	v_fma_f64 v[4:5], v[4:5], v[42:43], v[30:31]
	v_fma_f64 v[1:2], v[2:3], v[42:43], -v[32:33]
	v_fma_f64 v[16:17], v[16:17], v[6:7], v[22:23]
	v_fma_f64 v[6:7], v[14:15], v[6:7], -v[8:9]
	v_add_f64 v[10:11], v[18:19], v[10:11]
	v_add_f64 v[12:13], v[20:21], v[12:13]
	s_delay_alu instid0(VALU_DEP_2) | instskip(NEXT) | instid1(VALU_DEP_2)
	v_add_f64 v[1:2], v[10:11], v[1:2]
	v_add_f64 v[3:4], v[12:13], v[4:5]
	s_delay_alu instid0(VALU_DEP_2) | instskip(NEXT) | instid1(VALU_DEP_2)
	;; [unrolled: 3-line block ×3, first 2 shown]
	v_add_f64 v[1:2], v[188:189], -v[1:2]
	v_add_f64 v[3:4], v[190:191], -v[3:4]
	scratch_store_b128 off, v[1:4], off offset:224
	v_cmpx_lt_u32_e32 13, v140
	s_cbranch_execz .LBB46_269
; %bb.268:
	scratch_load_b128 v[1:4], v174, off
	v_mov_b32_e32 v5, 0
	s_delay_alu instid0(VALU_DEP_1)
	v_mov_b32_e32 v6, v5
	v_mov_b32_e32 v7, v5
	;; [unrolled: 1-line block ×3, first 2 shown]
	scratch_store_b128 off, v[5:8], off offset:208
	s_waitcnt vmcnt(0)
	ds_store_b128 v187, v[1:4]
.LBB46_269:
	s_or_b32 exec_lo, exec_lo, s2
	s_waitcnt lgkmcnt(0)
	s_waitcnt_vscnt null, 0x0
	s_barrier
	buffer_gl0_inv
	s_clause 0x7
	scratch_load_b128 v[2:5], off, off offset:224
	scratch_load_b128 v[6:9], off, off offset:240
	;; [unrolled: 1-line block ×8, first 2 shown]
	v_mov_b32_e32 v1, 0
	s_mov_b32 s2, exec_lo
	ds_load_b128 v[38:41], v1 offset:976
	s_clause 0x1
	scratch_load_b128 v[34:37], off, off offset:352
	scratch_load_b128 v[42:45], off, off offset:208
	ds_load_b128 v[188:191], v1 offset:992
	scratch_load_b128 v[192:195], off, off offset:368
	s_waitcnt vmcnt(10) lgkmcnt(1)
	v_mul_f64 v[196:197], v[40:41], v[4:5]
	v_mul_f64 v[4:5], v[38:39], v[4:5]
	s_delay_alu instid0(VALU_DEP_2) | instskip(NEXT) | instid1(VALU_DEP_2)
	v_fma_f64 v[202:203], v[38:39], v[2:3], -v[196:197]
	v_fma_f64 v[204:205], v[40:41], v[2:3], v[4:5]
	scratch_load_b128 v[38:41], off, off offset:384
	ds_load_b128 v[2:5], v1 offset:1008
	s_waitcnt vmcnt(10) lgkmcnt(1)
	v_mul_f64 v[200:201], v[188:189], v[8:9]
	v_mul_f64 v[8:9], v[190:191], v[8:9]
	ds_load_b128 v[196:199], v1 offset:1024
	s_waitcnt vmcnt(9) lgkmcnt(1)
	v_mul_f64 v[206:207], v[2:3], v[12:13]
	v_mul_f64 v[12:13], v[4:5], v[12:13]
	v_fma_f64 v[190:191], v[190:191], v[6:7], v[200:201]
	v_fma_f64 v[188:189], v[188:189], v[6:7], -v[8:9]
	v_add_f64 v[200:201], v[202:203], 0
	v_add_f64 v[202:203], v[204:205], 0
	scratch_load_b128 v[6:9], off, off offset:400
	v_fma_f64 v[206:207], v[4:5], v[10:11], v[206:207]
	v_fma_f64 v[208:209], v[2:3], v[10:11], -v[12:13]
	scratch_load_b128 v[10:13], off, off offset:416
	ds_load_b128 v[2:5], v1 offset:1040
	s_waitcnt vmcnt(10) lgkmcnt(1)
	v_mul_f64 v[204:205], v[196:197], v[16:17]
	v_mul_f64 v[16:17], v[198:199], v[16:17]
	v_add_f64 v[200:201], v[200:201], v[188:189]
	v_add_f64 v[202:203], v[202:203], v[190:191]
	s_waitcnt vmcnt(9) lgkmcnt(0)
	v_mul_f64 v[210:211], v[2:3], v[20:21]
	v_mul_f64 v[20:21], v[4:5], v[20:21]
	ds_load_b128 v[188:191], v1 offset:1056
	v_fma_f64 v[198:199], v[198:199], v[14:15], v[204:205]
	v_fma_f64 v[196:197], v[196:197], v[14:15], -v[16:17]
	scratch_load_b128 v[14:17], off, off offset:432
	v_add_f64 v[200:201], v[200:201], v[208:209]
	v_add_f64 v[202:203], v[202:203], v[206:207]
	v_fma_f64 v[206:207], v[4:5], v[18:19], v[210:211]
	v_fma_f64 v[208:209], v[2:3], v[18:19], -v[20:21]
	scratch_load_b128 v[18:21], off, off offset:448
	ds_load_b128 v[2:5], v1 offset:1072
	s_waitcnt vmcnt(10) lgkmcnt(1)
	v_mul_f64 v[204:205], v[188:189], v[24:25]
	v_mul_f64 v[24:25], v[190:191], v[24:25]
	s_waitcnt vmcnt(9) lgkmcnt(0)
	v_mul_f64 v[210:211], v[2:3], v[28:29]
	v_mul_f64 v[28:29], v[4:5], v[28:29]
	v_add_f64 v[200:201], v[200:201], v[196:197]
	v_add_f64 v[202:203], v[202:203], v[198:199]
	ds_load_b128 v[196:199], v1 offset:1088
	v_fma_f64 v[190:191], v[190:191], v[22:23], v[204:205]
	v_fma_f64 v[188:189], v[188:189], v[22:23], -v[24:25]
	scratch_load_b128 v[22:25], off, off offset:464
	v_add_f64 v[200:201], v[200:201], v[208:209]
	v_add_f64 v[202:203], v[202:203], v[206:207]
	v_fma_f64 v[206:207], v[4:5], v[26:27], v[210:211]
	v_fma_f64 v[208:209], v[2:3], v[26:27], -v[28:29]
	scratch_load_b128 v[26:29], off, off offset:480
	ds_load_b128 v[2:5], v1 offset:1104
	s_waitcnt vmcnt(10) lgkmcnt(1)
	v_mul_f64 v[204:205], v[196:197], v[32:33]
	v_mul_f64 v[32:33], v[198:199], v[32:33]
	s_waitcnt vmcnt(9) lgkmcnt(0)
	v_mul_f64 v[210:211], v[2:3], v[36:37]
	v_mul_f64 v[36:37], v[4:5], v[36:37]
	v_add_f64 v[200:201], v[200:201], v[188:189]
	v_add_f64 v[202:203], v[202:203], v[190:191]
	ds_load_b128 v[188:191], v1 offset:1120
	v_fma_f64 v[198:199], v[198:199], v[30:31], v[204:205]
	v_fma_f64 v[196:197], v[196:197], v[30:31], -v[32:33]
	scratch_load_b128 v[30:33], off, off offset:496
	v_add_f64 v[200:201], v[200:201], v[208:209]
	v_add_f64 v[202:203], v[202:203], v[206:207]
	v_fma_f64 v[208:209], v[4:5], v[34:35], v[210:211]
	v_fma_f64 v[210:211], v[2:3], v[34:35], -v[36:37]
	scratch_load_b128 v[34:37], off, off offset:512
	ds_load_b128 v[2:5], v1 offset:1136
	s_waitcnt vmcnt(9) lgkmcnt(1)
	v_mul_f64 v[204:205], v[188:189], v[194:195]
	v_mul_f64 v[206:207], v[190:191], v[194:195]
	v_add_f64 v[200:201], v[200:201], v[196:197]
	v_add_f64 v[198:199], v[202:203], v[198:199]
	ds_load_b128 v[194:197], v1 offset:1152
	v_fma_f64 v[204:205], v[190:191], v[192:193], v[204:205]
	v_fma_f64 v[192:193], v[188:189], v[192:193], -v[206:207]
	scratch_load_b128 v[188:191], off, off offset:528
	s_waitcnt vmcnt(9) lgkmcnt(1)
	v_mul_f64 v[202:203], v[2:3], v[40:41]
	v_mul_f64 v[40:41], v[4:5], v[40:41]
	v_add_f64 v[200:201], v[200:201], v[210:211]
	v_add_f64 v[198:199], v[198:199], v[208:209]
	s_delay_alu instid0(VALU_DEP_4) | instskip(NEXT) | instid1(VALU_DEP_4)
	v_fma_f64 v[202:203], v[4:5], v[38:39], v[202:203]
	v_fma_f64 v[208:209], v[2:3], v[38:39], -v[40:41]
	scratch_load_b128 v[38:41], off, off offset:544
	ds_load_b128 v[2:5], v1 offset:1168
	s_waitcnt vmcnt(9) lgkmcnt(1)
	v_mul_f64 v[206:207], v[194:195], v[8:9]
	v_mul_f64 v[8:9], v[196:197], v[8:9]
	s_waitcnt vmcnt(8) lgkmcnt(0)
	v_mul_f64 v[210:211], v[2:3], v[12:13]
	v_mul_f64 v[12:13], v[4:5], v[12:13]
	v_add_f64 v[192:193], v[200:201], v[192:193]
	v_add_f64 v[204:205], v[198:199], v[204:205]
	ds_load_b128 v[198:201], v1 offset:1184
	v_fma_f64 v[196:197], v[196:197], v[6:7], v[206:207]
	v_fma_f64 v[194:195], v[194:195], v[6:7], -v[8:9]
	scratch_load_b128 v[6:9], off, off offset:560
	v_fma_f64 v[206:207], v[4:5], v[10:11], v[210:211]
	v_add_f64 v[192:193], v[192:193], v[208:209]
	v_add_f64 v[202:203], v[204:205], v[202:203]
	v_fma_f64 v[208:209], v[2:3], v[10:11], -v[12:13]
	scratch_load_b128 v[10:13], off, off offset:576
	ds_load_b128 v[2:5], v1 offset:1200
	s_waitcnt vmcnt(9) lgkmcnt(1)
	v_mul_f64 v[204:205], v[198:199], v[16:17]
	v_mul_f64 v[16:17], v[200:201], v[16:17]
	v_add_f64 v[210:211], v[192:193], v[194:195]
	v_add_f64 v[196:197], v[202:203], v[196:197]
	s_waitcnt vmcnt(8) lgkmcnt(0)
	v_mul_f64 v[202:203], v[2:3], v[20:21]
	v_mul_f64 v[20:21], v[4:5], v[20:21]
	ds_load_b128 v[192:195], v1 offset:1216
	v_fma_f64 v[200:201], v[200:201], v[14:15], v[204:205]
	v_fma_f64 v[198:199], v[198:199], v[14:15], -v[16:17]
	scratch_load_b128 v[14:17], off, off offset:592
	v_add_f64 v[204:205], v[210:211], v[208:209]
	v_add_f64 v[196:197], v[196:197], v[206:207]
	v_fma_f64 v[202:203], v[4:5], v[18:19], v[202:203]
	v_fma_f64 v[208:209], v[2:3], v[18:19], -v[20:21]
	scratch_load_b128 v[18:21], off, off offset:608
	ds_load_b128 v[2:5], v1 offset:1232
	s_waitcnt vmcnt(9) lgkmcnt(1)
	v_mul_f64 v[206:207], v[192:193], v[24:25]
	v_mul_f64 v[24:25], v[194:195], v[24:25]
	s_waitcnt vmcnt(8) lgkmcnt(0)
	v_mul_f64 v[210:211], v[2:3], v[28:29]
	v_mul_f64 v[28:29], v[4:5], v[28:29]
	v_add_f64 v[204:205], v[204:205], v[198:199]
	v_add_f64 v[200:201], v[196:197], v[200:201]
	ds_load_b128 v[196:199], v1 offset:1248
	v_fma_f64 v[194:195], v[194:195], v[22:23], v[206:207]
	v_fma_f64 v[192:193], v[192:193], v[22:23], -v[24:25]
	scratch_load_b128 v[22:25], off, off offset:624
	v_fma_f64 v[206:207], v[4:5], v[26:27], v[210:211]
	v_add_f64 v[204:205], v[204:205], v[208:209]
	v_add_f64 v[200:201], v[200:201], v[202:203]
	v_fma_f64 v[208:209], v[2:3], v[26:27], -v[28:29]
	scratch_load_b128 v[26:29], off, off offset:640
	ds_load_b128 v[2:5], v1 offset:1264
	s_waitcnt vmcnt(9) lgkmcnt(1)
	v_mul_f64 v[202:203], v[196:197], v[32:33]
	v_mul_f64 v[32:33], v[198:199], v[32:33]
	s_waitcnt vmcnt(8) lgkmcnt(0)
	v_mul_f64 v[210:211], v[2:3], v[36:37]
	v_mul_f64 v[36:37], v[4:5], v[36:37]
	v_add_f64 v[204:205], v[204:205], v[192:193]
	v_add_f64 v[200:201], v[200:201], v[194:195]
	ds_load_b128 v[192:195], v1 offset:1280
	v_fma_f64 v[198:199], v[198:199], v[30:31], v[202:203]
	v_fma_f64 v[196:197], v[196:197], v[30:31], -v[32:33]
	scratch_load_b128 v[30:33], off, off offset:656
	v_add_f64 v[202:203], v[204:205], v[208:209]
	v_add_f64 v[200:201], v[200:201], v[206:207]
	v_fma_f64 v[206:207], v[4:5], v[34:35], v[210:211]
	v_fma_f64 v[208:209], v[2:3], v[34:35], -v[36:37]
	scratch_load_b128 v[34:37], off, off offset:672
	ds_load_b128 v[2:5], v1 offset:1296
	s_waitcnt vmcnt(9) lgkmcnt(1)
	v_mul_f64 v[204:205], v[192:193], v[190:191]
	v_mul_f64 v[190:191], v[194:195], v[190:191]
	s_waitcnt vmcnt(8) lgkmcnt(0)
	v_mul_f64 v[210:211], v[2:3], v[40:41]
	v_mul_f64 v[40:41], v[4:5], v[40:41]
	v_add_f64 v[202:203], v[202:203], v[196:197]
	v_add_f64 v[200:201], v[200:201], v[198:199]
	ds_load_b128 v[196:199], v1 offset:1312
	v_fma_f64 v[194:195], v[194:195], v[188:189], v[204:205]
	v_fma_f64 v[192:193], v[192:193], v[188:189], -v[190:191]
	scratch_load_b128 v[188:191], off, off offset:688
	v_add_f64 v[202:203], v[202:203], v[208:209]
	v_add_f64 v[200:201], v[200:201], v[206:207]
	v_fma_f64 v[206:207], v[4:5], v[38:39], v[210:211]
	;; [unrolled: 18-line block ×3, first 2 shown]
	v_fma_f64 v[208:209], v[2:3], v[10:11], -v[12:13]
	scratch_load_b128 v[10:13], off, off offset:736
	ds_load_b128 v[2:5], v1 offset:1360
	s_waitcnt vmcnt(9) lgkmcnt(1)
	v_mul_f64 v[204:205], v[192:193], v[16:17]
	v_mul_f64 v[16:17], v[194:195], v[16:17]
	s_waitcnt vmcnt(8) lgkmcnt(0)
	v_mul_f64 v[210:211], v[2:3], v[20:21]
	v_mul_f64 v[20:21], v[4:5], v[20:21]
	v_add_f64 v[202:203], v[202:203], v[196:197]
	v_add_f64 v[200:201], v[200:201], v[198:199]
	ds_load_b128 v[196:199], v1 offset:1376
	v_fma_f64 v[194:195], v[194:195], v[14:15], v[204:205]
	v_fma_f64 v[14:15], v[192:193], v[14:15], -v[16:17]
	v_add_f64 v[16:17], v[202:203], v[208:209]
	v_add_f64 v[192:193], v[200:201], v[206:207]
	s_waitcnt vmcnt(7) lgkmcnt(0)
	v_mul_f64 v[200:201], v[196:197], v[24:25]
	v_mul_f64 v[24:25], v[198:199], v[24:25]
	v_fma_f64 v[202:203], v[4:5], v[18:19], v[210:211]
	v_fma_f64 v[18:19], v[2:3], v[18:19], -v[20:21]
	v_add_f64 v[20:21], v[16:17], v[14:15]
	v_add_f64 v[192:193], v[192:193], v[194:195]
	ds_load_b128 v[2:5], v1 offset:1392
	ds_load_b128 v[14:17], v1 offset:1408
	v_fma_f64 v[198:199], v[198:199], v[22:23], v[200:201]
	v_fma_f64 v[22:23], v[196:197], v[22:23], -v[24:25]
	s_waitcnt vmcnt(6) lgkmcnt(1)
	v_mul_f64 v[194:195], v[2:3], v[28:29]
	v_mul_f64 v[28:29], v[4:5], v[28:29]
	s_waitcnt vmcnt(5) lgkmcnt(0)
	v_mul_f64 v[24:25], v[14:15], v[32:33]
	v_mul_f64 v[32:33], v[16:17], v[32:33]
	v_add_f64 v[18:19], v[20:21], v[18:19]
	v_add_f64 v[20:21], v[192:193], v[202:203]
	v_fma_f64 v[192:193], v[4:5], v[26:27], v[194:195]
	v_fma_f64 v[26:27], v[2:3], v[26:27], -v[28:29]
	v_fma_f64 v[16:17], v[16:17], v[30:31], v[24:25]
	v_fma_f64 v[14:15], v[14:15], v[30:31], -v[32:33]
	v_add_f64 v[22:23], v[18:19], v[22:23]
	v_add_f64 v[28:29], v[20:21], v[198:199]
	ds_load_b128 v[2:5], v1 offset:1424
	ds_load_b128 v[18:21], v1 offset:1440
	s_waitcnt vmcnt(4) lgkmcnt(1)
	v_mul_f64 v[194:195], v[2:3], v[36:37]
	v_mul_f64 v[36:37], v[4:5], v[36:37]
	v_add_f64 v[22:23], v[22:23], v[26:27]
	v_add_f64 v[24:25], v[28:29], v[192:193]
	s_waitcnt vmcnt(3) lgkmcnt(0)
	v_mul_f64 v[26:27], v[18:19], v[190:191]
	v_mul_f64 v[28:29], v[20:21], v[190:191]
	v_fma_f64 v[30:31], v[4:5], v[34:35], v[194:195]
	v_fma_f64 v[32:33], v[2:3], v[34:35], -v[36:37]
	v_add_f64 v[22:23], v[22:23], v[14:15]
	v_add_f64 v[24:25], v[24:25], v[16:17]
	ds_load_b128 v[2:5], v1 offset:1456
	ds_load_b128 v[14:17], v1 offset:1472
	v_fma_f64 v[20:21], v[20:21], v[188:189], v[26:27]
	v_fma_f64 v[18:19], v[18:19], v[188:189], -v[28:29]
	s_waitcnt vmcnt(2) lgkmcnt(1)
	v_mul_f64 v[34:35], v[2:3], v[40:41]
	v_mul_f64 v[36:37], v[4:5], v[40:41]
	s_waitcnt vmcnt(1) lgkmcnt(0)
	v_mul_f64 v[26:27], v[14:15], v[8:9]
	v_mul_f64 v[8:9], v[16:17], v[8:9]
	v_add_f64 v[22:23], v[22:23], v[32:33]
	v_add_f64 v[24:25], v[24:25], v[30:31]
	v_fma_f64 v[28:29], v[4:5], v[38:39], v[34:35]
	v_fma_f64 v[30:31], v[2:3], v[38:39], -v[36:37]
	ds_load_b128 v[2:5], v1 offset:1488
	v_fma_f64 v[16:17], v[16:17], v[6:7], v[26:27]
	v_fma_f64 v[6:7], v[14:15], v[6:7], -v[8:9]
	v_add_f64 v[18:19], v[22:23], v[18:19]
	v_add_f64 v[20:21], v[24:25], v[20:21]
	s_waitcnt vmcnt(0) lgkmcnt(0)
	v_mul_f64 v[22:23], v[2:3], v[12:13]
	v_mul_f64 v[12:13], v[4:5], v[12:13]
	s_delay_alu instid0(VALU_DEP_4) | instskip(NEXT) | instid1(VALU_DEP_4)
	v_add_f64 v[8:9], v[18:19], v[30:31]
	v_add_f64 v[14:15], v[20:21], v[28:29]
	s_delay_alu instid0(VALU_DEP_4) | instskip(NEXT) | instid1(VALU_DEP_4)
	v_fma_f64 v[4:5], v[4:5], v[10:11], v[22:23]
	v_fma_f64 v[2:3], v[2:3], v[10:11], -v[12:13]
	s_delay_alu instid0(VALU_DEP_4) | instskip(NEXT) | instid1(VALU_DEP_4)
	v_add_f64 v[6:7], v[8:9], v[6:7]
	v_add_f64 v[8:9], v[14:15], v[16:17]
	s_delay_alu instid0(VALU_DEP_2) | instskip(NEXT) | instid1(VALU_DEP_2)
	v_add_f64 v[2:3], v[6:7], v[2:3]
	v_add_f64 v[4:5], v[8:9], v[4:5]
	s_delay_alu instid0(VALU_DEP_2) | instskip(NEXT) | instid1(VALU_DEP_2)
	v_add_f64 v[2:3], v[42:43], -v[2:3]
	v_add_f64 v[4:5], v[44:45], -v[4:5]
	scratch_store_b128 off, v[2:5], off offset:208
	v_cmpx_lt_u32_e32 12, v140
	s_cbranch_execz .LBB46_271
; %bb.270:
	scratch_load_b128 v[5:8], v175, off
	v_mov_b32_e32 v2, v1
	v_mov_b32_e32 v3, v1
	;; [unrolled: 1-line block ×3, first 2 shown]
	scratch_store_b128 off, v[1:4], off offset:192
	s_waitcnt vmcnt(0)
	ds_store_b128 v187, v[5:8]
.LBB46_271:
	s_or_b32 exec_lo, exec_lo, s2
	s_waitcnt lgkmcnt(0)
	s_waitcnt_vscnt null, 0x0
	s_barrier
	buffer_gl0_inv
	s_clause 0x8
	scratch_load_b128 v[2:5], off, off offset:208
	scratch_load_b128 v[6:9], off, off offset:224
	;; [unrolled: 1-line block ×9, first 2 shown]
	ds_load_b128 v[42:45], v1 offset:960
	ds_load_b128 v[38:41], v1 offset:976
	s_clause 0x1
	scratch_load_b128 v[188:191], off, off offset:192
	scratch_load_b128 v[192:195], off, off offset:352
	s_mov_b32 s2, exec_lo
	s_waitcnt vmcnt(10) lgkmcnt(1)
	v_mul_f64 v[196:197], v[44:45], v[4:5]
	v_mul_f64 v[4:5], v[42:43], v[4:5]
	s_waitcnt vmcnt(9) lgkmcnt(0)
	v_mul_f64 v[200:201], v[38:39], v[8:9]
	v_mul_f64 v[8:9], v[40:41], v[8:9]
	s_delay_alu instid0(VALU_DEP_4) | instskip(NEXT) | instid1(VALU_DEP_4)
	v_fma_f64 v[202:203], v[42:43], v[2:3], -v[196:197]
	v_fma_f64 v[204:205], v[44:45], v[2:3], v[4:5]
	ds_load_b128 v[2:5], v1 offset:992
	ds_load_b128 v[196:199], v1 offset:1008
	scratch_load_b128 v[42:45], off, off offset:368
	v_fma_f64 v[40:41], v[40:41], v[6:7], v[200:201]
	v_fma_f64 v[38:39], v[38:39], v[6:7], -v[8:9]
	scratch_load_b128 v[6:9], off, off offset:384
	s_waitcnt vmcnt(10) lgkmcnt(1)
	v_mul_f64 v[206:207], v[2:3], v[12:13]
	v_mul_f64 v[12:13], v[4:5], v[12:13]
	v_add_f64 v[200:201], v[202:203], 0
	v_add_f64 v[202:203], v[204:205], 0
	s_waitcnt vmcnt(9) lgkmcnt(0)
	v_mul_f64 v[204:205], v[196:197], v[16:17]
	v_mul_f64 v[16:17], v[198:199], v[16:17]
	v_fma_f64 v[206:207], v[4:5], v[10:11], v[206:207]
	v_fma_f64 v[208:209], v[2:3], v[10:11], -v[12:13]
	ds_load_b128 v[2:5], v1 offset:1024
	scratch_load_b128 v[10:13], off, off offset:400
	v_add_f64 v[200:201], v[200:201], v[38:39]
	v_add_f64 v[202:203], v[202:203], v[40:41]
	ds_load_b128 v[38:41], v1 offset:1040
	v_fma_f64 v[198:199], v[198:199], v[14:15], v[204:205]
	v_fma_f64 v[196:197], v[196:197], v[14:15], -v[16:17]
	scratch_load_b128 v[14:17], off, off offset:416
	s_waitcnt vmcnt(10) lgkmcnt(1)
	v_mul_f64 v[210:211], v[2:3], v[20:21]
	v_mul_f64 v[20:21], v[4:5], v[20:21]
	s_waitcnt vmcnt(9) lgkmcnt(0)
	v_mul_f64 v[204:205], v[38:39], v[24:25]
	v_mul_f64 v[24:25], v[40:41], v[24:25]
	v_add_f64 v[200:201], v[200:201], v[208:209]
	v_add_f64 v[202:203], v[202:203], v[206:207]
	v_fma_f64 v[206:207], v[4:5], v[18:19], v[210:211]
	v_fma_f64 v[208:209], v[2:3], v[18:19], -v[20:21]
	ds_load_b128 v[2:5], v1 offset:1056
	scratch_load_b128 v[18:21], off, off offset:432
	v_fma_f64 v[40:41], v[40:41], v[22:23], v[204:205]
	v_fma_f64 v[38:39], v[38:39], v[22:23], -v[24:25]
	scratch_load_b128 v[22:25], off, off offset:448
	v_add_f64 v[200:201], v[200:201], v[196:197]
	v_add_f64 v[202:203], v[202:203], v[198:199]
	ds_load_b128 v[196:199], v1 offset:1072
	s_waitcnt vmcnt(10) lgkmcnt(1)
	v_mul_f64 v[210:211], v[2:3], v[28:29]
	v_mul_f64 v[28:29], v[4:5], v[28:29]
	s_waitcnt vmcnt(9) lgkmcnt(0)
	v_mul_f64 v[204:205], v[196:197], v[32:33]
	v_mul_f64 v[32:33], v[198:199], v[32:33]
	v_add_f64 v[200:201], v[200:201], v[208:209]
	v_add_f64 v[202:203], v[202:203], v[206:207]
	v_fma_f64 v[206:207], v[4:5], v[26:27], v[210:211]
	v_fma_f64 v[208:209], v[2:3], v[26:27], -v[28:29]
	ds_load_b128 v[2:5], v1 offset:1088
	scratch_load_b128 v[26:29], off, off offset:464
	v_fma_f64 v[198:199], v[198:199], v[30:31], v[204:205]
	v_fma_f64 v[196:197], v[196:197], v[30:31], -v[32:33]
	scratch_load_b128 v[30:33], off, off offset:480
	v_add_f64 v[200:201], v[200:201], v[38:39]
	v_add_f64 v[202:203], v[202:203], v[40:41]
	ds_load_b128 v[38:41], v1 offset:1104
	s_waitcnt vmcnt(10) lgkmcnt(1)
	v_mul_f64 v[210:211], v[2:3], v[36:37]
	v_mul_f64 v[36:37], v[4:5], v[36:37]
	s_waitcnt vmcnt(8) lgkmcnt(0)
	v_mul_f64 v[204:205], v[38:39], v[194:195]
	v_add_f64 v[200:201], v[200:201], v[208:209]
	v_add_f64 v[202:203], v[202:203], v[206:207]
	v_mul_f64 v[206:207], v[40:41], v[194:195]
	v_fma_f64 v[208:209], v[4:5], v[34:35], v[210:211]
	v_fma_f64 v[210:211], v[2:3], v[34:35], -v[36:37]
	ds_load_b128 v[2:5], v1 offset:1120
	scratch_load_b128 v[34:37], off, off offset:496
	v_fma_f64 v[204:205], v[40:41], v[192:193], v[204:205]
	v_add_f64 v[200:201], v[200:201], v[196:197]
	v_add_f64 v[198:199], v[202:203], v[198:199]
	ds_load_b128 v[194:197], v1 offset:1136
	v_fma_f64 v[192:193], v[38:39], v[192:193], -v[206:207]
	scratch_load_b128 v[38:41], off, off offset:512
	s_waitcnt vmcnt(9) lgkmcnt(1)
	v_mul_f64 v[202:203], v[2:3], v[44:45]
	v_mul_f64 v[44:45], v[4:5], v[44:45]
	s_waitcnt vmcnt(8) lgkmcnt(0)
	v_mul_f64 v[206:207], v[194:195], v[8:9]
	v_mul_f64 v[8:9], v[196:197], v[8:9]
	v_add_f64 v[200:201], v[200:201], v[210:211]
	v_add_f64 v[198:199], v[198:199], v[208:209]
	v_fma_f64 v[202:203], v[4:5], v[42:43], v[202:203]
	v_fma_f64 v[208:209], v[2:3], v[42:43], -v[44:45]
	ds_load_b128 v[2:5], v1 offset:1152
	scratch_load_b128 v[42:45], off, off offset:528
	v_fma_f64 v[196:197], v[196:197], v[6:7], v[206:207]
	v_fma_f64 v[194:195], v[194:195], v[6:7], -v[8:9]
	scratch_load_b128 v[6:9], off, off offset:544
	v_add_f64 v[192:193], v[200:201], v[192:193]
	v_add_f64 v[204:205], v[198:199], v[204:205]
	ds_load_b128 v[198:201], v1 offset:1168
	s_waitcnt vmcnt(9) lgkmcnt(1)
	v_mul_f64 v[210:211], v[2:3], v[12:13]
	v_mul_f64 v[12:13], v[4:5], v[12:13]
	v_add_f64 v[192:193], v[192:193], v[208:209]
	v_add_f64 v[202:203], v[204:205], v[202:203]
	s_waitcnt vmcnt(8) lgkmcnt(0)
	v_mul_f64 v[204:205], v[198:199], v[16:17]
	v_mul_f64 v[16:17], v[200:201], v[16:17]
	v_fma_f64 v[206:207], v[4:5], v[10:11], v[210:211]
	v_fma_f64 v[208:209], v[2:3], v[10:11], -v[12:13]
	ds_load_b128 v[2:5], v1 offset:1184
	scratch_load_b128 v[10:13], off, off offset:560
	v_add_f64 v[210:211], v[192:193], v[194:195]
	v_add_f64 v[196:197], v[202:203], v[196:197]
	ds_load_b128 v[192:195], v1 offset:1200
	s_waitcnt vmcnt(8) lgkmcnt(1)
	v_mul_f64 v[202:203], v[2:3], v[20:21]
	v_mul_f64 v[20:21], v[4:5], v[20:21]
	v_fma_f64 v[200:201], v[200:201], v[14:15], v[204:205]
	v_fma_f64 v[198:199], v[198:199], v[14:15], -v[16:17]
	scratch_load_b128 v[14:17], off, off offset:576
	v_add_f64 v[204:205], v[210:211], v[208:209]
	v_add_f64 v[196:197], v[196:197], v[206:207]
	s_waitcnt vmcnt(8) lgkmcnt(0)
	v_mul_f64 v[206:207], v[192:193], v[24:25]
	v_mul_f64 v[24:25], v[194:195], v[24:25]
	v_fma_f64 v[202:203], v[4:5], v[18:19], v[202:203]
	v_fma_f64 v[208:209], v[2:3], v[18:19], -v[20:21]
	ds_load_b128 v[2:5], v1 offset:1216
	scratch_load_b128 v[18:21], off, off offset:592
	v_add_f64 v[204:205], v[204:205], v[198:199]
	v_add_f64 v[200:201], v[196:197], v[200:201]
	ds_load_b128 v[196:199], v1 offset:1232
	s_waitcnt vmcnt(8) lgkmcnt(1)
	v_mul_f64 v[210:211], v[2:3], v[28:29]
	v_mul_f64 v[28:29], v[4:5], v[28:29]
	v_fma_f64 v[194:195], v[194:195], v[22:23], v[206:207]
	v_fma_f64 v[192:193], v[192:193], v[22:23], -v[24:25]
	scratch_load_b128 v[22:25], off, off offset:608
	v_add_f64 v[204:205], v[204:205], v[208:209]
	v_add_f64 v[200:201], v[200:201], v[202:203]
	s_waitcnt vmcnt(8) lgkmcnt(0)
	v_mul_f64 v[202:203], v[196:197], v[32:33]
	v_mul_f64 v[32:33], v[198:199], v[32:33]
	v_fma_f64 v[206:207], v[4:5], v[26:27], v[210:211]
	v_fma_f64 v[208:209], v[2:3], v[26:27], -v[28:29]
	ds_load_b128 v[2:5], v1 offset:1248
	scratch_load_b128 v[26:29], off, off offset:624
	v_add_f64 v[204:205], v[204:205], v[192:193]
	v_add_f64 v[200:201], v[200:201], v[194:195]
	ds_load_b128 v[192:195], v1 offset:1264
	s_waitcnt vmcnt(8) lgkmcnt(1)
	v_mul_f64 v[210:211], v[2:3], v[36:37]
	v_mul_f64 v[36:37], v[4:5], v[36:37]
	v_fma_f64 v[198:199], v[198:199], v[30:31], v[202:203]
	v_fma_f64 v[196:197], v[196:197], v[30:31], -v[32:33]
	scratch_load_b128 v[30:33], off, off offset:640
	v_add_f64 v[202:203], v[204:205], v[208:209]
	v_add_f64 v[200:201], v[200:201], v[206:207]
	s_waitcnt vmcnt(8) lgkmcnt(0)
	v_mul_f64 v[204:205], v[192:193], v[40:41]
	v_mul_f64 v[40:41], v[194:195], v[40:41]
	v_fma_f64 v[206:207], v[4:5], v[34:35], v[210:211]
	v_fma_f64 v[208:209], v[2:3], v[34:35], -v[36:37]
	ds_load_b128 v[2:5], v1 offset:1280
	scratch_load_b128 v[34:37], off, off offset:656
	v_add_f64 v[202:203], v[202:203], v[196:197]
	v_add_f64 v[200:201], v[200:201], v[198:199]
	ds_load_b128 v[196:199], v1 offset:1296
	s_waitcnt vmcnt(8) lgkmcnt(1)
	v_mul_f64 v[210:211], v[2:3], v[44:45]
	v_mul_f64 v[44:45], v[4:5], v[44:45]
	v_fma_f64 v[194:195], v[194:195], v[38:39], v[204:205]
	v_fma_f64 v[192:193], v[192:193], v[38:39], -v[40:41]
	scratch_load_b128 v[38:41], off, off offset:672
	s_waitcnt vmcnt(8) lgkmcnt(0)
	v_mul_f64 v[204:205], v[196:197], v[8:9]
	v_mul_f64 v[8:9], v[198:199], v[8:9]
	v_add_f64 v[202:203], v[202:203], v[208:209]
	v_add_f64 v[200:201], v[200:201], v[206:207]
	v_fma_f64 v[206:207], v[4:5], v[42:43], v[210:211]
	v_fma_f64 v[208:209], v[2:3], v[42:43], -v[44:45]
	ds_load_b128 v[2:5], v1 offset:1312
	scratch_load_b128 v[42:45], off, off offset:688
	v_fma_f64 v[198:199], v[198:199], v[6:7], v[204:205]
	v_fma_f64 v[196:197], v[196:197], v[6:7], -v[8:9]
	scratch_load_b128 v[6:9], off, off offset:704
	v_add_f64 v[202:203], v[202:203], v[192:193]
	v_add_f64 v[200:201], v[200:201], v[194:195]
	ds_load_b128 v[192:195], v1 offset:1328
	s_waitcnt vmcnt(9) lgkmcnt(1)
	v_mul_f64 v[210:211], v[2:3], v[12:13]
	v_mul_f64 v[12:13], v[4:5], v[12:13]
	s_waitcnt vmcnt(8) lgkmcnt(0)
	v_mul_f64 v[204:205], v[192:193], v[16:17]
	v_mul_f64 v[16:17], v[194:195], v[16:17]
	v_add_f64 v[202:203], v[202:203], v[208:209]
	v_add_f64 v[200:201], v[200:201], v[206:207]
	v_fma_f64 v[206:207], v[4:5], v[10:11], v[210:211]
	v_fma_f64 v[208:209], v[2:3], v[10:11], -v[12:13]
	ds_load_b128 v[2:5], v1 offset:1344
	scratch_load_b128 v[10:13], off, off offset:720
	v_fma_f64 v[194:195], v[194:195], v[14:15], v[204:205]
	v_fma_f64 v[192:193], v[192:193], v[14:15], -v[16:17]
	scratch_load_b128 v[14:17], off, off offset:736
	v_add_f64 v[202:203], v[202:203], v[196:197]
	v_add_f64 v[200:201], v[200:201], v[198:199]
	ds_load_b128 v[196:199], v1 offset:1360
	s_waitcnt vmcnt(9) lgkmcnt(1)
	v_mul_f64 v[210:211], v[2:3], v[20:21]
	v_mul_f64 v[20:21], v[4:5], v[20:21]
	s_waitcnt vmcnt(8) lgkmcnt(0)
	v_mul_f64 v[204:205], v[196:197], v[24:25]
	v_mul_f64 v[24:25], v[198:199], v[24:25]
	v_add_f64 v[202:203], v[202:203], v[208:209]
	v_add_f64 v[200:201], v[200:201], v[206:207]
	v_fma_f64 v[206:207], v[4:5], v[18:19], v[210:211]
	v_fma_f64 v[208:209], v[2:3], v[18:19], -v[20:21]
	ds_load_b128 v[2:5], v1 offset:1376
	ds_load_b128 v[18:21], v1 offset:1392
	v_fma_f64 v[198:199], v[198:199], v[22:23], v[204:205]
	v_fma_f64 v[22:23], v[196:197], v[22:23], -v[24:25]
	v_add_f64 v[192:193], v[202:203], v[192:193]
	v_add_f64 v[194:195], v[200:201], v[194:195]
	s_waitcnt vmcnt(7) lgkmcnt(1)
	v_mul_f64 v[200:201], v[2:3], v[28:29]
	v_mul_f64 v[28:29], v[4:5], v[28:29]
	s_delay_alu instid0(VALU_DEP_4) | instskip(NEXT) | instid1(VALU_DEP_4)
	v_add_f64 v[24:25], v[192:193], v[208:209]
	v_add_f64 v[192:193], v[194:195], v[206:207]
	s_waitcnt vmcnt(6) lgkmcnt(0)
	v_mul_f64 v[194:195], v[18:19], v[32:33]
	v_mul_f64 v[32:33], v[20:21], v[32:33]
	v_fma_f64 v[196:197], v[4:5], v[26:27], v[200:201]
	v_fma_f64 v[26:27], v[2:3], v[26:27], -v[28:29]
	v_add_f64 v[28:29], v[24:25], v[22:23]
	v_add_f64 v[192:193], v[192:193], v[198:199]
	ds_load_b128 v[2:5], v1 offset:1408
	ds_load_b128 v[22:25], v1 offset:1424
	v_fma_f64 v[20:21], v[20:21], v[30:31], v[194:195]
	v_fma_f64 v[18:19], v[18:19], v[30:31], -v[32:33]
	s_waitcnt vmcnt(5) lgkmcnt(1)
	v_mul_f64 v[198:199], v[2:3], v[36:37]
	v_mul_f64 v[36:37], v[4:5], v[36:37]
	s_waitcnt vmcnt(4) lgkmcnt(0)
	v_mul_f64 v[30:31], v[22:23], v[40:41]
	v_mul_f64 v[32:33], v[24:25], v[40:41]
	v_add_f64 v[26:27], v[28:29], v[26:27]
	v_add_f64 v[28:29], v[192:193], v[196:197]
	v_fma_f64 v[40:41], v[4:5], v[34:35], v[198:199]
	v_fma_f64 v[34:35], v[2:3], v[34:35], -v[36:37]
	v_fma_f64 v[24:25], v[24:25], v[38:39], v[30:31]
	v_fma_f64 v[22:23], v[22:23], v[38:39], -v[32:33]
	v_add_f64 v[26:27], v[26:27], v[18:19]
	v_add_f64 v[28:29], v[28:29], v[20:21]
	ds_load_b128 v[2:5], v1 offset:1440
	ds_load_b128 v[18:21], v1 offset:1456
	s_waitcnt vmcnt(3) lgkmcnt(1)
	v_mul_f64 v[36:37], v[2:3], v[44:45]
	v_mul_f64 v[44:45], v[4:5], v[44:45]
	s_waitcnt vmcnt(2) lgkmcnt(0)
	v_mul_f64 v[30:31], v[18:19], v[8:9]
	v_mul_f64 v[8:9], v[20:21], v[8:9]
	v_add_f64 v[26:27], v[26:27], v[34:35]
	v_add_f64 v[28:29], v[28:29], v[40:41]
	v_fma_f64 v[32:33], v[4:5], v[42:43], v[36:37]
	v_fma_f64 v[34:35], v[2:3], v[42:43], -v[44:45]
	v_fma_f64 v[20:21], v[20:21], v[6:7], v[30:31]
	v_fma_f64 v[6:7], v[18:19], v[6:7], -v[8:9]
	v_add_f64 v[26:27], v[26:27], v[22:23]
	v_add_f64 v[28:29], v[28:29], v[24:25]
	ds_load_b128 v[2:5], v1 offset:1472
	ds_load_b128 v[22:25], v1 offset:1488
	s_waitcnt vmcnt(1) lgkmcnt(1)
	v_mul_f64 v[36:37], v[2:3], v[12:13]
	v_mul_f64 v[12:13], v[4:5], v[12:13]
	v_add_f64 v[8:9], v[26:27], v[34:35]
	v_add_f64 v[18:19], v[28:29], v[32:33]
	s_waitcnt vmcnt(0) lgkmcnt(0)
	v_mul_f64 v[26:27], v[22:23], v[16:17]
	v_mul_f64 v[16:17], v[24:25], v[16:17]
	v_fma_f64 v[4:5], v[4:5], v[10:11], v[36:37]
	v_fma_f64 v[1:2], v[2:3], v[10:11], -v[12:13]
	v_add_f64 v[6:7], v[8:9], v[6:7]
	v_add_f64 v[8:9], v[18:19], v[20:21]
	v_fma_f64 v[10:11], v[24:25], v[14:15], v[26:27]
	v_fma_f64 v[12:13], v[22:23], v[14:15], -v[16:17]
	s_delay_alu instid0(VALU_DEP_4) | instskip(NEXT) | instid1(VALU_DEP_4)
	v_add_f64 v[1:2], v[6:7], v[1:2]
	v_add_f64 v[3:4], v[8:9], v[4:5]
	s_delay_alu instid0(VALU_DEP_2) | instskip(NEXT) | instid1(VALU_DEP_2)
	v_add_f64 v[1:2], v[1:2], v[12:13]
	v_add_f64 v[3:4], v[3:4], v[10:11]
	s_delay_alu instid0(VALU_DEP_2) | instskip(NEXT) | instid1(VALU_DEP_2)
	v_add_f64 v[1:2], v[188:189], -v[1:2]
	v_add_f64 v[3:4], v[190:191], -v[3:4]
	scratch_store_b128 off, v[1:4], off offset:192
	v_cmpx_lt_u32_e32 11, v140
	s_cbranch_execz .LBB46_273
; %bb.272:
	scratch_load_b128 v[1:4], v176, off
	v_mov_b32_e32 v5, 0
	s_delay_alu instid0(VALU_DEP_1)
	v_mov_b32_e32 v6, v5
	v_mov_b32_e32 v7, v5
	;; [unrolled: 1-line block ×3, first 2 shown]
	scratch_store_b128 off, v[5:8], off offset:176
	s_waitcnt vmcnt(0)
	ds_store_b128 v187, v[1:4]
.LBB46_273:
	s_or_b32 exec_lo, exec_lo, s2
	s_waitcnt lgkmcnt(0)
	s_waitcnt_vscnt null, 0x0
	s_barrier
	buffer_gl0_inv
	s_clause 0x7
	scratch_load_b128 v[2:5], off, off offset:192
	scratch_load_b128 v[6:9], off, off offset:208
	;; [unrolled: 1-line block ×8, first 2 shown]
	v_mov_b32_e32 v1, 0
	s_mov_b32 s2, exec_lo
	ds_load_b128 v[38:41], v1 offset:944
	s_clause 0x1
	scratch_load_b128 v[34:37], off, off offset:320
	scratch_load_b128 v[42:45], off, off offset:176
	ds_load_b128 v[188:191], v1 offset:960
	scratch_load_b128 v[192:195], off, off offset:336
	s_waitcnt vmcnt(10) lgkmcnt(1)
	v_mul_f64 v[196:197], v[40:41], v[4:5]
	v_mul_f64 v[4:5], v[38:39], v[4:5]
	s_delay_alu instid0(VALU_DEP_2) | instskip(NEXT) | instid1(VALU_DEP_2)
	v_fma_f64 v[202:203], v[38:39], v[2:3], -v[196:197]
	v_fma_f64 v[204:205], v[40:41], v[2:3], v[4:5]
	scratch_load_b128 v[38:41], off, off offset:352
	ds_load_b128 v[2:5], v1 offset:976
	s_waitcnt vmcnt(10) lgkmcnt(1)
	v_mul_f64 v[200:201], v[188:189], v[8:9]
	v_mul_f64 v[8:9], v[190:191], v[8:9]
	ds_load_b128 v[196:199], v1 offset:992
	s_waitcnt vmcnt(9) lgkmcnt(1)
	v_mul_f64 v[206:207], v[2:3], v[12:13]
	v_mul_f64 v[12:13], v[4:5], v[12:13]
	v_fma_f64 v[190:191], v[190:191], v[6:7], v[200:201]
	v_fma_f64 v[188:189], v[188:189], v[6:7], -v[8:9]
	v_add_f64 v[200:201], v[202:203], 0
	v_add_f64 v[202:203], v[204:205], 0
	scratch_load_b128 v[6:9], off, off offset:368
	v_fma_f64 v[206:207], v[4:5], v[10:11], v[206:207]
	v_fma_f64 v[208:209], v[2:3], v[10:11], -v[12:13]
	scratch_load_b128 v[10:13], off, off offset:384
	ds_load_b128 v[2:5], v1 offset:1008
	s_waitcnt vmcnt(10) lgkmcnt(1)
	v_mul_f64 v[204:205], v[196:197], v[16:17]
	v_mul_f64 v[16:17], v[198:199], v[16:17]
	v_add_f64 v[200:201], v[200:201], v[188:189]
	v_add_f64 v[202:203], v[202:203], v[190:191]
	s_waitcnt vmcnt(9) lgkmcnt(0)
	v_mul_f64 v[210:211], v[2:3], v[20:21]
	v_mul_f64 v[20:21], v[4:5], v[20:21]
	ds_load_b128 v[188:191], v1 offset:1024
	v_fma_f64 v[198:199], v[198:199], v[14:15], v[204:205]
	v_fma_f64 v[196:197], v[196:197], v[14:15], -v[16:17]
	scratch_load_b128 v[14:17], off, off offset:400
	v_add_f64 v[200:201], v[200:201], v[208:209]
	v_add_f64 v[202:203], v[202:203], v[206:207]
	v_fma_f64 v[206:207], v[4:5], v[18:19], v[210:211]
	v_fma_f64 v[208:209], v[2:3], v[18:19], -v[20:21]
	scratch_load_b128 v[18:21], off, off offset:416
	ds_load_b128 v[2:5], v1 offset:1040
	s_waitcnt vmcnt(10) lgkmcnt(1)
	v_mul_f64 v[204:205], v[188:189], v[24:25]
	v_mul_f64 v[24:25], v[190:191], v[24:25]
	s_waitcnt vmcnt(9) lgkmcnt(0)
	v_mul_f64 v[210:211], v[2:3], v[28:29]
	v_mul_f64 v[28:29], v[4:5], v[28:29]
	v_add_f64 v[200:201], v[200:201], v[196:197]
	v_add_f64 v[202:203], v[202:203], v[198:199]
	ds_load_b128 v[196:199], v1 offset:1056
	v_fma_f64 v[190:191], v[190:191], v[22:23], v[204:205]
	v_fma_f64 v[188:189], v[188:189], v[22:23], -v[24:25]
	scratch_load_b128 v[22:25], off, off offset:432
	v_add_f64 v[200:201], v[200:201], v[208:209]
	v_add_f64 v[202:203], v[202:203], v[206:207]
	v_fma_f64 v[206:207], v[4:5], v[26:27], v[210:211]
	v_fma_f64 v[208:209], v[2:3], v[26:27], -v[28:29]
	scratch_load_b128 v[26:29], off, off offset:448
	ds_load_b128 v[2:5], v1 offset:1072
	s_waitcnt vmcnt(10) lgkmcnt(1)
	v_mul_f64 v[204:205], v[196:197], v[32:33]
	v_mul_f64 v[32:33], v[198:199], v[32:33]
	s_waitcnt vmcnt(9) lgkmcnt(0)
	v_mul_f64 v[210:211], v[2:3], v[36:37]
	v_mul_f64 v[36:37], v[4:5], v[36:37]
	v_add_f64 v[200:201], v[200:201], v[188:189]
	v_add_f64 v[202:203], v[202:203], v[190:191]
	ds_load_b128 v[188:191], v1 offset:1088
	v_fma_f64 v[198:199], v[198:199], v[30:31], v[204:205]
	v_fma_f64 v[196:197], v[196:197], v[30:31], -v[32:33]
	scratch_load_b128 v[30:33], off, off offset:464
	v_add_f64 v[200:201], v[200:201], v[208:209]
	v_add_f64 v[202:203], v[202:203], v[206:207]
	v_fma_f64 v[208:209], v[4:5], v[34:35], v[210:211]
	v_fma_f64 v[210:211], v[2:3], v[34:35], -v[36:37]
	scratch_load_b128 v[34:37], off, off offset:480
	ds_load_b128 v[2:5], v1 offset:1104
	s_waitcnt vmcnt(9) lgkmcnt(1)
	v_mul_f64 v[204:205], v[188:189], v[194:195]
	v_mul_f64 v[206:207], v[190:191], v[194:195]
	v_add_f64 v[200:201], v[200:201], v[196:197]
	v_add_f64 v[198:199], v[202:203], v[198:199]
	ds_load_b128 v[194:197], v1 offset:1120
	v_fma_f64 v[204:205], v[190:191], v[192:193], v[204:205]
	v_fma_f64 v[192:193], v[188:189], v[192:193], -v[206:207]
	scratch_load_b128 v[188:191], off, off offset:496
	s_waitcnt vmcnt(9) lgkmcnt(1)
	v_mul_f64 v[202:203], v[2:3], v[40:41]
	v_mul_f64 v[40:41], v[4:5], v[40:41]
	v_add_f64 v[200:201], v[200:201], v[210:211]
	v_add_f64 v[198:199], v[198:199], v[208:209]
	s_delay_alu instid0(VALU_DEP_4) | instskip(NEXT) | instid1(VALU_DEP_4)
	v_fma_f64 v[202:203], v[4:5], v[38:39], v[202:203]
	v_fma_f64 v[208:209], v[2:3], v[38:39], -v[40:41]
	scratch_load_b128 v[38:41], off, off offset:512
	ds_load_b128 v[2:5], v1 offset:1136
	s_waitcnt vmcnt(9) lgkmcnt(1)
	v_mul_f64 v[206:207], v[194:195], v[8:9]
	v_mul_f64 v[8:9], v[196:197], v[8:9]
	s_waitcnt vmcnt(8) lgkmcnt(0)
	v_mul_f64 v[210:211], v[2:3], v[12:13]
	v_mul_f64 v[12:13], v[4:5], v[12:13]
	v_add_f64 v[192:193], v[200:201], v[192:193]
	v_add_f64 v[204:205], v[198:199], v[204:205]
	ds_load_b128 v[198:201], v1 offset:1152
	v_fma_f64 v[196:197], v[196:197], v[6:7], v[206:207]
	v_fma_f64 v[194:195], v[194:195], v[6:7], -v[8:9]
	scratch_load_b128 v[6:9], off, off offset:528
	v_fma_f64 v[206:207], v[4:5], v[10:11], v[210:211]
	v_add_f64 v[192:193], v[192:193], v[208:209]
	v_add_f64 v[202:203], v[204:205], v[202:203]
	v_fma_f64 v[208:209], v[2:3], v[10:11], -v[12:13]
	scratch_load_b128 v[10:13], off, off offset:544
	ds_load_b128 v[2:5], v1 offset:1168
	s_waitcnt vmcnt(9) lgkmcnt(1)
	v_mul_f64 v[204:205], v[198:199], v[16:17]
	v_mul_f64 v[16:17], v[200:201], v[16:17]
	v_add_f64 v[210:211], v[192:193], v[194:195]
	v_add_f64 v[196:197], v[202:203], v[196:197]
	s_waitcnt vmcnt(8) lgkmcnt(0)
	v_mul_f64 v[202:203], v[2:3], v[20:21]
	v_mul_f64 v[20:21], v[4:5], v[20:21]
	ds_load_b128 v[192:195], v1 offset:1184
	v_fma_f64 v[200:201], v[200:201], v[14:15], v[204:205]
	v_fma_f64 v[198:199], v[198:199], v[14:15], -v[16:17]
	scratch_load_b128 v[14:17], off, off offset:560
	v_add_f64 v[204:205], v[210:211], v[208:209]
	v_add_f64 v[196:197], v[196:197], v[206:207]
	v_fma_f64 v[202:203], v[4:5], v[18:19], v[202:203]
	v_fma_f64 v[208:209], v[2:3], v[18:19], -v[20:21]
	scratch_load_b128 v[18:21], off, off offset:576
	ds_load_b128 v[2:5], v1 offset:1200
	s_waitcnt vmcnt(9) lgkmcnt(1)
	v_mul_f64 v[206:207], v[192:193], v[24:25]
	v_mul_f64 v[24:25], v[194:195], v[24:25]
	s_waitcnt vmcnt(8) lgkmcnt(0)
	v_mul_f64 v[210:211], v[2:3], v[28:29]
	v_mul_f64 v[28:29], v[4:5], v[28:29]
	v_add_f64 v[204:205], v[204:205], v[198:199]
	v_add_f64 v[200:201], v[196:197], v[200:201]
	ds_load_b128 v[196:199], v1 offset:1216
	v_fma_f64 v[194:195], v[194:195], v[22:23], v[206:207]
	v_fma_f64 v[192:193], v[192:193], v[22:23], -v[24:25]
	scratch_load_b128 v[22:25], off, off offset:592
	v_fma_f64 v[206:207], v[4:5], v[26:27], v[210:211]
	v_add_f64 v[204:205], v[204:205], v[208:209]
	v_add_f64 v[200:201], v[200:201], v[202:203]
	v_fma_f64 v[208:209], v[2:3], v[26:27], -v[28:29]
	scratch_load_b128 v[26:29], off, off offset:608
	ds_load_b128 v[2:5], v1 offset:1232
	s_waitcnt vmcnt(9) lgkmcnt(1)
	v_mul_f64 v[202:203], v[196:197], v[32:33]
	v_mul_f64 v[32:33], v[198:199], v[32:33]
	s_waitcnt vmcnt(8) lgkmcnt(0)
	v_mul_f64 v[210:211], v[2:3], v[36:37]
	v_mul_f64 v[36:37], v[4:5], v[36:37]
	v_add_f64 v[204:205], v[204:205], v[192:193]
	v_add_f64 v[200:201], v[200:201], v[194:195]
	ds_load_b128 v[192:195], v1 offset:1248
	v_fma_f64 v[198:199], v[198:199], v[30:31], v[202:203]
	v_fma_f64 v[196:197], v[196:197], v[30:31], -v[32:33]
	scratch_load_b128 v[30:33], off, off offset:624
	v_add_f64 v[202:203], v[204:205], v[208:209]
	v_add_f64 v[200:201], v[200:201], v[206:207]
	v_fma_f64 v[206:207], v[4:5], v[34:35], v[210:211]
	v_fma_f64 v[208:209], v[2:3], v[34:35], -v[36:37]
	scratch_load_b128 v[34:37], off, off offset:640
	ds_load_b128 v[2:5], v1 offset:1264
	s_waitcnt vmcnt(9) lgkmcnt(1)
	v_mul_f64 v[204:205], v[192:193], v[190:191]
	v_mul_f64 v[190:191], v[194:195], v[190:191]
	s_waitcnt vmcnt(8) lgkmcnt(0)
	v_mul_f64 v[210:211], v[2:3], v[40:41]
	v_mul_f64 v[40:41], v[4:5], v[40:41]
	v_add_f64 v[202:203], v[202:203], v[196:197]
	v_add_f64 v[200:201], v[200:201], v[198:199]
	ds_load_b128 v[196:199], v1 offset:1280
	v_fma_f64 v[194:195], v[194:195], v[188:189], v[204:205]
	v_fma_f64 v[192:193], v[192:193], v[188:189], -v[190:191]
	scratch_load_b128 v[188:191], off, off offset:656
	v_add_f64 v[202:203], v[202:203], v[208:209]
	v_add_f64 v[200:201], v[200:201], v[206:207]
	v_fma_f64 v[206:207], v[4:5], v[38:39], v[210:211]
	;; [unrolled: 18-line block ×4, first 2 shown]
	v_fma_f64 v[208:209], v[2:3], v[18:19], -v[20:21]
	scratch_load_b128 v[18:21], off, off offset:736
	ds_load_b128 v[2:5], v1 offset:1360
	s_waitcnt vmcnt(9) lgkmcnt(1)
	v_mul_f64 v[204:205], v[196:197], v[24:25]
	v_mul_f64 v[24:25], v[198:199], v[24:25]
	s_waitcnt vmcnt(8) lgkmcnt(0)
	v_mul_f64 v[210:211], v[2:3], v[28:29]
	v_mul_f64 v[28:29], v[4:5], v[28:29]
	v_add_f64 v[202:203], v[202:203], v[192:193]
	v_add_f64 v[200:201], v[200:201], v[194:195]
	ds_load_b128 v[192:195], v1 offset:1376
	v_fma_f64 v[198:199], v[198:199], v[22:23], v[204:205]
	v_fma_f64 v[22:23], v[196:197], v[22:23], -v[24:25]
	v_add_f64 v[24:25], v[202:203], v[208:209]
	v_add_f64 v[196:197], v[200:201], v[206:207]
	s_waitcnt vmcnt(7) lgkmcnt(0)
	v_mul_f64 v[200:201], v[192:193], v[32:33]
	v_mul_f64 v[32:33], v[194:195], v[32:33]
	v_fma_f64 v[202:203], v[4:5], v[26:27], v[210:211]
	v_fma_f64 v[26:27], v[2:3], v[26:27], -v[28:29]
	v_add_f64 v[28:29], v[24:25], v[22:23]
	v_add_f64 v[196:197], v[196:197], v[198:199]
	ds_load_b128 v[2:5], v1 offset:1392
	ds_load_b128 v[22:25], v1 offset:1408
	v_fma_f64 v[194:195], v[194:195], v[30:31], v[200:201]
	v_fma_f64 v[30:31], v[192:193], v[30:31], -v[32:33]
	s_waitcnt vmcnt(6) lgkmcnt(1)
	v_mul_f64 v[198:199], v[2:3], v[36:37]
	v_mul_f64 v[36:37], v[4:5], v[36:37]
	s_waitcnt vmcnt(5) lgkmcnt(0)
	v_mul_f64 v[32:33], v[22:23], v[190:191]
	v_mul_f64 v[190:191], v[24:25], v[190:191]
	v_add_f64 v[26:27], v[28:29], v[26:27]
	v_add_f64 v[28:29], v[196:197], v[202:203]
	v_fma_f64 v[192:193], v[4:5], v[34:35], v[198:199]
	v_fma_f64 v[34:35], v[2:3], v[34:35], -v[36:37]
	v_fma_f64 v[24:25], v[24:25], v[188:189], v[32:33]
	v_fma_f64 v[22:23], v[22:23], v[188:189], -v[190:191]
	v_add_f64 v[30:31], v[26:27], v[30:31]
	v_add_f64 v[36:37], v[28:29], v[194:195]
	ds_load_b128 v[2:5], v1 offset:1424
	ds_load_b128 v[26:29], v1 offset:1440
	s_waitcnt vmcnt(4) lgkmcnt(1)
	v_mul_f64 v[194:195], v[2:3], v[40:41]
	v_mul_f64 v[40:41], v[4:5], v[40:41]
	v_add_f64 v[30:31], v[30:31], v[34:35]
	v_add_f64 v[32:33], v[36:37], v[192:193]
	s_waitcnt vmcnt(3) lgkmcnt(0)
	v_mul_f64 v[34:35], v[26:27], v[8:9]
	v_mul_f64 v[8:9], v[28:29], v[8:9]
	v_fma_f64 v[36:37], v[4:5], v[38:39], v[194:195]
	v_fma_f64 v[38:39], v[2:3], v[38:39], -v[40:41]
	v_add_f64 v[30:31], v[30:31], v[22:23]
	v_add_f64 v[32:33], v[32:33], v[24:25]
	ds_load_b128 v[2:5], v1 offset:1456
	ds_load_b128 v[22:25], v1 offset:1472
	v_fma_f64 v[28:29], v[28:29], v[6:7], v[34:35]
	v_fma_f64 v[6:7], v[26:27], v[6:7], -v[8:9]
	s_waitcnt vmcnt(2) lgkmcnt(1)
	v_mul_f64 v[40:41], v[2:3], v[12:13]
	v_mul_f64 v[12:13], v[4:5], v[12:13]
	v_add_f64 v[8:9], v[30:31], v[38:39]
	v_add_f64 v[26:27], v[32:33], v[36:37]
	s_waitcnt vmcnt(1) lgkmcnt(0)
	v_mul_f64 v[30:31], v[22:23], v[16:17]
	v_mul_f64 v[16:17], v[24:25], v[16:17]
	v_fma_f64 v[32:33], v[4:5], v[10:11], v[40:41]
	v_fma_f64 v[10:11], v[2:3], v[10:11], -v[12:13]
	ds_load_b128 v[2:5], v1 offset:1488
	v_add_f64 v[6:7], v[8:9], v[6:7]
	v_add_f64 v[8:9], v[26:27], v[28:29]
	v_fma_f64 v[24:25], v[24:25], v[14:15], v[30:31]
	v_fma_f64 v[14:15], v[22:23], v[14:15], -v[16:17]
	s_waitcnt vmcnt(0) lgkmcnt(0)
	v_mul_f64 v[12:13], v[2:3], v[20:21]
	v_mul_f64 v[20:21], v[4:5], v[20:21]
	v_add_f64 v[6:7], v[6:7], v[10:11]
	v_add_f64 v[8:9], v[8:9], v[32:33]
	s_delay_alu instid0(VALU_DEP_4) | instskip(NEXT) | instid1(VALU_DEP_4)
	v_fma_f64 v[4:5], v[4:5], v[18:19], v[12:13]
	v_fma_f64 v[2:3], v[2:3], v[18:19], -v[20:21]
	s_delay_alu instid0(VALU_DEP_4) | instskip(NEXT) | instid1(VALU_DEP_4)
	v_add_f64 v[6:7], v[6:7], v[14:15]
	v_add_f64 v[8:9], v[8:9], v[24:25]
	s_delay_alu instid0(VALU_DEP_2) | instskip(NEXT) | instid1(VALU_DEP_2)
	v_add_f64 v[2:3], v[6:7], v[2:3]
	v_add_f64 v[4:5], v[8:9], v[4:5]
	s_delay_alu instid0(VALU_DEP_2) | instskip(NEXT) | instid1(VALU_DEP_2)
	v_add_f64 v[2:3], v[42:43], -v[2:3]
	v_add_f64 v[4:5], v[44:45], -v[4:5]
	scratch_store_b128 off, v[2:5], off offset:176
	v_cmpx_lt_u32_e32 10, v140
	s_cbranch_execz .LBB46_275
; %bb.274:
	scratch_load_b128 v[5:8], v177, off
	v_mov_b32_e32 v2, v1
	v_mov_b32_e32 v3, v1
	;; [unrolled: 1-line block ×3, first 2 shown]
	scratch_store_b128 off, v[1:4], off offset:160
	s_waitcnt vmcnt(0)
	ds_store_b128 v187, v[5:8]
.LBB46_275:
	s_or_b32 exec_lo, exec_lo, s2
	s_waitcnt lgkmcnt(0)
	s_waitcnt_vscnt null, 0x0
	s_barrier
	buffer_gl0_inv
	s_clause 0x8
	scratch_load_b128 v[2:5], off, off offset:176
	scratch_load_b128 v[6:9], off, off offset:192
	;; [unrolled: 1-line block ×9, first 2 shown]
	ds_load_b128 v[42:45], v1 offset:928
	ds_load_b128 v[38:41], v1 offset:944
	s_clause 0x1
	scratch_load_b128 v[188:191], off, off offset:160
	scratch_load_b128 v[192:195], off, off offset:320
	s_mov_b32 s2, exec_lo
	s_waitcnt vmcnt(10) lgkmcnt(1)
	v_mul_f64 v[196:197], v[44:45], v[4:5]
	v_mul_f64 v[4:5], v[42:43], v[4:5]
	s_waitcnt vmcnt(9) lgkmcnt(0)
	v_mul_f64 v[200:201], v[38:39], v[8:9]
	v_mul_f64 v[8:9], v[40:41], v[8:9]
	s_delay_alu instid0(VALU_DEP_4) | instskip(NEXT) | instid1(VALU_DEP_4)
	v_fma_f64 v[202:203], v[42:43], v[2:3], -v[196:197]
	v_fma_f64 v[204:205], v[44:45], v[2:3], v[4:5]
	ds_load_b128 v[2:5], v1 offset:960
	ds_load_b128 v[196:199], v1 offset:976
	scratch_load_b128 v[42:45], off, off offset:336
	v_fma_f64 v[40:41], v[40:41], v[6:7], v[200:201]
	v_fma_f64 v[38:39], v[38:39], v[6:7], -v[8:9]
	scratch_load_b128 v[6:9], off, off offset:352
	s_waitcnt vmcnt(10) lgkmcnt(1)
	v_mul_f64 v[206:207], v[2:3], v[12:13]
	v_mul_f64 v[12:13], v[4:5], v[12:13]
	v_add_f64 v[200:201], v[202:203], 0
	v_add_f64 v[202:203], v[204:205], 0
	s_waitcnt vmcnt(9) lgkmcnt(0)
	v_mul_f64 v[204:205], v[196:197], v[16:17]
	v_mul_f64 v[16:17], v[198:199], v[16:17]
	v_fma_f64 v[206:207], v[4:5], v[10:11], v[206:207]
	v_fma_f64 v[208:209], v[2:3], v[10:11], -v[12:13]
	ds_load_b128 v[2:5], v1 offset:992
	scratch_load_b128 v[10:13], off, off offset:368
	v_add_f64 v[200:201], v[200:201], v[38:39]
	v_add_f64 v[202:203], v[202:203], v[40:41]
	ds_load_b128 v[38:41], v1 offset:1008
	v_fma_f64 v[198:199], v[198:199], v[14:15], v[204:205]
	v_fma_f64 v[196:197], v[196:197], v[14:15], -v[16:17]
	scratch_load_b128 v[14:17], off, off offset:384
	s_waitcnt vmcnt(10) lgkmcnt(1)
	v_mul_f64 v[210:211], v[2:3], v[20:21]
	v_mul_f64 v[20:21], v[4:5], v[20:21]
	s_waitcnt vmcnt(9) lgkmcnt(0)
	v_mul_f64 v[204:205], v[38:39], v[24:25]
	v_mul_f64 v[24:25], v[40:41], v[24:25]
	v_add_f64 v[200:201], v[200:201], v[208:209]
	v_add_f64 v[202:203], v[202:203], v[206:207]
	v_fma_f64 v[206:207], v[4:5], v[18:19], v[210:211]
	v_fma_f64 v[208:209], v[2:3], v[18:19], -v[20:21]
	ds_load_b128 v[2:5], v1 offset:1024
	scratch_load_b128 v[18:21], off, off offset:400
	v_fma_f64 v[40:41], v[40:41], v[22:23], v[204:205]
	v_fma_f64 v[38:39], v[38:39], v[22:23], -v[24:25]
	scratch_load_b128 v[22:25], off, off offset:416
	v_add_f64 v[200:201], v[200:201], v[196:197]
	v_add_f64 v[202:203], v[202:203], v[198:199]
	ds_load_b128 v[196:199], v1 offset:1040
	s_waitcnt vmcnt(10) lgkmcnt(1)
	v_mul_f64 v[210:211], v[2:3], v[28:29]
	v_mul_f64 v[28:29], v[4:5], v[28:29]
	s_waitcnt vmcnt(9) lgkmcnt(0)
	v_mul_f64 v[204:205], v[196:197], v[32:33]
	v_mul_f64 v[32:33], v[198:199], v[32:33]
	v_add_f64 v[200:201], v[200:201], v[208:209]
	v_add_f64 v[202:203], v[202:203], v[206:207]
	v_fma_f64 v[206:207], v[4:5], v[26:27], v[210:211]
	v_fma_f64 v[208:209], v[2:3], v[26:27], -v[28:29]
	ds_load_b128 v[2:5], v1 offset:1056
	scratch_load_b128 v[26:29], off, off offset:432
	v_fma_f64 v[198:199], v[198:199], v[30:31], v[204:205]
	v_fma_f64 v[196:197], v[196:197], v[30:31], -v[32:33]
	scratch_load_b128 v[30:33], off, off offset:448
	v_add_f64 v[200:201], v[200:201], v[38:39]
	v_add_f64 v[202:203], v[202:203], v[40:41]
	ds_load_b128 v[38:41], v1 offset:1072
	s_waitcnt vmcnt(10) lgkmcnt(1)
	v_mul_f64 v[210:211], v[2:3], v[36:37]
	v_mul_f64 v[36:37], v[4:5], v[36:37]
	s_waitcnt vmcnt(8) lgkmcnt(0)
	v_mul_f64 v[204:205], v[38:39], v[194:195]
	v_add_f64 v[200:201], v[200:201], v[208:209]
	v_add_f64 v[202:203], v[202:203], v[206:207]
	v_mul_f64 v[206:207], v[40:41], v[194:195]
	v_fma_f64 v[208:209], v[4:5], v[34:35], v[210:211]
	v_fma_f64 v[210:211], v[2:3], v[34:35], -v[36:37]
	ds_load_b128 v[2:5], v1 offset:1088
	scratch_load_b128 v[34:37], off, off offset:464
	v_fma_f64 v[204:205], v[40:41], v[192:193], v[204:205]
	v_add_f64 v[200:201], v[200:201], v[196:197]
	v_add_f64 v[198:199], v[202:203], v[198:199]
	ds_load_b128 v[194:197], v1 offset:1104
	v_fma_f64 v[192:193], v[38:39], v[192:193], -v[206:207]
	scratch_load_b128 v[38:41], off, off offset:480
	s_waitcnt vmcnt(9) lgkmcnt(1)
	v_mul_f64 v[202:203], v[2:3], v[44:45]
	v_mul_f64 v[44:45], v[4:5], v[44:45]
	s_waitcnt vmcnt(8) lgkmcnt(0)
	v_mul_f64 v[206:207], v[194:195], v[8:9]
	v_mul_f64 v[8:9], v[196:197], v[8:9]
	v_add_f64 v[200:201], v[200:201], v[210:211]
	v_add_f64 v[198:199], v[198:199], v[208:209]
	v_fma_f64 v[202:203], v[4:5], v[42:43], v[202:203]
	v_fma_f64 v[208:209], v[2:3], v[42:43], -v[44:45]
	ds_load_b128 v[2:5], v1 offset:1120
	scratch_load_b128 v[42:45], off, off offset:496
	v_fma_f64 v[196:197], v[196:197], v[6:7], v[206:207]
	v_fma_f64 v[194:195], v[194:195], v[6:7], -v[8:9]
	scratch_load_b128 v[6:9], off, off offset:512
	v_add_f64 v[192:193], v[200:201], v[192:193]
	v_add_f64 v[204:205], v[198:199], v[204:205]
	ds_load_b128 v[198:201], v1 offset:1136
	s_waitcnt vmcnt(9) lgkmcnt(1)
	v_mul_f64 v[210:211], v[2:3], v[12:13]
	v_mul_f64 v[12:13], v[4:5], v[12:13]
	v_add_f64 v[192:193], v[192:193], v[208:209]
	v_add_f64 v[202:203], v[204:205], v[202:203]
	s_waitcnt vmcnt(8) lgkmcnt(0)
	v_mul_f64 v[204:205], v[198:199], v[16:17]
	v_mul_f64 v[16:17], v[200:201], v[16:17]
	v_fma_f64 v[206:207], v[4:5], v[10:11], v[210:211]
	v_fma_f64 v[208:209], v[2:3], v[10:11], -v[12:13]
	ds_load_b128 v[2:5], v1 offset:1152
	scratch_load_b128 v[10:13], off, off offset:528
	v_add_f64 v[210:211], v[192:193], v[194:195]
	v_add_f64 v[196:197], v[202:203], v[196:197]
	ds_load_b128 v[192:195], v1 offset:1168
	s_waitcnt vmcnt(8) lgkmcnt(1)
	v_mul_f64 v[202:203], v[2:3], v[20:21]
	v_mul_f64 v[20:21], v[4:5], v[20:21]
	v_fma_f64 v[200:201], v[200:201], v[14:15], v[204:205]
	v_fma_f64 v[198:199], v[198:199], v[14:15], -v[16:17]
	scratch_load_b128 v[14:17], off, off offset:544
	v_add_f64 v[204:205], v[210:211], v[208:209]
	v_add_f64 v[196:197], v[196:197], v[206:207]
	s_waitcnt vmcnt(8) lgkmcnt(0)
	v_mul_f64 v[206:207], v[192:193], v[24:25]
	v_mul_f64 v[24:25], v[194:195], v[24:25]
	v_fma_f64 v[202:203], v[4:5], v[18:19], v[202:203]
	v_fma_f64 v[208:209], v[2:3], v[18:19], -v[20:21]
	ds_load_b128 v[2:5], v1 offset:1184
	scratch_load_b128 v[18:21], off, off offset:560
	v_add_f64 v[204:205], v[204:205], v[198:199]
	v_add_f64 v[200:201], v[196:197], v[200:201]
	ds_load_b128 v[196:199], v1 offset:1200
	s_waitcnt vmcnt(8) lgkmcnt(1)
	v_mul_f64 v[210:211], v[2:3], v[28:29]
	v_mul_f64 v[28:29], v[4:5], v[28:29]
	v_fma_f64 v[194:195], v[194:195], v[22:23], v[206:207]
	v_fma_f64 v[192:193], v[192:193], v[22:23], -v[24:25]
	scratch_load_b128 v[22:25], off, off offset:576
	;; [unrolled: 18-line block ×4, first 2 shown]
	s_waitcnt vmcnt(8) lgkmcnt(0)
	v_mul_f64 v[204:205], v[196:197], v[8:9]
	v_mul_f64 v[8:9], v[198:199], v[8:9]
	v_add_f64 v[202:203], v[202:203], v[208:209]
	v_add_f64 v[200:201], v[200:201], v[206:207]
	v_fma_f64 v[206:207], v[4:5], v[42:43], v[210:211]
	v_fma_f64 v[208:209], v[2:3], v[42:43], -v[44:45]
	ds_load_b128 v[2:5], v1 offset:1280
	scratch_load_b128 v[42:45], off, off offset:656
	v_fma_f64 v[198:199], v[198:199], v[6:7], v[204:205]
	v_fma_f64 v[196:197], v[196:197], v[6:7], -v[8:9]
	scratch_load_b128 v[6:9], off, off offset:672
	v_add_f64 v[202:203], v[202:203], v[192:193]
	v_add_f64 v[200:201], v[200:201], v[194:195]
	ds_load_b128 v[192:195], v1 offset:1296
	s_waitcnt vmcnt(9) lgkmcnt(1)
	v_mul_f64 v[210:211], v[2:3], v[12:13]
	v_mul_f64 v[12:13], v[4:5], v[12:13]
	s_waitcnt vmcnt(8) lgkmcnt(0)
	v_mul_f64 v[204:205], v[192:193], v[16:17]
	v_mul_f64 v[16:17], v[194:195], v[16:17]
	v_add_f64 v[202:203], v[202:203], v[208:209]
	v_add_f64 v[200:201], v[200:201], v[206:207]
	v_fma_f64 v[206:207], v[4:5], v[10:11], v[210:211]
	v_fma_f64 v[208:209], v[2:3], v[10:11], -v[12:13]
	ds_load_b128 v[2:5], v1 offset:1312
	scratch_load_b128 v[10:13], off, off offset:688
	v_fma_f64 v[194:195], v[194:195], v[14:15], v[204:205]
	v_fma_f64 v[192:193], v[192:193], v[14:15], -v[16:17]
	scratch_load_b128 v[14:17], off, off offset:704
	v_add_f64 v[202:203], v[202:203], v[196:197]
	v_add_f64 v[200:201], v[200:201], v[198:199]
	ds_load_b128 v[196:199], v1 offset:1328
	s_waitcnt vmcnt(9) lgkmcnt(1)
	v_mul_f64 v[210:211], v[2:3], v[20:21]
	v_mul_f64 v[20:21], v[4:5], v[20:21]
	;; [unrolled: 18-line block ×3, first 2 shown]
	s_waitcnt vmcnt(8) lgkmcnt(0)
	v_mul_f64 v[204:205], v[192:193], v[32:33]
	v_mul_f64 v[32:33], v[194:195], v[32:33]
	v_add_f64 v[202:203], v[202:203], v[208:209]
	v_add_f64 v[200:201], v[200:201], v[206:207]
	v_fma_f64 v[206:207], v[4:5], v[26:27], v[210:211]
	v_fma_f64 v[208:209], v[2:3], v[26:27], -v[28:29]
	ds_load_b128 v[2:5], v1 offset:1376
	ds_load_b128 v[26:29], v1 offset:1392
	v_fma_f64 v[194:195], v[194:195], v[30:31], v[204:205]
	v_fma_f64 v[30:31], v[192:193], v[30:31], -v[32:33]
	v_add_f64 v[196:197], v[202:203], v[196:197]
	v_add_f64 v[198:199], v[200:201], v[198:199]
	s_waitcnt vmcnt(7) lgkmcnt(1)
	v_mul_f64 v[200:201], v[2:3], v[36:37]
	v_mul_f64 v[36:37], v[4:5], v[36:37]
	s_delay_alu instid0(VALU_DEP_4) | instskip(NEXT) | instid1(VALU_DEP_4)
	v_add_f64 v[32:33], v[196:197], v[208:209]
	v_add_f64 v[192:193], v[198:199], v[206:207]
	s_waitcnt vmcnt(6) lgkmcnt(0)
	v_mul_f64 v[196:197], v[26:27], v[40:41]
	v_mul_f64 v[40:41], v[28:29], v[40:41]
	v_fma_f64 v[198:199], v[4:5], v[34:35], v[200:201]
	v_fma_f64 v[34:35], v[2:3], v[34:35], -v[36:37]
	v_add_f64 v[36:37], v[32:33], v[30:31]
	v_add_f64 v[192:193], v[192:193], v[194:195]
	ds_load_b128 v[2:5], v1 offset:1408
	ds_load_b128 v[30:33], v1 offset:1424
	v_fma_f64 v[28:29], v[28:29], v[38:39], v[196:197]
	v_fma_f64 v[26:27], v[26:27], v[38:39], -v[40:41]
	s_waitcnt vmcnt(5) lgkmcnt(1)
	v_mul_f64 v[194:195], v[2:3], v[44:45]
	v_mul_f64 v[44:45], v[4:5], v[44:45]
	s_waitcnt vmcnt(4) lgkmcnt(0)
	v_mul_f64 v[38:39], v[30:31], v[8:9]
	v_mul_f64 v[8:9], v[32:33], v[8:9]
	v_add_f64 v[34:35], v[36:37], v[34:35]
	v_add_f64 v[36:37], v[192:193], v[198:199]
	v_fma_f64 v[40:41], v[4:5], v[42:43], v[194:195]
	v_fma_f64 v[42:43], v[2:3], v[42:43], -v[44:45]
	v_fma_f64 v[32:33], v[32:33], v[6:7], v[38:39]
	v_fma_f64 v[6:7], v[30:31], v[6:7], -v[8:9]
	v_add_f64 v[34:35], v[34:35], v[26:27]
	v_add_f64 v[36:37], v[36:37], v[28:29]
	ds_load_b128 v[2:5], v1 offset:1440
	ds_load_b128 v[26:29], v1 offset:1456
	s_waitcnt vmcnt(3) lgkmcnt(1)
	v_mul_f64 v[44:45], v[2:3], v[12:13]
	v_mul_f64 v[12:13], v[4:5], v[12:13]
	v_add_f64 v[8:9], v[34:35], v[42:43]
	v_add_f64 v[30:31], v[36:37], v[40:41]
	s_waitcnt vmcnt(2) lgkmcnt(0)
	v_mul_f64 v[34:35], v[26:27], v[16:17]
	v_mul_f64 v[16:17], v[28:29], v[16:17]
	v_fma_f64 v[36:37], v[4:5], v[10:11], v[44:45]
	v_fma_f64 v[10:11], v[2:3], v[10:11], -v[12:13]
	v_add_f64 v[12:13], v[8:9], v[6:7]
	v_add_f64 v[30:31], v[30:31], v[32:33]
	ds_load_b128 v[2:5], v1 offset:1472
	ds_load_b128 v[6:9], v1 offset:1488
	v_fma_f64 v[28:29], v[28:29], v[14:15], v[34:35]
	v_fma_f64 v[14:15], v[26:27], v[14:15], -v[16:17]
	s_waitcnt vmcnt(1) lgkmcnt(1)
	v_mul_f64 v[32:33], v[2:3], v[20:21]
	v_mul_f64 v[20:21], v[4:5], v[20:21]
	s_waitcnt vmcnt(0) lgkmcnt(0)
	v_mul_f64 v[16:17], v[6:7], v[24:25]
	v_mul_f64 v[24:25], v[8:9], v[24:25]
	v_add_f64 v[10:11], v[12:13], v[10:11]
	v_add_f64 v[12:13], v[30:31], v[36:37]
	v_fma_f64 v[4:5], v[4:5], v[18:19], v[32:33]
	v_fma_f64 v[1:2], v[2:3], v[18:19], -v[20:21]
	v_fma_f64 v[8:9], v[8:9], v[22:23], v[16:17]
	v_fma_f64 v[6:7], v[6:7], v[22:23], -v[24:25]
	v_add_f64 v[10:11], v[10:11], v[14:15]
	v_add_f64 v[12:13], v[12:13], v[28:29]
	s_delay_alu instid0(VALU_DEP_2) | instskip(NEXT) | instid1(VALU_DEP_2)
	v_add_f64 v[1:2], v[10:11], v[1:2]
	v_add_f64 v[3:4], v[12:13], v[4:5]
	s_delay_alu instid0(VALU_DEP_2) | instskip(NEXT) | instid1(VALU_DEP_2)
	;; [unrolled: 3-line block ×3, first 2 shown]
	v_add_f64 v[1:2], v[188:189], -v[1:2]
	v_add_f64 v[3:4], v[190:191], -v[3:4]
	scratch_store_b128 off, v[1:4], off offset:160
	v_cmpx_lt_u32_e32 9, v140
	s_cbranch_execz .LBB46_277
; %bb.276:
	scratch_load_b128 v[1:4], v178, off
	v_mov_b32_e32 v5, 0
	s_delay_alu instid0(VALU_DEP_1)
	v_mov_b32_e32 v6, v5
	v_mov_b32_e32 v7, v5
	v_mov_b32_e32 v8, v5
	scratch_store_b128 off, v[5:8], off offset:144
	s_waitcnt vmcnt(0)
	ds_store_b128 v187, v[1:4]
.LBB46_277:
	s_or_b32 exec_lo, exec_lo, s2
	s_waitcnt lgkmcnt(0)
	s_waitcnt_vscnt null, 0x0
	s_barrier
	buffer_gl0_inv
	s_clause 0x7
	scratch_load_b128 v[2:5], off, off offset:160
	scratch_load_b128 v[6:9], off, off offset:176
	;; [unrolled: 1-line block ×8, first 2 shown]
	v_mov_b32_e32 v1, 0
	s_mov_b32 s2, exec_lo
	ds_load_b128 v[38:41], v1 offset:912
	s_clause 0x1
	scratch_load_b128 v[34:37], off, off offset:288
	scratch_load_b128 v[42:45], off, off offset:144
	ds_load_b128 v[188:191], v1 offset:928
	scratch_load_b128 v[192:195], off, off offset:304
	s_waitcnt vmcnt(10) lgkmcnt(1)
	v_mul_f64 v[196:197], v[40:41], v[4:5]
	v_mul_f64 v[4:5], v[38:39], v[4:5]
	s_delay_alu instid0(VALU_DEP_2) | instskip(NEXT) | instid1(VALU_DEP_2)
	v_fma_f64 v[202:203], v[38:39], v[2:3], -v[196:197]
	v_fma_f64 v[204:205], v[40:41], v[2:3], v[4:5]
	scratch_load_b128 v[38:41], off, off offset:320
	ds_load_b128 v[2:5], v1 offset:944
	s_waitcnt vmcnt(10) lgkmcnt(1)
	v_mul_f64 v[200:201], v[188:189], v[8:9]
	v_mul_f64 v[8:9], v[190:191], v[8:9]
	ds_load_b128 v[196:199], v1 offset:960
	s_waitcnt vmcnt(9) lgkmcnt(1)
	v_mul_f64 v[206:207], v[2:3], v[12:13]
	v_mul_f64 v[12:13], v[4:5], v[12:13]
	v_fma_f64 v[190:191], v[190:191], v[6:7], v[200:201]
	v_fma_f64 v[188:189], v[188:189], v[6:7], -v[8:9]
	v_add_f64 v[200:201], v[202:203], 0
	v_add_f64 v[202:203], v[204:205], 0
	scratch_load_b128 v[6:9], off, off offset:336
	v_fma_f64 v[206:207], v[4:5], v[10:11], v[206:207]
	v_fma_f64 v[208:209], v[2:3], v[10:11], -v[12:13]
	scratch_load_b128 v[10:13], off, off offset:352
	ds_load_b128 v[2:5], v1 offset:976
	s_waitcnt vmcnt(10) lgkmcnt(1)
	v_mul_f64 v[204:205], v[196:197], v[16:17]
	v_mul_f64 v[16:17], v[198:199], v[16:17]
	v_add_f64 v[200:201], v[200:201], v[188:189]
	v_add_f64 v[202:203], v[202:203], v[190:191]
	s_waitcnt vmcnt(9) lgkmcnt(0)
	v_mul_f64 v[210:211], v[2:3], v[20:21]
	v_mul_f64 v[20:21], v[4:5], v[20:21]
	ds_load_b128 v[188:191], v1 offset:992
	v_fma_f64 v[198:199], v[198:199], v[14:15], v[204:205]
	v_fma_f64 v[196:197], v[196:197], v[14:15], -v[16:17]
	scratch_load_b128 v[14:17], off, off offset:368
	v_add_f64 v[200:201], v[200:201], v[208:209]
	v_add_f64 v[202:203], v[202:203], v[206:207]
	v_fma_f64 v[206:207], v[4:5], v[18:19], v[210:211]
	v_fma_f64 v[208:209], v[2:3], v[18:19], -v[20:21]
	scratch_load_b128 v[18:21], off, off offset:384
	ds_load_b128 v[2:5], v1 offset:1008
	s_waitcnt vmcnt(10) lgkmcnt(1)
	v_mul_f64 v[204:205], v[188:189], v[24:25]
	v_mul_f64 v[24:25], v[190:191], v[24:25]
	s_waitcnt vmcnt(9) lgkmcnt(0)
	v_mul_f64 v[210:211], v[2:3], v[28:29]
	v_mul_f64 v[28:29], v[4:5], v[28:29]
	v_add_f64 v[200:201], v[200:201], v[196:197]
	v_add_f64 v[202:203], v[202:203], v[198:199]
	ds_load_b128 v[196:199], v1 offset:1024
	v_fma_f64 v[190:191], v[190:191], v[22:23], v[204:205]
	v_fma_f64 v[188:189], v[188:189], v[22:23], -v[24:25]
	scratch_load_b128 v[22:25], off, off offset:400
	v_add_f64 v[200:201], v[200:201], v[208:209]
	v_add_f64 v[202:203], v[202:203], v[206:207]
	v_fma_f64 v[206:207], v[4:5], v[26:27], v[210:211]
	v_fma_f64 v[208:209], v[2:3], v[26:27], -v[28:29]
	scratch_load_b128 v[26:29], off, off offset:416
	ds_load_b128 v[2:5], v1 offset:1040
	s_waitcnt vmcnt(10) lgkmcnt(1)
	v_mul_f64 v[204:205], v[196:197], v[32:33]
	v_mul_f64 v[32:33], v[198:199], v[32:33]
	s_waitcnt vmcnt(9) lgkmcnt(0)
	v_mul_f64 v[210:211], v[2:3], v[36:37]
	v_mul_f64 v[36:37], v[4:5], v[36:37]
	v_add_f64 v[200:201], v[200:201], v[188:189]
	v_add_f64 v[202:203], v[202:203], v[190:191]
	ds_load_b128 v[188:191], v1 offset:1056
	v_fma_f64 v[198:199], v[198:199], v[30:31], v[204:205]
	v_fma_f64 v[196:197], v[196:197], v[30:31], -v[32:33]
	scratch_load_b128 v[30:33], off, off offset:432
	v_add_f64 v[200:201], v[200:201], v[208:209]
	v_add_f64 v[202:203], v[202:203], v[206:207]
	v_fma_f64 v[208:209], v[4:5], v[34:35], v[210:211]
	v_fma_f64 v[210:211], v[2:3], v[34:35], -v[36:37]
	scratch_load_b128 v[34:37], off, off offset:448
	ds_load_b128 v[2:5], v1 offset:1072
	s_waitcnt vmcnt(9) lgkmcnt(1)
	v_mul_f64 v[204:205], v[188:189], v[194:195]
	v_mul_f64 v[206:207], v[190:191], v[194:195]
	v_add_f64 v[200:201], v[200:201], v[196:197]
	v_add_f64 v[198:199], v[202:203], v[198:199]
	ds_load_b128 v[194:197], v1 offset:1088
	v_fma_f64 v[204:205], v[190:191], v[192:193], v[204:205]
	v_fma_f64 v[192:193], v[188:189], v[192:193], -v[206:207]
	scratch_load_b128 v[188:191], off, off offset:464
	s_waitcnt vmcnt(9) lgkmcnt(1)
	v_mul_f64 v[202:203], v[2:3], v[40:41]
	v_mul_f64 v[40:41], v[4:5], v[40:41]
	v_add_f64 v[200:201], v[200:201], v[210:211]
	v_add_f64 v[198:199], v[198:199], v[208:209]
	s_delay_alu instid0(VALU_DEP_4) | instskip(NEXT) | instid1(VALU_DEP_4)
	v_fma_f64 v[202:203], v[4:5], v[38:39], v[202:203]
	v_fma_f64 v[208:209], v[2:3], v[38:39], -v[40:41]
	scratch_load_b128 v[38:41], off, off offset:480
	ds_load_b128 v[2:5], v1 offset:1104
	s_waitcnt vmcnt(9) lgkmcnt(1)
	v_mul_f64 v[206:207], v[194:195], v[8:9]
	v_mul_f64 v[8:9], v[196:197], v[8:9]
	s_waitcnt vmcnt(8) lgkmcnt(0)
	v_mul_f64 v[210:211], v[2:3], v[12:13]
	v_mul_f64 v[12:13], v[4:5], v[12:13]
	v_add_f64 v[192:193], v[200:201], v[192:193]
	v_add_f64 v[204:205], v[198:199], v[204:205]
	ds_load_b128 v[198:201], v1 offset:1120
	v_fma_f64 v[196:197], v[196:197], v[6:7], v[206:207]
	v_fma_f64 v[194:195], v[194:195], v[6:7], -v[8:9]
	scratch_load_b128 v[6:9], off, off offset:496
	v_fma_f64 v[206:207], v[4:5], v[10:11], v[210:211]
	v_add_f64 v[192:193], v[192:193], v[208:209]
	v_add_f64 v[202:203], v[204:205], v[202:203]
	v_fma_f64 v[208:209], v[2:3], v[10:11], -v[12:13]
	scratch_load_b128 v[10:13], off, off offset:512
	ds_load_b128 v[2:5], v1 offset:1136
	s_waitcnt vmcnt(9) lgkmcnt(1)
	v_mul_f64 v[204:205], v[198:199], v[16:17]
	v_mul_f64 v[16:17], v[200:201], v[16:17]
	v_add_f64 v[210:211], v[192:193], v[194:195]
	v_add_f64 v[196:197], v[202:203], v[196:197]
	s_waitcnt vmcnt(8) lgkmcnt(0)
	v_mul_f64 v[202:203], v[2:3], v[20:21]
	v_mul_f64 v[20:21], v[4:5], v[20:21]
	ds_load_b128 v[192:195], v1 offset:1152
	v_fma_f64 v[200:201], v[200:201], v[14:15], v[204:205]
	v_fma_f64 v[198:199], v[198:199], v[14:15], -v[16:17]
	scratch_load_b128 v[14:17], off, off offset:528
	v_add_f64 v[204:205], v[210:211], v[208:209]
	v_add_f64 v[196:197], v[196:197], v[206:207]
	v_fma_f64 v[202:203], v[4:5], v[18:19], v[202:203]
	v_fma_f64 v[208:209], v[2:3], v[18:19], -v[20:21]
	scratch_load_b128 v[18:21], off, off offset:544
	ds_load_b128 v[2:5], v1 offset:1168
	s_waitcnt vmcnt(9) lgkmcnt(1)
	v_mul_f64 v[206:207], v[192:193], v[24:25]
	v_mul_f64 v[24:25], v[194:195], v[24:25]
	s_waitcnt vmcnt(8) lgkmcnt(0)
	v_mul_f64 v[210:211], v[2:3], v[28:29]
	v_mul_f64 v[28:29], v[4:5], v[28:29]
	v_add_f64 v[204:205], v[204:205], v[198:199]
	v_add_f64 v[200:201], v[196:197], v[200:201]
	ds_load_b128 v[196:199], v1 offset:1184
	v_fma_f64 v[194:195], v[194:195], v[22:23], v[206:207]
	v_fma_f64 v[192:193], v[192:193], v[22:23], -v[24:25]
	scratch_load_b128 v[22:25], off, off offset:560
	v_fma_f64 v[206:207], v[4:5], v[26:27], v[210:211]
	v_add_f64 v[204:205], v[204:205], v[208:209]
	v_add_f64 v[200:201], v[200:201], v[202:203]
	v_fma_f64 v[208:209], v[2:3], v[26:27], -v[28:29]
	scratch_load_b128 v[26:29], off, off offset:576
	ds_load_b128 v[2:5], v1 offset:1200
	s_waitcnt vmcnt(9) lgkmcnt(1)
	v_mul_f64 v[202:203], v[196:197], v[32:33]
	v_mul_f64 v[32:33], v[198:199], v[32:33]
	s_waitcnt vmcnt(8) lgkmcnt(0)
	v_mul_f64 v[210:211], v[2:3], v[36:37]
	v_mul_f64 v[36:37], v[4:5], v[36:37]
	v_add_f64 v[204:205], v[204:205], v[192:193]
	v_add_f64 v[200:201], v[200:201], v[194:195]
	ds_load_b128 v[192:195], v1 offset:1216
	v_fma_f64 v[198:199], v[198:199], v[30:31], v[202:203]
	v_fma_f64 v[196:197], v[196:197], v[30:31], -v[32:33]
	scratch_load_b128 v[30:33], off, off offset:592
	v_add_f64 v[202:203], v[204:205], v[208:209]
	v_add_f64 v[200:201], v[200:201], v[206:207]
	v_fma_f64 v[206:207], v[4:5], v[34:35], v[210:211]
	v_fma_f64 v[208:209], v[2:3], v[34:35], -v[36:37]
	scratch_load_b128 v[34:37], off, off offset:608
	ds_load_b128 v[2:5], v1 offset:1232
	s_waitcnt vmcnt(9) lgkmcnt(1)
	v_mul_f64 v[204:205], v[192:193], v[190:191]
	v_mul_f64 v[190:191], v[194:195], v[190:191]
	s_waitcnt vmcnt(8) lgkmcnt(0)
	v_mul_f64 v[210:211], v[2:3], v[40:41]
	v_mul_f64 v[40:41], v[4:5], v[40:41]
	v_add_f64 v[202:203], v[202:203], v[196:197]
	v_add_f64 v[200:201], v[200:201], v[198:199]
	ds_load_b128 v[196:199], v1 offset:1248
	v_fma_f64 v[194:195], v[194:195], v[188:189], v[204:205]
	v_fma_f64 v[192:193], v[192:193], v[188:189], -v[190:191]
	scratch_load_b128 v[188:191], off, off offset:624
	v_add_f64 v[202:203], v[202:203], v[208:209]
	v_add_f64 v[200:201], v[200:201], v[206:207]
	v_fma_f64 v[206:207], v[4:5], v[38:39], v[210:211]
	;; [unrolled: 18-line block ×5, first 2 shown]
	v_fma_f64 v[208:209], v[2:3], v[26:27], -v[28:29]
	scratch_load_b128 v[26:29], off, off offset:736
	ds_load_b128 v[2:5], v1 offset:1360
	s_waitcnt vmcnt(9) lgkmcnt(1)
	v_mul_f64 v[204:205], v[192:193], v[32:33]
	v_mul_f64 v[32:33], v[194:195], v[32:33]
	s_waitcnt vmcnt(8) lgkmcnt(0)
	v_mul_f64 v[210:211], v[2:3], v[36:37]
	v_mul_f64 v[36:37], v[4:5], v[36:37]
	v_add_f64 v[202:203], v[202:203], v[196:197]
	v_add_f64 v[200:201], v[200:201], v[198:199]
	ds_load_b128 v[196:199], v1 offset:1376
	v_fma_f64 v[194:195], v[194:195], v[30:31], v[204:205]
	v_fma_f64 v[30:31], v[192:193], v[30:31], -v[32:33]
	v_add_f64 v[32:33], v[202:203], v[208:209]
	v_add_f64 v[192:193], v[200:201], v[206:207]
	s_waitcnt vmcnt(7) lgkmcnt(0)
	v_mul_f64 v[200:201], v[196:197], v[190:191]
	v_mul_f64 v[190:191], v[198:199], v[190:191]
	v_fma_f64 v[202:203], v[4:5], v[34:35], v[210:211]
	v_fma_f64 v[34:35], v[2:3], v[34:35], -v[36:37]
	v_add_f64 v[36:37], v[32:33], v[30:31]
	v_add_f64 v[192:193], v[192:193], v[194:195]
	ds_load_b128 v[2:5], v1 offset:1392
	ds_load_b128 v[30:33], v1 offset:1408
	v_fma_f64 v[198:199], v[198:199], v[188:189], v[200:201]
	v_fma_f64 v[188:189], v[196:197], v[188:189], -v[190:191]
	s_waitcnt vmcnt(6) lgkmcnt(1)
	v_mul_f64 v[194:195], v[2:3], v[40:41]
	v_mul_f64 v[40:41], v[4:5], v[40:41]
	s_waitcnt vmcnt(5) lgkmcnt(0)
	v_mul_f64 v[190:191], v[30:31], v[8:9]
	v_mul_f64 v[8:9], v[32:33], v[8:9]
	v_add_f64 v[34:35], v[36:37], v[34:35]
	v_add_f64 v[36:37], v[192:193], v[202:203]
	v_fma_f64 v[192:193], v[4:5], v[38:39], v[194:195]
	v_fma_f64 v[38:39], v[2:3], v[38:39], -v[40:41]
	v_fma_f64 v[32:33], v[32:33], v[6:7], v[190:191]
	v_fma_f64 v[6:7], v[30:31], v[6:7], -v[8:9]
	v_add_f64 v[40:41], v[34:35], v[188:189]
	v_add_f64 v[188:189], v[36:37], v[198:199]
	ds_load_b128 v[2:5], v1 offset:1424
	ds_load_b128 v[34:37], v1 offset:1440
	s_waitcnt vmcnt(4) lgkmcnt(1)
	v_mul_f64 v[194:195], v[2:3], v[12:13]
	v_mul_f64 v[12:13], v[4:5], v[12:13]
	v_add_f64 v[8:9], v[40:41], v[38:39]
	v_add_f64 v[30:31], v[188:189], v[192:193]
	s_waitcnt vmcnt(3) lgkmcnt(0)
	v_mul_f64 v[38:39], v[34:35], v[16:17]
	v_mul_f64 v[16:17], v[36:37], v[16:17]
	v_fma_f64 v[40:41], v[4:5], v[10:11], v[194:195]
	v_fma_f64 v[10:11], v[2:3], v[10:11], -v[12:13]
	v_add_f64 v[12:13], v[8:9], v[6:7]
	v_add_f64 v[30:31], v[30:31], v[32:33]
	ds_load_b128 v[2:5], v1 offset:1456
	ds_load_b128 v[6:9], v1 offset:1472
	v_fma_f64 v[36:37], v[36:37], v[14:15], v[38:39]
	v_fma_f64 v[14:15], v[34:35], v[14:15], -v[16:17]
	s_waitcnt vmcnt(2) lgkmcnt(1)
	v_mul_f64 v[32:33], v[2:3], v[20:21]
	v_mul_f64 v[20:21], v[4:5], v[20:21]
	s_waitcnt vmcnt(1) lgkmcnt(0)
	v_mul_f64 v[16:17], v[6:7], v[24:25]
	v_mul_f64 v[24:25], v[8:9], v[24:25]
	v_add_f64 v[10:11], v[12:13], v[10:11]
	v_add_f64 v[12:13], v[30:31], v[40:41]
	v_fma_f64 v[30:31], v[4:5], v[18:19], v[32:33]
	v_fma_f64 v[18:19], v[2:3], v[18:19], -v[20:21]
	ds_load_b128 v[2:5], v1 offset:1488
	v_fma_f64 v[8:9], v[8:9], v[22:23], v[16:17]
	v_fma_f64 v[6:7], v[6:7], v[22:23], -v[24:25]
	v_add_f64 v[10:11], v[10:11], v[14:15]
	v_add_f64 v[12:13], v[12:13], v[36:37]
	s_waitcnt vmcnt(0) lgkmcnt(0)
	v_mul_f64 v[14:15], v[2:3], v[28:29]
	v_mul_f64 v[20:21], v[4:5], v[28:29]
	s_delay_alu instid0(VALU_DEP_4) | instskip(NEXT) | instid1(VALU_DEP_4)
	v_add_f64 v[10:11], v[10:11], v[18:19]
	v_add_f64 v[12:13], v[12:13], v[30:31]
	s_delay_alu instid0(VALU_DEP_4) | instskip(NEXT) | instid1(VALU_DEP_4)
	v_fma_f64 v[4:5], v[4:5], v[26:27], v[14:15]
	v_fma_f64 v[2:3], v[2:3], v[26:27], -v[20:21]
	s_delay_alu instid0(VALU_DEP_4) | instskip(NEXT) | instid1(VALU_DEP_4)
	v_add_f64 v[6:7], v[10:11], v[6:7]
	v_add_f64 v[8:9], v[12:13], v[8:9]
	s_delay_alu instid0(VALU_DEP_2) | instskip(NEXT) | instid1(VALU_DEP_2)
	v_add_f64 v[2:3], v[6:7], v[2:3]
	v_add_f64 v[4:5], v[8:9], v[4:5]
	s_delay_alu instid0(VALU_DEP_2) | instskip(NEXT) | instid1(VALU_DEP_2)
	v_add_f64 v[2:3], v[42:43], -v[2:3]
	v_add_f64 v[4:5], v[44:45], -v[4:5]
	scratch_store_b128 off, v[2:5], off offset:144
	v_cmpx_lt_u32_e32 8, v140
	s_cbranch_execz .LBB46_279
; %bb.278:
	scratch_load_b128 v[5:8], v179, off
	v_mov_b32_e32 v2, v1
	v_mov_b32_e32 v3, v1
	;; [unrolled: 1-line block ×3, first 2 shown]
	scratch_store_b128 off, v[1:4], off offset:128
	s_waitcnt vmcnt(0)
	ds_store_b128 v187, v[5:8]
.LBB46_279:
	s_or_b32 exec_lo, exec_lo, s2
	s_waitcnt lgkmcnt(0)
	s_waitcnt_vscnt null, 0x0
	s_barrier
	buffer_gl0_inv
	s_clause 0x8
	scratch_load_b128 v[2:5], off, off offset:144
	scratch_load_b128 v[6:9], off, off offset:160
	scratch_load_b128 v[10:13], off, off offset:176
	scratch_load_b128 v[14:17], off, off offset:192
	scratch_load_b128 v[18:21], off, off offset:208
	scratch_load_b128 v[22:25], off, off offset:224
	scratch_load_b128 v[26:29], off, off offset:240
	scratch_load_b128 v[30:33], off, off offset:256
	scratch_load_b128 v[34:37], off, off offset:272
	ds_load_b128 v[42:45], v1 offset:896
	ds_load_b128 v[38:41], v1 offset:912
	s_clause 0x1
	scratch_load_b128 v[188:191], off, off offset:128
	scratch_load_b128 v[192:195], off, off offset:288
	s_mov_b32 s2, exec_lo
	s_waitcnt vmcnt(10) lgkmcnt(1)
	v_mul_f64 v[196:197], v[44:45], v[4:5]
	v_mul_f64 v[4:5], v[42:43], v[4:5]
	s_waitcnt vmcnt(9) lgkmcnt(0)
	v_mul_f64 v[200:201], v[38:39], v[8:9]
	v_mul_f64 v[8:9], v[40:41], v[8:9]
	s_delay_alu instid0(VALU_DEP_4) | instskip(NEXT) | instid1(VALU_DEP_4)
	v_fma_f64 v[202:203], v[42:43], v[2:3], -v[196:197]
	v_fma_f64 v[204:205], v[44:45], v[2:3], v[4:5]
	ds_load_b128 v[2:5], v1 offset:928
	ds_load_b128 v[196:199], v1 offset:944
	scratch_load_b128 v[42:45], off, off offset:304
	v_fma_f64 v[40:41], v[40:41], v[6:7], v[200:201]
	v_fma_f64 v[38:39], v[38:39], v[6:7], -v[8:9]
	scratch_load_b128 v[6:9], off, off offset:320
	s_waitcnt vmcnt(10) lgkmcnt(1)
	v_mul_f64 v[206:207], v[2:3], v[12:13]
	v_mul_f64 v[12:13], v[4:5], v[12:13]
	v_add_f64 v[200:201], v[202:203], 0
	v_add_f64 v[202:203], v[204:205], 0
	s_waitcnt vmcnt(9) lgkmcnt(0)
	v_mul_f64 v[204:205], v[196:197], v[16:17]
	v_mul_f64 v[16:17], v[198:199], v[16:17]
	v_fma_f64 v[206:207], v[4:5], v[10:11], v[206:207]
	v_fma_f64 v[208:209], v[2:3], v[10:11], -v[12:13]
	ds_load_b128 v[2:5], v1 offset:960
	scratch_load_b128 v[10:13], off, off offset:336
	v_add_f64 v[200:201], v[200:201], v[38:39]
	v_add_f64 v[202:203], v[202:203], v[40:41]
	ds_load_b128 v[38:41], v1 offset:976
	v_fma_f64 v[198:199], v[198:199], v[14:15], v[204:205]
	v_fma_f64 v[196:197], v[196:197], v[14:15], -v[16:17]
	scratch_load_b128 v[14:17], off, off offset:352
	s_waitcnt vmcnt(10) lgkmcnt(1)
	v_mul_f64 v[210:211], v[2:3], v[20:21]
	v_mul_f64 v[20:21], v[4:5], v[20:21]
	s_waitcnt vmcnt(9) lgkmcnt(0)
	v_mul_f64 v[204:205], v[38:39], v[24:25]
	v_mul_f64 v[24:25], v[40:41], v[24:25]
	v_add_f64 v[200:201], v[200:201], v[208:209]
	v_add_f64 v[202:203], v[202:203], v[206:207]
	v_fma_f64 v[206:207], v[4:5], v[18:19], v[210:211]
	v_fma_f64 v[208:209], v[2:3], v[18:19], -v[20:21]
	ds_load_b128 v[2:5], v1 offset:992
	scratch_load_b128 v[18:21], off, off offset:368
	v_fma_f64 v[40:41], v[40:41], v[22:23], v[204:205]
	v_fma_f64 v[38:39], v[38:39], v[22:23], -v[24:25]
	scratch_load_b128 v[22:25], off, off offset:384
	v_add_f64 v[200:201], v[200:201], v[196:197]
	v_add_f64 v[202:203], v[202:203], v[198:199]
	ds_load_b128 v[196:199], v1 offset:1008
	s_waitcnt vmcnt(10) lgkmcnt(1)
	v_mul_f64 v[210:211], v[2:3], v[28:29]
	v_mul_f64 v[28:29], v[4:5], v[28:29]
	s_waitcnt vmcnt(9) lgkmcnt(0)
	v_mul_f64 v[204:205], v[196:197], v[32:33]
	v_mul_f64 v[32:33], v[198:199], v[32:33]
	v_add_f64 v[200:201], v[200:201], v[208:209]
	v_add_f64 v[202:203], v[202:203], v[206:207]
	v_fma_f64 v[206:207], v[4:5], v[26:27], v[210:211]
	v_fma_f64 v[208:209], v[2:3], v[26:27], -v[28:29]
	ds_load_b128 v[2:5], v1 offset:1024
	scratch_load_b128 v[26:29], off, off offset:400
	v_fma_f64 v[198:199], v[198:199], v[30:31], v[204:205]
	v_fma_f64 v[196:197], v[196:197], v[30:31], -v[32:33]
	scratch_load_b128 v[30:33], off, off offset:416
	v_add_f64 v[200:201], v[200:201], v[38:39]
	v_add_f64 v[202:203], v[202:203], v[40:41]
	ds_load_b128 v[38:41], v1 offset:1040
	s_waitcnt vmcnt(10) lgkmcnt(1)
	v_mul_f64 v[210:211], v[2:3], v[36:37]
	v_mul_f64 v[36:37], v[4:5], v[36:37]
	s_waitcnt vmcnt(8) lgkmcnt(0)
	v_mul_f64 v[204:205], v[38:39], v[194:195]
	v_add_f64 v[200:201], v[200:201], v[208:209]
	v_add_f64 v[202:203], v[202:203], v[206:207]
	v_mul_f64 v[206:207], v[40:41], v[194:195]
	v_fma_f64 v[208:209], v[4:5], v[34:35], v[210:211]
	v_fma_f64 v[210:211], v[2:3], v[34:35], -v[36:37]
	ds_load_b128 v[2:5], v1 offset:1056
	scratch_load_b128 v[34:37], off, off offset:432
	v_fma_f64 v[204:205], v[40:41], v[192:193], v[204:205]
	v_add_f64 v[200:201], v[200:201], v[196:197]
	v_add_f64 v[198:199], v[202:203], v[198:199]
	ds_load_b128 v[194:197], v1 offset:1072
	v_fma_f64 v[192:193], v[38:39], v[192:193], -v[206:207]
	scratch_load_b128 v[38:41], off, off offset:448
	s_waitcnt vmcnt(9) lgkmcnt(1)
	v_mul_f64 v[202:203], v[2:3], v[44:45]
	v_mul_f64 v[44:45], v[4:5], v[44:45]
	s_waitcnt vmcnt(8) lgkmcnt(0)
	v_mul_f64 v[206:207], v[194:195], v[8:9]
	v_mul_f64 v[8:9], v[196:197], v[8:9]
	v_add_f64 v[200:201], v[200:201], v[210:211]
	v_add_f64 v[198:199], v[198:199], v[208:209]
	v_fma_f64 v[202:203], v[4:5], v[42:43], v[202:203]
	v_fma_f64 v[208:209], v[2:3], v[42:43], -v[44:45]
	ds_load_b128 v[2:5], v1 offset:1088
	scratch_load_b128 v[42:45], off, off offset:464
	v_fma_f64 v[196:197], v[196:197], v[6:7], v[206:207]
	v_fma_f64 v[194:195], v[194:195], v[6:7], -v[8:9]
	scratch_load_b128 v[6:9], off, off offset:480
	v_add_f64 v[192:193], v[200:201], v[192:193]
	v_add_f64 v[204:205], v[198:199], v[204:205]
	ds_load_b128 v[198:201], v1 offset:1104
	s_waitcnt vmcnt(9) lgkmcnt(1)
	v_mul_f64 v[210:211], v[2:3], v[12:13]
	v_mul_f64 v[12:13], v[4:5], v[12:13]
	v_add_f64 v[192:193], v[192:193], v[208:209]
	v_add_f64 v[202:203], v[204:205], v[202:203]
	s_waitcnt vmcnt(8) lgkmcnt(0)
	v_mul_f64 v[204:205], v[198:199], v[16:17]
	v_mul_f64 v[16:17], v[200:201], v[16:17]
	v_fma_f64 v[206:207], v[4:5], v[10:11], v[210:211]
	v_fma_f64 v[208:209], v[2:3], v[10:11], -v[12:13]
	ds_load_b128 v[2:5], v1 offset:1120
	scratch_load_b128 v[10:13], off, off offset:496
	v_add_f64 v[210:211], v[192:193], v[194:195]
	v_add_f64 v[196:197], v[202:203], v[196:197]
	ds_load_b128 v[192:195], v1 offset:1136
	s_waitcnt vmcnt(8) lgkmcnt(1)
	v_mul_f64 v[202:203], v[2:3], v[20:21]
	v_mul_f64 v[20:21], v[4:5], v[20:21]
	v_fma_f64 v[200:201], v[200:201], v[14:15], v[204:205]
	v_fma_f64 v[198:199], v[198:199], v[14:15], -v[16:17]
	scratch_load_b128 v[14:17], off, off offset:512
	v_add_f64 v[204:205], v[210:211], v[208:209]
	v_add_f64 v[196:197], v[196:197], v[206:207]
	s_waitcnt vmcnt(8) lgkmcnt(0)
	v_mul_f64 v[206:207], v[192:193], v[24:25]
	v_mul_f64 v[24:25], v[194:195], v[24:25]
	v_fma_f64 v[202:203], v[4:5], v[18:19], v[202:203]
	v_fma_f64 v[208:209], v[2:3], v[18:19], -v[20:21]
	ds_load_b128 v[2:5], v1 offset:1152
	scratch_load_b128 v[18:21], off, off offset:528
	v_add_f64 v[204:205], v[204:205], v[198:199]
	v_add_f64 v[200:201], v[196:197], v[200:201]
	ds_load_b128 v[196:199], v1 offset:1168
	s_waitcnt vmcnt(8) lgkmcnt(1)
	v_mul_f64 v[210:211], v[2:3], v[28:29]
	v_mul_f64 v[28:29], v[4:5], v[28:29]
	v_fma_f64 v[194:195], v[194:195], v[22:23], v[206:207]
	v_fma_f64 v[192:193], v[192:193], v[22:23], -v[24:25]
	scratch_load_b128 v[22:25], off, off offset:544
	;; [unrolled: 18-line block ×4, first 2 shown]
	s_waitcnt vmcnt(8) lgkmcnt(0)
	v_mul_f64 v[204:205], v[196:197], v[8:9]
	v_mul_f64 v[8:9], v[198:199], v[8:9]
	v_add_f64 v[202:203], v[202:203], v[208:209]
	v_add_f64 v[200:201], v[200:201], v[206:207]
	v_fma_f64 v[206:207], v[4:5], v[42:43], v[210:211]
	v_fma_f64 v[208:209], v[2:3], v[42:43], -v[44:45]
	ds_load_b128 v[2:5], v1 offset:1248
	scratch_load_b128 v[42:45], off, off offset:624
	v_fma_f64 v[198:199], v[198:199], v[6:7], v[204:205]
	v_fma_f64 v[196:197], v[196:197], v[6:7], -v[8:9]
	scratch_load_b128 v[6:9], off, off offset:640
	v_add_f64 v[202:203], v[202:203], v[192:193]
	v_add_f64 v[200:201], v[200:201], v[194:195]
	ds_load_b128 v[192:195], v1 offset:1264
	s_waitcnt vmcnt(9) lgkmcnt(1)
	v_mul_f64 v[210:211], v[2:3], v[12:13]
	v_mul_f64 v[12:13], v[4:5], v[12:13]
	s_waitcnt vmcnt(8) lgkmcnt(0)
	v_mul_f64 v[204:205], v[192:193], v[16:17]
	v_mul_f64 v[16:17], v[194:195], v[16:17]
	v_add_f64 v[202:203], v[202:203], v[208:209]
	v_add_f64 v[200:201], v[200:201], v[206:207]
	v_fma_f64 v[206:207], v[4:5], v[10:11], v[210:211]
	v_fma_f64 v[208:209], v[2:3], v[10:11], -v[12:13]
	ds_load_b128 v[2:5], v1 offset:1280
	scratch_load_b128 v[10:13], off, off offset:656
	v_fma_f64 v[194:195], v[194:195], v[14:15], v[204:205]
	v_fma_f64 v[192:193], v[192:193], v[14:15], -v[16:17]
	scratch_load_b128 v[14:17], off, off offset:672
	v_add_f64 v[202:203], v[202:203], v[196:197]
	v_add_f64 v[200:201], v[200:201], v[198:199]
	ds_load_b128 v[196:199], v1 offset:1296
	s_waitcnt vmcnt(9) lgkmcnt(1)
	v_mul_f64 v[210:211], v[2:3], v[20:21]
	v_mul_f64 v[20:21], v[4:5], v[20:21]
	;; [unrolled: 18-line block ×4, first 2 shown]
	s_waitcnt vmcnt(8) lgkmcnt(0)
	v_mul_f64 v[204:205], v[196:197], v[40:41]
	v_mul_f64 v[40:41], v[198:199], v[40:41]
	v_add_f64 v[202:203], v[202:203], v[208:209]
	v_add_f64 v[200:201], v[200:201], v[206:207]
	v_fma_f64 v[206:207], v[4:5], v[34:35], v[210:211]
	v_fma_f64 v[208:209], v[2:3], v[34:35], -v[36:37]
	ds_load_b128 v[2:5], v1 offset:1376
	ds_load_b128 v[34:37], v1 offset:1392
	v_fma_f64 v[198:199], v[198:199], v[38:39], v[204:205]
	v_fma_f64 v[38:39], v[196:197], v[38:39], -v[40:41]
	v_add_f64 v[192:193], v[202:203], v[192:193]
	v_add_f64 v[194:195], v[200:201], v[194:195]
	s_waitcnt vmcnt(7) lgkmcnt(1)
	v_mul_f64 v[200:201], v[2:3], v[44:45]
	v_mul_f64 v[44:45], v[4:5], v[44:45]
	s_delay_alu instid0(VALU_DEP_4) | instskip(NEXT) | instid1(VALU_DEP_4)
	v_add_f64 v[40:41], v[192:193], v[208:209]
	v_add_f64 v[192:193], v[194:195], v[206:207]
	s_waitcnt vmcnt(6) lgkmcnt(0)
	v_mul_f64 v[194:195], v[34:35], v[8:9]
	v_mul_f64 v[8:9], v[36:37], v[8:9]
	v_fma_f64 v[196:197], v[4:5], v[42:43], v[200:201]
	v_fma_f64 v[42:43], v[2:3], v[42:43], -v[44:45]
	v_add_f64 v[44:45], v[40:41], v[38:39]
	v_add_f64 v[192:193], v[192:193], v[198:199]
	ds_load_b128 v[2:5], v1 offset:1408
	ds_load_b128 v[38:41], v1 offset:1424
	v_fma_f64 v[36:37], v[36:37], v[6:7], v[194:195]
	v_fma_f64 v[6:7], v[34:35], v[6:7], -v[8:9]
	s_waitcnt vmcnt(5) lgkmcnt(1)
	v_mul_f64 v[198:199], v[2:3], v[12:13]
	v_mul_f64 v[12:13], v[4:5], v[12:13]
	v_add_f64 v[8:9], v[44:45], v[42:43]
	v_add_f64 v[34:35], v[192:193], v[196:197]
	s_waitcnt vmcnt(4) lgkmcnt(0)
	v_mul_f64 v[42:43], v[38:39], v[16:17]
	v_mul_f64 v[16:17], v[40:41], v[16:17]
	v_fma_f64 v[44:45], v[4:5], v[10:11], v[198:199]
	v_fma_f64 v[10:11], v[2:3], v[10:11], -v[12:13]
	v_add_f64 v[12:13], v[8:9], v[6:7]
	v_add_f64 v[34:35], v[34:35], v[36:37]
	ds_load_b128 v[2:5], v1 offset:1440
	ds_load_b128 v[6:9], v1 offset:1456
	v_fma_f64 v[40:41], v[40:41], v[14:15], v[42:43]
	v_fma_f64 v[14:15], v[38:39], v[14:15], -v[16:17]
	s_waitcnt vmcnt(3) lgkmcnt(1)
	v_mul_f64 v[36:37], v[2:3], v[20:21]
	v_mul_f64 v[20:21], v[4:5], v[20:21]
	s_waitcnt vmcnt(2) lgkmcnt(0)
	v_mul_f64 v[16:17], v[6:7], v[24:25]
	v_mul_f64 v[24:25], v[8:9], v[24:25]
	v_add_f64 v[10:11], v[12:13], v[10:11]
	v_add_f64 v[12:13], v[34:35], v[44:45]
	v_fma_f64 v[34:35], v[4:5], v[18:19], v[36:37]
	v_fma_f64 v[18:19], v[2:3], v[18:19], -v[20:21]
	v_fma_f64 v[8:9], v[8:9], v[22:23], v[16:17]
	v_fma_f64 v[6:7], v[6:7], v[22:23], -v[24:25]
	v_add_f64 v[14:15], v[10:11], v[14:15]
	v_add_f64 v[20:21], v[12:13], v[40:41]
	ds_load_b128 v[2:5], v1 offset:1472
	ds_load_b128 v[10:13], v1 offset:1488
	s_waitcnt vmcnt(1) lgkmcnt(1)
	v_mul_f64 v[36:37], v[2:3], v[28:29]
	v_mul_f64 v[28:29], v[4:5], v[28:29]
	v_add_f64 v[14:15], v[14:15], v[18:19]
	v_add_f64 v[16:17], v[20:21], v[34:35]
	s_waitcnt vmcnt(0) lgkmcnt(0)
	v_mul_f64 v[18:19], v[10:11], v[32:33]
	v_mul_f64 v[20:21], v[12:13], v[32:33]
	v_fma_f64 v[4:5], v[4:5], v[26:27], v[36:37]
	v_fma_f64 v[1:2], v[2:3], v[26:27], -v[28:29]
	v_add_f64 v[6:7], v[14:15], v[6:7]
	v_add_f64 v[8:9], v[16:17], v[8:9]
	v_fma_f64 v[12:13], v[12:13], v[30:31], v[18:19]
	v_fma_f64 v[10:11], v[10:11], v[30:31], -v[20:21]
	s_delay_alu instid0(VALU_DEP_4) | instskip(NEXT) | instid1(VALU_DEP_4)
	v_add_f64 v[1:2], v[6:7], v[1:2]
	v_add_f64 v[3:4], v[8:9], v[4:5]
	s_delay_alu instid0(VALU_DEP_2) | instskip(NEXT) | instid1(VALU_DEP_2)
	v_add_f64 v[1:2], v[1:2], v[10:11]
	v_add_f64 v[3:4], v[3:4], v[12:13]
	s_delay_alu instid0(VALU_DEP_2) | instskip(NEXT) | instid1(VALU_DEP_2)
	v_add_f64 v[1:2], v[188:189], -v[1:2]
	v_add_f64 v[3:4], v[190:191], -v[3:4]
	scratch_store_b128 off, v[1:4], off offset:128
	v_cmpx_lt_u32_e32 7, v140
	s_cbranch_execz .LBB46_281
; %bb.280:
	scratch_load_b128 v[1:4], v180, off
	v_mov_b32_e32 v5, 0
	s_delay_alu instid0(VALU_DEP_1)
	v_mov_b32_e32 v6, v5
	v_mov_b32_e32 v7, v5
	;; [unrolled: 1-line block ×3, first 2 shown]
	scratch_store_b128 off, v[5:8], off offset:112
	s_waitcnt vmcnt(0)
	ds_store_b128 v187, v[1:4]
.LBB46_281:
	s_or_b32 exec_lo, exec_lo, s2
	s_waitcnt lgkmcnt(0)
	s_waitcnt_vscnt null, 0x0
	s_barrier
	buffer_gl0_inv
	s_clause 0x7
	scratch_load_b128 v[2:5], off, off offset:128
	scratch_load_b128 v[6:9], off, off offset:144
	;; [unrolled: 1-line block ×8, first 2 shown]
	v_mov_b32_e32 v1, 0
	s_mov_b32 s2, exec_lo
	ds_load_b128 v[38:41], v1 offset:880
	s_clause 0x1
	scratch_load_b128 v[34:37], off, off offset:256
	scratch_load_b128 v[42:45], off, off offset:112
	ds_load_b128 v[188:191], v1 offset:896
	scratch_load_b128 v[192:195], off, off offset:272
	s_waitcnt vmcnt(10) lgkmcnt(1)
	v_mul_f64 v[196:197], v[40:41], v[4:5]
	v_mul_f64 v[4:5], v[38:39], v[4:5]
	s_delay_alu instid0(VALU_DEP_2) | instskip(NEXT) | instid1(VALU_DEP_2)
	v_fma_f64 v[202:203], v[38:39], v[2:3], -v[196:197]
	v_fma_f64 v[204:205], v[40:41], v[2:3], v[4:5]
	scratch_load_b128 v[38:41], off, off offset:288
	ds_load_b128 v[2:5], v1 offset:912
	s_waitcnt vmcnt(10) lgkmcnt(1)
	v_mul_f64 v[200:201], v[188:189], v[8:9]
	v_mul_f64 v[8:9], v[190:191], v[8:9]
	ds_load_b128 v[196:199], v1 offset:928
	s_waitcnt vmcnt(9) lgkmcnt(1)
	v_mul_f64 v[206:207], v[2:3], v[12:13]
	v_mul_f64 v[12:13], v[4:5], v[12:13]
	v_fma_f64 v[190:191], v[190:191], v[6:7], v[200:201]
	v_fma_f64 v[188:189], v[188:189], v[6:7], -v[8:9]
	v_add_f64 v[200:201], v[202:203], 0
	v_add_f64 v[202:203], v[204:205], 0
	scratch_load_b128 v[6:9], off, off offset:304
	v_fma_f64 v[206:207], v[4:5], v[10:11], v[206:207]
	v_fma_f64 v[208:209], v[2:3], v[10:11], -v[12:13]
	scratch_load_b128 v[10:13], off, off offset:320
	ds_load_b128 v[2:5], v1 offset:944
	s_waitcnt vmcnt(10) lgkmcnt(1)
	v_mul_f64 v[204:205], v[196:197], v[16:17]
	v_mul_f64 v[16:17], v[198:199], v[16:17]
	v_add_f64 v[200:201], v[200:201], v[188:189]
	v_add_f64 v[202:203], v[202:203], v[190:191]
	s_waitcnt vmcnt(9) lgkmcnt(0)
	v_mul_f64 v[210:211], v[2:3], v[20:21]
	v_mul_f64 v[20:21], v[4:5], v[20:21]
	ds_load_b128 v[188:191], v1 offset:960
	v_fma_f64 v[198:199], v[198:199], v[14:15], v[204:205]
	v_fma_f64 v[196:197], v[196:197], v[14:15], -v[16:17]
	scratch_load_b128 v[14:17], off, off offset:336
	v_add_f64 v[200:201], v[200:201], v[208:209]
	v_add_f64 v[202:203], v[202:203], v[206:207]
	v_fma_f64 v[206:207], v[4:5], v[18:19], v[210:211]
	v_fma_f64 v[208:209], v[2:3], v[18:19], -v[20:21]
	scratch_load_b128 v[18:21], off, off offset:352
	ds_load_b128 v[2:5], v1 offset:976
	s_waitcnt vmcnt(10) lgkmcnt(1)
	v_mul_f64 v[204:205], v[188:189], v[24:25]
	v_mul_f64 v[24:25], v[190:191], v[24:25]
	s_waitcnt vmcnt(9) lgkmcnt(0)
	v_mul_f64 v[210:211], v[2:3], v[28:29]
	v_mul_f64 v[28:29], v[4:5], v[28:29]
	v_add_f64 v[200:201], v[200:201], v[196:197]
	v_add_f64 v[202:203], v[202:203], v[198:199]
	ds_load_b128 v[196:199], v1 offset:992
	v_fma_f64 v[190:191], v[190:191], v[22:23], v[204:205]
	v_fma_f64 v[188:189], v[188:189], v[22:23], -v[24:25]
	scratch_load_b128 v[22:25], off, off offset:368
	v_add_f64 v[200:201], v[200:201], v[208:209]
	v_add_f64 v[202:203], v[202:203], v[206:207]
	v_fma_f64 v[206:207], v[4:5], v[26:27], v[210:211]
	v_fma_f64 v[208:209], v[2:3], v[26:27], -v[28:29]
	scratch_load_b128 v[26:29], off, off offset:384
	ds_load_b128 v[2:5], v1 offset:1008
	s_waitcnt vmcnt(10) lgkmcnt(1)
	v_mul_f64 v[204:205], v[196:197], v[32:33]
	v_mul_f64 v[32:33], v[198:199], v[32:33]
	s_waitcnt vmcnt(9) lgkmcnt(0)
	v_mul_f64 v[210:211], v[2:3], v[36:37]
	v_mul_f64 v[36:37], v[4:5], v[36:37]
	v_add_f64 v[200:201], v[200:201], v[188:189]
	v_add_f64 v[202:203], v[202:203], v[190:191]
	ds_load_b128 v[188:191], v1 offset:1024
	v_fma_f64 v[198:199], v[198:199], v[30:31], v[204:205]
	v_fma_f64 v[196:197], v[196:197], v[30:31], -v[32:33]
	scratch_load_b128 v[30:33], off, off offset:400
	v_add_f64 v[200:201], v[200:201], v[208:209]
	v_add_f64 v[202:203], v[202:203], v[206:207]
	v_fma_f64 v[208:209], v[4:5], v[34:35], v[210:211]
	v_fma_f64 v[210:211], v[2:3], v[34:35], -v[36:37]
	scratch_load_b128 v[34:37], off, off offset:416
	ds_load_b128 v[2:5], v1 offset:1040
	s_waitcnt vmcnt(9) lgkmcnt(1)
	v_mul_f64 v[204:205], v[188:189], v[194:195]
	v_mul_f64 v[206:207], v[190:191], v[194:195]
	v_add_f64 v[200:201], v[200:201], v[196:197]
	v_add_f64 v[198:199], v[202:203], v[198:199]
	ds_load_b128 v[194:197], v1 offset:1056
	v_fma_f64 v[204:205], v[190:191], v[192:193], v[204:205]
	v_fma_f64 v[192:193], v[188:189], v[192:193], -v[206:207]
	scratch_load_b128 v[188:191], off, off offset:432
	s_waitcnt vmcnt(9) lgkmcnt(1)
	v_mul_f64 v[202:203], v[2:3], v[40:41]
	v_mul_f64 v[40:41], v[4:5], v[40:41]
	v_add_f64 v[200:201], v[200:201], v[210:211]
	v_add_f64 v[198:199], v[198:199], v[208:209]
	s_delay_alu instid0(VALU_DEP_4) | instskip(NEXT) | instid1(VALU_DEP_4)
	v_fma_f64 v[202:203], v[4:5], v[38:39], v[202:203]
	v_fma_f64 v[208:209], v[2:3], v[38:39], -v[40:41]
	scratch_load_b128 v[38:41], off, off offset:448
	ds_load_b128 v[2:5], v1 offset:1072
	s_waitcnt vmcnt(9) lgkmcnt(1)
	v_mul_f64 v[206:207], v[194:195], v[8:9]
	v_mul_f64 v[8:9], v[196:197], v[8:9]
	s_waitcnt vmcnt(8) lgkmcnt(0)
	v_mul_f64 v[210:211], v[2:3], v[12:13]
	v_mul_f64 v[12:13], v[4:5], v[12:13]
	v_add_f64 v[192:193], v[200:201], v[192:193]
	v_add_f64 v[204:205], v[198:199], v[204:205]
	ds_load_b128 v[198:201], v1 offset:1088
	v_fma_f64 v[196:197], v[196:197], v[6:7], v[206:207]
	v_fma_f64 v[194:195], v[194:195], v[6:7], -v[8:9]
	scratch_load_b128 v[6:9], off, off offset:464
	v_fma_f64 v[206:207], v[4:5], v[10:11], v[210:211]
	v_add_f64 v[192:193], v[192:193], v[208:209]
	v_add_f64 v[202:203], v[204:205], v[202:203]
	v_fma_f64 v[208:209], v[2:3], v[10:11], -v[12:13]
	scratch_load_b128 v[10:13], off, off offset:480
	ds_load_b128 v[2:5], v1 offset:1104
	s_waitcnt vmcnt(9) lgkmcnt(1)
	v_mul_f64 v[204:205], v[198:199], v[16:17]
	v_mul_f64 v[16:17], v[200:201], v[16:17]
	v_add_f64 v[210:211], v[192:193], v[194:195]
	v_add_f64 v[196:197], v[202:203], v[196:197]
	s_waitcnt vmcnt(8) lgkmcnt(0)
	v_mul_f64 v[202:203], v[2:3], v[20:21]
	v_mul_f64 v[20:21], v[4:5], v[20:21]
	ds_load_b128 v[192:195], v1 offset:1120
	v_fma_f64 v[200:201], v[200:201], v[14:15], v[204:205]
	v_fma_f64 v[198:199], v[198:199], v[14:15], -v[16:17]
	scratch_load_b128 v[14:17], off, off offset:496
	v_add_f64 v[204:205], v[210:211], v[208:209]
	v_add_f64 v[196:197], v[196:197], v[206:207]
	v_fma_f64 v[202:203], v[4:5], v[18:19], v[202:203]
	v_fma_f64 v[208:209], v[2:3], v[18:19], -v[20:21]
	scratch_load_b128 v[18:21], off, off offset:512
	ds_load_b128 v[2:5], v1 offset:1136
	s_waitcnt vmcnt(9) lgkmcnt(1)
	v_mul_f64 v[206:207], v[192:193], v[24:25]
	v_mul_f64 v[24:25], v[194:195], v[24:25]
	s_waitcnt vmcnt(8) lgkmcnt(0)
	v_mul_f64 v[210:211], v[2:3], v[28:29]
	v_mul_f64 v[28:29], v[4:5], v[28:29]
	v_add_f64 v[204:205], v[204:205], v[198:199]
	v_add_f64 v[200:201], v[196:197], v[200:201]
	ds_load_b128 v[196:199], v1 offset:1152
	v_fma_f64 v[194:195], v[194:195], v[22:23], v[206:207]
	v_fma_f64 v[192:193], v[192:193], v[22:23], -v[24:25]
	scratch_load_b128 v[22:25], off, off offset:528
	v_fma_f64 v[206:207], v[4:5], v[26:27], v[210:211]
	v_add_f64 v[204:205], v[204:205], v[208:209]
	v_add_f64 v[200:201], v[200:201], v[202:203]
	v_fma_f64 v[208:209], v[2:3], v[26:27], -v[28:29]
	scratch_load_b128 v[26:29], off, off offset:544
	ds_load_b128 v[2:5], v1 offset:1168
	s_waitcnt vmcnt(9) lgkmcnt(1)
	v_mul_f64 v[202:203], v[196:197], v[32:33]
	v_mul_f64 v[32:33], v[198:199], v[32:33]
	s_waitcnt vmcnt(8) lgkmcnt(0)
	v_mul_f64 v[210:211], v[2:3], v[36:37]
	v_mul_f64 v[36:37], v[4:5], v[36:37]
	v_add_f64 v[204:205], v[204:205], v[192:193]
	v_add_f64 v[200:201], v[200:201], v[194:195]
	ds_load_b128 v[192:195], v1 offset:1184
	v_fma_f64 v[198:199], v[198:199], v[30:31], v[202:203]
	v_fma_f64 v[196:197], v[196:197], v[30:31], -v[32:33]
	scratch_load_b128 v[30:33], off, off offset:560
	v_add_f64 v[202:203], v[204:205], v[208:209]
	v_add_f64 v[200:201], v[200:201], v[206:207]
	v_fma_f64 v[206:207], v[4:5], v[34:35], v[210:211]
	v_fma_f64 v[208:209], v[2:3], v[34:35], -v[36:37]
	scratch_load_b128 v[34:37], off, off offset:576
	ds_load_b128 v[2:5], v1 offset:1200
	s_waitcnt vmcnt(9) lgkmcnt(1)
	v_mul_f64 v[204:205], v[192:193], v[190:191]
	v_mul_f64 v[190:191], v[194:195], v[190:191]
	s_waitcnt vmcnt(8) lgkmcnt(0)
	v_mul_f64 v[210:211], v[2:3], v[40:41]
	v_mul_f64 v[40:41], v[4:5], v[40:41]
	v_add_f64 v[202:203], v[202:203], v[196:197]
	v_add_f64 v[200:201], v[200:201], v[198:199]
	ds_load_b128 v[196:199], v1 offset:1216
	v_fma_f64 v[194:195], v[194:195], v[188:189], v[204:205]
	v_fma_f64 v[192:193], v[192:193], v[188:189], -v[190:191]
	scratch_load_b128 v[188:191], off, off offset:592
	v_add_f64 v[202:203], v[202:203], v[208:209]
	v_add_f64 v[200:201], v[200:201], v[206:207]
	v_fma_f64 v[206:207], v[4:5], v[38:39], v[210:211]
	;; [unrolled: 18-line block ×6, first 2 shown]
	v_fma_f64 v[210:211], v[2:3], v[34:35], -v[36:37]
	scratch_load_b128 v[34:37], off, off offset:736
	ds_load_b128 v[2:5], v1 offset:1360
	s_waitcnt vmcnt(9) lgkmcnt(1)
	v_mul_f64 v[204:205], v[196:197], v[190:191]
	v_mul_f64 v[206:207], v[198:199], v[190:191]
	v_add_f64 v[202:203], v[202:203], v[192:193]
	v_add_f64 v[194:195], v[200:201], v[194:195]
	s_waitcnt vmcnt(8) lgkmcnt(0)
	v_mul_f64 v[200:201], v[2:3], v[40:41]
	v_mul_f64 v[40:41], v[4:5], v[40:41]
	ds_load_b128 v[190:193], v1 offset:1376
	v_fma_f64 v[198:199], v[198:199], v[188:189], v[204:205]
	v_fma_f64 v[188:189], v[196:197], v[188:189], -v[206:207]
	v_add_f64 v[196:197], v[202:203], v[210:211]
	v_add_f64 v[194:195], v[194:195], v[208:209]
	s_waitcnt vmcnt(7) lgkmcnt(0)
	v_mul_f64 v[202:203], v[190:191], v[8:9]
	v_mul_f64 v[8:9], v[192:193], v[8:9]
	v_fma_f64 v[200:201], v[4:5], v[38:39], v[200:201]
	v_fma_f64 v[204:205], v[2:3], v[38:39], -v[40:41]
	ds_load_b128 v[2:5], v1 offset:1392
	ds_load_b128 v[38:41], v1 offset:1408
	v_add_f64 v[188:189], v[196:197], v[188:189]
	v_add_f64 v[194:195], v[194:195], v[198:199]
	s_waitcnt vmcnt(6) lgkmcnt(1)
	v_mul_f64 v[196:197], v[2:3], v[12:13]
	v_mul_f64 v[12:13], v[4:5], v[12:13]
	v_fma_f64 v[192:193], v[192:193], v[6:7], v[202:203]
	v_fma_f64 v[6:7], v[190:191], v[6:7], -v[8:9]
	s_waitcnt vmcnt(5) lgkmcnt(0)
	v_mul_f64 v[190:191], v[38:39], v[16:17]
	v_mul_f64 v[16:17], v[40:41], v[16:17]
	v_add_f64 v[8:9], v[188:189], v[204:205]
	v_add_f64 v[188:189], v[194:195], v[200:201]
	v_fma_f64 v[194:195], v[4:5], v[10:11], v[196:197]
	v_fma_f64 v[10:11], v[2:3], v[10:11], -v[12:13]
	v_fma_f64 v[40:41], v[40:41], v[14:15], v[190:191]
	v_fma_f64 v[14:15], v[38:39], v[14:15], -v[16:17]
	v_add_f64 v[12:13], v[8:9], v[6:7]
	v_add_f64 v[188:189], v[188:189], v[192:193]
	ds_load_b128 v[2:5], v1 offset:1424
	ds_load_b128 v[6:9], v1 offset:1440
	s_waitcnt vmcnt(4) lgkmcnt(1)
	v_mul_f64 v[192:193], v[2:3], v[20:21]
	v_mul_f64 v[20:21], v[4:5], v[20:21]
	s_waitcnt vmcnt(3) lgkmcnt(0)
	v_mul_f64 v[16:17], v[6:7], v[24:25]
	v_mul_f64 v[24:25], v[8:9], v[24:25]
	v_add_f64 v[10:11], v[12:13], v[10:11]
	v_add_f64 v[12:13], v[188:189], v[194:195]
	v_fma_f64 v[38:39], v[4:5], v[18:19], v[192:193]
	v_fma_f64 v[18:19], v[2:3], v[18:19], -v[20:21]
	v_fma_f64 v[8:9], v[8:9], v[22:23], v[16:17]
	v_fma_f64 v[6:7], v[6:7], v[22:23], -v[24:25]
	v_add_f64 v[14:15], v[10:11], v[14:15]
	v_add_f64 v[20:21], v[12:13], v[40:41]
	ds_load_b128 v[2:5], v1 offset:1456
	ds_load_b128 v[10:13], v1 offset:1472
	s_waitcnt vmcnt(2) lgkmcnt(1)
	v_mul_f64 v[40:41], v[2:3], v[28:29]
	v_mul_f64 v[28:29], v[4:5], v[28:29]
	v_add_f64 v[14:15], v[14:15], v[18:19]
	v_add_f64 v[16:17], v[20:21], v[38:39]
	s_waitcnt vmcnt(1) lgkmcnt(0)
	v_mul_f64 v[18:19], v[10:11], v[32:33]
	v_mul_f64 v[20:21], v[12:13], v[32:33]
	v_fma_f64 v[22:23], v[4:5], v[26:27], v[40:41]
	v_fma_f64 v[24:25], v[2:3], v[26:27], -v[28:29]
	ds_load_b128 v[2:5], v1 offset:1488
	v_add_f64 v[6:7], v[14:15], v[6:7]
	v_add_f64 v[8:9], v[16:17], v[8:9]
	v_fma_f64 v[12:13], v[12:13], v[30:31], v[18:19]
	v_fma_f64 v[10:11], v[10:11], v[30:31], -v[20:21]
	s_waitcnt vmcnt(0) lgkmcnt(0)
	v_mul_f64 v[14:15], v[2:3], v[36:37]
	v_mul_f64 v[16:17], v[4:5], v[36:37]
	v_add_f64 v[6:7], v[6:7], v[24:25]
	v_add_f64 v[8:9], v[8:9], v[22:23]
	s_delay_alu instid0(VALU_DEP_4) | instskip(NEXT) | instid1(VALU_DEP_4)
	v_fma_f64 v[4:5], v[4:5], v[34:35], v[14:15]
	v_fma_f64 v[2:3], v[2:3], v[34:35], -v[16:17]
	s_delay_alu instid0(VALU_DEP_4) | instskip(NEXT) | instid1(VALU_DEP_4)
	v_add_f64 v[6:7], v[6:7], v[10:11]
	v_add_f64 v[8:9], v[8:9], v[12:13]
	s_delay_alu instid0(VALU_DEP_2) | instskip(NEXT) | instid1(VALU_DEP_2)
	v_add_f64 v[2:3], v[6:7], v[2:3]
	v_add_f64 v[4:5], v[8:9], v[4:5]
	s_delay_alu instid0(VALU_DEP_2) | instskip(NEXT) | instid1(VALU_DEP_2)
	v_add_f64 v[2:3], v[42:43], -v[2:3]
	v_add_f64 v[4:5], v[44:45], -v[4:5]
	scratch_store_b128 off, v[2:5], off offset:112
	v_cmpx_lt_u32_e32 6, v140
	s_cbranch_execz .LBB46_283
; %bb.282:
	scratch_load_b128 v[5:8], v181, off
	v_mov_b32_e32 v2, v1
	v_mov_b32_e32 v3, v1
	;; [unrolled: 1-line block ×3, first 2 shown]
	scratch_store_b128 off, v[1:4], off offset:96
	s_waitcnt vmcnt(0)
	ds_store_b128 v187, v[5:8]
.LBB46_283:
	s_or_b32 exec_lo, exec_lo, s2
	s_waitcnt lgkmcnt(0)
	s_waitcnt_vscnt null, 0x0
	s_barrier
	buffer_gl0_inv
	s_clause 0x8
	scratch_load_b128 v[2:5], off, off offset:112
	scratch_load_b128 v[6:9], off, off offset:128
	;; [unrolled: 1-line block ×9, first 2 shown]
	ds_load_b128 v[42:45], v1 offset:864
	ds_load_b128 v[38:41], v1 offset:880
	s_clause 0x1
	scratch_load_b128 v[188:191], off, off offset:96
	scratch_load_b128 v[192:195], off, off offset:256
	s_mov_b32 s2, exec_lo
	s_waitcnt vmcnt(10) lgkmcnt(1)
	v_mul_f64 v[196:197], v[44:45], v[4:5]
	v_mul_f64 v[4:5], v[42:43], v[4:5]
	s_waitcnt vmcnt(9) lgkmcnt(0)
	v_mul_f64 v[200:201], v[38:39], v[8:9]
	v_mul_f64 v[8:9], v[40:41], v[8:9]
	s_delay_alu instid0(VALU_DEP_4) | instskip(NEXT) | instid1(VALU_DEP_4)
	v_fma_f64 v[202:203], v[42:43], v[2:3], -v[196:197]
	v_fma_f64 v[204:205], v[44:45], v[2:3], v[4:5]
	ds_load_b128 v[2:5], v1 offset:896
	ds_load_b128 v[196:199], v1 offset:912
	scratch_load_b128 v[42:45], off, off offset:272
	v_fma_f64 v[40:41], v[40:41], v[6:7], v[200:201]
	v_fma_f64 v[38:39], v[38:39], v[6:7], -v[8:9]
	scratch_load_b128 v[6:9], off, off offset:288
	s_waitcnt vmcnt(10) lgkmcnt(1)
	v_mul_f64 v[206:207], v[2:3], v[12:13]
	v_mul_f64 v[12:13], v[4:5], v[12:13]
	v_add_f64 v[200:201], v[202:203], 0
	v_add_f64 v[202:203], v[204:205], 0
	s_waitcnt vmcnt(9) lgkmcnt(0)
	v_mul_f64 v[204:205], v[196:197], v[16:17]
	v_mul_f64 v[16:17], v[198:199], v[16:17]
	v_fma_f64 v[206:207], v[4:5], v[10:11], v[206:207]
	v_fma_f64 v[208:209], v[2:3], v[10:11], -v[12:13]
	ds_load_b128 v[2:5], v1 offset:928
	scratch_load_b128 v[10:13], off, off offset:304
	v_add_f64 v[200:201], v[200:201], v[38:39]
	v_add_f64 v[202:203], v[202:203], v[40:41]
	ds_load_b128 v[38:41], v1 offset:944
	v_fma_f64 v[198:199], v[198:199], v[14:15], v[204:205]
	v_fma_f64 v[196:197], v[196:197], v[14:15], -v[16:17]
	scratch_load_b128 v[14:17], off, off offset:320
	s_waitcnt vmcnt(10) lgkmcnt(1)
	v_mul_f64 v[210:211], v[2:3], v[20:21]
	v_mul_f64 v[20:21], v[4:5], v[20:21]
	s_waitcnt vmcnt(9) lgkmcnt(0)
	v_mul_f64 v[204:205], v[38:39], v[24:25]
	v_mul_f64 v[24:25], v[40:41], v[24:25]
	v_add_f64 v[200:201], v[200:201], v[208:209]
	v_add_f64 v[202:203], v[202:203], v[206:207]
	v_fma_f64 v[206:207], v[4:5], v[18:19], v[210:211]
	v_fma_f64 v[208:209], v[2:3], v[18:19], -v[20:21]
	ds_load_b128 v[2:5], v1 offset:960
	scratch_load_b128 v[18:21], off, off offset:336
	v_fma_f64 v[40:41], v[40:41], v[22:23], v[204:205]
	v_fma_f64 v[38:39], v[38:39], v[22:23], -v[24:25]
	scratch_load_b128 v[22:25], off, off offset:352
	v_add_f64 v[200:201], v[200:201], v[196:197]
	v_add_f64 v[202:203], v[202:203], v[198:199]
	ds_load_b128 v[196:199], v1 offset:976
	s_waitcnt vmcnt(10) lgkmcnt(1)
	v_mul_f64 v[210:211], v[2:3], v[28:29]
	v_mul_f64 v[28:29], v[4:5], v[28:29]
	s_waitcnt vmcnt(9) lgkmcnt(0)
	v_mul_f64 v[204:205], v[196:197], v[32:33]
	v_mul_f64 v[32:33], v[198:199], v[32:33]
	v_add_f64 v[200:201], v[200:201], v[208:209]
	v_add_f64 v[202:203], v[202:203], v[206:207]
	v_fma_f64 v[206:207], v[4:5], v[26:27], v[210:211]
	v_fma_f64 v[208:209], v[2:3], v[26:27], -v[28:29]
	ds_load_b128 v[2:5], v1 offset:992
	scratch_load_b128 v[26:29], off, off offset:368
	v_fma_f64 v[198:199], v[198:199], v[30:31], v[204:205]
	v_fma_f64 v[196:197], v[196:197], v[30:31], -v[32:33]
	scratch_load_b128 v[30:33], off, off offset:384
	v_add_f64 v[200:201], v[200:201], v[38:39]
	v_add_f64 v[202:203], v[202:203], v[40:41]
	ds_load_b128 v[38:41], v1 offset:1008
	s_waitcnt vmcnt(10) lgkmcnt(1)
	v_mul_f64 v[210:211], v[2:3], v[36:37]
	v_mul_f64 v[36:37], v[4:5], v[36:37]
	s_waitcnt vmcnt(8) lgkmcnt(0)
	v_mul_f64 v[204:205], v[38:39], v[194:195]
	v_add_f64 v[200:201], v[200:201], v[208:209]
	v_add_f64 v[202:203], v[202:203], v[206:207]
	v_mul_f64 v[206:207], v[40:41], v[194:195]
	v_fma_f64 v[208:209], v[4:5], v[34:35], v[210:211]
	v_fma_f64 v[210:211], v[2:3], v[34:35], -v[36:37]
	ds_load_b128 v[2:5], v1 offset:1024
	scratch_load_b128 v[34:37], off, off offset:400
	v_fma_f64 v[204:205], v[40:41], v[192:193], v[204:205]
	v_add_f64 v[200:201], v[200:201], v[196:197]
	v_add_f64 v[198:199], v[202:203], v[198:199]
	ds_load_b128 v[194:197], v1 offset:1040
	v_fma_f64 v[192:193], v[38:39], v[192:193], -v[206:207]
	scratch_load_b128 v[38:41], off, off offset:416
	s_waitcnt vmcnt(9) lgkmcnt(1)
	v_mul_f64 v[202:203], v[2:3], v[44:45]
	v_mul_f64 v[44:45], v[4:5], v[44:45]
	s_waitcnt vmcnt(8) lgkmcnt(0)
	v_mul_f64 v[206:207], v[194:195], v[8:9]
	v_mul_f64 v[8:9], v[196:197], v[8:9]
	v_add_f64 v[200:201], v[200:201], v[210:211]
	v_add_f64 v[198:199], v[198:199], v[208:209]
	v_fma_f64 v[202:203], v[4:5], v[42:43], v[202:203]
	v_fma_f64 v[208:209], v[2:3], v[42:43], -v[44:45]
	ds_load_b128 v[2:5], v1 offset:1056
	scratch_load_b128 v[42:45], off, off offset:432
	v_fma_f64 v[196:197], v[196:197], v[6:7], v[206:207]
	v_fma_f64 v[194:195], v[194:195], v[6:7], -v[8:9]
	scratch_load_b128 v[6:9], off, off offset:448
	v_add_f64 v[192:193], v[200:201], v[192:193]
	v_add_f64 v[204:205], v[198:199], v[204:205]
	ds_load_b128 v[198:201], v1 offset:1072
	s_waitcnt vmcnt(9) lgkmcnt(1)
	v_mul_f64 v[210:211], v[2:3], v[12:13]
	v_mul_f64 v[12:13], v[4:5], v[12:13]
	v_add_f64 v[192:193], v[192:193], v[208:209]
	v_add_f64 v[202:203], v[204:205], v[202:203]
	s_waitcnt vmcnt(8) lgkmcnt(0)
	v_mul_f64 v[204:205], v[198:199], v[16:17]
	v_mul_f64 v[16:17], v[200:201], v[16:17]
	v_fma_f64 v[206:207], v[4:5], v[10:11], v[210:211]
	v_fma_f64 v[208:209], v[2:3], v[10:11], -v[12:13]
	ds_load_b128 v[2:5], v1 offset:1088
	scratch_load_b128 v[10:13], off, off offset:464
	v_add_f64 v[210:211], v[192:193], v[194:195]
	v_add_f64 v[196:197], v[202:203], v[196:197]
	ds_load_b128 v[192:195], v1 offset:1104
	s_waitcnt vmcnt(8) lgkmcnt(1)
	v_mul_f64 v[202:203], v[2:3], v[20:21]
	v_mul_f64 v[20:21], v[4:5], v[20:21]
	v_fma_f64 v[200:201], v[200:201], v[14:15], v[204:205]
	v_fma_f64 v[198:199], v[198:199], v[14:15], -v[16:17]
	scratch_load_b128 v[14:17], off, off offset:480
	v_add_f64 v[204:205], v[210:211], v[208:209]
	v_add_f64 v[196:197], v[196:197], v[206:207]
	s_waitcnt vmcnt(8) lgkmcnt(0)
	v_mul_f64 v[206:207], v[192:193], v[24:25]
	v_mul_f64 v[24:25], v[194:195], v[24:25]
	v_fma_f64 v[202:203], v[4:5], v[18:19], v[202:203]
	v_fma_f64 v[208:209], v[2:3], v[18:19], -v[20:21]
	ds_load_b128 v[2:5], v1 offset:1120
	scratch_load_b128 v[18:21], off, off offset:496
	v_add_f64 v[204:205], v[204:205], v[198:199]
	v_add_f64 v[200:201], v[196:197], v[200:201]
	ds_load_b128 v[196:199], v1 offset:1136
	s_waitcnt vmcnt(8) lgkmcnt(1)
	v_mul_f64 v[210:211], v[2:3], v[28:29]
	v_mul_f64 v[28:29], v[4:5], v[28:29]
	v_fma_f64 v[194:195], v[194:195], v[22:23], v[206:207]
	v_fma_f64 v[192:193], v[192:193], v[22:23], -v[24:25]
	scratch_load_b128 v[22:25], off, off offset:512
	;; [unrolled: 18-line block ×4, first 2 shown]
	s_waitcnt vmcnt(8) lgkmcnt(0)
	v_mul_f64 v[204:205], v[196:197], v[8:9]
	v_mul_f64 v[8:9], v[198:199], v[8:9]
	v_add_f64 v[202:203], v[202:203], v[208:209]
	v_add_f64 v[200:201], v[200:201], v[206:207]
	v_fma_f64 v[206:207], v[4:5], v[42:43], v[210:211]
	v_fma_f64 v[208:209], v[2:3], v[42:43], -v[44:45]
	ds_load_b128 v[2:5], v1 offset:1216
	scratch_load_b128 v[42:45], off, off offset:592
	v_fma_f64 v[198:199], v[198:199], v[6:7], v[204:205]
	v_fma_f64 v[196:197], v[196:197], v[6:7], -v[8:9]
	scratch_load_b128 v[6:9], off, off offset:608
	v_add_f64 v[202:203], v[202:203], v[192:193]
	v_add_f64 v[200:201], v[200:201], v[194:195]
	ds_load_b128 v[192:195], v1 offset:1232
	s_waitcnt vmcnt(9) lgkmcnt(1)
	v_mul_f64 v[210:211], v[2:3], v[12:13]
	v_mul_f64 v[12:13], v[4:5], v[12:13]
	s_waitcnt vmcnt(8) lgkmcnt(0)
	v_mul_f64 v[204:205], v[192:193], v[16:17]
	v_mul_f64 v[16:17], v[194:195], v[16:17]
	v_add_f64 v[202:203], v[202:203], v[208:209]
	v_add_f64 v[200:201], v[200:201], v[206:207]
	v_fma_f64 v[206:207], v[4:5], v[10:11], v[210:211]
	v_fma_f64 v[208:209], v[2:3], v[10:11], -v[12:13]
	ds_load_b128 v[2:5], v1 offset:1248
	scratch_load_b128 v[10:13], off, off offset:624
	v_fma_f64 v[194:195], v[194:195], v[14:15], v[204:205]
	v_fma_f64 v[192:193], v[192:193], v[14:15], -v[16:17]
	scratch_load_b128 v[14:17], off, off offset:640
	v_add_f64 v[202:203], v[202:203], v[196:197]
	v_add_f64 v[200:201], v[200:201], v[198:199]
	ds_load_b128 v[196:199], v1 offset:1264
	s_waitcnt vmcnt(9) lgkmcnt(1)
	v_mul_f64 v[210:211], v[2:3], v[20:21]
	v_mul_f64 v[20:21], v[4:5], v[20:21]
	;; [unrolled: 18-line block ×5, first 2 shown]
	s_waitcnt vmcnt(8) lgkmcnt(0)
	v_mul_f64 v[204:205], v[192:193], v[8:9]
	v_mul_f64 v[8:9], v[194:195], v[8:9]
	v_add_f64 v[202:203], v[202:203], v[208:209]
	v_add_f64 v[200:201], v[200:201], v[206:207]
	v_fma_f64 v[206:207], v[4:5], v[42:43], v[210:211]
	v_fma_f64 v[208:209], v[2:3], v[42:43], -v[44:45]
	ds_load_b128 v[2:5], v1 offset:1376
	ds_load_b128 v[42:45], v1 offset:1392
	v_fma_f64 v[194:195], v[194:195], v[6:7], v[204:205]
	v_fma_f64 v[6:7], v[192:193], v[6:7], -v[8:9]
	v_add_f64 v[196:197], v[202:203], v[196:197]
	v_add_f64 v[198:199], v[200:201], v[198:199]
	s_waitcnt vmcnt(7) lgkmcnt(1)
	v_mul_f64 v[200:201], v[2:3], v[12:13]
	v_mul_f64 v[12:13], v[4:5], v[12:13]
	s_delay_alu instid0(VALU_DEP_4) | instskip(NEXT) | instid1(VALU_DEP_4)
	v_add_f64 v[8:9], v[196:197], v[208:209]
	v_add_f64 v[192:193], v[198:199], v[206:207]
	s_waitcnt vmcnt(6) lgkmcnt(0)
	v_mul_f64 v[196:197], v[42:43], v[16:17]
	v_mul_f64 v[16:17], v[44:45], v[16:17]
	v_fma_f64 v[198:199], v[4:5], v[10:11], v[200:201]
	v_fma_f64 v[10:11], v[2:3], v[10:11], -v[12:13]
	v_add_f64 v[12:13], v[8:9], v[6:7]
	v_add_f64 v[192:193], v[192:193], v[194:195]
	ds_load_b128 v[2:5], v1 offset:1408
	ds_load_b128 v[6:9], v1 offset:1424
	v_fma_f64 v[44:45], v[44:45], v[14:15], v[196:197]
	v_fma_f64 v[14:15], v[42:43], v[14:15], -v[16:17]
	s_waitcnt vmcnt(5) lgkmcnt(1)
	v_mul_f64 v[194:195], v[2:3], v[20:21]
	v_mul_f64 v[20:21], v[4:5], v[20:21]
	s_waitcnt vmcnt(4) lgkmcnt(0)
	v_mul_f64 v[16:17], v[6:7], v[24:25]
	v_mul_f64 v[24:25], v[8:9], v[24:25]
	v_add_f64 v[10:11], v[12:13], v[10:11]
	v_add_f64 v[12:13], v[192:193], v[198:199]
	v_fma_f64 v[42:43], v[4:5], v[18:19], v[194:195]
	v_fma_f64 v[18:19], v[2:3], v[18:19], -v[20:21]
	v_fma_f64 v[8:9], v[8:9], v[22:23], v[16:17]
	v_fma_f64 v[6:7], v[6:7], v[22:23], -v[24:25]
	v_add_f64 v[14:15], v[10:11], v[14:15]
	v_add_f64 v[20:21], v[12:13], v[44:45]
	ds_load_b128 v[2:5], v1 offset:1440
	ds_load_b128 v[10:13], v1 offset:1456
	s_waitcnt vmcnt(3) lgkmcnt(1)
	v_mul_f64 v[44:45], v[2:3], v[28:29]
	v_mul_f64 v[28:29], v[4:5], v[28:29]
	v_add_f64 v[14:15], v[14:15], v[18:19]
	v_add_f64 v[16:17], v[20:21], v[42:43]
	s_waitcnt vmcnt(2) lgkmcnt(0)
	v_mul_f64 v[18:19], v[10:11], v[32:33]
	v_mul_f64 v[20:21], v[12:13], v[32:33]
	v_fma_f64 v[22:23], v[4:5], v[26:27], v[44:45]
	v_fma_f64 v[24:25], v[2:3], v[26:27], -v[28:29]
	v_add_f64 v[14:15], v[14:15], v[6:7]
	v_add_f64 v[16:17], v[16:17], v[8:9]
	ds_load_b128 v[2:5], v1 offset:1472
	ds_load_b128 v[6:9], v1 offset:1488
	v_fma_f64 v[12:13], v[12:13], v[30:31], v[18:19]
	v_fma_f64 v[10:11], v[10:11], v[30:31], -v[20:21]
	s_waitcnt vmcnt(1) lgkmcnt(1)
	v_mul_f64 v[26:27], v[2:3], v[36:37]
	v_mul_f64 v[28:29], v[4:5], v[36:37]
	s_waitcnt vmcnt(0) lgkmcnt(0)
	v_mul_f64 v[18:19], v[6:7], v[40:41]
	v_mul_f64 v[20:21], v[8:9], v[40:41]
	v_add_f64 v[14:15], v[14:15], v[24:25]
	v_add_f64 v[16:17], v[16:17], v[22:23]
	v_fma_f64 v[4:5], v[4:5], v[34:35], v[26:27]
	v_fma_f64 v[1:2], v[2:3], v[34:35], -v[28:29]
	v_fma_f64 v[8:9], v[8:9], v[38:39], v[18:19]
	v_fma_f64 v[6:7], v[6:7], v[38:39], -v[20:21]
	v_add_f64 v[10:11], v[14:15], v[10:11]
	v_add_f64 v[12:13], v[16:17], v[12:13]
	s_delay_alu instid0(VALU_DEP_2) | instskip(NEXT) | instid1(VALU_DEP_2)
	v_add_f64 v[1:2], v[10:11], v[1:2]
	v_add_f64 v[3:4], v[12:13], v[4:5]
	s_delay_alu instid0(VALU_DEP_2) | instskip(NEXT) | instid1(VALU_DEP_2)
	v_add_f64 v[1:2], v[1:2], v[6:7]
	v_add_f64 v[3:4], v[3:4], v[8:9]
	s_delay_alu instid0(VALU_DEP_2) | instskip(NEXT) | instid1(VALU_DEP_2)
	v_add_f64 v[1:2], v[188:189], -v[1:2]
	v_add_f64 v[3:4], v[190:191], -v[3:4]
	scratch_store_b128 off, v[1:4], off offset:96
	v_cmpx_lt_u32_e32 5, v140
	s_cbranch_execz .LBB46_285
; %bb.284:
	scratch_load_b128 v[1:4], v182, off
	v_mov_b32_e32 v5, 0
	s_delay_alu instid0(VALU_DEP_1)
	v_mov_b32_e32 v6, v5
	v_mov_b32_e32 v7, v5
	;; [unrolled: 1-line block ×3, first 2 shown]
	scratch_store_b128 off, v[5:8], off offset:80
	s_waitcnt vmcnt(0)
	ds_store_b128 v187, v[1:4]
.LBB46_285:
	s_or_b32 exec_lo, exec_lo, s2
	s_waitcnt lgkmcnt(0)
	s_waitcnt_vscnt null, 0x0
	s_barrier
	buffer_gl0_inv
	s_clause 0x7
	scratch_load_b128 v[2:5], off, off offset:96
	scratch_load_b128 v[6:9], off, off offset:112
	;; [unrolled: 1-line block ×8, first 2 shown]
	v_mov_b32_e32 v1, 0
	s_mov_b32 s2, exec_lo
	ds_load_b128 v[38:41], v1 offset:848
	s_clause 0x1
	scratch_load_b128 v[34:37], off, off offset:224
	scratch_load_b128 v[42:45], off, off offset:80
	ds_load_b128 v[188:191], v1 offset:864
	scratch_load_b128 v[192:195], off, off offset:240
	s_waitcnt vmcnt(10) lgkmcnt(1)
	v_mul_f64 v[196:197], v[40:41], v[4:5]
	v_mul_f64 v[4:5], v[38:39], v[4:5]
	s_delay_alu instid0(VALU_DEP_2) | instskip(NEXT) | instid1(VALU_DEP_2)
	v_fma_f64 v[202:203], v[38:39], v[2:3], -v[196:197]
	v_fma_f64 v[204:205], v[40:41], v[2:3], v[4:5]
	scratch_load_b128 v[38:41], off, off offset:256
	ds_load_b128 v[2:5], v1 offset:880
	s_waitcnt vmcnt(10) lgkmcnt(1)
	v_mul_f64 v[200:201], v[188:189], v[8:9]
	v_mul_f64 v[8:9], v[190:191], v[8:9]
	ds_load_b128 v[196:199], v1 offset:896
	s_waitcnt vmcnt(9) lgkmcnt(1)
	v_mul_f64 v[206:207], v[2:3], v[12:13]
	v_mul_f64 v[12:13], v[4:5], v[12:13]
	v_fma_f64 v[190:191], v[190:191], v[6:7], v[200:201]
	v_fma_f64 v[188:189], v[188:189], v[6:7], -v[8:9]
	v_add_f64 v[200:201], v[202:203], 0
	v_add_f64 v[202:203], v[204:205], 0
	scratch_load_b128 v[6:9], off, off offset:272
	v_fma_f64 v[206:207], v[4:5], v[10:11], v[206:207]
	v_fma_f64 v[208:209], v[2:3], v[10:11], -v[12:13]
	scratch_load_b128 v[10:13], off, off offset:288
	ds_load_b128 v[2:5], v1 offset:912
	s_waitcnt vmcnt(10) lgkmcnt(1)
	v_mul_f64 v[204:205], v[196:197], v[16:17]
	v_mul_f64 v[16:17], v[198:199], v[16:17]
	v_add_f64 v[200:201], v[200:201], v[188:189]
	v_add_f64 v[202:203], v[202:203], v[190:191]
	s_waitcnt vmcnt(9) lgkmcnt(0)
	v_mul_f64 v[210:211], v[2:3], v[20:21]
	v_mul_f64 v[20:21], v[4:5], v[20:21]
	ds_load_b128 v[188:191], v1 offset:928
	v_fma_f64 v[198:199], v[198:199], v[14:15], v[204:205]
	v_fma_f64 v[196:197], v[196:197], v[14:15], -v[16:17]
	scratch_load_b128 v[14:17], off, off offset:304
	v_add_f64 v[200:201], v[200:201], v[208:209]
	v_add_f64 v[202:203], v[202:203], v[206:207]
	v_fma_f64 v[206:207], v[4:5], v[18:19], v[210:211]
	v_fma_f64 v[208:209], v[2:3], v[18:19], -v[20:21]
	scratch_load_b128 v[18:21], off, off offset:320
	ds_load_b128 v[2:5], v1 offset:944
	s_waitcnt vmcnt(10) lgkmcnt(1)
	v_mul_f64 v[204:205], v[188:189], v[24:25]
	v_mul_f64 v[24:25], v[190:191], v[24:25]
	s_waitcnt vmcnt(9) lgkmcnt(0)
	v_mul_f64 v[210:211], v[2:3], v[28:29]
	v_mul_f64 v[28:29], v[4:5], v[28:29]
	v_add_f64 v[200:201], v[200:201], v[196:197]
	v_add_f64 v[202:203], v[202:203], v[198:199]
	ds_load_b128 v[196:199], v1 offset:960
	v_fma_f64 v[190:191], v[190:191], v[22:23], v[204:205]
	v_fma_f64 v[188:189], v[188:189], v[22:23], -v[24:25]
	scratch_load_b128 v[22:25], off, off offset:336
	v_add_f64 v[200:201], v[200:201], v[208:209]
	v_add_f64 v[202:203], v[202:203], v[206:207]
	v_fma_f64 v[206:207], v[4:5], v[26:27], v[210:211]
	v_fma_f64 v[208:209], v[2:3], v[26:27], -v[28:29]
	scratch_load_b128 v[26:29], off, off offset:352
	ds_load_b128 v[2:5], v1 offset:976
	s_waitcnt vmcnt(10) lgkmcnt(1)
	v_mul_f64 v[204:205], v[196:197], v[32:33]
	v_mul_f64 v[32:33], v[198:199], v[32:33]
	s_waitcnt vmcnt(9) lgkmcnt(0)
	v_mul_f64 v[210:211], v[2:3], v[36:37]
	v_mul_f64 v[36:37], v[4:5], v[36:37]
	v_add_f64 v[200:201], v[200:201], v[188:189]
	v_add_f64 v[202:203], v[202:203], v[190:191]
	ds_load_b128 v[188:191], v1 offset:992
	v_fma_f64 v[198:199], v[198:199], v[30:31], v[204:205]
	v_fma_f64 v[196:197], v[196:197], v[30:31], -v[32:33]
	scratch_load_b128 v[30:33], off, off offset:368
	v_add_f64 v[200:201], v[200:201], v[208:209]
	v_add_f64 v[202:203], v[202:203], v[206:207]
	v_fma_f64 v[208:209], v[4:5], v[34:35], v[210:211]
	v_fma_f64 v[210:211], v[2:3], v[34:35], -v[36:37]
	scratch_load_b128 v[34:37], off, off offset:384
	ds_load_b128 v[2:5], v1 offset:1008
	s_waitcnt vmcnt(9) lgkmcnt(1)
	v_mul_f64 v[204:205], v[188:189], v[194:195]
	v_mul_f64 v[206:207], v[190:191], v[194:195]
	v_add_f64 v[200:201], v[200:201], v[196:197]
	v_add_f64 v[198:199], v[202:203], v[198:199]
	ds_load_b128 v[194:197], v1 offset:1024
	v_fma_f64 v[204:205], v[190:191], v[192:193], v[204:205]
	v_fma_f64 v[192:193], v[188:189], v[192:193], -v[206:207]
	scratch_load_b128 v[188:191], off, off offset:400
	s_waitcnt vmcnt(9) lgkmcnt(1)
	v_mul_f64 v[202:203], v[2:3], v[40:41]
	v_mul_f64 v[40:41], v[4:5], v[40:41]
	v_add_f64 v[200:201], v[200:201], v[210:211]
	v_add_f64 v[198:199], v[198:199], v[208:209]
	s_delay_alu instid0(VALU_DEP_4) | instskip(NEXT) | instid1(VALU_DEP_4)
	v_fma_f64 v[202:203], v[4:5], v[38:39], v[202:203]
	v_fma_f64 v[208:209], v[2:3], v[38:39], -v[40:41]
	scratch_load_b128 v[38:41], off, off offset:416
	ds_load_b128 v[2:5], v1 offset:1040
	s_waitcnt vmcnt(9) lgkmcnt(1)
	v_mul_f64 v[206:207], v[194:195], v[8:9]
	v_mul_f64 v[8:9], v[196:197], v[8:9]
	s_waitcnt vmcnt(8) lgkmcnt(0)
	v_mul_f64 v[210:211], v[2:3], v[12:13]
	v_mul_f64 v[12:13], v[4:5], v[12:13]
	v_add_f64 v[192:193], v[200:201], v[192:193]
	v_add_f64 v[204:205], v[198:199], v[204:205]
	ds_load_b128 v[198:201], v1 offset:1056
	v_fma_f64 v[196:197], v[196:197], v[6:7], v[206:207]
	v_fma_f64 v[194:195], v[194:195], v[6:7], -v[8:9]
	scratch_load_b128 v[6:9], off, off offset:432
	v_fma_f64 v[206:207], v[4:5], v[10:11], v[210:211]
	v_add_f64 v[192:193], v[192:193], v[208:209]
	v_add_f64 v[202:203], v[204:205], v[202:203]
	v_fma_f64 v[208:209], v[2:3], v[10:11], -v[12:13]
	scratch_load_b128 v[10:13], off, off offset:448
	ds_load_b128 v[2:5], v1 offset:1072
	s_waitcnt vmcnt(9) lgkmcnt(1)
	v_mul_f64 v[204:205], v[198:199], v[16:17]
	v_mul_f64 v[16:17], v[200:201], v[16:17]
	v_add_f64 v[210:211], v[192:193], v[194:195]
	v_add_f64 v[196:197], v[202:203], v[196:197]
	s_waitcnt vmcnt(8) lgkmcnt(0)
	v_mul_f64 v[202:203], v[2:3], v[20:21]
	v_mul_f64 v[20:21], v[4:5], v[20:21]
	ds_load_b128 v[192:195], v1 offset:1088
	v_fma_f64 v[200:201], v[200:201], v[14:15], v[204:205]
	v_fma_f64 v[198:199], v[198:199], v[14:15], -v[16:17]
	scratch_load_b128 v[14:17], off, off offset:464
	v_add_f64 v[204:205], v[210:211], v[208:209]
	v_add_f64 v[196:197], v[196:197], v[206:207]
	v_fma_f64 v[202:203], v[4:5], v[18:19], v[202:203]
	v_fma_f64 v[208:209], v[2:3], v[18:19], -v[20:21]
	scratch_load_b128 v[18:21], off, off offset:480
	ds_load_b128 v[2:5], v1 offset:1104
	s_waitcnt vmcnt(9) lgkmcnt(1)
	v_mul_f64 v[206:207], v[192:193], v[24:25]
	v_mul_f64 v[24:25], v[194:195], v[24:25]
	s_waitcnt vmcnt(8) lgkmcnt(0)
	v_mul_f64 v[210:211], v[2:3], v[28:29]
	v_mul_f64 v[28:29], v[4:5], v[28:29]
	v_add_f64 v[204:205], v[204:205], v[198:199]
	v_add_f64 v[200:201], v[196:197], v[200:201]
	ds_load_b128 v[196:199], v1 offset:1120
	v_fma_f64 v[194:195], v[194:195], v[22:23], v[206:207]
	v_fma_f64 v[192:193], v[192:193], v[22:23], -v[24:25]
	scratch_load_b128 v[22:25], off, off offset:496
	v_fma_f64 v[206:207], v[4:5], v[26:27], v[210:211]
	v_add_f64 v[204:205], v[204:205], v[208:209]
	v_add_f64 v[200:201], v[200:201], v[202:203]
	v_fma_f64 v[208:209], v[2:3], v[26:27], -v[28:29]
	scratch_load_b128 v[26:29], off, off offset:512
	ds_load_b128 v[2:5], v1 offset:1136
	s_waitcnt vmcnt(9) lgkmcnt(1)
	v_mul_f64 v[202:203], v[196:197], v[32:33]
	v_mul_f64 v[32:33], v[198:199], v[32:33]
	s_waitcnt vmcnt(8) lgkmcnt(0)
	v_mul_f64 v[210:211], v[2:3], v[36:37]
	v_mul_f64 v[36:37], v[4:5], v[36:37]
	v_add_f64 v[204:205], v[204:205], v[192:193]
	v_add_f64 v[200:201], v[200:201], v[194:195]
	ds_load_b128 v[192:195], v1 offset:1152
	v_fma_f64 v[198:199], v[198:199], v[30:31], v[202:203]
	v_fma_f64 v[196:197], v[196:197], v[30:31], -v[32:33]
	scratch_load_b128 v[30:33], off, off offset:528
	v_add_f64 v[202:203], v[204:205], v[208:209]
	v_add_f64 v[200:201], v[200:201], v[206:207]
	v_fma_f64 v[206:207], v[4:5], v[34:35], v[210:211]
	v_fma_f64 v[208:209], v[2:3], v[34:35], -v[36:37]
	scratch_load_b128 v[34:37], off, off offset:544
	ds_load_b128 v[2:5], v1 offset:1168
	s_waitcnt vmcnt(9) lgkmcnt(1)
	v_mul_f64 v[204:205], v[192:193], v[190:191]
	v_mul_f64 v[190:191], v[194:195], v[190:191]
	s_waitcnt vmcnt(8) lgkmcnt(0)
	v_mul_f64 v[210:211], v[2:3], v[40:41]
	v_mul_f64 v[40:41], v[4:5], v[40:41]
	v_add_f64 v[202:203], v[202:203], v[196:197]
	v_add_f64 v[200:201], v[200:201], v[198:199]
	ds_load_b128 v[196:199], v1 offset:1184
	v_fma_f64 v[194:195], v[194:195], v[188:189], v[204:205]
	v_fma_f64 v[192:193], v[192:193], v[188:189], -v[190:191]
	scratch_load_b128 v[188:191], off, off offset:560
	v_add_f64 v[202:203], v[202:203], v[208:209]
	v_add_f64 v[200:201], v[200:201], v[206:207]
	v_fma_f64 v[206:207], v[4:5], v[38:39], v[210:211]
	;; [unrolled: 18-line block ×6, first 2 shown]
	v_fma_f64 v[210:211], v[2:3], v[34:35], -v[36:37]
	scratch_load_b128 v[34:37], off, off offset:704
	ds_load_b128 v[2:5], v1 offset:1328
	s_waitcnt vmcnt(9) lgkmcnt(1)
	v_mul_f64 v[204:205], v[196:197], v[190:191]
	v_mul_f64 v[206:207], v[198:199], v[190:191]
	v_add_f64 v[202:203], v[202:203], v[192:193]
	v_add_f64 v[194:195], v[200:201], v[194:195]
	s_waitcnt vmcnt(8) lgkmcnt(0)
	v_mul_f64 v[200:201], v[2:3], v[40:41]
	v_mul_f64 v[40:41], v[4:5], v[40:41]
	ds_load_b128 v[190:193], v1 offset:1344
	v_fma_f64 v[198:199], v[198:199], v[188:189], v[204:205]
	v_fma_f64 v[188:189], v[196:197], v[188:189], -v[206:207]
	v_add_f64 v[202:203], v[202:203], v[210:211]
	v_add_f64 v[204:205], v[194:195], v[208:209]
	scratch_load_b128 v[194:197], off, off offset:720
	v_fma_f64 v[208:209], v[4:5], v[38:39], v[200:201]
	v_fma_f64 v[210:211], v[2:3], v[38:39], -v[40:41]
	scratch_load_b128 v[38:41], off, off offset:736
	ds_load_b128 v[2:5], v1 offset:1360
	s_waitcnt vmcnt(9) lgkmcnt(1)
	v_mul_f64 v[206:207], v[190:191], v[8:9]
	v_mul_f64 v[8:9], v[192:193], v[8:9]
	v_add_f64 v[188:189], v[202:203], v[188:189]
	v_add_f64 v[202:203], v[204:205], v[198:199]
	s_waitcnt vmcnt(8) lgkmcnt(0)
	v_mul_f64 v[204:205], v[2:3], v[12:13]
	v_mul_f64 v[12:13], v[4:5], v[12:13]
	ds_load_b128 v[198:201], v1 offset:1376
	v_fma_f64 v[192:193], v[192:193], v[6:7], v[206:207]
	v_fma_f64 v[6:7], v[190:191], v[6:7], -v[8:9]
	s_waitcnt vmcnt(7) lgkmcnt(0)
	v_mul_f64 v[190:191], v[198:199], v[16:17]
	v_mul_f64 v[16:17], v[200:201], v[16:17]
	v_add_f64 v[8:9], v[188:189], v[210:211]
	v_add_f64 v[188:189], v[202:203], v[208:209]
	v_fma_f64 v[202:203], v[4:5], v[10:11], v[204:205]
	v_fma_f64 v[10:11], v[2:3], v[10:11], -v[12:13]
	v_fma_f64 v[190:191], v[200:201], v[14:15], v[190:191]
	v_fma_f64 v[14:15], v[198:199], v[14:15], -v[16:17]
	v_add_f64 v[12:13], v[8:9], v[6:7]
	v_add_f64 v[188:189], v[188:189], v[192:193]
	ds_load_b128 v[2:5], v1 offset:1392
	ds_load_b128 v[6:9], v1 offset:1408
	s_waitcnt vmcnt(6) lgkmcnt(1)
	v_mul_f64 v[192:193], v[2:3], v[20:21]
	v_mul_f64 v[20:21], v[4:5], v[20:21]
	s_waitcnt vmcnt(5) lgkmcnt(0)
	v_mul_f64 v[16:17], v[6:7], v[24:25]
	v_mul_f64 v[24:25], v[8:9], v[24:25]
	v_add_f64 v[10:11], v[12:13], v[10:11]
	v_add_f64 v[12:13], v[188:189], v[202:203]
	v_fma_f64 v[188:189], v[4:5], v[18:19], v[192:193]
	v_fma_f64 v[18:19], v[2:3], v[18:19], -v[20:21]
	v_fma_f64 v[8:9], v[8:9], v[22:23], v[16:17]
	v_fma_f64 v[6:7], v[6:7], v[22:23], -v[24:25]
	v_add_f64 v[14:15], v[10:11], v[14:15]
	v_add_f64 v[20:21], v[12:13], v[190:191]
	ds_load_b128 v[2:5], v1 offset:1424
	ds_load_b128 v[10:13], v1 offset:1440
	s_waitcnt vmcnt(4) lgkmcnt(1)
	v_mul_f64 v[190:191], v[2:3], v[28:29]
	v_mul_f64 v[28:29], v[4:5], v[28:29]
	v_add_f64 v[14:15], v[14:15], v[18:19]
	v_add_f64 v[16:17], v[20:21], v[188:189]
	s_waitcnt vmcnt(3) lgkmcnt(0)
	v_mul_f64 v[18:19], v[10:11], v[32:33]
	v_mul_f64 v[20:21], v[12:13], v[32:33]
	v_fma_f64 v[22:23], v[4:5], v[26:27], v[190:191]
	v_fma_f64 v[24:25], v[2:3], v[26:27], -v[28:29]
	v_add_f64 v[14:15], v[14:15], v[6:7]
	v_add_f64 v[16:17], v[16:17], v[8:9]
	ds_load_b128 v[2:5], v1 offset:1456
	ds_load_b128 v[6:9], v1 offset:1472
	v_fma_f64 v[12:13], v[12:13], v[30:31], v[18:19]
	v_fma_f64 v[10:11], v[10:11], v[30:31], -v[20:21]
	s_waitcnt vmcnt(2) lgkmcnt(1)
	v_mul_f64 v[26:27], v[2:3], v[36:37]
	v_mul_f64 v[28:29], v[4:5], v[36:37]
	v_add_f64 v[14:15], v[14:15], v[24:25]
	v_add_f64 v[16:17], v[16:17], v[22:23]
	s_waitcnt vmcnt(1) lgkmcnt(0)
	v_mul_f64 v[18:19], v[6:7], v[196:197]
	v_mul_f64 v[20:21], v[8:9], v[196:197]
	v_fma_f64 v[22:23], v[4:5], v[34:35], v[26:27]
	v_fma_f64 v[24:25], v[2:3], v[34:35], -v[28:29]
	ds_load_b128 v[2:5], v1 offset:1488
	v_add_f64 v[10:11], v[14:15], v[10:11]
	v_add_f64 v[12:13], v[16:17], v[12:13]
	s_waitcnt vmcnt(0) lgkmcnt(0)
	v_mul_f64 v[14:15], v[2:3], v[40:41]
	v_mul_f64 v[16:17], v[4:5], v[40:41]
	v_fma_f64 v[8:9], v[8:9], v[194:195], v[18:19]
	v_fma_f64 v[6:7], v[6:7], v[194:195], -v[20:21]
	v_add_f64 v[10:11], v[10:11], v[24:25]
	v_add_f64 v[12:13], v[12:13], v[22:23]
	v_fma_f64 v[4:5], v[4:5], v[38:39], v[14:15]
	v_fma_f64 v[2:3], v[2:3], v[38:39], -v[16:17]
	s_delay_alu instid0(VALU_DEP_4) | instskip(NEXT) | instid1(VALU_DEP_4)
	v_add_f64 v[6:7], v[10:11], v[6:7]
	v_add_f64 v[8:9], v[12:13], v[8:9]
	s_delay_alu instid0(VALU_DEP_2) | instskip(NEXT) | instid1(VALU_DEP_2)
	v_add_f64 v[2:3], v[6:7], v[2:3]
	v_add_f64 v[4:5], v[8:9], v[4:5]
	s_delay_alu instid0(VALU_DEP_2) | instskip(NEXT) | instid1(VALU_DEP_2)
	v_add_f64 v[2:3], v[42:43], -v[2:3]
	v_add_f64 v[4:5], v[44:45], -v[4:5]
	scratch_store_b128 off, v[2:5], off offset:80
	v_cmpx_lt_u32_e32 4, v140
	s_cbranch_execz .LBB46_287
; %bb.286:
	scratch_load_b128 v[5:8], v183, off
	v_mov_b32_e32 v2, v1
	v_mov_b32_e32 v3, v1
	;; [unrolled: 1-line block ×3, first 2 shown]
	scratch_store_b128 off, v[1:4], off offset:64
	s_waitcnt vmcnt(0)
	ds_store_b128 v187, v[5:8]
.LBB46_287:
	s_or_b32 exec_lo, exec_lo, s2
	s_waitcnt lgkmcnt(0)
	s_waitcnt_vscnt null, 0x0
	s_barrier
	buffer_gl0_inv
	s_clause 0x8
	scratch_load_b128 v[2:5], off, off offset:80
	scratch_load_b128 v[6:9], off, off offset:96
	;; [unrolled: 1-line block ×9, first 2 shown]
	ds_load_b128 v[42:45], v1 offset:832
	ds_load_b128 v[38:41], v1 offset:848
	s_clause 0x1
	scratch_load_b128 v[188:191], off, off offset:64
	scratch_load_b128 v[192:195], off, off offset:224
	s_mov_b32 s2, exec_lo
	s_waitcnt vmcnt(10) lgkmcnt(1)
	v_mul_f64 v[196:197], v[44:45], v[4:5]
	v_mul_f64 v[4:5], v[42:43], v[4:5]
	s_waitcnt vmcnt(9) lgkmcnt(0)
	v_mul_f64 v[200:201], v[38:39], v[8:9]
	v_mul_f64 v[8:9], v[40:41], v[8:9]
	s_delay_alu instid0(VALU_DEP_4) | instskip(NEXT) | instid1(VALU_DEP_4)
	v_fma_f64 v[202:203], v[42:43], v[2:3], -v[196:197]
	v_fma_f64 v[204:205], v[44:45], v[2:3], v[4:5]
	ds_load_b128 v[2:5], v1 offset:864
	ds_load_b128 v[196:199], v1 offset:880
	scratch_load_b128 v[42:45], off, off offset:240
	v_fma_f64 v[40:41], v[40:41], v[6:7], v[200:201]
	v_fma_f64 v[38:39], v[38:39], v[6:7], -v[8:9]
	scratch_load_b128 v[6:9], off, off offset:256
	s_waitcnt vmcnt(10) lgkmcnt(1)
	v_mul_f64 v[206:207], v[2:3], v[12:13]
	v_mul_f64 v[12:13], v[4:5], v[12:13]
	v_add_f64 v[200:201], v[202:203], 0
	v_add_f64 v[202:203], v[204:205], 0
	s_waitcnt vmcnt(9) lgkmcnt(0)
	v_mul_f64 v[204:205], v[196:197], v[16:17]
	v_mul_f64 v[16:17], v[198:199], v[16:17]
	v_fma_f64 v[206:207], v[4:5], v[10:11], v[206:207]
	v_fma_f64 v[208:209], v[2:3], v[10:11], -v[12:13]
	ds_load_b128 v[2:5], v1 offset:896
	scratch_load_b128 v[10:13], off, off offset:272
	v_add_f64 v[200:201], v[200:201], v[38:39]
	v_add_f64 v[202:203], v[202:203], v[40:41]
	ds_load_b128 v[38:41], v1 offset:912
	v_fma_f64 v[198:199], v[198:199], v[14:15], v[204:205]
	v_fma_f64 v[196:197], v[196:197], v[14:15], -v[16:17]
	scratch_load_b128 v[14:17], off, off offset:288
	s_waitcnt vmcnt(10) lgkmcnt(1)
	v_mul_f64 v[210:211], v[2:3], v[20:21]
	v_mul_f64 v[20:21], v[4:5], v[20:21]
	s_waitcnt vmcnt(9) lgkmcnt(0)
	v_mul_f64 v[204:205], v[38:39], v[24:25]
	v_mul_f64 v[24:25], v[40:41], v[24:25]
	v_add_f64 v[200:201], v[200:201], v[208:209]
	v_add_f64 v[202:203], v[202:203], v[206:207]
	v_fma_f64 v[206:207], v[4:5], v[18:19], v[210:211]
	v_fma_f64 v[208:209], v[2:3], v[18:19], -v[20:21]
	ds_load_b128 v[2:5], v1 offset:928
	scratch_load_b128 v[18:21], off, off offset:304
	v_fma_f64 v[40:41], v[40:41], v[22:23], v[204:205]
	v_fma_f64 v[38:39], v[38:39], v[22:23], -v[24:25]
	scratch_load_b128 v[22:25], off, off offset:320
	v_add_f64 v[200:201], v[200:201], v[196:197]
	v_add_f64 v[202:203], v[202:203], v[198:199]
	ds_load_b128 v[196:199], v1 offset:944
	s_waitcnt vmcnt(10) lgkmcnt(1)
	v_mul_f64 v[210:211], v[2:3], v[28:29]
	v_mul_f64 v[28:29], v[4:5], v[28:29]
	s_waitcnt vmcnt(9) lgkmcnt(0)
	v_mul_f64 v[204:205], v[196:197], v[32:33]
	v_mul_f64 v[32:33], v[198:199], v[32:33]
	v_add_f64 v[200:201], v[200:201], v[208:209]
	v_add_f64 v[202:203], v[202:203], v[206:207]
	v_fma_f64 v[206:207], v[4:5], v[26:27], v[210:211]
	v_fma_f64 v[208:209], v[2:3], v[26:27], -v[28:29]
	ds_load_b128 v[2:5], v1 offset:960
	scratch_load_b128 v[26:29], off, off offset:336
	v_fma_f64 v[198:199], v[198:199], v[30:31], v[204:205]
	v_fma_f64 v[196:197], v[196:197], v[30:31], -v[32:33]
	scratch_load_b128 v[30:33], off, off offset:352
	v_add_f64 v[200:201], v[200:201], v[38:39]
	v_add_f64 v[202:203], v[202:203], v[40:41]
	ds_load_b128 v[38:41], v1 offset:976
	s_waitcnt vmcnt(10) lgkmcnt(1)
	v_mul_f64 v[210:211], v[2:3], v[36:37]
	v_mul_f64 v[36:37], v[4:5], v[36:37]
	s_waitcnt vmcnt(8) lgkmcnt(0)
	v_mul_f64 v[204:205], v[38:39], v[194:195]
	v_add_f64 v[200:201], v[200:201], v[208:209]
	v_add_f64 v[202:203], v[202:203], v[206:207]
	v_mul_f64 v[206:207], v[40:41], v[194:195]
	v_fma_f64 v[208:209], v[4:5], v[34:35], v[210:211]
	v_fma_f64 v[210:211], v[2:3], v[34:35], -v[36:37]
	ds_load_b128 v[2:5], v1 offset:992
	scratch_load_b128 v[34:37], off, off offset:368
	v_fma_f64 v[204:205], v[40:41], v[192:193], v[204:205]
	v_add_f64 v[200:201], v[200:201], v[196:197]
	v_add_f64 v[198:199], v[202:203], v[198:199]
	ds_load_b128 v[194:197], v1 offset:1008
	v_fma_f64 v[192:193], v[38:39], v[192:193], -v[206:207]
	scratch_load_b128 v[38:41], off, off offset:384
	s_waitcnt vmcnt(9) lgkmcnt(1)
	v_mul_f64 v[202:203], v[2:3], v[44:45]
	v_mul_f64 v[44:45], v[4:5], v[44:45]
	s_waitcnt vmcnt(8) lgkmcnt(0)
	v_mul_f64 v[206:207], v[194:195], v[8:9]
	v_mul_f64 v[8:9], v[196:197], v[8:9]
	v_add_f64 v[200:201], v[200:201], v[210:211]
	v_add_f64 v[198:199], v[198:199], v[208:209]
	v_fma_f64 v[202:203], v[4:5], v[42:43], v[202:203]
	v_fma_f64 v[208:209], v[2:3], v[42:43], -v[44:45]
	ds_load_b128 v[2:5], v1 offset:1024
	scratch_load_b128 v[42:45], off, off offset:400
	v_fma_f64 v[196:197], v[196:197], v[6:7], v[206:207]
	v_fma_f64 v[194:195], v[194:195], v[6:7], -v[8:9]
	scratch_load_b128 v[6:9], off, off offset:416
	v_add_f64 v[192:193], v[200:201], v[192:193]
	v_add_f64 v[204:205], v[198:199], v[204:205]
	ds_load_b128 v[198:201], v1 offset:1040
	s_waitcnt vmcnt(9) lgkmcnt(1)
	v_mul_f64 v[210:211], v[2:3], v[12:13]
	v_mul_f64 v[12:13], v[4:5], v[12:13]
	v_add_f64 v[192:193], v[192:193], v[208:209]
	v_add_f64 v[202:203], v[204:205], v[202:203]
	s_waitcnt vmcnt(8) lgkmcnt(0)
	v_mul_f64 v[204:205], v[198:199], v[16:17]
	v_mul_f64 v[16:17], v[200:201], v[16:17]
	v_fma_f64 v[206:207], v[4:5], v[10:11], v[210:211]
	v_fma_f64 v[208:209], v[2:3], v[10:11], -v[12:13]
	ds_load_b128 v[2:5], v1 offset:1056
	scratch_load_b128 v[10:13], off, off offset:432
	v_add_f64 v[210:211], v[192:193], v[194:195]
	v_add_f64 v[196:197], v[202:203], v[196:197]
	ds_load_b128 v[192:195], v1 offset:1072
	s_waitcnt vmcnt(8) lgkmcnt(1)
	v_mul_f64 v[202:203], v[2:3], v[20:21]
	v_mul_f64 v[20:21], v[4:5], v[20:21]
	v_fma_f64 v[200:201], v[200:201], v[14:15], v[204:205]
	v_fma_f64 v[198:199], v[198:199], v[14:15], -v[16:17]
	scratch_load_b128 v[14:17], off, off offset:448
	v_add_f64 v[204:205], v[210:211], v[208:209]
	v_add_f64 v[196:197], v[196:197], v[206:207]
	s_waitcnt vmcnt(8) lgkmcnt(0)
	v_mul_f64 v[206:207], v[192:193], v[24:25]
	v_mul_f64 v[24:25], v[194:195], v[24:25]
	v_fma_f64 v[202:203], v[4:5], v[18:19], v[202:203]
	v_fma_f64 v[208:209], v[2:3], v[18:19], -v[20:21]
	ds_load_b128 v[2:5], v1 offset:1088
	scratch_load_b128 v[18:21], off, off offset:464
	v_add_f64 v[204:205], v[204:205], v[198:199]
	v_add_f64 v[200:201], v[196:197], v[200:201]
	ds_load_b128 v[196:199], v1 offset:1104
	s_waitcnt vmcnt(8) lgkmcnt(1)
	v_mul_f64 v[210:211], v[2:3], v[28:29]
	v_mul_f64 v[28:29], v[4:5], v[28:29]
	v_fma_f64 v[194:195], v[194:195], v[22:23], v[206:207]
	v_fma_f64 v[192:193], v[192:193], v[22:23], -v[24:25]
	scratch_load_b128 v[22:25], off, off offset:480
	;; [unrolled: 18-line block ×4, first 2 shown]
	s_waitcnt vmcnt(8) lgkmcnt(0)
	v_mul_f64 v[204:205], v[196:197], v[8:9]
	v_mul_f64 v[8:9], v[198:199], v[8:9]
	v_add_f64 v[202:203], v[202:203], v[208:209]
	v_add_f64 v[200:201], v[200:201], v[206:207]
	v_fma_f64 v[206:207], v[4:5], v[42:43], v[210:211]
	v_fma_f64 v[208:209], v[2:3], v[42:43], -v[44:45]
	ds_load_b128 v[2:5], v1 offset:1184
	scratch_load_b128 v[42:45], off, off offset:560
	v_fma_f64 v[198:199], v[198:199], v[6:7], v[204:205]
	v_fma_f64 v[196:197], v[196:197], v[6:7], -v[8:9]
	scratch_load_b128 v[6:9], off, off offset:576
	v_add_f64 v[202:203], v[202:203], v[192:193]
	v_add_f64 v[200:201], v[200:201], v[194:195]
	ds_load_b128 v[192:195], v1 offset:1200
	s_waitcnt vmcnt(9) lgkmcnt(1)
	v_mul_f64 v[210:211], v[2:3], v[12:13]
	v_mul_f64 v[12:13], v[4:5], v[12:13]
	s_waitcnt vmcnt(8) lgkmcnt(0)
	v_mul_f64 v[204:205], v[192:193], v[16:17]
	v_mul_f64 v[16:17], v[194:195], v[16:17]
	v_add_f64 v[202:203], v[202:203], v[208:209]
	v_add_f64 v[200:201], v[200:201], v[206:207]
	v_fma_f64 v[206:207], v[4:5], v[10:11], v[210:211]
	v_fma_f64 v[208:209], v[2:3], v[10:11], -v[12:13]
	ds_load_b128 v[2:5], v1 offset:1216
	scratch_load_b128 v[10:13], off, off offset:592
	v_fma_f64 v[194:195], v[194:195], v[14:15], v[204:205]
	v_fma_f64 v[192:193], v[192:193], v[14:15], -v[16:17]
	scratch_load_b128 v[14:17], off, off offset:608
	v_add_f64 v[202:203], v[202:203], v[196:197]
	v_add_f64 v[200:201], v[200:201], v[198:199]
	ds_load_b128 v[196:199], v1 offset:1232
	s_waitcnt vmcnt(9) lgkmcnt(1)
	v_mul_f64 v[210:211], v[2:3], v[20:21]
	v_mul_f64 v[20:21], v[4:5], v[20:21]
	;; [unrolled: 18-line block ×6, first 2 shown]
	s_waitcnt vmcnt(8) lgkmcnt(0)
	v_mul_f64 v[204:205], v[196:197], v[16:17]
	v_mul_f64 v[16:17], v[198:199], v[16:17]
	v_add_f64 v[202:203], v[202:203], v[208:209]
	v_add_f64 v[200:201], v[200:201], v[206:207]
	v_fma_f64 v[206:207], v[4:5], v[10:11], v[210:211]
	v_fma_f64 v[208:209], v[2:3], v[10:11], -v[12:13]
	ds_load_b128 v[2:5], v1 offset:1376
	ds_load_b128 v[10:13], v1 offset:1392
	v_fma_f64 v[198:199], v[198:199], v[14:15], v[204:205]
	v_fma_f64 v[14:15], v[196:197], v[14:15], -v[16:17]
	v_add_f64 v[192:193], v[202:203], v[192:193]
	v_add_f64 v[194:195], v[200:201], v[194:195]
	s_waitcnt vmcnt(7) lgkmcnt(1)
	v_mul_f64 v[200:201], v[2:3], v[20:21]
	v_mul_f64 v[20:21], v[4:5], v[20:21]
	s_delay_alu instid0(VALU_DEP_4) | instskip(NEXT) | instid1(VALU_DEP_4)
	v_add_f64 v[16:17], v[192:193], v[208:209]
	v_add_f64 v[192:193], v[194:195], v[206:207]
	s_waitcnt vmcnt(6) lgkmcnt(0)
	v_mul_f64 v[194:195], v[10:11], v[24:25]
	v_mul_f64 v[24:25], v[12:13], v[24:25]
	v_fma_f64 v[196:197], v[4:5], v[18:19], v[200:201]
	v_fma_f64 v[18:19], v[2:3], v[18:19], -v[20:21]
	v_add_f64 v[20:21], v[16:17], v[14:15]
	v_add_f64 v[192:193], v[192:193], v[198:199]
	ds_load_b128 v[2:5], v1 offset:1408
	ds_load_b128 v[14:17], v1 offset:1424
	v_fma_f64 v[12:13], v[12:13], v[22:23], v[194:195]
	v_fma_f64 v[10:11], v[10:11], v[22:23], -v[24:25]
	s_waitcnt vmcnt(5) lgkmcnt(1)
	v_mul_f64 v[198:199], v[2:3], v[28:29]
	v_mul_f64 v[28:29], v[4:5], v[28:29]
	s_waitcnt vmcnt(4) lgkmcnt(0)
	v_mul_f64 v[22:23], v[14:15], v[32:33]
	v_mul_f64 v[24:25], v[16:17], v[32:33]
	v_add_f64 v[18:19], v[20:21], v[18:19]
	v_add_f64 v[20:21], v[192:193], v[196:197]
	v_fma_f64 v[32:33], v[4:5], v[26:27], v[198:199]
	v_fma_f64 v[26:27], v[2:3], v[26:27], -v[28:29]
	v_fma_f64 v[16:17], v[16:17], v[30:31], v[22:23]
	v_fma_f64 v[14:15], v[14:15], v[30:31], -v[24:25]
	v_add_f64 v[18:19], v[18:19], v[10:11]
	v_add_f64 v[20:21], v[20:21], v[12:13]
	ds_load_b128 v[2:5], v1 offset:1440
	ds_load_b128 v[10:13], v1 offset:1456
	s_waitcnt vmcnt(3) lgkmcnt(1)
	v_mul_f64 v[28:29], v[2:3], v[36:37]
	v_mul_f64 v[36:37], v[4:5], v[36:37]
	s_waitcnt vmcnt(2) lgkmcnt(0)
	v_mul_f64 v[22:23], v[10:11], v[40:41]
	v_mul_f64 v[24:25], v[12:13], v[40:41]
	v_add_f64 v[18:19], v[18:19], v[26:27]
	v_add_f64 v[20:21], v[20:21], v[32:33]
	v_fma_f64 v[26:27], v[4:5], v[34:35], v[28:29]
	v_fma_f64 v[28:29], v[2:3], v[34:35], -v[36:37]
	v_fma_f64 v[12:13], v[12:13], v[38:39], v[22:23]
	v_fma_f64 v[10:11], v[10:11], v[38:39], -v[24:25]
	v_add_f64 v[18:19], v[18:19], v[14:15]
	v_add_f64 v[20:21], v[20:21], v[16:17]
	ds_load_b128 v[2:5], v1 offset:1472
	ds_load_b128 v[14:17], v1 offset:1488
	s_waitcnt vmcnt(1) lgkmcnt(1)
	v_mul_f64 v[30:31], v[2:3], v[44:45]
	v_mul_f64 v[32:33], v[4:5], v[44:45]
	s_waitcnt vmcnt(0) lgkmcnt(0)
	v_mul_f64 v[22:23], v[14:15], v[8:9]
	v_mul_f64 v[8:9], v[16:17], v[8:9]
	v_add_f64 v[18:19], v[18:19], v[28:29]
	v_add_f64 v[20:21], v[20:21], v[26:27]
	v_fma_f64 v[4:5], v[4:5], v[42:43], v[30:31]
	v_fma_f64 v[1:2], v[2:3], v[42:43], -v[32:33]
	v_fma_f64 v[16:17], v[16:17], v[6:7], v[22:23]
	v_fma_f64 v[6:7], v[14:15], v[6:7], -v[8:9]
	v_add_f64 v[10:11], v[18:19], v[10:11]
	v_add_f64 v[12:13], v[20:21], v[12:13]
	s_delay_alu instid0(VALU_DEP_2) | instskip(NEXT) | instid1(VALU_DEP_2)
	v_add_f64 v[1:2], v[10:11], v[1:2]
	v_add_f64 v[3:4], v[12:13], v[4:5]
	s_delay_alu instid0(VALU_DEP_2) | instskip(NEXT) | instid1(VALU_DEP_2)
	;; [unrolled: 3-line block ×3, first 2 shown]
	v_add_f64 v[1:2], v[188:189], -v[1:2]
	v_add_f64 v[3:4], v[190:191], -v[3:4]
	scratch_store_b128 off, v[1:4], off offset:64
	v_cmpx_lt_u32_e32 3, v140
	s_cbranch_execz .LBB46_289
; %bb.288:
	scratch_load_b128 v[1:4], v184, off
	v_mov_b32_e32 v5, 0
	s_delay_alu instid0(VALU_DEP_1)
	v_mov_b32_e32 v6, v5
	v_mov_b32_e32 v7, v5
	;; [unrolled: 1-line block ×3, first 2 shown]
	scratch_store_b128 off, v[5:8], off offset:48
	s_waitcnt vmcnt(0)
	ds_store_b128 v187, v[1:4]
.LBB46_289:
	s_or_b32 exec_lo, exec_lo, s2
	s_waitcnt lgkmcnt(0)
	s_waitcnt_vscnt null, 0x0
	s_barrier
	buffer_gl0_inv
	s_clause 0x7
	scratch_load_b128 v[2:5], off, off offset:64
	scratch_load_b128 v[6:9], off, off offset:80
	;; [unrolled: 1-line block ×8, first 2 shown]
	v_mov_b32_e32 v1, 0
	s_mov_b32 s2, exec_lo
	ds_load_b128 v[38:41], v1 offset:816
	s_clause 0x1
	scratch_load_b128 v[34:37], off, off offset:192
	scratch_load_b128 v[42:45], off, off offset:48
	ds_load_b128 v[188:191], v1 offset:832
	scratch_load_b128 v[192:195], off, off offset:208
	s_waitcnt vmcnt(10) lgkmcnt(1)
	v_mul_f64 v[196:197], v[40:41], v[4:5]
	v_mul_f64 v[4:5], v[38:39], v[4:5]
	s_delay_alu instid0(VALU_DEP_2) | instskip(NEXT) | instid1(VALU_DEP_2)
	v_fma_f64 v[202:203], v[38:39], v[2:3], -v[196:197]
	v_fma_f64 v[204:205], v[40:41], v[2:3], v[4:5]
	scratch_load_b128 v[38:41], off, off offset:224
	ds_load_b128 v[2:5], v1 offset:848
	s_waitcnt vmcnt(10) lgkmcnt(1)
	v_mul_f64 v[200:201], v[188:189], v[8:9]
	v_mul_f64 v[8:9], v[190:191], v[8:9]
	ds_load_b128 v[196:199], v1 offset:864
	s_waitcnt vmcnt(9) lgkmcnt(1)
	v_mul_f64 v[206:207], v[2:3], v[12:13]
	v_mul_f64 v[12:13], v[4:5], v[12:13]
	v_fma_f64 v[190:191], v[190:191], v[6:7], v[200:201]
	v_fma_f64 v[188:189], v[188:189], v[6:7], -v[8:9]
	v_add_f64 v[200:201], v[202:203], 0
	v_add_f64 v[202:203], v[204:205], 0
	scratch_load_b128 v[6:9], off, off offset:240
	v_fma_f64 v[206:207], v[4:5], v[10:11], v[206:207]
	v_fma_f64 v[208:209], v[2:3], v[10:11], -v[12:13]
	scratch_load_b128 v[10:13], off, off offset:256
	ds_load_b128 v[2:5], v1 offset:880
	s_waitcnt vmcnt(10) lgkmcnt(1)
	v_mul_f64 v[204:205], v[196:197], v[16:17]
	v_mul_f64 v[16:17], v[198:199], v[16:17]
	v_add_f64 v[200:201], v[200:201], v[188:189]
	v_add_f64 v[202:203], v[202:203], v[190:191]
	s_waitcnt vmcnt(9) lgkmcnt(0)
	v_mul_f64 v[210:211], v[2:3], v[20:21]
	v_mul_f64 v[20:21], v[4:5], v[20:21]
	ds_load_b128 v[188:191], v1 offset:896
	v_fma_f64 v[198:199], v[198:199], v[14:15], v[204:205]
	v_fma_f64 v[196:197], v[196:197], v[14:15], -v[16:17]
	scratch_load_b128 v[14:17], off, off offset:272
	v_add_f64 v[200:201], v[200:201], v[208:209]
	v_add_f64 v[202:203], v[202:203], v[206:207]
	v_fma_f64 v[206:207], v[4:5], v[18:19], v[210:211]
	v_fma_f64 v[208:209], v[2:3], v[18:19], -v[20:21]
	scratch_load_b128 v[18:21], off, off offset:288
	ds_load_b128 v[2:5], v1 offset:912
	s_waitcnt vmcnt(10) lgkmcnt(1)
	v_mul_f64 v[204:205], v[188:189], v[24:25]
	v_mul_f64 v[24:25], v[190:191], v[24:25]
	s_waitcnt vmcnt(9) lgkmcnt(0)
	v_mul_f64 v[210:211], v[2:3], v[28:29]
	v_mul_f64 v[28:29], v[4:5], v[28:29]
	v_add_f64 v[200:201], v[200:201], v[196:197]
	v_add_f64 v[202:203], v[202:203], v[198:199]
	ds_load_b128 v[196:199], v1 offset:928
	v_fma_f64 v[190:191], v[190:191], v[22:23], v[204:205]
	v_fma_f64 v[188:189], v[188:189], v[22:23], -v[24:25]
	scratch_load_b128 v[22:25], off, off offset:304
	v_add_f64 v[200:201], v[200:201], v[208:209]
	v_add_f64 v[202:203], v[202:203], v[206:207]
	v_fma_f64 v[206:207], v[4:5], v[26:27], v[210:211]
	v_fma_f64 v[208:209], v[2:3], v[26:27], -v[28:29]
	scratch_load_b128 v[26:29], off, off offset:320
	ds_load_b128 v[2:5], v1 offset:944
	s_waitcnt vmcnt(10) lgkmcnt(1)
	v_mul_f64 v[204:205], v[196:197], v[32:33]
	v_mul_f64 v[32:33], v[198:199], v[32:33]
	s_waitcnt vmcnt(9) lgkmcnt(0)
	v_mul_f64 v[210:211], v[2:3], v[36:37]
	v_mul_f64 v[36:37], v[4:5], v[36:37]
	v_add_f64 v[200:201], v[200:201], v[188:189]
	v_add_f64 v[202:203], v[202:203], v[190:191]
	ds_load_b128 v[188:191], v1 offset:960
	v_fma_f64 v[198:199], v[198:199], v[30:31], v[204:205]
	v_fma_f64 v[196:197], v[196:197], v[30:31], -v[32:33]
	scratch_load_b128 v[30:33], off, off offset:336
	v_add_f64 v[200:201], v[200:201], v[208:209]
	v_add_f64 v[202:203], v[202:203], v[206:207]
	v_fma_f64 v[208:209], v[4:5], v[34:35], v[210:211]
	v_fma_f64 v[210:211], v[2:3], v[34:35], -v[36:37]
	scratch_load_b128 v[34:37], off, off offset:352
	ds_load_b128 v[2:5], v1 offset:976
	s_waitcnt vmcnt(9) lgkmcnt(1)
	v_mul_f64 v[204:205], v[188:189], v[194:195]
	v_mul_f64 v[206:207], v[190:191], v[194:195]
	v_add_f64 v[200:201], v[200:201], v[196:197]
	v_add_f64 v[198:199], v[202:203], v[198:199]
	ds_load_b128 v[194:197], v1 offset:992
	v_fma_f64 v[204:205], v[190:191], v[192:193], v[204:205]
	v_fma_f64 v[192:193], v[188:189], v[192:193], -v[206:207]
	scratch_load_b128 v[188:191], off, off offset:368
	s_waitcnt vmcnt(9) lgkmcnt(1)
	v_mul_f64 v[202:203], v[2:3], v[40:41]
	v_mul_f64 v[40:41], v[4:5], v[40:41]
	v_add_f64 v[200:201], v[200:201], v[210:211]
	v_add_f64 v[198:199], v[198:199], v[208:209]
	s_delay_alu instid0(VALU_DEP_4) | instskip(NEXT) | instid1(VALU_DEP_4)
	v_fma_f64 v[202:203], v[4:5], v[38:39], v[202:203]
	v_fma_f64 v[208:209], v[2:3], v[38:39], -v[40:41]
	scratch_load_b128 v[38:41], off, off offset:384
	ds_load_b128 v[2:5], v1 offset:1008
	s_waitcnt vmcnt(9) lgkmcnt(1)
	v_mul_f64 v[206:207], v[194:195], v[8:9]
	v_mul_f64 v[8:9], v[196:197], v[8:9]
	s_waitcnt vmcnt(8) lgkmcnt(0)
	v_mul_f64 v[210:211], v[2:3], v[12:13]
	v_mul_f64 v[12:13], v[4:5], v[12:13]
	v_add_f64 v[192:193], v[200:201], v[192:193]
	v_add_f64 v[204:205], v[198:199], v[204:205]
	ds_load_b128 v[198:201], v1 offset:1024
	v_fma_f64 v[196:197], v[196:197], v[6:7], v[206:207]
	v_fma_f64 v[194:195], v[194:195], v[6:7], -v[8:9]
	scratch_load_b128 v[6:9], off, off offset:400
	v_fma_f64 v[206:207], v[4:5], v[10:11], v[210:211]
	v_add_f64 v[192:193], v[192:193], v[208:209]
	v_add_f64 v[202:203], v[204:205], v[202:203]
	v_fma_f64 v[208:209], v[2:3], v[10:11], -v[12:13]
	scratch_load_b128 v[10:13], off, off offset:416
	ds_load_b128 v[2:5], v1 offset:1040
	s_waitcnt vmcnt(9) lgkmcnt(1)
	v_mul_f64 v[204:205], v[198:199], v[16:17]
	v_mul_f64 v[16:17], v[200:201], v[16:17]
	v_add_f64 v[210:211], v[192:193], v[194:195]
	v_add_f64 v[196:197], v[202:203], v[196:197]
	s_waitcnt vmcnt(8) lgkmcnt(0)
	v_mul_f64 v[202:203], v[2:3], v[20:21]
	v_mul_f64 v[20:21], v[4:5], v[20:21]
	ds_load_b128 v[192:195], v1 offset:1056
	v_fma_f64 v[200:201], v[200:201], v[14:15], v[204:205]
	v_fma_f64 v[198:199], v[198:199], v[14:15], -v[16:17]
	scratch_load_b128 v[14:17], off, off offset:432
	v_add_f64 v[204:205], v[210:211], v[208:209]
	v_add_f64 v[196:197], v[196:197], v[206:207]
	v_fma_f64 v[202:203], v[4:5], v[18:19], v[202:203]
	v_fma_f64 v[208:209], v[2:3], v[18:19], -v[20:21]
	scratch_load_b128 v[18:21], off, off offset:448
	ds_load_b128 v[2:5], v1 offset:1072
	s_waitcnt vmcnt(9) lgkmcnt(1)
	v_mul_f64 v[206:207], v[192:193], v[24:25]
	v_mul_f64 v[24:25], v[194:195], v[24:25]
	s_waitcnt vmcnt(8) lgkmcnt(0)
	v_mul_f64 v[210:211], v[2:3], v[28:29]
	v_mul_f64 v[28:29], v[4:5], v[28:29]
	v_add_f64 v[204:205], v[204:205], v[198:199]
	v_add_f64 v[200:201], v[196:197], v[200:201]
	ds_load_b128 v[196:199], v1 offset:1088
	v_fma_f64 v[194:195], v[194:195], v[22:23], v[206:207]
	v_fma_f64 v[192:193], v[192:193], v[22:23], -v[24:25]
	scratch_load_b128 v[22:25], off, off offset:464
	v_fma_f64 v[206:207], v[4:5], v[26:27], v[210:211]
	v_add_f64 v[204:205], v[204:205], v[208:209]
	v_add_f64 v[200:201], v[200:201], v[202:203]
	v_fma_f64 v[208:209], v[2:3], v[26:27], -v[28:29]
	scratch_load_b128 v[26:29], off, off offset:480
	ds_load_b128 v[2:5], v1 offset:1104
	s_waitcnt vmcnt(9) lgkmcnt(1)
	v_mul_f64 v[202:203], v[196:197], v[32:33]
	v_mul_f64 v[32:33], v[198:199], v[32:33]
	s_waitcnt vmcnt(8) lgkmcnt(0)
	v_mul_f64 v[210:211], v[2:3], v[36:37]
	v_mul_f64 v[36:37], v[4:5], v[36:37]
	v_add_f64 v[204:205], v[204:205], v[192:193]
	v_add_f64 v[200:201], v[200:201], v[194:195]
	ds_load_b128 v[192:195], v1 offset:1120
	v_fma_f64 v[198:199], v[198:199], v[30:31], v[202:203]
	v_fma_f64 v[196:197], v[196:197], v[30:31], -v[32:33]
	scratch_load_b128 v[30:33], off, off offset:496
	v_add_f64 v[202:203], v[204:205], v[208:209]
	v_add_f64 v[200:201], v[200:201], v[206:207]
	v_fma_f64 v[206:207], v[4:5], v[34:35], v[210:211]
	v_fma_f64 v[208:209], v[2:3], v[34:35], -v[36:37]
	scratch_load_b128 v[34:37], off, off offset:512
	ds_load_b128 v[2:5], v1 offset:1136
	s_waitcnt vmcnt(9) lgkmcnt(1)
	v_mul_f64 v[204:205], v[192:193], v[190:191]
	v_mul_f64 v[190:191], v[194:195], v[190:191]
	s_waitcnt vmcnt(8) lgkmcnt(0)
	v_mul_f64 v[210:211], v[2:3], v[40:41]
	v_mul_f64 v[40:41], v[4:5], v[40:41]
	v_add_f64 v[202:203], v[202:203], v[196:197]
	v_add_f64 v[200:201], v[200:201], v[198:199]
	ds_load_b128 v[196:199], v1 offset:1152
	v_fma_f64 v[194:195], v[194:195], v[188:189], v[204:205]
	v_fma_f64 v[192:193], v[192:193], v[188:189], -v[190:191]
	scratch_load_b128 v[188:191], off, off offset:528
	v_add_f64 v[202:203], v[202:203], v[208:209]
	v_add_f64 v[200:201], v[200:201], v[206:207]
	v_fma_f64 v[206:207], v[4:5], v[38:39], v[210:211]
	;; [unrolled: 18-line block ×6, first 2 shown]
	v_fma_f64 v[210:211], v[2:3], v[34:35], -v[36:37]
	scratch_load_b128 v[34:37], off, off offset:672
	ds_load_b128 v[2:5], v1 offset:1296
	s_waitcnt vmcnt(9) lgkmcnt(1)
	v_mul_f64 v[204:205], v[196:197], v[190:191]
	v_mul_f64 v[206:207], v[198:199], v[190:191]
	v_add_f64 v[202:203], v[202:203], v[192:193]
	v_add_f64 v[194:195], v[200:201], v[194:195]
	s_waitcnt vmcnt(8) lgkmcnt(0)
	v_mul_f64 v[200:201], v[2:3], v[40:41]
	v_mul_f64 v[40:41], v[4:5], v[40:41]
	ds_load_b128 v[190:193], v1 offset:1312
	v_fma_f64 v[198:199], v[198:199], v[188:189], v[204:205]
	v_fma_f64 v[188:189], v[196:197], v[188:189], -v[206:207]
	v_add_f64 v[202:203], v[202:203], v[210:211]
	v_add_f64 v[204:205], v[194:195], v[208:209]
	scratch_load_b128 v[194:197], off, off offset:688
	v_fma_f64 v[208:209], v[4:5], v[38:39], v[200:201]
	v_fma_f64 v[210:211], v[2:3], v[38:39], -v[40:41]
	scratch_load_b128 v[38:41], off, off offset:704
	ds_load_b128 v[2:5], v1 offset:1328
	s_waitcnt vmcnt(9) lgkmcnt(1)
	v_mul_f64 v[206:207], v[190:191], v[8:9]
	v_mul_f64 v[8:9], v[192:193], v[8:9]
	v_add_f64 v[188:189], v[202:203], v[188:189]
	v_add_f64 v[202:203], v[204:205], v[198:199]
	s_waitcnt vmcnt(8) lgkmcnt(0)
	v_mul_f64 v[204:205], v[2:3], v[12:13]
	v_mul_f64 v[12:13], v[4:5], v[12:13]
	ds_load_b128 v[198:201], v1 offset:1344
	v_fma_f64 v[192:193], v[192:193], v[6:7], v[206:207]
	v_fma_f64 v[190:191], v[190:191], v[6:7], -v[8:9]
	scratch_load_b128 v[6:9], off, off offset:720
	v_add_f64 v[188:189], v[188:189], v[210:211]
	v_add_f64 v[202:203], v[202:203], v[208:209]
	v_fma_f64 v[204:205], v[4:5], v[10:11], v[204:205]
	v_fma_f64 v[208:209], v[2:3], v[10:11], -v[12:13]
	scratch_load_b128 v[10:13], off, off offset:736
	ds_load_b128 v[2:5], v1 offset:1360
	s_waitcnt vmcnt(9) lgkmcnt(1)
	v_mul_f64 v[206:207], v[198:199], v[16:17]
	v_mul_f64 v[16:17], v[200:201], v[16:17]
	v_add_f64 v[210:211], v[188:189], v[190:191]
	v_add_f64 v[192:193], v[202:203], v[192:193]
	s_waitcnt vmcnt(8) lgkmcnt(0)
	v_mul_f64 v[202:203], v[2:3], v[20:21]
	v_mul_f64 v[20:21], v[4:5], v[20:21]
	ds_load_b128 v[188:191], v1 offset:1376
	v_fma_f64 v[200:201], v[200:201], v[14:15], v[206:207]
	v_fma_f64 v[14:15], v[198:199], v[14:15], -v[16:17]
	s_waitcnt vmcnt(7) lgkmcnt(0)
	v_mul_f64 v[198:199], v[188:189], v[24:25]
	v_mul_f64 v[24:25], v[190:191], v[24:25]
	v_add_f64 v[16:17], v[210:211], v[208:209]
	v_add_f64 v[192:193], v[192:193], v[204:205]
	v_fma_f64 v[202:203], v[4:5], v[18:19], v[202:203]
	v_fma_f64 v[18:19], v[2:3], v[18:19], -v[20:21]
	v_fma_f64 v[190:191], v[190:191], v[22:23], v[198:199]
	v_fma_f64 v[22:23], v[188:189], v[22:23], -v[24:25]
	v_add_f64 v[20:21], v[16:17], v[14:15]
	v_add_f64 v[192:193], v[192:193], v[200:201]
	ds_load_b128 v[2:5], v1 offset:1392
	ds_load_b128 v[14:17], v1 offset:1408
	s_waitcnt vmcnt(6) lgkmcnt(1)
	v_mul_f64 v[200:201], v[2:3], v[28:29]
	v_mul_f64 v[28:29], v[4:5], v[28:29]
	s_waitcnt vmcnt(5) lgkmcnt(0)
	v_mul_f64 v[24:25], v[14:15], v[32:33]
	v_mul_f64 v[32:33], v[16:17], v[32:33]
	v_add_f64 v[18:19], v[20:21], v[18:19]
	v_add_f64 v[20:21], v[192:193], v[202:203]
	v_fma_f64 v[188:189], v[4:5], v[26:27], v[200:201]
	v_fma_f64 v[26:27], v[2:3], v[26:27], -v[28:29]
	v_fma_f64 v[16:17], v[16:17], v[30:31], v[24:25]
	v_fma_f64 v[14:15], v[14:15], v[30:31], -v[32:33]
	v_add_f64 v[22:23], v[18:19], v[22:23]
	v_add_f64 v[28:29], v[20:21], v[190:191]
	ds_load_b128 v[2:5], v1 offset:1424
	ds_load_b128 v[18:21], v1 offset:1440
	s_waitcnt vmcnt(4) lgkmcnt(1)
	v_mul_f64 v[190:191], v[2:3], v[36:37]
	v_mul_f64 v[36:37], v[4:5], v[36:37]
	v_add_f64 v[22:23], v[22:23], v[26:27]
	v_add_f64 v[24:25], v[28:29], v[188:189]
	s_waitcnt vmcnt(3) lgkmcnt(0)
	v_mul_f64 v[26:27], v[18:19], v[196:197]
	v_mul_f64 v[28:29], v[20:21], v[196:197]
	v_fma_f64 v[30:31], v[4:5], v[34:35], v[190:191]
	v_fma_f64 v[32:33], v[2:3], v[34:35], -v[36:37]
	v_add_f64 v[22:23], v[22:23], v[14:15]
	v_add_f64 v[24:25], v[24:25], v[16:17]
	ds_load_b128 v[2:5], v1 offset:1456
	ds_load_b128 v[14:17], v1 offset:1472
	v_fma_f64 v[20:21], v[20:21], v[194:195], v[26:27]
	v_fma_f64 v[18:19], v[18:19], v[194:195], -v[28:29]
	s_waitcnt vmcnt(2) lgkmcnt(1)
	v_mul_f64 v[34:35], v[2:3], v[40:41]
	v_mul_f64 v[36:37], v[4:5], v[40:41]
	s_waitcnt vmcnt(1) lgkmcnt(0)
	v_mul_f64 v[26:27], v[14:15], v[8:9]
	v_mul_f64 v[8:9], v[16:17], v[8:9]
	v_add_f64 v[22:23], v[22:23], v[32:33]
	v_add_f64 v[24:25], v[24:25], v[30:31]
	v_fma_f64 v[28:29], v[4:5], v[38:39], v[34:35]
	v_fma_f64 v[30:31], v[2:3], v[38:39], -v[36:37]
	ds_load_b128 v[2:5], v1 offset:1488
	v_fma_f64 v[16:17], v[16:17], v[6:7], v[26:27]
	v_fma_f64 v[6:7], v[14:15], v[6:7], -v[8:9]
	v_add_f64 v[18:19], v[22:23], v[18:19]
	v_add_f64 v[20:21], v[24:25], v[20:21]
	s_waitcnt vmcnt(0) lgkmcnt(0)
	v_mul_f64 v[22:23], v[2:3], v[12:13]
	v_mul_f64 v[12:13], v[4:5], v[12:13]
	s_delay_alu instid0(VALU_DEP_4) | instskip(NEXT) | instid1(VALU_DEP_4)
	v_add_f64 v[8:9], v[18:19], v[30:31]
	v_add_f64 v[14:15], v[20:21], v[28:29]
	s_delay_alu instid0(VALU_DEP_4) | instskip(NEXT) | instid1(VALU_DEP_4)
	v_fma_f64 v[4:5], v[4:5], v[10:11], v[22:23]
	v_fma_f64 v[2:3], v[2:3], v[10:11], -v[12:13]
	s_delay_alu instid0(VALU_DEP_4) | instskip(NEXT) | instid1(VALU_DEP_4)
	v_add_f64 v[6:7], v[8:9], v[6:7]
	v_add_f64 v[8:9], v[14:15], v[16:17]
	s_delay_alu instid0(VALU_DEP_2) | instskip(NEXT) | instid1(VALU_DEP_2)
	v_add_f64 v[2:3], v[6:7], v[2:3]
	v_add_f64 v[4:5], v[8:9], v[4:5]
	s_delay_alu instid0(VALU_DEP_2) | instskip(NEXT) | instid1(VALU_DEP_2)
	v_add_f64 v[2:3], v[42:43], -v[2:3]
	v_add_f64 v[4:5], v[44:45], -v[4:5]
	scratch_store_b128 off, v[2:5], off offset:48
	v_cmpx_lt_u32_e32 2, v140
	s_cbranch_execz .LBB46_291
; %bb.290:
	scratch_load_b128 v[5:8], v185, off
	v_mov_b32_e32 v2, v1
	v_mov_b32_e32 v3, v1
	;; [unrolled: 1-line block ×3, first 2 shown]
	scratch_store_b128 off, v[1:4], off offset:32
	s_waitcnt vmcnt(0)
	ds_store_b128 v187, v[5:8]
.LBB46_291:
	s_or_b32 exec_lo, exec_lo, s2
	s_waitcnt lgkmcnt(0)
	s_waitcnt_vscnt null, 0x0
	s_barrier
	buffer_gl0_inv
	s_clause 0x8
	scratch_load_b128 v[2:5], off, off offset:48
	scratch_load_b128 v[6:9], off, off offset:64
	;; [unrolled: 1-line block ×9, first 2 shown]
	ds_load_b128 v[42:45], v1 offset:800
	ds_load_b128 v[38:41], v1 offset:816
	s_clause 0x1
	scratch_load_b128 v[188:191], off, off offset:32
	scratch_load_b128 v[192:195], off, off offset:192
	s_mov_b32 s2, exec_lo
	s_waitcnt vmcnt(10) lgkmcnt(1)
	v_mul_f64 v[196:197], v[44:45], v[4:5]
	v_mul_f64 v[4:5], v[42:43], v[4:5]
	s_waitcnt vmcnt(9) lgkmcnt(0)
	v_mul_f64 v[200:201], v[38:39], v[8:9]
	v_mul_f64 v[8:9], v[40:41], v[8:9]
	s_delay_alu instid0(VALU_DEP_4) | instskip(NEXT) | instid1(VALU_DEP_4)
	v_fma_f64 v[202:203], v[42:43], v[2:3], -v[196:197]
	v_fma_f64 v[204:205], v[44:45], v[2:3], v[4:5]
	ds_load_b128 v[2:5], v1 offset:832
	ds_load_b128 v[196:199], v1 offset:848
	scratch_load_b128 v[42:45], off, off offset:208
	v_fma_f64 v[40:41], v[40:41], v[6:7], v[200:201]
	v_fma_f64 v[38:39], v[38:39], v[6:7], -v[8:9]
	scratch_load_b128 v[6:9], off, off offset:224
	s_waitcnt vmcnt(10) lgkmcnt(1)
	v_mul_f64 v[206:207], v[2:3], v[12:13]
	v_mul_f64 v[12:13], v[4:5], v[12:13]
	v_add_f64 v[200:201], v[202:203], 0
	v_add_f64 v[202:203], v[204:205], 0
	s_waitcnt vmcnt(9) lgkmcnt(0)
	v_mul_f64 v[204:205], v[196:197], v[16:17]
	v_mul_f64 v[16:17], v[198:199], v[16:17]
	v_fma_f64 v[206:207], v[4:5], v[10:11], v[206:207]
	v_fma_f64 v[208:209], v[2:3], v[10:11], -v[12:13]
	ds_load_b128 v[2:5], v1 offset:864
	scratch_load_b128 v[10:13], off, off offset:240
	v_add_f64 v[200:201], v[200:201], v[38:39]
	v_add_f64 v[202:203], v[202:203], v[40:41]
	ds_load_b128 v[38:41], v1 offset:880
	v_fma_f64 v[198:199], v[198:199], v[14:15], v[204:205]
	v_fma_f64 v[196:197], v[196:197], v[14:15], -v[16:17]
	scratch_load_b128 v[14:17], off, off offset:256
	s_waitcnt vmcnt(10) lgkmcnt(1)
	v_mul_f64 v[210:211], v[2:3], v[20:21]
	v_mul_f64 v[20:21], v[4:5], v[20:21]
	s_waitcnt vmcnt(9) lgkmcnt(0)
	v_mul_f64 v[204:205], v[38:39], v[24:25]
	v_mul_f64 v[24:25], v[40:41], v[24:25]
	v_add_f64 v[200:201], v[200:201], v[208:209]
	v_add_f64 v[202:203], v[202:203], v[206:207]
	v_fma_f64 v[206:207], v[4:5], v[18:19], v[210:211]
	v_fma_f64 v[208:209], v[2:3], v[18:19], -v[20:21]
	ds_load_b128 v[2:5], v1 offset:896
	scratch_load_b128 v[18:21], off, off offset:272
	v_fma_f64 v[40:41], v[40:41], v[22:23], v[204:205]
	v_fma_f64 v[38:39], v[38:39], v[22:23], -v[24:25]
	scratch_load_b128 v[22:25], off, off offset:288
	v_add_f64 v[200:201], v[200:201], v[196:197]
	v_add_f64 v[202:203], v[202:203], v[198:199]
	ds_load_b128 v[196:199], v1 offset:912
	s_waitcnt vmcnt(10) lgkmcnt(1)
	v_mul_f64 v[210:211], v[2:3], v[28:29]
	v_mul_f64 v[28:29], v[4:5], v[28:29]
	s_waitcnt vmcnt(9) lgkmcnt(0)
	v_mul_f64 v[204:205], v[196:197], v[32:33]
	v_mul_f64 v[32:33], v[198:199], v[32:33]
	v_add_f64 v[200:201], v[200:201], v[208:209]
	v_add_f64 v[202:203], v[202:203], v[206:207]
	v_fma_f64 v[206:207], v[4:5], v[26:27], v[210:211]
	v_fma_f64 v[208:209], v[2:3], v[26:27], -v[28:29]
	ds_load_b128 v[2:5], v1 offset:928
	scratch_load_b128 v[26:29], off, off offset:304
	v_fma_f64 v[198:199], v[198:199], v[30:31], v[204:205]
	v_fma_f64 v[196:197], v[196:197], v[30:31], -v[32:33]
	scratch_load_b128 v[30:33], off, off offset:320
	v_add_f64 v[200:201], v[200:201], v[38:39]
	v_add_f64 v[202:203], v[202:203], v[40:41]
	ds_load_b128 v[38:41], v1 offset:944
	s_waitcnt vmcnt(10) lgkmcnt(1)
	v_mul_f64 v[210:211], v[2:3], v[36:37]
	v_mul_f64 v[36:37], v[4:5], v[36:37]
	s_waitcnt vmcnt(8) lgkmcnt(0)
	v_mul_f64 v[204:205], v[38:39], v[194:195]
	v_add_f64 v[200:201], v[200:201], v[208:209]
	v_add_f64 v[202:203], v[202:203], v[206:207]
	v_mul_f64 v[206:207], v[40:41], v[194:195]
	v_fma_f64 v[208:209], v[4:5], v[34:35], v[210:211]
	v_fma_f64 v[210:211], v[2:3], v[34:35], -v[36:37]
	ds_load_b128 v[2:5], v1 offset:960
	scratch_load_b128 v[34:37], off, off offset:336
	v_fma_f64 v[204:205], v[40:41], v[192:193], v[204:205]
	v_add_f64 v[200:201], v[200:201], v[196:197]
	v_add_f64 v[198:199], v[202:203], v[198:199]
	ds_load_b128 v[194:197], v1 offset:976
	v_fma_f64 v[192:193], v[38:39], v[192:193], -v[206:207]
	scratch_load_b128 v[38:41], off, off offset:352
	s_waitcnt vmcnt(9) lgkmcnt(1)
	v_mul_f64 v[202:203], v[2:3], v[44:45]
	v_mul_f64 v[44:45], v[4:5], v[44:45]
	s_waitcnt vmcnt(8) lgkmcnt(0)
	v_mul_f64 v[206:207], v[194:195], v[8:9]
	v_mul_f64 v[8:9], v[196:197], v[8:9]
	v_add_f64 v[200:201], v[200:201], v[210:211]
	v_add_f64 v[198:199], v[198:199], v[208:209]
	v_fma_f64 v[202:203], v[4:5], v[42:43], v[202:203]
	v_fma_f64 v[208:209], v[2:3], v[42:43], -v[44:45]
	ds_load_b128 v[2:5], v1 offset:992
	scratch_load_b128 v[42:45], off, off offset:368
	v_fma_f64 v[196:197], v[196:197], v[6:7], v[206:207]
	v_fma_f64 v[194:195], v[194:195], v[6:7], -v[8:9]
	scratch_load_b128 v[6:9], off, off offset:384
	v_add_f64 v[192:193], v[200:201], v[192:193]
	v_add_f64 v[204:205], v[198:199], v[204:205]
	ds_load_b128 v[198:201], v1 offset:1008
	s_waitcnt vmcnt(9) lgkmcnt(1)
	v_mul_f64 v[210:211], v[2:3], v[12:13]
	v_mul_f64 v[12:13], v[4:5], v[12:13]
	v_add_f64 v[192:193], v[192:193], v[208:209]
	v_add_f64 v[202:203], v[204:205], v[202:203]
	s_waitcnt vmcnt(8) lgkmcnt(0)
	v_mul_f64 v[204:205], v[198:199], v[16:17]
	v_mul_f64 v[16:17], v[200:201], v[16:17]
	v_fma_f64 v[206:207], v[4:5], v[10:11], v[210:211]
	v_fma_f64 v[208:209], v[2:3], v[10:11], -v[12:13]
	ds_load_b128 v[2:5], v1 offset:1024
	scratch_load_b128 v[10:13], off, off offset:400
	v_add_f64 v[210:211], v[192:193], v[194:195]
	v_add_f64 v[196:197], v[202:203], v[196:197]
	ds_load_b128 v[192:195], v1 offset:1040
	s_waitcnt vmcnt(8) lgkmcnt(1)
	v_mul_f64 v[202:203], v[2:3], v[20:21]
	v_mul_f64 v[20:21], v[4:5], v[20:21]
	v_fma_f64 v[200:201], v[200:201], v[14:15], v[204:205]
	v_fma_f64 v[198:199], v[198:199], v[14:15], -v[16:17]
	scratch_load_b128 v[14:17], off, off offset:416
	v_add_f64 v[204:205], v[210:211], v[208:209]
	v_add_f64 v[196:197], v[196:197], v[206:207]
	s_waitcnt vmcnt(8) lgkmcnt(0)
	v_mul_f64 v[206:207], v[192:193], v[24:25]
	v_mul_f64 v[24:25], v[194:195], v[24:25]
	v_fma_f64 v[202:203], v[4:5], v[18:19], v[202:203]
	v_fma_f64 v[208:209], v[2:3], v[18:19], -v[20:21]
	ds_load_b128 v[2:5], v1 offset:1056
	scratch_load_b128 v[18:21], off, off offset:432
	v_add_f64 v[204:205], v[204:205], v[198:199]
	v_add_f64 v[200:201], v[196:197], v[200:201]
	ds_load_b128 v[196:199], v1 offset:1072
	s_waitcnt vmcnt(8) lgkmcnt(1)
	v_mul_f64 v[210:211], v[2:3], v[28:29]
	v_mul_f64 v[28:29], v[4:5], v[28:29]
	v_fma_f64 v[194:195], v[194:195], v[22:23], v[206:207]
	v_fma_f64 v[192:193], v[192:193], v[22:23], -v[24:25]
	scratch_load_b128 v[22:25], off, off offset:448
	;; [unrolled: 18-line block ×4, first 2 shown]
	s_waitcnt vmcnt(8) lgkmcnt(0)
	v_mul_f64 v[204:205], v[196:197], v[8:9]
	v_mul_f64 v[8:9], v[198:199], v[8:9]
	v_add_f64 v[202:203], v[202:203], v[208:209]
	v_add_f64 v[200:201], v[200:201], v[206:207]
	v_fma_f64 v[206:207], v[4:5], v[42:43], v[210:211]
	v_fma_f64 v[208:209], v[2:3], v[42:43], -v[44:45]
	ds_load_b128 v[2:5], v1 offset:1152
	scratch_load_b128 v[42:45], off, off offset:528
	v_fma_f64 v[198:199], v[198:199], v[6:7], v[204:205]
	v_fma_f64 v[196:197], v[196:197], v[6:7], -v[8:9]
	scratch_load_b128 v[6:9], off, off offset:544
	v_add_f64 v[202:203], v[202:203], v[192:193]
	v_add_f64 v[200:201], v[200:201], v[194:195]
	ds_load_b128 v[192:195], v1 offset:1168
	s_waitcnt vmcnt(9) lgkmcnt(1)
	v_mul_f64 v[210:211], v[2:3], v[12:13]
	v_mul_f64 v[12:13], v[4:5], v[12:13]
	s_waitcnt vmcnt(8) lgkmcnt(0)
	v_mul_f64 v[204:205], v[192:193], v[16:17]
	v_mul_f64 v[16:17], v[194:195], v[16:17]
	v_add_f64 v[202:203], v[202:203], v[208:209]
	v_add_f64 v[200:201], v[200:201], v[206:207]
	v_fma_f64 v[206:207], v[4:5], v[10:11], v[210:211]
	v_fma_f64 v[208:209], v[2:3], v[10:11], -v[12:13]
	ds_load_b128 v[2:5], v1 offset:1184
	scratch_load_b128 v[10:13], off, off offset:560
	v_fma_f64 v[194:195], v[194:195], v[14:15], v[204:205]
	v_fma_f64 v[192:193], v[192:193], v[14:15], -v[16:17]
	scratch_load_b128 v[14:17], off, off offset:576
	v_add_f64 v[202:203], v[202:203], v[196:197]
	v_add_f64 v[200:201], v[200:201], v[198:199]
	ds_load_b128 v[196:199], v1 offset:1200
	s_waitcnt vmcnt(9) lgkmcnt(1)
	v_mul_f64 v[210:211], v[2:3], v[20:21]
	v_mul_f64 v[20:21], v[4:5], v[20:21]
	;; [unrolled: 18-line block ×7, first 2 shown]
	s_waitcnt vmcnt(8) lgkmcnt(0)
	v_mul_f64 v[204:205], v[192:193], v[24:25]
	v_mul_f64 v[24:25], v[194:195], v[24:25]
	v_add_f64 v[202:203], v[202:203], v[208:209]
	v_add_f64 v[200:201], v[200:201], v[206:207]
	v_fma_f64 v[206:207], v[4:5], v[18:19], v[210:211]
	v_fma_f64 v[208:209], v[2:3], v[18:19], -v[20:21]
	ds_load_b128 v[2:5], v1 offset:1376
	ds_load_b128 v[18:21], v1 offset:1392
	v_fma_f64 v[194:195], v[194:195], v[22:23], v[204:205]
	v_fma_f64 v[22:23], v[192:193], v[22:23], -v[24:25]
	v_add_f64 v[196:197], v[202:203], v[196:197]
	v_add_f64 v[198:199], v[200:201], v[198:199]
	s_waitcnt vmcnt(7) lgkmcnt(1)
	v_mul_f64 v[200:201], v[2:3], v[28:29]
	v_mul_f64 v[28:29], v[4:5], v[28:29]
	s_delay_alu instid0(VALU_DEP_4) | instskip(NEXT) | instid1(VALU_DEP_4)
	v_add_f64 v[24:25], v[196:197], v[208:209]
	v_add_f64 v[192:193], v[198:199], v[206:207]
	s_waitcnt vmcnt(6) lgkmcnt(0)
	v_mul_f64 v[196:197], v[18:19], v[32:33]
	v_mul_f64 v[32:33], v[20:21], v[32:33]
	v_fma_f64 v[198:199], v[4:5], v[26:27], v[200:201]
	v_fma_f64 v[26:27], v[2:3], v[26:27], -v[28:29]
	v_add_f64 v[28:29], v[24:25], v[22:23]
	v_add_f64 v[192:193], v[192:193], v[194:195]
	ds_load_b128 v[2:5], v1 offset:1408
	ds_load_b128 v[22:25], v1 offset:1424
	v_fma_f64 v[20:21], v[20:21], v[30:31], v[196:197]
	v_fma_f64 v[18:19], v[18:19], v[30:31], -v[32:33]
	s_waitcnt vmcnt(5) lgkmcnt(1)
	v_mul_f64 v[194:195], v[2:3], v[36:37]
	v_mul_f64 v[36:37], v[4:5], v[36:37]
	s_waitcnt vmcnt(4) lgkmcnt(0)
	v_mul_f64 v[30:31], v[22:23], v[40:41]
	v_mul_f64 v[32:33], v[24:25], v[40:41]
	v_add_f64 v[26:27], v[28:29], v[26:27]
	v_add_f64 v[28:29], v[192:193], v[198:199]
	v_fma_f64 v[40:41], v[4:5], v[34:35], v[194:195]
	v_fma_f64 v[34:35], v[2:3], v[34:35], -v[36:37]
	v_fma_f64 v[24:25], v[24:25], v[38:39], v[30:31]
	v_fma_f64 v[22:23], v[22:23], v[38:39], -v[32:33]
	v_add_f64 v[26:27], v[26:27], v[18:19]
	v_add_f64 v[28:29], v[28:29], v[20:21]
	ds_load_b128 v[2:5], v1 offset:1440
	ds_load_b128 v[18:21], v1 offset:1456
	s_waitcnt vmcnt(3) lgkmcnt(1)
	v_mul_f64 v[36:37], v[2:3], v[44:45]
	v_mul_f64 v[44:45], v[4:5], v[44:45]
	s_waitcnt vmcnt(2) lgkmcnt(0)
	v_mul_f64 v[30:31], v[18:19], v[8:9]
	v_mul_f64 v[8:9], v[20:21], v[8:9]
	v_add_f64 v[26:27], v[26:27], v[34:35]
	v_add_f64 v[28:29], v[28:29], v[40:41]
	v_fma_f64 v[32:33], v[4:5], v[42:43], v[36:37]
	v_fma_f64 v[34:35], v[2:3], v[42:43], -v[44:45]
	v_fma_f64 v[20:21], v[20:21], v[6:7], v[30:31]
	v_fma_f64 v[6:7], v[18:19], v[6:7], -v[8:9]
	v_add_f64 v[26:27], v[26:27], v[22:23]
	v_add_f64 v[28:29], v[28:29], v[24:25]
	ds_load_b128 v[2:5], v1 offset:1472
	ds_load_b128 v[22:25], v1 offset:1488
	s_waitcnt vmcnt(1) lgkmcnt(1)
	v_mul_f64 v[36:37], v[2:3], v[12:13]
	v_mul_f64 v[12:13], v[4:5], v[12:13]
	v_add_f64 v[8:9], v[26:27], v[34:35]
	v_add_f64 v[18:19], v[28:29], v[32:33]
	s_waitcnt vmcnt(0) lgkmcnt(0)
	v_mul_f64 v[26:27], v[22:23], v[16:17]
	v_mul_f64 v[16:17], v[24:25], v[16:17]
	v_fma_f64 v[4:5], v[4:5], v[10:11], v[36:37]
	v_fma_f64 v[1:2], v[2:3], v[10:11], -v[12:13]
	v_add_f64 v[6:7], v[8:9], v[6:7]
	v_add_f64 v[8:9], v[18:19], v[20:21]
	v_fma_f64 v[10:11], v[24:25], v[14:15], v[26:27]
	v_fma_f64 v[12:13], v[22:23], v[14:15], -v[16:17]
	s_delay_alu instid0(VALU_DEP_4) | instskip(NEXT) | instid1(VALU_DEP_4)
	v_add_f64 v[1:2], v[6:7], v[1:2]
	v_add_f64 v[3:4], v[8:9], v[4:5]
	s_delay_alu instid0(VALU_DEP_2) | instskip(NEXT) | instid1(VALU_DEP_2)
	v_add_f64 v[1:2], v[1:2], v[12:13]
	v_add_f64 v[3:4], v[3:4], v[10:11]
	s_delay_alu instid0(VALU_DEP_2) | instskip(NEXT) | instid1(VALU_DEP_2)
	v_add_f64 v[1:2], v[188:189], -v[1:2]
	v_add_f64 v[3:4], v[190:191], -v[3:4]
	scratch_store_b128 off, v[1:4], off offset:32
	v_cmpx_lt_u32_e32 1, v140
	s_cbranch_execz .LBB46_293
; %bb.292:
	scratch_load_b128 v[1:4], v186, off
	v_mov_b32_e32 v5, 0
	s_delay_alu instid0(VALU_DEP_1)
	v_mov_b32_e32 v6, v5
	v_mov_b32_e32 v7, v5
	;; [unrolled: 1-line block ×3, first 2 shown]
	scratch_store_b128 off, v[5:8], off offset:16
	s_waitcnt vmcnt(0)
	ds_store_b128 v187, v[1:4]
.LBB46_293:
	s_or_b32 exec_lo, exec_lo, s2
	s_waitcnt lgkmcnt(0)
	s_waitcnt_vscnt null, 0x0
	s_barrier
	buffer_gl0_inv
	s_clause 0x7
	scratch_load_b128 v[2:5], off, off offset:32
	scratch_load_b128 v[6:9], off, off offset:48
	;; [unrolled: 1-line block ×8, first 2 shown]
	v_mov_b32_e32 v1, 0
	s_mov_b32 s2, exec_lo
	ds_load_b128 v[38:41], v1 offset:784
	s_clause 0x1
	scratch_load_b128 v[34:37], off, off offset:160
	scratch_load_b128 v[42:45], off, off offset:16
	ds_load_b128 v[188:191], v1 offset:800
	scratch_load_b128 v[192:195], off, off offset:176
	s_waitcnt vmcnt(10) lgkmcnt(1)
	v_mul_f64 v[196:197], v[40:41], v[4:5]
	v_mul_f64 v[4:5], v[38:39], v[4:5]
	s_delay_alu instid0(VALU_DEP_2) | instskip(NEXT) | instid1(VALU_DEP_2)
	v_fma_f64 v[202:203], v[38:39], v[2:3], -v[196:197]
	v_fma_f64 v[204:205], v[40:41], v[2:3], v[4:5]
	scratch_load_b128 v[38:41], off, off offset:192
	ds_load_b128 v[2:5], v1 offset:816
	s_waitcnt vmcnt(10) lgkmcnt(1)
	v_mul_f64 v[200:201], v[188:189], v[8:9]
	v_mul_f64 v[8:9], v[190:191], v[8:9]
	ds_load_b128 v[196:199], v1 offset:832
	s_waitcnt vmcnt(9) lgkmcnt(1)
	v_mul_f64 v[206:207], v[2:3], v[12:13]
	v_mul_f64 v[12:13], v[4:5], v[12:13]
	v_fma_f64 v[190:191], v[190:191], v[6:7], v[200:201]
	v_fma_f64 v[188:189], v[188:189], v[6:7], -v[8:9]
	v_add_f64 v[200:201], v[202:203], 0
	v_add_f64 v[202:203], v[204:205], 0
	scratch_load_b128 v[6:9], off, off offset:208
	v_fma_f64 v[206:207], v[4:5], v[10:11], v[206:207]
	v_fma_f64 v[208:209], v[2:3], v[10:11], -v[12:13]
	scratch_load_b128 v[10:13], off, off offset:224
	ds_load_b128 v[2:5], v1 offset:848
	s_waitcnt vmcnt(10) lgkmcnt(1)
	v_mul_f64 v[204:205], v[196:197], v[16:17]
	v_mul_f64 v[16:17], v[198:199], v[16:17]
	v_add_f64 v[200:201], v[200:201], v[188:189]
	v_add_f64 v[202:203], v[202:203], v[190:191]
	s_waitcnt vmcnt(9) lgkmcnt(0)
	v_mul_f64 v[210:211], v[2:3], v[20:21]
	v_mul_f64 v[20:21], v[4:5], v[20:21]
	ds_load_b128 v[188:191], v1 offset:864
	v_fma_f64 v[198:199], v[198:199], v[14:15], v[204:205]
	v_fma_f64 v[196:197], v[196:197], v[14:15], -v[16:17]
	scratch_load_b128 v[14:17], off, off offset:240
	v_add_f64 v[200:201], v[200:201], v[208:209]
	v_add_f64 v[202:203], v[202:203], v[206:207]
	v_fma_f64 v[206:207], v[4:5], v[18:19], v[210:211]
	v_fma_f64 v[208:209], v[2:3], v[18:19], -v[20:21]
	scratch_load_b128 v[18:21], off, off offset:256
	ds_load_b128 v[2:5], v1 offset:880
	s_waitcnt vmcnt(10) lgkmcnt(1)
	v_mul_f64 v[204:205], v[188:189], v[24:25]
	v_mul_f64 v[24:25], v[190:191], v[24:25]
	s_waitcnt vmcnt(9) lgkmcnt(0)
	v_mul_f64 v[210:211], v[2:3], v[28:29]
	v_mul_f64 v[28:29], v[4:5], v[28:29]
	v_add_f64 v[200:201], v[200:201], v[196:197]
	v_add_f64 v[202:203], v[202:203], v[198:199]
	ds_load_b128 v[196:199], v1 offset:896
	v_fma_f64 v[190:191], v[190:191], v[22:23], v[204:205]
	v_fma_f64 v[188:189], v[188:189], v[22:23], -v[24:25]
	scratch_load_b128 v[22:25], off, off offset:272
	v_add_f64 v[200:201], v[200:201], v[208:209]
	v_add_f64 v[202:203], v[202:203], v[206:207]
	v_fma_f64 v[206:207], v[4:5], v[26:27], v[210:211]
	v_fma_f64 v[208:209], v[2:3], v[26:27], -v[28:29]
	scratch_load_b128 v[26:29], off, off offset:288
	ds_load_b128 v[2:5], v1 offset:912
	s_waitcnt vmcnt(10) lgkmcnt(1)
	v_mul_f64 v[204:205], v[196:197], v[32:33]
	v_mul_f64 v[32:33], v[198:199], v[32:33]
	s_waitcnt vmcnt(9) lgkmcnt(0)
	v_mul_f64 v[210:211], v[2:3], v[36:37]
	v_mul_f64 v[36:37], v[4:5], v[36:37]
	v_add_f64 v[200:201], v[200:201], v[188:189]
	v_add_f64 v[202:203], v[202:203], v[190:191]
	ds_load_b128 v[188:191], v1 offset:928
	v_fma_f64 v[198:199], v[198:199], v[30:31], v[204:205]
	v_fma_f64 v[196:197], v[196:197], v[30:31], -v[32:33]
	scratch_load_b128 v[30:33], off, off offset:304
	v_add_f64 v[200:201], v[200:201], v[208:209]
	v_add_f64 v[202:203], v[202:203], v[206:207]
	v_fma_f64 v[208:209], v[4:5], v[34:35], v[210:211]
	v_fma_f64 v[210:211], v[2:3], v[34:35], -v[36:37]
	scratch_load_b128 v[34:37], off, off offset:320
	ds_load_b128 v[2:5], v1 offset:944
	s_waitcnt vmcnt(9) lgkmcnt(1)
	v_mul_f64 v[204:205], v[188:189], v[194:195]
	v_mul_f64 v[206:207], v[190:191], v[194:195]
	v_add_f64 v[200:201], v[200:201], v[196:197]
	v_add_f64 v[198:199], v[202:203], v[198:199]
	ds_load_b128 v[194:197], v1 offset:960
	v_fma_f64 v[204:205], v[190:191], v[192:193], v[204:205]
	v_fma_f64 v[192:193], v[188:189], v[192:193], -v[206:207]
	scratch_load_b128 v[188:191], off, off offset:336
	s_waitcnt vmcnt(9) lgkmcnt(1)
	v_mul_f64 v[202:203], v[2:3], v[40:41]
	v_mul_f64 v[40:41], v[4:5], v[40:41]
	v_add_f64 v[200:201], v[200:201], v[210:211]
	v_add_f64 v[198:199], v[198:199], v[208:209]
	s_delay_alu instid0(VALU_DEP_4) | instskip(NEXT) | instid1(VALU_DEP_4)
	v_fma_f64 v[202:203], v[4:5], v[38:39], v[202:203]
	v_fma_f64 v[208:209], v[2:3], v[38:39], -v[40:41]
	scratch_load_b128 v[38:41], off, off offset:352
	ds_load_b128 v[2:5], v1 offset:976
	s_waitcnt vmcnt(9) lgkmcnt(1)
	v_mul_f64 v[206:207], v[194:195], v[8:9]
	v_mul_f64 v[8:9], v[196:197], v[8:9]
	s_waitcnt vmcnt(8) lgkmcnt(0)
	v_mul_f64 v[210:211], v[2:3], v[12:13]
	v_mul_f64 v[12:13], v[4:5], v[12:13]
	v_add_f64 v[192:193], v[200:201], v[192:193]
	v_add_f64 v[204:205], v[198:199], v[204:205]
	ds_load_b128 v[198:201], v1 offset:992
	v_fma_f64 v[196:197], v[196:197], v[6:7], v[206:207]
	v_fma_f64 v[194:195], v[194:195], v[6:7], -v[8:9]
	scratch_load_b128 v[6:9], off, off offset:368
	v_fma_f64 v[206:207], v[4:5], v[10:11], v[210:211]
	v_add_f64 v[192:193], v[192:193], v[208:209]
	v_add_f64 v[202:203], v[204:205], v[202:203]
	v_fma_f64 v[208:209], v[2:3], v[10:11], -v[12:13]
	scratch_load_b128 v[10:13], off, off offset:384
	ds_load_b128 v[2:5], v1 offset:1008
	s_waitcnt vmcnt(9) lgkmcnt(1)
	v_mul_f64 v[204:205], v[198:199], v[16:17]
	v_mul_f64 v[16:17], v[200:201], v[16:17]
	v_add_f64 v[210:211], v[192:193], v[194:195]
	v_add_f64 v[196:197], v[202:203], v[196:197]
	s_waitcnt vmcnt(8) lgkmcnt(0)
	v_mul_f64 v[202:203], v[2:3], v[20:21]
	v_mul_f64 v[20:21], v[4:5], v[20:21]
	ds_load_b128 v[192:195], v1 offset:1024
	v_fma_f64 v[200:201], v[200:201], v[14:15], v[204:205]
	v_fma_f64 v[198:199], v[198:199], v[14:15], -v[16:17]
	scratch_load_b128 v[14:17], off, off offset:400
	v_add_f64 v[204:205], v[210:211], v[208:209]
	v_add_f64 v[196:197], v[196:197], v[206:207]
	v_fma_f64 v[202:203], v[4:5], v[18:19], v[202:203]
	v_fma_f64 v[208:209], v[2:3], v[18:19], -v[20:21]
	scratch_load_b128 v[18:21], off, off offset:416
	ds_load_b128 v[2:5], v1 offset:1040
	s_waitcnt vmcnt(9) lgkmcnt(1)
	v_mul_f64 v[206:207], v[192:193], v[24:25]
	v_mul_f64 v[24:25], v[194:195], v[24:25]
	s_waitcnt vmcnt(8) lgkmcnt(0)
	v_mul_f64 v[210:211], v[2:3], v[28:29]
	v_mul_f64 v[28:29], v[4:5], v[28:29]
	v_add_f64 v[204:205], v[204:205], v[198:199]
	v_add_f64 v[200:201], v[196:197], v[200:201]
	ds_load_b128 v[196:199], v1 offset:1056
	v_fma_f64 v[194:195], v[194:195], v[22:23], v[206:207]
	v_fma_f64 v[192:193], v[192:193], v[22:23], -v[24:25]
	scratch_load_b128 v[22:25], off, off offset:432
	v_fma_f64 v[206:207], v[4:5], v[26:27], v[210:211]
	v_add_f64 v[204:205], v[204:205], v[208:209]
	v_add_f64 v[200:201], v[200:201], v[202:203]
	v_fma_f64 v[208:209], v[2:3], v[26:27], -v[28:29]
	scratch_load_b128 v[26:29], off, off offset:448
	ds_load_b128 v[2:5], v1 offset:1072
	s_waitcnt vmcnt(9) lgkmcnt(1)
	v_mul_f64 v[202:203], v[196:197], v[32:33]
	v_mul_f64 v[32:33], v[198:199], v[32:33]
	s_waitcnt vmcnt(8) lgkmcnt(0)
	v_mul_f64 v[210:211], v[2:3], v[36:37]
	v_mul_f64 v[36:37], v[4:5], v[36:37]
	v_add_f64 v[204:205], v[204:205], v[192:193]
	v_add_f64 v[200:201], v[200:201], v[194:195]
	ds_load_b128 v[192:195], v1 offset:1088
	v_fma_f64 v[198:199], v[198:199], v[30:31], v[202:203]
	v_fma_f64 v[196:197], v[196:197], v[30:31], -v[32:33]
	scratch_load_b128 v[30:33], off, off offset:464
	v_add_f64 v[202:203], v[204:205], v[208:209]
	v_add_f64 v[200:201], v[200:201], v[206:207]
	v_fma_f64 v[206:207], v[4:5], v[34:35], v[210:211]
	v_fma_f64 v[208:209], v[2:3], v[34:35], -v[36:37]
	scratch_load_b128 v[34:37], off, off offset:480
	ds_load_b128 v[2:5], v1 offset:1104
	s_waitcnt vmcnt(9) lgkmcnt(1)
	v_mul_f64 v[204:205], v[192:193], v[190:191]
	v_mul_f64 v[190:191], v[194:195], v[190:191]
	s_waitcnt vmcnt(8) lgkmcnt(0)
	v_mul_f64 v[210:211], v[2:3], v[40:41]
	v_mul_f64 v[40:41], v[4:5], v[40:41]
	v_add_f64 v[202:203], v[202:203], v[196:197]
	v_add_f64 v[200:201], v[200:201], v[198:199]
	ds_load_b128 v[196:199], v1 offset:1120
	v_fma_f64 v[194:195], v[194:195], v[188:189], v[204:205]
	v_fma_f64 v[192:193], v[192:193], v[188:189], -v[190:191]
	scratch_load_b128 v[188:191], off, off offset:496
	v_add_f64 v[202:203], v[202:203], v[208:209]
	v_add_f64 v[200:201], v[200:201], v[206:207]
	v_fma_f64 v[206:207], v[4:5], v[38:39], v[210:211]
	;; [unrolled: 18-line block ×6, first 2 shown]
	v_fma_f64 v[210:211], v[2:3], v[34:35], -v[36:37]
	scratch_load_b128 v[34:37], off, off offset:640
	ds_load_b128 v[2:5], v1 offset:1264
	s_waitcnt vmcnt(9) lgkmcnt(1)
	v_mul_f64 v[204:205], v[196:197], v[190:191]
	v_mul_f64 v[206:207], v[198:199], v[190:191]
	v_add_f64 v[202:203], v[202:203], v[192:193]
	v_add_f64 v[194:195], v[200:201], v[194:195]
	s_waitcnt vmcnt(8) lgkmcnt(0)
	v_mul_f64 v[200:201], v[2:3], v[40:41]
	v_mul_f64 v[40:41], v[4:5], v[40:41]
	ds_load_b128 v[190:193], v1 offset:1280
	v_fma_f64 v[198:199], v[198:199], v[188:189], v[204:205]
	v_fma_f64 v[188:189], v[196:197], v[188:189], -v[206:207]
	v_add_f64 v[202:203], v[202:203], v[210:211]
	v_add_f64 v[204:205], v[194:195], v[208:209]
	scratch_load_b128 v[194:197], off, off offset:656
	v_fma_f64 v[208:209], v[4:5], v[38:39], v[200:201]
	v_fma_f64 v[210:211], v[2:3], v[38:39], -v[40:41]
	scratch_load_b128 v[38:41], off, off offset:672
	ds_load_b128 v[2:5], v1 offset:1296
	s_waitcnt vmcnt(9) lgkmcnt(1)
	v_mul_f64 v[206:207], v[190:191], v[8:9]
	v_mul_f64 v[8:9], v[192:193], v[8:9]
	v_add_f64 v[188:189], v[202:203], v[188:189]
	v_add_f64 v[202:203], v[204:205], v[198:199]
	s_waitcnt vmcnt(8) lgkmcnt(0)
	v_mul_f64 v[204:205], v[2:3], v[12:13]
	v_mul_f64 v[12:13], v[4:5], v[12:13]
	ds_load_b128 v[198:201], v1 offset:1312
	v_fma_f64 v[192:193], v[192:193], v[6:7], v[206:207]
	v_fma_f64 v[190:191], v[190:191], v[6:7], -v[8:9]
	scratch_load_b128 v[6:9], off, off offset:688
	v_add_f64 v[188:189], v[188:189], v[210:211]
	v_add_f64 v[202:203], v[202:203], v[208:209]
	v_fma_f64 v[204:205], v[4:5], v[10:11], v[204:205]
	v_fma_f64 v[208:209], v[2:3], v[10:11], -v[12:13]
	scratch_load_b128 v[10:13], off, off offset:704
	ds_load_b128 v[2:5], v1 offset:1328
	s_waitcnt vmcnt(9) lgkmcnt(1)
	v_mul_f64 v[206:207], v[198:199], v[16:17]
	v_mul_f64 v[16:17], v[200:201], v[16:17]
	v_add_f64 v[210:211], v[188:189], v[190:191]
	v_add_f64 v[192:193], v[202:203], v[192:193]
	s_waitcnt vmcnt(8) lgkmcnt(0)
	v_mul_f64 v[202:203], v[2:3], v[20:21]
	v_mul_f64 v[20:21], v[4:5], v[20:21]
	ds_load_b128 v[188:191], v1 offset:1344
	v_fma_f64 v[200:201], v[200:201], v[14:15], v[206:207]
	v_fma_f64 v[198:199], v[198:199], v[14:15], -v[16:17]
	scratch_load_b128 v[14:17], off, off offset:720
	v_add_f64 v[206:207], v[210:211], v[208:209]
	v_add_f64 v[192:193], v[192:193], v[204:205]
	v_fma_f64 v[202:203], v[4:5], v[18:19], v[202:203]
	v_fma_f64 v[208:209], v[2:3], v[18:19], -v[20:21]
	scratch_load_b128 v[18:21], off, off offset:736
	ds_load_b128 v[2:5], v1 offset:1360
	s_waitcnt vmcnt(9) lgkmcnt(1)
	v_mul_f64 v[204:205], v[188:189], v[24:25]
	v_mul_f64 v[24:25], v[190:191], v[24:25]
	s_waitcnt vmcnt(8) lgkmcnt(0)
	v_mul_f64 v[210:211], v[2:3], v[28:29]
	v_mul_f64 v[28:29], v[4:5], v[28:29]
	v_add_f64 v[206:207], v[206:207], v[198:199]
	v_add_f64 v[192:193], v[192:193], v[200:201]
	ds_load_b128 v[198:201], v1 offset:1376
	v_fma_f64 v[190:191], v[190:191], v[22:23], v[204:205]
	v_fma_f64 v[22:23], v[188:189], v[22:23], -v[24:25]
	v_add_f64 v[24:25], v[206:207], v[208:209]
	v_add_f64 v[188:189], v[192:193], v[202:203]
	s_waitcnt vmcnt(7) lgkmcnt(0)
	v_mul_f64 v[192:193], v[198:199], v[32:33]
	v_mul_f64 v[32:33], v[200:201], v[32:33]
	v_fma_f64 v[202:203], v[4:5], v[26:27], v[210:211]
	v_fma_f64 v[26:27], v[2:3], v[26:27], -v[28:29]
	v_add_f64 v[28:29], v[24:25], v[22:23]
	v_add_f64 v[188:189], v[188:189], v[190:191]
	ds_load_b128 v[2:5], v1 offset:1392
	ds_load_b128 v[22:25], v1 offset:1408
	v_fma_f64 v[192:193], v[200:201], v[30:31], v[192:193]
	v_fma_f64 v[30:31], v[198:199], v[30:31], -v[32:33]
	s_waitcnt vmcnt(6) lgkmcnt(1)
	v_mul_f64 v[190:191], v[2:3], v[36:37]
	v_mul_f64 v[36:37], v[4:5], v[36:37]
	v_add_f64 v[26:27], v[28:29], v[26:27]
	v_add_f64 v[28:29], v[188:189], v[202:203]
	s_waitcnt vmcnt(5) lgkmcnt(0)
	v_mul_f64 v[32:33], v[22:23], v[196:197]
	v_mul_f64 v[188:189], v[24:25], v[196:197]
	v_fma_f64 v[190:191], v[4:5], v[34:35], v[190:191]
	v_fma_f64 v[34:35], v[2:3], v[34:35], -v[36:37]
	v_add_f64 v[30:31], v[26:27], v[30:31]
	v_add_f64 v[36:37], v[28:29], v[192:193]
	ds_load_b128 v[2:5], v1 offset:1424
	ds_load_b128 v[26:29], v1 offset:1440
	v_fma_f64 v[24:25], v[24:25], v[194:195], v[32:33]
	v_fma_f64 v[22:23], v[22:23], v[194:195], -v[188:189]
	s_waitcnt vmcnt(4) lgkmcnt(1)
	v_mul_f64 v[192:193], v[2:3], v[40:41]
	v_mul_f64 v[40:41], v[4:5], v[40:41]
	;; [unrolled: 16-line block ×3, first 2 shown]
	v_add_f64 v[8:9], v[30:31], v[38:39]
	v_add_f64 v[26:27], v[32:33], v[36:37]
	s_waitcnt vmcnt(1) lgkmcnt(0)
	v_mul_f64 v[30:31], v[22:23], v[16:17]
	v_mul_f64 v[16:17], v[24:25], v[16:17]
	v_fma_f64 v[32:33], v[4:5], v[10:11], v[40:41]
	v_fma_f64 v[10:11], v[2:3], v[10:11], -v[12:13]
	ds_load_b128 v[2:5], v1 offset:1488
	v_add_f64 v[6:7], v[8:9], v[6:7]
	v_add_f64 v[8:9], v[26:27], v[28:29]
	v_fma_f64 v[24:25], v[24:25], v[14:15], v[30:31]
	v_fma_f64 v[14:15], v[22:23], v[14:15], -v[16:17]
	s_waitcnt vmcnt(0) lgkmcnt(0)
	v_mul_f64 v[12:13], v[2:3], v[20:21]
	v_mul_f64 v[20:21], v[4:5], v[20:21]
	v_add_f64 v[6:7], v[6:7], v[10:11]
	v_add_f64 v[8:9], v[8:9], v[32:33]
	s_delay_alu instid0(VALU_DEP_4) | instskip(NEXT) | instid1(VALU_DEP_4)
	v_fma_f64 v[4:5], v[4:5], v[18:19], v[12:13]
	v_fma_f64 v[2:3], v[2:3], v[18:19], -v[20:21]
	s_delay_alu instid0(VALU_DEP_4) | instskip(NEXT) | instid1(VALU_DEP_4)
	v_add_f64 v[6:7], v[6:7], v[14:15]
	v_add_f64 v[8:9], v[8:9], v[24:25]
	s_delay_alu instid0(VALU_DEP_2) | instskip(NEXT) | instid1(VALU_DEP_2)
	v_add_f64 v[2:3], v[6:7], v[2:3]
	v_add_f64 v[4:5], v[8:9], v[4:5]
	s_delay_alu instid0(VALU_DEP_2) | instskip(NEXT) | instid1(VALU_DEP_2)
	v_add_f64 v[2:3], v[42:43], -v[2:3]
	v_add_f64 v[4:5], v[44:45], -v[4:5]
	scratch_store_b128 off, v[2:5], off offset:16
	v_cmpx_ne_u32_e32 0, v140
	s_cbranch_execz .LBB46_295
; %bb.294:
	scratch_load_b128 v[5:8], off, off
	v_mov_b32_e32 v2, v1
	v_mov_b32_e32 v3, v1
	;; [unrolled: 1-line block ×3, first 2 shown]
	scratch_store_b128 off, v[1:4], off
	s_waitcnt vmcnt(0)
	ds_store_b128 v187, v[5:8]
.LBB46_295:
	s_or_b32 exec_lo, exec_lo, s2
	s_waitcnt lgkmcnt(0)
	s_waitcnt_vscnt null, 0x0
	s_barrier
	buffer_gl0_inv
	s_clause 0x8
	scratch_load_b128 v[2:5], off, off offset:16
	scratch_load_b128 v[6:9], off, off offset:32
	scratch_load_b128 v[10:13], off, off offset:48
	scratch_load_b128 v[14:17], off, off offset:64
	scratch_load_b128 v[18:21], off, off offset:80
	scratch_load_b128 v[22:25], off, off offset:96
	scratch_load_b128 v[26:29], off, off offset:112
	scratch_load_b128 v[30:33], off, off offset:128
	scratch_load_b128 v[34:37], off, off offset:144
	ds_load_b128 v[42:45], v1 offset:768
	ds_load_b128 v[38:41], v1 offset:784
	s_clause 0x1
	scratch_load_b128 v[187:190], off, off
	scratch_load_b128 v[191:194], off, off offset:160
	s_and_b32 vcc_lo, exec_lo, s20
	s_waitcnt vmcnt(10) lgkmcnt(1)
	v_mul_f64 v[195:196], v[44:45], v[4:5]
	v_mul_f64 v[4:5], v[42:43], v[4:5]
	s_waitcnt vmcnt(9) lgkmcnt(0)
	v_mul_f64 v[199:200], v[38:39], v[8:9]
	v_mul_f64 v[8:9], v[40:41], v[8:9]
	s_delay_alu instid0(VALU_DEP_4) | instskip(NEXT) | instid1(VALU_DEP_4)
	v_fma_f64 v[201:202], v[42:43], v[2:3], -v[195:196]
	v_fma_f64 v[203:204], v[44:45], v[2:3], v[4:5]
	ds_load_b128 v[2:5], v1 offset:800
	ds_load_b128 v[195:198], v1 offset:816
	scratch_load_b128 v[42:45], off, off offset:176
	v_fma_f64 v[40:41], v[40:41], v[6:7], v[199:200]
	v_fma_f64 v[38:39], v[38:39], v[6:7], -v[8:9]
	scratch_load_b128 v[6:9], off, off offset:192
	s_waitcnt vmcnt(10) lgkmcnt(1)
	v_mul_f64 v[205:206], v[2:3], v[12:13]
	v_mul_f64 v[12:13], v[4:5], v[12:13]
	v_add_f64 v[199:200], v[201:202], 0
	v_add_f64 v[201:202], v[203:204], 0
	s_waitcnt vmcnt(9) lgkmcnt(0)
	v_mul_f64 v[203:204], v[195:196], v[16:17]
	v_mul_f64 v[16:17], v[197:198], v[16:17]
	v_fma_f64 v[205:206], v[4:5], v[10:11], v[205:206]
	v_fma_f64 v[207:208], v[2:3], v[10:11], -v[12:13]
	ds_load_b128 v[2:5], v1 offset:832
	scratch_load_b128 v[10:13], off, off offset:208
	v_add_f64 v[199:200], v[199:200], v[38:39]
	v_add_f64 v[201:202], v[201:202], v[40:41]
	ds_load_b128 v[38:41], v1 offset:848
	v_fma_f64 v[197:198], v[197:198], v[14:15], v[203:204]
	v_fma_f64 v[195:196], v[195:196], v[14:15], -v[16:17]
	scratch_load_b128 v[14:17], off, off offset:224
	s_waitcnt vmcnt(10) lgkmcnt(1)
	v_mul_f64 v[209:210], v[2:3], v[20:21]
	v_mul_f64 v[20:21], v[4:5], v[20:21]
	s_waitcnt vmcnt(9) lgkmcnt(0)
	v_mul_f64 v[203:204], v[38:39], v[24:25]
	v_mul_f64 v[24:25], v[40:41], v[24:25]
	v_add_f64 v[199:200], v[199:200], v[207:208]
	v_add_f64 v[201:202], v[201:202], v[205:206]
	v_fma_f64 v[205:206], v[4:5], v[18:19], v[209:210]
	v_fma_f64 v[207:208], v[2:3], v[18:19], -v[20:21]
	ds_load_b128 v[2:5], v1 offset:864
	scratch_load_b128 v[18:21], off, off offset:240
	v_fma_f64 v[40:41], v[40:41], v[22:23], v[203:204]
	v_fma_f64 v[38:39], v[38:39], v[22:23], -v[24:25]
	scratch_load_b128 v[22:25], off, off offset:256
	v_add_f64 v[199:200], v[199:200], v[195:196]
	v_add_f64 v[201:202], v[201:202], v[197:198]
	ds_load_b128 v[195:198], v1 offset:880
	s_waitcnt vmcnt(10) lgkmcnt(1)
	v_mul_f64 v[209:210], v[2:3], v[28:29]
	v_mul_f64 v[28:29], v[4:5], v[28:29]
	s_waitcnt vmcnt(9) lgkmcnt(0)
	v_mul_f64 v[203:204], v[195:196], v[32:33]
	v_mul_f64 v[32:33], v[197:198], v[32:33]
	v_add_f64 v[199:200], v[199:200], v[207:208]
	v_add_f64 v[201:202], v[201:202], v[205:206]
	v_fma_f64 v[205:206], v[4:5], v[26:27], v[209:210]
	v_fma_f64 v[207:208], v[2:3], v[26:27], -v[28:29]
	ds_load_b128 v[2:5], v1 offset:896
	scratch_load_b128 v[26:29], off, off offset:272
	v_fma_f64 v[197:198], v[197:198], v[30:31], v[203:204]
	v_fma_f64 v[195:196], v[195:196], v[30:31], -v[32:33]
	scratch_load_b128 v[30:33], off, off offset:288
	v_add_f64 v[199:200], v[199:200], v[38:39]
	v_add_f64 v[201:202], v[201:202], v[40:41]
	ds_load_b128 v[38:41], v1 offset:912
	s_waitcnt vmcnt(10) lgkmcnt(1)
	v_mul_f64 v[209:210], v[2:3], v[36:37]
	v_mul_f64 v[36:37], v[4:5], v[36:37]
	s_waitcnt vmcnt(8) lgkmcnt(0)
	v_mul_f64 v[203:204], v[38:39], v[193:194]
	v_add_f64 v[199:200], v[199:200], v[207:208]
	v_add_f64 v[201:202], v[201:202], v[205:206]
	v_mul_f64 v[205:206], v[40:41], v[193:194]
	v_fma_f64 v[207:208], v[4:5], v[34:35], v[209:210]
	v_fma_f64 v[209:210], v[2:3], v[34:35], -v[36:37]
	ds_load_b128 v[2:5], v1 offset:928
	scratch_load_b128 v[34:37], off, off offset:304
	v_fma_f64 v[203:204], v[40:41], v[191:192], v[203:204]
	v_add_f64 v[199:200], v[199:200], v[195:196]
	v_add_f64 v[197:198], v[201:202], v[197:198]
	ds_load_b128 v[193:196], v1 offset:944
	v_fma_f64 v[191:192], v[38:39], v[191:192], -v[205:206]
	scratch_load_b128 v[38:41], off, off offset:320
	s_waitcnt vmcnt(9) lgkmcnt(1)
	v_mul_f64 v[201:202], v[2:3], v[44:45]
	v_mul_f64 v[44:45], v[4:5], v[44:45]
	s_waitcnt vmcnt(8) lgkmcnt(0)
	v_mul_f64 v[205:206], v[193:194], v[8:9]
	v_mul_f64 v[8:9], v[195:196], v[8:9]
	v_add_f64 v[199:200], v[199:200], v[209:210]
	v_add_f64 v[197:198], v[197:198], v[207:208]
	v_fma_f64 v[201:202], v[4:5], v[42:43], v[201:202]
	v_fma_f64 v[207:208], v[2:3], v[42:43], -v[44:45]
	ds_load_b128 v[2:5], v1 offset:960
	scratch_load_b128 v[42:45], off, off offset:336
	v_fma_f64 v[195:196], v[195:196], v[6:7], v[205:206]
	v_fma_f64 v[193:194], v[193:194], v[6:7], -v[8:9]
	scratch_load_b128 v[6:9], off, off offset:352
	v_add_f64 v[191:192], v[199:200], v[191:192]
	v_add_f64 v[203:204], v[197:198], v[203:204]
	ds_load_b128 v[197:200], v1 offset:976
	s_waitcnt vmcnt(9) lgkmcnt(1)
	v_mul_f64 v[209:210], v[2:3], v[12:13]
	v_mul_f64 v[12:13], v[4:5], v[12:13]
	v_add_f64 v[191:192], v[191:192], v[207:208]
	v_add_f64 v[201:202], v[203:204], v[201:202]
	s_waitcnt vmcnt(8) lgkmcnt(0)
	v_mul_f64 v[203:204], v[197:198], v[16:17]
	v_mul_f64 v[16:17], v[199:200], v[16:17]
	v_fma_f64 v[205:206], v[4:5], v[10:11], v[209:210]
	v_fma_f64 v[207:208], v[2:3], v[10:11], -v[12:13]
	ds_load_b128 v[2:5], v1 offset:992
	scratch_load_b128 v[10:13], off, off offset:368
	v_add_f64 v[209:210], v[191:192], v[193:194]
	v_add_f64 v[195:196], v[201:202], v[195:196]
	ds_load_b128 v[191:194], v1 offset:1008
	s_waitcnt vmcnt(8) lgkmcnt(1)
	v_mul_f64 v[201:202], v[2:3], v[20:21]
	v_mul_f64 v[20:21], v[4:5], v[20:21]
	v_fma_f64 v[199:200], v[199:200], v[14:15], v[203:204]
	v_fma_f64 v[197:198], v[197:198], v[14:15], -v[16:17]
	scratch_load_b128 v[14:17], off, off offset:384
	v_add_f64 v[203:204], v[209:210], v[207:208]
	v_add_f64 v[195:196], v[195:196], v[205:206]
	s_waitcnt vmcnt(8) lgkmcnt(0)
	v_mul_f64 v[205:206], v[191:192], v[24:25]
	v_mul_f64 v[24:25], v[193:194], v[24:25]
	v_fma_f64 v[201:202], v[4:5], v[18:19], v[201:202]
	v_fma_f64 v[207:208], v[2:3], v[18:19], -v[20:21]
	ds_load_b128 v[2:5], v1 offset:1024
	scratch_load_b128 v[18:21], off, off offset:400
	v_add_f64 v[203:204], v[203:204], v[197:198]
	v_add_f64 v[199:200], v[195:196], v[199:200]
	ds_load_b128 v[195:198], v1 offset:1040
	s_waitcnt vmcnt(8) lgkmcnt(1)
	v_mul_f64 v[209:210], v[2:3], v[28:29]
	v_mul_f64 v[28:29], v[4:5], v[28:29]
	v_fma_f64 v[193:194], v[193:194], v[22:23], v[205:206]
	v_fma_f64 v[191:192], v[191:192], v[22:23], -v[24:25]
	scratch_load_b128 v[22:25], off, off offset:416
	;; [unrolled: 18-line block ×4, first 2 shown]
	s_waitcnt vmcnt(8) lgkmcnt(0)
	v_mul_f64 v[203:204], v[195:196], v[8:9]
	v_mul_f64 v[8:9], v[197:198], v[8:9]
	v_add_f64 v[201:202], v[201:202], v[207:208]
	v_add_f64 v[199:200], v[199:200], v[205:206]
	v_fma_f64 v[205:206], v[4:5], v[42:43], v[209:210]
	v_fma_f64 v[207:208], v[2:3], v[42:43], -v[44:45]
	ds_load_b128 v[2:5], v1 offset:1120
	scratch_load_b128 v[42:45], off, off offset:496
	v_fma_f64 v[197:198], v[197:198], v[6:7], v[203:204]
	v_fma_f64 v[195:196], v[195:196], v[6:7], -v[8:9]
	scratch_load_b128 v[6:9], off, off offset:512
	v_add_f64 v[201:202], v[201:202], v[191:192]
	v_add_f64 v[199:200], v[199:200], v[193:194]
	ds_load_b128 v[191:194], v1 offset:1136
	s_waitcnt vmcnt(9) lgkmcnt(1)
	v_mul_f64 v[209:210], v[2:3], v[12:13]
	v_mul_f64 v[12:13], v[4:5], v[12:13]
	s_waitcnt vmcnt(8) lgkmcnt(0)
	v_mul_f64 v[203:204], v[191:192], v[16:17]
	v_mul_f64 v[16:17], v[193:194], v[16:17]
	v_add_f64 v[201:202], v[201:202], v[207:208]
	v_add_f64 v[199:200], v[199:200], v[205:206]
	v_fma_f64 v[205:206], v[4:5], v[10:11], v[209:210]
	v_fma_f64 v[207:208], v[2:3], v[10:11], -v[12:13]
	ds_load_b128 v[2:5], v1 offset:1152
	scratch_load_b128 v[10:13], off, off offset:528
	v_fma_f64 v[193:194], v[193:194], v[14:15], v[203:204]
	v_fma_f64 v[191:192], v[191:192], v[14:15], -v[16:17]
	scratch_load_b128 v[14:17], off, off offset:544
	v_add_f64 v[201:202], v[201:202], v[195:196]
	v_add_f64 v[199:200], v[199:200], v[197:198]
	ds_load_b128 v[195:198], v1 offset:1168
	s_waitcnt vmcnt(9) lgkmcnt(1)
	v_mul_f64 v[209:210], v[2:3], v[20:21]
	v_mul_f64 v[20:21], v[4:5], v[20:21]
	;; [unrolled: 18-line block ×8, first 2 shown]
	s_waitcnt vmcnt(8) lgkmcnt(0)
	v_mul_f64 v[203:204], v[195:196], v[32:33]
	v_mul_f64 v[32:33], v[197:198], v[32:33]
	v_add_f64 v[201:202], v[201:202], v[207:208]
	v_add_f64 v[199:200], v[199:200], v[205:206]
	v_fma_f64 v[205:206], v[4:5], v[26:27], v[209:210]
	v_fma_f64 v[207:208], v[2:3], v[26:27], -v[28:29]
	ds_load_b128 v[2:5], v1 offset:1376
	ds_load_b128 v[26:29], v1 offset:1392
	v_fma_f64 v[197:198], v[197:198], v[30:31], v[203:204]
	v_fma_f64 v[30:31], v[195:196], v[30:31], -v[32:33]
	v_add_f64 v[191:192], v[201:202], v[191:192]
	v_add_f64 v[193:194], v[199:200], v[193:194]
	s_waitcnt vmcnt(7) lgkmcnt(1)
	v_mul_f64 v[199:200], v[2:3], v[36:37]
	v_mul_f64 v[36:37], v[4:5], v[36:37]
	s_delay_alu instid0(VALU_DEP_4) | instskip(NEXT) | instid1(VALU_DEP_4)
	v_add_f64 v[32:33], v[191:192], v[207:208]
	v_add_f64 v[191:192], v[193:194], v[205:206]
	s_waitcnt vmcnt(6) lgkmcnt(0)
	v_mul_f64 v[193:194], v[26:27], v[40:41]
	v_mul_f64 v[40:41], v[28:29], v[40:41]
	v_fma_f64 v[195:196], v[4:5], v[34:35], v[199:200]
	v_fma_f64 v[34:35], v[2:3], v[34:35], -v[36:37]
	v_add_f64 v[36:37], v[32:33], v[30:31]
	v_add_f64 v[191:192], v[191:192], v[197:198]
	ds_load_b128 v[2:5], v1 offset:1408
	ds_load_b128 v[30:33], v1 offset:1424
	v_fma_f64 v[28:29], v[28:29], v[38:39], v[193:194]
	v_fma_f64 v[26:27], v[26:27], v[38:39], -v[40:41]
	s_waitcnt vmcnt(5) lgkmcnt(1)
	v_mul_f64 v[197:198], v[2:3], v[44:45]
	v_mul_f64 v[44:45], v[4:5], v[44:45]
	s_waitcnt vmcnt(4) lgkmcnt(0)
	v_mul_f64 v[38:39], v[30:31], v[8:9]
	v_mul_f64 v[8:9], v[32:33], v[8:9]
	v_add_f64 v[34:35], v[36:37], v[34:35]
	v_add_f64 v[36:37], v[191:192], v[195:196]
	v_fma_f64 v[40:41], v[4:5], v[42:43], v[197:198]
	v_fma_f64 v[42:43], v[2:3], v[42:43], -v[44:45]
	v_fma_f64 v[32:33], v[32:33], v[6:7], v[38:39]
	v_fma_f64 v[6:7], v[30:31], v[6:7], -v[8:9]
	v_add_f64 v[34:35], v[34:35], v[26:27]
	v_add_f64 v[36:37], v[36:37], v[28:29]
	ds_load_b128 v[2:5], v1 offset:1440
	ds_load_b128 v[26:29], v1 offset:1456
	s_waitcnt vmcnt(3) lgkmcnt(1)
	v_mul_f64 v[44:45], v[2:3], v[12:13]
	v_mul_f64 v[12:13], v[4:5], v[12:13]
	v_add_f64 v[8:9], v[34:35], v[42:43]
	v_add_f64 v[30:31], v[36:37], v[40:41]
	s_waitcnt vmcnt(2) lgkmcnt(0)
	v_mul_f64 v[34:35], v[26:27], v[16:17]
	v_mul_f64 v[16:17], v[28:29], v[16:17]
	v_fma_f64 v[36:37], v[4:5], v[10:11], v[44:45]
	v_fma_f64 v[10:11], v[2:3], v[10:11], -v[12:13]
	v_add_f64 v[12:13], v[8:9], v[6:7]
	v_add_f64 v[30:31], v[30:31], v[32:33]
	ds_load_b128 v[2:5], v1 offset:1472
	ds_load_b128 v[6:9], v1 offset:1488
	v_fma_f64 v[28:29], v[28:29], v[14:15], v[34:35]
	v_fma_f64 v[14:15], v[26:27], v[14:15], -v[16:17]
	s_waitcnt vmcnt(1) lgkmcnt(1)
	v_mul_f64 v[32:33], v[2:3], v[20:21]
	v_mul_f64 v[20:21], v[4:5], v[20:21]
	s_waitcnt vmcnt(0) lgkmcnt(0)
	v_mul_f64 v[16:17], v[6:7], v[24:25]
	v_mul_f64 v[24:25], v[8:9], v[24:25]
	v_add_f64 v[10:11], v[12:13], v[10:11]
	v_add_f64 v[12:13], v[30:31], v[36:37]
	v_fma_f64 v[4:5], v[4:5], v[18:19], v[32:33]
	v_fma_f64 v[1:2], v[2:3], v[18:19], -v[20:21]
	v_fma_f64 v[8:9], v[8:9], v[22:23], v[16:17]
	v_fma_f64 v[6:7], v[6:7], v[22:23], -v[24:25]
	v_add_f64 v[10:11], v[10:11], v[14:15]
	v_add_f64 v[12:13], v[12:13], v[28:29]
	s_delay_alu instid0(VALU_DEP_2) | instskip(NEXT) | instid1(VALU_DEP_2)
	v_add_f64 v[1:2], v[10:11], v[1:2]
	v_add_f64 v[3:4], v[12:13], v[4:5]
	s_delay_alu instid0(VALU_DEP_2) | instskip(NEXT) | instid1(VALU_DEP_2)
	;; [unrolled: 3-line block ×3, first 2 shown]
	v_add_f64 v[1:2], v[187:188], -v[1:2]
	v_add_f64 v[3:4], v[189:190], -v[3:4]
	scratch_store_b128 off, v[1:4], off
	s_cbranch_vccz .LBB46_389
; %bb.296:
	v_dual_mov_b32 v1, s16 :: v_dual_mov_b32 v2, s17
	s_load_b64 s[0:1], s[0:1], 0x4
	flat_load_b32 v1, v[1:2] offset:180
	v_bfe_u32 v2, v0, 10, 10
	v_bfe_u32 v0, v0, 20, 10
	s_waitcnt lgkmcnt(0)
	s_lshr_b32 s0, s0, 16
	s_delay_alu instid0(VALU_DEP_2) | instskip(SKIP_1) | instid1(SALU_CYCLE_1)
	v_mul_u32_u24_e32 v2, s1, v2
	s_mul_i32 s0, s0, s1
	v_mul_u32_u24_e32 v3, s0, v140
	s_mov_b32 s0, exec_lo
	s_delay_alu instid0(VALU_DEP_1) | instskip(NEXT) | instid1(VALU_DEP_1)
	v_add3_u32 v0, v3, v2, v0
	v_lshl_add_u32 v0, v0, 4, 0x5e8
	s_waitcnt vmcnt(0)
	v_cmpx_ne_u32_e32 46, v1
	s_cbranch_execz .LBB46_298
; %bb.297:
	v_lshl_add_u32 v9, v1, 4, 0
	s_clause 0x1
	scratch_load_b128 v[1:4], v143, off
	scratch_load_b128 v[5:8], v9, off offset:-16
	s_waitcnt vmcnt(1)
	ds_store_2addr_b64 v0, v[1:2], v[3:4] offset1:1
	s_waitcnt vmcnt(0)
	s_clause 0x1
	scratch_store_b128 v143, v[5:8], off
	scratch_store_b128 v9, v[1:4], off offset:-16
.LBB46_298:
	s_or_b32 exec_lo, exec_lo, s0
	v_dual_mov_b32 v1, s16 :: v_dual_mov_b32 v2, s17
	s_mov_b32 s0, exec_lo
	flat_load_b32 v1, v[1:2] offset:176
	s_waitcnt vmcnt(0) lgkmcnt(0)
	v_cmpx_ne_u32_e32 45, v1
	s_cbranch_execz .LBB46_300
; %bb.299:
	v_lshl_add_u32 v9, v1, 4, 0
	s_clause 0x1
	scratch_load_b128 v[1:4], v146, off
	scratch_load_b128 v[5:8], v9, off offset:-16
	s_waitcnt vmcnt(1)
	ds_store_2addr_b64 v0, v[1:2], v[3:4] offset1:1
	s_waitcnt vmcnt(0)
	s_clause 0x1
	scratch_store_b128 v146, v[5:8], off
	scratch_store_b128 v9, v[1:4], off offset:-16
.LBB46_300:
	s_or_b32 exec_lo, exec_lo, s0
	v_dual_mov_b32 v1, s16 :: v_dual_mov_b32 v2, s17
	s_mov_b32 s0, exec_lo
	flat_load_b32 v1, v[1:2] offset:172
	s_waitcnt vmcnt(0) lgkmcnt(0)
	;; [unrolled: 19-line block ×44, first 2 shown]
	v_cmpx_ne_u32_e32 2, v1
	s_cbranch_execz .LBB46_386
; %bb.385:
	v_lshl_add_u32 v9, v1, 4, 0
	s_clause 0x1
	scratch_load_b128 v[1:4], v186, off
	scratch_load_b128 v[5:8], v9, off offset:-16
	s_waitcnt vmcnt(1)
	ds_store_2addr_b64 v0, v[1:2], v[3:4] offset1:1
	s_waitcnt vmcnt(0)
	s_clause 0x1
	scratch_store_b128 v186, v[5:8], off
	scratch_store_b128 v9, v[1:4], off offset:-16
.LBB46_386:
	s_or_b32 exec_lo, exec_lo, s0
	v_dual_mov_b32 v1, s16 :: v_dual_mov_b32 v2, s17
	s_mov_b32 s0, exec_lo
	flat_load_b32 v1, v[1:2]
	s_waitcnt vmcnt(0) lgkmcnt(0)
	v_cmpx_ne_u32_e32 1, v1
	s_cbranch_execz .LBB46_388
; %bb.387:
	v_lshl_add_u32 v9, v1, 4, 0
	scratch_load_b128 v[1:4], off, off
	scratch_load_b128 v[5:8], v9, off offset:-16
	s_waitcnt vmcnt(1)
	ds_store_2addr_b64 v0, v[1:2], v[3:4] offset1:1
	s_waitcnt vmcnt(0)
	scratch_store_b128 off, v[5:8], off
	scratch_store_b128 v9, v[1:4], off offset:-16
.LBB46_388:
	s_or_b32 exec_lo, exec_lo, s0
.LBB46_389:
	scratch_load_b128 v[0:3], off, off
	s_clause 0x15
	scratch_load_b128 v[4:7], v186, off
	scratch_load_b128 v[8:11], v185, off
	;; [unrolled: 1-line block ×22, first 2 shown]
	s_waitcnt vmcnt(22)
	global_store_b128 v[46:47], v[0:3], off
	s_clause 0x1
	scratch_load_b128 v[0:3], v163, off
	scratch_load_b128 v[44:47], v162, off
	s_waitcnt vmcnt(23)
	global_store_b128 v[48:49], v[4:7], off
	s_clause 0x1
	scratch_load_b128 v[4:7], v160, off
	scratch_load_b128 v[216:219], v158, off
	;; [unrolled: 5-line block ×12, first 2 shown]
	s_waitcnt vmcnt(34)
	global_store_b128 v[70:71], v[180:183], off
	s_waitcnt vmcnt(33)
	global_store_b128 v[72:73], v[184:187], off
	;; [unrolled: 2-line block ×35, first 2 shown]
	s_endpgm
	.section	.rodata,"a",@progbits
	.p2align	6, 0x0
	.amdhsa_kernel _ZN9rocsolver6v33100L18getri_kernel_smallILi47E19rocblas_complex_numIdEPS3_EEvT1_iilPiilS6_bb
		.amdhsa_group_segment_fixed_size 2536
		.amdhsa_private_segment_fixed_size 768
		.amdhsa_kernarg_size 60
		.amdhsa_user_sgpr_count 15
		.amdhsa_user_sgpr_dispatch_ptr 1
		.amdhsa_user_sgpr_queue_ptr 0
		.amdhsa_user_sgpr_kernarg_segment_ptr 1
		.amdhsa_user_sgpr_dispatch_id 0
		.amdhsa_user_sgpr_private_segment_size 0
		.amdhsa_wavefront_size32 1
		.amdhsa_uses_dynamic_stack 0
		.amdhsa_enable_private_segment 1
		.amdhsa_system_sgpr_workgroup_id_x 1
		.amdhsa_system_sgpr_workgroup_id_y 0
		.amdhsa_system_sgpr_workgroup_id_z 0
		.amdhsa_system_sgpr_workgroup_info 0
		.amdhsa_system_vgpr_workitem_id 2
		.amdhsa_next_free_vgpr 251
		.amdhsa_next_free_sgpr 53
		.amdhsa_reserve_vcc 1
		.amdhsa_float_round_mode_32 0
		.amdhsa_float_round_mode_16_64 0
		.amdhsa_float_denorm_mode_32 3
		.amdhsa_float_denorm_mode_16_64 3
		.amdhsa_dx10_clamp 1
		.amdhsa_ieee_mode 1
		.amdhsa_fp16_overflow 0
		.amdhsa_workgroup_processor_mode 1
		.amdhsa_memory_ordered 1
		.amdhsa_forward_progress 0
		.amdhsa_shared_vgpr_count 0
		.amdhsa_exception_fp_ieee_invalid_op 0
		.amdhsa_exception_fp_denorm_src 0
		.amdhsa_exception_fp_ieee_div_zero 0
		.amdhsa_exception_fp_ieee_overflow 0
		.amdhsa_exception_fp_ieee_underflow 0
		.amdhsa_exception_fp_ieee_inexact 0
		.amdhsa_exception_int_div_zero 0
	.end_amdhsa_kernel
	.section	.text._ZN9rocsolver6v33100L18getri_kernel_smallILi47E19rocblas_complex_numIdEPS3_EEvT1_iilPiilS6_bb,"axG",@progbits,_ZN9rocsolver6v33100L18getri_kernel_smallILi47E19rocblas_complex_numIdEPS3_EEvT1_iilPiilS6_bb,comdat
.Lfunc_end46:
	.size	_ZN9rocsolver6v33100L18getri_kernel_smallILi47E19rocblas_complex_numIdEPS3_EEvT1_iilPiilS6_bb, .Lfunc_end46-_ZN9rocsolver6v33100L18getri_kernel_smallILi47E19rocblas_complex_numIdEPS3_EEvT1_iilPiilS6_bb
                                        ; -- End function
	.section	.AMDGPU.csdata,"",@progbits
; Kernel info:
; codeLenInByte = 102728
; NumSgprs: 55
; NumVgprs: 251
; ScratchSize: 768
; MemoryBound: 0
; FloatMode: 240
; IeeeMode: 1
; LDSByteSize: 2536 bytes/workgroup (compile time only)
; SGPRBlocks: 6
; VGPRBlocks: 31
; NumSGPRsForWavesPerEU: 55
; NumVGPRsForWavesPerEU: 251
; Occupancy: 5
; WaveLimiterHint : 1
; COMPUTE_PGM_RSRC2:SCRATCH_EN: 1
; COMPUTE_PGM_RSRC2:USER_SGPR: 15
; COMPUTE_PGM_RSRC2:TRAP_HANDLER: 0
; COMPUTE_PGM_RSRC2:TGID_X_EN: 1
; COMPUTE_PGM_RSRC2:TGID_Y_EN: 0
; COMPUTE_PGM_RSRC2:TGID_Z_EN: 0
; COMPUTE_PGM_RSRC2:TIDIG_COMP_CNT: 2
	.section	.text._ZN9rocsolver6v33100L18getri_kernel_smallILi48E19rocblas_complex_numIdEPS3_EEvT1_iilPiilS6_bb,"axG",@progbits,_ZN9rocsolver6v33100L18getri_kernel_smallILi48E19rocblas_complex_numIdEPS3_EEvT1_iilPiilS6_bb,comdat
	.globl	_ZN9rocsolver6v33100L18getri_kernel_smallILi48E19rocblas_complex_numIdEPS3_EEvT1_iilPiilS6_bb ; -- Begin function _ZN9rocsolver6v33100L18getri_kernel_smallILi48E19rocblas_complex_numIdEPS3_EEvT1_iilPiilS6_bb
	.p2align	8
	.type	_ZN9rocsolver6v33100L18getri_kernel_smallILi48E19rocblas_complex_numIdEPS3_EEvT1_iilPiilS6_bb,@function
_ZN9rocsolver6v33100L18getri_kernel_smallILi48E19rocblas_complex_numIdEPS3_EEvT1_iilPiilS6_bb: ; @_ZN9rocsolver6v33100L18getri_kernel_smallILi48E19rocblas_complex_numIdEPS3_EEvT1_iilPiilS6_bb
; %bb.0:
	v_and_b32_e32 v138, 0x3ff, v0
	s_mov_b32 s4, exec_lo
	s_delay_alu instid0(VALU_DEP_1)
	v_cmpx_gt_u32_e32 48, v138
	s_cbranch_execz .LBB47_206
; %bb.1:
	s_mov_b32 s18, s15
	s_clause 0x2
	s_load_b32 s21, s[2:3], 0x38
	s_load_b128 s[12:15], s[2:3], 0x10
	s_load_b128 s[4:7], s[2:3], 0x28
                                        ; implicit-def: $sgpr16_sgpr17
	s_waitcnt lgkmcnt(0)
	s_bitcmp1_b32 s21, 8
	s_cselect_b32 s20, -1, 0
	s_bfe_u32 s8, s21, 0x10008
	s_ashr_i32 s19, s18, 31
	s_cmp_eq_u32 s8, 0
	s_cbranch_scc1 .LBB47_3
; %bb.2:
	s_load_b32 s8, s[2:3], 0x20
	s_mul_i32 s5, s18, s5
	s_mul_hi_u32 s9, s18, s4
	s_mul_i32 s10, s19, s4
	s_add_i32 s5, s9, s5
	s_mul_i32 s4, s18, s4
	s_add_i32 s5, s5, s10
	s_delay_alu instid0(SALU_CYCLE_1)
	s_lshl_b64 s[4:5], s[4:5], 2
	s_waitcnt lgkmcnt(0)
	s_ashr_i32 s9, s8, 31
	s_add_u32 s10, s14, s4
	s_addc_u32 s11, s15, s5
	s_lshl_b64 s[4:5], s[8:9], 2
	s_delay_alu instid0(SALU_CYCLE_1)
	s_add_u32 s16, s10, s4
	s_addc_u32 s17, s11, s5
.LBB47_3:
	s_load_b128 s[8:11], s[2:3], 0x0
	s_mul_i32 s2, s18, s13
	s_mul_hi_u32 s3, s18, s12
	s_mul_i32 s4, s19, s12
	s_add_i32 s3, s3, s2
	s_mul_i32 s2, s18, s12
	s_add_i32 s3, s3, s4
	v_lshlrev_b32_e32 v13, 4, v138
	s_lshl_b64 s[2:3], s[2:3], 4
	s_movk_i32 s12, 0xd0
	s_movk_i32 s13, 0xe0
	;; [unrolled: 1-line block ×11, first 2 shown]
	s_waitcnt lgkmcnt(0)
	v_add3_u32 v5, s11, s11, v138
	s_ashr_i32 s5, s10, 31
	s_mov_b32 s4, s10
	s_add_u32 s8, s8, s2
	s_addc_u32 s9, s9, s3
	v_add_nc_u32_e32 v7, s11, v5
	s_lshl_b64 s[2:3], s[4:5], 4
	v_ashrrev_i32_e32 v6, 31, v5
	s_add_u32 s2, s8, s2
	s_addc_u32 s3, s9, s3
	v_add_nc_u32_e32 v9, s11, v7
	v_add_co_u32 v42, s8, s2, v13
	v_ashrrev_i32_e32 v8, 31, v7
	s_mov_b32 s4, s11
	s_delay_alu instid0(VALU_DEP_3) | instskip(SKIP_3) | instid1(VALU_DEP_3)
	v_add_nc_u32_e32 v14, s11, v9
	s_ashr_i32 s5, s11, 31
	v_add_co_ci_u32_e64 v43, null, s3, 0, s8
	v_lshlrev_b64 v[11:12], 4, v[5:6]
	v_add_nc_u32_e32 v18, s11, v14
	s_lshl_b64 s[4:5], s[4:5], 4
	v_ashrrev_i32_e32 v10, 31, v9
	v_add_co_u32 v44, vcc_lo, v42, s4
	s_delay_alu instid0(VALU_DEP_3) | instskip(SKIP_3) | instid1(VALU_DEP_4)
	v_add_nc_u32_e32 v22, s11, v18
	v_lshlrev_b64 v[16:17], 4, v[7:8]
	v_ashrrev_i32_e32 v15, 31, v14
	v_add_co_ci_u32_e32 v45, vcc_lo, s5, v43, vcc_lo
	v_add_nc_u32_e32 v26, s11, v22
	v_add_co_u32 v46, vcc_lo, s2, v11
	v_lshlrev_b64 v[20:21], 4, v[9:10]
	v_ashrrev_i32_e32 v19, 31, v18
	s_delay_alu instid0(VALU_DEP_4) | instskip(SKIP_2) | instid1(VALU_DEP_3)
	v_add_nc_u32_e32 v30, s11, v26
	v_add_co_ci_u32_e32 v47, vcc_lo, s3, v12, vcc_lo
	v_add_co_u32 v48, vcc_lo, s2, v16
	v_add_nc_u32_e32 v34, s11, v30
	v_lshlrev_b64 v[24:25], 4, v[14:15]
	v_ashrrev_i32_e32 v23, 31, v22
	v_add_co_ci_u32_e32 v49, vcc_lo, s3, v17, vcc_lo
	s_delay_alu instid0(VALU_DEP_4) | instskip(SKIP_3) | instid1(VALU_DEP_4)
	v_add_nc_u32_e32 v38, s11, v34
	v_add_co_u32 v50, vcc_lo, s2, v20
	v_lshlrev_b64 v[28:29], 4, v[18:19]
	v_ashrrev_i32_e32 v27, 31, v26
	v_add_nc_u32_e32 v66, s11, v38
	v_add_co_ci_u32_e32 v51, vcc_lo, s3, v21, vcc_lo
	v_add_co_u32 v52, vcc_lo, s2, v24
	v_lshlrev_b64 v[32:33], 4, v[22:23]
	s_delay_alu instid0(VALU_DEP_4)
	v_add_nc_u32_e32 v68, s11, v66
	v_ashrrev_i32_e32 v31, 31, v30
	v_add_co_ci_u32_e32 v53, vcc_lo, s3, v25, vcc_lo
	v_add_co_u32 v54, vcc_lo, s2, v28
	v_lshlrev_b64 v[36:37], 4, v[26:27]
	v_ashrrev_i32_e32 v35, 31, v34
	v_add_co_ci_u32_e32 v55, vcc_lo, s3, v29, vcc_lo
	v_add_nc_u32_e32 v70, s11, v68
	v_add_co_u32 v56, vcc_lo, s2, v32
	v_lshlrev_b64 v[40:41], 4, v[30:31]
	v_ashrrev_i32_e32 v39, 31, v38
	v_add_co_ci_u32_e32 v57, vcc_lo, s3, v33, vcc_lo
	v_add_co_u32 v58, vcc_lo, s2, v36
	v_lshlrev_b64 v[62:63], 4, v[34:35]
	v_ashrrev_i32_e32 v67, 31, v66
	v_add_nc_u32_e32 v72, s11, v70
	v_add_co_ci_u32_e32 v59, vcc_lo, s3, v37, vcc_lo
	v_add_co_u32 v60, vcc_lo, s2, v40
	v_lshlrev_b64 v[64:65], 4, v[38:39]
	v_ashrrev_i32_e32 v69, 31, v68
	v_add_co_ci_u32_e32 v61, vcc_lo, s3, v41, vcc_lo
	v_add_co_u32 v62, vcc_lo, s2, v62
	v_lshlrev_b64 v[66:67], 4, v[66:67]
	v_add_nc_u32_e32 v74, s11, v72
	v_add_co_ci_u32_e32 v63, vcc_lo, s3, v63, vcc_lo
	v_add_co_u32 v64, vcc_lo, s2, v64
	v_lshlrev_b64 v[68:69], 4, v[68:69]
	v_ashrrev_i32_e32 v71, 31, v70
	s_clause 0x3
	global_load_b128 v[1:4], v13, s[2:3]
	global_load_b128 v[5:8], v[44:45], off
	global_load_b128 v[9:12], v[46:47], off
	;; [unrolled: 1-line block ×3, first 2 shown]
	v_add_co_ci_u32_e32 v65, vcc_lo, s3, v65, vcc_lo
	v_add_nc_u32_e32 v76, s11, v74
	s_clause 0x1
	global_load_b128 v[18:21], v[50:51], off
	global_load_b128 v[22:25], v[52:53], off
	v_add_co_u32 v66, vcc_lo, s2, v66
	v_ashrrev_i32_e32 v73, 31, v72
	s_clause 0x3
	global_load_b128 v[26:29], v[54:55], off
	global_load_b128 v[30:33], v[56:57], off
	;; [unrolled: 1-line block ×4, first 2 shown]
	v_add_co_ci_u32_e32 v67, vcc_lo, s3, v67, vcc_lo
	v_lshlrev_b64 v[70:71], 4, v[70:71]
	s_clause 0x1
	global_load_b128 v[122:125], v[62:63], off
	global_load_b128 v[126:129], v[64:65], off
	v_add_co_u32 v68, vcc_lo, s2, v68
	v_ashrrev_i32_e32 v75, 31, v74
	v_add_nc_u32_e32 v78, s11, v76
	v_add_co_ci_u32_e32 v69, vcc_lo, s3, v69, vcc_lo
	v_lshlrev_b64 v[72:73], 4, v[72:73]
	v_ashrrev_i32_e32 v77, 31, v76
	v_add_co_u32 v70, vcc_lo, s2, v70
	v_lshlrev_b64 v[74:75], 4, v[74:75]
	s_clause 0x1
	global_load_b128 v[130:133], v[66:67], off
	global_load_b128 v[134:137], v[68:69], off
	v_ashrrev_i32_e32 v79, 31, v78
	v_add_co_ci_u32_e32 v71, vcc_lo, s3, v71, vcc_lo
	v_add_co_u32 v72, vcc_lo, s2, v72
	v_lshlrev_b64 v[76:77], 4, v[76:77]
	v_add_co_ci_u32_e32 v73, vcc_lo, s3, v73, vcc_lo
	v_add_nc_u32_e32 v82, s11, v78
	v_add_co_u32 v74, vcc_lo, s2, v74
	v_lshlrev_b64 v[78:79], 4, v[78:79]
	v_add_co_ci_u32_e32 v75, vcc_lo, s3, v75, vcc_lo
	v_add_co_u32 v76, vcc_lo, s2, v76
	v_add_co_ci_u32_e32 v77, vcc_lo, s3, v77, vcc_lo
	s_delay_alu instid0(VALU_DEP_4)
	v_add_co_u32 v78, vcc_lo, s2, v78
	v_add_co_ci_u32_e32 v79, vcc_lo, s3, v79, vcc_lo
	s_clause 0x4
	global_load_b128 v[139:142], v[70:71], off
	global_load_b128 v[143:146], v[72:73], off
	;; [unrolled: 1-line block ×5, first 2 shown]
	v_ashrrev_i32_e32 v83, 31, v82
	s_movk_i32 s4, 0x70
	s_movk_i32 s5, 0x80
	;; [unrolled: 1-line block ×4, first 2 shown]
	v_lshlrev_b64 v[80:81], 4, v[82:83]
	v_add_nc_u32_e32 v82, s11, v82
	s_movk_i32 s10, 0xb0
	s_movk_i32 s29, 0x180
	;; [unrolled: 1-line block ×4, first 2 shown]
	v_add_nc_u32_e32 v84, s11, v82
	v_ashrrev_i32_e32 v83, 31, v82
	v_add_co_u32 v80, vcc_lo, s2, v80
	v_add_co_ci_u32_e32 v81, vcc_lo, s3, v81, vcc_lo
	s_delay_alu instid0(VALU_DEP_4)
	v_add_nc_u32_e32 v86, s11, v84
	v_ashrrev_i32_e32 v85, 31, v84
	v_lshlrev_b64 v[82:83], 4, v[82:83]
	global_load_b128 v[159:162], v[80:81], off
	s_movk_i32 s33, 0x1b0
	v_add_nc_u32_e32 v88, s11, v86
	v_ashrrev_i32_e32 v87, 31, v86
	v_lshlrev_b64 v[84:85], 4, v[84:85]
	v_add_co_u32 v82, vcc_lo, s2, v82
	s_delay_alu instid0(VALU_DEP_4) | instskip(SKIP_3) | instid1(VALU_DEP_4)
	v_add_nc_u32_e32 v90, s11, v88
	v_ashrrev_i32_e32 v89, 31, v88
	v_lshlrev_b64 v[86:87], 4, v[86:87]
	v_add_co_ci_u32_e32 v83, vcc_lo, s3, v83, vcc_lo
	v_add_nc_u32_e32 v92, s11, v90
	v_ashrrev_i32_e32 v91, 31, v90
	v_add_co_u32 v84, vcc_lo, s2, v84
	global_load_b128 v[163:166], v[82:83], off
	v_add_nc_u32_e32 v94, s11, v92
	v_lshlrev_b64 v[88:89], 4, v[88:89]
	v_ashrrev_i32_e32 v93, 31, v92
	v_add_co_ci_u32_e32 v85, vcc_lo, s3, v85, vcc_lo
	s_delay_alu instid0(VALU_DEP_4) | instskip(SKIP_3) | instid1(VALU_DEP_4)
	v_add_nc_u32_e32 v96, s11, v94
	v_add_co_u32 v86, vcc_lo, s2, v86
	v_lshlrev_b64 v[90:91], 4, v[90:91]
	v_ashrrev_i32_e32 v95, 31, v94
	v_add_nc_u32_e32 v98, s11, v96
	v_add_co_ci_u32_e32 v87, vcc_lo, s3, v87, vcc_lo
	v_add_co_u32 v88, vcc_lo, s2, v88
	s_delay_alu instid0(VALU_DEP_3) | instskip(SKIP_3) | instid1(VALU_DEP_4)
	v_add_nc_u32_e32 v100, s11, v98
	v_lshlrev_b64 v[92:93], 4, v[92:93]
	v_add_co_ci_u32_e32 v89, vcc_lo, s3, v89, vcc_lo
	v_add_co_u32 v90, vcc_lo, s2, v90
	v_add_nc_u32_e32 v102, s11, v100
	v_lshlrev_b64 v[94:95], 4, v[94:95]
	v_ashrrev_i32_e32 v97, 31, v96
	v_add_co_ci_u32_e32 v91, vcc_lo, s3, v91, vcc_lo
	s_delay_alu instid0(VALU_DEP_4) | instskip(SKIP_2) | instid1(VALU_DEP_3)
	v_add_nc_u32_e32 v104, s11, v102
	v_add_co_u32 v92, vcc_lo, s2, v92
	v_add_co_ci_u32_e32 v93, vcc_lo, s3, v93, vcc_lo
	v_add_nc_u32_e32 v106, s11, v104
	v_lshlrev_b64 v[184:185], 4, v[96:97]
	v_ashrrev_i32_e32 v99, 31, v98
	v_add_co_u32 v96, vcc_lo, s2, v94
	s_delay_alu instid0(VALU_DEP_4) | instskip(SKIP_3) | instid1(VALU_DEP_4)
	v_add_nc_u32_e32 v108, s11, v106
	v_add_co_ci_u32_e32 v97, vcc_lo, s3, v95, vcc_lo
	v_ashrrev_i32_e32 v101, 31, v100
	v_lshlrev_b64 v[204:205], 4, v[98:99]
	v_add_nc_u32_e32 v110, s11, v108
	v_add_co_u32 v98, vcc_lo, s2, v184
	v_add_co_ci_u32_e32 v99, vcc_lo, s3, v185, vcc_lo
	s_delay_alu instid0(VALU_DEP_3)
	v_add_nc_u32_e32 v112, s11, v110
	v_lshlrev_b64 v[184:185], 4, v[100:101]
	v_ashrrev_i32_e32 v103, 31, v102
	v_ashrrev_i32_e32 v105, 31, v104
	;; [unrolled: 1-line block ×3, first 2 shown]
	v_add_nc_u32_e32 v114, s11, v112
	v_ashrrev_i32_e32 v109, 31, v108
	v_lshlrev_b64 v[206:207], 4, v[102:103]
	v_ashrrev_i32_e32 v111, 31, v110
	v_ashrrev_i32_e32 v113, 31, v112
	v_add_nc_u32_e32 v116, s11, v114
	v_ashrrev_i32_e32 v115, 31, v114
	s_clause 0x5
	global_load_b128 v[167:170], v[84:85], off
	global_load_b128 v[171:174], v[86:87], off
	;; [unrolled: 1-line block ×6, first 2 shown]
	v_add_nc_u32_e32 v118, s11, v116
	v_ashrrev_i32_e32 v117, 31, v116
	s_movk_i32 s34, 0x1c0
	s_movk_i32 s35, 0x1d0
	s_movk_i32 s36, 0x1e0
	v_add_nc_u32_e32 v120, s11, v118
	v_ashrrev_i32_e32 v119, 31, v118
	s_movk_i32 s37, 0x1f0
	s_movk_i32 s38, 0x200
	s_movk_i32 s39, 0x210
	;; [unrolled: 5-line block ×4, first 2 shown]
	v_add_nc_u32_e32 v179, s11, v177
	v_ashrrev_i32_e32 v178, 31, v177
	v_lshlrev_b64 v[175:176], 4, v[175:176]
	s_movk_i32 s46, 0x280
	s_movk_i32 s47, 0x290
	v_add_nc_u32_e32 v181, s11, v179
	v_ashrrev_i32_e32 v180, 31, v179
	s_movk_i32 s48, 0x2a0
	s_movk_i32 s49, 0x2b0
	;; [unrolled: 1-line block ×3, first 2 shown]
	v_add_nc_u32_e32 v183, s11, v181
	v_ashrrev_i32_e32 v182, 31, v181
	s_movk_i32 s51, 0x2d0
	s_movk_i32 s52, 0x2e0
	;; [unrolled: 1-line block ×3, first 2 shown]
	v_add_nc_u32_e32 v230, s11, v183
	s_bitcmp0_b32 s21, 0
	s_delay_alu instid0(VALU_DEP_1) | instskip(SKIP_1) | instid1(VALU_DEP_2)
	v_add_nc_u32_e32 v232, s11, v230
	v_ashrrev_i32_e32 v231, 31, v230
	v_add_nc_u32_e32 v202, s11, v232
	v_ashrrev_i32_e32 v233, 31, v232
	s_movk_i32 s11, 0xc0
	s_delay_alu instid0(VALU_DEP_2) | instskip(NEXT) | instid1(VALU_DEP_1)
	v_ashrrev_i32_e32 v203, 31, v202
	v_lshlrev_b64 v[94:95], 4, v[202:203]
	s_delay_alu instid0(VALU_DEP_1) | instskip(NEXT) | instid1(VALU_DEP_2)
	v_add_co_u32 v94, vcc_lo, s2, v94
	v_add_co_ci_u32_e32 v95, vcc_lo, s3, v95, vcc_lo
	v_add_co_u32 v100, vcc_lo, s2, v204
	v_add_co_ci_u32_e32 v101, vcc_lo, s3, v205, vcc_lo
	;; [unrolled: 2-line block ×3, first 2 shown]
	v_lshlrev_b64 v[184:185], 4, v[104:105]
	v_add_co_u32 v104, vcc_lo, s2, v206
	v_add_co_ci_u32_e32 v105, vcc_lo, s3, v207, vcc_lo
	v_lshlrev_b64 v[206:207], 4, v[106:107]
	s_delay_alu instid0(VALU_DEP_4) | instskip(SKIP_2) | instid1(VALU_DEP_4)
	v_add_co_u32 v106, vcc_lo, s2, v184
	v_add_co_ci_u32_e32 v107, vcc_lo, s3, v185, vcc_lo
	v_lshlrev_b64 v[184:185], 4, v[108:109]
	v_add_co_u32 v108, vcc_lo, s2, v206
	v_add_co_ci_u32_e32 v109, vcc_lo, s3, v207, vcc_lo
	v_lshlrev_b64 v[206:207], 4, v[110:111]
	s_delay_alu instid0(VALU_DEP_4) | instskip(SKIP_2) | instid1(VALU_DEP_4)
	v_add_co_u32 v110, vcc_lo, s2, v184
	v_add_co_ci_u32_e32 v111, vcc_lo, s3, v185, vcc_lo
	;; [unrolled: 7-line block ×3, first 2 shown]
	v_lshlrev_b64 v[184:185], 4, v[116:117]
	v_add_co_u32 v116, vcc_lo, s2, v206
	v_add_co_ci_u32_e32 v117, vcc_lo, s3, v207, vcc_lo
	v_lshlrev_b64 v[206:207], 4, v[118:119]
	s_delay_alu instid0(VALU_DEP_4)
	v_add_co_u32 v118, vcc_lo, s2, v184
	v_add_co_ci_u32_e32 v119, vcc_lo, s3, v185, vcc_lo
	v_lshlrev_b64 v[184:185], 4, v[120:121]
	global_load_b128 v[202:205], v[94:95], off
	s_waitcnt vmcnt(27)
	scratch_store_b128 off, v[1:4], off
	s_waitcnt vmcnt(26)
	scratch_store_b128 off, v[5:8], off offset:16
	s_clause 0x1
	global_load_b128 v[1:4], v[98:99], off
	global_load_b128 v[5:8], v[100:101], off
	s_waitcnt vmcnt(27)
	scratch_store_b128 off, v[9:12], off offset:32
	s_waitcnt vmcnt(26)
	scratch_store_b128 off, v[14:17], off offset:48
	s_clause 0x1
	global_load_b128 v[9:12], v[102:103], off
	global_load_b128 v[14:17], v[104:105], off
	s_waitcnt vmcnt(27)
	scratch_store_b128 off, v[18:21], off offset:64
	s_waitcnt vmcnt(26)
	scratch_store_b128 off, v[22:25], off offset:80
	v_add_co_u32 v120, vcc_lo, s2, v206
	s_clause 0x1
	global_load_b128 v[18:21], v[106:107], off
	global_load_b128 v[22:25], v[108:109], off
	s_waitcnt vmcnt(27)
	scratch_store_b128 off, v[26:29], off offset:96
	s_waitcnt vmcnt(26)
	scratch_store_b128 off, v[30:33], off offset:112
	s_clause 0x1
	global_load_b128 v[26:29], v[110:111], off
	global_load_b128 v[30:33], v[112:113], off
	s_waitcnt vmcnt(27)
	scratch_store_b128 off, v[34:37], off offset:128
	s_waitcnt vmcnt(26)
	scratch_store_b128 off, v[38:41], off offset:144
	v_add_co_ci_u32_e32 v121, vcc_lo, s3, v207, vcc_lo
	s_clause 0x1
	global_load_b128 v[34:37], v[114:115], off
	global_load_b128 v[38:41], v[116:117], off
	s_waitcnt vmcnt(27)
	scratch_store_b128 off, v[122:125], off offset:160
	s_waitcnt vmcnt(26)
	scratch_store_b128 off, v[126:129], off offset:176
	v_add_co_u32 v122, vcc_lo, s2, v184
	v_lshlrev_b64 v[126:127], 4, v[177:178]
	v_add_co_ci_u32_e32 v123, vcc_lo, s3, v185, vcc_lo
	v_add_co_u32 v124, vcc_lo, s2, v175
	v_lshlrev_b64 v[128:129], 4, v[179:180]
	v_ashrrev_i32_e32 v184, 31, v183
	v_add_co_ci_u32_e32 v125, vcc_lo, s3, v176, vcc_lo
	s_clause 0x1
	global_load_b128 v[206:209], v[118:119], off
	global_load_b128 v[210:213], v[120:121], off
	s_waitcnt vmcnt(27)
	scratch_store_b128 off, v[130:133], off offset:192
	s_waitcnt vmcnt(26)
	scratch_store_b128 off, v[134:137], off offset:208
	v_add_co_u32 v126, vcc_lo, s2, v126
	v_lshlrev_b64 v[130:131], 4, v[181:182]
	v_add_co_ci_u32_e32 v127, vcc_lo, s3, v127, vcc_lo
	v_add_co_u32 v128, vcc_lo, s2, v128
	v_lshlrev_b64 v[132:133], 4, v[183:184]
	v_add_co_ci_u32_e32 v129, vcc_lo, s3, v129, vcc_lo
	;; [unrolled: 3-line block ×4, first 2 shown]
	v_add_co_u32 v134, vcc_lo, s2, v134
	v_add_co_ci_u32_e32 v135, vcc_lo, s3, v135, vcc_lo
	s_clause 0x1
	global_load_b128 v[214:217], v[122:123], off
	global_load_b128 v[218:221], v[124:125], off
	s_waitcnt vmcnt(27)
	scratch_store_b128 off, v[139:142], off offset:224
	s_waitcnt vmcnt(26)
	scratch_store_b128 off, v[143:146], off offset:240
	v_add_co_u32 v136, vcc_lo, s2, v136
	s_clause 0x1
	global_load_b128 v[222:225], v[126:127], off
	global_load_b128 v[226:229], v[128:129], off
	s_waitcnt vmcnt(27)
	scratch_store_b128 off, v[147:150], off offset:256
	s_waitcnt vmcnt(26)
	scratch_store_b128 off, v[151:154], off offset:272
	s_clause 0x1
	global_load_b128 v[144:147], v[130:131], off
	global_load_b128 v[230:233], v[132:133], off
	v_add_co_ci_u32_e32 v137, vcc_lo, s3, v137, vcc_lo
	global_load_b128 v[234:237], v[134:135], off
	s_movk_i32 s2, 0x50
	s_movk_i32 s3, 0x60
	global_load_b128 v[238:241], v[136:137], off
	s_waitcnt vmcnt(29)
	scratch_store_b128 off, v[155:158], off offset:288
	v_add_nc_u32_e64 v185, 0, 16
	v_add_nc_u32_e64 v184, 0, 32
	;; [unrolled: 1-line block ×9, first 2 shown]
	s_waitcnt vmcnt(28)
	scratch_store_b128 off, v[159:162], off offset:304
	v_add_nc_u32_e64 v176, s9, 0
	v_add_nc_u32_e64 v175, s10, 0
	;; [unrolled: 1-line block ×15, first 2 shown]
	s_waitcnt vmcnt(27)
	scratch_store_b128 off, v[163:166], off offset:320
	v_add_nc_u32_e64 v166, s25, 0
	v_add_nc_u32_e64 v165, s26, 0
	;; [unrolled: 1-line block ×11, first 2 shown]
	s_mov_b32 s3, -1
	s_waitcnt vmcnt(26)
	scratch_store_b128 off, v[167:170], off offset:336
	s_waitcnt vmcnt(25)
	scratch_store_b128 off, v[171:174], off offset:352
	;; [unrolled: 2-line block ×3, first 2 shown]
	v_add_nc_u32_e64 v174, s11, 0
	v_add_nc_u32_e64 v173, s12, 0
	;; [unrolled: 1-line block ×7, first 2 shown]
	s_waitcnt vmcnt(23)
	scratch_store_b128 off, v[190:193], off offset:384
	s_waitcnt vmcnt(22)
	scratch_store_b128 off, v[194:197], off offset:400
	v_add_nc_u32_e64 v167, s24, 0
	s_waitcnt vmcnt(21)
	scratch_store_b128 off, v[198:201], off offset:416
	s_waitcnt vmcnt(19)
	scratch_store_b128 off, v[1:4], off offset:432
	s_waitcnt vmcnt(18)
	scratch_store_b128 off, v[5:8], off offset:448
	s_waitcnt vmcnt(17)
	scratch_store_b128 off, v[9:12], off offset:464
	s_waitcnt vmcnt(16)
	scratch_store_b128 off, v[14:17], off offset:480
	s_waitcnt vmcnt(15)
	scratch_store_b128 off, v[18:21], off offset:496
	s_waitcnt vmcnt(14)
	scratch_store_b128 off, v[22:25], off offset:512
	s_waitcnt vmcnt(13)
	scratch_store_b128 off, v[26:29], off offset:528
	s_waitcnt vmcnt(12)
	scratch_store_b128 off, v[30:33], off offset:544
	s_waitcnt vmcnt(11)
	scratch_store_b128 off, v[34:37], off offset:560
	s_waitcnt vmcnt(10)
	scratch_store_b128 off, v[38:41], off offset:576
	s_waitcnt vmcnt(9)
	scratch_store_b128 off, v[206:209], off offset:592
	s_waitcnt vmcnt(8)
	scratch_store_b128 off, v[210:213], off offset:608
	s_waitcnt vmcnt(7)
	scratch_store_b128 off, v[214:217], off offset:624
	s_waitcnt vmcnt(6)
	scratch_store_b128 off, v[218:221], off offset:640
	s_waitcnt vmcnt(5)
	scratch_store_b128 off, v[222:225], off offset:656
	s_waitcnt vmcnt(4)
	scratch_store_b128 off, v[226:229], off offset:672
	s_waitcnt vmcnt(3)
	scratch_store_b128 off, v[144:147], off offset:688
	s_waitcnt vmcnt(2)
	scratch_store_b128 off, v[230:233], off offset:704
	s_waitcnt vmcnt(1)
	scratch_store_b128 off, v[234:237], off offset:720
	v_add_nc_u32_e64 v147, s50, 0
	v_add_nc_u32_e64 v146, s51, 0
	;; [unrolled: 1-line block ×4, first 2 shown]
	s_waitcnt vmcnt(0)
	s_clause 0x1
	scratch_store_b128 off, v[238:241], off offset:736
	scratch_store_b128 off, v[202:205], off offset:752
	s_cbranch_scc1 .LBB47_204
; %bb.4:
	v_cmp_eq_u32_e64 s2, 0, v138
	s_delay_alu instid0(VALU_DEP_1)
	s_and_saveexec_b32 s3, s2
	s_cbranch_execz .LBB47_6
; %bb.5:
	v_mov_b32_e32 v1, 0
	ds_store_b32 v1, v1 offset:1536
.LBB47_6:
	s_or_b32 exec_lo, exec_lo, s3
	s_waitcnt lgkmcnt(0)
	s_waitcnt_vscnt null, 0x0
	s_barrier
	buffer_gl0_inv
	scratch_load_b128 v[1:4], v13, off
	s_waitcnt vmcnt(0)
	v_cmp_eq_f64_e32 vcc_lo, 0, v[1:2]
	v_cmp_eq_f64_e64 s3, 0, v[3:4]
	s_delay_alu instid0(VALU_DEP_1) | instskip(NEXT) | instid1(SALU_CYCLE_1)
	s_and_b32 s3, vcc_lo, s3
	s_and_saveexec_b32 s4, s3
	s_cbranch_execz .LBB47_10
; %bb.7:
	v_mov_b32_e32 v1, 0
	s_mov_b32 s5, 0
	ds_load_b32 v2, v1 offset:1536
	s_waitcnt lgkmcnt(0)
	v_readfirstlane_b32 s3, v2
	v_add_nc_u32_e32 v2, 1, v138
	s_delay_alu instid0(VALU_DEP_2) | instskip(NEXT) | instid1(VALU_DEP_1)
	s_cmp_eq_u32 s3, 0
	v_cmp_gt_i32_e32 vcc_lo, s3, v2
	s_cselect_b32 s8, -1, 0
	s_delay_alu instid0(SALU_CYCLE_1) | instskip(NEXT) | instid1(SALU_CYCLE_1)
	s_or_b32 s8, s8, vcc_lo
	s_and_b32 exec_lo, exec_lo, s8
	s_cbranch_execz .LBB47_10
; %bb.8:
	v_mov_b32_e32 v3, s3
.LBB47_9:                               ; =>This Inner Loop Header: Depth=1
	ds_cmpstore_rtn_b32 v3, v1, v2, v3 offset:1536
	s_waitcnt lgkmcnt(0)
	v_cmp_ne_u32_e32 vcc_lo, 0, v3
	v_cmp_le_i32_e64 s3, v3, v2
	s_delay_alu instid0(VALU_DEP_1) | instskip(NEXT) | instid1(SALU_CYCLE_1)
	s_and_b32 s3, vcc_lo, s3
	s_and_b32 s3, exec_lo, s3
	s_delay_alu instid0(SALU_CYCLE_1) | instskip(NEXT) | instid1(SALU_CYCLE_1)
	s_or_b32 s5, s3, s5
	s_and_not1_b32 exec_lo, exec_lo, s5
	s_cbranch_execnz .LBB47_9
.LBB47_10:
	s_or_b32 exec_lo, exec_lo, s4
	v_mov_b32_e32 v1, 0
	s_barrier
	buffer_gl0_inv
	ds_load_b32 v2, v1 offset:1536
	s_and_saveexec_b32 s3, s2
	s_cbranch_execz .LBB47_12
; %bb.11:
	s_lshl_b64 s[4:5], s[18:19], 2
	s_delay_alu instid0(SALU_CYCLE_1)
	s_add_u32 s4, s6, s4
	s_addc_u32 s5, s7, s5
	s_waitcnt lgkmcnt(0)
	global_store_b32 v1, v2, s[4:5]
.LBB47_12:
	s_or_b32 exec_lo, exec_lo, s3
	s_waitcnt lgkmcnt(0)
	v_cmp_ne_u32_e32 vcc_lo, 0, v2
	s_mov_b32 s3, 0
	s_cbranch_vccnz .LBB47_204
; %bb.13:
	v_add_nc_u32_e32 v14, 0, v13
                                        ; implicit-def: $vgpr9_vgpr10
	scratch_load_b128 v[1:4], v14, off
	s_waitcnt vmcnt(0)
	v_mov_b32_e32 v5, v1
	v_cmp_gt_f64_e32 vcc_lo, 0, v[1:2]
	v_xor_b32_e32 v6, 0x80000000, v2
	v_xor_b32_e32 v7, 0x80000000, v4
	s_delay_alu instid0(VALU_DEP_2) | instskip(SKIP_1) | instid1(VALU_DEP_3)
	v_cndmask_b32_e32 v6, v2, v6, vcc_lo
	v_cmp_gt_f64_e32 vcc_lo, 0, v[3:4]
	v_dual_cndmask_b32 v8, v4, v7 :: v_dual_mov_b32 v7, v3
	s_delay_alu instid0(VALU_DEP_1) | instskip(SKIP_1) | instid1(SALU_CYCLE_1)
	v_cmp_ngt_f64_e32 vcc_lo, v[5:6], v[7:8]
                                        ; implicit-def: $vgpr5_vgpr6
	s_and_saveexec_b32 s3, vcc_lo
	s_xor_b32 s3, exec_lo, s3
	s_cbranch_execz .LBB47_15
; %bb.14:
	v_div_scale_f64 v[5:6], null, v[3:4], v[3:4], v[1:2]
	v_div_scale_f64 v[11:12], vcc_lo, v[1:2], v[3:4], v[1:2]
	s_delay_alu instid0(VALU_DEP_2) | instskip(SKIP_2) | instid1(VALU_DEP_1)
	v_rcp_f64_e32 v[7:8], v[5:6]
	s_waitcnt_depctr 0xfff
	v_fma_f64 v[9:10], -v[5:6], v[7:8], 1.0
	v_fma_f64 v[7:8], v[7:8], v[9:10], v[7:8]
	s_delay_alu instid0(VALU_DEP_1) | instskip(NEXT) | instid1(VALU_DEP_1)
	v_fma_f64 v[9:10], -v[5:6], v[7:8], 1.0
	v_fma_f64 v[7:8], v[7:8], v[9:10], v[7:8]
	s_delay_alu instid0(VALU_DEP_1) | instskip(NEXT) | instid1(VALU_DEP_1)
	v_mul_f64 v[9:10], v[11:12], v[7:8]
	v_fma_f64 v[5:6], -v[5:6], v[9:10], v[11:12]
	s_delay_alu instid0(VALU_DEP_1) | instskip(NEXT) | instid1(VALU_DEP_1)
	v_div_fmas_f64 v[5:6], v[5:6], v[7:8], v[9:10]
	v_div_fixup_f64 v[5:6], v[5:6], v[3:4], v[1:2]
	s_delay_alu instid0(VALU_DEP_1) | instskip(NEXT) | instid1(VALU_DEP_1)
	v_fma_f64 v[1:2], v[1:2], v[5:6], v[3:4]
	v_div_scale_f64 v[3:4], null, v[1:2], v[1:2], 1.0
	v_div_scale_f64 v[11:12], vcc_lo, 1.0, v[1:2], 1.0
	s_delay_alu instid0(VALU_DEP_2) | instskip(SKIP_2) | instid1(VALU_DEP_1)
	v_rcp_f64_e32 v[7:8], v[3:4]
	s_waitcnt_depctr 0xfff
	v_fma_f64 v[9:10], -v[3:4], v[7:8], 1.0
	v_fma_f64 v[7:8], v[7:8], v[9:10], v[7:8]
	s_delay_alu instid0(VALU_DEP_1) | instskip(NEXT) | instid1(VALU_DEP_1)
	v_fma_f64 v[9:10], -v[3:4], v[7:8], 1.0
	v_fma_f64 v[7:8], v[7:8], v[9:10], v[7:8]
	s_delay_alu instid0(VALU_DEP_1) | instskip(NEXT) | instid1(VALU_DEP_1)
	v_mul_f64 v[9:10], v[11:12], v[7:8]
	v_fma_f64 v[3:4], -v[3:4], v[9:10], v[11:12]
	s_delay_alu instid0(VALU_DEP_1) | instskip(NEXT) | instid1(VALU_DEP_1)
	v_div_fmas_f64 v[3:4], v[3:4], v[7:8], v[9:10]
	v_div_fixup_f64 v[7:8], v[3:4], v[1:2], 1.0
                                        ; implicit-def: $vgpr1_vgpr2
	s_delay_alu instid0(VALU_DEP_1) | instskip(SKIP_1) | instid1(VALU_DEP_2)
	v_mul_f64 v[5:6], v[5:6], v[7:8]
	v_xor_b32_e32 v8, 0x80000000, v8
	v_xor_b32_e32 v10, 0x80000000, v6
	s_delay_alu instid0(VALU_DEP_3)
	v_mov_b32_e32 v9, v5
.LBB47_15:
	s_and_not1_saveexec_b32 s3, s3
	s_cbranch_execz .LBB47_17
; %bb.16:
	v_div_scale_f64 v[5:6], null, v[1:2], v[1:2], v[3:4]
	v_div_scale_f64 v[11:12], vcc_lo, v[3:4], v[1:2], v[3:4]
	s_delay_alu instid0(VALU_DEP_2) | instskip(SKIP_2) | instid1(VALU_DEP_1)
	v_rcp_f64_e32 v[7:8], v[5:6]
	s_waitcnt_depctr 0xfff
	v_fma_f64 v[9:10], -v[5:6], v[7:8], 1.0
	v_fma_f64 v[7:8], v[7:8], v[9:10], v[7:8]
	s_delay_alu instid0(VALU_DEP_1) | instskip(NEXT) | instid1(VALU_DEP_1)
	v_fma_f64 v[9:10], -v[5:6], v[7:8], 1.0
	v_fma_f64 v[7:8], v[7:8], v[9:10], v[7:8]
	s_delay_alu instid0(VALU_DEP_1) | instskip(NEXT) | instid1(VALU_DEP_1)
	v_mul_f64 v[9:10], v[11:12], v[7:8]
	v_fma_f64 v[5:6], -v[5:6], v[9:10], v[11:12]
	s_delay_alu instid0(VALU_DEP_1) | instskip(NEXT) | instid1(VALU_DEP_1)
	v_div_fmas_f64 v[5:6], v[5:6], v[7:8], v[9:10]
	v_div_fixup_f64 v[7:8], v[5:6], v[1:2], v[3:4]
	s_delay_alu instid0(VALU_DEP_1) | instskip(NEXT) | instid1(VALU_DEP_1)
	v_fma_f64 v[1:2], v[3:4], v[7:8], v[1:2]
	v_div_scale_f64 v[3:4], null, v[1:2], v[1:2], 1.0
	s_delay_alu instid0(VALU_DEP_1) | instskip(SKIP_2) | instid1(VALU_DEP_1)
	v_rcp_f64_e32 v[5:6], v[3:4]
	s_waitcnt_depctr 0xfff
	v_fma_f64 v[9:10], -v[3:4], v[5:6], 1.0
	v_fma_f64 v[5:6], v[5:6], v[9:10], v[5:6]
	s_delay_alu instid0(VALU_DEP_1) | instskip(NEXT) | instid1(VALU_DEP_1)
	v_fma_f64 v[9:10], -v[3:4], v[5:6], 1.0
	v_fma_f64 v[5:6], v[5:6], v[9:10], v[5:6]
	v_div_scale_f64 v[9:10], vcc_lo, 1.0, v[1:2], 1.0
	s_delay_alu instid0(VALU_DEP_1) | instskip(NEXT) | instid1(VALU_DEP_1)
	v_mul_f64 v[11:12], v[9:10], v[5:6]
	v_fma_f64 v[3:4], -v[3:4], v[11:12], v[9:10]
	s_delay_alu instid0(VALU_DEP_1) | instskip(NEXT) | instid1(VALU_DEP_1)
	v_div_fmas_f64 v[3:4], v[3:4], v[5:6], v[11:12]
	v_div_fixup_f64 v[5:6], v[3:4], v[1:2], 1.0
	s_delay_alu instid0(VALU_DEP_1)
	v_mul_f64 v[7:8], v[7:8], -v[5:6]
	v_xor_b32_e32 v10, 0x80000000, v6
	v_mov_b32_e32 v9, v5
.LBB47_17:
	s_or_b32 exec_lo, exec_lo, s3
	scratch_store_b128 v14, v[5:8], off
	scratch_load_b128 v[1:4], v185, off
	v_xor_b32_e32 v12, 0x80000000, v8
	v_mov_b32_e32 v11, v7
	v_add_nc_u32_e32 v5, 0x300, v13
	ds_store_b128 v13, v[9:12]
	s_waitcnt vmcnt(0)
	ds_store_b128 v13, v[1:4] offset:768
	s_waitcnt lgkmcnt(0)
	s_waitcnt_vscnt null, 0x0
	s_barrier
	buffer_gl0_inv
	s_and_saveexec_b32 s3, s2
	s_cbranch_execz .LBB47_19
; %bb.18:
	scratch_load_b128 v[1:4], v14, off
	ds_load_b128 v[6:9], v5
	v_mov_b32_e32 v10, 0
	ds_load_b128 v[15:18], v10 offset:16
	s_waitcnt vmcnt(0) lgkmcnt(1)
	v_mul_f64 v[10:11], v[6:7], v[3:4]
	v_mul_f64 v[3:4], v[8:9], v[3:4]
	s_delay_alu instid0(VALU_DEP_2) | instskip(NEXT) | instid1(VALU_DEP_2)
	v_fma_f64 v[8:9], v[8:9], v[1:2], v[10:11]
	v_fma_f64 v[1:2], v[6:7], v[1:2], -v[3:4]
	s_delay_alu instid0(VALU_DEP_2) | instskip(NEXT) | instid1(VALU_DEP_2)
	v_add_f64 v[3:4], v[8:9], 0
	v_add_f64 v[1:2], v[1:2], 0
	s_waitcnt lgkmcnt(0)
	s_delay_alu instid0(VALU_DEP_2) | instskip(NEXT) | instid1(VALU_DEP_2)
	v_mul_f64 v[6:7], v[3:4], v[17:18]
	v_mul_f64 v[8:9], v[1:2], v[17:18]
	s_delay_alu instid0(VALU_DEP_2) | instskip(NEXT) | instid1(VALU_DEP_2)
	v_fma_f64 v[1:2], v[1:2], v[15:16], -v[6:7]
	v_fma_f64 v[3:4], v[3:4], v[15:16], v[8:9]
	scratch_store_b128 off, v[1:4], off offset:16
.LBB47_19:
	s_or_b32 exec_lo, exec_lo, s3
	s_waitcnt_vscnt null, 0x0
	s_barrier
	buffer_gl0_inv
	scratch_load_b128 v[1:4], v184, off
	s_mov_b32 s3, exec_lo
	s_waitcnt vmcnt(0)
	ds_store_b128 v5, v[1:4]
	s_waitcnt lgkmcnt(0)
	s_barrier
	buffer_gl0_inv
	v_cmpx_gt_u32_e32 2, v138
	s_cbranch_execz .LBB47_23
; %bb.20:
	scratch_load_b128 v[1:4], v14, off
	ds_load_b128 v[6:9], v5
	s_waitcnt vmcnt(0) lgkmcnt(0)
	v_mul_f64 v[10:11], v[8:9], v[3:4]
	v_mul_f64 v[3:4], v[6:7], v[3:4]
	s_delay_alu instid0(VALU_DEP_2) | instskip(NEXT) | instid1(VALU_DEP_2)
	v_fma_f64 v[6:7], v[6:7], v[1:2], -v[10:11]
	v_fma_f64 v[3:4], v[8:9], v[1:2], v[3:4]
	s_delay_alu instid0(VALU_DEP_2) | instskip(NEXT) | instid1(VALU_DEP_2)
	v_add_f64 v[1:2], v[6:7], 0
	v_add_f64 v[3:4], v[3:4], 0
	s_and_saveexec_b32 s4, s2
	s_cbranch_execz .LBB47_22
; %bb.21:
	scratch_load_b128 v[6:9], off, off offset:16
	v_mov_b32_e32 v10, 0
	ds_load_b128 v[15:18], v10 offset:784
	s_waitcnt vmcnt(0) lgkmcnt(0)
	v_mul_f64 v[10:11], v[15:16], v[8:9]
	v_mul_f64 v[8:9], v[17:18], v[8:9]
	s_delay_alu instid0(VALU_DEP_2) | instskip(NEXT) | instid1(VALU_DEP_2)
	v_fma_f64 v[10:11], v[17:18], v[6:7], v[10:11]
	v_fma_f64 v[6:7], v[15:16], v[6:7], -v[8:9]
	s_delay_alu instid0(VALU_DEP_2) | instskip(NEXT) | instid1(VALU_DEP_2)
	v_add_f64 v[3:4], v[3:4], v[10:11]
	v_add_f64 v[1:2], v[1:2], v[6:7]
.LBB47_22:
	s_or_b32 exec_lo, exec_lo, s4
	v_mov_b32_e32 v6, 0
	ds_load_b128 v[6:9], v6 offset:32
	s_waitcnt lgkmcnt(0)
	v_mul_f64 v[10:11], v[3:4], v[8:9]
	v_mul_f64 v[8:9], v[1:2], v[8:9]
	s_delay_alu instid0(VALU_DEP_2) | instskip(NEXT) | instid1(VALU_DEP_2)
	v_fma_f64 v[1:2], v[1:2], v[6:7], -v[10:11]
	v_fma_f64 v[3:4], v[3:4], v[6:7], v[8:9]
	scratch_store_b128 off, v[1:4], off offset:32
.LBB47_23:
	s_or_b32 exec_lo, exec_lo, s3
	s_waitcnt_vscnt null, 0x0
	s_barrier
	buffer_gl0_inv
	scratch_load_b128 v[1:4], v183, off
	v_add_nc_u32_e32 v6, -1, v138
	s_mov_b32 s2, exec_lo
	s_waitcnt vmcnt(0)
	ds_store_b128 v5, v[1:4]
	s_waitcnt lgkmcnt(0)
	s_barrier
	buffer_gl0_inv
	v_cmpx_gt_u32_e32 3, v138
	s_cbranch_execz .LBB47_27
; %bb.24:
	v_dual_mov_b32 v1, 0 :: v_dual_add_nc_u32 v8, 0x300, v13
	v_dual_mov_b32 v2, 0 :: v_dual_add_nc_u32 v7, -1, v138
	v_or_b32_e32 v9, 8, v14
	s_mov_b32 s3, 0
	s_delay_alu instid0(VALU_DEP_2)
	v_dual_mov_b32 v4, v2 :: v_dual_mov_b32 v3, v1
	.p2align	6
.LBB47_25:                              ; =>This Inner Loop Header: Depth=1
	scratch_load_b128 v[15:18], v9, off offset:-8
	ds_load_b128 v[19:22], v8
	v_add_nc_u32_e32 v7, 1, v7
	v_add_nc_u32_e32 v8, 16, v8
	;; [unrolled: 1-line block ×3, first 2 shown]
	s_delay_alu instid0(VALU_DEP_3) | instskip(SKIP_4) | instid1(VALU_DEP_2)
	v_cmp_lt_u32_e32 vcc_lo, 1, v7
	s_or_b32 s3, vcc_lo, s3
	s_waitcnt vmcnt(0) lgkmcnt(0)
	v_mul_f64 v[10:11], v[21:22], v[17:18]
	v_mul_f64 v[17:18], v[19:20], v[17:18]
	v_fma_f64 v[10:11], v[19:20], v[15:16], -v[10:11]
	s_delay_alu instid0(VALU_DEP_2) | instskip(NEXT) | instid1(VALU_DEP_2)
	v_fma_f64 v[15:16], v[21:22], v[15:16], v[17:18]
	v_add_f64 v[3:4], v[3:4], v[10:11]
	s_delay_alu instid0(VALU_DEP_2)
	v_add_f64 v[1:2], v[1:2], v[15:16]
	s_and_not1_b32 exec_lo, exec_lo, s3
	s_cbranch_execnz .LBB47_25
; %bb.26:
	s_or_b32 exec_lo, exec_lo, s3
	v_mov_b32_e32 v7, 0
	ds_load_b128 v[7:10], v7 offset:48
	s_waitcnt lgkmcnt(0)
	v_mul_f64 v[11:12], v[1:2], v[9:10]
	v_mul_f64 v[15:16], v[3:4], v[9:10]
	s_delay_alu instid0(VALU_DEP_2) | instskip(NEXT) | instid1(VALU_DEP_2)
	v_fma_f64 v[9:10], v[3:4], v[7:8], -v[11:12]
	v_fma_f64 v[11:12], v[1:2], v[7:8], v[15:16]
	scratch_store_b128 off, v[9:12], off offset:48
.LBB47_27:
	s_or_b32 exec_lo, exec_lo, s2
	s_waitcnt_vscnt null, 0x0
	s_barrier
	buffer_gl0_inv
	scratch_load_b128 v[1:4], v182, off
	s_mov_b32 s2, exec_lo
	s_waitcnt vmcnt(0)
	ds_store_b128 v5, v[1:4]
	s_waitcnt lgkmcnt(0)
	s_barrier
	buffer_gl0_inv
	v_cmpx_gt_u32_e32 4, v138
	s_cbranch_execz .LBB47_31
; %bb.28:
	v_dual_mov_b32 v1, 0 :: v_dual_add_nc_u32 v8, 0x300, v13
	v_dual_mov_b32 v2, 0 :: v_dual_add_nc_u32 v7, -1, v138
	v_or_b32_e32 v9, 8, v14
	s_mov_b32 s3, 0
	s_delay_alu instid0(VALU_DEP_2)
	v_dual_mov_b32 v4, v2 :: v_dual_mov_b32 v3, v1
	.p2align	6
.LBB47_29:                              ; =>This Inner Loop Header: Depth=1
	scratch_load_b128 v[15:18], v9, off offset:-8
	ds_load_b128 v[19:22], v8
	v_add_nc_u32_e32 v7, 1, v7
	v_add_nc_u32_e32 v8, 16, v8
	;; [unrolled: 1-line block ×3, first 2 shown]
	s_delay_alu instid0(VALU_DEP_3) | instskip(SKIP_4) | instid1(VALU_DEP_2)
	v_cmp_lt_u32_e32 vcc_lo, 2, v7
	s_or_b32 s3, vcc_lo, s3
	s_waitcnt vmcnt(0) lgkmcnt(0)
	v_mul_f64 v[10:11], v[21:22], v[17:18]
	v_mul_f64 v[17:18], v[19:20], v[17:18]
	v_fma_f64 v[10:11], v[19:20], v[15:16], -v[10:11]
	s_delay_alu instid0(VALU_DEP_2) | instskip(NEXT) | instid1(VALU_DEP_2)
	v_fma_f64 v[15:16], v[21:22], v[15:16], v[17:18]
	v_add_f64 v[3:4], v[3:4], v[10:11]
	s_delay_alu instid0(VALU_DEP_2)
	v_add_f64 v[1:2], v[1:2], v[15:16]
	s_and_not1_b32 exec_lo, exec_lo, s3
	s_cbranch_execnz .LBB47_29
; %bb.30:
	s_or_b32 exec_lo, exec_lo, s3
	v_mov_b32_e32 v7, 0
	ds_load_b128 v[7:10], v7 offset:64
	s_waitcnt lgkmcnt(0)
	v_mul_f64 v[11:12], v[1:2], v[9:10]
	v_mul_f64 v[15:16], v[3:4], v[9:10]
	s_delay_alu instid0(VALU_DEP_2) | instskip(NEXT) | instid1(VALU_DEP_2)
	v_fma_f64 v[9:10], v[3:4], v[7:8], -v[11:12]
	v_fma_f64 v[11:12], v[1:2], v[7:8], v[15:16]
	scratch_store_b128 off, v[9:12], off offset:64
.LBB47_31:
	s_or_b32 exec_lo, exec_lo, s2
	s_waitcnt_vscnt null, 0x0
	s_barrier
	buffer_gl0_inv
	scratch_load_b128 v[1:4], v181, off
	s_mov_b32 s2, exec_lo
	s_waitcnt vmcnt(0)
	ds_store_b128 v5, v[1:4]
	s_waitcnt lgkmcnt(0)
	s_barrier
	buffer_gl0_inv
	v_cmpx_gt_u32_e32 5, v138
	s_cbranch_execz .LBB47_35
; %bb.32:
	v_dual_mov_b32 v1, 0 :: v_dual_add_nc_u32 v8, 0x300, v13
	v_dual_mov_b32 v2, 0 :: v_dual_add_nc_u32 v7, -1, v138
	v_or_b32_e32 v9, 8, v14
	s_mov_b32 s3, 0
	s_delay_alu instid0(VALU_DEP_2)
	v_dual_mov_b32 v4, v2 :: v_dual_mov_b32 v3, v1
	.p2align	6
.LBB47_33:                              ; =>This Inner Loop Header: Depth=1
	scratch_load_b128 v[15:18], v9, off offset:-8
	ds_load_b128 v[19:22], v8
	v_add_nc_u32_e32 v7, 1, v7
	v_add_nc_u32_e32 v8, 16, v8
	;; [unrolled: 1-line block ×3, first 2 shown]
	s_delay_alu instid0(VALU_DEP_3) | instskip(SKIP_4) | instid1(VALU_DEP_2)
	v_cmp_lt_u32_e32 vcc_lo, 3, v7
	s_or_b32 s3, vcc_lo, s3
	s_waitcnt vmcnt(0) lgkmcnt(0)
	v_mul_f64 v[10:11], v[21:22], v[17:18]
	v_mul_f64 v[17:18], v[19:20], v[17:18]
	v_fma_f64 v[10:11], v[19:20], v[15:16], -v[10:11]
	s_delay_alu instid0(VALU_DEP_2) | instskip(NEXT) | instid1(VALU_DEP_2)
	v_fma_f64 v[15:16], v[21:22], v[15:16], v[17:18]
	v_add_f64 v[3:4], v[3:4], v[10:11]
	s_delay_alu instid0(VALU_DEP_2)
	v_add_f64 v[1:2], v[1:2], v[15:16]
	s_and_not1_b32 exec_lo, exec_lo, s3
	s_cbranch_execnz .LBB47_33
; %bb.34:
	s_or_b32 exec_lo, exec_lo, s3
	v_mov_b32_e32 v7, 0
	ds_load_b128 v[7:10], v7 offset:80
	s_waitcnt lgkmcnt(0)
	v_mul_f64 v[11:12], v[1:2], v[9:10]
	v_mul_f64 v[15:16], v[3:4], v[9:10]
	s_delay_alu instid0(VALU_DEP_2) | instskip(NEXT) | instid1(VALU_DEP_2)
	v_fma_f64 v[9:10], v[3:4], v[7:8], -v[11:12]
	v_fma_f64 v[11:12], v[1:2], v[7:8], v[15:16]
	scratch_store_b128 off, v[9:12], off offset:80
.LBB47_35:
	s_or_b32 exec_lo, exec_lo, s2
	s_waitcnt_vscnt null, 0x0
	s_barrier
	buffer_gl0_inv
	scratch_load_b128 v[1:4], v180, off
	s_mov_b32 s2, exec_lo
	s_waitcnt vmcnt(0)
	ds_store_b128 v5, v[1:4]
	s_waitcnt lgkmcnt(0)
	s_barrier
	buffer_gl0_inv
	v_cmpx_gt_u32_e32 6, v138
	s_cbranch_execz .LBB47_39
; %bb.36:
	v_dual_mov_b32 v1, 0 :: v_dual_add_nc_u32 v8, 0x300, v13
	v_dual_mov_b32 v2, 0 :: v_dual_add_nc_u32 v7, -1, v138
	v_or_b32_e32 v9, 8, v14
	s_mov_b32 s3, 0
	s_delay_alu instid0(VALU_DEP_2)
	v_dual_mov_b32 v4, v2 :: v_dual_mov_b32 v3, v1
	.p2align	6
.LBB47_37:                              ; =>This Inner Loop Header: Depth=1
	scratch_load_b128 v[15:18], v9, off offset:-8
	ds_load_b128 v[19:22], v8
	v_add_nc_u32_e32 v7, 1, v7
	v_add_nc_u32_e32 v8, 16, v8
	;; [unrolled: 1-line block ×3, first 2 shown]
	s_delay_alu instid0(VALU_DEP_3) | instskip(SKIP_4) | instid1(VALU_DEP_2)
	v_cmp_lt_u32_e32 vcc_lo, 4, v7
	s_or_b32 s3, vcc_lo, s3
	s_waitcnt vmcnt(0) lgkmcnt(0)
	v_mul_f64 v[10:11], v[21:22], v[17:18]
	v_mul_f64 v[17:18], v[19:20], v[17:18]
	v_fma_f64 v[10:11], v[19:20], v[15:16], -v[10:11]
	s_delay_alu instid0(VALU_DEP_2) | instskip(NEXT) | instid1(VALU_DEP_2)
	v_fma_f64 v[15:16], v[21:22], v[15:16], v[17:18]
	v_add_f64 v[3:4], v[3:4], v[10:11]
	s_delay_alu instid0(VALU_DEP_2)
	v_add_f64 v[1:2], v[1:2], v[15:16]
	s_and_not1_b32 exec_lo, exec_lo, s3
	s_cbranch_execnz .LBB47_37
; %bb.38:
	s_or_b32 exec_lo, exec_lo, s3
	v_mov_b32_e32 v7, 0
	ds_load_b128 v[7:10], v7 offset:96
	s_waitcnt lgkmcnt(0)
	v_mul_f64 v[11:12], v[1:2], v[9:10]
	v_mul_f64 v[15:16], v[3:4], v[9:10]
	s_delay_alu instid0(VALU_DEP_2) | instskip(NEXT) | instid1(VALU_DEP_2)
	v_fma_f64 v[9:10], v[3:4], v[7:8], -v[11:12]
	v_fma_f64 v[11:12], v[1:2], v[7:8], v[15:16]
	scratch_store_b128 off, v[9:12], off offset:96
.LBB47_39:
	s_or_b32 exec_lo, exec_lo, s2
	s_waitcnt_vscnt null, 0x0
	s_barrier
	buffer_gl0_inv
	scratch_load_b128 v[1:4], v179, off
	s_mov_b32 s2, exec_lo
	s_waitcnt vmcnt(0)
	ds_store_b128 v5, v[1:4]
	s_waitcnt lgkmcnt(0)
	s_barrier
	buffer_gl0_inv
	v_cmpx_gt_u32_e32 7, v138
	s_cbranch_execz .LBB47_43
; %bb.40:
	v_dual_mov_b32 v1, 0 :: v_dual_add_nc_u32 v8, 0x300, v13
	v_dual_mov_b32 v2, 0 :: v_dual_add_nc_u32 v7, -1, v138
	v_or_b32_e32 v9, 8, v14
	s_mov_b32 s3, 0
	s_delay_alu instid0(VALU_DEP_2)
	v_dual_mov_b32 v4, v2 :: v_dual_mov_b32 v3, v1
	.p2align	6
.LBB47_41:                              ; =>This Inner Loop Header: Depth=1
	scratch_load_b128 v[15:18], v9, off offset:-8
	ds_load_b128 v[19:22], v8
	v_add_nc_u32_e32 v7, 1, v7
	v_add_nc_u32_e32 v8, 16, v8
	v_add_nc_u32_e32 v9, 16, v9
	s_delay_alu instid0(VALU_DEP_3) | instskip(SKIP_4) | instid1(VALU_DEP_2)
	v_cmp_lt_u32_e32 vcc_lo, 5, v7
	s_or_b32 s3, vcc_lo, s3
	s_waitcnt vmcnt(0) lgkmcnt(0)
	v_mul_f64 v[10:11], v[21:22], v[17:18]
	v_mul_f64 v[17:18], v[19:20], v[17:18]
	v_fma_f64 v[10:11], v[19:20], v[15:16], -v[10:11]
	s_delay_alu instid0(VALU_DEP_2) | instskip(NEXT) | instid1(VALU_DEP_2)
	v_fma_f64 v[15:16], v[21:22], v[15:16], v[17:18]
	v_add_f64 v[3:4], v[3:4], v[10:11]
	s_delay_alu instid0(VALU_DEP_2)
	v_add_f64 v[1:2], v[1:2], v[15:16]
	s_and_not1_b32 exec_lo, exec_lo, s3
	s_cbranch_execnz .LBB47_41
; %bb.42:
	s_or_b32 exec_lo, exec_lo, s3
	v_mov_b32_e32 v7, 0
	ds_load_b128 v[7:10], v7 offset:112
	s_waitcnt lgkmcnt(0)
	v_mul_f64 v[11:12], v[1:2], v[9:10]
	v_mul_f64 v[15:16], v[3:4], v[9:10]
	s_delay_alu instid0(VALU_DEP_2) | instskip(NEXT) | instid1(VALU_DEP_2)
	v_fma_f64 v[9:10], v[3:4], v[7:8], -v[11:12]
	v_fma_f64 v[11:12], v[1:2], v[7:8], v[15:16]
	scratch_store_b128 off, v[9:12], off offset:112
.LBB47_43:
	s_or_b32 exec_lo, exec_lo, s2
	s_waitcnt_vscnt null, 0x0
	s_barrier
	buffer_gl0_inv
	scratch_load_b128 v[1:4], v178, off
	s_mov_b32 s2, exec_lo
	s_waitcnt vmcnt(0)
	ds_store_b128 v5, v[1:4]
	s_waitcnt lgkmcnt(0)
	s_barrier
	buffer_gl0_inv
	v_cmpx_gt_u32_e32 8, v138
	s_cbranch_execz .LBB47_47
; %bb.44:
	v_dual_mov_b32 v1, 0 :: v_dual_add_nc_u32 v8, 0x300, v13
	v_dual_mov_b32 v2, 0 :: v_dual_add_nc_u32 v7, -1, v138
	v_or_b32_e32 v9, 8, v14
	s_mov_b32 s3, 0
	s_delay_alu instid0(VALU_DEP_2)
	v_dual_mov_b32 v4, v2 :: v_dual_mov_b32 v3, v1
	.p2align	6
.LBB47_45:                              ; =>This Inner Loop Header: Depth=1
	scratch_load_b128 v[15:18], v9, off offset:-8
	ds_load_b128 v[19:22], v8
	v_add_nc_u32_e32 v7, 1, v7
	v_add_nc_u32_e32 v8, 16, v8
	;; [unrolled: 1-line block ×3, first 2 shown]
	s_delay_alu instid0(VALU_DEP_3) | instskip(SKIP_4) | instid1(VALU_DEP_2)
	v_cmp_lt_u32_e32 vcc_lo, 6, v7
	s_or_b32 s3, vcc_lo, s3
	s_waitcnt vmcnt(0) lgkmcnt(0)
	v_mul_f64 v[10:11], v[21:22], v[17:18]
	v_mul_f64 v[17:18], v[19:20], v[17:18]
	v_fma_f64 v[10:11], v[19:20], v[15:16], -v[10:11]
	s_delay_alu instid0(VALU_DEP_2) | instskip(NEXT) | instid1(VALU_DEP_2)
	v_fma_f64 v[15:16], v[21:22], v[15:16], v[17:18]
	v_add_f64 v[3:4], v[3:4], v[10:11]
	s_delay_alu instid0(VALU_DEP_2)
	v_add_f64 v[1:2], v[1:2], v[15:16]
	s_and_not1_b32 exec_lo, exec_lo, s3
	s_cbranch_execnz .LBB47_45
; %bb.46:
	s_or_b32 exec_lo, exec_lo, s3
	v_mov_b32_e32 v7, 0
	ds_load_b128 v[7:10], v7 offset:128
	s_waitcnt lgkmcnt(0)
	v_mul_f64 v[11:12], v[1:2], v[9:10]
	v_mul_f64 v[15:16], v[3:4], v[9:10]
	s_delay_alu instid0(VALU_DEP_2) | instskip(NEXT) | instid1(VALU_DEP_2)
	v_fma_f64 v[9:10], v[3:4], v[7:8], -v[11:12]
	v_fma_f64 v[11:12], v[1:2], v[7:8], v[15:16]
	scratch_store_b128 off, v[9:12], off offset:128
.LBB47_47:
	s_or_b32 exec_lo, exec_lo, s2
	s_waitcnt_vscnt null, 0x0
	s_barrier
	buffer_gl0_inv
	scratch_load_b128 v[1:4], v177, off
	s_mov_b32 s2, exec_lo
	s_waitcnt vmcnt(0)
	ds_store_b128 v5, v[1:4]
	s_waitcnt lgkmcnt(0)
	s_barrier
	buffer_gl0_inv
	v_cmpx_gt_u32_e32 9, v138
	s_cbranch_execz .LBB47_51
; %bb.48:
	v_dual_mov_b32 v1, 0 :: v_dual_add_nc_u32 v8, 0x300, v13
	v_dual_mov_b32 v2, 0 :: v_dual_add_nc_u32 v7, -1, v138
	v_or_b32_e32 v9, 8, v14
	s_mov_b32 s3, 0
	s_delay_alu instid0(VALU_DEP_2)
	v_dual_mov_b32 v4, v2 :: v_dual_mov_b32 v3, v1
	.p2align	6
.LBB47_49:                              ; =>This Inner Loop Header: Depth=1
	scratch_load_b128 v[15:18], v9, off offset:-8
	ds_load_b128 v[19:22], v8
	v_add_nc_u32_e32 v7, 1, v7
	v_add_nc_u32_e32 v8, 16, v8
	;; [unrolled: 1-line block ×3, first 2 shown]
	s_delay_alu instid0(VALU_DEP_3) | instskip(SKIP_4) | instid1(VALU_DEP_2)
	v_cmp_lt_u32_e32 vcc_lo, 7, v7
	s_or_b32 s3, vcc_lo, s3
	s_waitcnt vmcnt(0) lgkmcnt(0)
	v_mul_f64 v[10:11], v[21:22], v[17:18]
	v_mul_f64 v[17:18], v[19:20], v[17:18]
	v_fma_f64 v[10:11], v[19:20], v[15:16], -v[10:11]
	s_delay_alu instid0(VALU_DEP_2) | instskip(NEXT) | instid1(VALU_DEP_2)
	v_fma_f64 v[15:16], v[21:22], v[15:16], v[17:18]
	v_add_f64 v[3:4], v[3:4], v[10:11]
	s_delay_alu instid0(VALU_DEP_2)
	v_add_f64 v[1:2], v[1:2], v[15:16]
	s_and_not1_b32 exec_lo, exec_lo, s3
	s_cbranch_execnz .LBB47_49
; %bb.50:
	s_or_b32 exec_lo, exec_lo, s3
	v_mov_b32_e32 v7, 0
	ds_load_b128 v[7:10], v7 offset:144
	s_waitcnt lgkmcnt(0)
	v_mul_f64 v[11:12], v[1:2], v[9:10]
	v_mul_f64 v[15:16], v[3:4], v[9:10]
	s_delay_alu instid0(VALU_DEP_2) | instskip(NEXT) | instid1(VALU_DEP_2)
	v_fma_f64 v[9:10], v[3:4], v[7:8], -v[11:12]
	v_fma_f64 v[11:12], v[1:2], v[7:8], v[15:16]
	scratch_store_b128 off, v[9:12], off offset:144
.LBB47_51:
	s_or_b32 exec_lo, exec_lo, s2
	s_waitcnt_vscnt null, 0x0
	s_barrier
	buffer_gl0_inv
	scratch_load_b128 v[1:4], v176, off
	s_mov_b32 s2, exec_lo
	s_waitcnt vmcnt(0)
	ds_store_b128 v5, v[1:4]
	s_waitcnt lgkmcnt(0)
	s_barrier
	buffer_gl0_inv
	v_cmpx_gt_u32_e32 10, v138
	s_cbranch_execz .LBB47_55
; %bb.52:
	v_dual_mov_b32 v1, 0 :: v_dual_add_nc_u32 v8, 0x300, v13
	v_dual_mov_b32 v2, 0 :: v_dual_add_nc_u32 v7, -1, v138
	v_or_b32_e32 v9, 8, v14
	s_mov_b32 s3, 0
	s_delay_alu instid0(VALU_DEP_2)
	v_dual_mov_b32 v4, v2 :: v_dual_mov_b32 v3, v1
	.p2align	6
.LBB47_53:                              ; =>This Inner Loop Header: Depth=1
	scratch_load_b128 v[15:18], v9, off offset:-8
	ds_load_b128 v[19:22], v8
	v_add_nc_u32_e32 v7, 1, v7
	v_add_nc_u32_e32 v8, 16, v8
	;; [unrolled: 1-line block ×3, first 2 shown]
	s_delay_alu instid0(VALU_DEP_3) | instskip(SKIP_4) | instid1(VALU_DEP_2)
	v_cmp_lt_u32_e32 vcc_lo, 8, v7
	s_or_b32 s3, vcc_lo, s3
	s_waitcnt vmcnt(0) lgkmcnt(0)
	v_mul_f64 v[10:11], v[21:22], v[17:18]
	v_mul_f64 v[17:18], v[19:20], v[17:18]
	v_fma_f64 v[10:11], v[19:20], v[15:16], -v[10:11]
	s_delay_alu instid0(VALU_DEP_2) | instskip(NEXT) | instid1(VALU_DEP_2)
	v_fma_f64 v[15:16], v[21:22], v[15:16], v[17:18]
	v_add_f64 v[3:4], v[3:4], v[10:11]
	s_delay_alu instid0(VALU_DEP_2)
	v_add_f64 v[1:2], v[1:2], v[15:16]
	s_and_not1_b32 exec_lo, exec_lo, s3
	s_cbranch_execnz .LBB47_53
; %bb.54:
	s_or_b32 exec_lo, exec_lo, s3
	v_mov_b32_e32 v7, 0
	ds_load_b128 v[7:10], v7 offset:160
	s_waitcnt lgkmcnt(0)
	v_mul_f64 v[11:12], v[1:2], v[9:10]
	v_mul_f64 v[15:16], v[3:4], v[9:10]
	s_delay_alu instid0(VALU_DEP_2) | instskip(NEXT) | instid1(VALU_DEP_2)
	v_fma_f64 v[9:10], v[3:4], v[7:8], -v[11:12]
	v_fma_f64 v[11:12], v[1:2], v[7:8], v[15:16]
	scratch_store_b128 off, v[9:12], off offset:160
.LBB47_55:
	s_or_b32 exec_lo, exec_lo, s2
	s_waitcnt_vscnt null, 0x0
	s_barrier
	buffer_gl0_inv
	scratch_load_b128 v[1:4], v175, off
	s_mov_b32 s2, exec_lo
	s_waitcnt vmcnt(0)
	ds_store_b128 v5, v[1:4]
	s_waitcnt lgkmcnt(0)
	s_barrier
	buffer_gl0_inv
	v_cmpx_gt_u32_e32 11, v138
	s_cbranch_execz .LBB47_59
; %bb.56:
	v_dual_mov_b32 v1, 0 :: v_dual_add_nc_u32 v8, 0x300, v13
	v_dual_mov_b32 v2, 0 :: v_dual_add_nc_u32 v7, -1, v138
	v_or_b32_e32 v9, 8, v14
	s_mov_b32 s3, 0
	s_delay_alu instid0(VALU_DEP_2)
	v_dual_mov_b32 v4, v2 :: v_dual_mov_b32 v3, v1
	.p2align	6
.LBB47_57:                              ; =>This Inner Loop Header: Depth=1
	scratch_load_b128 v[15:18], v9, off offset:-8
	ds_load_b128 v[19:22], v8
	v_add_nc_u32_e32 v7, 1, v7
	v_add_nc_u32_e32 v8, 16, v8
	;; [unrolled: 1-line block ×3, first 2 shown]
	s_delay_alu instid0(VALU_DEP_3) | instskip(SKIP_4) | instid1(VALU_DEP_2)
	v_cmp_lt_u32_e32 vcc_lo, 9, v7
	s_or_b32 s3, vcc_lo, s3
	s_waitcnt vmcnt(0) lgkmcnt(0)
	v_mul_f64 v[10:11], v[21:22], v[17:18]
	v_mul_f64 v[17:18], v[19:20], v[17:18]
	v_fma_f64 v[10:11], v[19:20], v[15:16], -v[10:11]
	s_delay_alu instid0(VALU_DEP_2) | instskip(NEXT) | instid1(VALU_DEP_2)
	v_fma_f64 v[15:16], v[21:22], v[15:16], v[17:18]
	v_add_f64 v[3:4], v[3:4], v[10:11]
	s_delay_alu instid0(VALU_DEP_2)
	v_add_f64 v[1:2], v[1:2], v[15:16]
	s_and_not1_b32 exec_lo, exec_lo, s3
	s_cbranch_execnz .LBB47_57
; %bb.58:
	s_or_b32 exec_lo, exec_lo, s3
	v_mov_b32_e32 v7, 0
	ds_load_b128 v[7:10], v7 offset:176
	s_waitcnt lgkmcnt(0)
	v_mul_f64 v[11:12], v[1:2], v[9:10]
	v_mul_f64 v[15:16], v[3:4], v[9:10]
	s_delay_alu instid0(VALU_DEP_2) | instskip(NEXT) | instid1(VALU_DEP_2)
	v_fma_f64 v[9:10], v[3:4], v[7:8], -v[11:12]
	v_fma_f64 v[11:12], v[1:2], v[7:8], v[15:16]
	scratch_store_b128 off, v[9:12], off offset:176
.LBB47_59:
	s_or_b32 exec_lo, exec_lo, s2
	s_waitcnt_vscnt null, 0x0
	s_barrier
	buffer_gl0_inv
	scratch_load_b128 v[1:4], v174, off
	s_mov_b32 s2, exec_lo
	s_waitcnt vmcnt(0)
	ds_store_b128 v5, v[1:4]
	s_waitcnt lgkmcnt(0)
	s_barrier
	buffer_gl0_inv
	v_cmpx_gt_u32_e32 12, v138
	s_cbranch_execz .LBB47_63
; %bb.60:
	v_dual_mov_b32 v1, 0 :: v_dual_add_nc_u32 v8, 0x300, v13
	v_dual_mov_b32 v2, 0 :: v_dual_add_nc_u32 v7, -1, v138
	v_or_b32_e32 v9, 8, v14
	s_mov_b32 s3, 0
	s_delay_alu instid0(VALU_DEP_2)
	v_dual_mov_b32 v4, v2 :: v_dual_mov_b32 v3, v1
	.p2align	6
.LBB47_61:                              ; =>This Inner Loop Header: Depth=1
	scratch_load_b128 v[15:18], v9, off offset:-8
	ds_load_b128 v[19:22], v8
	v_add_nc_u32_e32 v7, 1, v7
	v_add_nc_u32_e32 v8, 16, v8
	;; [unrolled: 1-line block ×3, first 2 shown]
	s_delay_alu instid0(VALU_DEP_3) | instskip(SKIP_4) | instid1(VALU_DEP_2)
	v_cmp_lt_u32_e32 vcc_lo, 10, v7
	s_or_b32 s3, vcc_lo, s3
	s_waitcnt vmcnt(0) lgkmcnt(0)
	v_mul_f64 v[10:11], v[21:22], v[17:18]
	v_mul_f64 v[17:18], v[19:20], v[17:18]
	v_fma_f64 v[10:11], v[19:20], v[15:16], -v[10:11]
	s_delay_alu instid0(VALU_DEP_2) | instskip(NEXT) | instid1(VALU_DEP_2)
	v_fma_f64 v[15:16], v[21:22], v[15:16], v[17:18]
	v_add_f64 v[3:4], v[3:4], v[10:11]
	s_delay_alu instid0(VALU_DEP_2)
	v_add_f64 v[1:2], v[1:2], v[15:16]
	s_and_not1_b32 exec_lo, exec_lo, s3
	s_cbranch_execnz .LBB47_61
; %bb.62:
	s_or_b32 exec_lo, exec_lo, s3
	v_mov_b32_e32 v7, 0
	ds_load_b128 v[7:10], v7 offset:192
	s_waitcnt lgkmcnt(0)
	v_mul_f64 v[11:12], v[1:2], v[9:10]
	v_mul_f64 v[15:16], v[3:4], v[9:10]
	s_delay_alu instid0(VALU_DEP_2) | instskip(NEXT) | instid1(VALU_DEP_2)
	v_fma_f64 v[9:10], v[3:4], v[7:8], -v[11:12]
	v_fma_f64 v[11:12], v[1:2], v[7:8], v[15:16]
	scratch_store_b128 off, v[9:12], off offset:192
.LBB47_63:
	s_or_b32 exec_lo, exec_lo, s2
	s_waitcnt_vscnt null, 0x0
	s_barrier
	buffer_gl0_inv
	scratch_load_b128 v[1:4], v173, off
	s_mov_b32 s2, exec_lo
	s_waitcnt vmcnt(0)
	ds_store_b128 v5, v[1:4]
	s_waitcnt lgkmcnt(0)
	s_barrier
	buffer_gl0_inv
	v_cmpx_gt_u32_e32 13, v138
	s_cbranch_execz .LBB47_67
; %bb.64:
	v_dual_mov_b32 v1, 0 :: v_dual_add_nc_u32 v8, 0x300, v13
	v_dual_mov_b32 v2, 0 :: v_dual_add_nc_u32 v7, -1, v138
	v_or_b32_e32 v9, 8, v14
	s_mov_b32 s3, 0
	s_delay_alu instid0(VALU_DEP_2)
	v_dual_mov_b32 v4, v2 :: v_dual_mov_b32 v3, v1
	.p2align	6
.LBB47_65:                              ; =>This Inner Loop Header: Depth=1
	scratch_load_b128 v[15:18], v9, off offset:-8
	ds_load_b128 v[19:22], v8
	v_add_nc_u32_e32 v7, 1, v7
	v_add_nc_u32_e32 v8, 16, v8
	;; [unrolled: 1-line block ×3, first 2 shown]
	s_delay_alu instid0(VALU_DEP_3) | instskip(SKIP_4) | instid1(VALU_DEP_2)
	v_cmp_lt_u32_e32 vcc_lo, 11, v7
	s_or_b32 s3, vcc_lo, s3
	s_waitcnt vmcnt(0) lgkmcnt(0)
	v_mul_f64 v[10:11], v[21:22], v[17:18]
	v_mul_f64 v[17:18], v[19:20], v[17:18]
	v_fma_f64 v[10:11], v[19:20], v[15:16], -v[10:11]
	s_delay_alu instid0(VALU_DEP_2) | instskip(NEXT) | instid1(VALU_DEP_2)
	v_fma_f64 v[15:16], v[21:22], v[15:16], v[17:18]
	v_add_f64 v[3:4], v[3:4], v[10:11]
	s_delay_alu instid0(VALU_DEP_2)
	v_add_f64 v[1:2], v[1:2], v[15:16]
	s_and_not1_b32 exec_lo, exec_lo, s3
	s_cbranch_execnz .LBB47_65
; %bb.66:
	s_or_b32 exec_lo, exec_lo, s3
	v_mov_b32_e32 v7, 0
	ds_load_b128 v[7:10], v7 offset:208
	s_waitcnt lgkmcnt(0)
	v_mul_f64 v[11:12], v[1:2], v[9:10]
	v_mul_f64 v[15:16], v[3:4], v[9:10]
	s_delay_alu instid0(VALU_DEP_2) | instskip(NEXT) | instid1(VALU_DEP_2)
	v_fma_f64 v[9:10], v[3:4], v[7:8], -v[11:12]
	v_fma_f64 v[11:12], v[1:2], v[7:8], v[15:16]
	scratch_store_b128 off, v[9:12], off offset:208
.LBB47_67:
	s_or_b32 exec_lo, exec_lo, s2
	s_waitcnt_vscnt null, 0x0
	s_barrier
	buffer_gl0_inv
	scratch_load_b128 v[1:4], v172, off
	s_mov_b32 s2, exec_lo
	s_waitcnt vmcnt(0)
	ds_store_b128 v5, v[1:4]
	s_waitcnt lgkmcnt(0)
	s_barrier
	buffer_gl0_inv
	v_cmpx_gt_u32_e32 14, v138
	s_cbranch_execz .LBB47_71
; %bb.68:
	v_dual_mov_b32 v1, 0 :: v_dual_add_nc_u32 v8, 0x300, v13
	v_dual_mov_b32 v2, 0 :: v_dual_add_nc_u32 v7, -1, v138
	v_or_b32_e32 v9, 8, v14
	s_mov_b32 s3, 0
	s_delay_alu instid0(VALU_DEP_2)
	v_dual_mov_b32 v4, v2 :: v_dual_mov_b32 v3, v1
	.p2align	6
.LBB47_69:                              ; =>This Inner Loop Header: Depth=1
	scratch_load_b128 v[15:18], v9, off offset:-8
	ds_load_b128 v[19:22], v8
	v_add_nc_u32_e32 v7, 1, v7
	v_add_nc_u32_e32 v8, 16, v8
	;; [unrolled: 1-line block ×3, first 2 shown]
	s_delay_alu instid0(VALU_DEP_3) | instskip(SKIP_4) | instid1(VALU_DEP_2)
	v_cmp_lt_u32_e32 vcc_lo, 12, v7
	s_or_b32 s3, vcc_lo, s3
	s_waitcnt vmcnt(0) lgkmcnt(0)
	v_mul_f64 v[10:11], v[21:22], v[17:18]
	v_mul_f64 v[17:18], v[19:20], v[17:18]
	v_fma_f64 v[10:11], v[19:20], v[15:16], -v[10:11]
	s_delay_alu instid0(VALU_DEP_2) | instskip(NEXT) | instid1(VALU_DEP_2)
	v_fma_f64 v[15:16], v[21:22], v[15:16], v[17:18]
	v_add_f64 v[3:4], v[3:4], v[10:11]
	s_delay_alu instid0(VALU_DEP_2)
	v_add_f64 v[1:2], v[1:2], v[15:16]
	s_and_not1_b32 exec_lo, exec_lo, s3
	s_cbranch_execnz .LBB47_69
; %bb.70:
	s_or_b32 exec_lo, exec_lo, s3
	v_mov_b32_e32 v7, 0
	ds_load_b128 v[7:10], v7 offset:224
	s_waitcnt lgkmcnt(0)
	v_mul_f64 v[11:12], v[1:2], v[9:10]
	v_mul_f64 v[15:16], v[3:4], v[9:10]
	s_delay_alu instid0(VALU_DEP_2) | instskip(NEXT) | instid1(VALU_DEP_2)
	v_fma_f64 v[9:10], v[3:4], v[7:8], -v[11:12]
	v_fma_f64 v[11:12], v[1:2], v[7:8], v[15:16]
	scratch_store_b128 off, v[9:12], off offset:224
.LBB47_71:
	s_or_b32 exec_lo, exec_lo, s2
	s_waitcnt_vscnt null, 0x0
	s_barrier
	buffer_gl0_inv
	scratch_load_b128 v[1:4], v171, off
	s_mov_b32 s2, exec_lo
	s_waitcnt vmcnt(0)
	ds_store_b128 v5, v[1:4]
	s_waitcnt lgkmcnt(0)
	s_barrier
	buffer_gl0_inv
	v_cmpx_gt_u32_e32 15, v138
	s_cbranch_execz .LBB47_75
; %bb.72:
	v_dual_mov_b32 v1, 0 :: v_dual_add_nc_u32 v8, 0x300, v13
	v_dual_mov_b32 v2, 0 :: v_dual_add_nc_u32 v7, -1, v138
	v_or_b32_e32 v9, 8, v14
	s_mov_b32 s3, 0
	s_delay_alu instid0(VALU_DEP_2)
	v_dual_mov_b32 v4, v2 :: v_dual_mov_b32 v3, v1
	.p2align	6
.LBB47_73:                              ; =>This Inner Loop Header: Depth=1
	scratch_load_b128 v[15:18], v9, off offset:-8
	ds_load_b128 v[19:22], v8
	v_add_nc_u32_e32 v7, 1, v7
	v_add_nc_u32_e32 v8, 16, v8
	;; [unrolled: 1-line block ×3, first 2 shown]
	s_delay_alu instid0(VALU_DEP_3) | instskip(SKIP_4) | instid1(VALU_DEP_2)
	v_cmp_lt_u32_e32 vcc_lo, 13, v7
	s_or_b32 s3, vcc_lo, s3
	s_waitcnt vmcnt(0) lgkmcnt(0)
	v_mul_f64 v[10:11], v[21:22], v[17:18]
	v_mul_f64 v[17:18], v[19:20], v[17:18]
	v_fma_f64 v[10:11], v[19:20], v[15:16], -v[10:11]
	s_delay_alu instid0(VALU_DEP_2) | instskip(NEXT) | instid1(VALU_DEP_2)
	v_fma_f64 v[15:16], v[21:22], v[15:16], v[17:18]
	v_add_f64 v[3:4], v[3:4], v[10:11]
	s_delay_alu instid0(VALU_DEP_2)
	v_add_f64 v[1:2], v[1:2], v[15:16]
	s_and_not1_b32 exec_lo, exec_lo, s3
	s_cbranch_execnz .LBB47_73
; %bb.74:
	s_or_b32 exec_lo, exec_lo, s3
	v_mov_b32_e32 v7, 0
	ds_load_b128 v[7:10], v7 offset:240
	s_waitcnt lgkmcnt(0)
	v_mul_f64 v[11:12], v[1:2], v[9:10]
	v_mul_f64 v[15:16], v[3:4], v[9:10]
	s_delay_alu instid0(VALU_DEP_2) | instskip(NEXT) | instid1(VALU_DEP_2)
	v_fma_f64 v[9:10], v[3:4], v[7:8], -v[11:12]
	v_fma_f64 v[11:12], v[1:2], v[7:8], v[15:16]
	scratch_store_b128 off, v[9:12], off offset:240
.LBB47_75:
	s_or_b32 exec_lo, exec_lo, s2
	s_waitcnt_vscnt null, 0x0
	s_barrier
	buffer_gl0_inv
	scratch_load_b128 v[1:4], v170, off
	s_mov_b32 s2, exec_lo
	s_waitcnt vmcnt(0)
	ds_store_b128 v5, v[1:4]
	s_waitcnt lgkmcnt(0)
	s_barrier
	buffer_gl0_inv
	v_cmpx_gt_u32_e32 16, v138
	s_cbranch_execz .LBB47_79
; %bb.76:
	v_dual_mov_b32 v1, 0 :: v_dual_add_nc_u32 v8, 0x300, v13
	v_dual_mov_b32 v2, 0 :: v_dual_add_nc_u32 v7, -1, v138
	v_or_b32_e32 v9, 8, v14
	s_mov_b32 s3, 0
	s_delay_alu instid0(VALU_DEP_2)
	v_dual_mov_b32 v4, v2 :: v_dual_mov_b32 v3, v1
	.p2align	6
.LBB47_77:                              ; =>This Inner Loop Header: Depth=1
	scratch_load_b128 v[15:18], v9, off offset:-8
	ds_load_b128 v[19:22], v8
	v_add_nc_u32_e32 v7, 1, v7
	v_add_nc_u32_e32 v8, 16, v8
	;; [unrolled: 1-line block ×3, first 2 shown]
	s_delay_alu instid0(VALU_DEP_3) | instskip(SKIP_4) | instid1(VALU_DEP_2)
	v_cmp_lt_u32_e32 vcc_lo, 14, v7
	s_or_b32 s3, vcc_lo, s3
	s_waitcnt vmcnt(0) lgkmcnt(0)
	v_mul_f64 v[10:11], v[21:22], v[17:18]
	v_mul_f64 v[17:18], v[19:20], v[17:18]
	v_fma_f64 v[10:11], v[19:20], v[15:16], -v[10:11]
	s_delay_alu instid0(VALU_DEP_2) | instskip(NEXT) | instid1(VALU_DEP_2)
	v_fma_f64 v[15:16], v[21:22], v[15:16], v[17:18]
	v_add_f64 v[3:4], v[3:4], v[10:11]
	s_delay_alu instid0(VALU_DEP_2)
	v_add_f64 v[1:2], v[1:2], v[15:16]
	s_and_not1_b32 exec_lo, exec_lo, s3
	s_cbranch_execnz .LBB47_77
; %bb.78:
	s_or_b32 exec_lo, exec_lo, s3
	v_mov_b32_e32 v7, 0
	ds_load_b128 v[7:10], v7 offset:256
	s_waitcnt lgkmcnt(0)
	v_mul_f64 v[11:12], v[1:2], v[9:10]
	v_mul_f64 v[15:16], v[3:4], v[9:10]
	s_delay_alu instid0(VALU_DEP_2) | instskip(NEXT) | instid1(VALU_DEP_2)
	v_fma_f64 v[9:10], v[3:4], v[7:8], -v[11:12]
	v_fma_f64 v[11:12], v[1:2], v[7:8], v[15:16]
	scratch_store_b128 off, v[9:12], off offset:256
.LBB47_79:
	s_or_b32 exec_lo, exec_lo, s2
	s_waitcnt_vscnt null, 0x0
	s_barrier
	buffer_gl0_inv
	scratch_load_b128 v[1:4], v169, off
	s_mov_b32 s2, exec_lo
	s_waitcnt vmcnt(0)
	ds_store_b128 v5, v[1:4]
	s_waitcnt lgkmcnt(0)
	s_barrier
	buffer_gl0_inv
	v_cmpx_gt_u32_e32 17, v138
	s_cbranch_execz .LBB47_83
; %bb.80:
	v_dual_mov_b32 v1, 0 :: v_dual_add_nc_u32 v8, 0x300, v13
	v_dual_mov_b32 v2, 0 :: v_dual_add_nc_u32 v7, -1, v138
	v_or_b32_e32 v9, 8, v14
	s_mov_b32 s3, 0
	s_delay_alu instid0(VALU_DEP_2)
	v_dual_mov_b32 v4, v2 :: v_dual_mov_b32 v3, v1
	.p2align	6
.LBB47_81:                              ; =>This Inner Loop Header: Depth=1
	scratch_load_b128 v[15:18], v9, off offset:-8
	ds_load_b128 v[19:22], v8
	v_add_nc_u32_e32 v7, 1, v7
	v_add_nc_u32_e32 v8, 16, v8
	;; [unrolled: 1-line block ×3, first 2 shown]
	s_delay_alu instid0(VALU_DEP_3) | instskip(SKIP_4) | instid1(VALU_DEP_2)
	v_cmp_lt_u32_e32 vcc_lo, 15, v7
	s_or_b32 s3, vcc_lo, s3
	s_waitcnt vmcnt(0) lgkmcnt(0)
	v_mul_f64 v[10:11], v[21:22], v[17:18]
	v_mul_f64 v[17:18], v[19:20], v[17:18]
	v_fma_f64 v[10:11], v[19:20], v[15:16], -v[10:11]
	s_delay_alu instid0(VALU_DEP_2) | instskip(NEXT) | instid1(VALU_DEP_2)
	v_fma_f64 v[15:16], v[21:22], v[15:16], v[17:18]
	v_add_f64 v[3:4], v[3:4], v[10:11]
	s_delay_alu instid0(VALU_DEP_2)
	v_add_f64 v[1:2], v[1:2], v[15:16]
	s_and_not1_b32 exec_lo, exec_lo, s3
	s_cbranch_execnz .LBB47_81
; %bb.82:
	s_or_b32 exec_lo, exec_lo, s3
	v_mov_b32_e32 v7, 0
	ds_load_b128 v[7:10], v7 offset:272
	s_waitcnt lgkmcnt(0)
	v_mul_f64 v[11:12], v[1:2], v[9:10]
	v_mul_f64 v[15:16], v[3:4], v[9:10]
	s_delay_alu instid0(VALU_DEP_2) | instskip(NEXT) | instid1(VALU_DEP_2)
	v_fma_f64 v[9:10], v[3:4], v[7:8], -v[11:12]
	v_fma_f64 v[11:12], v[1:2], v[7:8], v[15:16]
	scratch_store_b128 off, v[9:12], off offset:272
.LBB47_83:
	s_or_b32 exec_lo, exec_lo, s2
	s_waitcnt_vscnt null, 0x0
	s_barrier
	buffer_gl0_inv
	scratch_load_b128 v[1:4], v168, off
	s_mov_b32 s2, exec_lo
	s_waitcnt vmcnt(0)
	ds_store_b128 v5, v[1:4]
	s_waitcnt lgkmcnt(0)
	s_barrier
	buffer_gl0_inv
	v_cmpx_gt_u32_e32 18, v138
	s_cbranch_execz .LBB47_87
; %bb.84:
	v_dual_mov_b32 v1, 0 :: v_dual_add_nc_u32 v8, 0x300, v13
	v_dual_mov_b32 v2, 0 :: v_dual_add_nc_u32 v7, -1, v138
	v_or_b32_e32 v9, 8, v14
	s_mov_b32 s3, 0
	s_delay_alu instid0(VALU_DEP_2)
	v_dual_mov_b32 v4, v2 :: v_dual_mov_b32 v3, v1
	.p2align	6
.LBB47_85:                              ; =>This Inner Loop Header: Depth=1
	scratch_load_b128 v[15:18], v9, off offset:-8
	ds_load_b128 v[19:22], v8
	v_add_nc_u32_e32 v7, 1, v7
	v_add_nc_u32_e32 v8, 16, v8
	;; [unrolled: 1-line block ×3, first 2 shown]
	s_delay_alu instid0(VALU_DEP_3) | instskip(SKIP_4) | instid1(VALU_DEP_2)
	v_cmp_lt_u32_e32 vcc_lo, 16, v7
	s_or_b32 s3, vcc_lo, s3
	s_waitcnt vmcnt(0) lgkmcnt(0)
	v_mul_f64 v[10:11], v[21:22], v[17:18]
	v_mul_f64 v[17:18], v[19:20], v[17:18]
	v_fma_f64 v[10:11], v[19:20], v[15:16], -v[10:11]
	s_delay_alu instid0(VALU_DEP_2) | instskip(NEXT) | instid1(VALU_DEP_2)
	v_fma_f64 v[15:16], v[21:22], v[15:16], v[17:18]
	v_add_f64 v[3:4], v[3:4], v[10:11]
	s_delay_alu instid0(VALU_DEP_2)
	v_add_f64 v[1:2], v[1:2], v[15:16]
	s_and_not1_b32 exec_lo, exec_lo, s3
	s_cbranch_execnz .LBB47_85
; %bb.86:
	s_or_b32 exec_lo, exec_lo, s3
	v_mov_b32_e32 v7, 0
	ds_load_b128 v[7:10], v7 offset:288
	s_waitcnt lgkmcnt(0)
	v_mul_f64 v[11:12], v[1:2], v[9:10]
	v_mul_f64 v[15:16], v[3:4], v[9:10]
	s_delay_alu instid0(VALU_DEP_2) | instskip(NEXT) | instid1(VALU_DEP_2)
	v_fma_f64 v[9:10], v[3:4], v[7:8], -v[11:12]
	v_fma_f64 v[11:12], v[1:2], v[7:8], v[15:16]
	scratch_store_b128 off, v[9:12], off offset:288
.LBB47_87:
	s_or_b32 exec_lo, exec_lo, s2
	s_waitcnt_vscnt null, 0x0
	s_barrier
	buffer_gl0_inv
	scratch_load_b128 v[1:4], v167, off
	s_mov_b32 s2, exec_lo
	s_waitcnt vmcnt(0)
	ds_store_b128 v5, v[1:4]
	s_waitcnt lgkmcnt(0)
	s_barrier
	buffer_gl0_inv
	v_cmpx_gt_u32_e32 19, v138
	s_cbranch_execz .LBB47_91
; %bb.88:
	v_dual_mov_b32 v1, 0 :: v_dual_add_nc_u32 v8, 0x300, v13
	v_dual_mov_b32 v2, 0 :: v_dual_add_nc_u32 v7, -1, v138
	v_or_b32_e32 v9, 8, v14
	s_mov_b32 s3, 0
	s_delay_alu instid0(VALU_DEP_2)
	v_dual_mov_b32 v4, v2 :: v_dual_mov_b32 v3, v1
	.p2align	6
.LBB47_89:                              ; =>This Inner Loop Header: Depth=1
	scratch_load_b128 v[15:18], v9, off offset:-8
	ds_load_b128 v[19:22], v8
	v_add_nc_u32_e32 v7, 1, v7
	v_add_nc_u32_e32 v8, 16, v8
	;; [unrolled: 1-line block ×3, first 2 shown]
	s_delay_alu instid0(VALU_DEP_3) | instskip(SKIP_4) | instid1(VALU_DEP_2)
	v_cmp_lt_u32_e32 vcc_lo, 17, v7
	s_or_b32 s3, vcc_lo, s3
	s_waitcnt vmcnt(0) lgkmcnt(0)
	v_mul_f64 v[10:11], v[21:22], v[17:18]
	v_mul_f64 v[17:18], v[19:20], v[17:18]
	v_fma_f64 v[10:11], v[19:20], v[15:16], -v[10:11]
	s_delay_alu instid0(VALU_DEP_2) | instskip(NEXT) | instid1(VALU_DEP_2)
	v_fma_f64 v[15:16], v[21:22], v[15:16], v[17:18]
	v_add_f64 v[3:4], v[3:4], v[10:11]
	s_delay_alu instid0(VALU_DEP_2)
	v_add_f64 v[1:2], v[1:2], v[15:16]
	s_and_not1_b32 exec_lo, exec_lo, s3
	s_cbranch_execnz .LBB47_89
; %bb.90:
	s_or_b32 exec_lo, exec_lo, s3
	v_mov_b32_e32 v7, 0
	ds_load_b128 v[7:10], v7 offset:304
	s_waitcnt lgkmcnt(0)
	v_mul_f64 v[11:12], v[1:2], v[9:10]
	v_mul_f64 v[15:16], v[3:4], v[9:10]
	s_delay_alu instid0(VALU_DEP_2) | instskip(NEXT) | instid1(VALU_DEP_2)
	v_fma_f64 v[9:10], v[3:4], v[7:8], -v[11:12]
	v_fma_f64 v[11:12], v[1:2], v[7:8], v[15:16]
	scratch_store_b128 off, v[9:12], off offset:304
.LBB47_91:
	s_or_b32 exec_lo, exec_lo, s2
	s_waitcnt_vscnt null, 0x0
	s_barrier
	buffer_gl0_inv
	scratch_load_b128 v[1:4], v166, off
	s_mov_b32 s2, exec_lo
	s_waitcnt vmcnt(0)
	ds_store_b128 v5, v[1:4]
	s_waitcnt lgkmcnt(0)
	s_barrier
	buffer_gl0_inv
	v_cmpx_gt_u32_e32 20, v138
	s_cbranch_execz .LBB47_95
; %bb.92:
	v_dual_mov_b32 v1, 0 :: v_dual_add_nc_u32 v8, 0x300, v13
	v_dual_mov_b32 v2, 0 :: v_dual_add_nc_u32 v7, -1, v138
	v_or_b32_e32 v9, 8, v14
	s_mov_b32 s3, 0
	s_delay_alu instid0(VALU_DEP_2)
	v_dual_mov_b32 v4, v2 :: v_dual_mov_b32 v3, v1
	.p2align	6
.LBB47_93:                              ; =>This Inner Loop Header: Depth=1
	scratch_load_b128 v[15:18], v9, off offset:-8
	ds_load_b128 v[19:22], v8
	v_add_nc_u32_e32 v7, 1, v7
	v_add_nc_u32_e32 v8, 16, v8
	;; [unrolled: 1-line block ×3, first 2 shown]
	s_delay_alu instid0(VALU_DEP_3) | instskip(SKIP_4) | instid1(VALU_DEP_2)
	v_cmp_lt_u32_e32 vcc_lo, 18, v7
	s_or_b32 s3, vcc_lo, s3
	s_waitcnt vmcnt(0) lgkmcnt(0)
	v_mul_f64 v[10:11], v[21:22], v[17:18]
	v_mul_f64 v[17:18], v[19:20], v[17:18]
	v_fma_f64 v[10:11], v[19:20], v[15:16], -v[10:11]
	s_delay_alu instid0(VALU_DEP_2) | instskip(NEXT) | instid1(VALU_DEP_2)
	v_fma_f64 v[15:16], v[21:22], v[15:16], v[17:18]
	v_add_f64 v[3:4], v[3:4], v[10:11]
	s_delay_alu instid0(VALU_DEP_2)
	v_add_f64 v[1:2], v[1:2], v[15:16]
	s_and_not1_b32 exec_lo, exec_lo, s3
	s_cbranch_execnz .LBB47_93
; %bb.94:
	s_or_b32 exec_lo, exec_lo, s3
	v_mov_b32_e32 v7, 0
	ds_load_b128 v[7:10], v7 offset:320
	s_waitcnt lgkmcnt(0)
	v_mul_f64 v[11:12], v[1:2], v[9:10]
	v_mul_f64 v[15:16], v[3:4], v[9:10]
	s_delay_alu instid0(VALU_DEP_2) | instskip(NEXT) | instid1(VALU_DEP_2)
	v_fma_f64 v[9:10], v[3:4], v[7:8], -v[11:12]
	v_fma_f64 v[11:12], v[1:2], v[7:8], v[15:16]
	scratch_store_b128 off, v[9:12], off offset:320
.LBB47_95:
	s_or_b32 exec_lo, exec_lo, s2
	s_waitcnt_vscnt null, 0x0
	s_barrier
	buffer_gl0_inv
	scratch_load_b128 v[1:4], v165, off
	s_mov_b32 s2, exec_lo
	s_waitcnt vmcnt(0)
	ds_store_b128 v5, v[1:4]
	s_waitcnt lgkmcnt(0)
	s_barrier
	buffer_gl0_inv
	v_cmpx_gt_u32_e32 21, v138
	s_cbranch_execz .LBB47_99
; %bb.96:
	v_dual_mov_b32 v1, 0 :: v_dual_add_nc_u32 v8, 0x300, v13
	v_dual_mov_b32 v2, 0 :: v_dual_add_nc_u32 v7, -1, v138
	v_or_b32_e32 v9, 8, v14
	s_mov_b32 s3, 0
	s_delay_alu instid0(VALU_DEP_2)
	v_dual_mov_b32 v4, v2 :: v_dual_mov_b32 v3, v1
	.p2align	6
.LBB47_97:                              ; =>This Inner Loop Header: Depth=1
	scratch_load_b128 v[15:18], v9, off offset:-8
	ds_load_b128 v[19:22], v8
	v_add_nc_u32_e32 v7, 1, v7
	v_add_nc_u32_e32 v8, 16, v8
	v_add_nc_u32_e32 v9, 16, v9
	s_delay_alu instid0(VALU_DEP_3) | instskip(SKIP_4) | instid1(VALU_DEP_2)
	v_cmp_lt_u32_e32 vcc_lo, 19, v7
	s_or_b32 s3, vcc_lo, s3
	s_waitcnt vmcnt(0) lgkmcnt(0)
	v_mul_f64 v[10:11], v[21:22], v[17:18]
	v_mul_f64 v[17:18], v[19:20], v[17:18]
	v_fma_f64 v[10:11], v[19:20], v[15:16], -v[10:11]
	s_delay_alu instid0(VALU_DEP_2) | instskip(NEXT) | instid1(VALU_DEP_2)
	v_fma_f64 v[15:16], v[21:22], v[15:16], v[17:18]
	v_add_f64 v[3:4], v[3:4], v[10:11]
	s_delay_alu instid0(VALU_DEP_2)
	v_add_f64 v[1:2], v[1:2], v[15:16]
	s_and_not1_b32 exec_lo, exec_lo, s3
	s_cbranch_execnz .LBB47_97
; %bb.98:
	s_or_b32 exec_lo, exec_lo, s3
	v_mov_b32_e32 v7, 0
	ds_load_b128 v[7:10], v7 offset:336
	s_waitcnt lgkmcnt(0)
	v_mul_f64 v[11:12], v[1:2], v[9:10]
	v_mul_f64 v[15:16], v[3:4], v[9:10]
	s_delay_alu instid0(VALU_DEP_2) | instskip(NEXT) | instid1(VALU_DEP_2)
	v_fma_f64 v[9:10], v[3:4], v[7:8], -v[11:12]
	v_fma_f64 v[11:12], v[1:2], v[7:8], v[15:16]
	scratch_store_b128 off, v[9:12], off offset:336
.LBB47_99:
	s_or_b32 exec_lo, exec_lo, s2
	s_waitcnt_vscnt null, 0x0
	s_barrier
	buffer_gl0_inv
	scratch_load_b128 v[1:4], v163, off
	s_mov_b32 s2, exec_lo
	s_waitcnt vmcnt(0)
	ds_store_b128 v5, v[1:4]
	s_waitcnt lgkmcnt(0)
	s_barrier
	buffer_gl0_inv
	v_cmpx_gt_u32_e32 22, v138
	s_cbranch_execz .LBB47_103
; %bb.100:
	v_dual_mov_b32 v1, 0 :: v_dual_add_nc_u32 v8, 0x300, v13
	v_dual_mov_b32 v2, 0 :: v_dual_add_nc_u32 v7, -1, v138
	v_or_b32_e32 v9, 8, v14
	s_mov_b32 s3, 0
	s_delay_alu instid0(VALU_DEP_2)
	v_dual_mov_b32 v4, v2 :: v_dual_mov_b32 v3, v1
	.p2align	6
.LBB47_101:                             ; =>This Inner Loop Header: Depth=1
	scratch_load_b128 v[15:18], v9, off offset:-8
	ds_load_b128 v[19:22], v8
	v_add_nc_u32_e32 v7, 1, v7
	v_add_nc_u32_e32 v8, 16, v8
	v_add_nc_u32_e32 v9, 16, v9
	s_delay_alu instid0(VALU_DEP_3) | instskip(SKIP_4) | instid1(VALU_DEP_2)
	v_cmp_lt_u32_e32 vcc_lo, 20, v7
	s_or_b32 s3, vcc_lo, s3
	s_waitcnt vmcnt(0) lgkmcnt(0)
	v_mul_f64 v[10:11], v[21:22], v[17:18]
	v_mul_f64 v[17:18], v[19:20], v[17:18]
	v_fma_f64 v[10:11], v[19:20], v[15:16], -v[10:11]
	s_delay_alu instid0(VALU_DEP_2) | instskip(NEXT) | instid1(VALU_DEP_2)
	v_fma_f64 v[15:16], v[21:22], v[15:16], v[17:18]
	v_add_f64 v[3:4], v[3:4], v[10:11]
	s_delay_alu instid0(VALU_DEP_2)
	v_add_f64 v[1:2], v[1:2], v[15:16]
	s_and_not1_b32 exec_lo, exec_lo, s3
	s_cbranch_execnz .LBB47_101
; %bb.102:
	s_or_b32 exec_lo, exec_lo, s3
	v_mov_b32_e32 v7, 0
	ds_load_b128 v[7:10], v7 offset:352
	s_waitcnt lgkmcnt(0)
	v_mul_f64 v[11:12], v[1:2], v[9:10]
	v_mul_f64 v[15:16], v[3:4], v[9:10]
	s_delay_alu instid0(VALU_DEP_2) | instskip(NEXT) | instid1(VALU_DEP_2)
	v_fma_f64 v[9:10], v[3:4], v[7:8], -v[11:12]
	v_fma_f64 v[11:12], v[1:2], v[7:8], v[15:16]
	scratch_store_b128 off, v[9:12], off offset:352
.LBB47_103:
	s_or_b32 exec_lo, exec_lo, s2
	s_waitcnt_vscnt null, 0x0
	s_barrier
	buffer_gl0_inv
	scratch_load_b128 v[1:4], v164, off
	s_mov_b32 s2, exec_lo
	s_waitcnt vmcnt(0)
	ds_store_b128 v5, v[1:4]
	s_waitcnt lgkmcnt(0)
	s_barrier
	buffer_gl0_inv
	v_cmpx_gt_u32_e32 23, v138
	s_cbranch_execz .LBB47_107
; %bb.104:
	v_dual_mov_b32 v1, 0 :: v_dual_add_nc_u32 v8, 0x300, v13
	v_dual_mov_b32 v2, 0 :: v_dual_add_nc_u32 v7, -1, v138
	v_or_b32_e32 v9, 8, v14
	s_mov_b32 s3, 0
	s_delay_alu instid0(VALU_DEP_2)
	v_dual_mov_b32 v4, v2 :: v_dual_mov_b32 v3, v1
	.p2align	6
.LBB47_105:                             ; =>This Inner Loop Header: Depth=1
	scratch_load_b128 v[15:18], v9, off offset:-8
	ds_load_b128 v[19:22], v8
	v_add_nc_u32_e32 v7, 1, v7
	v_add_nc_u32_e32 v8, 16, v8
	;; [unrolled: 1-line block ×3, first 2 shown]
	s_delay_alu instid0(VALU_DEP_3) | instskip(SKIP_4) | instid1(VALU_DEP_2)
	v_cmp_lt_u32_e32 vcc_lo, 21, v7
	s_or_b32 s3, vcc_lo, s3
	s_waitcnt vmcnt(0) lgkmcnt(0)
	v_mul_f64 v[10:11], v[21:22], v[17:18]
	v_mul_f64 v[17:18], v[19:20], v[17:18]
	v_fma_f64 v[10:11], v[19:20], v[15:16], -v[10:11]
	s_delay_alu instid0(VALU_DEP_2) | instskip(NEXT) | instid1(VALU_DEP_2)
	v_fma_f64 v[15:16], v[21:22], v[15:16], v[17:18]
	v_add_f64 v[3:4], v[3:4], v[10:11]
	s_delay_alu instid0(VALU_DEP_2)
	v_add_f64 v[1:2], v[1:2], v[15:16]
	s_and_not1_b32 exec_lo, exec_lo, s3
	s_cbranch_execnz .LBB47_105
; %bb.106:
	s_or_b32 exec_lo, exec_lo, s3
	v_mov_b32_e32 v7, 0
	ds_load_b128 v[7:10], v7 offset:368
	s_waitcnt lgkmcnt(0)
	v_mul_f64 v[11:12], v[1:2], v[9:10]
	v_mul_f64 v[15:16], v[3:4], v[9:10]
	s_delay_alu instid0(VALU_DEP_2) | instskip(NEXT) | instid1(VALU_DEP_2)
	v_fma_f64 v[9:10], v[3:4], v[7:8], -v[11:12]
	v_fma_f64 v[11:12], v[1:2], v[7:8], v[15:16]
	scratch_store_b128 off, v[9:12], off offset:368
.LBB47_107:
	s_or_b32 exec_lo, exec_lo, s2
	s_waitcnt_vscnt null, 0x0
	s_barrier
	buffer_gl0_inv
	scratch_load_b128 v[1:4], v162, off
	s_mov_b32 s2, exec_lo
	s_waitcnt vmcnt(0)
	ds_store_b128 v5, v[1:4]
	s_waitcnt lgkmcnt(0)
	s_barrier
	buffer_gl0_inv
	v_cmpx_gt_u32_e32 24, v138
	s_cbranch_execz .LBB47_111
; %bb.108:
	v_dual_mov_b32 v1, 0 :: v_dual_add_nc_u32 v8, 0x300, v13
	v_dual_mov_b32 v2, 0 :: v_dual_add_nc_u32 v7, -1, v138
	v_or_b32_e32 v9, 8, v14
	s_mov_b32 s3, 0
	s_delay_alu instid0(VALU_DEP_2)
	v_dual_mov_b32 v4, v2 :: v_dual_mov_b32 v3, v1
	.p2align	6
.LBB47_109:                             ; =>This Inner Loop Header: Depth=1
	scratch_load_b128 v[15:18], v9, off offset:-8
	ds_load_b128 v[19:22], v8
	v_add_nc_u32_e32 v7, 1, v7
	v_add_nc_u32_e32 v8, 16, v8
	;; [unrolled: 1-line block ×3, first 2 shown]
	s_delay_alu instid0(VALU_DEP_3) | instskip(SKIP_4) | instid1(VALU_DEP_2)
	v_cmp_lt_u32_e32 vcc_lo, 22, v7
	s_or_b32 s3, vcc_lo, s3
	s_waitcnt vmcnt(0) lgkmcnt(0)
	v_mul_f64 v[10:11], v[21:22], v[17:18]
	v_mul_f64 v[17:18], v[19:20], v[17:18]
	v_fma_f64 v[10:11], v[19:20], v[15:16], -v[10:11]
	s_delay_alu instid0(VALU_DEP_2) | instskip(NEXT) | instid1(VALU_DEP_2)
	v_fma_f64 v[15:16], v[21:22], v[15:16], v[17:18]
	v_add_f64 v[3:4], v[3:4], v[10:11]
	s_delay_alu instid0(VALU_DEP_2)
	v_add_f64 v[1:2], v[1:2], v[15:16]
	s_and_not1_b32 exec_lo, exec_lo, s3
	s_cbranch_execnz .LBB47_109
; %bb.110:
	s_or_b32 exec_lo, exec_lo, s3
	v_mov_b32_e32 v7, 0
	ds_load_b128 v[7:10], v7 offset:384
	s_waitcnt lgkmcnt(0)
	v_mul_f64 v[11:12], v[1:2], v[9:10]
	v_mul_f64 v[15:16], v[3:4], v[9:10]
	s_delay_alu instid0(VALU_DEP_2) | instskip(NEXT) | instid1(VALU_DEP_2)
	v_fma_f64 v[9:10], v[3:4], v[7:8], -v[11:12]
	v_fma_f64 v[11:12], v[1:2], v[7:8], v[15:16]
	scratch_store_b128 off, v[9:12], off offset:384
.LBB47_111:
	s_or_b32 exec_lo, exec_lo, s2
	s_waitcnt_vscnt null, 0x0
	s_barrier
	buffer_gl0_inv
	scratch_load_b128 v[1:4], v161, off
	s_mov_b32 s2, exec_lo
	s_waitcnt vmcnt(0)
	ds_store_b128 v5, v[1:4]
	s_waitcnt lgkmcnt(0)
	s_barrier
	buffer_gl0_inv
	v_cmpx_gt_u32_e32 25, v138
	s_cbranch_execz .LBB47_115
; %bb.112:
	v_dual_mov_b32 v1, 0 :: v_dual_add_nc_u32 v8, 0x300, v13
	v_dual_mov_b32 v2, 0 :: v_dual_add_nc_u32 v7, -1, v138
	v_or_b32_e32 v9, 8, v14
	s_mov_b32 s3, 0
	s_delay_alu instid0(VALU_DEP_2)
	v_dual_mov_b32 v4, v2 :: v_dual_mov_b32 v3, v1
	.p2align	6
.LBB47_113:                             ; =>This Inner Loop Header: Depth=1
	scratch_load_b128 v[15:18], v9, off offset:-8
	ds_load_b128 v[19:22], v8
	v_add_nc_u32_e32 v7, 1, v7
	v_add_nc_u32_e32 v8, 16, v8
	;; [unrolled: 1-line block ×3, first 2 shown]
	s_delay_alu instid0(VALU_DEP_3) | instskip(SKIP_4) | instid1(VALU_DEP_2)
	v_cmp_lt_u32_e32 vcc_lo, 23, v7
	s_or_b32 s3, vcc_lo, s3
	s_waitcnt vmcnt(0) lgkmcnt(0)
	v_mul_f64 v[10:11], v[21:22], v[17:18]
	v_mul_f64 v[17:18], v[19:20], v[17:18]
	v_fma_f64 v[10:11], v[19:20], v[15:16], -v[10:11]
	s_delay_alu instid0(VALU_DEP_2) | instskip(NEXT) | instid1(VALU_DEP_2)
	v_fma_f64 v[15:16], v[21:22], v[15:16], v[17:18]
	v_add_f64 v[3:4], v[3:4], v[10:11]
	s_delay_alu instid0(VALU_DEP_2)
	v_add_f64 v[1:2], v[1:2], v[15:16]
	s_and_not1_b32 exec_lo, exec_lo, s3
	s_cbranch_execnz .LBB47_113
; %bb.114:
	s_or_b32 exec_lo, exec_lo, s3
	v_mov_b32_e32 v7, 0
	ds_load_b128 v[7:10], v7 offset:400
	s_waitcnt lgkmcnt(0)
	v_mul_f64 v[11:12], v[1:2], v[9:10]
	v_mul_f64 v[15:16], v[3:4], v[9:10]
	s_delay_alu instid0(VALU_DEP_2) | instskip(NEXT) | instid1(VALU_DEP_2)
	v_fma_f64 v[9:10], v[3:4], v[7:8], -v[11:12]
	v_fma_f64 v[11:12], v[1:2], v[7:8], v[15:16]
	scratch_store_b128 off, v[9:12], off offset:400
.LBB47_115:
	s_or_b32 exec_lo, exec_lo, s2
	s_waitcnt_vscnt null, 0x0
	s_barrier
	buffer_gl0_inv
	scratch_load_b128 v[1:4], v159, off
	s_mov_b32 s2, exec_lo
	s_waitcnt vmcnt(0)
	ds_store_b128 v5, v[1:4]
	s_waitcnt lgkmcnt(0)
	s_barrier
	buffer_gl0_inv
	v_cmpx_gt_u32_e32 26, v138
	s_cbranch_execz .LBB47_119
; %bb.116:
	v_dual_mov_b32 v1, 0 :: v_dual_add_nc_u32 v8, 0x300, v13
	v_dual_mov_b32 v2, 0 :: v_dual_add_nc_u32 v7, -1, v138
	v_or_b32_e32 v9, 8, v14
	s_mov_b32 s3, 0
	s_delay_alu instid0(VALU_DEP_2)
	v_dual_mov_b32 v4, v2 :: v_dual_mov_b32 v3, v1
	.p2align	6
.LBB47_117:                             ; =>This Inner Loop Header: Depth=1
	scratch_load_b128 v[15:18], v9, off offset:-8
	ds_load_b128 v[19:22], v8
	v_add_nc_u32_e32 v7, 1, v7
	v_add_nc_u32_e32 v8, 16, v8
	;; [unrolled: 1-line block ×3, first 2 shown]
	s_delay_alu instid0(VALU_DEP_3) | instskip(SKIP_4) | instid1(VALU_DEP_2)
	v_cmp_lt_u32_e32 vcc_lo, 24, v7
	s_or_b32 s3, vcc_lo, s3
	s_waitcnt vmcnt(0) lgkmcnt(0)
	v_mul_f64 v[10:11], v[21:22], v[17:18]
	v_mul_f64 v[17:18], v[19:20], v[17:18]
	v_fma_f64 v[10:11], v[19:20], v[15:16], -v[10:11]
	s_delay_alu instid0(VALU_DEP_2) | instskip(NEXT) | instid1(VALU_DEP_2)
	v_fma_f64 v[15:16], v[21:22], v[15:16], v[17:18]
	v_add_f64 v[3:4], v[3:4], v[10:11]
	s_delay_alu instid0(VALU_DEP_2)
	v_add_f64 v[1:2], v[1:2], v[15:16]
	s_and_not1_b32 exec_lo, exec_lo, s3
	s_cbranch_execnz .LBB47_117
; %bb.118:
	s_or_b32 exec_lo, exec_lo, s3
	v_mov_b32_e32 v7, 0
	ds_load_b128 v[7:10], v7 offset:416
	s_waitcnt lgkmcnt(0)
	v_mul_f64 v[11:12], v[1:2], v[9:10]
	v_mul_f64 v[15:16], v[3:4], v[9:10]
	s_delay_alu instid0(VALU_DEP_2) | instskip(NEXT) | instid1(VALU_DEP_2)
	v_fma_f64 v[9:10], v[3:4], v[7:8], -v[11:12]
	v_fma_f64 v[11:12], v[1:2], v[7:8], v[15:16]
	scratch_store_b128 off, v[9:12], off offset:416
.LBB47_119:
	s_or_b32 exec_lo, exec_lo, s2
	s_waitcnt_vscnt null, 0x0
	s_barrier
	buffer_gl0_inv
	scratch_load_b128 v[1:4], v160, off
	s_mov_b32 s2, exec_lo
	s_waitcnt vmcnt(0)
	ds_store_b128 v5, v[1:4]
	s_waitcnt lgkmcnt(0)
	s_barrier
	buffer_gl0_inv
	v_cmpx_gt_u32_e32 27, v138
	s_cbranch_execz .LBB47_123
; %bb.120:
	v_dual_mov_b32 v1, 0 :: v_dual_add_nc_u32 v8, 0x300, v13
	v_dual_mov_b32 v2, 0 :: v_dual_add_nc_u32 v7, -1, v138
	v_or_b32_e32 v9, 8, v14
	s_mov_b32 s3, 0
	s_delay_alu instid0(VALU_DEP_2)
	v_dual_mov_b32 v4, v2 :: v_dual_mov_b32 v3, v1
	.p2align	6
.LBB47_121:                             ; =>This Inner Loop Header: Depth=1
	scratch_load_b128 v[15:18], v9, off offset:-8
	ds_load_b128 v[19:22], v8
	v_add_nc_u32_e32 v7, 1, v7
	v_add_nc_u32_e32 v8, 16, v8
	;; [unrolled: 1-line block ×3, first 2 shown]
	s_delay_alu instid0(VALU_DEP_3) | instskip(SKIP_4) | instid1(VALU_DEP_2)
	v_cmp_lt_u32_e32 vcc_lo, 25, v7
	s_or_b32 s3, vcc_lo, s3
	s_waitcnt vmcnt(0) lgkmcnt(0)
	v_mul_f64 v[10:11], v[21:22], v[17:18]
	v_mul_f64 v[17:18], v[19:20], v[17:18]
	v_fma_f64 v[10:11], v[19:20], v[15:16], -v[10:11]
	s_delay_alu instid0(VALU_DEP_2) | instskip(NEXT) | instid1(VALU_DEP_2)
	v_fma_f64 v[15:16], v[21:22], v[15:16], v[17:18]
	v_add_f64 v[3:4], v[3:4], v[10:11]
	s_delay_alu instid0(VALU_DEP_2)
	v_add_f64 v[1:2], v[1:2], v[15:16]
	s_and_not1_b32 exec_lo, exec_lo, s3
	s_cbranch_execnz .LBB47_121
; %bb.122:
	s_or_b32 exec_lo, exec_lo, s3
	v_mov_b32_e32 v7, 0
	ds_load_b128 v[7:10], v7 offset:432
	s_waitcnt lgkmcnt(0)
	v_mul_f64 v[11:12], v[1:2], v[9:10]
	v_mul_f64 v[15:16], v[3:4], v[9:10]
	s_delay_alu instid0(VALU_DEP_2) | instskip(NEXT) | instid1(VALU_DEP_2)
	v_fma_f64 v[9:10], v[3:4], v[7:8], -v[11:12]
	v_fma_f64 v[11:12], v[1:2], v[7:8], v[15:16]
	scratch_store_b128 off, v[9:12], off offset:432
.LBB47_123:
	s_or_b32 exec_lo, exec_lo, s2
	s_waitcnt_vscnt null, 0x0
	s_barrier
	buffer_gl0_inv
	scratch_load_b128 v[1:4], v158, off
	s_mov_b32 s2, exec_lo
	s_waitcnt vmcnt(0)
	ds_store_b128 v5, v[1:4]
	s_waitcnt lgkmcnt(0)
	s_barrier
	buffer_gl0_inv
	v_cmpx_gt_u32_e32 28, v138
	s_cbranch_execz .LBB47_127
; %bb.124:
	v_dual_mov_b32 v1, 0 :: v_dual_add_nc_u32 v8, 0x300, v13
	v_dual_mov_b32 v2, 0 :: v_dual_add_nc_u32 v7, -1, v138
	v_or_b32_e32 v9, 8, v14
	s_mov_b32 s3, 0
	s_delay_alu instid0(VALU_DEP_2)
	v_dual_mov_b32 v4, v2 :: v_dual_mov_b32 v3, v1
	.p2align	6
.LBB47_125:                             ; =>This Inner Loop Header: Depth=1
	scratch_load_b128 v[15:18], v9, off offset:-8
	ds_load_b128 v[19:22], v8
	v_add_nc_u32_e32 v7, 1, v7
	v_add_nc_u32_e32 v8, 16, v8
	;; [unrolled: 1-line block ×3, first 2 shown]
	s_delay_alu instid0(VALU_DEP_3) | instskip(SKIP_4) | instid1(VALU_DEP_2)
	v_cmp_lt_u32_e32 vcc_lo, 26, v7
	s_or_b32 s3, vcc_lo, s3
	s_waitcnt vmcnt(0) lgkmcnt(0)
	v_mul_f64 v[10:11], v[21:22], v[17:18]
	v_mul_f64 v[17:18], v[19:20], v[17:18]
	v_fma_f64 v[10:11], v[19:20], v[15:16], -v[10:11]
	s_delay_alu instid0(VALU_DEP_2) | instskip(NEXT) | instid1(VALU_DEP_2)
	v_fma_f64 v[15:16], v[21:22], v[15:16], v[17:18]
	v_add_f64 v[3:4], v[3:4], v[10:11]
	s_delay_alu instid0(VALU_DEP_2)
	v_add_f64 v[1:2], v[1:2], v[15:16]
	s_and_not1_b32 exec_lo, exec_lo, s3
	s_cbranch_execnz .LBB47_125
; %bb.126:
	s_or_b32 exec_lo, exec_lo, s3
	v_mov_b32_e32 v7, 0
	ds_load_b128 v[7:10], v7 offset:448
	s_waitcnt lgkmcnt(0)
	v_mul_f64 v[11:12], v[1:2], v[9:10]
	v_mul_f64 v[15:16], v[3:4], v[9:10]
	s_delay_alu instid0(VALU_DEP_2) | instskip(NEXT) | instid1(VALU_DEP_2)
	v_fma_f64 v[9:10], v[3:4], v[7:8], -v[11:12]
	v_fma_f64 v[11:12], v[1:2], v[7:8], v[15:16]
	scratch_store_b128 off, v[9:12], off offset:448
.LBB47_127:
	s_or_b32 exec_lo, exec_lo, s2
	s_waitcnt_vscnt null, 0x0
	s_barrier
	buffer_gl0_inv
	scratch_load_b128 v[1:4], v157, off
	s_mov_b32 s2, exec_lo
	s_waitcnt vmcnt(0)
	ds_store_b128 v5, v[1:4]
	s_waitcnt lgkmcnt(0)
	s_barrier
	buffer_gl0_inv
	v_cmpx_gt_u32_e32 29, v138
	s_cbranch_execz .LBB47_131
; %bb.128:
	v_dual_mov_b32 v1, 0 :: v_dual_add_nc_u32 v8, 0x300, v13
	v_dual_mov_b32 v2, 0 :: v_dual_add_nc_u32 v7, -1, v138
	v_or_b32_e32 v9, 8, v14
	s_mov_b32 s3, 0
	s_delay_alu instid0(VALU_DEP_2)
	v_dual_mov_b32 v4, v2 :: v_dual_mov_b32 v3, v1
	.p2align	6
.LBB47_129:                             ; =>This Inner Loop Header: Depth=1
	scratch_load_b128 v[15:18], v9, off offset:-8
	ds_load_b128 v[19:22], v8
	v_add_nc_u32_e32 v7, 1, v7
	v_add_nc_u32_e32 v8, 16, v8
	v_add_nc_u32_e32 v9, 16, v9
	s_delay_alu instid0(VALU_DEP_3) | instskip(SKIP_4) | instid1(VALU_DEP_2)
	v_cmp_lt_u32_e32 vcc_lo, 27, v7
	s_or_b32 s3, vcc_lo, s3
	s_waitcnt vmcnt(0) lgkmcnt(0)
	v_mul_f64 v[10:11], v[21:22], v[17:18]
	v_mul_f64 v[17:18], v[19:20], v[17:18]
	v_fma_f64 v[10:11], v[19:20], v[15:16], -v[10:11]
	s_delay_alu instid0(VALU_DEP_2) | instskip(NEXT) | instid1(VALU_DEP_2)
	v_fma_f64 v[15:16], v[21:22], v[15:16], v[17:18]
	v_add_f64 v[3:4], v[3:4], v[10:11]
	s_delay_alu instid0(VALU_DEP_2)
	v_add_f64 v[1:2], v[1:2], v[15:16]
	s_and_not1_b32 exec_lo, exec_lo, s3
	s_cbranch_execnz .LBB47_129
; %bb.130:
	s_or_b32 exec_lo, exec_lo, s3
	v_mov_b32_e32 v7, 0
	ds_load_b128 v[7:10], v7 offset:464
	s_waitcnt lgkmcnt(0)
	v_mul_f64 v[11:12], v[1:2], v[9:10]
	v_mul_f64 v[15:16], v[3:4], v[9:10]
	s_delay_alu instid0(VALU_DEP_2) | instskip(NEXT) | instid1(VALU_DEP_2)
	v_fma_f64 v[9:10], v[3:4], v[7:8], -v[11:12]
	v_fma_f64 v[11:12], v[1:2], v[7:8], v[15:16]
	scratch_store_b128 off, v[9:12], off offset:464
.LBB47_131:
	s_or_b32 exec_lo, exec_lo, s2
	s_waitcnt_vscnt null, 0x0
	s_barrier
	buffer_gl0_inv
	scratch_load_b128 v[1:4], v155, off
	s_mov_b32 s2, exec_lo
	s_waitcnt vmcnt(0)
	ds_store_b128 v5, v[1:4]
	s_waitcnt lgkmcnt(0)
	s_barrier
	buffer_gl0_inv
	v_cmpx_gt_u32_e32 30, v138
	s_cbranch_execz .LBB47_135
; %bb.132:
	v_dual_mov_b32 v1, 0 :: v_dual_add_nc_u32 v8, 0x300, v13
	v_dual_mov_b32 v2, 0 :: v_dual_add_nc_u32 v7, -1, v138
	v_or_b32_e32 v9, 8, v14
	s_mov_b32 s3, 0
	s_delay_alu instid0(VALU_DEP_2)
	v_dual_mov_b32 v4, v2 :: v_dual_mov_b32 v3, v1
	.p2align	6
.LBB47_133:                             ; =>This Inner Loop Header: Depth=1
	scratch_load_b128 v[15:18], v9, off offset:-8
	ds_load_b128 v[19:22], v8
	v_add_nc_u32_e32 v7, 1, v7
	v_add_nc_u32_e32 v8, 16, v8
	;; [unrolled: 1-line block ×3, first 2 shown]
	s_delay_alu instid0(VALU_DEP_3) | instskip(SKIP_4) | instid1(VALU_DEP_2)
	v_cmp_lt_u32_e32 vcc_lo, 28, v7
	s_or_b32 s3, vcc_lo, s3
	s_waitcnt vmcnt(0) lgkmcnt(0)
	v_mul_f64 v[10:11], v[21:22], v[17:18]
	v_mul_f64 v[17:18], v[19:20], v[17:18]
	v_fma_f64 v[10:11], v[19:20], v[15:16], -v[10:11]
	s_delay_alu instid0(VALU_DEP_2) | instskip(NEXT) | instid1(VALU_DEP_2)
	v_fma_f64 v[15:16], v[21:22], v[15:16], v[17:18]
	v_add_f64 v[3:4], v[3:4], v[10:11]
	s_delay_alu instid0(VALU_DEP_2)
	v_add_f64 v[1:2], v[1:2], v[15:16]
	s_and_not1_b32 exec_lo, exec_lo, s3
	s_cbranch_execnz .LBB47_133
; %bb.134:
	s_or_b32 exec_lo, exec_lo, s3
	v_mov_b32_e32 v7, 0
	ds_load_b128 v[7:10], v7 offset:480
	s_waitcnt lgkmcnt(0)
	v_mul_f64 v[11:12], v[1:2], v[9:10]
	v_mul_f64 v[15:16], v[3:4], v[9:10]
	s_delay_alu instid0(VALU_DEP_2) | instskip(NEXT) | instid1(VALU_DEP_2)
	v_fma_f64 v[9:10], v[3:4], v[7:8], -v[11:12]
	v_fma_f64 v[11:12], v[1:2], v[7:8], v[15:16]
	scratch_store_b128 off, v[9:12], off offset:480
.LBB47_135:
	s_or_b32 exec_lo, exec_lo, s2
	s_waitcnt_vscnt null, 0x0
	s_barrier
	buffer_gl0_inv
	scratch_load_b128 v[1:4], v156, off
	s_mov_b32 s2, exec_lo
	s_waitcnt vmcnt(0)
	ds_store_b128 v5, v[1:4]
	s_waitcnt lgkmcnt(0)
	s_barrier
	buffer_gl0_inv
	v_cmpx_gt_u32_e32 31, v138
	s_cbranch_execz .LBB47_139
; %bb.136:
	v_dual_mov_b32 v1, 0 :: v_dual_add_nc_u32 v8, 0x300, v13
	v_dual_mov_b32 v2, 0 :: v_dual_add_nc_u32 v7, -1, v138
	v_or_b32_e32 v9, 8, v14
	s_mov_b32 s3, 0
	s_delay_alu instid0(VALU_DEP_2)
	v_dual_mov_b32 v4, v2 :: v_dual_mov_b32 v3, v1
	.p2align	6
.LBB47_137:                             ; =>This Inner Loop Header: Depth=1
	scratch_load_b128 v[15:18], v9, off offset:-8
	ds_load_b128 v[19:22], v8
	v_add_nc_u32_e32 v7, 1, v7
	v_add_nc_u32_e32 v8, 16, v8
	;; [unrolled: 1-line block ×3, first 2 shown]
	s_delay_alu instid0(VALU_DEP_3) | instskip(SKIP_4) | instid1(VALU_DEP_2)
	v_cmp_lt_u32_e32 vcc_lo, 29, v7
	s_or_b32 s3, vcc_lo, s3
	s_waitcnt vmcnt(0) lgkmcnt(0)
	v_mul_f64 v[10:11], v[21:22], v[17:18]
	v_mul_f64 v[17:18], v[19:20], v[17:18]
	v_fma_f64 v[10:11], v[19:20], v[15:16], -v[10:11]
	s_delay_alu instid0(VALU_DEP_2) | instskip(NEXT) | instid1(VALU_DEP_2)
	v_fma_f64 v[15:16], v[21:22], v[15:16], v[17:18]
	v_add_f64 v[3:4], v[3:4], v[10:11]
	s_delay_alu instid0(VALU_DEP_2)
	v_add_f64 v[1:2], v[1:2], v[15:16]
	s_and_not1_b32 exec_lo, exec_lo, s3
	s_cbranch_execnz .LBB47_137
; %bb.138:
	s_or_b32 exec_lo, exec_lo, s3
	v_mov_b32_e32 v7, 0
	ds_load_b128 v[7:10], v7 offset:496
	s_waitcnt lgkmcnt(0)
	v_mul_f64 v[11:12], v[1:2], v[9:10]
	v_mul_f64 v[15:16], v[3:4], v[9:10]
	s_delay_alu instid0(VALU_DEP_2) | instskip(NEXT) | instid1(VALU_DEP_2)
	v_fma_f64 v[9:10], v[3:4], v[7:8], -v[11:12]
	v_fma_f64 v[11:12], v[1:2], v[7:8], v[15:16]
	scratch_store_b128 off, v[9:12], off offset:496
.LBB47_139:
	s_or_b32 exec_lo, exec_lo, s2
	s_waitcnt_vscnt null, 0x0
	s_barrier
	buffer_gl0_inv
	scratch_load_b128 v[1:4], v154, off
	s_mov_b32 s2, exec_lo
	s_waitcnt vmcnt(0)
	ds_store_b128 v5, v[1:4]
	s_waitcnt lgkmcnt(0)
	s_barrier
	buffer_gl0_inv
	v_cmpx_gt_u32_e32 32, v138
	s_cbranch_execz .LBB47_143
; %bb.140:
	v_dual_mov_b32 v1, 0 :: v_dual_add_nc_u32 v8, 0x300, v13
	v_dual_mov_b32 v2, 0 :: v_dual_add_nc_u32 v7, -1, v138
	v_or_b32_e32 v9, 8, v14
	s_mov_b32 s3, 0
	s_delay_alu instid0(VALU_DEP_2)
	v_dual_mov_b32 v4, v2 :: v_dual_mov_b32 v3, v1
	.p2align	6
.LBB47_141:                             ; =>This Inner Loop Header: Depth=1
	scratch_load_b128 v[15:18], v9, off offset:-8
	ds_load_b128 v[19:22], v8
	v_add_nc_u32_e32 v7, 1, v7
	v_add_nc_u32_e32 v8, 16, v8
	;; [unrolled: 1-line block ×3, first 2 shown]
	s_delay_alu instid0(VALU_DEP_3) | instskip(SKIP_4) | instid1(VALU_DEP_2)
	v_cmp_lt_u32_e32 vcc_lo, 30, v7
	s_or_b32 s3, vcc_lo, s3
	s_waitcnt vmcnt(0) lgkmcnt(0)
	v_mul_f64 v[10:11], v[21:22], v[17:18]
	v_mul_f64 v[17:18], v[19:20], v[17:18]
	v_fma_f64 v[10:11], v[19:20], v[15:16], -v[10:11]
	s_delay_alu instid0(VALU_DEP_2) | instskip(NEXT) | instid1(VALU_DEP_2)
	v_fma_f64 v[15:16], v[21:22], v[15:16], v[17:18]
	v_add_f64 v[3:4], v[3:4], v[10:11]
	s_delay_alu instid0(VALU_DEP_2)
	v_add_f64 v[1:2], v[1:2], v[15:16]
	s_and_not1_b32 exec_lo, exec_lo, s3
	s_cbranch_execnz .LBB47_141
; %bb.142:
	s_or_b32 exec_lo, exec_lo, s3
	v_mov_b32_e32 v7, 0
	ds_load_b128 v[7:10], v7 offset:512
	s_waitcnt lgkmcnt(0)
	v_mul_f64 v[11:12], v[1:2], v[9:10]
	v_mul_f64 v[15:16], v[3:4], v[9:10]
	s_delay_alu instid0(VALU_DEP_2) | instskip(NEXT) | instid1(VALU_DEP_2)
	v_fma_f64 v[9:10], v[3:4], v[7:8], -v[11:12]
	v_fma_f64 v[11:12], v[1:2], v[7:8], v[15:16]
	scratch_store_b128 off, v[9:12], off offset:512
.LBB47_143:
	s_or_b32 exec_lo, exec_lo, s2
	s_waitcnt_vscnt null, 0x0
	s_barrier
	buffer_gl0_inv
	scratch_load_b128 v[1:4], v153, off
	s_mov_b32 s2, exec_lo
	s_waitcnt vmcnt(0)
	ds_store_b128 v5, v[1:4]
	s_waitcnt lgkmcnt(0)
	s_barrier
	buffer_gl0_inv
	v_cmpx_gt_u32_e32 33, v138
	s_cbranch_execz .LBB47_147
; %bb.144:
	v_dual_mov_b32 v1, 0 :: v_dual_add_nc_u32 v8, 0x300, v13
	v_dual_mov_b32 v2, 0 :: v_dual_add_nc_u32 v7, -1, v138
	v_or_b32_e32 v9, 8, v14
	s_mov_b32 s3, 0
	s_delay_alu instid0(VALU_DEP_2)
	v_dual_mov_b32 v4, v2 :: v_dual_mov_b32 v3, v1
	.p2align	6
.LBB47_145:                             ; =>This Inner Loop Header: Depth=1
	scratch_load_b128 v[15:18], v9, off offset:-8
	ds_load_b128 v[19:22], v8
	v_add_nc_u32_e32 v7, 1, v7
	v_add_nc_u32_e32 v8, 16, v8
	;; [unrolled: 1-line block ×3, first 2 shown]
	s_delay_alu instid0(VALU_DEP_3) | instskip(SKIP_4) | instid1(VALU_DEP_2)
	v_cmp_lt_u32_e32 vcc_lo, 31, v7
	s_or_b32 s3, vcc_lo, s3
	s_waitcnt vmcnt(0) lgkmcnt(0)
	v_mul_f64 v[10:11], v[21:22], v[17:18]
	v_mul_f64 v[17:18], v[19:20], v[17:18]
	v_fma_f64 v[10:11], v[19:20], v[15:16], -v[10:11]
	s_delay_alu instid0(VALU_DEP_2) | instskip(NEXT) | instid1(VALU_DEP_2)
	v_fma_f64 v[15:16], v[21:22], v[15:16], v[17:18]
	v_add_f64 v[3:4], v[3:4], v[10:11]
	s_delay_alu instid0(VALU_DEP_2)
	v_add_f64 v[1:2], v[1:2], v[15:16]
	s_and_not1_b32 exec_lo, exec_lo, s3
	s_cbranch_execnz .LBB47_145
; %bb.146:
	s_or_b32 exec_lo, exec_lo, s3
	v_mov_b32_e32 v7, 0
	ds_load_b128 v[7:10], v7 offset:528
	s_waitcnt lgkmcnt(0)
	v_mul_f64 v[11:12], v[1:2], v[9:10]
	v_mul_f64 v[15:16], v[3:4], v[9:10]
	s_delay_alu instid0(VALU_DEP_2) | instskip(NEXT) | instid1(VALU_DEP_2)
	v_fma_f64 v[9:10], v[3:4], v[7:8], -v[11:12]
	v_fma_f64 v[11:12], v[1:2], v[7:8], v[15:16]
	scratch_store_b128 off, v[9:12], off offset:528
.LBB47_147:
	s_or_b32 exec_lo, exec_lo, s2
	s_waitcnt_vscnt null, 0x0
	s_barrier
	buffer_gl0_inv
	scratch_load_b128 v[1:4], v148, off
	s_mov_b32 s2, exec_lo
	s_waitcnt vmcnt(0)
	ds_store_b128 v5, v[1:4]
	s_waitcnt lgkmcnt(0)
	s_barrier
	buffer_gl0_inv
	v_cmpx_gt_u32_e32 34, v138
	s_cbranch_execz .LBB47_151
; %bb.148:
	v_dual_mov_b32 v1, 0 :: v_dual_add_nc_u32 v8, 0x300, v13
	v_dual_mov_b32 v2, 0 :: v_dual_add_nc_u32 v7, -1, v138
	v_or_b32_e32 v9, 8, v14
	s_mov_b32 s3, 0
	s_delay_alu instid0(VALU_DEP_2)
	v_dual_mov_b32 v4, v2 :: v_dual_mov_b32 v3, v1
	.p2align	6
.LBB47_149:                             ; =>This Inner Loop Header: Depth=1
	scratch_load_b128 v[15:18], v9, off offset:-8
	ds_load_b128 v[19:22], v8
	v_add_nc_u32_e32 v7, 1, v7
	v_add_nc_u32_e32 v8, 16, v8
	;; [unrolled: 1-line block ×3, first 2 shown]
	s_delay_alu instid0(VALU_DEP_3) | instskip(SKIP_4) | instid1(VALU_DEP_2)
	v_cmp_lt_u32_e32 vcc_lo, 32, v7
	s_or_b32 s3, vcc_lo, s3
	s_waitcnt vmcnt(0) lgkmcnt(0)
	v_mul_f64 v[10:11], v[21:22], v[17:18]
	v_mul_f64 v[17:18], v[19:20], v[17:18]
	v_fma_f64 v[10:11], v[19:20], v[15:16], -v[10:11]
	s_delay_alu instid0(VALU_DEP_2) | instskip(NEXT) | instid1(VALU_DEP_2)
	v_fma_f64 v[15:16], v[21:22], v[15:16], v[17:18]
	v_add_f64 v[3:4], v[3:4], v[10:11]
	s_delay_alu instid0(VALU_DEP_2)
	v_add_f64 v[1:2], v[1:2], v[15:16]
	s_and_not1_b32 exec_lo, exec_lo, s3
	s_cbranch_execnz .LBB47_149
; %bb.150:
	s_or_b32 exec_lo, exec_lo, s3
	v_mov_b32_e32 v7, 0
	ds_load_b128 v[7:10], v7 offset:544
	s_waitcnt lgkmcnt(0)
	v_mul_f64 v[11:12], v[1:2], v[9:10]
	v_mul_f64 v[15:16], v[3:4], v[9:10]
	s_delay_alu instid0(VALU_DEP_2) | instskip(NEXT) | instid1(VALU_DEP_2)
	v_fma_f64 v[9:10], v[3:4], v[7:8], -v[11:12]
	v_fma_f64 v[11:12], v[1:2], v[7:8], v[15:16]
	scratch_store_b128 off, v[9:12], off offset:544
.LBB47_151:
	s_or_b32 exec_lo, exec_lo, s2
	s_waitcnt_vscnt null, 0x0
	s_barrier
	buffer_gl0_inv
	scratch_load_b128 v[1:4], v149, off
	s_mov_b32 s2, exec_lo
	s_waitcnt vmcnt(0)
	ds_store_b128 v5, v[1:4]
	s_waitcnt lgkmcnt(0)
	s_barrier
	buffer_gl0_inv
	v_cmpx_gt_u32_e32 35, v138
	s_cbranch_execz .LBB47_155
; %bb.152:
	v_dual_mov_b32 v1, 0 :: v_dual_add_nc_u32 v8, 0x300, v13
	v_dual_mov_b32 v2, 0 :: v_dual_add_nc_u32 v7, -1, v138
	v_or_b32_e32 v9, 8, v14
	s_mov_b32 s3, 0
	s_delay_alu instid0(VALU_DEP_2)
	v_dual_mov_b32 v4, v2 :: v_dual_mov_b32 v3, v1
	.p2align	6
.LBB47_153:                             ; =>This Inner Loop Header: Depth=1
	scratch_load_b128 v[15:18], v9, off offset:-8
	ds_load_b128 v[19:22], v8
	v_add_nc_u32_e32 v7, 1, v7
	v_add_nc_u32_e32 v8, 16, v8
	;; [unrolled: 1-line block ×3, first 2 shown]
	s_delay_alu instid0(VALU_DEP_3) | instskip(SKIP_4) | instid1(VALU_DEP_2)
	v_cmp_lt_u32_e32 vcc_lo, 33, v7
	s_or_b32 s3, vcc_lo, s3
	s_waitcnt vmcnt(0) lgkmcnt(0)
	v_mul_f64 v[10:11], v[21:22], v[17:18]
	v_mul_f64 v[17:18], v[19:20], v[17:18]
	v_fma_f64 v[10:11], v[19:20], v[15:16], -v[10:11]
	s_delay_alu instid0(VALU_DEP_2) | instskip(NEXT) | instid1(VALU_DEP_2)
	v_fma_f64 v[15:16], v[21:22], v[15:16], v[17:18]
	v_add_f64 v[3:4], v[3:4], v[10:11]
	s_delay_alu instid0(VALU_DEP_2)
	v_add_f64 v[1:2], v[1:2], v[15:16]
	s_and_not1_b32 exec_lo, exec_lo, s3
	s_cbranch_execnz .LBB47_153
; %bb.154:
	s_or_b32 exec_lo, exec_lo, s3
	v_mov_b32_e32 v7, 0
	ds_load_b128 v[7:10], v7 offset:560
	s_waitcnt lgkmcnt(0)
	v_mul_f64 v[11:12], v[1:2], v[9:10]
	v_mul_f64 v[15:16], v[3:4], v[9:10]
	s_delay_alu instid0(VALU_DEP_2) | instskip(NEXT) | instid1(VALU_DEP_2)
	v_fma_f64 v[9:10], v[3:4], v[7:8], -v[11:12]
	v_fma_f64 v[11:12], v[1:2], v[7:8], v[15:16]
	scratch_store_b128 off, v[9:12], off offset:560
.LBB47_155:
	s_or_b32 exec_lo, exec_lo, s2
	s_waitcnt_vscnt null, 0x0
	s_barrier
	buffer_gl0_inv
	scratch_load_b128 v[1:4], v143, off
	s_mov_b32 s2, exec_lo
	s_waitcnt vmcnt(0)
	ds_store_b128 v5, v[1:4]
	s_waitcnt lgkmcnt(0)
	s_barrier
	buffer_gl0_inv
	v_cmpx_gt_u32_e32 36, v138
	s_cbranch_execz .LBB47_159
; %bb.156:
	v_dual_mov_b32 v1, 0 :: v_dual_add_nc_u32 v8, 0x300, v13
	v_dual_mov_b32 v2, 0 :: v_dual_add_nc_u32 v7, -1, v138
	v_or_b32_e32 v9, 8, v14
	s_mov_b32 s3, 0
	s_delay_alu instid0(VALU_DEP_2)
	v_dual_mov_b32 v4, v2 :: v_dual_mov_b32 v3, v1
	.p2align	6
.LBB47_157:                             ; =>This Inner Loop Header: Depth=1
	scratch_load_b128 v[15:18], v9, off offset:-8
	ds_load_b128 v[19:22], v8
	v_add_nc_u32_e32 v7, 1, v7
	v_add_nc_u32_e32 v8, 16, v8
	;; [unrolled: 1-line block ×3, first 2 shown]
	s_delay_alu instid0(VALU_DEP_3) | instskip(SKIP_4) | instid1(VALU_DEP_2)
	v_cmp_lt_u32_e32 vcc_lo, 34, v7
	s_or_b32 s3, vcc_lo, s3
	s_waitcnt vmcnt(0) lgkmcnt(0)
	v_mul_f64 v[10:11], v[21:22], v[17:18]
	v_mul_f64 v[17:18], v[19:20], v[17:18]
	v_fma_f64 v[10:11], v[19:20], v[15:16], -v[10:11]
	s_delay_alu instid0(VALU_DEP_2) | instskip(NEXT) | instid1(VALU_DEP_2)
	v_fma_f64 v[15:16], v[21:22], v[15:16], v[17:18]
	v_add_f64 v[3:4], v[3:4], v[10:11]
	s_delay_alu instid0(VALU_DEP_2)
	v_add_f64 v[1:2], v[1:2], v[15:16]
	s_and_not1_b32 exec_lo, exec_lo, s3
	s_cbranch_execnz .LBB47_157
; %bb.158:
	s_or_b32 exec_lo, exec_lo, s3
	v_mov_b32_e32 v7, 0
	ds_load_b128 v[7:10], v7 offset:576
	s_waitcnt lgkmcnt(0)
	v_mul_f64 v[11:12], v[1:2], v[9:10]
	v_mul_f64 v[15:16], v[3:4], v[9:10]
	s_delay_alu instid0(VALU_DEP_2) | instskip(NEXT) | instid1(VALU_DEP_2)
	v_fma_f64 v[9:10], v[3:4], v[7:8], -v[11:12]
	v_fma_f64 v[11:12], v[1:2], v[7:8], v[15:16]
	scratch_store_b128 off, v[9:12], off offset:576
.LBB47_159:
	s_or_b32 exec_lo, exec_lo, s2
	s_waitcnt_vscnt null, 0x0
	s_barrier
	buffer_gl0_inv
	scratch_load_b128 v[1:4], v142, off
	s_mov_b32 s2, exec_lo
	s_waitcnt vmcnt(0)
	ds_store_b128 v5, v[1:4]
	s_waitcnt lgkmcnt(0)
	s_barrier
	buffer_gl0_inv
	v_cmpx_gt_u32_e32 37, v138
	s_cbranch_execz .LBB47_163
; %bb.160:
	v_dual_mov_b32 v1, 0 :: v_dual_add_nc_u32 v8, 0x300, v13
	v_dual_mov_b32 v2, 0 :: v_dual_add_nc_u32 v7, -1, v138
	v_or_b32_e32 v9, 8, v14
	s_mov_b32 s3, 0
	s_delay_alu instid0(VALU_DEP_2)
	v_dual_mov_b32 v4, v2 :: v_dual_mov_b32 v3, v1
	.p2align	6
.LBB47_161:                             ; =>This Inner Loop Header: Depth=1
	scratch_load_b128 v[15:18], v9, off offset:-8
	ds_load_b128 v[19:22], v8
	v_add_nc_u32_e32 v7, 1, v7
	v_add_nc_u32_e32 v8, 16, v8
	;; [unrolled: 1-line block ×3, first 2 shown]
	s_delay_alu instid0(VALU_DEP_3) | instskip(SKIP_4) | instid1(VALU_DEP_2)
	v_cmp_lt_u32_e32 vcc_lo, 35, v7
	s_or_b32 s3, vcc_lo, s3
	s_waitcnt vmcnt(0) lgkmcnt(0)
	v_mul_f64 v[10:11], v[21:22], v[17:18]
	v_mul_f64 v[17:18], v[19:20], v[17:18]
	v_fma_f64 v[10:11], v[19:20], v[15:16], -v[10:11]
	s_delay_alu instid0(VALU_DEP_2) | instskip(NEXT) | instid1(VALU_DEP_2)
	v_fma_f64 v[15:16], v[21:22], v[15:16], v[17:18]
	v_add_f64 v[3:4], v[3:4], v[10:11]
	s_delay_alu instid0(VALU_DEP_2)
	v_add_f64 v[1:2], v[1:2], v[15:16]
	s_and_not1_b32 exec_lo, exec_lo, s3
	s_cbranch_execnz .LBB47_161
; %bb.162:
	s_or_b32 exec_lo, exec_lo, s3
	v_mov_b32_e32 v7, 0
	ds_load_b128 v[7:10], v7 offset:592
	s_waitcnt lgkmcnt(0)
	v_mul_f64 v[11:12], v[1:2], v[9:10]
	v_mul_f64 v[15:16], v[3:4], v[9:10]
	s_delay_alu instid0(VALU_DEP_2) | instskip(NEXT) | instid1(VALU_DEP_2)
	v_fma_f64 v[9:10], v[3:4], v[7:8], -v[11:12]
	v_fma_f64 v[11:12], v[1:2], v[7:8], v[15:16]
	scratch_store_b128 off, v[9:12], off offset:592
.LBB47_163:
	s_or_b32 exec_lo, exec_lo, s2
	s_waitcnt_vscnt null, 0x0
	s_barrier
	buffer_gl0_inv
	scratch_load_b128 v[1:4], v140, off
	s_mov_b32 s2, exec_lo
	s_waitcnt vmcnt(0)
	ds_store_b128 v5, v[1:4]
	s_waitcnt lgkmcnt(0)
	s_barrier
	buffer_gl0_inv
	v_cmpx_gt_u32_e32 38, v138
	s_cbranch_execz .LBB47_167
; %bb.164:
	v_dual_mov_b32 v1, 0 :: v_dual_add_nc_u32 v8, 0x300, v13
	v_dual_mov_b32 v2, 0 :: v_dual_add_nc_u32 v7, -1, v138
	v_or_b32_e32 v9, 8, v14
	s_mov_b32 s3, 0
	s_delay_alu instid0(VALU_DEP_2)
	v_dual_mov_b32 v4, v2 :: v_dual_mov_b32 v3, v1
	.p2align	6
.LBB47_165:                             ; =>This Inner Loop Header: Depth=1
	scratch_load_b128 v[15:18], v9, off offset:-8
	ds_load_b128 v[19:22], v8
	v_add_nc_u32_e32 v7, 1, v7
	v_add_nc_u32_e32 v8, 16, v8
	v_add_nc_u32_e32 v9, 16, v9
	s_delay_alu instid0(VALU_DEP_3) | instskip(SKIP_4) | instid1(VALU_DEP_2)
	v_cmp_lt_u32_e32 vcc_lo, 36, v7
	s_or_b32 s3, vcc_lo, s3
	s_waitcnt vmcnt(0) lgkmcnt(0)
	v_mul_f64 v[10:11], v[21:22], v[17:18]
	v_mul_f64 v[17:18], v[19:20], v[17:18]
	v_fma_f64 v[10:11], v[19:20], v[15:16], -v[10:11]
	s_delay_alu instid0(VALU_DEP_2) | instskip(NEXT) | instid1(VALU_DEP_2)
	v_fma_f64 v[15:16], v[21:22], v[15:16], v[17:18]
	v_add_f64 v[3:4], v[3:4], v[10:11]
	s_delay_alu instid0(VALU_DEP_2)
	v_add_f64 v[1:2], v[1:2], v[15:16]
	s_and_not1_b32 exec_lo, exec_lo, s3
	s_cbranch_execnz .LBB47_165
; %bb.166:
	s_or_b32 exec_lo, exec_lo, s3
	v_mov_b32_e32 v7, 0
	ds_load_b128 v[7:10], v7 offset:608
	s_waitcnt lgkmcnt(0)
	v_mul_f64 v[11:12], v[1:2], v[9:10]
	v_mul_f64 v[15:16], v[3:4], v[9:10]
	s_delay_alu instid0(VALU_DEP_2) | instskip(NEXT) | instid1(VALU_DEP_2)
	v_fma_f64 v[9:10], v[3:4], v[7:8], -v[11:12]
	v_fma_f64 v[11:12], v[1:2], v[7:8], v[15:16]
	scratch_store_b128 off, v[9:12], off offset:608
.LBB47_167:
	s_or_b32 exec_lo, exec_lo, s2
	s_waitcnt_vscnt null, 0x0
	s_barrier
	buffer_gl0_inv
	scratch_load_b128 v[1:4], v141, off
	s_mov_b32 s2, exec_lo
	s_waitcnt vmcnt(0)
	ds_store_b128 v5, v[1:4]
	s_waitcnt lgkmcnt(0)
	s_barrier
	buffer_gl0_inv
	v_cmpx_gt_u32_e32 39, v138
	s_cbranch_execz .LBB47_171
; %bb.168:
	v_dual_mov_b32 v1, 0 :: v_dual_add_nc_u32 v8, 0x300, v13
	v_dual_mov_b32 v2, 0 :: v_dual_add_nc_u32 v7, -1, v138
	v_or_b32_e32 v9, 8, v14
	s_mov_b32 s3, 0
	s_delay_alu instid0(VALU_DEP_2)
	v_dual_mov_b32 v4, v2 :: v_dual_mov_b32 v3, v1
	.p2align	6
.LBB47_169:                             ; =>This Inner Loop Header: Depth=1
	scratch_load_b128 v[15:18], v9, off offset:-8
	ds_load_b128 v[19:22], v8
	v_add_nc_u32_e32 v7, 1, v7
	v_add_nc_u32_e32 v8, 16, v8
	;; [unrolled: 1-line block ×3, first 2 shown]
	s_delay_alu instid0(VALU_DEP_3) | instskip(SKIP_4) | instid1(VALU_DEP_2)
	v_cmp_lt_u32_e32 vcc_lo, 37, v7
	s_or_b32 s3, vcc_lo, s3
	s_waitcnt vmcnt(0) lgkmcnt(0)
	v_mul_f64 v[10:11], v[21:22], v[17:18]
	v_mul_f64 v[17:18], v[19:20], v[17:18]
	v_fma_f64 v[10:11], v[19:20], v[15:16], -v[10:11]
	s_delay_alu instid0(VALU_DEP_2) | instskip(NEXT) | instid1(VALU_DEP_2)
	v_fma_f64 v[15:16], v[21:22], v[15:16], v[17:18]
	v_add_f64 v[3:4], v[3:4], v[10:11]
	s_delay_alu instid0(VALU_DEP_2)
	v_add_f64 v[1:2], v[1:2], v[15:16]
	s_and_not1_b32 exec_lo, exec_lo, s3
	s_cbranch_execnz .LBB47_169
; %bb.170:
	s_or_b32 exec_lo, exec_lo, s3
	v_mov_b32_e32 v7, 0
	ds_load_b128 v[7:10], v7 offset:624
	s_waitcnt lgkmcnt(0)
	v_mul_f64 v[11:12], v[1:2], v[9:10]
	v_mul_f64 v[15:16], v[3:4], v[9:10]
	s_delay_alu instid0(VALU_DEP_2) | instskip(NEXT) | instid1(VALU_DEP_2)
	v_fma_f64 v[9:10], v[3:4], v[7:8], -v[11:12]
	v_fma_f64 v[11:12], v[1:2], v[7:8], v[15:16]
	scratch_store_b128 off, v[9:12], off offset:624
.LBB47_171:
	s_or_b32 exec_lo, exec_lo, s2
	s_waitcnt_vscnt null, 0x0
	s_barrier
	buffer_gl0_inv
	scratch_load_b128 v[1:4], v139, off
	s_mov_b32 s2, exec_lo
	s_waitcnt vmcnt(0)
	ds_store_b128 v5, v[1:4]
	s_waitcnt lgkmcnt(0)
	s_barrier
	buffer_gl0_inv
	v_cmpx_gt_u32_e32 40, v138
	s_cbranch_execz .LBB47_175
; %bb.172:
	v_dual_mov_b32 v1, 0 :: v_dual_add_nc_u32 v8, 0x300, v13
	v_dual_mov_b32 v2, 0 :: v_dual_add_nc_u32 v7, -1, v138
	v_or_b32_e32 v9, 8, v14
	s_mov_b32 s3, 0
	s_delay_alu instid0(VALU_DEP_2)
	v_dual_mov_b32 v4, v2 :: v_dual_mov_b32 v3, v1
	.p2align	6
.LBB47_173:                             ; =>This Inner Loop Header: Depth=1
	scratch_load_b128 v[15:18], v9, off offset:-8
	ds_load_b128 v[19:22], v8
	v_add_nc_u32_e32 v7, 1, v7
	v_add_nc_u32_e32 v8, 16, v8
	;; [unrolled: 1-line block ×3, first 2 shown]
	s_delay_alu instid0(VALU_DEP_3) | instskip(SKIP_4) | instid1(VALU_DEP_2)
	v_cmp_lt_u32_e32 vcc_lo, 38, v7
	s_or_b32 s3, vcc_lo, s3
	s_waitcnt vmcnt(0) lgkmcnt(0)
	v_mul_f64 v[10:11], v[21:22], v[17:18]
	v_mul_f64 v[17:18], v[19:20], v[17:18]
	v_fma_f64 v[10:11], v[19:20], v[15:16], -v[10:11]
	s_delay_alu instid0(VALU_DEP_2) | instskip(NEXT) | instid1(VALU_DEP_2)
	v_fma_f64 v[15:16], v[21:22], v[15:16], v[17:18]
	v_add_f64 v[3:4], v[3:4], v[10:11]
	s_delay_alu instid0(VALU_DEP_2)
	v_add_f64 v[1:2], v[1:2], v[15:16]
	s_and_not1_b32 exec_lo, exec_lo, s3
	s_cbranch_execnz .LBB47_173
; %bb.174:
	s_or_b32 exec_lo, exec_lo, s3
	v_mov_b32_e32 v7, 0
	ds_load_b128 v[7:10], v7 offset:640
	s_waitcnt lgkmcnt(0)
	v_mul_f64 v[11:12], v[1:2], v[9:10]
	v_mul_f64 v[15:16], v[3:4], v[9:10]
	s_delay_alu instid0(VALU_DEP_2) | instskip(NEXT) | instid1(VALU_DEP_2)
	v_fma_f64 v[9:10], v[3:4], v[7:8], -v[11:12]
	v_fma_f64 v[11:12], v[1:2], v[7:8], v[15:16]
	scratch_store_b128 off, v[9:12], off offset:640
.LBB47_175:
	s_or_b32 exec_lo, exec_lo, s2
	s_waitcnt_vscnt null, 0x0
	s_barrier
	buffer_gl0_inv
	scratch_load_b128 v[1:4], v152, off
	s_mov_b32 s2, exec_lo
	s_waitcnt vmcnt(0)
	ds_store_b128 v5, v[1:4]
	s_waitcnt lgkmcnt(0)
	s_barrier
	buffer_gl0_inv
	v_cmpx_gt_u32_e32 41, v138
	s_cbranch_execz .LBB47_179
; %bb.176:
	v_dual_mov_b32 v1, 0 :: v_dual_add_nc_u32 v8, 0x300, v13
	v_dual_mov_b32 v2, 0 :: v_dual_add_nc_u32 v7, -1, v138
	v_or_b32_e32 v9, 8, v14
	s_mov_b32 s3, 0
	s_delay_alu instid0(VALU_DEP_2)
	v_dual_mov_b32 v4, v2 :: v_dual_mov_b32 v3, v1
	.p2align	6
.LBB47_177:                             ; =>This Inner Loop Header: Depth=1
	scratch_load_b128 v[15:18], v9, off offset:-8
	ds_load_b128 v[19:22], v8
	v_add_nc_u32_e32 v7, 1, v7
	v_add_nc_u32_e32 v8, 16, v8
	v_add_nc_u32_e32 v9, 16, v9
	s_delay_alu instid0(VALU_DEP_3) | instskip(SKIP_4) | instid1(VALU_DEP_2)
	v_cmp_lt_u32_e32 vcc_lo, 39, v7
	s_or_b32 s3, vcc_lo, s3
	s_waitcnt vmcnt(0) lgkmcnt(0)
	v_mul_f64 v[10:11], v[21:22], v[17:18]
	v_mul_f64 v[17:18], v[19:20], v[17:18]
	v_fma_f64 v[10:11], v[19:20], v[15:16], -v[10:11]
	s_delay_alu instid0(VALU_DEP_2) | instskip(NEXT) | instid1(VALU_DEP_2)
	v_fma_f64 v[15:16], v[21:22], v[15:16], v[17:18]
	v_add_f64 v[3:4], v[3:4], v[10:11]
	s_delay_alu instid0(VALU_DEP_2)
	v_add_f64 v[1:2], v[1:2], v[15:16]
	s_and_not1_b32 exec_lo, exec_lo, s3
	s_cbranch_execnz .LBB47_177
; %bb.178:
	s_or_b32 exec_lo, exec_lo, s3
	v_mov_b32_e32 v7, 0
	ds_load_b128 v[7:10], v7 offset:656
	s_waitcnt lgkmcnt(0)
	v_mul_f64 v[11:12], v[1:2], v[9:10]
	v_mul_f64 v[15:16], v[3:4], v[9:10]
	s_delay_alu instid0(VALU_DEP_2) | instskip(NEXT) | instid1(VALU_DEP_2)
	v_fma_f64 v[9:10], v[3:4], v[7:8], -v[11:12]
	v_fma_f64 v[11:12], v[1:2], v[7:8], v[15:16]
	scratch_store_b128 off, v[9:12], off offset:656
.LBB47_179:
	s_or_b32 exec_lo, exec_lo, s2
	s_waitcnt_vscnt null, 0x0
	s_barrier
	buffer_gl0_inv
	scratch_load_b128 v[1:4], v151, off
	s_mov_b32 s2, exec_lo
	s_waitcnt vmcnt(0)
	ds_store_b128 v5, v[1:4]
	s_waitcnt lgkmcnt(0)
	s_barrier
	buffer_gl0_inv
	v_cmpx_gt_u32_e32 42, v138
	s_cbranch_execz .LBB47_183
; %bb.180:
	v_dual_mov_b32 v1, 0 :: v_dual_add_nc_u32 v8, 0x300, v13
	v_dual_mov_b32 v2, 0 :: v_dual_add_nc_u32 v7, -1, v138
	v_or_b32_e32 v9, 8, v14
	s_mov_b32 s3, 0
	s_delay_alu instid0(VALU_DEP_2)
	v_dual_mov_b32 v4, v2 :: v_dual_mov_b32 v3, v1
	.p2align	6
.LBB47_181:                             ; =>This Inner Loop Header: Depth=1
	scratch_load_b128 v[15:18], v9, off offset:-8
	ds_load_b128 v[19:22], v8
	v_add_nc_u32_e32 v7, 1, v7
	v_add_nc_u32_e32 v8, 16, v8
	;; [unrolled: 1-line block ×3, first 2 shown]
	s_delay_alu instid0(VALU_DEP_3) | instskip(SKIP_4) | instid1(VALU_DEP_2)
	v_cmp_lt_u32_e32 vcc_lo, 40, v7
	s_or_b32 s3, vcc_lo, s3
	s_waitcnt vmcnt(0) lgkmcnt(0)
	v_mul_f64 v[10:11], v[21:22], v[17:18]
	v_mul_f64 v[17:18], v[19:20], v[17:18]
	v_fma_f64 v[10:11], v[19:20], v[15:16], -v[10:11]
	s_delay_alu instid0(VALU_DEP_2) | instskip(NEXT) | instid1(VALU_DEP_2)
	v_fma_f64 v[15:16], v[21:22], v[15:16], v[17:18]
	v_add_f64 v[3:4], v[3:4], v[10:11]
	s_delay_alu instid0(VALU_DEP_2)
	v_add_f64 v[1:2], v[1:2], v[15:16]
	s_and_not1_b32 exec_lo, exec_lo, s3
	s_cbranch_execnz .LBB47_181
; %bb.182:
	s_or_b32 exec_lo, exec_lo, s3
	v_mov_b32_e32 v7, 0
	ds_load_b128 v[7:10], v7 offset:672
	s_waitcnt lgkmcnt(0)
	v_mul_f64 v[11:12], v[1:2], v[9:10]
	v_mul_f64 v[15:16], v[3:4], v[9:10]
	s_delay_alu instid0(VALU_DEP_2) | instskip(NEXT) | instid1(VALU_DEP_2)
	v_fma_f64 v[9:10], v[3:4], v[7:8], -v[11:12]
	v_fma_f64 v[11:12], v[1:2], v[7:8], v[15:16]
	scratch_store_b128 off, v[9:12], off offset:672
.LBB47_183:
	s_or_b32 exec_lo, exec_lo, s2
	s_waitcnt_vscnt null, 0x0
	s_barrier
	buffer_gl0_inv
	scratch_load_b128 v[1:4], v150, off
	s_mov_b32 s2, exec_lo
	s_waitcnt vmcnt(0)
	ds_store_b128 v5, v[1:4]
	s_waitcnt lgkmcnt(0)
	s_barrier
	buffer_gl0_inv
	v_cmpx_gt_u32_e32 43, v138
	s_cbranch_execz .LBB47_187
; %bb.184:
	v_dual_mov_b32 v1, 0 :: v_dual_add_nc_u32 v8, 0x300, v13
	v_dual_mov_b32 v2, 0 :: v_dual_add_nc_u32 v7, -1, v138
	v_or_b32_e32 v9, 8, v14
	s_mov_b32 s3, 0
	s_delay_alu instid0(VALU_DEP_2)
	v_dual_mov_b32 v4, v2 :: v_dual_mov_b32 v3, v1
	.p2align	6
.LBB47_185:                             ; =>This Inner Loop Header: Depth=1
	scratch_load_b128 v[15:18], v9, off offset:-8
	ds_load_b128 v[19:22], v8
	v_add_nc_u32_e32 v7, 1, v7
	v_add_nc_u32_e32 v8, 16, v8
	;; [unrolled: 1-line block ×3, first 2 shown]
	s_delay_alu instid0(VALU_DEP_3) | instskip(SKIP_4) | instid1(VALU_DEP_2)
	v_cmp_lt_u32_e32 vcc_lo, 41, v7
	s_or_b32 s3, vcc_lo, s3
	s_waitcnt vmcnt(0) lgkmcnt(0)
	v_mul_f64 v[10:11], v[21:22], v[17:18]
	v_mul_f64 v[17:18], v[19:20], v[17:18]
	v_fma_f64 v[10:11], v[19:20], v[15:16], -v[10:11]
	s_delay_alu instid0(VALU_DEP_2) | instskip(NEXT) | instid1(VALU_DEP_2)
	v_fma_f64 v[15:16], v[21:22], v[15:16], v[17:18]
	v_add_f64 v[3:4], v[3:4], v[10:11]
	s_delay_alu instid0(VALU_DEP_2)
	v_add_f64 v[1:2], v[1:2], v[15:16]
	s_and_not1_b32 exec_lo, exec_lo, s3
	s_cbranch_execnz .LBB47_185
; %bb.186:
	s_or_b32 exec_lo, exec_lo, s3
	v_mov_b32_e32 v7, 0
	ds_load_b128 v[7:10], v7 offset:688
	s_waitcnt lgkmcnt(0)
	v_mul_f64 v[11:12], v[1:2], v[9:10]
	v_mul_f64 v[15:16], v[3:4], v[9:10]
	s_delay_alu instid0(VALU_DEP_2) | instskip(NEXT) | instid1(VALU_DEP_2)
	v_fma_f64 v[9:10], v[3:4], v[7:8], -v[11:12]
	v_fma_f64 v[11:12], v[1:2], v[7:8], v[15:16]
	scratch_store_b128 off, v[9:12], off offset:688
.LBB47_187:
	s_or_b32 exec_lo, exec_lo, s2
	s_waitcnt_vscnt null, 0x0
	s_barrier
	buffer_gl0_inv
	scratch_load_b128 v[1:4], v147, off
	s_mov_b32 s2, exec_lo
	s_waitcnt vmcnt(0)
	ds_store_b128 v5, v[1:4]
	s_waitcnt lgkmcnt(0)
	s_barrier
	buffer_gl0_inv
	v_cmpx_gt_u32_e32 44, v138
	s_cbranch_execz .LBB47_191
; %bb.188:
	v_dual_mov_b32 v1, 0 :: v_dual_add_nc_u32 v8, 0x300, v13
	v_dual_mov_b32 v2, 0 :: v_dual_add_nc_u32 v7, -1, v138
	v_or_b32_e32 v9, 8, v14
	s_mov_b32 s3, 0
	s_delay_alu instid0(VALU_DEP_2)
	v_dual_mov_b32 v4, v2 :: v_dual_mov_b32 v3, v1
	.p2align	6
.LBB47_189:                             ; =>This Inner Loop Header: Depth=1
	scratch_load_b128 v[15:18], v9, off offset:-8
	ds_load_b128 v[19:22], v8
	v_add_nc_u32_e32 v7, 1, v7
	v_add_nc_u32_e32 v8, 16, v8
	;; [unrolled: 1-line block ×3, first 2 shown]
	s_delay_alu instid0(VALU_DEP_3) | instskip(SKIP_4) | instid1(VALU_DEP_2)
	v_cmp_lt_u32_e32 vcc_lo, 42, v7
	s_or_b32 s3, vcc_lo, s3
	s_waitcnt vmcnt(0) lgkmcnt(0)
	v_mul_f64 v[10:11], v[21:22], v[17:18]
	v_mul_f64 v[17:18], v[19:20], v[17:18]
	v_fma_f64 v[10:11], v[19:20], v[15:16], -v[10:11]
	s_delay_alu instid0(VALU_DEP_2) | instskip(NEXT) | instid1(VALU_DEP_2)
	v_fma_f64 v[15:16], v[21:22], v[15:16], v[17:18]
	v_add_f64 v[3:4], v[3:4], v[10:11]
	s_delay_alu instid0(VALU_DEP_2)
	v_add_f64 v[1:2], v[1:2], v[15:16]
	s_and_not1_b32 exec_lo, exec_lo, s3
	s_cbranch_execnz .LBB47_189
; %bb.190:
	s_or_b32 exec_lo, exec_lo, s3
	v_mov_b32_e32 v7, 0
	ds_load_b128 v[7:10], v7 offset:704
	s_waitcnt lgkmcnt(0)
	v_mul_f64 v[11:12], v[1:2], v[9:10]
	v_mul_f64 v[15:16], v[3:4], v[9:10]
	s_delay_alu instid0(VALU_DEP_2) | instskip(NEXT) | instid1(VALU_DEP_2)
	v_fma_f64 v[9:10], v[3:4], v[7:8], -v[11:12]
	v_fma_f64 v[11:12], v[1:2], v[7:8], v[15:16]
	scratch_store_b128 off, v[9:12], off offset:704
.LBB47_191:
	s_or_b32 exec_lo, exec_lo, s2
	s_waitcnt_vscnt null, 0x0
	s_barrier
	buffer_gl0_inv
	scratch_load_b128 v[1:4], v146, off
	s_mov_b32 s2, exec_lo
	s_waitcnt vmcnt(0)
	ds_store_b128 v5, v[1:4]
	s_waitcnt lgkmcnt(0)
	s_barrier
	buffer_gl0_inv
	v_cmpx_gt_u32_e32 45, v138
	s_cbranch_execz .LBB47_195
; %bb.192:
	v_dual_mov_b32 v1, 0 :: v_dual_add_nc_u32 v8, 0x300, v13
	v_dual_mov_b32 v2, 0 :: v_dual_add_nc_u32 v7, -1, v138
	v_or_b32_e32 v9, 8, v14
	s_mov_b32 s3, 0
	s_delay_alu instid0(VALU_DEP_2)
	v_dual_mov_b32 v4, v2 :: v_dual_mov_b32 v3, v1
	.p2align	6
.LBB47_193:                             ; =>This Inner Loop Header: Depth=1
	scratch_load_b128 v[15:18], v9, off offset:-8
	ds_load_b128 v[19:22], v8
	v_add_nc_u32_e32 v7, 1, v7
	v_add_nc_u32_e32 v8, 16, v8
	;; [unrolled: 1-line block ×3, first 2 shown]
	s_delay_alu instid0(VALU_DEP_3) | instskip(SKIP_4) | instid1(VALU_DEP_2)
	v_cmp_lt_u32_e32 vcc_lo, 43, v7
	s_or_b32 s3, vcc_lo, s3
	s_waitcnt vmcnt(0) lgkmcnt(0)
	v_mul_f64 v[10:11], v[21:22], v[17:18]
	v_mul_f64 v[17:18], v[19:20], v[17:18]
	v_fma_f64 v[10:11], v[19:20], v[15:16], -v[10:11]
	s_delay_alu instid0(VALU_DEP_2) | instskip(NEXT) | instid1(VALU_DEP_2)
	v_fma_f64 v[15:16], v[21:22], v[15:16], v[17:18]
	v_add_f64 v[3:4], v[3:4], v[10:11]
	s_delay_alu instid0(VALU_DEP_2)
	v_add_f64 v[1:2], v[1:2], v[15:16]
	s_and_not1_b32 exec_lo, exec_lo, s3
	s_cbranch_execnz .LBB47_193
; %bb.194:
	s_or_b32 exec_lo, exec_lo, s3
	v_mov_b32_e32 v7, 0
	ds_load_b128 v[7:10], v7 offset:720
	s_waitcnt lgkmcnt(0)
	v_mul_f64 v[11:12], v[1:2], v[9:10]
	v_mul_f64 v[15:16], v[3:4], v[9:10]
	s_delay_alu instid0(VALU_DEP_2) | instskip(NEXT) | instid1(VALU_DEP_2)
	v_fma_f64 v[9:10], v[3:4], v[7:8], -v[11:12]
	v_fma_f64 v[11:12], v[1:2], v[7:8], v[15:16]
	scratch_store_b128 off, v[9:12], off offset:720
.LBB47_195:
	s_or_b32 exec_lo, exec_lo, s2
	s_waitcnt_vscnt null, 0x0
	s_barrier
	buffer_gl0_inv
	scratch_load_b128 v[1:4], v145, off
	s_mov_b32 s2, exec_lo
	s_waitcnt vmcnt(0)
	ds_store_b128 v5, v[1:4]
	s_waitcnt lgkmcnt(0)
	s_barrier
	buffer_gl0_inv
	v_cmpx_gt_u32_e32 46, v138
	s_cbranch_execz .LBB47_199
; %bb.196:
	v_dual_mov_b32 v1, 0 :: v_dual_add_nc_u32 v8, 0x300, v13
	v_dual_mov_b32 v2, 0 :: v_dual_add_nc_u32 v7, -1, v138
	v_or_b32_e32 v9, 8, v14
	s_mov_b32 s3, 0
	s_delay_alu instid0(VALU_DEP_2)
	v_dual_mov_b32 v4, v2 :: v_dual_mov_b32 v3, v1
	.p2align	6
.LBB47_197:                             ; =>This Inner Loop Header: Depth=1
	scratch_load_b128 v[10:13], v9, off offset:-8
	ds_load_b128 v[15:18], v8
	v_add_nc_u32_e32 v7, 1, v7
	v_add_nc_u32_e32 v8, 16, v8
	v_add_nc_u32_e32 v9, 16, v9
	s_delay_alu instid0(VALU_DEP_3) | instskip(SKIP_4) | instid1(VALU_DEP_2)
	v_cmp_lt_u32_e32 vcc_lo, 44, v7
	s_or_b32 s3, vcc_lo, s3
	s_waitcnt vmcnt(0) lgkmcnt(0)
	v_mul_f64 v[19:20], v[17:18], v[12:13]
	v_mul_f64 v[12:13], v[15:16], v[12:13]
	v_fma_f64 v[15:16], v[15:16], v[10:11], -v[19:20]
	s_delay_alu instid0(VALU_DEP_2) | instskip(NEXT) | instid1(VALU_DEP_2)
	v_fma_f64 v[10:11], v[17:18], v[10:11], v[12:13]
	v_add_f64 v[3:4], v[3:4], v[15:16]
	s_delay_alu instid0(VALU_DEP_2)
	v_add_f64 v[1:2], v[1:2], v[10:11]
	s_and_not1_b32 exec_lo, exec_lo, s3
	s_cbranch_execnz .LBB47_197
; %bb.198:
	s_or_b32 exec_lo, exec_lo, s3
	v_mov_b32_e32 v7, 0
	ds_load_b128 v[7:10], v7 offset:736
	s_waitcnt lgkmcnt(0)
	v_mul_f64 v[11:12], v[1:2], v[9:10]
	v_mul_f64 v[15:16], v[3:4], v[9:10]
	s_delay_alu instid0(VALU_DEP_2) | instskip(NEXT) | instid1(VALU_DEP_2)
	v_fma_f64 v[9:10], v[3:4], v[7:8], -v[11:12]
	v_fma_f64 v[11:12], v[1:2], v[7:8], v[15:16]
	scratch_store_b128 off, v[9:12], off offset:736
.LBB47_199:
	s_or_b32 exec_lo, exec_lo, s2
	s_waitcnt_vscnt null, 0x0
	s_barrier
	buffer_gl0_inv
	scratch_load_b128 v[1:4], v144, off
	s_mov_b32 s2, exec_lo
	s_waitcnt vmcnt(0)
	ds_store_b128 v5, v[1:4]
	s_waitcnt lgkmcnt(0)
	s_barrier
	buffer_gl0_inv
	v_cmpx_ne_u32_e32 47, v138
	s_cbranch_execz .LBB47_203
; %bb.200:
	v_mov_b32_e32 v1, 0
	v_mov_b32_e32 v2, 0
	v_or_b32_e32 v7, 8, v14
	s_mov_b32 s3, 0
	s_delay_alu instid0(VALU_DEP_2)
	v_dual_mov_b32 v4, v2 :: v_dual_mov_b32 v3, v1
	.p2align	6
.LBB47_201:                             ; =>This Inner Loop Header: Depth=1
	scratch_load_b128 v[8:11], v7, off offset:-8
	ds_load_b128 v[12:15], v5
	v_add_nc_u32_e32 v6, 1, v6
	v_add_nc_u32_e32 v5, 16, v5
	v_add_nc_u32_e32 v7, 16, v7
	s_delay_alu instid0(VALU_DEP_3) | instskip(SKIP_4) | instid1(VALU_DEP_2)
	v_cmp_lt_u32_e32 vcc_lo, 45, v6
	s_or_b32 s3, vcc_lo, s3
	s_waitcnt vmcnt(0) lgkmcnt(0)
	v_mul_f64 v[16:17], v[14:15], v[10:11]
	v_mul_f64 v[10:11], v[12:13], v[10:11]
	v_fma_f64 v[12:13], v[12:13], v[8:9], -v[16:17]
	s_delay_alu instid0(VALU_DEP_2) | instskip(NEXT) | instid1(VALU_DEP_2)
	v_fma_f64 v[8:9], v[14:15], v[8:9], v[10:11]
	v_add_f64 v[3:4], v[3:4], v[12:13]
	s_delay_alu instid0(VALU_DEP_2)
	v_add_f64 v[1:2], v[1:2], v[8:9]
	s_and_not1_b32 exec_lo, exec_lo, s3
	s_cbranch_execnz .LBB47_201
; %bb.202:
	s_or_b32 exec_lo, exec_lo, s3
	v_mov_b32_e32 v5, 0
	ds_load_b128 v[5:8], v5 offset:752
	s_waitcnt lgkmcnt(0)
	v_mul_f64 v[9:10], v[1:2], v[7:8]
	v_mul_f64 v[7:8], v[3:4], v[7:8]
	s_delay_alu instid0(VALU_DEP_2) | instskip(NEXT) | instid1(VALU_DEP_2)
	v_fma_f64 v[3:4], v[3:4], v[5:6], -v[9:10]
	v_fma_f64 v[5:6], v[1:2], v[5:6], v[7:8]
	scratch_store_b128 off, v[3:6], off offset:752
.LBB47_203:
	s_or_b32 exec_lo, exec_lo, s2
	s_mov_b32 s3, -1
	s_waitcnt_vscnt null, 0x0
	s_barrier
	buffer_gl0_inv
.LBB47_204:
	s_and_b32 vcc_lo, exec_lo, s3
	s_cbranch_vccz .LBB47_206
; %bb.205:
	s_lshl_b64 s[2:3], s[18:19], 2
	v_mov_b32_e32 v1, 0
	s_add_u32 s2, s6, s2
	s_addc_u32 s3, s7, s3
	global_load_b32 v1, v1, s[2:3]
	s_waitcnt vmcnt(0)
	v_cmp_ne_u32_e32 vcc_lo, 0, v1
	s_cbranch_vccz .LBB47_207
.LBB47_206:
	s_endpgm
.LBB47_207:
	v_lshl_add_u32 v186, v138, 4, 0x300
	s_mov_b32 s2, exec_lo
	v_cmpx_eq_u32_e32 47, v138
	s_cbranch_execz .LBB47_209
; %bb.208:
	scratch_load_b128 v[1:4], v145, off
	v_mov_b32_e32 v5, 0
	s_delay_alu instid0(VALU_DEP_1)
	v_mov_b32_e32 v6, v5
	v_mov_b32_e32 v7, v5
	;; [unrolled: 1-line block ×3, first 2 shown]
	scratch_store_b128 off, v[5:8], off offset:736
	s_waitcnt vmcnt(0)
	ds_store_b128 v186, v[1:4]
.LBB47_209:
	s_or_b32 exec_lo, exec_lo, s2
	s_waitcnt lgkmcnt(0)
	s_waitcnt_vscnt null, 0x0
	s_barrier
	buffer_gl0_inv
	s_clause 0x1
	scratch_load_b128 v[2:5], off, off offset:752
	scratch_load_b128 v[6:9], off, off offset:736
	v_mov_b32_e32 v1, 0
	s_mov_b32 s2, exec_lo
	ds_load_b128 v[10:13], v1 offset:1520
	s_waitcnt vmcnt(1) lgkmcnt(0)
	v_mul_f64 v[14:15], v[12:13], v[4:5]
	v_mul_f64 v[4:5], v[10:11], v[4:5]
	s_delay_alu instid0(VALU_DEP_2) | instskip(NEXT) | instid1(VALU_DEP_2)
	v_fma_f64 v[10:11], v[10:11], v[2:3], -v[14:15]
	v_fma_f64 v[2:3], v[12:13], v[2:3], v[4:5]
	s_delay_alu instid0(VALU_DEP_2) | instskip(NEXT) | instid1(VALU_DEP_2)
	v_add_f64 v[4:5], v[10:11], 0
	v_add_f64 v[10:11], v[2:3], 0
	s_waitcnt vmcnt(0)
	s_delay_alu instid0(VALU_DEP_2) | instskip(NEXT) | instid1(VALU_DEP_2)
	v_add_f64 v[2:3], v[6:7], -v[4:5]
	v_add_f64 v[4:5], v[8:9], -v[10:11]
	scratch_store_b128 off, v[2:5], off offset:736
	v_cmpx_lt_u32_e32 45, v138
	s_cbranch_execz .LBB47_211
; %bb.210:
	scratch_load_b128 v[5:8], v146, off
	v_mov_b32_e32 v2, v1
	v_mov_b32_e32 v3, v1
	v_mov_b32_e32 v4, v1
	scratch_store_b128 off, v[1:4], off offset:720
	s_waitcnt vmcnt(0)
	ds_store_b128 v186, v[5:8]
.LBB47_211:
	s_or_b32 exec_lo, exec_lo, s2
	s_waitcnt lgkmcnt(0)
	s_waitcnt_vscnt null, 0x0
	s_barrier
	buffer_gl0_inv
	s_clause 0x2
	scratch_load_b128 v[2:5], off, off offset:736
	scratch_load_b128 v[6:9], off, off offset:752
	;; [unrolled: 1-line block ×3, first 2 shown]
	ds_load_b128 v[14:17], v1 offset:1504
	ds_load_b128 v[18:21], v1 offset:1520
	s_mov_b32 s2, exec_lo
	s_waitcnt vmcnt(2) lgkmcnt(1)
	v_mul_f64 v[22:23], v[16:17], v[4:5]
	v_mul_f64 v[4:5], v[14:15], v[4:5]
	s_waitcnt vmcnt(1) lgkmcnt(0)
	v_mul_f64 v[24:25], v[18:19], v[8:9]
	v_mul_f64 v[8:9], v[20:21], v[8:9]
	s_delay_alu instid0(VALU_DEP_4) | instskip(NEXT) | instid1(VALU_DEP_4)
	v_fma_f64 v[14:15], v[14:15], v[2:3], -v[22:23]
	v_fma_f64 v[1:2], v[16:17], v[2:3], v[4:5]
	s_delay_alu instid0(VALU_DEP_4) | instskip(NEXT) | instid1(VALU_DEP_4)
	v_fma_f64 v[3:4], v[20:21], v[6:7], v[24:25]
	v_fma_f64 v[5:6], v[18:19], v[6:7], -v[8:9]
	s_delay_alu instid0(VALU_DEP_4) | instskip(NEXT) | instid1(VALU_DEP_4)
	v_add_f64 v[7:8], v[14:15], 0
	v_add_f64 v[1:2], v[1:2], 0
	s_delay_alu instid0(VALU_DEP_2) | instskip(NEXT) | instid1(VALU_DEP_2)
	v_add_f64 v[5:6], v[7:8], v[5:6]
	v_add_f64 v[3:4], v[1:2], v[3:4]
	s_waitcnt vmcnt(0)
	s_delay_alu instid0(VALU_DEP_2) | instskip(NEXT) | instid1(VALU_DEP_2)
	v_add_f64 v[1:2], v[10:11], -v[5:6]
	v_add_f64 v[3:4], v[12:13], -v[3:4]
	scratch_store_b128 off, v[1:4], off offset:720
	v_cmpx_lt_u32_e32 44, v138
	s_cbranch_execz .LBB47_213
; %bb.212:
	scratch_load_b128 v[1:4], v147, off
	v_mov_b32_e32 v5, 0
	s_delay_alu instid0(VALU_DEP_1)
	v_mov_b32_e32 v6, v5
	v_mov_b32_e32 v7, v5
	v_mov_b32_e32 v8, v5
	scratch_store_b128 off, v[5:8], off offset:704
	s_waitcnt vmcnt(0)
	ds_store_b128 v186, v[1:4]
.LBB47_213:
	s_or_b32 exec_lo, exec_lo, s2
	s_waitcnt lgkmcnt(0)
	s_waitcnt_vscnt null, 0x0
	s_barrier
	buffer_gl0_inv
	s_clause 0x3
	scratch_load_b128 v[2:5], off, off offset:720
	scratch_load_b128 v[6:9], off, off offset:736
	;; [unrolled: 1-line block ×4, first 2 shown]
	v_mov_b32_e32 v1, 0
	ds_load_b128 v[18:21], v1 offset:1488
	ds_load_b128 v[22:25], v1 offset:1504
	s_mov_b32 s2, exec_lo
	s_waitcnt vmcnt(3) lgkmcnt(1)
	v_mul_f64 v[26:27], v[20:21], v[4:5]
	v_mul_f64 v[4:5], v[18:19], v[4:5]
	s_waitcnt vmcnt(2) lgkmcnt(0)
	v_mul_f64 v[28:29], v[22:23], v[8:9]
	v_mul_f64 v[8:9], v[24:25], v[8:9]
	s_delay_alu instid0(VALU_DEP_4) | instskip(NEXT) | instid1(VALU_DEP_4)
	v_fma_f64 v[18:19], v[18:19], v[2:3], -v[26:27]
	v_fma_f64 v[20:21], v[20:21], v[2:3], v[4:5]
	ds_load_b128 v[2:5], v1 offset:1520
	v_fma_f64 v[24:25], v[24:25], v[6:7], v[28:29]
	v_fma_f64 v[6:7], v[22:23], v[6:7], -v[8:9]
	s_waitcnt vmcnt(1) lgkmcnt(0)
	v_mul_f64 v[26:27], v[2:3], v[12:13]
	v_mul_f64 v[12:13], v[4:5], v[12:13]
	v_add_f64 v[8:9], v[18:19], 0
	v_add_f64 v[18:19], v[20:21], 0
	s_delay_alu instid0(VALU_DEP_4) | instskip(NEXT) | instid1(VALU_DEP_4)
	v_fma_f64 v[4:5], v[4:5], v[10:11], v[26:27]
	v_fma_f64 v[2:3], v[2:3], v[10:11], -v[12:13]
	s_delay_alu instid0(VALU_DEP_4) | instskip(NEXT) | instid1(VALU_DEP_4)
	v_add_f64 v[6:7], v[8:9], v[6:7]
	v_add_f64 v[8:9], v[18:19], v[24:25]
	s_delay_alu instid0(VALU_DEP_2) | instskip(NEXT) | instid1(VALU_DEP_2)
	v_add_f64 v[2:3], v[6:7], v[2:3]
	v_add_f64 v[4:5], v[8:9], v[4:5]
	s_waitcnt vmcnt(0)
	s_delay_alu instid0(VALU_DEP_2) | instskip(NEXT) | instid1(VALU_DEP_2)
	v_add_f64 v[2:3], v[14:15], -v[2:3]
	v_add_f64 v[4:5], v[16:17], -v[4:5]
	scratch_store_b128 off, v[2:5], off offset:704
	v_cmpx_lt_u32_e32 43, v138
	s_cbranch_execz .LBB47_215
; %bb.214:
	scratch_load_b128 v[5:8], v150, off
	v_mov_b32_e32 v2, v1
	v_mov_b32_e32 v3, v1
	v_mov_b32_e32 v4, v1
	scratch_store_b128 off, v[1:4], off offset:688
	s_waitcnt vmcnt(0)
	ds_store_b128 v186, v[5:8]
.LBB47_215:
	s_or_b32 exec_lo, exec_lo, s2
	s_waitcnt lgkmcnt(0)
	s_waitcnt_vscnt null, 0x0
	s_barrier
	buffer_gl0_inv
	s_clause 0x4
	scratch_load_b128 v[2:5], off, off offset:704
	scratch_load_b128 v[6:9], off, off offset:720
	;; [unrolled: 1-line block ×5, first 2 shown]
	ds_load_b128 v[22:25], v1 offset:1472
	ds_load_b128 v[26:29], v1 offset:1488
	s_mov_b32 s2, exec_lo
	s_waitcnt vmcnt(4) lgkmcnt(1)
	v_mul_f64 v[30:31], v[24:25], v[4:5]
	v_mul_f64 v[4:5], v[22:23], v[4:5]
	s_waitcnt vmcnt(3) lgkmcnt(0)
	v_mul_f64 v[32:33], v[26:27], v[8:9]
	v_mul_f64 v[8:9], v[28:29], v[8:9]
	s_delay_alu instid0(VALU_DEP_4) | instskip(NEXT) | instid1(VALU_DEP_4)
	v_fma_f64 v[30:31], v[22:23], v[2:3], -v[30:31]
	v_fma_f64 v[34:35], v[24:25], v[2:3], v[4:5]
	ds_load_b128 v[2:5], v1 offset:1504
	ds_load_b128 v[22:25], v1 offset:1520
	v_fma_f64 v[28:29], v[28:29], v[6:7], v[32:33]
	v_fma_f64 v[6:7], v[26:27], v[6:7], -v[8:9]
	s_waitcnt vmcnt(2) lgkmcnt(1)
	v_mul_f64 v[36:37], v[2:3], v[12:13]
	v_mul_f64 v[12:13], v[4:5], v[12:13]
	v_add_f64 v[8:9], v[30:31], 0
	v_add_f64 v[26:27], v[34:35], 0
	s_waitcnt vmcnt(1) lgkmcnt(0)
	v_mul_f64 v[30:31], v[22:23], v[16:17]
	v_mul_f64 v[16:17], v[24:25], v[16:17]
	v_fma_f64 v[4:5], v[4:5], v[10:11], v[36:37]
	v_fma_f64 v[1:2], v[2:3], v[10:11], -v[12:13]
	v_add_f64 v[6:7], v[8:9], v[6:7]
	v_add_f64 v[8:9], v[26:27], v[28:29]
	v_fma_f64 v[10:11], v[24:25], v[14:15], v[30:31]
	v_fma_f64 v[12:13], v[22:23], v[14:15], -v[16:17]
	s_delay_alu instid0(VALU_DEP_4) | instskip(NEXT) | instid1(VALU_DEP_4)
	v_add_f64 v[1:2], v[6:7], v[1:2]
	v_add_f64 v[3:4], v[8:9], v[4:5]
	s_delay_alu instid0(VALU_DEP_2) | instskip(NEXT) | instid1(VALU_DEP_2)
	v_add_f64 v[1:2], v[1:2], v[12:13]
	v_add_f64 v[3:4], v[3:4], v[10:11]
	s_waitcnt vmcnt(0)
	s_delay_alu instid0(VALU_DEP_2) | instskip(NEXT) | instid1(VALU_DEP_2)
	v_add_f64 v[1:2], v[18:19], -v[1:2]
	v_add_f64 v[3:4], v[20:21], -v[3:4]
	scratch_store_b128 off, v[1:4], off offset:688
	v_cmpx_lt_u32_e32 42, v138
	s_cbranch_execz .LBB47_217
; %bb.216:
	scratch_load_b128 v[1:4], v151, off
	v_mov_b32_e32 v5, 0
	s_delay_alu instid0(VALU_DEP_1)
	v_mov_b32_e32 v6, v5
	v_mov_b32_e32 v7, v5
	;; [unrolled: 1-line block ×3, first 2 shown]
	scratch_store_b128 off, v[5:8], off offset:672
	s_waitcnt vmcnt(0)
	ds_store_b128 v186, v[1:4]
.LBB47_217:
	s_or_b32 exec_lo, exec_lo, s2
	s_waitcnt lgkmcnt(0)
	s_waitcnt_vscnt null, 0x0
	s_barrier
	buffer_gl0_inv
	s_clause 0x5
	scratch_load_b128 v[2:5], off, off offset:688
	scratch_load_b128 v[6:9], off, off offset:704
	;; [unrolled: 1-line block ×6, first 2 shown]
	v_mov_b32_e32 v1, 0
	ds_load_b128 v[26:29], v1 offset:1456
	ds_load_b128 v[30:33], v1 offset:1472
	s_mov_b32 s2, exec_lo
	s_waitcnt vmcnt(5) lgkmcnt(1)
	v_mul_f64 v[34:35], v[28:29], v[4:5]
	v_mul_f64 v[4:5], v[26:27], v[4:5]
	s_waitcnt vmcnt(4) lgkmcnt(0)
	v_mul_f64 v[36:37], v[30:31], v[8:9]
	v_mul_f64 v[8:9], v[32:33], v[8:9]
	s_delay_alu instid0(VALU_DEP_4) | instskip(NEXT) | instid1(VALU_DEP_4)
	v_fma_f64 v[34:35], v[26:27], v[2:3], -v[34:35]
	v_fma_f64 v[38:39], v[28:29], v[2:3], v[4:5]
	ds_load_b128 v[2:5], v1 offset:1488
	ds_load_b128 v[26:29], v1 offset:1504
	v_fma_f64 v[32:33], v[32:33], v[6:7], v[36:37]
	v_fma_f64 v[6:7], v[30:31], v[6:7], -v[8:9]
	s_waitcnt vmcnt(3) lgkmcnt(1)
	v_mul_f64 v[40:41], v[2:3], v[12:13]
	v_mul_f64 v[12:13], v[4:5], v[12:13]
	v_add_f64 v[8:9], v[34:35], 0
	v_add_f64 v[30:31], v[38:39], 0
	s_waitcnt vmcnt(2) lgkmcnt(0)
	v_mul_f64 v[34:35], v[26:27], v[16:17]
	v_mul_f64 v[16:17], v[28:29], v[16:17]
	v_fma_f64 v[36:37], v[4:5], v[10:11], v[40:41]
	v_fma_f64 v[10:11], v[2:3], v[10:11], -v[12:13]
	ds_load_b128 v[2:5], v1 offset:1520
	v_add_f64 v[6:7], v[8:9], v[6:7]
	v_add_f64 v[8:9], v[30:31], v[32:33]
	v_fma_f64 v[28:29], v[28:29], v[14:15], v[34:35]
	v_fma_f64 v[14:15], v[26:27], v[14:15], -v[16:17]
	s_waitcnt vmcnt(1) lgkmcnt(0)
	v_mul_f64 v[12:13], v[2:3], v[20:21]
	v_mul_f64 v[20:21], v[4:5], v[20:21]
	v_add_f64 v[6:7], v[6:7], v[10:11]
	v_add_f64 v[8:9], v[8:9], v[36:37]
	s_delay_alu instid0(VALU_DEP_4) | instskip(NEXT) | instid1(VALU_DEP_4)
	v_fma_f64 v[4:5], v[4:5], v[18:19], v[12:13]
	v_fma_f64 v[2:3], v[2:3], v[18:19], -v[20:21]
	s_delay_alu instid0(VALU_DEP_4) | instskip(NEXT) | instid1(VALU_DEP_4)
	v_add_f64 v[6:7], v[6:7], v[14:15]
	v_add_f64 v[8:9], v[8:9], v[28:29]
	s_delay_alu instid0(VALU_DEP_2) | instskip(NEXT) | instid1(VALU_DEP_2)
	v_add_f64 v[2:3], v[6:7], v[2:3]
	v_add_f64 v[4:5], v[8:9], v[4:5]
	s_waitcnt vmcnt(0)
	s_delay_alu instid0(VALU_DEP_2) | instskip(NEXT) | instid1(VALU_DEP_2)
	v_add_f64 v[2:3], v[22:23], -v[2:3]
	v_add_f64 v[4:5], v[24:25], -v[4:5]
	scratch_store_b128 off, v[2:5], off offset:672
	v_cmpx_lt_u32_e32 41, v138
	s_cbranch_execz .LBB47_219
; %bb.218:
	scratch_load_b128 v[5:8], v152, off
	v_mov_b32_e32 v2, v1
	v_mov_b32_e32 v3, v1
	;; [unrolled: 1-line block ×3, first 2 shown]
	scratch_store_b128 off, v[1:4], off offset:656
	s_waitcnt vmcnt(0)
	ds_store_b128 v186, v[5:8]
.LBB47_219:
	s_or_b32 exec_lo, exec_lo, s2
	s_waitcnt lgkmcnt(0)
	s_waitcnt_vscnt null, 0x0
	s_barrier
	buffer_gl0_inv
	s_clause 0x5
	scratch_load_b128 v[2:5], off, off offset:672
	scratch_load_b128 v[6:9], off, off offset:688
	;; [unrolled: 1-line block ×6, first 2 shown]
	ds_load_b128 v[26:29], v1 offset:1440
	ds_load_b128 v[34:37], v1 offset:1456
	scratch_load_b128 v[30:33], off, off offset:656
	s_mov_b32 s2, exec_lo
	s_waitcnt vmcnt(6) lgkmcnt(1)
	v_mul_f64 v[38:39], v[28:29], v[4:5]
	v_mul_f64 v[4:5], v[26:27], v[4:5]
	s_waitcnt vmcnt(5) lgkmcnt(0)
	v_mul_f64 v[40:41], v[34:35], v[8:9]
	v_mul_f64 v[8:9], v[36:37], v[8:9]
	s_delay_alu instid0(VALU_DEP_4) | instskip(NEXT) | instid1(VALU_DEP_4)
	v_fma_f64 v[38:39], v[26:27], v[2:3], -v[38:39]
	v_fma_f64 v[187:188], v[28:29], v[2:3], v[4:5]
	ds_load_b128 v[2:5], v1 offset:1472
	ds_load_b128 v[26:29], v1 offset:1488
	v_fma_f64 v[36:37], v[36:37], v[6:7], v[40:41]
	v_fma_f64 v[6:7], v[34:35], v[6:7], -v[8:9]
	s_waitcnt vmcnt(4) lgkmcnt(1)
	v_mul_f64 v[189:190], v[2:3], v[12:13]
	v_mul_f64 v[12:13], v[4:5], v[12:13]
	v_add_f64 v[8:9], v[38:39], 0
	v_add_f64 v[34:35], v[187:188], 0
	s_waitcnt vmcnt(3) lgkmcnt(0)
	v_mul_f64 v[38:39], v[26:27], v[16:17]
	v_mul_f64 v[16:17], v[28:29], v[16:17]
	v_fma_f64 v[40:41], v[4:5], v[10:11], v[189:190]
	v_fma_f64 v[10:11], v[2:3], v[10:11], -v[12:13]
	v_add_f64 v[12:13], v[8:9], v[6:7]
	v_add_f64 v[34:35], v[34:35], v[36:37]
	ds_load_b128 v[2:5], v1 offset:1504
	ds_load_b128 v[6:9], v1 offset:1520
	v_fma_f64 v[28:29], v[28:29], v[14:15], v[38:39]
	v_fma_f64 v[14:15], v[26:27], v[14:15], -v[16:17]
	s_waitcnt vmcnt(2) lgkmcnt(1)
	v_mul_f64 v[36:37], v[2:3], v[20:21]
	v_mul_f64 v[20:21], v[4:5], v[20:21]
	s_waitcnt vmcnt(1) lgkmcnt(0)
	v_mul_f64 v[16:17], v[6:7], v[24:25]
	v_mul_f64 v[24:25], v[8:9], v[24:25]
	v_add_f64 v[10:11], v[12:13], v[10:11]
	v_add_f64 v[12:13], v[34:35], v[40:41]
	v_fma_f64 v[4:5], v[4:5], v[18:19], v[36:37]
	v_fma_f64 v[1:2], v[2:3], v[18:19], -v[20:21]
	v_fma_f64 v[8:9], v[8:9], v[22:23], v[16:17]
	v_fma_f64 v[6:7], v[6:7], v[22:23], -v[24:25]
	v_add_f64 v[10:11], v[10:11], v[14:15]
	v_add_f64 v[12:13], v[12:13], v[28:29]
	s_delay_alu instid0(VALU_DEP_2) | instskip(NEXT) | instid1(VALU_DEP_2)
	v_add_f64 v[1:2], v[10:11], v[1:2]
	v_add_f64 v[3:4], v[12:13], v[4:5]
	s_delay_alu instid0(VALU_DEP_2) | instskip(NEXT) | instid1(VALU_DEP_2)
	v_add_f64 v[1:2], v[1:2], v[6:7]
	v_add_f64 v[3:4], v[3:4], v[8:9]
	s_waitcnt vmcnt(0)
	s_delay_alu instid0(VALU_DEP_2) | instskip(NEXT) | instid1(VALU_DEP_2)
	v_add_f64 v[1:2], v[30:31], -v[1:2]
	v_add_f64 v[3:4], v[32:33], -v[3:4]
	scratch_store_b128 off, v[1:4], off offset:656
	v_cmpx_lt_u32_e32 40, v138
	s_cbranch_execz .LBB47_221
; %bb.220:
	scratch_load_b128 v[1:4], v139, off
	v_mov_b32_e32 v5, 0
	s_delay_alu instid0(VALU_DEP_1)
	v_mov_b32_e32 v6, v5
	v_mov_b32_e32 v7, v5
	;; [unrolled: 1-line block ×3, first 2 shown]
	scratch_store_b128 off, v[5:8], off offset:640
	s_waitcnt vmcnt(0)
	ds_store_b128 v186, v[1:4]
.LBB47_221:
	s_or_b32 exec_lo, exec_lo, s2
	s_waitcnt lgkmcnt(0)
	s_waitcnt_vscnt null, 0x0
	s_barrier
	buffer_gl0_inv
	s_clause 0x6
	scratch_load_b128 v[2:5], off, off offset:656
	scratch_load_b128 v[6:9], off, off offset:672
	;; [unrolled: 1-line block ×7, first 2 shown]
	v_mov_b32_e32 v1, 0
	scratch_load_b128 v[34:37], off, off offset:640
	s_mov_b32 s2, exec_lo
	ds_load_b128 v[30:33], v1 offset:1424
	ds_load_b128 v[38:41], v1 offset:1440
	s_waitcnt vmcnt(7) lgkmcnt(1)
	v_mul_f64 v[187:188], v[32:33], v[4:5]
	v_mul_f64 v[4:5], v[30:31], v[4:5]
	s_waitcnt vmcnt(6) lgkmcnt(0)
	v_mul_f64 v[189:190], v[38:39], v[8:9]
	v_mul_f64 v[8:9], v[40:41], v[8:9]
	s_delay_alu instid0(VALU_DEP_4) | instskip(NEXT) | instid1(VALU_DEP_4)
	v_fma_f64 v[187:188], v[30:31], v[2:3], -v[187:188]
	v_fma_f64 v[191:192], v[32:33], v[2:3], v[4:5]
	ds_load_b128 v[2:5], v1 offset:1456
	ds_load_b128 v[30:33], v1 offset:1472
	v_fma_f64 v[40:41], v[40:41], v[6:7], v[189:190]
	v_fma_f64 v[6:7], v[38:39], v[6:7], -v[8:9]
	s_waitcnt vmcnt(5) lgkmcnt(1)
	v_mul_f64 v[193:194], v[2:3], v[12:13]
	v_mul_f64 v[12:13], v[4:5], v[12:13]
	v_add_f64 v[8:9], v[187:188], 0
	v_add_f64 v[38:39], v[191:192], 0
	s_waitcnt vmcnt(4) lgkmcnt(0)
	v_mul_f64 v[187:188], v[30:31], v[16:17]
	v_mul_f64 v[16:17], v[32:33], v[16:17]
	v_fma_f64 v[189:190], v[4:5], v[10:11], v[193:194]
	v_fma_f64 v[10:11], v[2:3], v[10:11], -v[12:13]
	v_add_f64 v[12:13], v[8:9], v[6:7]
	v_add_f64 v[38:39], v[38:39], v[40:41]
	ds_load_b128 v[2:5], v1 offset:1488
	ds_load_b128 v[6:9], v1 offset:1504
	v_fma_f64 v[32:33], v[32:33], v[14:15], v[187:188]
	v_fma_f64 v[14:15], v[30:31], v[14:15], -v[16:17]
	s_waitcnt vmcnt(3) lgkmcnt(1)
	v_mul_f64 v[40:41], v[2:3], v[20:21]
	v_mul_f64 v[20:21], v[4:5], v[20:21]
	s_waitcnt vmcnt(2) lgkmcnt(0)
	v_mul_f64 v[16:17], v[6:7], v[24:25]
	v_mul_f64 v[24:25], v[8:9], v[24:25]
	v_add_f64 v[10:11], v[12:13], v[10:11]
	v_add_f64 v[12:13], v[38:39], v[189:190]
	v_fma_f64 v[30:31], v[4:5], v[18:19], v[40:41]
	v_fma_f64 v[18:19], v[2:3], v[18:19], -v[20:21]
	ds_load_b128 v[2:5], v1 offset:1520
	v_fma_f64 v[8:9], v[8:9], v[22:23], v[16:17]
	v_fma_f64 v[6:7], v[6:7], v[22:23], -v[24:25]
	v_add_f64 v[10:11], v[10:11], v[14:15]
	v_add_f64 v[12:13], v[12:13], v[32:33]
	s_waitcnt vmcnt(1) lgkmcnt(0)
	v_mul_f64 v[14:15], v[2:3], v[28:29]
	v_mul_f64 v[20:21], v[4:5], v[28:29]
	s_delay_alu instid0(VALU_DEP_4) | instskip(NEXT) | instid1(VALU_DEP_4)
	v_add_f64 v[10:11], v[10:11], v[18:19]
	v_add_f64 v[12:13], v[12:13], v[30:31]
	s_delay_alu instid0(VALU_DEP_4) | instskip(NEXT) | instid1(VALU_DEP_4)
	v_fma_f64 v[4:5], v[4:5], v[26:27], v[14:15]
	v_fma_f64 v[2:3], v[2:3], v[26:27], -v[20:21]
	s_delay_alu instid0(VALU_DEP_4) | instskip(NEXT) | instid1(VALU_DEP_4)
	v_add_f64 v[6:7], v[10:11], v[6:7]
	v_add_f64 v[8:9], v[12:13], v[8:9]
	s_delay_alu instid0(VALU_DEP_2) | instskip(NEXT) | instid1(VALU_DEP_2)
	v_add_f64 v[2:3], v[6:7], v[2:3]
	v_add_f64 v[4:5], v[8:9], v[4:5]
	s_waitcnt vmcnt(0)
	s_delay_alu instid0(VALU_DEP_2) | instskip(NEXT) | instid1(VALU_DEP_2)
	v_add_f64 v[2:3], v[34:35], -v[2:3]
	v_add_f64 v[4:5], v[36:37], -v[4:5]
	scratch_store_b128 off, v[2:5], off offset:640
	v_cmpx_lt_u32_e32 39, v138
	s_cbranch_execz .LBB47_223
; %bb.222:
	scratch_load_b128 v[5:8], v141, off
	v_mov_b32_e32 v2, v1
	v_mov_b32_e32 v3, v1
	v_mov_b32_e32 v4, v1
	scratch_store_b128 off, v[1:4], off offset:624
	s_waitcnt vmcnt(0)
	ds_store_b128 v186, v[5:8]
.LBB47_223:
	s_or_b32 exec_lo, exec_lo, s2
	s_waitcnt lgkmcnt(0)
	s_waitcnt_vscnt null, 0x0
	s_barrier
	buffer_gl0_inv
	s_clause 0x7
	scratch_load_b128 v[2:5], off, off offset:640
	scratch_load_b128 v[6:9], off, off offset:656
	;; [unrolled: 1-line block ×8, first 2 shown]
	ds_load_b128 v[34:37], v1 offset:1408
	ds_load_b128 v[38:41], v1 offset:1424
	scratch_load_b128 v[187:190], off, off offset:624
	s_mov_b32 s2, exec_lo
	s_waitcnt vmcnt(8) lgkmcnt(1)
	v_mul_f64 v[191:192], v[36:37], v[4:5]
	v_mul_f64 v[4:5], v[34:35], v[4:5]
	s_waitcnt vmcnt(7) lgkmcnt(0)
	v_mul_f64 v[193:194], v[38:39], v[8:9]
	v_mul_f64 v[8:9], v[40:41], v[8:9]
	s_delay_alu instid0(VALU_DEP_4) | instskip(NEXT) | instid1(VALU_DEP_4)
	v_fma_f64 v[191:192], v[34:35], v[2:3], -v[191:192]
	v_fma_f64 v[195:196], v[36:37], v[2:3], v[4:5]
	ds_load_b128 v[2:5], v1 offset:1440
	ds_load_b128 v[34:37], v1 offset:1456
	v_fma_f64 v[40:41], v[40:41], v[6:7], v[193:194]
	v_fma_f64 v[6:7], v[38:39], v[6:7], -v[8:9]
	s_waitcnt vmcnt(6) lgkmcnt(1)
	v_mul_f64 v[197:198], v[2:3], v[12:13]
	v_mul_f64 v[12:13], v[4:5], v[12:13]
	v_add_f64 v[8:9], v[191:192], 0
	v_add_f64 v[38:39], v[195:196], 0
	s_waitcnt vmcnt(5) lgkmcnt(0)
	v_mul_f64 v[191:192], v[34:35], v[16:17]
	v_mul_f64 v[16:17], v[36:37], v[16:17]
	v_fma_f64 v[193:194], v[4:5], v[10:11], v[197:198]
	v_fma_f64 v[10:11], v[2:3], v[10:11], -v[12:13]
	v_add_f64 v[12:13], v[8:9], v[6:7]
	v_add_f64 v[38:39], v[38:39], v[40:41]
	ds_load_b128 v[2:5], v1 offset:1472
	ds_load_b128 v[6:9], v1 offset:1488
	v_fma_f64 v[36:37], v[36:37], v[14:15], v[191:192]
	v_fma_f64 v[14:15], v[34:35], v[14:15], -v[16:17]
	s_waitcnt vmcnt(4) lgkmcnt(1)
	v_mul_f64 v[40:41], v[2:3], v[20:21]
	v_mul_f64 v[20:21], v[4:5], v[20:21]
	s_waitcnt vmcnt(3) lgkmcnt(0)
	v_mul_f64 v[16:17], v[6:7], v[24:25]
	v_mul_f64 v[24:25], v[8:9], v[24:25]
	v_add_f64 v[10:11], v[12:13], v[10:11]
	v_add_f64 v[12:13], v[38:39], v[193:194]
	v_fma_f64 v[34:35], v[4:5], v[18:19], v[40:41]
	v_fma_f64 v[18:19], v[2:3], v[18:19], -v[20:21]
	v_fma_f64 v[8:9], v[8:9], v[22:23], v[16:17]
	v_fma_f64 v[6:7], v[6:7], v[22:23], -v[24:25]
	v_add_f64 v[14:15], v[10:11], v[14:15]
	v_add_f64 v[20:21], v[12:13], v[36:37]
	ds_load_b128 v[2:5], v1 offset:1504
	ds_load_b128 v[10:13], v1 offset:1520
	s_waitcnt vmcnt(2) lgkmcnt(1)
	v_mul_f64 v[36:37], v[2:3], v[28:29]
	v_mul_f64 v[28:29], v[4:5], v[28:29]
	v_add_f64 v[14:15], v[14:15], v[18:19]
	v_add_f64 v[16:17], v[20:21], v[34:35]
	s_waitcnt vmcnt(1) lgkmcnt(0)
	v_mul_f64 v[18:19], v[10:11], v[32:33]
	v_mul_f64 v[20:21], v[12:13], v[32:33]
	v_fma_f64 v[4:5], v[4:5], v[26:27], v[36:37]
	v_fma_f64 v[1:2], v[2:3], v[26:27], -v[28:29]
	v_add_f64 v[6:7], v[14:15], v[6:7]
	v_add_f64 v[8:9], v[16:17], v[8:9]
	v_fma_f64 v[12:13], v[12:13], v[30:31], v[18:19]
	v_fma_f64 v[10:11], v[10:11], v[30:31], -v[20:21]
	s_delay_alu instid0(VALU_DEP_4) | instskip(NEXT) | instid1(VALU_DEP_4)
	v_add_f64 v[1:2], v[6:7], v[1:2]
	v_add_f64 v[3:4], v[8:9], v[4:5]
	s_delay_alu instid0(VALU_DEP_2) | instskip(NEXT) | instid1(VALU_DEP_2)
	v_add_f64 v[1:2], v[1:2], v[10:11]
	v_add_f64 v[3:4], v[3:4], v[12:13]
	s_waitcnt vmcnt(0)
	s_delay_alu instid0(VALU_DEP_2) | instskip(NEXT) | instid1(VALU_DEP_2)
	v_add_f64 v[1:2], v[187:188], -v[1:2]
	v_add_f64 v[3:4], v[189:190], -v[3:4]
	scratch_store_b128 off, v[1:4], off offset:624
	v_cmpx_lt_u32_e32 38, v138
	s_cbranch_execz .LBB47_225
; %bb.224:
	scratch_load_b128 v[1:4], v140, off
	v_mov_b32_e32 v5, 0
	s_delay_alu instid0(VALU_DEP_1)
	v_mov_b32_e32 v6, v5
	v_mov_b32_e32 v7, v5
	;; [unrolled: 1-line block ×3, first 2 shown]
	scratch_store_b128 off, v[5:8], off offset:608
	s_waitcnt vmcnt(0)
	ds_store_b128 v186, v[1:4]
.LBB47_225:
	s_or_b32 exec_lo, exec_lo, s2
	s_waitcnt lgkmcnt(0)
	s_waitcnt_vscnt null, 0x0
	s_barrier
	buffer_gl0_inv
	s_clause 0x7
	scratch_load_b128 v[2:5], off, off offset:624
	scratch_load_b128 v[6:9], off, off offset:640
	;; [unrolled: 1-line block ×8, first 2 shown]
	v_mov_b32_e32 v1, 0
	s_mov_b32 s2, exec_lo
	ds_load_b128 v[34:37], v1 offset:1392
	s_clause 0x1
	scratch_load_b128 v[38:41], off, off offset:752
	scratch_load_b128 v[187:190], off, off offset:608
	ds_load_b128 v[191:194], v1 offset:1408
	s_waitcnt vmcnt(9) lgkmcnt(1)
	v_mul_f64 v[195:196], v[36:37], v[4:5]
	v_mul_f64 v[4:5], v[34:35], v[4:5]
	s_waitcnt vmcnt(8) lgkmcnt(0)
	v_mul_f64 v[197:198], v[191:192], v[8:9]
	v_mul_f64 v[8:9], v[193:194], v[8:9]
	s_delay_alu instid0(VALU_DEP_4) | instskip(NEXT) | instid1(VALU_DEP_4)
	v_fma_f64 v[195:196], v[34:35], v[2:3], -v[195:196]
	v_fma_f64 v[199:200], v[36:37], v[2:3], v[4:5]
	ds_load_b128 v[2:5], v1 offset:1424
	ds_load_b128 v[34:37], v1 offset:1440
	v_fma_f64 v[193:194], v[193:194], v[6:7], v[197:198]
	v_fma_f64 v[6:7], v[191:192], v[6:7], -v[8:9]
	s_waitcnt vmcnt(7) lgkmcnt(1)
	v_mul_f64 v[201:202], v[2:3], v[12:13]
	v_mul_f64 v[12:13], v[4:5], v[12:13]
	v_add_f64 v[8:9], v[195:196], 0
	v_add_f64 v[191:192], v[199:200], 0
	s_waitcnt vmcnt(6) lgkmcnt(0)
	v_mul_f64 v[195:196], v[34:35], v[16:17]
	v_mul_f64 v[16:17], v[36:37], v[16:17]
	v_fma_f64 v[197:198], v[4:5], v[10:11], v[201:202]
	v_fma_f64 v[10:11], v[2:3], v[10:11], -v[12:13]
	v_add_f64 v[12:13], v[8:9], v[6:7]
	v_add_f64 v[191:192], v[191:192], v[193:194]
	ds_load_b128 v[2:5], v1 offset:1456
	ds_load_b128 v[6:9], v1 offset:1472
	v_fma_f64 v[36:37], v[36:37], v[14:15], v[195:196]
	v_fma_f64 v[14:15], v[34:35], v[14:15], -v[16:17]
	s_waitcnt vmcnt(5) lgkmcnt(1)
	v_mul_f64 v[193:194], v[2:3], v[20:21]
	v_mul_f64 v[20:21], v[4:5], v[20:21]
	s_waitcnt vmcnt(4) lgkmcnt(0)
	v_mul_f64 v[16:17], v[6:7], v[24:25]
	v_mul_f64 v[24:25], v[8:9], v[24:25]
	v_add_f64 v[10:11], v[12:13], v[10:11]
	v_add_f64 v[12:13], v[191:192], v[197:198]
	v_fma_f64 v[34:35], v[4:5], v[18:19], v[193:194]
	v_fma_f64 v[18:19], v[2:3], v[18:19], -v[20:21]
	v_fma_f64 v[8:9], v[8:9], v[22:23], v[16:17]
	v_fma_f64 v[6:7], v[6:7], v[22:23], -v[24:25]
	v_add_f64 v[14:15], v[10:11], v[14:15]
	v_add_f64 v[20:21], v[12:13], v[36:37]
	ds_load_b128 v[2:5], v1 offset:1488
	ds_load_b128 v[10:13], v1 offset:1504
	s_waitcnt vmcnt(3) lgkmcnt(1)
	v_mul_f64 v[36:37], v[2:3], v[28:29]
	v_mul_f64 v[28:29], v[4:5], v[28:29]
	v_add_f64 v[14:15], v[14:15], v[18:19]
	v_add_f64 v[16:17], v[20:21], v[34:35]
	s_waitcnt vmcnt(2) lgkmcnt(0)
	v_mul_f64 v[18:19], v[10:11], v[32:33]
	v_mul_f64 v[20:21], v[12:13], v[32:33]
	v_fma_f64 v[22:23], v[4:5], v[26:27], v[36:37]
	v_fma_f64 v[24:25], v[2:3], v[26:27], -v[28:29]
	ds_load_b128 v[2:5], v1 offset:1520
	v_add_f64 v[6:7], v[14:15], v[6:7]
	v_add_f64 v[8:9], v[16:17], v[8:9]
	v_fma_f64 v[12:13], v[12:13], v[30:31], v[18:19]
	v_fma_f64 v[10:11], v[10:11], v[30:31], -v[20:21]
	s_waitcnt vmcnt(1) lgkmcnt(0)
	v_mul_f64 v[14:15], v[2:3], v[40:41]
	v_mul_f64 v[16:17], v[4:5], v[40:41]
	v_add_f64 v[6:7], v[6:7], v[24:25]
	v_add_f64 v[8:9], v[8:9], v[22:23]
	s_delay_alu instid0(VALU_DEP_4) | instskip(NEXT) | instid1(VALU_DEP_4)
	v_fma_f64 v[4:5], v[4:5], v[38:39], v[14:15]
	v_fma_f64 v[2:3], v[2:3], v[38:39], -v[16:17]
	s_delay_alu instid0(VALU_DEP_4) | instskip(NEXT) | instid1(VALU_DEP_4)
	v_add_f64 v[6:7], v[6:7], v[10:11]
	v_add_f64 v[8:9], v[8:9], v[12:13]
	s_delay_alu instid0(VALU_DEP_2) | instskip(NEXT) | instid1(VALU_DEP_2)
	v_add_f64 v[2:3], v[6:7], v[2:3]
	v_add_f64 v[4:5], v[8:9], v[4:5]
	s_waitcnt vmcnt(0)
	s_delay_alu instid0(VALU_DEP_2) | instskip(NEXT) | instid1(VALU_DEP_2)
	v_add_f64 v[2:3], v[187:188], -v[2:3]
	v_add_f64 v[4:5], v[189:190], -v[4:5]
	scratch_store_b128 off, v[2:5], off offset:608
	v_cmpx_lt_u32_e32 37, v138
	s_cbranch_execz .LBB47_227
; %bb.226:
	scratch_load_b128 v[5:8], v142, off
	v_mov_b32_e32 v2, v1
	v_mov_b32_e32 v3, v1
	;; [unrolled: 1-line block ×3, first 2 shown]
	scratch_store_b128 off, v[1:4], off offset:592
	s_waitcnt vmcnt(0)
	ds_store_b128 v186, v[5:8]
.LBB47_227:
	s_or_b32 exec_lo, exec_lo, s2
	s_waitcnt lgkmcnt(0)
	s_waitcnt_vscnt null, 0x0
	s_barrier
	buffer_gl0_inv
	s_clause 0x8
	scratch_load_b128 v[2:5], off, off offset:608
	scratch_load_b128 v[6:9], off, off offset:624
	;; [unrolled: 1-line block ×9, first 2 shown]
	ds_load_b128 v[38:41], v1 offset:1376
	ds_load_b128 v[187:190], v1 offset:1392
	s_clause 0x1
	scratch_load_b128 v[191:194], off, off offset:592
	scratch_load_b128 v[195:198], off, off offset:752
	s_mov_b32 s2, exec_lo
	s_waitcnt vmcnt(10) lgkmcnt(1)
	v_mul_f64 v[199:200], v[40:41], v[4:5]
	v_mul_f64 v[4:5], v[38:39], v[4:5]
	s_waitcnt vmcnt(9) lgkmcnt(0)
	v_mul_f64 v[201:202], v[187:188], v[8:9]
	v_mul_f64 v[8:9], v[189:190], v[8:9]
	s_delay_alu instid0(VALU_DEP_4) | instskip(NEXT) | instid1(VALU_DEP_4)
	v_fma_f64 v[199:200], v[38:39], v[2:3], -v[199:200]
	v_fma_f64 v[203:204], v[40:41], v[2:3], v[4:5]
	ds_load_b128 v[2:5], v1 offset:1408
	ds_load_b128 v[38:41], v1 offset:1424
	v_fma_f64 v[189:190], v[189:190], v[6:7], v[201:202]
	v_fma_f64 v[6:7], v[187:188], v[6:7], -v[8:9]
	s_waitcnt vmcnt(8) lgkmcnt(1)
	v_mul_f64 v[205:206], v[2:3], v[12:13]
	v_mul_f64 v[12:13], v[4:5], v[12:13]
	v_add_f64 v[8:9], v[199:200], 0
	v_add_f64 v[187:188], v[203:204], 0
	s_waitcnt vmcnt(7) lgkmcnt(0)
	v_mul_f64 v[199:200], v[38:39], v[16:17]
	v_mul_f64 v[16:17], v[40:41], v[16:17]
	v_fma_f64 v[201:202], v[4:5], v[10:11], v[205:206]
	v_fma_f64 v[10:11], v[2:3], v[10:11], -v[12:13]
	v_add_f64 v[12:13], v[8:9], v[6:7]
	v_add_f64 v[187:188], v[187:188], v[189:190]
	ds_load_b128 v[2:5], v1 offset:1440
	ds_load_b128 v[6:9], v1 offset:1456
	v_fma_f64 v[40:41], v[40:41], v[14:15], v[199:200]
	v_fma_f64 v[14:15], v[38:39], v[14:15], -v[16:17]
	s_waitcnt vmcnt(6) lgkmcnt(1)
	v_mul_f64 v[189:190], v[2:3], v[20:21]
	v_mul_f64 v[20:21], v[4:5], v[20:21]
	s_waitcnt vmcnt(5) lgkmcnt(0)
	v_mul_f64 v[16:17], v[6:7], v[24:25]
	v_mul_f64 v[24:25], v[8:9], v[24:25]
	v_add_f64 v[10:11], v[12:13], v[10:11]
	v_add_f64 v[12:13], v[187:188], v[201:202]
	v_fma_f64 v[38:39], v[4:5], v[18:19], v[189:190]
	v_fma_f64 v[18:19], v[2:3], v[18:19], -v[20:21]
	v_fma_f64 v[8:9], v[8:9], v[22:23], v[16:17]
	v_fma_f64 v[6:7], v[6:7], v[22:23], -v[24:25]
	v_add_f64 v[14:15], v[10:11], v[14:15]
	v_add_f64 v[20:21], v[12:13], v[40:41]
	ds_load_b128 v[2:5], v1 offset:1472
	ds_load_b128 v[10:13], v1 offset:1488
	s_waitcnt vmcnt(4) lgkmcnt(1)
	v_mul_f64 v[40:41], v[2:3], v[28:29]
	v_mul_f64 v[28:29], v[4:5], v[28:29]
	v_add_f64 v[14:15], v[14:15], v[18:19]
	v_add_f64 v[16:17], v[20:21], v[38:39]
	s_waitcnt vmcnt(3) lgkmcnt(0)
	v_mul_f64 v[18:19], v[10:11], v[32:33]
	v_mul_f64 v[20:21], v[12:13], v[32:33]
	v_fma_f64 v[22:23], v[4:5], v[26:27], v[40:41]
	v_fma_f64 v[24:25], v[2:3], v[26:27], -v[28:29]
	v_add_f64 v[14:15], v[14:15], v[6:7]
	v_add_f64 v[16:17], v[16:17], v[8:9]
	ds_load_b128 v[2:5], v1 offset:1504
	ds_load_b128 v[6:9], v1 offset:1520
	v_fma_f64 v[12:13], v[12:13], v[30:31], v[18:19]
	v_fma_f64 v[10:11], v[10:11], v[30:31], -v[20:21]
	s_waitcnt vmcnt(2) lgkmcnt(1)
	v_mul_f64 v[26:27], v[2:3], v[36:37]
	v_mul_f64 v[28:29], v[4:5], v[36:37]
	s_waitcnt vmcnt(0) lgkmcnt(0)
	v_mul_f64 v[18:19], v[6:7], v[197:198]
	v_mul_f64 v[20:21], v[8:9], v[197:198]
	v_add_f64 v[14:15], v[14:15], v[24:25]
	v_add_f64 v[16:17], v[16:17], v[22:23]
	v_fma_f64 v[4:5], v[4:5], v[34:35], v[26:27]
	v_fma_f64 v[1:2], v[2:3], v[34:35], -v[28:29]
	v_fma_f64 v[8:9], v[8:9], v[195:196], v[18:19]
	v_fma_f64 v[6:7], v[6:7], v[195:196], -v[20:21]
	v_add_f64 v[10:11], v[14:15], v[10:11]
	v_add_f64 v[12:13], v[16:17], v[12:13]
	s_delay_alu instid0(VALU_DEP_2) | instskip(NEXT) | instid1(VALU_DEP_2)
	v_add_f64 v[1:2], v[10:11], v[1:2]
	v_add_f64 v[3:4], v[12:13], v[4:5]
	s_delay_alu instid0(VALU_DEP_2) | instskip(NEXT) | instid1(VALU_DEP_2)
	;; [unrolled: 3-line block ×3, first 2 shown]
	v_add_f64 v[1:2], v[191:192], -v[1:2]
	v_add_f64 v[3:4], v[193:194], -v[3:4]
	scratch_store_b128 off, v[1:4], off offset:592
	v_cmpx_lt_u32_e32 36, v138
	s_cbranch_execz .LBB47_229
; %bb.228:
	scratch_load_b128 v[1:4], v143, off
	v_mov_b32_e32 v5, 0
	s_delay_alu instid0(VALU_DEP_1)
	v_mov_b32_e32 v6, v5
	v_mov_b32_e32 v7, v5
	;; [unrolled: 1-line block ×3, first 2 shown]
	scratch_store_b128 off, v[5:8], off offset:576
	s_waitcnt vmcnt(0)
	ds_store_b128 v186, v[1:4]
.LBB47_229:
	s_or_b32 exec_lo, exec_lo, s2
	s_waitcnt lgkmcnt(0)
	s_waitcnt_vscnt null, 0x0
	s_barrier
	buffer_gl0_inv
	s_clause 0x7
	scratch_load_b128 v[2:5], off, off offset:592
	scratch_load_b128 v[6:9], off, off offset:608
	;; [unrolled: 1-line block ×8, first 2 shown]
	v_mov_b32_e32 v1, 0
	s_mov_b32 s2, exec_lo
	ds_load_b128 v[34:37], v1 offset:1360
	s_clause 0x1
	scratch_load_b128 v[38:41], off, off offset:720
	scratch_load_b128 v[187:190], off, off offset:576
	ds_load_b128 v[191:194], v1 offset:1376
	scratch_load_b128 v[195:198], off, off offset:736
	s_waitcnt vmcnt(10) lgkmcnt(1)
	v_mul_f64 v[199:200], v[36:37], v[4:5]
	v_mul_f64 v[4:5], v[34:35], v[4:5]
	s_delay_alu instid0(VALU_DEP_2) | instskip(NEXT) | instid1(VALU_DEP_2)
	v_fma_f64 v[205:206], v[34:35], v[2:3], -v[199:200]
	v_fma_f64 v[207:208], v[36:37], v[2:3], v[4:5]
	scratch_load_b128 v[34:37], off, off offset:752
	ds_load_b128 v[2:5], v1 offset:1392
	s_waitcnt vmcnt(10) lgkmcnt(1)
	v_mul_f64 v[203:204], v[191:192], v[8:9]
	v_mul_f64 v[8:9], v[193:194], v[8:9]
	ds_load_b128 v[199:202], v1 offset:1408
	s_waitcnt vmcnt(9) lgkmcnt(1)
	v_mul_f64 v[209:210], v[2:3], v[12:13]
	v_mul_f64 v[12:13], v[4:5], v[12:13]
	v_fma_f64 v[193:194], v[193:194], v[6:7], v[203:204]
	v_fma_f64 v[6:7], v[191:192], v[6:7], -v[8:9]
	v_add_f64 v[8:9], v[205:206], 0
	v_add_f64 v[191:192], v[207:208], 0
	s_waitcnt vmcnt(8) lgkmcnt(0)
	v_mul_f64 v[203:204], v[199:200], v[16:17]
	v_mul_f64 v[16:17], v[201:202], v[16:17]
	v_fma_f64 v[205:206], v[4:5], v[10:11], v[209:210]
	v_fma_f64 v[10:11], v[2:3], v[10:11], -v[12:13]
	v_add_f64 v[12:13], v[8:9], v[6:7]
	v_add_f64 v[191:192], v[191:192], v[193:194]
	ds_load_b128 v[2:5], v1 offset:1424
	ds_load_b128 v[6:9], v1 offset:1440
	v_fma_f64 v[201:202], v[201:202], v[14:15], v[203:204]
	v_fma_f64 v[14:15], v[199:200], v[14:15], -v[16:17]
	s_waitcnt vmcnt(7) lgkmcnt(1)
	v_mul_f64 v[193:194], v[2:3], v[20:21]
	v_mul_f64 v[20:21], v[4:5], v[20:21]
	s_waitcnt vmcnt(6) lgkmcnt(0)
	v_mul_f64 v[16:17], v[6:7], v[24:25]
	v_mul_f64 v[24:25], v[8:9], v[24:25]
	v_add_f64 v[10:11], v[12:13], v[10:11]
	v_add_f64 v[12:13], v[191:192], v[205:206]
	v_fma_f64 v[191:192], v[4:5], v[18:19], v[193:194]
	v_fma_f64 v[18:19], v[2:3], v[18:19], -v[20:21]
	v_fma_f64 v[8:9], v[8:9], v[22:23], v[16:17]
	v_fma_f64 v[6:7], v[6:7], v[22:23], -v[24:25]
	v_add_f64 v[14:15], v[10:11], v[14:15]
	v_add_f64 v[20:21], v[12:13], v[201:202]
	ds_load_b128 v[2:5], v1 offset:1456
	ds_load_b128 v[10:13], v1 offset:1472
	s_waitcnt vmcnt(5) lgkmcnt(1)
	v_mul_f64 v[193:194], v[2:3], v[28:29]
	v_mul_f64 v[28:29], v[4:5], v[28:29]
	v_add_f64 v[14:15], v[14:15], v[18:19]
	v_add_f64 v[16:17], v[20:21], v[191:192]
	s_waitcnt vmcnt(4) lgkmcnt(0)
	v_mul_f64 v[18:19], v[10:11], v[32:33]
	v_mul_f64 v[20:21], v[12:13], v[32:33]
	v_fma_f64 v[22:23], v[4:5], v[26:27], v[193:194]
	v_fma_f64 v[24:25], v[2:3], v[26:27], -v[28:29]
	v_add_f64 v[14:15], v[14:15], v[6:7]
	v_add_f64 v[16:17], v[16:17], v[8:9]
	ds_load_b128 v[2:5], v1 offset:1488
	ds_load_b128 v[6:9], v1 offset:1504
	v_fma_f64 v[12:13], v[12:13], v[30:31], v[18:19]
	v_fma_f64 v[10:11], v[10:11], v[30:31], -v[20:21]
	s_waitcnt vmcnt(3) lgkmcnt(1)
	v_mul_f64 v[26:27], v[2:3], v[40:41]
	v_mul_f64 v[28:29], v[4:5], v[40:41]
	s_waitcnt vmcnt(1) lgkmcnt(0)
	v_mul_f64 v[18:19], v[6:7], v[197:198]
	v_mul_f64 v[20:21], v[8:9], v[197:198]
	v_add_f64 v[14:15], v[14:15], v[24:25]
	v_add_f64 v[16:17], v[16:17], v[22:23]
	v_fma_f64 v[22:23], v[4:5], v[38:39], v[26:27]
	v_fma_f64 v[24:25], v[2:3], v[38:39], -v[28:29]
	ds_load_b128 v[2:5], v1 offset:1520
	v_fma_f64 v[8:9], v[8:9], v[195:196], v[18:19]
	v_fma_f64 v[6:7], v[6:7], v[195:196], -v[20:21]
	v_add_f64 v[10:11], v[14:15], v[10:11]
	v_add_f64 v[12:13], v[16:17], v[12:13]
	s_waitcnt vmcnt(0) lgkmcnt(0)
	v_mul_f64 v[14:15], v[2:3], v[36:37]
	v_mul_f64 v[16:17], v[4:5], v[36:37]
	s_delay_alu instid0(VALU_DEP_4) | instskip(NEXT) | instid1(VALU_DEP_4)
	v_add_f64 v[10:11], v[10:11], v[24:25]
	v_add_f64 v[12:13], v[12:13], v[22:23]
	s_delay_alu instid0(VALU_DEP_4) | instskip(NEXT) | instid1(VALU_DEP_4)
	v_fma_f64 v[4:5], v[4:5], v[34:35], v[14:15]
	v_fma_f64 v[2:3], v[2:3], v[34:35], -v[16:17]
	s_delay_alu instid0(VALU_DEP_4) | instskip(NEXT) | instid1(VALU_DEP_4)
	v_add_f64 v[6:7], v[10:11], v[6:7]
	v_add_f64 v[8:9], v[12:13], v[8:9]
	s_delay_alu instid0(VALU_DEP_2) | instskip(NEXT) | instid1(VALU_DEP_2)
	v_add_f64 v[2:3], v[6:7], v[2:3]
	v_add_f64 v[4:5], v[8:9], v[4:5]
	s_delay_alu instid0(VALU_DEP_2) | instskip(NEXT) | instid1(VALU_DEP_2)
	v_add_f64 v[2:3], v[187:188], -v[2:3]
	v_add_f64 v[4:5], v[189:190], -v[4:5]
	scratch_store_b128 off, v[2:5], off offset:576
	v_cmpx_lt_u32_e32 35, v138
	s_cbranch_execz .LBB47_231
; %bb.230:
	scratch_load_b128 v[5:8], v149, off
	v_mov_b32_e32 v2, v1
	v_mov_b32_e32 v3, v1
	;; [unrolled: 1-line block ×3, first 2 shown]
	scratch_store_b128 off, v[1:4], off offset:560
	s_waitcnt vmcnt(0)
	ds_store_b128 v186, v[5:8]
.LBB47_231:
	s_or_b32 exec_lo, exec_lo, s2
	s_waitcnt lgkmcnt(0)
	s_waitcnt_vscnt null, 0x0
	s_barrier
	buffer_gl0_inv
	s_clause 0x8
	scratch_load_b128 v[2:5], off, off offset:576
	scratch_load_b128 v[6:9], off, off offset:592
	;; [unrolled: 1-line block ×9, first 2 shown]
	ds_load_b128 v[38:41], v1 offset:1344
	ds_load_b128 v[187:190], v1 offset:1360
	s_clause 0x1
	scratch_load_b128 v[191:194], off, off offset:560
	scratch_load_b128 v[195:198], off, off offset:720
	s_mov_b32 s2, exec_lo
	s_waitcnt vmcnt(10) lgkmcnt(1)
	v_mul_f64 v[199:200], v[40:41], v[4:5]
	v_mul_f64 v[4:5], v[38:39], v[4:5]
	s_waitcnt vmcnt(9) lgkmcnt(0)
	v_mul_f64 v[203:204], v[187:188], v[8:9]
	v_mul_f64 v[8:9], v[189:190], v[8:9]
	s_delay_alu instid0(VALU_DEP_4) | instskip(NEXT) | instid1(VALU_DEP_4)
	v_fma_f64 v[205:206], v[38:39], v[2:3], -v[199:200]
	v_fma_f64 v[207:208], v[40:41], v[2:3], v[4:5]
	ds_load_b128 v[2:5], v1 offset:1376
	ds_load_b128 v[199:202], v1 offset:1392
	scratch_load_b128 v[38:41], off, off offset:736
	v_fma_f64 v[189:190], v[189:190], v[6:7], v[203:204]
	v_fma_f64 v[187:188], v[187:188], v[6:7], -v[8:9]
	scratch_load_b128 v[6:9], off, off offset:752
	s_waitcnt vmcnt(10) lgkmcnt(1)
	v_mul_f64 v[209:210], v[2:3], v[12:13]
	v_mul_f64 v[12:13], v[4:5], v[12:13]
	v_add_f64 v[203:204], v[205:206], 0
	v_add_f64 v[205:206], v[207:208], 0
	s_waitcnt vmcnt(9) lgkmcnt(0)
	v_mul_f64 v[207:208], v[199:200], v[16:17]
	v_mul_f64 v[16:17], v[201:202], v[16:17]
	v_fma_f64 v[209:210], v[4:5], v[10:11], v[209:210]
	v_fma_f64 v[211:212], v[2:3], v[10:11], -v[12:13]
	ds_load_b128 v[2:5], v1 offset:1408
	ds_load_b128 v[10:13], v1 offset:1424
	v_add_f64 v[187:188], v[203:204], v[187:188]
	v_add_f64 v[189:190], v[205:206], v[189:190]
	v_fma_f64 v[201:202], v[201:202], v[14:15], v[207:208]
	v_fma_f64 v[14:15], v[199:200], v[14:15], -v[16:17]
	s_waitcnt vmcnt(8) lgkmcnt(1)
	v_mul_f64 v[203:204], v[2:3], v[20:21]
	v_mul_f64 v[20:21], v[4:5], v[20:21]
	v_add_f64 v[16:17], v[187:188], v[211:212]
	v_add_f64 v[187:188], v[189:190], v[209:210]
	s_waitcnt vmcnt(7) lgkmcnt(0)
	v_mul_f64 v[189:190], v[10:11], v[24:25]
	v_mul_f64 v[24:25], v[12:13], v[24:25]
	v_fma_f64 v[199:200], v[4:5], v[18:19], v[203:204]
	v_fma_f64 v[18:19], v[2:3], v[18:19], -v[20:21]
	v_add_f64 v[20:21], v[16:17], v[14:15]
	v_add_f64 v[187:188], v[187:188], v[201:202]
	ds_load_b128 v[2:5], v1 offset:1440
	ds_load_b128 v[14:17], v1 offset:1456
	v_fma_f64 v[12:13], v[12:13], v[22:23], v[189:190]
	v_fma_f64 v[10:11], v[10:11], v[22:23], -v[24:25]
	s_waitcnt vmcnt(6) lgkmcnt(1)
	v_mul_f64 v[201:202], v[2:3], v[28:29]
	v_mul_f64 v[28:29], v[4:5], v[28:29]
	s_waitcnt vmcnt(5) lgkmcnt(0)
	v_mul_f64 v[22:23], v[14:15], v[32:33]
	v_mul_f64 v[24:25], v[16:17], v[32:33]
	v_add_f64 v[18:19], v[20:21], v[18:19]
	v_add_f64 v[20:21], v[187:188], v[199:200]
	v_fma_f64 v[32:33], v[4:5], v[26:27], v[201:202]
	v_fma_f64 v[26:27], v[2:3], v[26:27], -v[28:29]
	v_fma_f64 v[16:17], v[16:17], v[30:31], v[22:23]
	v_fma_f64 v[14:15], v[14:15], v[30:31], -v[24:25]
	v_add_f64 v[18:19], v[18:19], v[10:11]
	v_add_f64 v[20:21], v[20:21], v[12:13]
	ds_load_b128 v[2:5], v1 offset:1472
	ds_load_b128 v[10:13], v1 offset:1488
	s_waitcnt vmcnt(4) lgkmcnt(1)
	v_mul_f64 v[28:29], v[2:3], v[36:37]
	v_mul_f64 v[36:37], v[4:5], v[36:37]
	s_waitcnt vmcnt(2) lgkmcnt(0)
	v_mul_f64 v[22:23], v[10:11], v[197:198]
	v_mul_f64 v[24:25], v[12:13], v[197:198]
	v_add_f64 v[18:19], v[18:19], v[26:27]
	v_add_f64 v[20:21], v[20:21], v[32:33]
	v_fma_f64 v[26:27], v[4:5], v[34:35], v[28:29]
	v_fma_f64 v[28:29], v[2:3], v[34:35], -v[36:37]
	v_fma_f64 v[12:13], v[12:13], v[195:196], v[22:23]
	v_fma_f64 v[10:11], v[10:11], v[195:196], -v[24:25]
	v_add_f64 v[18:19], v[18:19], v[14:15]
	v_add_f64 v[20:21], v[20:21], v[16:17]
	ds_load_b128 v[2:5], v1 offset:1504
	ds_load_b128 v[14:17], v1 offset:1520
	s_waitcnt vmcnt(1) lgkmcnt(1)
	v_mul_f64 v[30:31], v[2:3], v[40:41]
	v_mul_f64 v[32:33], v[4:5], v[40:41]
	s_waitcnt vmcnt(0) lgkmcnt(0)
	v_mul_f64 v[22:23], v[14:15], v[8:9]
	v_mul_f64 v[8:9], v[16:17], v[8:9]
	v_add_f64 v[18:19], v[18:19], v[28:29]
	v_add_f64 v[20:21], v[20:21], v[26:27]
	v_fma_f64 v[4:5], v[4:5], v[38:39], v[30:31]
	v_fma_f64 v[1:2], v[2:3], v[38:39], -v[32:33]
	v_fma_f64 v[16:17], v[16:17], v[6:7], v[22:23]
	v_fma_f64 v[6:7], v[14:15], v[6:7], -v[8:9]
	v_add_f64 v[10:11], v[18:19], v[10:11]
	v_add_f64 v[12:13], v[20:21], v[12:13]
	s_delay_alu instid0(VALU_DEP_2) | instskip(NEXT) | instid1(VALU_DEP_2)
	v_add_f64 v[1:2], v[10:11], v[1:2]
	v_add_f64 v[3:4], v[12:13], v[4:5]
	s_delay_alu instid0(VALU_DEP_2) | instskip(NEXT) | instid1(VALU_DEP_2)
	;; [unrolled: 3-line block ×3, first 2 shown]
	v_add_f64 v[1:2], v[191:192], -v[1:2]
	v_add_f64 v[3:4], v[193:194], -v[3:4]
	scratch_store_b128 off, v[1:4], off offset:560
	v_cmpx_lt_u32_e32 34, v138
	s_cbranch_execz .LBB47_233
; %bb.232:
	scratch_load_b128 v[1:4], v148, off
	v_mov_b32_e32 v5, 0
	s_delay_alu instid0(VALU_DEP_1)
	v_mov_b32_e32 v6, v5
	v_mov_b32_e32 v7, v5
	v_mov_b32_e32 v8, v5
	scratch_store_b128 off, v[5:8], off offset:544
	s_waitcnt vmcnt(0)
	ds_store_b128 v186, v[1:4]
.LBB47_233:
	s_or_b32 exec_lo, exec_lo, s2
	s_waitcnt lgkmcnt(0)
	s_waitcnt_vscnt null, 0x0
	s_barrier
	buffer_gl0_inv
	s_clause 0x7
	scratch_load_b128 v[2:5], off, off offset:560
	scratch_load_b128 v[6:9], off, off offset:576
	;; [unrolled: 1-line block ×8, first 2 shown]
	v_mov_b32_e32 v1, 0
	s_clause 0x1
	scratch_load_b128 v[38:41], off, off offset:688
	scratch_load_b128 v[191:194], off, off offset:704
	s_mov_b32 s2, exec_lo
	ds_load_b128 v[34:37], v1 offset:1328
	ds_load_b128 v[187:190], v1 offset:1344
	s_waitcnt vmcnt(9) lgkmcnt(1)
	v_mul_f64 v[195:196], v[36:37], v[4:5]
	v_mul_f64 v[4:5], v[34:35], v[4:5]
	s_waitcnt vmcnt(8) lgkmcnt(0)
	v_mul_f64 v[197:198], v[187:188], v[8:9]
	v_mul_f64 v[8:9], v[189:190], v[8:9]
	s_delay_alu instid0(VALU_DEP_4) | instskip(NEXT) | instid1(VALU_DEP_4)
	v_fma_f64 v[195:196], v[34:35], v[2:3], -v[195:196]
	v_fma_f64 v[199:200], v[36:37], v[2:3], v[4:5]
	ds_load_b128 v[2:5], v1 offset:1360
	scratch_load_b128 v[34:37], off, off offset:720
	v_fma_f64 v[197:198], v[189:190], v[6:7], v[197:198]
	v_fma_f64 v[203:204], v[187:188], v[6:7], -v[8:9]
	ds_load_b128 v[6:9], v1 offset:1376
	scratch_load_b128 v[187:190], off, off offset:736
	s_waitcnt vmcnt(9) lgkmcnt(1)
	v_mul_f64 v[201:202], v[2:3], v[12:13]
	v_mul_f64 v[12:13], v[4:5], v[12:13]
	s_waitcnt vmcnt(8) lgkmcnt(0)
	v_mul_f64 v[205:206], v[6:7], v[16:17]
	v_mul_f64 v[16:17], v[8:9], v[16:17]
	v_add_f64 v[195:196], v[195:196], 0
	v_add_f64 v[199:200], v[199:200], 0
	v_fma_f64 v[201:202], v[4:5], v[10:11], v[201:202]
	v_fma_f64 v[207:208], v[2:3], v[10:11], -v[12:13]
	scratch_load_b128 v[10:13], off, off offset:752
	ds_load_b128 v[2:5], v1 offset:1392
	v_add_f64 v[195:196], v[195:196], v[203:204]
	v_add_f64 v[197:198], v[199:200], v[197:198]
	v_fma_f64 v[203:204], v[8:9], v[14:15], v[205:206]
	v_fma_f64 v[14:15], v[6:7], v[14:15], -v[16:17]
	ds_load_b128 v[6:9], v1 offset:1408
	s_waitcnt vmcnt(8) lgkmcnt(1)
	v_mul_f64 v[199:200], v[2:3], v[20:21]
	v_mul_f64 v[20:21], v[4:5], v[20:21]
	v_add_f64 v[16:17], v[195:196], v[207:208]
	v_add_f64 v[195:196], v[197:198], v[201:202]
	s_waitcnt vmcnt(7) lgkmcnt(0)
	v_mul_f64 v[197:198], v[6:7], v[24:25]
	v_mul_f64 v[24:25], v[8:9], v[24:25]
	v_fma_f64 v[199:200], v[4:5], v[18:19], v[199:200]
	v_fma_f64 v[18:19], v[2:3], v[18:19], -v[20:21]
	ds_load_b128 v[2:5], v1 offset:1424
	v_add_f64 v[14:15], v[16:17], v[14:15]
	v_add_f64 v[16:17], v[195:196], v[203:204]
	v_fma_f64 v[195:196], v[8:9], v[22:23], v[197:198]
	v_fma_f64 v[22:23], v[6:7], v[22:23], -v[24:25]
	ds_load_b128 v[6:9], v1 offset:1440
	s_waitcnt vmcnt(6) lgkmcnt(1)
	v_mul_f64 v[20:21], v[2:3], v[28:29]
	v_mul_f64 v[28:29], v[4:5], v[28:29]
	s_waitcnt vmcnt(5) lgkmcnt(0)
	v_mul_f64 v[197:198], v[6:7], v[32:33]
	v_mul_f64 v[32:33], v[8:9], v[32:33]
	v_add_f64 v[18:19], v[14:15], v[18:19]
	v_add_f64 v[24:25], v[16:17], v[199:200]
	scratch_load_b128 v[14:17], off, off offset:544
	v_fma_f64 v[20:21], v[4:5], v[26:27], v[20:21]
	v_fma_f64 v[26:27], v[2:3], v[26:27], -v[28:29]
	ds_load_b128 v[2:5], v1 offset:1456
	s_waitcnt vmcnt(5) lgkmcnt(0)
	v_mul_f64 v[28:29], v[4:5], v[40:41]
	v_add_f64 v[18:19], v[18:19], v[22:23]
	v_add_f64 v[22:23], v[24:25], v[195:196]
	v_mul_f64 v[24:25], v[2:3], v[40:41]
	v_fma_f64 v[40:41], v[8:9], v[30:31], v[197:198]
	v_fma_f64 v[30:31], v[6:7], v[30:31], -v[32:33]
	ds_load_b128 v[6:9], v1 offset:1472
	v_fma_f64 v[28:29], v[2:3], v[38:39], -v[28:29]
	v_add_f64 v[18:19], v[18:19], v[26:27]
	v_add_f64 v[20:21], v[22:23], v[20:21]
	v_fma_f64 v[24:25], v[4:5], v[38:39], v[24:25]
	ds_load_b128 v[2:5], v1 offset:1488
	s_waitcnt vmcnt(4) lgkmcnt(1)
	v_mul_f64 v[22:23], v[6:7], v[193:194]
	v_mul_f64 v[26:27], v[8:9], v[193:194]
	v_add_f64 v[18:19], v[18:19], v[30:31]
	v_add_f64 v[20:21], v[20:21], v[40:41]
	s_delay_alu instid0(VALU_DEP_4) | instskip(NEXT) | instid1(VALU_DEP_4)
	v_fma_f64 v[22:23], v[8:9], v[191:192], v[22:23]
	v_fma_f64 v[26:27], v[6:7], v[191:192], -v[26:27]
	ds_load_b128 v[6:9], v1 offset:1504
	s_waitcnt vmcnt(3) lgkmcnt(1)
	v_mul_f64 v[30:31], v[2:3], v[36:37]
	v_mul_f64 v[32:33], v[4:5], v[36:37]
	v_add_f64 v[18:19], v[18:19], v[28:29]
	v_add_f64 v[20:21], v[20:21], v[24:25]
	s_delay_alu instid0(VALU_DEP_4) | instskip(NEXT) | instid1(VALU_DEP_4)
	v_fma_f64 v[30:31], v[4:5], v[34:35], v[30:31]
	v_fma_f64 v[32:33], v[2:3], v[34:35], -v[32:33]
	ds_load_b128 v[2:5], v1 offset:1520
	s_waitcnt vmcnt(2) lgkmcnt(1)
	v_mul_f64 v[24:25], v[6:7], v[189:190]
	v_mul_f64 v[28:29], v[8:9], v[189:190]
	v_add_f64 v[18:19], v[18:19], v[26:27]
	v_add_f64 v[20:21], v[20:21], v[22:23]
	s_waitcnt vmcnt(1) lgkmcnt(0)
	v_mul_f64 v[22:23], v[2:3], v[12:13]
	v_mul_f64 v[12:13], v[4:5], v[12:13]
	v_fma_f64 v[8:9], v[8:9], v[187:188], v[24:25]
	v_fma_f64 v[6:7], v[6:7], v[187:188], -v[28:29]
	v_add_f64 v[18:19], v[18:19], v[32:33]
	v_add_f64 v[20:21], v[20:21], v[30:31]
	v_fma_f64 v[4:5], v[4:5], v[10:11], v[22:23]
	v_fma_f64 v[2:3], v[2:3], v[10:11], -v[12:13]
	s_delay_alu instid0(VALU_DEP_4) | instskip(NEXT) | instid1(VALU_DEP_4)
	v_add_f64 v[6:7], v[18:19], v[6:7]
	v_add_f64 v[8:9], v[20:21], v[8:9]
	s_delay_alu instid0(VALU_DEP_2) | instskip(NEXT) | instid1(VALU_DEP_2)
	v_add_f64 v[2:3], v[6:7], v[2:3]
	v_add_f64 v[4:5], v[8:9], v[4:5]
	s_waitcnt vmcnt(0)
	s_delay_alu instid0(VALU_DEP_2) | instskip(NEXT) | instid1(VALU_DEP_2)
	v_add_f64 v[2:3], v[14:15], -v[2:3]
	v_add_f64 v[4:5], v[16:17], -v[4:5]
	scratch_store_b128 off, v[2:5], off offset:544
	v_cmpx_lt_u32_e32 33, v138
	s_cbranch_execz .LBB47_235
; %bb.234:
	scratch_load_b128 v[5:8], v153, off
	v_mov_b32_e32 v2, v1
	v_mov_b32_e32 v3, v1
	;; [unrolled: 1-line block ×3, first 2 shown]
	scratch_store_b128 off, v[1:4], off offset:528
	s_waitcnt vmcnt(0)
	ds_store_b128 v186, v[5:8]
.LBB47_235:
	s_or_b32 exec_lo, exec_lo, s2
	s_waitcnt lgkmcnt(0)
	s_waitcnt_vscnt null, 0x0
	s_barrier
	buffer_gl0_inv
	s_clause 0x7
	scratch_load_b128 v[2:5], off, off offset:544
	scratch_load_b128 v[6:9], off, off offset:560
	;; [unrolled: 1-line block ×8, first 2 shown]
	ds_load_b128 v[34:37], v1 offset:1312
	ds_load_b128 v[187:190], v1 offset:1328
	s_clause 0x1
	scratch_load_b128 v[38:41], off, off offset:672
	scratch_load_b128 v[191:194], off, off offset:688
	s_mov_b32 s2, exec_lo
	s_waitcnt vmcnt(9) lgkmcnt(1)
	v_mul_f64 v[195:196], v[36:37], v[4:5]
	v_mul_f64 v[4:5], v[34:35], v[4:5]
	s_waitcnt vmcnt(8) lgkmcnt(0)
	v_mul_f64 v[197:198], v[187:188], v[8:9]
	v_mul_f64 v[8:9], v[189:190], v[8:9]
	s_delay_alu instid0(VALU_DEP_4) | instskip(NEXT) | instid1(VALU_DEP_4)
	v_fma_f64 v[195:196], v[34:35], v[2:3], -v[195:196]
	v_fma_f64 v[199:200], v[36:37], v[2:3], v[4:5]
	scratch_load_b128 v[34:37], off, off offset:704
	ds_load_b128 v[2:5], v1 offset:1344
	v_fma_f64 v[197:198], v[189:190], v[6:7], v[197:198]
	v_fma_f64 v[203:204], v[187:188], v[6:7], -v[8:9]
	ds_load_b128 v[6:9], v1 offset:1360
	scratch_load_b128 v[187:190], off, off offset:720
	s_waitcnt vmcnt(9) lgkmcnt(1)
	v_mul_f64 v[201:202], v[2:3], v[12:13]
	v_mul_f64 v[12:13], v[4:5], v[12:13]
	s_waitcnt vmcnt(8) lgkmcnt(0)
	v_mul_f64 v[205:206], v[6:7], v[16:17]
	v_mul_f64 v[16:17], v[8:9], v[16:17]
	v_add_f64 v[195:196], v[195:196], 0
	v_add_f64 v[199:200], v[199:200], 0
	v_fma_f64 v[201:202], v[4:5], v[10:11], v[201:202]
	v_fma_f64 v[207:208], v[2:3], v[10:11], -v[12:13]
	scratch_load_b128 v[10:13], off, off offset:736
	ds_load_b128 v[2:5], v1 offset:1376
	v_add_f64 v[195:196], v[195:196], v[203:204]
	v_add_f64 v[197:198], v[199:200], v[197:198]
	v_fma_f64 v[203:204], v[8:9], v[14:15], v[205:206]
	v_fma_f64 v[205:206], v[6:7], v[14:15], -v[16:17]
	ds_load_b128 v[6:9], v1 offset:1392
	scratch_load_b128 v[14:17], off, off offset:752
	s_waitcnt vmcnt(9) lgkmcnt(1)
	v_mul_f64 v[199:200], v[2:3], v[20:21]
	v_mul_f64 v[20:21], v[4:5], v[20:21]
	v_add_f64 v[195:196], v[195:196], v[207:208]
	v_add_f64 v[197:198], v[197:198], v[201:202]
	s_waitcnt vmcnt(8) lgkmcnt(0)
	v_mul_f64 v[201:202], v[6:7], v[24:25]
	v_mul_f64 v[24:25], v[8:9], v[24:25]
	v_fma_f64 v[199:200], v[4:5], v[18:19], v[199:200]
	v_fma_f64 v[18:19], v[2:3], v[18:19], -v[20:21]
	ds_load_b128 v[2:5], v1 offset:1408
	v_add_f64 v[20:21], v[195:196], v[205:206]
	v_add_f64 v[195:196], v[197:198], v[203:204]
	v_fma_f64 v[201:202], v[8:9], v[22:23], v[201:202]
	v_fma_f64 v[22:23], v[6:7], v[22:23], -v[24:25]
	ds_load_b128 v[6:9], v1 offset:1424
	s_waitcnt vmcnt(7) lgkmcnt(1)
	v_mul_f64 v[197:198], v[2:3], v[28:29]
	v_mul_f64 v[28:29], v[4:5], v[28:29]
	s_waitcnt vmcnt(6) lgkmcnt(0)
	v_mul_f64 v[24:25], v[6:7], v[32:33]
	v_mul_f64 v[32:33], v[8:9], v[32:33]
	v_add_f64 v[18:19], v[20:21], v[18:19]
	v_add_f64 v[20:21], v[195:196], v[199:200]
	v_fma_f64 v[195:196], v[4:5], v[26:27], v[197:198]
	v_fma_f64 v[26:27], v[2:3], v[26:27], -v[28:29]
	ds_load_b128 v[2:5], v1 offset:1440
	v_fma_f64 v[24:25], v[8:9], v[30:31], v[24:25]
	v_fma_f64 v[30:31], v[6:7], v[30:31], -v[32:33]
	ds_load_b128 v[6:9], v1 offset:1456
	v_add_f64 v[22:23], v[18:19], v[22:23]
	v_add_f64 v[28:29], v[20:21], v[201:202]
	scratch_load_b128 v[18:21], off, off offset:528
	s_waitcnt vmcnt(6) lgkmcnt(1)
	v_mul_f64 v[197:198], v[2:3], v[40:41]
	v_mul_f64 v[40:41], v[4:5], v[40:41]
	s_waitcnt vmcnt(5) lgkmcnt(0)
	v_mul_f64 v[32:33], v[8:9], v[193:194]
	v_add_f64 v[22:23], v[22:23], v[26:27]
	v_add_f64 v[26:27], v[28:29], v[195:196]
	v_mul_f64 v[28:29], v[6:7], v[193:194]
	v_fma_f64 v[193:194], v[4:5], v[38:39], v[197:198]
	v_fma_f64 v[38:39], v[2:3], v[38:39], -v[40:41]
	ds_load_b128 v[2:5], v1 offset:1472
	v_fma_f64 v[32:33], v[6:7], v[191:192], -v[32:33]
	v_add_f64 v[22:23], v[22:23], v[30:31]
	v_add_f64 v[24:25], v[26:27], v[24:25]
	v_fma_f64 v[28:29], v[8:9], v[191:192], v[28:29]
	ds_load_b128 v[6:9], v1 offset:1488
	s_waitcnt vmcnt(4) lgkmcnt(1)
	v_mul_f64 v[26:27], v[2:3], v[36:37]
	v_mul_f64 v[30:31], v[4:5], v[36:37]
	s_waitcnt vmcnt(3) lgkmcnt(0)
	v_mul_f64 v[36:37], v[6:7], v[189:190]
	v_add_f64 v[22:23], v[22:23], v[38:39]
	v_add_f64 v[24:25], v[24:25], v[193:194]
	v_mul_f64 v[38:39], v[8:9], v[189:190]
	v_fma_f64 v[26:27], v[4:5], v[34:35], v[26:27]
	v_fma_f64 v[30:31], v[2:3], v[34:35], -v[30:31]
	ds_load_b128 v[2:5], v1 offset:1504
	v_add_f64 v[22:23], v[22:23], v[32:33]
	v_add_f64 v[24:25], v[24:25], v[28:29]
	v_fma_f64 v[32:33], v[8:9], v[187:188], v[36:37]
	v_fma_f64 v[34:35], v[6:7], v[187:188], -v[38:39]
	ds_load_b128 v[6:9], v1 offset:1520
	s_waitcnt vmcnt(2) lgkmcnt(1)
	v_mul_f64 v[28:29], v[2:3], v[12:13]
	v_mul_f64 v[12:13], v[4:5], v[12:13]
	v_add_f64 v[22:23], v[22:23], v[30:31]
	v_add_f64 v[24:25], v[24:25], v[26:27]
	s_waitcnt vmcnt(1) lgkmcnt(0)
	v_mul_f64 v[26:27], v[6:7], v[16:17]
	v_mul_f64 v[16:17], v[8:9], v[16:17]
	v_fma_f64 v[4:5], v[4:5], v[10:11], v[28:29]
	v_fma_f64 v[1:2], v[2:3], v[10:11], -v[12:13]
	v_add_f64 v[10:11], v[22:23], v[34:35]
	v_add_f64 v[12:13], v[24:25], v[32:33]
	v_fma_f64 v[8:9], v[8:9], v[14:15], v[26:27]
	v_fma_f64 v[6:7], v[6:7], v[14:15], -v[16:17]
	s_delay_alu instid0(VALU_DEP_4) | instskip(NEXT) | instid1(VALU_DEP_4)
	v_add_f64 v[1:2], v[10:11], v[1:2]
	v_add_f64 v[3:4], v[12:13], v[4:5]
	s_delay_alu instid0(VALU_DEP_2) | instskip(NEXT) | instid1(VALU_DEP_2)
	v_add_f64 v[1:2], v[1:2], v[6:7]
	v_add_f64 v[3:4], v[3:4], v[8:9]
	s_waitcnt vmcnt(0)
	s_delay_alu instid0(VALU_DEP_2) | instskip(NEXT) | instid1(VALU_DEP_2)
	v_add_f64 v[1:2], v[18:19], -v[1:2]
	v_add_f64 v[3:4], v[20:21], -v[3:4]
	scratch_store_b128 off, v[1:4], off offset:528
	v_cmpx_lt_u32_e32 32, v138
	s_cbranch_execz .LBB47_237
; %bb.236:
	scratch_load_b128 v[1:4], v154, off
	v_mov_b32_e32 v5, 0
	s_delay_alu instid0(VALU_DEP_1)
	v_mov_b32_e32 v6, v5
	v_mov_b32_e32 v7, v5
	v_mov_b32_e32 v8, v5
	scratch_store_b128 off, v[5:8], off offset:512
	s_waitcnt vmcnt(0)
	ds_store_b128 v186, v[1:4]
.LBB47_237:
	s_or_b32 exec_lo, exec_lo, s2
	s_waitcnt lgkmcnt(0)
	s_waitcnt_vscnt null, 0x0
	s_barrier
	buffer_gl0_inv
	s_clause 0x7
	scratch_load_b128 v[2:5], off, off offset:528
	scratch_load_b128 v[6:9], off, off offset:544
	;; [unrolled: 1-line block ×8, first 2 shown]
	v_mov_b32_e32 v1, 0
	s_clause 0x1
	scratch_load_b128 v[38:41], off, off offset:656
	scratch_load_b128 v[191:194], off, off offset:672
	s_mov_b32 s2, exec_lo
	ds_load_b128 v[34:37], v1 offset:1296
	ds_load_b128 v[187:190], v1 offset:1312
	s_waitcnt vmcnt(9) lgkmcnt(1)
	v_mul_f64 v[195:196], v[36:37], v[4:5]
	v_mul_f64 v[4:5], v[34:35], v[4:5]
	s_waitcnt vmcnt(8) lgkmcnt(0)
	v_mul_f64 v[197:198], v[187:188], v[8:9]
	v_mul_f64 v[8:9], v[189:190], v[8:9]
	s_delay_alu instid0(VALU_DEP_4) | instskip(NEXT) | instid1(VALU_DEP_4)
	v_fma_f64 v[195:196], v[34:35], v[2:3], -v[195:196]
	v_fma_f64 v[199:200], v[36:37], v[2:3], v[4:5]
	ds_load_b128 v[2:5], v1 offset:1328
	scratch_load_b128 v[34:37], off, off offset:688
	v_fma_f64 v[197:198], v[189:190], v[6:7], v[197:198]
	v_fma_f64 v[203:204], v[187:188], v[6:7], -v[8:9]
	ds_load_b128 v[6:9], v1 offset:1344
	scratch_load_b128 v[187:190], off, off offset:704
	s_waitcnt vmcnt(9) lgkmcnt(1)
	v_mul_f64 v[201:202], v[2:3], v[12:13]
	v_mul_f64 v[12:13], v[4:5], v[12:13]
	s_waitcnt vmcnt(8) lgkmcnt(0)
	v_mul_f64 v[205:206], v[6:7], v[16:17]
	v_mul_f64 v[16:17], v[8:9], v[16:17]
	v_add_f64 v[195:196], v[195:196], 0
	v_add_f64 v[199:200], v[199:200], 0
	v_fma_f64 v[201:202], v[4:5], v[10:11], v[201:202]
	v_fma_f64 v[207:208], v[2:3], v[10:11], -v[12:13]
	scratch_load_b128 v[10:13], off, off offset:720
	ds_load_b128 v[2:5], v1 offset:1360
	v_add_f64 v[195:196], v[195:196], v[203:204]
	v_add_f64 v[197:198], v[199:200], v[197:198]
	v_fma_f64 v[203:204], v[8:9], v[14:15], v[205:206]
	v_fma_f64 v[205:206], v[6:7], v[14:15], -v[16:17]
	ds_load_b128 v[6:9], v1 offset:1376
	scratch_load_b128 v[14:17], off, off offset:736
	s_waitcnt vmcnt(9) lgkmcnt(1)
	v_mul_f64 v[199:200], v[2:3], v[20:21]
	v_mul_f64 v[20:21], v[4:5], v[20:21]
	v_add_f64 v[195:196], v[195:196], v[207:208]
	v_add_f64 v[197:198], v[197:198], v[201:202]
	s_waitcnt vmcnt(8) lgkmcnt(0)
	v_mul_f64 v[201:202], v[6:7], v[24:25]
	v_mul_f64 v[24:25], v[8:9], v[24:25]
	v_fma_f64 v[199:200], v[4:5], v[18:19], v[199:200]
	v_fma_f64 v[207:208], v[2:3], v[18:19], -v[20:21]
	scratch_load_b128 v[18:21], off, off offset:752
	ds_load_b128 v[2:5], v1 offset:1392
	v_add_f64 v[195:196], v[195:196], v[205:206]
	v_add_f64 v[197:198], v[197:198], v[203:204]
	v_fma_f64 v[201:202], v[8:9], v[22:23], v[201:202]
	v_fma_f64 v[22:23], v[6:7], v[22:23], -v[24:25]
	ds_load_b128 v[6:9], v1 offset:1408
	s_waitcnt vmcnt(8) lgkmcnt(1)
	v_mul_f64 v[203:204], v[2:3], v[28:29]
	v_mul_f64 v[28:29], v[4:5], v[28:29]
	v_add_f64 v[24:25], v[195:196], v[207:208]
	v_add_f64 v[195:196], v[197:198], v[199:200]
	s_waitcnt vmcnt(7) lgkmcnt(0)
	v_mul_f64 v[197:198], v[6:7], v[32:33]
	v_mul_f64 v[32:33], v[8:9], v[32:33]
	v_fma_f64 v[199:200], v[4:5], v[26:27], v[203:204]
	v_fma_f64 v[26:27], v[2:3], v[26:27], -v[28:29]
	ds_load_b128 v[2:5], v1 offset:1424
	v_add_f64 v[22:23], v[24:25], v[22:23]
	v_add_f64 v[24:25], v[195:196], v[201:202]
	v_fma_f64 v[195:196], v[8:9], v[30:31], v[197:198]
	v_fma_f64 v[30:31], v[6:7], v[30:31], -v[32:33]
	ds_load_b128 v[6:9], v1 offset:1440
	s_waitcnt vmcnt(5) lgkmcnt(0)
	v_mul_f64 v[197:198], v[6:7], v[193:194]
	v_mul_f64 v[193:194], v[8:9], v[193:194]
	v_add_f64 v[26:27], v[22:23], v[26:27]
	v_add_f64 v[32:33], v[24:25], v[199:200]
	scratch_load_b128 v[22:25], off, off offset:512
	v_mul_f64 v[28:29], v[2:3], v[40:41]
	v_mul_f64 v[40:41], v[4:5], v[40:41]
	v_add_f64 v[26:27], v[26:27], v[30:31]
	v_add_f64 v[30:31], v[32:33], v[195:196]
	s_delay_alu instid0(VALU_DEP_4) | instskip(NEXT) | instid1(VALU_DEP_4)
	v_fma_f64 v[28:29], v[4:5], v[38:39], v[28:29]
	v_fma_f64 v[38:39], v[2:3], v[38:39], -v[40:41]
	ds_load_b128 v[2:5], v1 offset:1456
	v_fma_f64 v[40:41], v[8:9], v[191:192], v[197:198]
	v_fma_f64 v[191:192], v[6:7], v[191:192], -v[193:194]
	ds_load_b128 v[6:9], v1 offset:1472
	s_waitcnt vmcnt(5) lgkmcnt(1)
	v_mul_f64 v[32:33], v[2:3], v[36:37]
	v_mul_f64 v[36:37], v[4:5], v[36:37]
	v_add_f64 v[28:29], v[30:31], v[28:29]
	v_add_f64 v[26:27], v[26:27], v[38:39]
	s_waitcnt vmcnt(4) lgkmcnt(0)
	v_mul_f64 v[30:31], v[6:7], v[189:190]
	v_mul_f64 v[38:39], v[8:9], v[189:190]
	v_fma_f64 v[32:33], v[4:5], v[34:35], v[32:33]
	v_fma_f64 v[34:35], v[2:3], v[34:35], -v[36:37]
	ds_load_b128 v[2:5], v1 offset:1488
	v_add_f64 v[28:29], v[28:29], v[40:41]
	v_add_f64 v[26:27], v[26:27], v[191:192]
	v_fma_f64 v[30:31], v[8:9], v[187:188], v[30:31]
	v_fma_f64 v[38:39], v[6:7], v[187:188], -v[38:39]
	ds_load_b128 v[6:9], v1 offset:1504
	s_waitcnt vmcnt(3) lgkmcnt(1)
	v_mul_f64 v[36:37], v[2:3], v[12:13]
	v_mul_f64 v[12:13], v[4:5], v[12:13]
	v_add_f64 v[28:29], v[28:29], v[32:33]
	v_add_f64 v[26:27], v[26:27], v[34:35]
	s_waitcnt vmcnt(2) lgkmcnt(0)
	v_mul_f64 v[32:33], v[6:7], v[16:17]
	v_mul_f64 v[16:17], v[8:9], v[16:17]
	v_fma_f64 v[34:35], v[4:5], v[10:11], v[36:37]
	v_fma_f64 v[10:11], v[2:3], v[10:11], -v[12:13]
	ds_load_b128 v[2:5], v1 offset:1520
	v_add_f64 v[12:13], v[26:27], v[38:39]
	v_add_f64 v[26:27], v[28:29], v[30:31]
	s_waitcnt vmcnt(1) lgkmcnt(0)
	v_mul_f64 v[28:29], v[2:3], v[20:21]
	v_mul_f64 v[20:21], v[4:5], v[20:21]
	v_fma_f64 v[8:9], v[8:9], v[14:15], v[32:33]
	v_fma_f64 v[6:7], v[6:7], v[14:15], -v[16:17]
	v_add_f64 v[10:11], v[12:13], v[10:11]
	v_add_f64 v[12:13], v[26:27], v[34:35]
	v_fma_f64 v[4:5], v[4:5], v[18:19], v[28:29]
	v_fma_f64 v[2:3], v[2:3], v[18:19], -v[20:21]
	s_delay_alu instid0(VALU_DEP_4) | instskip(NEXT) | instid1(VALU_DEP_4)
	v_add_f64 v[6:7], v[10:11], v[6:7]
	v_add_f64 v[8:9], v[12:13], v[8:9]
	s_delay_alu instid0(VALU_DEP_2) | instskip(NEXT) | instid1(VALU_DEP_2)
	v_add_f64 v[2:3], v[6:7], v[2:3]
	v_add_f64 v[4:5], v[8:9], v[4:5]
	s_waitcnt vmcnt(0)
	s_delay_alu instid0(VALU_DEP_2) | instskip(NEXT) | instid1(VALU_DEP_2)
	v_add_f64 v[2:3], v[22:23], -v[2:3]
	v_add_f64 v[4:5], v[24:25], -v[4:5]
	scratch_store_b128 off, v[2:5], off offset:512
	v_cmpx_lt_u32_e32 31, v138
	s_cbranch_execz .LBB47_239
; %bb.238:
	scratch_load_b128 v[5:8], v156, off
	v_mov_b32_e32 v2, v1
	v_mov_b32_e32 v3, v1
	;; [unrolled: 1-line block ×3, first 2 shown]
	scratch_store_b128 off, v[1:4], off offset:496
	s_waitcnt vmcnt(0)
	ds_store_b128 v186, v[5:8]
.LBB47_239:
	s_or_b32 exec_lo, exec_lo, s2
	s_waitcnt lgkmcnt(0)
	s_waitcnt_vscnt null, 0x0
	s_barrier
	buffer_gl0_inv
	s_clause 0x7
	scratch_load_b128 v[2:5], off, off offset:512
	scratch_load_b128 v[6:9], off, off offset:528
	;; [unrolled: 1-line block ×8, first 2 shown]
	ds_load_b128 v[34:37], v1 offset:1280
	ds_load_b128 v[187:190], v1 offset:1296
	s_clause 0x1
	scratch_load_b128 v[38:41], off, off offset:640
	scratch_load_b128 v[191:194], off, off offset:656
	s_mov_b32 s2, exec_lo
	s_waitcnt vmcnt(9) lgkmcnt(1)
	v_mul_f64 v[195:196], v[36:37], v[4:5]
	v_mul_f64 v[4:5], v[34:35], v[4:5]
	s_waitcnt vmcnt(8) lgkmcnt(0)
	v_mul_f64 v[197:198], v[187:188], v[8:9]
	v_mul_f64 v[8:9], v[189:190], v[8:9]
	s_delay_alu instid0(VALU_DEP_4) | instskip(NEXT) | instid1(VALU_DEP_4)
	v_fma_f64 v[195:196], v[34:35], v[2:3], -v[195:196]
	v_fma_f64 v[199:200], v[36:37], v[2:3], v[4:5]
	ds_load_b128 v[2:5], v1 offset:1312
	scratch_load_b128 v[34:37], off, off offset:672
	v_fma_f64 v[197:198], v[189:190], v[6:7], v[197:198]
	v_fma_f64 v[203:204], v[187:188], v[6:7], -v[8:9]
	ds_load_b128 v[6:9], v1 offset:1328
	scratch_load_b128 v[187:190], off, off offset:688
	s_waitcnt vmcnt(9) lgkmcnt(1)
	v_mul_f64 v[201:202], v[2:3], v[12:13]
	v_mul_f64 v[12:13], v[4:5], v[12:13]
	s_waitcnt vmcnt(8) lgkmcnt(0)
	v_mul_f64 v[205:206], v[6:7], v[16:17]
	v_mul_f64 v[16:17], v[8:9], v[16:17]
	v_add_f64 v[195:196], v[195:196], 0
	v_add_f64 v[199:200], v[199:200], 0
	v_fma_f64 v[201:202], v[4:5], v[10:11], v[201:202]
	v_fma_f64 v[207:208], v[2:3], v[10:11], -v[12:13]
	scratch_load_b128 v[10:13], off, off offset:704
	ds_load_b128 v[2:5], v1 offset:1344
	v_add_f64 v[195:196], v[195:196], v[203:204]
	v_add_f64 v[197:198], v[199:200], v[197:198]
	v_fma_f64 v[203:204], v[8:9], v[14:15], v[205:206]
	v_fma_f64 v[205:206], v[6:7], v[14:15], -v[16:17]
	ds_load_b128 v[6:9], v1 offset:1360
	scratch_load_b128 v[14:17], off, off offset:720
	s_waitcnt vmcnt(9) lgkmcnt(1)
	v_mul_f64 v[199:200], v[2:3], v[20:21]
	v_mul_f64 v[20:21], v[4:5], v[20:21]
	v_add_f64 v[195:196], v[195:196], v[207:208]
	v_add_f64 v[197:198], v[197:198], v[201:202]
	s_waitcnt vmcnt(8) lgkmcnt(0)
	v_mul_f64 v[201:202], v[6:7], v[24:25]
	v_mul_f64 v[24:25], v[8:9], v[24:25]
	v_fma_f64 v[199:200], v[4:5], v[18:19], v[199:200]
	v_fma_f64 v[207:208], v[2:3], v[18:19], -v[20:21]
	scratch_load_b128 v[18:21], off, off offset:736
	ds_load_b128 v[2:5], v1 offset:1376
	v_add_f64 v[195:196], v[195:196], v[205:206]
	v_add_f64 v[197:198], v[197:198], v[203:204]
	v_fma_f64 v[201:202], v[8:9], v[22:23], v[201:202]
	v_fma_f64 v[205:206], v[6:7], v[22:23], -v[24:25]
	ds_load_b128 v[6:9], v1 offset:1392
	s_waitcnt vmcnt(8) lgkmcnt(1)
	v_mul_f64 v[203:204], v[2:3], v[28:29]
	v_mul_f64 v[28:29], v[4:5], v[28:29]
	scratch_load_b128 v[22:25], off, off offset:752
	v_add_f64 v[195:196], v[195:196], v[207:208]
	v_add_f64 v[197:198], v[197:198], v[199:200]
	s_waitcnt vmcnt(8) lgkmcnt(0)
	v_mul_f64 v[199:200], v[6:7], v[32:33]
	v_mul_f64 v[32:33], v[8:9], v[32:33]
	v_fma_f64 v[203:204], v[4:5], v[26:27], v[203:204]
	v_fma_f64 v[26:27], v[2:3], v[26:27], -v[28:29]
	ds_load_b128 v[2:5], v1 offset:1408
	v_add_f64 v[28:29], v[195:196], v[205:206]
	v_add_f64 v[195:196], v[197:198], v[201:202]
	v_fma_f64 v[199:200], v[8:9], v[30:31], v[199:200]
	v_fma_f64 v[30:31], v[6:7], v[30:31], -v[32:33]
	ds_load_b128 v[6:9], v1 offset:1424
	s_waitcnt vmcnt(7) lgkmcnt(1)
	v_mul_f64 v[197:198], v[2:3], v[40:41]
	v_mul_f64 v[40:41], v[4:5], v[40:41]
	v_add_f64 v[26:27], v[28:29], v[26:27]
	v_add_f64 v[28:29], v[195:196], v[203:204]
	s_delay_alu instid0(VALU_DEP_4) | instskip(NEXT) | instid1(VALU_DEP_4)
	v_fma_f64 v[195:196], v[4:5], v[38:39], v[197:198]
	v_fma_f64 v[38:39], v[2:3], v[38:39], -v[40:41]
	ds_load_b128 v[2:5], v1 offset:1440
	v_add_f64 v[30:31], v[26:27], v[30:31]
	v_add_f64 v[40:41], v[28:29], v[199:200]
	scratch_load_b128 v[26:29], off, off offset:496
	s_waitcnt vmcnt(7) lgkmcnt(1)
	v_mul_f64 v[32:33], v[6:7], v[193:194]
	v_mul_f64 v[193:194], v[8:9], v[193:194]
	v_add_f64 v[30:31], v[30:31], v[38:39]
	v_add_f64 v[38:39], v[40:41], v[195:196]
	s_delay_alu instid0(VALU_DEP_4) | instskip(NEXT) | instid1(VALU_DEP_4)
	v_fma_f64 v[32:33], v[8:9], v[191:192], v[32:33]
	v_fma_f64 v[191:192], v[6:7], v[191:192], -v[193:194]
	ds_load_b128 v[6:9], v1 offset:1456
	s_waitcnt vmcnt(6) lgkmcnt(1)
	v_mul_f64 v[197:198], v[2:3], v[36:37]
	v_mul_f64 v[36:37], v[4:5], v[36:37]
	s_waitcnt vmcnt(5) lgkmcnt(0)
	v_mul_f64 v[40:41], v[6:7], v[189:190]
	v_mul_f64 v[189:190], v[8:9], v[189:190]
	v_add_f64 v[32:33], v[38:39], v[32:33]
	v_add_f64 v[30:31], v[30:31], v[191:192]
	v_fma_f64 v[193:194], v[4:5], v[34:35], v[197:198]
	v_fma_f64 v[34:35], v[2:3], v[34:35], -v[36:37]
	ds_load_b128 v[2:5], v1 offset:1472
	v_fma_f64 v[38:39], v[8:9], v[187:188], v[40:41]
	v_fma_f64 v[40:41], v[6:7], v[187:188], -v[189:190]
	ds_load_b128 v[6:9], v1 offset:1488
	s_waitcnt vmcnt(4) lgkmcnt(1)
	v_mul_f64 v[36:37], v[2:3], v[12:13]
	v_mul_f64 v[12:13], v[4:5], v[12:13]
	v_add_f64 v[32:33], v[32:33], v[193:194]
	v_add_f64 v[30:31], v[30:31], v[34:35]
	s_waitcnt vmcnt(3) lgkmcnt(0)
	v_mul_f64 v[34:35], v[6:7], v[16:17]
	v_mul_f64 v[16:17], v[8:9], v[16:17]
	v_fma_f64 v[36:37], v[4:5], v[10:11], v[36:37]
	v_fma_f64 v[10:11], v[2:3], v[10:11], -v[12:13]
	ds_load_b128 v[2:5], v1 offset:1504
	v_add_f64 v[12:13], v[30:31], v[40:41]
	v_add_f64 v[30:31], v[32:33], v[38:39]
	v_fma_f64 v[34:35], v[8:9], v[14:15], v[34:35]
	v_fma_f64 v[14:15], v[6:7], v[14:15], -v[16:17]
	ds_load_b128 v[6:9], v1 offset:1520
	s_waitcnt vmcnt(2) lgkmcnt(1)
	v_mul_f64 v[32:33], v[2:3], v[20:21]
	v_mul_f64 v[20:21], v[4:5], v[20:21]
	s_waitcnt vmcnt(1) lgkmcnt(0)
	v_mul_f64 v[16:17], v[6:7], v[24:25]
	v_mul_f64 v[24:25], v[8:9], v[24:25]
	v_add_f64 v[10:11], v[12:13], v[10:11]
	v_add_f64 v[12:13], v[30:31], v[36:37]
	v_fma_f64 v[4:5], v[4:5], v[18:19], v[32:33]
	v_fma_f64 v[1:2], v[2:3], v[18:19], -v[20:21]
	v_fma_f64 v[8:9], v[8:9], v[22:23], v[16:17]
	v_fma_f64 v[6:7], v[6:7], v[22:23], -v[24:25]
	v_add_f64 v[10:11], v[10:11], v[14:15]
	v_add_f64 v[12:13], v[12:13], v[34:35]
	s_delay_alu instid0(VALU_DEP_2) | instskip(NEXT) | instid1(VALU_DEP_2)
	v_add_f64 v[1:2], v[10:11], v[1:2]
	v_add_f64 v[3:4], v[12:13], v[4:5]
	s_delay_alu instid0(VALU_DEP_2) | instskip(NEXT) | instid1(VALU_DEP_2)
	v_add_f64 v[1:2], v[1:2], v[6:7]
	v_add_f64 v[3:4], v[3:4], v[8:9]
	s_waitcnt vmcnt(0)
	s_delay_alu instid0(VALU_DEP_2) | instskip(NEXT) | instid1(VALU_DEP_2)
	v_add_f64 v[1:2], v[26:27], -v[1:2]
	v_add_f64 v[3:4], v[28:29], -v[3:4]
	scratch_store_b128 off, v[1:4], off offset:496
	v_cmpx_lt_u32_e32 30, v138
	s_cbranch_execz .LBB47_241
; %bb.240:
	scratch_load_b128 v[1:4], v155, off
	v_mov_b32_e32 v5, 0
	s_delay_alu instid0(VALU_DEP_1)
	v_mov_b32_e32 v6, v5
	v_mov_b32_e32 v7, v5
	;; [unrolled: 1-line block ×3, first 2 shown]
	scratch_store_b128 off, v[5:8], off offset:480
	s_waitcnt vmcnt(0)
	ds_store_b128 v186, v[1:4]
.LBB47_241:
	s_or_b32 exec_lo, exec_lo, s2
	s_waitcnt lgkmcnt(0)
	s_waitcnt_vscnt null, 0x0
	s_barrier
	buffer_gl0_inv
	s_clause 0x7
	scratch_load_b128 v[2:5], off, off offset:496
	scratch_load_b128 v[6:9], off, off offset:512
	;; [unrolled: 1-line block ×8, first 2 shown]
	v_mov_b32_e32 v1, 0
	s_clause 0x1
	scratch_load_b128 v[38:41], off, off offset:624
	scratch_load_b128 v[191:194], off, off offset:640
	s_mov_b32 s2, exec_lo
	ds_load_b128 v[34:37], v1 offset:1264
	ds_load_b128 v[187:190], v1 offset:1280
	s_waitcnt vmcnt(9) lgkmcnt(1)
	v_mul_f64 v[195:196], v[36:37], v[4:5]
	v_mul_f64 v[4:5], v[34:35], v[4:5]
	s_waitcnt vmcnt(8) lgkmcnt(0)
	v_mul_f64 v[197:198], v[187:188], v[8:9]
	v_mul_f64 v[8:9], v[189:190], v[8:9]
	s_delay_alu instid0(VALU_DEP_4) | instskip(NEXT) | instid1(VALU_DEP_4)
	v_fma_f64 v[195:196], v[34:35], v[2:3], -v[195:196]
	v_fma_f64 v[199:200], v[36:37], v[2:3], v[4:5]
	ds_load_b128 v[2:5], v1 offset:1296
	scratch_load_b128 v[34:37], off, off offset:656
	v_fma_f64 v[197:198], v[189:190], v[6:7], v[197:198]
	v_fma_f64 v[203:204], v[187:188], v[6:7], -v[8:9]
	ds_load_b128 v[6:9], v1 offset:1312
	scratch_load_b128 v[187:190], off, off offset:672
	s_waitcnt vmcnt(9) lgkmcnt(1)
	v_mul_f64 v[201:202], v[2:3], v[12:13]
	v_mul_f64 v[12:13], v[4:5], v[12:13]
	s_waitcnt vmcnt(8) lgkmcnt(0)
	v_mul_f64 v[205:206], v[6:7], v[16:17]
	v_mul_f64 v[16:17], v[8:9], v[16:17]
	v_add_f64 v[195:196], v[195:196], 0
	v_add_f64 v[199:200], v[199:200], 0
	v_fma_f64 v[201:202], v[4:5], v[10:11], v[201:202]
	v_fma_f64 v[207:208], v[2:3], v[10:11], -v[12:13]
	scratch_load_b128 v[10:13], off, off offset:688
	ds_load_b128 v[2:5], v1 offset:1328
	v_add_f64 v[195:196], v[195:196], v[203:204]
	v_add_f64 v[197:198], v[199:200], v[197:198]
	v_fma_f64 v[203:204], v[8:9], v[14:15], v[205:206]
	v_fma_f64 v[205:206], v[6:7], v[14:15], -v[16:17]
	ds_load_b128 v[6:9], v1 offset:1344
	scratch_load_b128 v[14:17], off, off offset:704
	s_waitcnt vmcnt(9) lgkmcnt(1)
	v_mul_f64 v[199:200], v[2:3], v[20:21]
	v_mul_f64 v[20:21], v[4:5], v[20:21]
	v_add_f64 v[195:196], v[195:196], v[207:208]
	v_add_f64 v[197:198], v[197:198], v[201:202]
	s_waitcnt vmcnt(8) lgkmcnt(0)
	v_mul_f64 v[201:202], v[6:7], v[24:25]
	v_mul_f64 v[24:25], v[8:9], v[24:25]
	v_fma_f64 v[199:200], v[4:5], v[18:19], v[199:200]
	v_fma_f64 v[207:208], v[2:3], v[18:19], -v[20:21]
	scratch_load_b128 v[18:21], off, off offset:720
	ds_load_b128 v[2:5], v1 offset:1360
	v_add_f64 v[195:196], v[195:196], v[205:206]
	v_add_f64 v[197:198], v[197:198], v[203:204]
	v_fma_f64 v[201:202], v[8:9], v[22:23], v[201:202]
	v_fma_f64 v[205:206], v[6:7], v[22:23], -v[24:25]
	ds_load_b128 v[6:9], v1 offset:1376
	s_waitcnt vmcnt(8) lgkmcnt(1)
	v_mul_f64 v[203:204], v[2:3], v[28:29]
	v_mul_f64 v[28:29], v[4:5], v[28:29]
	scratch_load_b128 v[22:25], off, off offset:736
	v_add_f64 v[195:196], v[195:196], v[207:208]
	v_add_f64 v[197:198], v[197:198], v[199:200]
	s_waitcnt vmcnt(8) lgkmcnt(0)
	v_mul_f64 v[199:200], v[6:7], v[32:33]
	v_mul_f64 v[32:33], v[8:9], v[32:33]
	v_fma_f64 v[203:204], v[4:5], v[26:27], v[203:204]
	v_fma_f64 v[207:208], v[2:3], v[26:27], -v[28:29]
	scratch_load_b128 v[26:29], off, off offset:752
	ds_load_b128 v[2:5], v1 offset:1392
	v_add_f64 v[195:196], v[195:196], v[205:206]
	v_add_f64 v[197:198], v[197:198], v[201:202]
	v_fma_f64 v[199:200], v[8:9], v[30:31], v[199:200]
	v_fma_f64 v[30:31], v[6:7], v[30:31], -v[32:33]
	ds_load_b128 v[6:9], v1 offset:1408
	s_waitcnt vmcnt(8) lgkmcnt(1)
	v_mul_f64 v[201:202], v[2:3], v[40:41]
	v_mul_f64 v[40:41], v[4:5], v[40:41]
	v_add_f64 v[32:33], v[195:196], v[207:208]
	v_add_f64 v[195:196], v[197:198], v[203:204]
	s_waitcnt vmcnt(7) lgkmcnt(0)
	v_mul_f64 v[197:198], v[6:7], v[193:194]
	v_mul_f64 v[193:194], v[8:9], v[193:194]
	v_fma_f64 v[201:202], v[4:5], v[38:39], v[201:202]
	v_fma_f64 v[38:39], v[2:3], v[38:39], -v[40:41]
	ds_load_b128 v[2:5], v1 offset:1424
	v_add_f64 v[30:31], v[32:33], v[30:31]
	v_add_f64 v[32:33], v[195:196], v[199:200]
	v_fma_f64 v[195:196], v[8:9], v[191:192], v[197:198]
	v_fma_f64 v[191:192], v[6:7], v[191:192], -v[193:194]
	ds_load_b128 v[6:9], v1 offset:1440
	s_waitcnt vmcnt(5) lgkmcnt(0)
	v_mul_f64 v[197:198], v[6:7], v[189:190]
	v_mul_f64 v[189:190], v[8:9], v[189:190]
	v_add_f64 v[38:39], v[30:31], v[38:39]
	v_add_f64 v[193:194], v[32:33], v[201:202]
	scratch_load_b128 v[30:33], off, off offset:480
	v_mul_f64 v[40:41], v[2:3], v[36:37]
	v_mul_f64 v[36:37], v[4:5], v[36:37]
	s_delay_alu instid0(VALU_DEP_2) | instskip(NEXT) | instid1(VALU_DEP_2)
	v_fma_f64 v[40:41], v[4:5], v[34:35], v[40:41]
	v_fma_f64 v[34:35], v[2:3], v[34:35], -v[36:37]
	v_add_f64 v[36:37], v[38:39], v[191:192]
	v_add_f64 v[38:39], v[193:194], v[195:196]
	ds_load_b128 v[2:5], v1 offset:1456
	v_fma_f64 v[193:194], v[8:9], v[187:188], v[197:198]
	v_fma_f64 v[187:188], v[6:7], v[187:188], -v[189:190]
	ds_load_b128 v[6:9], v1 offset:1472
	s_waitcnt vmcnt(5) lgkmcnt(1)
	v_mul_f64 v[191:192], v[2:3], v[12:13]
	v_mul_f64 v[12:13], v[4:5], v[12:13]
	v_add_f64 v[34:35], v[36:37], v[34:35]
	v_add_f64 v[36:37], v[38:39], v[40:41]
	s_waitcnt vmcnt(4) lgkmcnt(0)
	v_mul_f64 v[38:39], v[6:7], v[16:17]
	v_mul_f64 v[16:17], v[8:9], v[16:17]
	v_fma_f64 v[40:41], v[4:5], v[10:11], v[191:192]
	v_fma_f64 v[10:11], v[2:3], v[10:11], -v[12:13]
	ds_load_b128 v[2:5], v1 offset:1488
	v_add_f64 v[12:13], v[34:35], v[187:188]
	v_add_f64 v[34:35], v[36:37], v[193:194]
	v_fma_f64 v[38:39], v[8:9], v[14:15], v[38:39]
	v_fma_f64 v[14:15], v[6:7], v[14:15], -v[16:17]
	ds_load_b128 v[6:9], v1 offset:1504
	s_waitcnt vmcnt(3) lgkmcnt(1)
	v_mul_f64 v[36:37], v[2:3], v[20:21]
	v_mul_f64 v[20:21], v[4:5], v[20:21]
	s_waitcnt vmcnt(2) lgkmcnt(0)
	v_mul_f64 v[16:17], v[6:7], v[24:25]
	v_mul_f64 v[24:25], v[8:9], v[24:25]
	v_add_f64 v[10:11], v[12:13], v[10:11]
	v_add_f64 v[12:13], v[34:35], v[40:41]
	v_fma_f64 v[34:35], v[4:5], v[18:19], v[36:37]
	v_fma_f64 v[18:19], v[2:3], v[18:19], -v[20:21]
	ds_load_b128 v[2:5], v1 offset:1520
	v_fma_f64 v[8:9], v[8:9], v[22:23], v[16:17]
	v_fma_f64 v[6:7], v[6:7], v[22:23], -v[24:25]
	s_waitcnt vmcnt(1) lgkmcnt(0)
	v_mul_f64 v[20:21], v[4:5], v[28:29]
	v_add_f64 v[10:11], v[10:11], v[14:15]
	v_add_f64 v[12:13], v[12:13], v[38:39]
	v_mul_f64 v[14:15], v[2:3], v[28:29]
	s_delay_alu instid0(VALU_DEP_4) | instskip(NEXT) | instid1(VALU_DEP_4)
	v_fma_f64 v[2:3], v[2:3], v[26:27], -v[20:21]
	v_add_f64 v[10:11], v[10:11], v[18:19]
	s_delay_alu instid0(VALU_DEP_4) | instskip(NEXT) | instid1(VALU_DEP_4)
	v_add_f64 v[12:13], v[12:13], v[34:35]
	v_fma_f64 v[4:5], v[4:5], v[26:27], v[14:15]
	s_delay_alu instid0(VALU_DEP_3) | instskip(NEXT) | instid1(VALU_DEP_3)
	v_add_f64 v[6:7], v[10:11], v[6:7]
	v_add_f64 v[8:9], v[12:13], v[8:9]
	s_delay_alu instid0(VALU_DEP_2) | instskip(NEXT) | instid1(VALU_DEP_2)
	v_add_f64 v[2:3], v[6:7], v[2:3]
	v_add_f64 v[4:5], v[8:9], v[4:5]
	s_waitcnt vmcnt(0)
	s_delay_alu instid0(VALU_DEP_2) | instskip(NEXT) | instid1(VALU_DEP_2)
	v_add_f64 v[2:3], v[30:31], -v[2:3]
	v_add_f64 v[4:5], v[32:33], -v[4:5]
	scratch_store_b128 off, v[2:5], off offset:480
	v_cmpx_lt_u32_e32 29, v138
	s_cbranch_execz .LBB47_243
; %bb.242:
	scratch_load_b128 v[5:8], v157, off
	v_mov_b32_e32 v2, v1
	v_mov_b32_e32 v3, v1
	;; [unrolled: 1-line block ×3, first 2 shown]
	scratch_store_b128 off, v[1:4], off offset:464
	s_waitcnt vmcnt(0)
	ds_store_b128 v186, v[5:8]
.LBB47_243:
	s_or_b32 exec_lo, exec_lo, s2
	s_waitcnt lgkmcnt(0)
	s_waitcnt_vscnt null, 0x0
	s_barrier
	buffer_gl0_inv
	s_clause 0x7
	scratch_load_b128 v[2:5], off, off offset:480
	scratch_load_b128 v[6:9], off, off offset:496
	scratch_load_b128 v[10:13], off, off offset:512
	scratch_load_b128 v[14:17], off, off offset:528
	scratch_load_b128 v[18:21], off, off offset:544
	scratch_load_b128 v[22:25], off, off offset:560
	scratch_load_b128 v[26:29], off, off offset:576
	scratch_load_b128 v[30:33], off, off offset:592
	ds_load_b128 v[34:37], v1 offset:1248
	ds_load_b128 v[187:190], v1 offset:1264
	s_clause 0x1
	scratch_load_b128 v[38:41], off, off offset:608
	scratch_load_b128 v[191:194], off, off offset:624
	s_mov_b32 s2, exec_lo
	s_waitcnt vmcnt(9) lgkmcnt(1)
	v_mul_f64 v[195:196], v[36:37], v[4:5]
	v_mul_f64 v[4:5], v[34:35], v[4:5]
	s_waitcnt vmcnt(8) lgkmcnt(0)
	v_mul_f64 v[197:198], v[187:188], v[8:9]
	v_mul_f64 v[8:9], v[189:190], v[8:9]
	s_delay_alu instid0(VALU_DEP_4) | instskip(NEXT) | instid1(VALU_DEP_4)
	v_fma_f64 v[195:196], v[34:35], v[2:3], -v[195:196]
	v_fma_f64 v[199:200], v[36:37], v[2:3], v[4:5]
	scratch_load_b128 v[34:37], off, off offset:640
	ds_load_b128 v[2:5], v1 offset:1280
	v_fma_f64 v[197:198], v[189:190], v[6:7], v[197:198]
	v_fma_f64 v[203:204], v[187:188], v[6:7], -v[8:9]
	ds_load_b128 v[6:9], v1 offset:1296
	scratch_load_b128 v[187:190], off, off offset:656
	s_waitcnt vmcnt(9) lgkmcnt(1)
	v_mul_f64 v[201:202], v[2:3], v[12:13]
	v_mul_f64 v[12:13], v[4:5], v[12:13]
	s_waitcnt vmcnt(8) lgkmcnt(0)
	v_mul_f64 v[205:206], v[6:7], v[16:17]
	v_mul_f64 v[16:17], v[8:9], v[16:17]
	v_add_f64 v[195:196], v[195:196], 0
	v_add_f64 v[199:200], v[199:200], 0
	v_fma_f64 v[201:202], v[4:5], v[10:11], v[201:202]
	v_fma_f64 v[207:208], v[2:3], v[10:11], -v[12:13]
	scratch_load_b128 v[10:13], off, off offset:672
	ds_load_b128 v[2:5], v1 offset:1312
	v_add_f64 v[195:196], v[195:196], v[203:204]
	v_add_f64 v[197:198], v[199:200], v[197:198]
	v_fma_f64 v[203:204], v[8:9], v[14:15], v[205:206]
	v_fma_f64 v[205:206], v[6:7], v[14:15], -v[16:17]
	ds_load_b128 v[6:9], v1 offset:1328
	scratch_load_b128 v[14:17], off, off offset:688
	s_waitcnt vmcnt(9) lgkmcnt(1)
	v_mul_f64 v[199:200], v[2:3], v[20:21]
	v_mul_f64 v[20:21], v[4:5], v[20:21]
	v_add_f64 v[195:196], v[195:196], v[207:208]
	v_add_f64 v[197:198], v[197:198], v[201:202]
	s_waitcnt vmcnt(8) lgkmcnt(0)
	v_mul_f64 v[201:202], v[6:7], v[24:25]
	v_mul_f64 v[24:25], v[8:9], v[24:25]
	v_fma_f64 v[199:200], v[4:5], v[18:19], v[199:200]
	v_fma_f64 v[207:208], v[2:3], v[18:19], -v[20:21]
	scratch_load_b128 v[18:21], off, off offset:704
	ds_load_b128 v[2:5], v1 offset:1344
	v_add_f64 v[195:196], v[195:196], v[205:206]
	v_add_f64 v[197:198], v[197:198], v[203:204]
	v_fma_f64 v[201:202], v[8:9], v[22:23], v[201:202]
	v_fma_f64 v[205:206], v[6:7], v[22:23], -v[24:25]
	ds_load_b128 v[6:9], v1 offset:1360
	s_waitcnt vmcnt(8) lgkmcnt(1)
	v_mul_f64 v[203:204], v[2:3], v[28:29]
	v_mul_f64 v[28:29], v[4:5], v[28:29]
	scratch_load_b128 v[22:25], off, off offset:720
	v_add_f64 v[195:196], v[195:196], v[207:208]
	v_add_f64 v[197:198], v[197:198], v[199:200]
	s_waitcnt vmcnt(8) lgkmcnt(0)
	v_mul_f64 v[199:200], v[6:7], v[32:33]
	v_mul_f64 v[32:33], v[8:9], v[32:33]
	v_fma_f64 v[203:204], v[4:5], v[26:27], v[203:204]
	v_fma_f64 v[207:208], v[2:3], v[26:27], -v[28:29]
	scratch_load_b128 v[26:29], off, off offset:736
	ds_load_b128 v[2:5], v1 offset:1376
	v_add_f64 v[195:196], v[195:196], v[205:206]
	v_add_f64 v[197:198], v[197:198], v[201:202]
	v_fma_f64 v[199:200], v[8:9], v[30:31], v[199:200]
	v_fma_f64 v[205:206], v[6:7], v[30:31], -v[32:33]
	ds_load_b128 v[6:9], v1 offset:1392
	s_waitcnt vmcnt(8) lgkmcnt(1)
	v_mul_f64 v[201:202], v[2:3], v[40:41]
	v_mul_f64 v[40:41], v[4:5], v[40:41]
	scratch_load_b128 v[30:33], off, off offset:752
	v_add_f64 v[195:196], v[195:196], v[207:208]
	v_add_f64 v[197:198], v[197:198], v[203:204]
	v_fma_f64 v[201:202], v[4:5], v[38:39], v[201:202]
	v_fma_f64 v[38:39], v[2:3], v[38:39], -v[40:41]
	ds_load_b128 v[2:5], v1 offset:1408
	v_add_f64 v[40:41], v[195:196], v[205:206]
	v_add_f64 v[195:196], v[197:198], v[199:200]
	s_waitcnt vmcnt(7) lgkmcnt(0)
	v_mul_f64 v[197:198], v[2:3], v[36:37]
	v_mul_f64 v[36:37], v[4:5], v[36:37]
	s_delay_alu instid0(VALU_DEP_4) | instskip(NEXT) | instid1(VALU_DEP_4)
	v_add_f64 v[38:39], v[40:41], v[38:39]
	v_add_f64 v[40:41], v[195:196], v[201:202]
	s_delay_alu instid0(VALU_DEP_4) | instskip(NEXT) | instid1(VALU_DEP_4)
	v_fma_f64 v[195:196], v[4:5], v[34:35], v[197:198]
	v_fma_f64 v[197:198], v[2:3], v[34:35], -v[36:37]
	scratch_load_b128 v[34:37], off, off offset:464
	v_mul_f64 v[203:204], v[6:7], v[193:194]
	v_mul_f64 v[193:194], v[8:9], v[193:194]
	ds_load_b128 v[2:5], v1 offset:1440
	v_fma_f64 v[199:200], v[8:9], v[191:192], v[203:204]
	v_fma_f64 v[191:192], v[6:7], v[191:192], -v[193:194]
	ds_load_b128 v[6:9], v1 offset:1424
	s_waitcnt vmcnt(7) lgkmcnt(0)
	v_mul_f64 v[193:194], v[6:7], v[189:190]
	v_mul_f64 v[189:190], v[8:9], v[189:190]
	v_add_f64 v[40:41], v[40:41], v[199:200]
	v_add_f64 v[38:39], v[38:39], v[191:192]
	s_waitcnt vmcnt(6)
	v_mul_f64 v[191:192], v[2:3], v[12:13]
	v_mul_f64 v[12:13], v[4:5], v[12:13]
	v_fma_f64 v[193:194], v[8:9], v[187:188], v[193:194]
	v_fma_f64 v[187:188], v[6:7], v[187:188], -v[189:190]
	ds_load_b128 v[6:9], v1 offset:1456
	v_add_f64 v[40:41], v[40:41], v[195:196]
	v_add_f64 v[38:39], v[38:39], v[197:198]
	v_fma_f64 v[191:192], v[4:5], v[10:11], v[191:192]
	v_fma_f64 v[10:11], v[2:3], v[10:11], -v[12:13]
	ds_load_b128 v[2:5], v1 offset:1472
	s_waitcnt vmcnt(5) lgkmcnt(1)
	v_mul_f64 v[189:190], v[6:7], v[16:17]
	v_mul_f64 v[16:17], v[8:9], v[16:17]
	v_add_f64 v[12:13], v[38:39], v[187:188]
	v_add_f64 v[38:39], v[40:41], v[193:194]
	s_waitcnt vmcnt(4) lgkmcnt(0)
	v_mul_f64 v[40:41], v[2:3], v[20:21]
	v_mul_f64 v[20:21], v[4:5], v[20:21]
	v_fma_f64 v[187:188], v[8:9], v[14:15], v[189:190]
	v_fma_f64 v[14:15], v[6:7], v[14:15], -v[16:17]
	ds_load_b128 v[6:9], v1 offset:1488
	v_add_f64 v[10:11], v[12:13], v[10:11]
	v_add_f64 v[12:13], v[38:39], v[191:192]
	v_fma_f64 v[38:39], v[4:5], v[18:19], v[40:41]
	v_fma_f64 v[18:19], v[2:3], v[18:19], -v[20:21]
	ds_load_b128 v[2:5], v1 offset:1504
	s_waitcnt vmcnt(3) lgkmcnt(1)
	v_mul_f64 v[16:17], v[6:7], v[24:25]
	v_mul_f64 v[24:25], v[8:9], v[24:25]
	s_waitcnt vmcnt(2) lgkmcnt(0)
	v_mul_f64 v[20:21], v[4:5], v[28:29]
	v_add_f64 v[10:11], v[10:11], v[14:15]
	v_add_f64 v[12:13], v[12:13], v[187:188]
	v_mul_f64 v[14:15], v[2:3], v[28:29]
	v_fma_f64 v[16:17], v[8:9], v[22:23], v[16:17]
	v_fma_f64 v[22:23], v[6:7], v[22:23], -v[24:25]
	ds_load_b128 v[6:9], v1 offset:1520
	v_fma_f64 v[1:2], v[2:3], v[26:27], -v[20:21]
	s_waitcnt vmcnt(1) lgkmcnt(0)
	v_mul_f64 v[24:25], v[8:9], v[32:33]
	v_add_f64 v[10:11], v[10:11], v[18:19]
	v_add_f64 v[12:13], v[12:13], v[38:39]
	v_mul_f64 v[18:19], v[6:7], v[32:33]
	v_fma_f64 v[4:5], v[4:5], v[26:27], v[14:15]
	v_fma_f64 v[6:7], v[6:7], v[30:31], -v[24:25]
	v_add_f64 v[10:11], v[10:11], v[22:23]
	v_add_f64 v[12:13], v[12:13], v[16:17]
	v_fma_f64 v[8:9], v[8:9], v[30:31], v[18:19]
	s_delay_alu instid0(VALU_DEP_3) | instskip(NEXT) | instid1(VALU_DEP_3)
	v_add_f64 v[1:2], v[10:11], v[1:2]
	v_add_f64 v[3:4], v[12:13], v[4:5]
	s_delay_alu instid0(VALU_DEP_2) | instskip(NEXT) | instid1(VALU_DEP_2)
	v_add_f64 v[1:2], v[1:2], v[6:7]
	v_add_f64 v[3:4], v[3:4], v[8:9]
	s_waitcnt vmcnt(0)
	s_delay_alu instid0(VALU_DEP_2) | instskip(NEXT) | instid1(VALU_DEP_2)
	v_add_f64 v[1:2], v[34:35], -v[1:2]
	v_add_f64 v[3:4], v[36:37], -v[3:4]
	scratch_store_b128 off, v[1:4], off offset:464
	v_cmpx_lt_u32_e32 28, v138
	s_cbranch_execz .LBB47_245
; %bb.244:
	scratch_load_b128 v[1:4], v158, off
	v_mov_b32_e32 v5, 0
	s_delay_alu instid0(VALU_DEP_1)
	v_mov_b32_e32 v6, v5
	v_mov_b32_e32 v7, v5
	;; [unrolled: 1-line block ×3, first 2 shown]
	scratch_store_b128 off, v[5:8], off offset:448
	s_waitcnt vmcnt(0)
	ds_store_b128 v186, v[1:4]
.LBB47_245:
	s_or_b32 exec_lo, exec_lo, s2
	s_waitcnt lgkmcnt(0)
	s_waitcnt_vscnt null, 0x0
	s_barrier
	buffer_gl0_inv
	s_clause 0x7
	scratch_load_b128 v[2:5], off, off offset:464
	scratch_load_b128 v[6:9], off, off offset:480
	;; [unrolled: 1-line block ×8, first 2 shown]
	v_mov_b32_e32 v1, 0
	s_clause 0x1
	scratch_load_b128 v[38:41], off, off offset:592
	scratch_load_b128 v[191:194], off, off offset:608
	s_mov_b32 s2, exec_lo
	ds_load_b128 v[34:37], v1 offset:1232
	ds_load_b128 v[187:190], v1 offset:1248
	s_waitcnt vmcnt(9) lgkmcnt(1)
	v_mul_f64 v[195:196], v[36:37], v[4:5]
	v_mul_f64 v[4:5], v[34:35], v[4:5]
	s_waitcnt vmcnt(8) lgkmcnt(0)
	v_mul_f64 v[197:198], v[187:188], v[8:9]
	v_mul_f64 v[8:9], v[189:190], v[8:9]
	s_delay_alu instid0(VALU_DEP_4) | instskip(NEXT) | instid1(VALU_DEP_4)
	v_fma_f64 v[195:196], v[34:35], v[2:3], -v[195:196]
	v_fma_f64 v[199:200], v[36:37], v[2:3], v[4:5]
	ds_load_b128 v[2:5], v1 offset:1264
	scratch_load_b128 v[34:37], off, off offset:624
	v_fma_f64 v[197:198], v[189:190], v[6:7], v[197:198]
	v_fma_f64 v[203:204], v[187:188], v[6:7], -v[8:9]
	scratch_load_b128 v[187:190], off, off offset:640
	ds_load_b128 v[6:9], v1 offset:1280
	s_waitcnt vmcnt(9) lgkmcnt(1)
	v_mul_f64 v[201:202], v[2:3], v[12:13]
	v_mul_f64 v[12:13], v[4:5], v[12:13]
	s_waitcnt vmcnt(8) lgkmcnt(0)
	v_mul_f64 v[205:206], v[6:7], v[16:17]
	v_mul_f64 v[16:17], v[8:9], v[16:17]
	v_add_f64 v[195:196], v[195:196], 0
	v_add_f64 v[199:200], v[199:200], 0
	v_fma_f64 v[201:202], v[4:5], v[10:11], v[201:202]
	v_fma_f64 v[207:208], v[2:3], v[10:11], -v[12:13]
	ds_load_b128 v[2:5], v1 offset:1296
	scratch_load_b128 v[10:13], off, off offset:656
	v_add_f64 v[195:196], v[195:196], v[203:204]
	v_add_f64 v[197:198], v[199:200], v[197:198]
	v_fma_f64 v[203:204], v[8:9], v[14:15], v[205:206]
	v_fma_f64 v[205:206], v[6:7], v[14:15], -v[16:17]
	ds_load_b128 v[6:9], v1 offset:1312
	scratch_load_b128 v[14:17], off, off offset:672
	s_waitcnt vmcnt(9) lgkmcnt(1)
	v_mul_f64 v[199:200], v[2:3], v[20:21]
	v_mul_f64 v[20:21], v[4:5], v[20:21]
	v_add_f64 v[195:196], v[195:196], v[207:208]
	v_add_f64 v[197:198], v[197:198], v[201:202]
	s_waitcnt vmcnt(8) lgkmcnt(0)
	v_mul_f64 v[201:202], v[6:7], v[24:25]
	v_mul_f64 v[24:25], v[8:9], v[24:25]
	v_fma_f64 v[199:200], v[4:5], v[18:19], v[199:200]
	v_fma_f64 v[207:208], v[2:3], v[18:19], -v[20:21]
	scratch_load_b128 v[18:21], off, off offset:688
	ds_load_b128 v[2:5], v1 offset:1328
	v_add_f64 v[195:196], v[195:196], v[205:206]
	v_add_f64 v[197:198], v[197:198], v[203:204]
	v_fma_f64 v[201:202], v[8:9], v[22:23], v[201:202]
	v_fma_f64 v[205:206], v[6:7], v[22:23], -v[24:25]
	ds_load_b128 v[6:9], v1 offset:1344
	s_waitcnt vmcnt(8) lgkmcnt(1)
	v_mul_f64 v[203:204], v[2:3], v[28:29]
	v_mul_f64 v[28:29], v[4:5], v[28:29]
	scratch_load_b128 v[22:25], off, off offset:704
	v_add_f64 v[195:196], v[195:196], v[207:208]
	v_add_f64 v[197:198], v[197:198], v[199:200]
	s_waitcnt vmcnt(8) lgkmcnt(0)
	v_mul_f64 v[199:200], v[6:7], v[32:33]
	v_mul_f64 v[32:33], v[8:9], v[32:33]
	v_fma_f64 v[203:204], v[4:5], v[26:27], v[203:204]
	v_fma_f64 v[207:208], v[2:3], v[26:27], -v[28:29]
	scratch_load_b128 v[26:29], off, off offset:720
	ds_load_b128 v[2:5], v1 offset:1360
	v_add_f64 v[195:196], v[195:196], v[205:206]
	v_add_f64 v[197:198], v[197:198], v[201:202]
	v_fma_f64 v[199:200], v[8:9], v[30:31], v[199:200]
	v_fma_f64 v[205:206], v[6:7], v[30:31], -v[32:33]
	ds_load_b128 v[6:9], v1 offset:1376
	s_waitcnt vmcnt(8) lgkmcnt(1)
	v_mul_f64 v[201:202], v[2:3], v[40:41]
	v_mul_f64 v[40:41], v[4:5], v[40:41]
	scratch_load_b128 v[30:33], off, off offset:736
	v_add_f64 v[195:196], v[195:196], v[207:208]
	v_add_f64 v[197:198], v[197:198], v[203:204]
	s_waitcnt vmcnt(8) lgkmcnt(0)
	v_mul_f64 v[203:204], v[6:7], v[193:194]
	v_mul_f64 v[193:194], v[8:9], v[193:194]
	v_fma_f64 v[201:202], v[4:5], v[38:39], v[201:202]
	v_fma_f64 v[207:208], v[2:3], v[38:39], -v[40:41]
	scratch_load_b128 v[38:41], off, off offset:752
	ds_load_b128 v[2:5], v1 offset:1392
	v_add_f64 v[195:196], v[195:196], v[205:206]
	v_add_f64 v[197:198], v[197:198], v[199:200]
	v_fma_f64 v[203:204], v[8:9], v[191:192], v[203:204]
	v_fma_f64 v[191:192], v[6:7], v[191:192], -v[193:194]
	ds_load_b128 v[6:9], v1 offset:1408
	s_waitcnt vmcnt(8) lgkmcnt(1)
	v_mul_f64 v[199:200], v[2:3], v[36:37]
	v_mul_f64 v[36:37], v[4:5], v[36:37]
	v_add_f64 v[193:194], v[195:196], v[207:208]
	v_add_f64 v[195:196], v[197:198], v[201:202]
	s_waitcnt vmcnt(7) lgkmcnt(0)
	v_mul_f64 v[197:198], v[6:7], v[189:190]
	v_mul_f64 v[189:190], v[8:9], v[189:190]
	v_fma_f64 v[199:200], v[4:5], v[34:35], v[199:200]
	v_fma_f64 v[34:35], v[2:3], v[34:35], -v[36:37]
	ds_load_b128 v[2:5], v1 offset:1424
	v_add_f64 v[36:37], v[193:194], v[191:192]
	v_add_f64 v[191:192], v[195:196], v[203:204]
	v_fma_f64 v[195:196], v[8:9], v[187:188], v[197:198]
	v_fma_f64 v[187:188], v[6:7], v[187:188], -v[189:190]
	ds_load_b128 v[6:9], v1 offset:1440
	s_waitcnt vmcnt(5) lgkmcnt(0)
	v_mul_f64 v[197:198], v[6:7], v[16:17]
	v_mul_f64 v[16:17], v[8:9], v[16:17]
	v_add_f64 v[189:190], v[36:37], v[34:35]
	v_add_f64 v[191:192], v[191:192], v[199:200]
	scratch_load_b128 v[34:37], off, off offset:448
	v_mul_f64 v[193:194], v[2:3], v[12:13]
	v_mul_f64 v[12:13], v[4:5], v[12:13]
	s_delay_alu instid0(VALU_DEP_2) | instskip(NEXT) | instid1(VALU_DEP_2)
	v_fma_f64 v[193:194], v[4:5], v[10:11], v[193:194]
	v_fma_f64 v[10:11], v[2:3], v[10:11], -v[12:13]
	v_add_f64 v[12:13], v[189:190], v[187:188]
	v_add_f64 v[187:188], v[191:192], v[195:196]
	ds_load_b128 v[2:5], v1 offset:1456
	v_fma_f64 v[191:192], v[8:9], v[14:15], v[197:198]
	v_fma_f64 v[14:15], v[6:7], v[14:15], -v[16:17]
	ds_load_b128 v[6:9], v1 offset:1472
	s_waitcnt vmcnt(5) lgkmcnt(1)
	v_mul_f64 v[189:190], v[2:3], v[20:21]
	v_mul_f64 v[20:21], v[4:5], v[20:21]
	s_waitcnt vmcnt(4) lgkmcnt(0)
	v_mul_f64 v[16:17], v[6:7], v[24:25]
	v_mul_f64 v[24:25], v[8:9], v[24:25]
	v_add_f64 v[10:11], v[12:13], v[10:11]
	v_add_f64 v[12:13], v[187:188], v[193:194]
	v_fma_f64 v[187:188], v[4:5], v[18:19], v[189:190]
	v_fma_f64 v[18:19], v[2:3], v[18:19], -v[20:21]
	ds_load_b128 v[2:5], v1 offset:1488
	v_fma_f64 v[16:17], v[8:9], v[22:23], v[16:17]
	v_fma_f64 v[22:23], v[6:7], v[22:23], -v[24:25]
	ds_load_b128 v[6:9], v1 offset:1504
	v_add_f64 v[10:11], v[10:11], v[14:15]
	v_add_f64 v[12:13], v[12:13], v[191:192]
	s_waitcnt vmcnt(3) lgkmcnt(1)
	v_mul_f64 v[14:15], v[2:3], v[28:29]
	v_mul_f64 v[20:21], v[4:5], v[28:29]
	s_waitcnt vmcnt(2) lgkmcnt(0)
	v_mul_f64 v[24:25], v[8:9], v[32:33]
	v_add_f64 v[10:11], v[10:11], v[18:19]
	v_add_f64 v[12:13], v[12:13], v[187:188]
	v_mul_f64 v[18:19], v[6:7], v[32:33]
	v_fma_f64 v[14:15], v[4:5], v[26:27], v[14:15]
	v_fma_f64 v[20:21], v[2:3], v[26:27], -v[20:21]
	ds_load_b128 v[2:5], v1 offset:1520
	v_fma_f64 v[6:7], v[6:7], v[30:31], -v[24:25]
	v_add_f64 v[10:11], v[10:11], v[22:23]
	v_add_f64 v[12:13], v[12:13], v[16:17]
	s_waitcnt vmcnt(1) lgkmcnt(0)
	v_mul_f64 v[16:17], v[2:3], v[40:41]
	v_mul_f64 v[22:23], v[4:5], v[40:41]
	v_fma_f64 v[8:9], v[8:9], v[30:31], v[18:19]
	v_add_f64 v[10:11], v[10:11], v[20:21]
	v_add_f64 v[12:13], v[12:13], v[14:15]
	v_fma_f64 v[4:5], v[4:5], v[38:39], v[16:17]
	v_fma_f64 v[2:3], v[2:3], v[38:39], -v[22:23]
	s_delay_alu instid0(VALU_DEP_4) | instskip(NEXT) | instid1(VALU_DEP_4)
	v_add_f64 v[6:7], v[10:11], v[6:7]
	v_add_f64 v[8:9], v[12:13], v[8:9]
	s_delay_alu instid0(VALU_DEP_2) | instskip(NEXT) | instid1(VALU_DEP_2)
	v_add_f64 v[2:3], v[6:7], v[2:3]
	v_add_f64 v[4:5], v[8:9], v[4:5]
	s_waitcnt vmcnt(0)
	s_delay_alu instid0(VALU_DEP_2) | instskip(NEXT) | instid1(VALU_DEP_2)
	v_add_f64 v[2:3], v[34:35], -v[2:3]
	v_add_f64 v[4:5], v[36:37], -v[4:5]
	scratch_store_b128 off, v[2:5], off offset:448
	v_cmpx_lt_u32_e32 27, v138
	s_cbranch_execz .LBB47_247
; %bb.246:
	scratch_load_b128 v[5:8], v160, off
	v_mov_b32_e32 v2, v1
	v_mov_b32_e32 v3, v1
	;; [unrolled: 1-line block ×3, first 2 shown]
	scratch_store_b128 off, v[1:4], off offset:432
	s_waitcnt vmcnt(0)
	ds_store_b128 v186, v[5:8]
.LBB47_247:
	s_or_b32 exec_lo, exec_lo, s2
	s_waitcnt lgkmcnt(0)
	s_waitcnt_vscnt null, 0x0
	s_barrier
	buffer_gl0_inv
	s_clause 0x7
	scratch_load_b128 v[2:5], off, off offset:448
	scratch_load_b128 v[6:9], off, off offset:464
	;; [unrolled: 1-line block ×8, first 2 shown]
	ds_load_b128 v[34:37], v1 offset:1216
	ds_load_b128 v[187:190], v1 offset:1232
	s_clause 0x1
	scratch_load_b128 v[38:41], off, off offset:576
	scratch_load_b128 v[191:194], off, off offset:592
	s_mov_b32 s2, exec_lo
	s_waitcnt vmcnt(9) lgkmcnt(1)
	v_mul_f64 v[195:196], v[36:37], v[4:5]
	v_mul_f64 v[4:5], v[34:35], v[4:5]
	s_waitcnt vmcnt(8) lgkmcnt(0)
	v_mul_f64 v[197:198], v[187:188], v[8:9]
	v_mul_f64 v[8:9], v[189:190], v[8:9]
	s_delay_alu instid0(VALU_DEP_4) | instskip(NEXT) | instid1(VALU_DEP_4)
	v_fma_f64 v[195:196], v[34:35], v[2:3], -v[195:196]
	v_fma_f64 v[199:200], v[36:37], v[2:3], v[4:5]
	ds_load_b128 v[2:5], v1 offset:1248
	scratch_load_b128 v[34:37], off, off offset:608
	v_fma_f64 v[197:198], v[189:190], v[6:7], v[197:198]
	v_fma_f64 v[203:204], v[187:188], v[6:7], -v[8:9]
	ds_load_b128 v[6:9], v1 offset:1264
	scratch_load_b128 v[187:190], off, off offset:624
	s_waitcnt vmcnt(9) lgkmcnt(1)
	v_mul_f64 v[201:202], v[2:3], v[12:13]
	v_mul_f64 v[12:13], v[4:5], v[12:13]
	s_waitcnt vmcnt(8) lgkmcnt(0)
	v_mul_f64 v[205:206], v[6:7], v[16:17]
	v_mul_f64 v[16:17], v[8:9], v[16:17]
	v_add_f64 v[195:196], v[195:196], 0
	v_add_f64 v[199:200], v[199:200], 0
	v_fma_f64 v[201:202], v[4:5], v[10:11], v[201:202]
	v_fma_f64 v[207:208], v[2:3], v[10:11], -v[12:13]
	scratch_load_b128 v[10:13], off, off offset:640
	ds_load_b128 v[2:5], v1 offset:1280
	v_add_f64 v[195:196], v[195:196], v[203:204]
	v_add_f64 v[197:198], v[199:200], v[197:198]
	v_fma_f64 v[203:204], v[8:9], v[14:15], v[205:206]
	v_fma_f64 v[205:206], v[6:7], v[14:15], -v[16:17]
	ds_load_b128 v[6:9], v1 offset:1296
	scratch_load_b128 v[14:17], off, off offset:656
	s_waitcnt vmcnt(9) lgkmcnt(1)
	v_mul_f64 v[199:200], v[2:3], v[20:21]
	v_mul_f64 v[20:21], v[4:5], v[20:21]
	v_add_f64 v[195:196], v[195:196], v[207:208]
	v_add_f64 v[197:198], v[197:198], v[201:202]
	s_waitcnt vmcnt(8) lgkmcnt(0)
	v_mul_f64 v[201:202], v[6:7], v[24:25]
	v_mul_f64 v[24:25], v[8:9], v[24:25]
	v_fma_f64 v[199:200], v[4:5], v[18:19], v[199:200]
	v_fma_f64 v[207:208], v[2:3], v[18:19], -v[20:21]
	scratch_load_b128 v[18:21], off, off offset:672
	ds_load_b128 v[2:5], v1 offset:1312
	v_add_f64 v[195:196], v[195:196], v[205:206]
	v_add_f64 v[197:198], v[197:198], v[203:204]
	v_fma_f64 v[201:202], v[8:9], v[22:23], v[201:202]
	v_fma_f64 v[205:206], v[6:7], v[22:23], -v[24:25]
	ds_load_b128 v[6:9], v1 offset:1328
	s_waitcnt vmcnt(8) lgkmcnt(1)
	v_mul_f64 v[203:204], v[2:3], v[28:29]
	v_mul_f64 v[28:29], v[4:5], v[28:29]
	scratch_load_b128 v[22:25], off, off offset:688
	v_add_f64 v[195:196], v[195:196], v[207:208]
	v_add_f64 v[197:198], v[197:198], v[199:200]
	s_waitcnt vmcnt(8) lgkmcnt(0)
	v_mul_f64 v[199:200], v[6:7], v[32:33]
	v_mul_f64 v[32:33], v[8:9], v[32:33]
	v_fma_f64 v[203:204], v[4:5], v[26:27], v[203:204]
	v_fma_f64 v[207:208], v[2:3], v[26:27], -v[28:29]
	scratch_load_b128 v[26:29], off, off offset:704
	ds_load_b128 v[2:5], v1 offset:1344
	v_add_f64 v[195:196], v[195:196], v[205:206]
	v_add_f64 v[197:198], v[197:198], v[201:202]
	v_fma_f64 v[199:200], v[8:9], v[30:31], v[199:200]
	v_fma_f64 v[205:206], v[6:7], v[30:31], -v[32:33]
	ds_load_b128 v[6:9], v1 offset:1360
	s_waitcnt vmcnt(8) lgkmcnt(1)
	v_mul_f64 v[201:202], v[2:3], v[40:41]
	v_mul_f64 v[40:41], v[4:5], v[40:41]
	scratch_load_b128 v[30:33], off, off offset:720
	v_add_f64 v[195:196], v[195:196], v[207:208]
	v_add_f64 v[197:198], v[197:198], v[203:204]
	s_waitcnt vmcnt(8) lgkmcnt(0)
	v_mul_f64 v[203:204], v[6:7], v[193:194]
	v_mul_f64 v[193:194], v[8:9], v[193:194]
	v_fma_f64 v[201:202], v[4:5], v[38:39], v[201:202]
	v_fma_f64 v[207:208], v[2:3], v[38:39], -v[40:41]
	scratch_load_b128 v[38:41], off, off offset:736
	ds_load_b128 v[2:5], v1 offset:1376
	v_add_f64 v[195:196], v[195:196], v[205:206]
	v_add_f64 v[197:198], v[197:198], v[199:200]
	v_fma_f64 v[203:204], v[8:9], v[191:192], v[203:204]
	v_fma_f64 v[205:206], v[6:7], v[191:192], -v[193:194]
	ds_load_b128 v[6:9], v1 offset:1392
	scratch_load_b128 v[191:194], off, off offset:752
	s_waitcnt vmcnt(9) lgkmcnt(1)
	v_mul_f64 v[199:200], v[2:3], v[36:37]
	v_mul_f64 v[36:37], v[4:5], v[36:37]
	v_add_f64 v[195:196], v[195:196], v[207:208]
	v_add_f64 v[197:198], v[197:198], v[201:202]
	s_delay_alu instid0(VALU_DEP_4) | instskip(NEXT) | instid1(VALU_DEP_4)
	v_fma_f64 v[199:200], v[4:5], v[34:35], v[199:200]
	v_fma_f64 v[34:35], v[2:3], v[34:35], -v[36:37]
	ds_load_b128 v[2:5], v1 offset:1408
	v_add_f64 v[36:37], v[195:196], v[205:206]
	v_add_f64 v[195:196], v[197:198], v[203:204]
	s_waitcnt vmcnt(7) lgkmcnt(0)
	v_mul_f64 v[197:198], v[2:3], v[12:13]
	v_mul_f64 v[12:13], v[4:5], v[12:13]
	s_delay_alu instid0(VALU_DEP_4) | instskip(NEXT) | instid1(VALU_DEP_4)
	v_add_f64 v[34:35], v[36:37], v[34:35]
	v_add_f64 v[36:37], v[195:196], v[199:200]
	s_delay_alu instid0(VALU_DEP_4) | instskip(NEXT) | instid1(VALU_DEP_4)
	v_fma_f64 v[195:196], v[4:5], v[10:11], v[197:198]
	v_fma_f64 v[197:198], v[2:3], v[10:11], -v[12:13]
	scratch_load_b128 v[10:13], off, off offset:432
	v_mul_f64 v[201:202], v[6:7], v[189:190]
	v_mul_f64 v[189:190], v[8:9], v[189:190]
	ds_load_b128 v[2:5], v1 offset:1440
	v_fma_f64 v[201:202], v[8:9], v[187:188], v[201:202]
	v_fma_f64 v[187:188], v[6:7], v[187:188], -v[189:190]
	ds_load_b128 v[6:9], v1 offset:1424
	s_waitcnt vmcnt(7) lgkmcnt(0)
	v_mul_f64 v[189:190], v[6:7], v[16:17]
	v_mul_f64 v[16:17], v[8:9], v[16:17]
	v_add_f64 v[36:37], v[36:37], v[201:202]
	v_add_f64 v[34:35], v[34:35], v[187:188]
	s_waitcnt vmcnt(6)
	v_mul_f64 v[187:188], v[2:3], v[20:21]
	v_mul_f64 v[20:21], v[4:5], v[20:21]
	v_fma_f64 v[189:190], v[8:9], v[14:15], v[189:190]
	v_fma_f64 v[14:15], v[6:7], v[14:15], -v[16:17]
	ds_load_b128 v[6:9], v1 offset:1456
	v_add_f64 v[16:17], v[34:35], v[197:198]
	v_add_f64 v[34:35], v[36:37], v[195:196]
	v_fma_f64 v[187:188], v[4:5], v[18:19], v[187:188]
	v_fma_f64 v[18:19], v[2:3], v[18:19], -v[20:21]
	ds_load_b128 v[2:5], v1 offset:1472
	s_waitcnt vmcnt(5) lgkmcnt(1)
	v_mul_f64 v[36:37], v[6:7], v[24:25]
	v_mul_f64 v[24:25], v[8:9], v[24:25]
	s_waitcnt vmcnt(4) lgkmcnt(0)
	v_mul_f64 v[20:21], v[2:3], v[28:29]
	v_mul_f64 v[28:29], v[4:5], v[28:29]
	v_add_f64 v[14:15], v[16:17], v[14:15]
	v_add_f64 v[16:17], v[34:35], v[189:190]
	v_fma_f64 v[34:35], v[8:9], v[22:23], v[36:37]
	v_fma_f64 v[22:23], v[6:7], v[22:23], -v[24:25]
	ds_load_b128 v[6:9], v1 offset:1488
	v_fma_f64 v[20:21], v[4:5], v[26:27], v[20:21]
	v_fma_f64 v[26:27], v[2:3], v[26:27], -v[28:29]
	ds_load_b128 v[2:5], v1 offset:1504
	s_waitcnt vmcnt(3) lgkmcnt(1)
	v_mul_f64 v[24:25], v[8:9], v[32:33]
	v_add_f64 v[14:15], v[14:15], v[18:19]
	v_add_f64 v[16:17], v[16:17], v[187:188]
	v_mul_f64 v[18:19], v[6:7], v[32:33]
	s_waitcnt vmcnt(2) lgkmcnt(0)
	v_mul_f64 v[28:29], v[4:5], v[40:41]
	v_fma_f64 v[24:25], v[6:7], v[30:31], -v[24:25]
	v_add_f64 v[14:15], v[14:15], v[22:23]
	v_add_f64 v[16:17], v[16:17], v[34:35]
	v_mul_f64 v[22:23], v[2:3], v[40:41]
	v_fma_f64 v[18:19], v[8:9], v[30:31], v[18:19]
	ds_load_b128 v[6:9], v1 offset:1520
	v_fma_f64 v[1:2], v[2:3], v[38:39], -v[28:29]
	v_add_f64 v[14:15], v[14:15], v[26:27]
	v_add_f64 v[16:17], v[16:17], v[20:21]
	s_waitcnt vmcnt(1) lgkmcnt(0)
	v_mul_f64 v[20:21], v[6:7], v[193:194]
	v_mul_f64 v[26:27], v[8:9], v[193:194]
	v_fma_f64 v[4:5], v[4:5], v[38:39], v[22:23]
	v_add_f64 v[14:15], v[14:15], v[24:25]
	v_add_f64 v[16:17], v[16:17], v[18:19]
	v_fma_f64 v[8:9], v[8:9], v[191:192], v[20:21]
	v_fma_f64 v[6:7], v[6:7], v[191:192], -v[26:27]
	s_delay_alu instid0(VALU_DEP_4) | instskip(NEXT) | instid1(VALU_DEP_4)
	v_add_f64 v[1:2], v[14:15], v[1:2]
	v_add_f64 v[3:4], v[16:17], v[4:5]
	s_delay_alu instid0(VALU_DEP_2) | instskip(NEXT) | instid1(VALU_DEP_2)
	v_add_f64 v[1:2], v[1:2], v[6:7]
	v_add_f64 v[3:4], v[3:4], v[8:9]
	s_waitcnt vmcnt(0)
	s_delay_alu instid0(VALU_DEP_2) | instskip(NEXT) | instid1(VALU_DEP_2)
	v_add_f64 v[1:2], v[10:11], -v[1:2]
	v_add_f64 v[3:4], v[12:13], -v[3:4]
	scratch_store_b128 off, v[1:4], off offset:432
	v_cmpx_lt_u32_e32 26, v138
	s_cbranch_execz .LBB47_249
; %bb.248:
	scratch_load_b128 v[1:4], v159, off
	v_mov_b32_e32 v5, 0
	s_delay_alu instid0(VALU_DEP_1)
	v_mov_b32_e32 v6, v5
	v_mov_b32_e32 v7, v5
	;; [unrolled: 1-line block ×3, first 2 shown]
	scratch_store_b128 off, v[5:8], off offset:416
	s_waitcnt vmcnt(0)
	ds_store_b128 v186, v[1:4]
.LBB47_249:
	s_or_b32 exec_lo, exec_lo, s2
	s_waitcnt lgkmcnt(0)
	s_waitcnt_vscnt null, 0x0
	s_barrier
	buffer_gl0_inv
	s_clause 0x7
	scratch_load_b128 v[2:5], off, off offset:432
	scratch_load_b128 v[6:9], off, off offset:448
	;; [unrolled: 1-line block ×8, first 2 shown]
	v_mov_b32_e32 v1, 0
	s_clause 0x1
	scratch_load_b128 v[38:41], off, off offset:560
	scratch_load_b128 v[191:194], off, off offset:576
	s_mov_b32 s2, exec_lo
	ds_load_b128 v[34:37], v1 offset:1200
	ds_load_b128 v[187:190], v1 offset:1216
	s_waitcnt vmcnt(9) lgkmcnt(1)
	v_mul_f64 v[195:196], v[36:37], v[4:5]
	v_mul_f64 v[4:5], v[34:35], v[4:5]
	s_waitcnt vmcnt(8) lgkmcnt(0)
	v_mul_f64 v[197:198], v[187:188], v[8:9]
	v_mul_f64 v[8:9], v[189:190], v[8:9]
	s_delay_alu instid0(VALU_DEP_4) | instskip(NEXT) | instid1(VALU_DEP_4)
	v_fma_f64 v[195:196], v[34:35], v[2:3], -v[195:196]
	v_fma_f64 v[199:200], v[36:37], v[2:3], v[4:5]
	ds_load_b128 v[2:5], v1 offset:1232
	scratch_load_b128 v[34:37], off, off offset:592
	v_fma_f64 v[197:198], v[189:190], v[6:7], v[197:198]
	v_fma_f64 v[203:204], v[187:188], v[6:7], -v[8:9]
	scratch_load_b128 v[187:190], off, off offset:608
	ds_load_b128 v[6:9], v1 offset:1248
	s_waitcnt vmcnt(9) lgkmcnt(1)
	v_mul_f64 v[201:202], v[2:3], v[12:13]
	v_mul_f64 v[12:13], v[4:5], v[12:13]
	s_waitcnt vmcnt(8) lgkmcnt(0)
	v_mul_f64 v[205:206], v[6:7], v[16:17]
	v_mul_f64 v[16:17], v[8:9], v[16:17]
	v_add_f64 v[195:196], v[195:196], 0
	v_add_f64 v[199:200], v[199:200], 0
	v_fma_f64 v[201:202], v[4:5], v[10:11], v[201:202]
	v_fma_f64 v[207:208], v[2:3], v[10:11], -v[12:13]
	ds_load_b128 v[2:5], v1 offset:1264
	scratch_load_b128 v[10:13], off, off offset:624
	v_add_f64 v[195:196], v[195:196], v[203:204]
	v_add_f64 v[197:198], v[199:200], v[197:198]
	v_fma_f64 v[203:204], v[8:9], v[14:15], v[205:206]
	v_fma_f64 v[205:206], v[6:7], v[14:15], -v[16:17]
	scratch_load_b128 v[14:17], off, off offset:640
	ds_load_b128 v[6:9], v1 offset:1280
	s_waitcnt vmcnt(9) lgkmcnt(1)
	v_mul_f64 v[199:200], v[2:3], v[20:21]
	v_mul_f64 v[20:21], v[4:5], v[20:21]
	v_add_f64 v[195:196], v[195:196], v[207:208]
	v_add_f64 v[197:198], v[197:198], v[201:202]
	s_waitcnt vmcnt(8) lgkmcnt(0)
	v_mul_f64 v[201:202], v[6:7], v[24:25]
	v_mul_f64 v[24:25], v[8:9], v[24:25]
	v_fma_f64 v[199:200], v[4:5], v[18:19], v[199:200]
	v_fma_f64 v[207:208], v[2:3], v[18:19], -v[20:21]
	ds_load_b128 v[2:5], v1 offset:1296
	scratch_load_b128 v[18:21], off, off offset:656
	v_add_f64 v[195:196], v[195:196], v[205:206]
	v_add_f64 v[197:198], v[197:198], v[203:204]
	v_fma_f64 v[201:202], v[8:9], v[22:23], v[201:202]
	v_fma_f64 v[205:206], v[6:7], v[22:23], -v[24:25]
	ds_load_b128 v[6:9], v1 offset:1312
	s_waitcnt vmcnt(8) lgkmcnt(1)
	v_mul_f64 v[203:204], v[2:3], v[28:29]
	v_mul_f64 v[28:29], v[4:5], v[28:29]
	scratch_load_b128 v[22:25], off, off offset:672
	v_add_f64 v[195:196], v[195:196], v[207:208]
	v_add_f64 v[197:198], v[197:198], v[199:200]
	s_waitcnt vmcnt(8) lgkmcnt(0)
	v_mul_f64 v[199:200], v[6:7], v[32:33]
	v_mul_f64 v[32:33], v[8:9], v[32:33]
	v_fma_f64 v[203:204], v[4:5], v[26:27], v[203:204]
	v_fma_f64 v[207:208], v[2:3], v[26:27], -v[28:29]
	scratch_load_b128 v[26:29], off, off offset:688
	ds_load_b128 v[2:5], v1 offset:1328
	v_add_f64 v[195:196], v[195:196], v[205:206]
	v_add_f64 v[197:198], v[197:198], v[201:202]
	v_fma_f64 v[199:200], v[8:9], v[30:31], v[199:200]
	v_fma_f64 v[205:206], v[6:7], v[30:31], -v[32:33]
	ds_load_b128 v[6:9], v1 offset:1344
	s_waitcnt vmcnt(8) lgkmcnt(1)
	v_mul_f64 v[201:202], v[2:3], v[40:41]
	v_mul_f64 v[40:41], v[4:5], v[40:41]
	scratch_load_b128 v[30:33], off, off offset:704
	v_add_f64 v[195:196], v[195:196], v[207:208]
	v_add_f64 v[197:198], v[197:198], v[203:204]
	s_waitcnt vmcnt(8) lgkmcnt(0)
	v_mul_f64 v[203:204], v[6:7], v[193:194]
	v_mul_f64 v[193:194], v[8:9], v[193:194]
	v_fma_f64 v[201:202], v[4:5], v[38:39], v[201:202]
	v_fma_f64 v[207:208], v[2:3], v[38:39], -v[40:41]
	scratch_load_b128 v[38:41], off, off offset:720
	ds_load_b128 v[2:5], v1 offset:1360
	v_add_f64 v[195:196], v[195:196], v[205:206]
	v_add_f64 v[197:198], v[197:198], v[199:200]
	v_fma_f64 v[203:204], v[8:9], v[191:192], v[203:204]
	v_fma_f64 v[205:206], v[6:7], v[191:192], -v[193:194]
	ds_load_b128 v[6:9], v1 offset:1376
	scratch_load_b128 v[191:194], off, off offset:736
	s_waitcnt vmcnt(9) lgkmcnt(1)
	v_mul_f64 v[199:200], v[2:3], v[36:37]
	v_mul_f64 v[36:37], v[4:5], v[36:37]
	v_add_f64 v[195:196], v[195:196], v[207:208]
	v_add_f64 v[197:198], v[197:198], v[201:202]
	s_waitcnt vmcnt(8) lgkmcnt(0)
	v_mul_f64 v[201:202], v[6:7], v[189:190]
	v_mul_f64 v[189:190], v[8:9], v[189:190]
	v_fma_f64 v[199:200], v[4:5], v[34:35], v[199:200]
	v_fma_f64 v[207:208], v[2:3], v[34:35], -v[36:37]
	scratch_load_b128 v[34:37], off, off offset:752
	ds_load_b128 v[2:5], v1 offset:1392
	v_add_f64 v[195:196], v[195:196], v[205:206]
	v_add_f64 v[197:198], v[197:198], v[203:204]
	v_fma_f64 v[201:202], v[8:9], v[187:188], v[201:202]
	v_fma_f64 v[187:188], v[6:7], v[187:188], -v[189:190]
	ds_load_b128 v[6:9], v1 offset:1408
	s_waitcnt vmcnt(8) lgkmcnt(1)
	v_mul_f64 v[203:204], v[2:3], v[12:13]
	v_mul_f64 v[12:13], v[4:5], v[12:13]
	v_add_f64 v[189:190], v[195:196], v[207:208]
	v_add_f64 v[195:196], v[197:198], v[199:200]
	s_waitcnt vmcnt(7) lgkmcnt(0)
	v_mul_f64 v[197:198], v[6:7], v[16:17]
	v_mul_f64 v[16:17], v[8:9], v[16:17]
	v_fma_f64 v[199:200], v[4:5], v[10:11], v[203:204]
	v_fma_f64 v[10:11], v[2:3], v[10:11], -v[12:13]
	ds_load_b128 v[2:5], v1 offset:1424
	v_add_f64 v[12:13], v[189:190], v[187:188]
	v_add_f64 v[187:188], v[195:196], v[201:202]
	v_fma_f64 v[195:196], v[8:9], v[14:15], v[197:198]
	v_fma_f64 v[14:15], v[6:7], v[14:15], -v[16:17]
	ds_load_b128 v[6:9], v1 offset:1440
	s_waitcnt vmcnt(5) lgkmcnt(0)
	v_mul_f64 v[197:198], v[6:7], v[24:25]
	v_mul_f64 v[24:25], v[8:9], v[24:25]
	v_add_f64 v[16:17], v[12:13], v[10:11]
	v_add_f64 v[187:188], v[187:188], v[199:200]
	scratch_load_b128 v[10:13], off, off offset:416
	v_mul_f64 v[189:190], v[2:3], v[20:21]
	v_mul_f64 v[20:21], v[4:5], v[20:21]
	v_add_f64 v[14:15], v[16:17], v[14:15]
	v_add_f64 v[16:17], v[187:188], v[195:196]
	v_fma_f64 v[187:188], v[8:9], v[22:23], v[197:198]
	v_fma_f64 v[189:190], v[4:5], v[18:19], v[189:190]
	v_fma_f64 v[18:19], v[2:3], v[18:19], -v[20:21]
	ds_load_b128 v[2:5], v1 offset:1456
	v_fma_f64 v[22:23], v[6:7], v[22:23], -v[24:25]
	ds_load_b128 v[6:9], v1 offset:1472
	s_waitcnt vmcnt(5) lgkmcnt(1)
	v_mul_f64 v[20:21], v[2:3], v[28:29]
	v_mul_f64 v[28:29], v[4:5], v[28:29]
	s_waitcnt vmcnt(4) lgkmcnt(0)
	v_mul_f64 v[24:25], v[8:9], v[32:33]
	v_add_f64 v[16:17], v[16:17], v[189:190]
	v_add_f64 v[14:15], v[14:15], v[18:19]
	v_mul_f64 v[18:19], v[6:7], v[32:33]
	v_fma_f64 v[20:21], v[4:5], v[26:27], v[20:21]
	v_fma_f64 v[26:27], v[2:3], v[26:27], -v[28:29]
	ds_load_b128 v[2:5], v1 offset:1488
	v_fma_f64 v[24:25], v[6:7], v[30:31], -v[24:25]
	v_add_f64 v[16:17], v[16:17], v[187:188]
	v_add_f64 v[14:15], v[14:15], v[22:23]
	v_fma_f64 v[18:19], v[8:9], v[30:31], v[18:19]
	ds_load_b128 v[6:9], v1 offset:1504
	s_waitcnt vmcnt(3) lgkmcnt(1)
	v_mul_f64 v[22:23], v[2:3], v[40:41]
	v_mul_f64 v[28:29], v[4:5], v[40:41]
	v_add_f64 v[16:17], v[16:17], v[20:21]
	v_add_f64 v[14:15], v[14:15], v[26:27]
	s_waitcnt vmcnt(2) lgkmcnt(0)
	v_mul_f64 v[20:21], v[6:7], v[193:194]
	v_mul_f64 v[26:27], v[8:9], v[193:194]
	v_fma_f64 v[22:23], v[4:5], v[38:39], v[22:23]
	v_fma_f64 v[28:29], v[2:3], v[38:39], -v[28:29]
	ds_load_b128 v[2:5], v1 offset:1520
	v_add_f64 v[16:17], v[16:17], v[18:19]
	v_add_f64 v[14:15], v[14:15], v[24:25]
	s_waitcnt vmcnt(1) lgkmcnt(0)
	v_mul_f64 v[18:19], v[2:3], v[36:37]
	v_mul_f64 v[24:25], v[4:5], v[36:37]
	v_fma_f64 v[8:9], v[8:9], v[191:192], v[20:21]
	v_fma_f64 v[6:7], v[6:7], v[191:192], -v[26:27]
	v_add_f64 v[16:17], v[16:17], v[22:23]
	v_add_f64 v[14:15], v[14:15], v[28:29]
	v_fma_f64 v[4:5], v[4:5], v[34:35], v[18:19]
	v_fma_f64 v[2:3], v[2:3], v[34:35], -v[24:25]
	s_delay_alu instid0(VALU_DEP_4) | instskip(NEXT) | instid1(VALU_DEP_4)
	v_add_f64 v[8:9], v[16:17], v[8:9]
	v_add_f64 v[6:7], v[14:15], v[6:7]
	s_delay_alu instid0(VALU_DEP_2) | instskip(NEXT) | instid1(VALU_DEP_2)
	v_add_f64 v[4:5], v[8:9], v[4:5]
	v_add_f64 v[2:3], v[6:7], v[2:3]
	s_waitcnt vmcnt(0)
	s_delay_alu instid0(VALU_DEP_2) | instskip(NEXT) | instid1(VALU_DEP_2)
	v_add_f64 v[4:5], v[12:13], -v[4:5]
	v_add_f64 v[2:3], v[10:11], -v[2:3]
	scratch_store_b128 off, v[2:5], off offset:416
	v_cmpx_lt_u32_e32 25, v138
	s_cbranch_execz .LBB47_251
; %bb.250:
	scratch_load_b128 v[5:8], v161, off
	v_mov_b32_e32 v2, v1
	v_mov_b32_e32 v3, v1
	;; [unrolled: 1-line block ×3, first 2 shown]
	scratch_store_b128 off, v[1:4], off offset:400
	s_waitcnt vmcnt(0)
	ds_store_b128 v186, v[5:8]
.LBB47_251:
	s_or_b32 exec_lo, exec_lo, s2
	s_waitcnt lgkmcnt(0)
	s_waitcnt_vscnt null, 0x0
	s_barrier
	buffer_gl0_inv
	s_clause 0x7
	scratch_load_b128 v[2:5], off, off offset:416
	scratch_load_b128 v[6:9], off, off offset:432
	scratch_load_b128 v[10:13], off, off offset:448
	scratch_load_b128 v[14:17], off, off offset:464
	scratch_load_b128 v[18:21], off, off offset:480
	scratch_load_b128 v[22:25], off, off offset:496
	scratch_load_b128 v[26:29], off, off offset:512
	scratch_load_b128 v[30:33], off, off offset:528
	ds_load_b128 v[34:37], v1 offset:1184
	ds_load_b128 v[187:190], v1 offset:1200
	s_clause 0x1
	scratch_load_b128 v[38:41], off, off offset:544
	scratch_load_b128 v[191:194], off, off offset:560
	s_mov_b32 s2, exec_lo
	s_waitcnt vmcnt(9) lgkmcnt(1)
	v_mul_f64 v[195:196], v[36:37], v[4:5]
	v_mul_f64 v[4:5], v[34:35], v[4:5]
	s_waitcnt vmcnt(8) lgkmcnt(0)
	v_mul_f64 v[197:198], v[187:188], v[8:9]
	v_mul_f64 v[8:9], v[189:190], v[8:9]
	s_delay_alu instid0(VALU_DEP_4) | instskip(NEXT) | instid1(VALU_DEP_4)
	v_fma_f64 v[195:196], v[34:35], v[2:3], -v[195:196]
	v_fma_f64 v[199:200], v[36:37], v[2:3], v[4:5]
	ds_load_b128 v[2:5], v1 offset:1216
	scratch_load_b128 v[34:37], off, off offset:576
	v_fma_f64 v[197:198], v[189:190], v[6:7], v[197:198]
	v_fma_f64 v[203:204], v[187:188], v[6:7], -v[8:9]
	scratch_load_b128 v[187:190], off, off offset:592
	ds_load_b128 v[6:9], v1 offset:1232
	s_waitcnt vmcnt(9) lgkmcnt(1)
	v_mul_f64 v[201:202], v[2:3], v[12:13]
	v_mul_f64 v[12:13], v[4:5], v[12:13]
	s_waitcnt vmcnt(8) lgkmcnt(0)
	v_mul_f64 v[205:206], v[6:7], v[16:17]
	v_mul_f64 v[16:17], v[8:9], v[16:17]
	v_add_f64 v[195:196], v[195:196], 0
	v_add_f64 v[199:200], v[199:200], 0
	v_fma_f64 v[201:202], v[4:5], v[10:11], v[201:202]
	v_fma_f64 v[207:208], v[2:3], v[10:11], -v[12:13]
	ds_load_b128 v[2:5], v1 offset:1248
	scratch_load_b128 v[10:13], off, off offset:608
	v_add_f64 v[195:196], v[195:196], v[203:204]
	v_add_f64 v[197:198], v[199:200], v[197:198]
	v_fma_f64 v[203:204], v[8:9], v[14:15], v[205:206]
	v_fma_f64 v[205:206], v[6:7], v[14:15], -v[16:17]
	scratch_load_b128 v[14:17], off, off offset:624
	ds_load_b128 v[6:9], v1 offset:1264
	s_waitcnt vmcnt(9) lgkmcnt(1)
	v_mul_f64 v[199:200], v[2:3], v[20:21]
	v_mul_f64 v[20:21], v[4:5], v[20:21]
	v_add_f64 v[195:196], v[195:196], v[207:208]
	v_add_f64 v[197:198], v[197:198], v[201:202]
	s_waitcnt vmcnt(8) lgkmcnt(0)
	v_mul_f64 v[201:202], v[6:7], v[24:25]
	v_mul_f64 v[24:25], v[8:9], v[24:25]
	v_fma_f64 v[199:200], v[4:5], v[18:19], v[199:200]
	v_fma_f64 v[207:208], v[2:3], v[18:19], -v[20:21]
	ds_load_b128 v[2:5], v1 offset:1280
	scratch_load_b128 v[18:21], off, off offset:640
	v_add_f64 v[195:196], v[195:196], v[205:206]
	v_add_f64 v[197:198], v[197:198], v[203:204]
	v_fma_f64 v[201:202], v[8:9], v[22:23], v[201:202]
	v_fma_f64 v[205:206], v[6:7], v[22:23], -v[24:25]
	ds_load_b128 v[6:9], v1 offset:1296
	s_waitcnt vmcnt(8) lgkmcnt(1)
	v_mul_f64 v[203:204], v[2:3], v[28:29]
	v_mul_f64 v[28:29], v[4:5], v[28:29]
	scratch_load_b128 v[22:25], off, off offset:656
	v_add_f64 v[195:196], v[195:196], v[207:208]
	v_add_f64 v[197:198], v[197:198], v[199:200]
	s_waitcnt vmcnt(8) lgkmcnt(0)
	v_mul_f64 v[199:200], v[6:7], v[32:33]
	v_mul_f64 v[32:33], v[8:9], v[32:33]
	v_fma_f64 v[203:204], v[4:5], v[26:27], v[203:204]
	v_fma_f64 v[207:208], v[2:3], v[26:27], -v[28:29]
	ds_load_b128 v[2:5], v1 offset:1312
	scratch_load_b128 v[26:29], off, off offset:672
	v_add_f64 v[195:196], v[195:196], v[205:206]
	v_add_f64 v[197:198], v[197:198], v[201:202]
	v_fma_f64 v[199:200], v[8:9], v[30:31], v[199:200]
	v_fma_f64 v[205:206], v[6:7], v[30:31], -v[32:33]
	ds_load_b128 v[6:9], v1 offset:1328
	s_waitcnt vmcnt(8) lgkmcnt(1)
	v_mul_f64 v[201:202], v[2:3], v[40:41]
	v_mul_f64 v[40:41], v[4:5], v[40:41]
	scratch_load_b128 v[30:33], off, off offset:688
	v_add_f64 v[195:196], v[195:196], v[207:208]
	v_add_f64 v[197:198], v[197:198], v[203:204]
	s_waitcnt vmcnt(8) lgkmcnt(0)
	v_mul_f64 v[203:204], v[6:7], v[193:194]
	v_mul_f64 v[193:194], v[8:9], v[193:194]
	v_fma_f64 v[201:202], v[4:5], v[38:39], v[201:202]
	v_fma_f64 v[207:208], v[2:3], v[38:39], -v[40:41]
	scratch_load_b128 v[38:41], off, off offset:704
	ds_load_b128 v[2:5], v1 offset:1344
	v_add_f64 v[195:196], v[195:196], v[205:206]
	v_add_f64 v[197:198], v[197:198], v[199:200]
	v_fma_f64 v[203:204], v[8:9], v[191:192], v[203:204]
	v_fma_f64 v[205:206], v[6:7], v[191:192], -v[193:194]
	ds_load_b128 v[6:9], v1 offset:1360
	scratch_load_b128 v[191:194], off, off offset:720
	s_waitcnt vmcnt(9) lgkmcnt(1)
	v_mul_f64 v[199:200], v[2:3], v[36:37]
	v_mul_f64 v[36:37], v[4:5], v[36:37]
	v_add_f64 v[195:196], v[195:196], v[207:208]
	v_add_f64 v[197:198], v[197:198], v[201:202]
	s_waitcnt vmcnt(8) lgkmcnt(0)
	v_mul_f64 v[201:202], v[6:7], v[189:190]
	v_mul_f64 v[189:190], v[8:9], v[189:190]
	v_fma_f64 v[199:200], v[4:5], v[34:35], v[199:200]
	v_fma_f64 v[207:208], v[2:3], v[34:35], -v[36:37]
	scratch_load_b128 v[34:37], off, off offset:736
	ds_load_b128 v[2:5], v1 offset:1376
	v_add_f64 v[195:196], v[195:196], v[205:206]
	v_add_f64 v[197:198], v[197:198], v[203:204]
	v_fma_f64 v[201:202], v[8:9], v[187:188], v[201:202]
	v_fma_f64 v[205:206], v[6:7], v[187:188], -v[189:190]
	ds_load_b128 v[6:9], v1 offset:1392
	s_waitcnt vmcnt(8) lgkmcnt(1)
	v_mul_f64 v[203:204], v[2:3], v[12:13]
	v_mul_f64 v[12:13], v[4:5], v[12:13]
	scratch_load_b128 v[187:190], off, off offset:752
	v_add_f64 v[195:196], v[195:196], v[207:208]
	v_add_f64 v[197:198], v[197:198], v[199:200]
	s_waitcnt vmcnt(8) lgkmcnt(0)
	v_mul_f64 v[199:200], v[6:7], v[16:17]
	v_mul_f64 v[16:17], v[8:9], v[16:17]
	v_fma_f64 v[203:204], v[4:5], v[10:11], v[203:204]
	v_fma_f64 v[10:11], v[2:3], v[10:11], -v[12:13]
	ds_load_b128 v[2:5], v1 offset:1408
	v_add_f64 v[12:13], v[195:196], v[205:206]
	v_add_f64 v[195:196], v[197:198], v[201:202]
	v_fma_f64 v[199:200], v[8:9], v[14:15], v[199:200]
	v_fma_f64 v[14:15], v[6:7], v[14:15], -v[16:17]
	ds_load_b128 v[6:9], v1 offset:1424
	s_waitcnt vmcnt(7) lgkmcnt(1)
	v_mul_f64 v[197:198], v[2:3], v[20:21]
	v_mul_f64 v[20:21], v[4:5], v[20:21]
	v_add_f64 v[10:11], v[12:13], v[10:11]
	v_add_f64 v[12:13], v[195:196], v[203:204]
	s_delay_alu instid0(VALU_DEP_4) | instskip(NEXT) | instid1(VALU_DEP_4)
	v_fma_f64 v[195:196], v[4:5], v[18:19], v[197:198]
	v_fma_f64 v[18:19], v[2:3], v[18:19], -v[20:21]
	ds_load_b128 v[2:5], v1 offset:1440
	v_add_f64 v[14:15], v[10:11], v[14:15]
	v_add_f64 v[20:21], v[12:13], v[199:200]
	scratch_load_b128 v[10:13], off, off offset:400
	s_waitcnt vmcnt(7) lgkmcnt(1)
	v_mul_f64 v[16:17], v[6:7], v[24:25]
	v_mul_f64 v[24:25], v[8:9], v[24:25]
	v_add_f64 v[14:15], v[14:15], v[18:19]
	v_add_f64 v[18:19], v[20:21], v[195:196]
	s_delay_alu instid0(VALU_DEP_4) | instskip(NEXT) | instid1(VALU_DEP_4)
	v_fma_f64 v[16:17], v[8:9], v[22:23], v[16:17]
	v_fma_f64 v[22:23], v[6:7], v[22:23], -v[24:25]
	ds_load_b128 v[6:9], v1 offset:1456
	s_waitcnt vmcnt(6) lgkmcnt(1)
	v_mul_f64 v[197:198], v[2:3], v[28:29]
	v_mul_f64 v[28:29], v[4:5], v[28:29]
	s_waitcnt vmcnt(5) lgkmcnt(0)
	v_mul_f64 v[20:21], v[6:7], v[32:33]
	v_mul_f64 v[24:25], v[8:9], v[32:33]
	v_add_f64 v[16:17], v[18:19], v[16:17]
	v_add_f64 v[14:15], v[14:15], v[22:23]
	v_fma_f64 v[32:33], v[4:5], v[26:27], v[197:198]
	v_fma_f64 v[26:27], v[2:3], v[26:27], -v[28:29]
	ds_load_b128 v[2:5], v1 offset:1472
	v_fma_f64 v[20:21], v[8:9], v[30:31], v[20:21]
	v_fma_f64 v[24:25], v[6:7], v[30:31], -v[24:25]
	ds_load_b128 v[6:9], v1 offset:1488
	s_waitcnt vmcnt(4) lgkmcnt(1)
	v_mul_f64 v[18:19], v[2:3], v[40:41]
	v_mul_f64 v[22:23], v[4:5], v[40:41]
	v_add_f64 v[16:17], v[16:17], v[32:33]
	v_add_f64 v[14:15], v[14:15], v[26:27]
	s_waitcnt vmcnt(3) lgkmcnt(0)
	v_mul_f64 v[26:27], v[6:7], v[193:194]
	v_mul_f64 v[28:29], v[8:9], v[193:194]
	v_fma_f64 v[18:19], v[4:5], v[38:39], v[18:19]
	v_fma_f64 v[22:23], v[2:3], v[38:39], -v[22:23]
	ds_load_b128 v[2:5], v1 offset:1504
	v_add_f64 v[16:17], v[16:17], v[20:21]
	v_add_f64 v[14:15], v[14:15], v[24:25]
	v_fma_f64 v[26:27], v[8:9], v[191:192], v[26:27]
	v_fma_f64 v[28:29], v[6:7], v[191:192], -v[28:29]
	ds_load_b128 v[6:9], v1 offset:1520
	s_waitcnt vmcnt(2) lgkmcnt(1)
	v_mul_f64 v[20:21], v[2:3], v[36:37]
	v_mul_f64 v[24:25], v[4:5], v[36:37]
	v_add_f64 v[16:17], v[16:17], v[18:19]
	v_add_f64 v[14:15], v[14:15], v[22:23]
	s_waitcnt vmcnt(1) lgkmcnt(0)
	v_mul_f64 v[18:19], v[6:7], v[189:190]
	v_mul_f64 v[22:23], v[8:9], v[189:190]
	v_fma_f64 v[4:5], v[4:5], v[34:35], v[20:21]
	v_fma_f64 v[1:2], v[2:3], v[34:35], -v[24:25]
	v_add_f64 v[16:17], v[16:17], v[26:27]
	v_add_f64 v[14:15], v[14:15], v[28:29]
	v_fma_f64 v[8:9], v[8:9], v[187:188], v[18:19]
	v_fma_f64 v[6:7], v[6:7], v[187:188], -v[22:23]
	s_delay_alu instid0(VALU_DEP_4) | instskip(NEXT) | instid1(VALU_DEP_4)
	v_add_f64 v[3:4], v[16:17], v[4:5]
	v_add_f64 v[1:2], v[14:15], v[1:2]
	s_delay_alu instid0(VALU_DEP_2) | instskip(NEXT) | instid1(VALU_DEP_2)
	v_add_f64 v[3:4], v[3:4], v[8:9]
	v_add_f64 v[1:2], v[1:2], v[6:7]
	s_waitcnt vmcnt(0)
	s_delay_alu instid0(VALU_DEP_2) | instskip(NEXT) | instid1(VALU_DEP_2)
	v_add_f64 v[3:4], v[12:13], -v[3:4]
	v_add_f64 v[1:2], v[10:11], -v[1:2]
	scratch_store_b128 off, v[1:4], off offset:400
	v_cmpx_lt_u32_e32 24, v138
	s_cbranch_execz .LBB47_253
; %bb.252:
	scratch_load_b128 v[1:4], v162, off
	v_mov_b32_e32 v5, 0
	s_delay_alu instid0(VALU_DEP_1)
	v_mov_b32_e32 v6, v5
	v_mov_b32_e32 v7, v5
	;; [unrolled: 1-line block ×3, first 2 shown]
	scratch_store_b128 off, v[5:8], off offset:384
	s_waitcnt vmcnt(0)
	ds_store_b128 v186, v[1:4]
.LBB47_253:
	s_or_b32 exec_lo, exec_lo, s2
	s_waitcnt lgkmcnt(0)
	s_waitcnt_vscnt null, 0x0
	s_barrier
	buffer_gl0_inv
	s_clause 0x7
	scratch_load_b128 v[2:5], off, off offset:400
	scratch_load_b128 v[6:9], off, off offset:416
	;; [unrolled: 1-line block ×8, first 2 shown]
	v_mov_b32_e32 v1, 0
	s_clause 0x1
	scratch_load_b128 v[38:41], off, off offset:528
	scratch_load_b128 v[191:194], off, off offset:544
	s_mov_b32 s2, exec_lo
	ds_load_b128 v[34:37], v1 offset:1168
	ds_load_b128 v[187:190], v1 offset:1184
	s_waitcnt vmcnt(9) lgkmcnt(1)
	v_mul_f64 v[195:196], v[36:37], v[4:5]
	v_mul_f64 v[4:5], v[34:35], v[4:5]
	s_waitcnt vmcnt(8) lgkmcnt(0)
	v_mul_f64 v[197:198], v[187:188], v[8:9]
	v_mul_f64 v[8:9], v[189:190], v[8:9]
	s_delay_alu instid0(VALU_DEP_4) | instskip(NEXT) | instid1(VALU_DEP_4)
	v_fma_f64 v[195:196], v[34:35], v[2:3], -v[195:196]
	v_fma_f64 v[199:200], v[36:37], v[2:3], v[4:5]
	ds_load_b128 v[2:5], v1 offset:1200
	scratch_load_b128 v[34:37], off, off offset:560
	v_fma_f64 v[197:198], v[189:190], v[6:7], v[197:198]
	v_fma_f64 v[203:204], v[187:188], v[6:7], -v[8:9]
	scratch_load_b128 v[187:190], off, off offset:576
	ds_load_b128 v[6:9], v1 offset:1216
	s_waitcnt vmcnt(9) lgkmcnt(1)
	v_mul_f64 v[201:202], v[2:3], v[12:13]
	v_mul_f64 v[12:13], v[4:5], v[12:13]
	s_waitcnt vmcnt(8) lgkmcnt(0)
	v_mul_f64 v[205:206], v[6:7], v[16:17]
	v_mul_f64 v[16:17], v[8:9], v[16:17]
	v_add_f64 v[195:196], v[195:196], 0
	v_add_f64 v[199:200], v[199:200], 0
	v_fma_f64 v[201:202], v[4:5], v[10:11], v[201:202]
	v_fma_f64 v[207:208], v[2:3], v[10:11], -v[12:13]
	ds_load_b128 v[2:5], v1 offset:1232
	scratch_load_b128 v[10:13], off, off offset:592
	v_add_f64 v[195:196], v[195:196], v[203:204]
	v_add_f64 v[197:198], v[199:200], v[197:198]
	v_fma_f64 v[203:204], v[8:9], v[14:15], v[205:206]
	v_fma_f64 v[205:206], v[6:7], v[14:15], -v[16:17]
	scratch_load_b128 v[14:17], off, off offset:608
	ds_load_b128 v[6:9], v1 offset:1248
	s_waitcnt vmcnt(9) lgkmcnt(1)
	v_mul_f64 v[199:200], v[2:3], v[20:21]
	v_mul_f64 v[20:21], v[4:5], v[20:21]
	v_add_f64 v[195:196], v[195:196], v[207:208]
	v_add_f64 v[197:198], v[197:198], v[201:202]
	s_waitcnt vmcnt(8) lgkmcnt(0)
	v_mul_f64 v[201:202], v[6:7], v[24:25]
	v_mul_f64 v[24:25], v[8:9], v[24:25]
	v_fma_f64 v[199:200], v[4:5], v[18:19], v[199:200]
	v_fma_f64 v[207:208], v[2:3], v[18:19], -v[20:21]
	ds_load_b128 v[2:5], v1 offset:1264
	scratch_load_b128 v[18:21], off, off offset:624
	v_add_f64 v[195:196], v[195:196], v[205:206]
	v_add_f64 v[197:198], v[197:198], v[203:204]
	v_fma_f64 v[201:202], v[8:9], v[22:23], v[201:202]
	v_fma_f64 v[205:206], v[6:7], v[22:23], -v[24:25]
	scratch_load_b128 v[22:25], off, off offset:640
	ds_load_b128 v[6:9], v1 offset:1280
	s_waitcnt vmcnt(9) lgkmcnt(1)
	v_mul_f64 v[203:204], v[2:3], v[28:29]
	v_mul_f64 v[28:29], v[4:5], v[28:29]
	v_add_f64 v[195:196], v[195:196], v[207:208]
	v_add_f64 v[197:198], v[197:198], v[199:200]
	s_waitcnt vmcnt(8) lgkmcnt(0)
	v_mul_f64 v[199:200], v[6:7], v[32:33]
	v_mul_f64 v[32:33], v[8:9], v[32:33]
	v_fma_f64 v[203:204], v[4:5], v[26:27], v[203:204]
	v_fma_f64 v[207:208], v[2:3], v[26:27], -v[28:29]
	ds_load_b128 v[2:5], v1 offset:1296
	scratch_load_b128 v[26:29], off, off offset:656
	v_add_f64 v[195:196], v[195:196], v[205:206]
	v_add_f64 v[197:198], v[197:198], v[201:202]
	v_fma_f64 v[199:200], v[8:9], v[30:31], v[199:200]
	v_fma_f64 v[205:206], v[6:7], v[30:31], -v[32:33]
	ds_load_b128 v[6:9], v1 offset:1312
	s_waitcnt vmcnt(8) lgkmcnt(1)
	v_mul_f64 v[201:202], v[2:3], v[40:41]
	v_mul_f64 v[40:41], v[4:5], v[40:41]
	scratch_load_b128 v[30:33], off, off offset:672
	v_add_f64 v[195:196], v[195:196], v[207:208]
	v_add_f64 v[197:198], v[197:198], v[203:204]
	s_waitcnt vmcnt(8) lgkmcnt(0)
	v_mul_f64 v[203:204], v[6:7], v[193:194]
	v_mul_f64 v[193:194], v[8:9], v[193:194]
	v_fma_f64 v[201:202], v[4:5], v[38:39], v[201:202]
	v_fma_f64 v[207:208], v[2:3], v[38:39], -v[40:41]
	scratch_load_b128 v[38:41], off, off offset:688
	ds_load_b128 v[2:5], v1 offset:1328
	v_add_f64 v[195:196], v[195:196], v[205:206]
	v_add_f64 v[197:198], v[197:198], v[199:200]
	v_fma_f64 v[203:204], v[8:9], v[191:192], v[203:204]
	v_fma_f64 v[205:206], v[6:7], v[191:192], -v[193:194]
	ds_load_b128 v[6:9], v1 offset:1344
	scratch_load_b128 v[191:194], off, off offset:704
	s_waitcnt vmcnt(9) lgkmcnt(1)
	v_mul_f64 v[199:200], v[2:3], v[36:37]
	v_mul_f64 v[36:37], v[4:5], v[36:37]
	v_add_f64 v[195:196], v[195:196], v[207:208]
	v_add_f64 v[197:198], v[197:198], v[201:202]
	s_waitcnt vmcnt(8) lgkmcnt(0)
	v_mul_f64 v[201:202], v[6:7], v[189:190]
	v_mul_f64 v[189:190], v[8:9], v[189:190]
	v_fma_f64 v[199:200], v[4:5], v[34:35], v[199:200]
	v_fma_f64 v[207:208], v[2:3], v[34:35], -v[36:37]
	scratch_load_b128 v[34:37], off, off offset:720
	ds_load_b128 v[2:5], v1 offset:1360
	v_add_f64 v[195:196], v[195:196], v[205:206]
	v_add_f64 v[197:198], v[197:198], v[203:204]
	v_fma_f64 v[201:202], v[8:9], v[187:188], v[201:202]
	v_fma_f64 v[205:206], v[6:7], v[187:188], -v[189:190]
	ds_load_b128 v[6:9], v1 offset:1376
	s_waitcnt vmcnt(8) lgkmcnt(1)
	v_mul_f64 v[203:204], v[2:3], v[12:13]
	v_mul_f64 v[12:13], v[4:5], v[12:13]
	scratch_load_b128 v[187:190], off, off offset:736
	v_add_f64 v[195:196], v[195:196], v[207:208]
	v_add_f64 v[197:198], v[197:198], v[199:200]
	s_waitcnt vmcnt(8) lgkmcnt(0)
	v_mul_f64 v[199:200], v[6:7], v[16:17]
	v_mul_f64 v[16:17], v[8:9], v[16:17]
	v_fma_f64 v[203:204], v[4:5], v[10:11], v[203:204]
	v_fma_f64 v[207:208], v[2:3], v[10:11], -v[12:13]
	scratch_load_b128 v[10:13], off, off offset:752
	ds_load_b128 v[2:5], v1 offset:1392
	v_add_f64 v[195:196], v[195:196], v[205:206]
	v_add_f64 v[197:198], v[197:198], v[201:202]
	v_fma_f64 v[199:200], v[8:9], v[14:15], v[199:200]
	v_fma_f64 v[14:15], v[6:7], v[14:15], -v[16:17]
	ds_load_b128 v[6:9], v1 offset:1408
	s_waitcnt vmcnt(8) lgkmcnt(1)
	v_mul_f64 v[201:202], v[2:3], v[20:21]
	v_mul_f64 v[20:21], v[4:5], v[20:21]
	v_add_f64 v[16:17], v[195:196], v[207:208]
	v_add_f64 v[195:196], v[197:198], v[203:204]
	s_waitcnt vmcnt(7) lgkmcnt(0)
	v_mul_f64 v[197:198], v[6:7], v[24:25]
	v_mul_f64 v[24:25], v[8:9], v[24:25]
	v_fma_f64 v[201:202], v[4:5], v[18:19], v[201:202]
	v_fma_f64 v[18:19], v[2:3], v[18:19], -v[20:21]
	ds_load_b128 v[2:5], v1 offset:1424
	v_add_f64 v[14:15], v[16:17], v[14:15]
	v_add_f64 v[16:17], v[195:196], v[199:200]
	v_fma_f64 v[195:196], v[8:9], v[22:23], v[197:198]
	v_fma_f64 v[22:23], v[6:7], v[22:23], -v[24:25]
	ds_load_b128 v[6:9], v1 offset:1440
	s_waitcnt vmcnt(5) lgkmcnt(0)
	v_mul_f64 v[197:198], v[6:7], v[32:33]
	v_mul_f64 v[32:33], v[8:9], v[32:33]
	v_add_f64 v[18:19], v[14:15], v[18:19]
	v_add_f64 v[24:25], v[16:17], v[201:202]
	scratch_load_b128 v[14:17], off, off offset:384
	v_mul_f64 v[20:21], v[2:3], v[28:29]
	v_mul_f64 v[28:29], v[4:5], v[28:29]
	v_add_f64 v[18:19], v[18:19], v[22:23]
	v_add_f64 v[22:23], v[24:25], v[195:196]
	s_delay_alu instid0(VALU_DEP_4) | instskip(NEXT) | instid1(VALU_DEP_4)
	v_fma_f64 v[20:21], v[4:5], v[26:27], v[20:21]
	v_fma_f64 v[26:27], v[2:3], v[26:27], -v[28:29]
	ds_load_b128 v[2:5], v1 offset:1456
	s_waitcnt vmcnt(5) lgkmcnt(0)
	v_mul_f64 v[24:25], v[2:3], v[40:41]
	v_mul_f64 v[28:29], v[4:5], v[40:41]
	v_fma_f64 v[40:41], v[8:9], v[30:31], v[197:198]
	v_fma_f64 v[30:31], v[6:7], v[30:31], -v[32:33]
	ds_load_b128 v[6:9], v1 offset:1472
	v_add_f64 v[20:21], v[22:23], v[20:21]
	v_add_f64 v[18:19], v[18:19], v[26:27]
	v_fma_f64 v[24:25], v[4:5], v[38:39], v[24:25]
	v_fma_f64 v[28:29], v[2:3], v[38:39], -v[28:29]
	ds_load_b128 v[2:5], v1 offset:1488
	s_waitcnt vmcnt(4) lgkmcnt(1)
	v_mul_f64 v[22:23], v[6:7], v[193:194]
	v_mul_f64 v[26:27], v[8:9], v[193:194]
	v_add_f64 v[20:21], v[20:21], v[40:41]
	v_add_f64 v[18:19], v[18:19], v[30:31]
	s_waitcnt vmcnt(3) lgkmcnt(0)
	v_mul_f64 v[30:31], v[2:3], v[36:37]
	v_mul_f64 v[32:33], v[4:5], v[36:37]
	v_fma_f64 v[22:23], v[8:9], v[191:192], v[22:23]
	v_fma_f64 v[26:27], v[6:7], v[191:192], -v[26:27]
	ds_load_b128 v[6:9], v1 offset:1504
	v_add_f64 v[20:21], v[20:21], v[24:25]
	v_add_f64 v[18:19], v[18:19], v[28:29]
	v_fma_f64 v[30:31], v[4:5], v[34:35], v[30:31]
	v_fma_f64 v[32:33], v[2:3], v[34:35], -v[32:33]
	ds_load_b128 v[2:5], v1 offset:1520
	s_waitcnt vmcnt(2) lgkmcnt(1)
	v_mul_f64 v[24:25], v[6:7], v[189:190]
	v_mul_f64 v[28:29], v[8:9], v[189:190]
	v_add_f64 v[20:21], v[20:21], v[22:23]
	v_add_f64 v[18:19], v[18:19], v[26:27]
	s_waitcnt vmcnt(1) lgkmcnt(0)
	v_mul_f64 v[22:23], v[2:3], v[12:13]
	v_mul_f64 v[12:13], v[4:5], v[12:13]
	v_fma_f64 v[8:9], v[8:9], v[187:188], v[24:25]
	v_fma_f64 v[6:7], v[6:7], v[187:188], -v[28:29]
	v_add_f64 v[20:21], v[20:21], v[30:31]
	v_add_f64 v[18:19], v[18:19], v[32:33]
	v_fma_f64 v[4:5], v[4:5], v[10:11], v[22:23]
	v_fma_f64 v[2:3], v[2:3], v[10:11], -v[12:13]
	s_delay_alu instid0(VALU_DEP_4) | instskip(NEXT) | instid1(VALU_DEP_4)
	v_add_f64 v[8:9], v[20:21], v[8:9]
	v_add_f64 v[6:7], v[18:19], v[6:7]
	s_delay_alu instid0(VALU_DEP_2) | instskip(NEXT) | instid1(VALU_DEP_2)
	v_add_f64 v[4:5], v[8:9], v[4:5]
	v_add_f64 v[2:3], v[6:7], v[2:3]
	s_waitcnt vmcnt(0)
	s_delay_alu instid0(VALU_DEP_2) | instskip(NEXT) | instid1(VALU_DEP_2)
	v_add_f64 v[4:5], v[16:17], -v[4:5]
	v_add_f64 v[2:3], v[14:15], -v[2:3]
	scratch_store_b128 off, v[2:5], off offset:384
	v_cmpx_lt_u32_e32 23, v138
	s_cbranch_execz .LBB47_255
; %bb.254:
	scratch_load_b128 v[5:8], v164, off
	v_mov_b32_e32 v2, v1
	v_mov_b32_e32 v3, v1
	;; [unrolled: 1-line block ×3, first 2 shown]
	scratch_store_b128 off, v[1:4], off offset:368
	s_waitcnt vmcnt(0)
	ds_store_b128 v186, v[5:8]
.LBB47_255:
	s_or_b32 exec_lo, exec_lo, s2
	s_waitcnt lgkmcnt(0)
	s_waitcnt_vscnt null, 0x0
	s_barrier
	buffer_gl0_inv
	s_clause 0x7
	scratch_load_b128 v[2:5], off, off offset:384
	scratch_load_b128 v[6:9], off, off offset:400
	;; [unrolled: 1-line block ×8, first 2 shown]
	ds_load_b128 v[34:37], v1 offset:1152
	ds_load_b128 v[187:190], v1 offset:1168
	s_clause 0x1
	scratch_load_b128 v[38:41], off, off offset:512
	scratch_load_b128 v[191:194], off, off offset:528
	s_mov_b32 s2, exec_lo
	s_waitcnt vmcnt(9) lgkmcnt(1)
	v_mul_f64 v[195:196], v[36:37], v[4:5]
	v_mul_f64 v[4:5], v[34:35], v[4:5]
	s_waitcnt vmcnt(8) lgkmcnt(0)
	v_mul_f64 v[197:198], v[187:188], v[8:9]
	v_mul_f64 v[8:9], v[189:190], v[8:9]
	s_delay_alu instid0(VALU_DEP_4) | instskip(NEXT) | instid1(VALU_DEP_4)
	v_fma_f64 v[195:196], v[34:35], v[2:3], -v[195:196]
	v_fma_f64 v[199:200], v[36:37], v[2:3], v[4:5]
	ds_load_b128 v[2:5], v1 offset:1184
	scratch_load_b128 v[34:37], off, off offset:544
	v_fma_f64 v[197:198], v[189:190], v[6:7], v[197:198]
	v_fma_f64 v[203:204], v[187:188], v[6:7], -v[8:9]
	scratch_load_b128 v[187:190], off, off offset:560
	ds_load_b128 v[6:9], v1 offset:1200
	s_waitcnt vmcnt(9) lgkmcnt(1)
	v_mul_f64 v[201:202], v[2:3], v[12:13]
	v_mul_f64 v[12:13], v[4:5], v[12:13]
	s_waitcnt vmcnt(8) lgkmcnt(0)
	v_mul_f64 v[205:206], v[6:7], v[16:17]
	v_mul_f64 v[16:17], v[8:9], v[16:17]
	v_add_f64 v[195:196], v[195:196], 0
	v_add_f64 v[199:200], v[199:200], 0
	v_fma_f64 v[201:202], v[4:5], v[10:11], v[201:202]
	v_fma_f64 v[207:208], v[2:3], v[10:11], -v[12:13]
	ds_load_b128 v[2:5], v1 offset:1216
	scratch_load_b128 v[10:13], off, off offset:576
	v_add_f64 v[195:196], v[195:196], v[203:204]
	v_add_f64 v[197:198], v[199:200], v[197:198]
	v_fma_f64 v[203:204], v[8:9], v[14:15], v[205:206]
	v_fma_f64 v[205:206], v[6:7], v[14:15], -v[16:17]
	scratch_load_b128 v[14:17], off, off offset:592
	ds_load_b128 v[6:9], v1 offset:1232
	s_waitcnt vmcnt(9) lgkmcnt(1)
	v_mul_f64 v[199:200], v[2:3], v[20:21]
	v_mul_f64 v[20:21], v[4:5], v[20:21]
	v_add_f64 v[195:196], v[195:196], v[207:208]
	v_add_f64 v[197:198], v[197:198], v[201:202]
	s_waitcnt vmcnt(8) lgkmcnt(0)
	v_mul_f64 v[201:202], v[6:7], v[24:25]
	v_mul_f64 v[24:25], v[8:9], v[24:25]
	v_fma_f64 v[199:200], v[4:5], v[18:19], v[199:200]
	v_fma_f64 v[207:208], v[2:3], v[18:19], -v[20:21]
	ds_load_b128 v[2:5], v1 offset:1248
	scratch_load_b128 v[18:21], off, off offset:608
	v_add_f64 v[195:196], v[195:196], v[205:206]
	v_add_f64 v[197:198], v[197:198], v[203:204]
	v_fma_f64 v[201:202], v[8:9], v[22:23], v[201:202]
	v_fma_f64 v[205:206], v[6:7], v[22:23], -v[24:25]
	scratch_load_b128 v[22:25], off, off offset:624
	ds_load_b128 v[6:9], v1 offset:1264
	s_waitcnt vmcnt(9) lgkmcnt(1)
	v_mul_f64 v[203:204], v[2:3], v[28:29]
	v_mul_f64 v[28:29], v[4:5], v[28:29]
	v_add_f64 v[195:196], v[195:196], v[207:208]
	v_add_f64 v[197:198], v[197:198], v[199:200]
	s_waitcnt vmcnt(8) lgkmcnt(0)
	v_mul_f64 v[199:200], v[6:7], v[32:33]
	v_mul_f64 v[32:33], v[8:9], v[32:33]
	v_fma_f64 v[203:204], v[4:5], v[26:27], v[203:204]
	v_fma_f64 v[207:208], v[2:3], v[26:27], -v[28:29]
	ds_load_b128 v[2:5], v1 offset:1280
	scratch_load_b128 v[26:29], off, off offset:640
	v_add_f64 v[195:196], v[195:196], v[205:206]
	v_add_f64 v[197:198], v[197:198], v[201:202]
	v_fma_f64 v[199:200], v[8:9], v[30:31], v[199:200]
	v_fma_f64 v[205:206], v[6:7], v[30:31], -v[32:33]
	ds_load_b128 v[6:9], v1 offset:1296
	s_waitcnt vmcnt(8) lgkmcnt(1)
	v_mul_f64 v[201:202], v[2:3], v[40:41]
	v_mul_f64 v[40:41], v[4:5], v[40:41]
	scratch_load_b128 v[30:33], off, off offset:656
	v_add_f64 v[195:196], v[195:196], v[207:208]
	v_add_f64 v[197:198], v[197:198], v[203:204]
	s_waitcnt vmcnt(8) lgkmcnt(0)
	v_mul_f64 v[203:204], v[6:7], v[193:194]
	v_mul_f64 v[193:194], v[8:9], v[193:194]
	v_fma_f64 v[201:202], v[4:5], v[38:39], v[201:202]
	v_fma_f64 v[207:208], v[2:3], v[38:39], -v[40:41]
	ds_load_b128 v[2:5], v1 offset:1312
	scratch_load_b128 v[38:41], off, off offset:672
	v_add_f64 v[195:196], v[195:196], v[205:206]
	v_add_f64 v[197:198], v[197:198], v[199:200]
	v_fma_f64 v[203:204], v[8:9], v[191:192], v[203:204]
	v_fma_f64 v[205:206], v[6:7], v[191:192], -v[193:194]
	ds_load_b128 v[6:9], v1 offset:1328
	scratch_load_b128 v[191:194], off, off offset:688
	s_waitcnt vmcnt(9) lgkmcnt(1)
	v_mul_f64 v[199:200], v[2:3], v[36:37]
	v_mul_f64 v[36:37], v[4:5], v[36:37]
	v_add_f64 v[195:196], v[195:196], v[207:208]
	v_add_f64 v[197:198], v[197:198], v[201:202]
	s_waitcnt vmcnt(8) lgkmcnt(0)
	v_mul_f64 v[201:202], v[6:7], v[189:190]
	v_mul_f64 v[189:190], v[8:9], v[189:190]
	v_fma_f64 v[199:200], v[4:5], v[34:35], v[199:200]
	v_fma_f64 v[207:208], v[2:3], v[34:35], -v[36:37]
	scratch_load_b128 v[34:37], off, off offset:704
	ds_load_b128 v[2:5], v1 offset:1344
	v_add_f64 v[195:196], v[195:196], v[205:206]
	v_add_f64 v[197:198], v[197:198], v[203:204]
	v_fma_f64 v[201:202], v[8:9], v[187:188], v[201:202]
	v_fma_f64 v[205:206], v[6:7], v[187:188], -v[189:190]
	ds_load_b128 v[6:9], v1 offset:1360
	s_waitcnt vmcnt(8) lgkmcnt(1)
	v_mul_f64 v[203:204], v[2:3], v[12:13]
	v_mul_f64 v[12:13], v[4:5], v[12:13]
	scratch_load_b128 v[187:190], off, off offset:720
	v_add_f64 v[195:196], v[195:196], v[207:208]
	v_add_f64 v[197:198], v[197:198], v[199:200]
	s_waitcnt vmcnt(8) lgkmcnt(0)
	v_mul_f64 v[199:200], v[6:7], v[16:17]
	v_mul_f64 v[16:17], v[8:9], v[16:17]
	v_fma_f64 v[203:204], v[4:5], v[10:11], v[203:204]
	v_fma_f64 v[207:208], v[2:3], v[10:11], -v[12:13]
	scratch_load_b128 v[10:13], off, off offset:736
	ds_load_b128 v[2:5], v1 offset:1376
	v_add_f64 v[195:196], v[195:196], v[205:206]
	v_add_f64 v[197:198], v[197:198], v[201:202]
	v_fma_f64 v[199:200], v[8:9], v[14:15], v[199:200]
	v_fma_f64 v[205:206], v[6:7], v[14:15], -v[16:17]
	ds_load_b128 v[6:9], v1 offset:1392
	s_waitcnt vmcnt(8) lgkmcnt(1)
	v_mul_f64 v[201:202], v[2:3], v[20:21]
	v_mul_f64 v[20:21], v[4:5], v[20:21]
	scratch_load_b128 v[14:17], off, off offset:752
	v_add_f64 v[195:196], v[195:196], v[207:208]
	v_add_f64 v[197:198], v[197:198], v[203:204]
	s_waitcnt vmcnt(8) lgkmcnt(0)
	v_mul_f64 v[203:204], v[6:7], v[24:25]
	v_mul_f64 v[24:25], v[8:9], v[24:25]
	v_fma_f64 v[201:202], v[4:5], v[18:19], v[201:202]
	v_fma_f64 v[18:19], v[2:3], v[18:19], -v[20:21]
	ds_load_b128 v[2:5], v1 offset:1408
	v_add_f64 v[20:21], v[195:196], v[205:206]
	v_add_f64 v[195:196], v[197:198], v[199:200]
	v_fma_f64 v[199:200], v[8:9], v[22:23], v[203:204]
	v_fma_f64 v[22:23], v[6:7], v[22:23], -v[24:25]
	ds_load_b128 v[6:9], v1 offset:1424
	s_waitcnt vmcnt(7) lgkmcnt(1)
	v_mul_f64 v[197:198], v[2:3], v[28:29]
	v_mul_f64 v[28:29], v[4:5], v[28:29]
	v_add_f64 v[18:19], v[20:21], v[18:19]
	v_add_f64 v[20:21], v[195:196], v[201:202]
	s_delay_alu instid0(VALU_DEP_4) | instskip(NEXT) | instid1(VALU_DEP_4)
	v_fma_f64 v[195:196], v[4:5], v[26:27], v[197:198]
	v_fma_f64 v[26:27], v[2:3], v[26:27], -v[28:29]
	ds_load_b128 v[2:5], v1 offset:1440
	v_add_f64 v[22:23], v[18:19], v[22:23]
	v_add_f64 v[28:29], v[20:21], v[199:200]
	scratch_load_b128 v[18:21], off, off offset:368
	s_waitcnt vmcnt(7) lgkmcnt(1)
	v_mul_f64 v[24:25], v[6:7], v[32:33]
	v_mul_f64 v[32:33], v[8:9], v[32:33]
	v_add_f64 v[22:23], v[22:23], v[26:27]
	v_add_f64 v[26:27], v[28:29], v[195:196]
	s_delay_alu instid0(VALU_DEP_4) | instskip(NEXT) | instid1(VALU_DEP_4)
	v_fma_f64 v[24:25], v[8:9], v[30:31], v[24:25]
	v_fma_f64 v[30:31], v[6:7], v[30:31], -v[32:33]
	ds_load_b128 v[6:9], v1 offset:1456
	s_waitcnt vmcnt(6) lgkmcnt(1)
	v_mul_f64 v[197:198], v[2:3], v[40:41]
	v_mul_f64 v[40:41], v[4:5], v[40:41]
	s_waitcnt vmcnt(5) lgkmcnt(0)
	v_mul_f64 v[28:29], v[6:7], v[193:194]
	v_mul_f64 v[32:33], v[8:9], v[193:194]
	v_add_f64 v[24:25], v[26:27], v[24:25]
	v_add_f64 v[22:23], v[22:23], v[30:31]
	v_fma_f64 v[193:194], v[4:5], v[38:39], v[197:198]
	v_fma_f64 v[38:39], v[2:3], v[38:39], -v[40:41]
	ds_load_b128 v[2:5], v1 offset:1472
	v_fma_f64 v[28:29], v[8:9], v[191:192], v[28:29]
	v_fma_f64 v[32:33], v[6:7], v[191:192], -v[32:33]
	ds_load_b128 v[6:9], v1 offset:1488
	s_waitcnt vmcnt(4) lgkmcnt(1)
	v_mul_f64 v[26:27], v[2:3], v[36:37]
	v_mul_f64 v[30:31], v[4:5], v[36:37]
	v_add_f64 v[24:25], v[24:25], v[193:194]
	v_add_f64 v[22:23], v[22:23], v[38:39]
	s_waitcnt vmcnt(3) lgkmcnt(0)
	v_mul_f64 v[36:37], v[6:7], v[189:190]
	v_mul_f64 v[38:39], v[8:9], v[189:190]
	v_fma_f64 v[26:27], v[4:5], v[34:35], v[26:27]
	v_fma_f64 v[30:31], v[2:3], v[34:35], -v[30:31]
	ds_load_b128 v[2:5], v1 offset:1504
	v_add_f64 v[24:25], v[24:25], v[28:29]
	v_add_f64 v[22:23], v[22:23], v[32:33]
	v_fma_f64 v[32:33], v[8:9], v[187:188], v[36:37]
	v_fma_f64 v[34:35], v[6:7], v[187:188], -v[38:39]
	ds_load_b128 v[6:9], v1 offset:1520
	s_waitcnt vmcnt(2) lgkmcnt(1)
	v_mul_f64 v[28:29], v[2:3], v[12:13]
	v_mul_f64 v[12:13], v[4:5], v[12:13]
	v_add_f64 v[24:25], v[24:25], v[26:27]
	v_add_f64 v[22:23], v[22:23], v[30:31]
	s_waitcnt vmcnt(1) lgkmcnt(0)
	v_mul_f64 v[26:27], v[6:7], v[16:17]
	v_mul_f64 v[16:17], v[8:9], v[16:17]
	v_fma_f64 v[4:5], v[4:5], v[10:11], v[28:29]
	v_fma_f64 v[1:2], v[2:3], v[10:11], -v[12:13]
	v_add_f64 v[12:13], v[24:25], v[32:33]
	v_add_f64 v[10:11], v[22:23], v[34:35]
	v_fma_f64 v[8:9], v[8:9], v[14:15], v[26:27]
	v_fma_f64 v[6:7], v[6:7], v[14:15], -v[16:17]
	s_delay_alu instid0(VALU_DEP_4) | instskip(NEXT) | instid1(VALU_DEP_4)
	v_add_f64 v[3:4], v[12:13], v[4:5]
	v_add_f64 v[1:2], v[10:11], v[1:2]
	s_delay_alu instid0(VALU_DEP_2) | instskip(NEXT) | instid1(VALU_DEP_2)
	v_add_f64 v[3:4], v[3:4], v[8:9]
	v_add_f64 v[1:2], v[1:2], v[6:7]
	s_waitcnt vmcnt(0)
	s_delay_alu instid0(VALU_DEP_2) | instskip(NEXT) | instid1(VALU_DEP_2)
	v_add_f64 v[3:4], v[20:21], -v[3:4]
	v_add_f64 v[1:2], v[18:19], -v[1:2]
	scratch_store_b128 off, v[1:4], off offset:368
	v_cmpx_lt_u32_e32 22, v138
	s_cbranch_execz .LBB47_257
; %bb.256:
	scratch_load_b128 v[1:4], v163, off
	v_mov_b32_e32 v5, 0
	s_delay_alu instid0(VALU_DEP_1)
	v_mov_b32_e32 v6, v5
	v_mov_b32_e32 v7, v5
	;; [unrolled: 1-line block ×3, first 2 shown]
	scratch_store_b128 off, v[5:8], off offset:352
	s_waitcnt vmcnt(0)
	ds_store_b128 v186, v[1:4]
.LBB47_257:
	s_or_b32 exec_lo, exec_lo, s2
	s_waitcnt lgkmcnt(0)
	s_waitcnt_vscnt null, 0x0
	s_barrier
	buffer_gl0_inv
	s_clause 0x7
	scratch_load_b128 v[2:5], off, off offset:368
	scratch_load_b128 v[6:9], off, off offset:384
	;; [unrolled: 1-line block ×8, first 2 shown]
	v_mov_b32_e32 v1, 0
	s_clause 0x1
	scratch_load_b128 v[38:41], off, off offset:496
	scratch_load_b128 v[191:194], off, off offset:512
	s_mov_b32 s2, exec_lo
	ds_load_b128 v[34:37], v1 offset:1136
	ds_load_b128 v[187:190], v1 offset:1152
	s_waitcnt vmcnt(9) lgkmcnt(1)
	v_mul_f64 v[195:196], v[36:37], v[4:5]
	v_mul_f64 v[4:5], v[34:35], v[4:5]
	s_waitcnt vmcnt(8) lgkmcnt(0)
	v_mul_f64 v[197:198], v[187:188], v[8:9]
	v_mul_f64 v[8:9], v[189:190], v[8:9]
	s_delay_alu instid0(VALU_DEP_4) | instskip(NEXT) | instid1(VALU_DEP_4)
	v_fma_f64 v[195:196], v[34:35], v[2:3], -v[195:196]
	v_fma_f64 v[199:200], v[36:37], v[2:3], v[4:5]
	ds_load_b128 v[2:5], v1 offset:1168
	scratch_load_b128 v[34:37], off, off offset:528
	v_fma_f64 v[197:198], v[189:190], v[6:7], v[197:198]
	v_fma_f64 v[203:204], v[187:188], v[6:7], -v[8:9]
	scratch_load_b128 v[187:190], off, off offset:544
	ds_load_b128 v[6:9], v1 offset:1184
	s_waitcnt vmcnt(9) lgkmcnt(1)
	v_mul_f64 v[201:202], v[2:3], v[12:13]
	v_mul_f64 v[12:13], v[4:5], v[12:13]
	s_waitcnt vmcnt(8) lgkmcnt(0)
	v_mul_f64 v[205:206], v[6:7], v[16:17]
	v_mul_f64 v[16:17], v[8:9], v[16:17]
	v_add_f64 v[195:196], v[195:196], 0
	v_add_f64 v[199:200], v[199:200], 0
	v_fma_f64 v[201:202], v[4:5], v[10:11], v[201:202]
	v_fma_f64 v[207:208], v[2:3], v[10:11], -v[12:13]
	ds_load_b128 v[2:5], v1 offset:1200
	scratch_load_b128 v[10:13], off, off offset:560
	v_add_f64 v[195:196], v[195:196], v[203:204]
	v_add_f64 v[197:198], v[199:200], v[197:198]
	v_fma_f64 v[203:204], v[8:9], v[14:15], v[205:206]
	v_fma_f64 v[205:206], v[6:7], v[14:15], -v[16:17]
	scratch_load_b128 v[14:17], off, off offset:576
	ds_load_b128 v[6:9], v1 offset:1216
	s_waitcnt vmcnt(9) lgkmcnt(1)
	v_mul_f64 v[199:200], v[2:3], v[20:21]
	v_mul_f64 v[20:21], v[4:5], v[20:21]
	v_add_f64 v[195:196], v[195:196], v[207:208]
	v_add_f64 v[197:198], v[197:198], v[201:202]
	s_waitcnt vmcnt(8) lgkmcnt(0)
	v_mul_f64 v[201:202], v[6:7], v[24:25]
	v_mul_f64 v[24:25], v[8:9], v[24:25]
	v_fma_f64 v[199:200], v[4:5], v[18:19], v[199:200]
	v_fma_f64 v[207:208], v[2:3], v[18:19], -v[20:21]
	ds_load_b128 v[2:5], v1 offset:1232
	scratch_load_b128 v[18:21], off, off offset:592
	v_add_f64 v[195:196], v[195:196], v[205:206]
	v_add_f64 v[197:198], v[197:198], v[203:204]
	v_fma_f64 v[201:202], v[8:9], v[22:23], v[201:202]
	v_fma_f64 v[205:206], v[6:7], v[22:23], -v[24:25]
	scratch_load_b128 v[22:25], off, off offset:608
	ds_load_b128 v[6:9], v1 offset:1248
	s_waitcnt vmcnt(9) lgkmcnt(1)
	v_mul_f64 v[203:204], v[2:3], v[28:29]
	v_mul_f64 v[28:29], v[4:5], v[28:29]
	v_add_f64 v[195:196], v[195:196], v[207:208]
	v_add_f64 v[197:198], v[197:198], v[199:200]
	s_waitcnt vmcnt(8) lgkmcnt(0)
	v_mul_f64 v[199:200], v[6:7], v[32:33]
	v_mul_f64 v[32:33], v[8:9], v[32:33]
	;; [unrolled: 18-line block ×3, first 2 shown]
	v_fma_f64 v[201:202], v[4:5], v[38:39], v[201:202]
	v_fma_f64 v[207:208], v[2:3], v[38:39], -v[40:41]
	ds_load_b128 v[2:5], v1 offset:1296
	scratch_load_b128 v[38:41], off, off offset:656
	v_add_f64 v[195:196], v[195:196], v[205:206]
	v_add_f64 v[197:198], v[197:198], v[199:200]
	v_fma_f64 v[203:204], v[8:9], v[191:192], v[203:204]
	v_fma_f64 v[205:206], v[6:7], v[191:192], -v[193:194]
	ds_load_b128 v[6:9], v1 offset:1312
	scratch_load_b128 v[191:194], off, off offset:672
	s_waitcnt vmcnt(9) lgkmcnt(1)
	v_mul_f64 v[199:200], v[2:3], v[36:37]
	v_mul_f64 v[36:37], v[4:5], v[36:37]
	v_add_f64 v[195:196], v[195:196], v[207:208]
	v_add_f64 v[197:198], v[197:198], v[201:202]
	s_waitcnt vmcnt(8) lgkmcnt(0)
	v_mul_f64 v[201:202], v[6:7], v[189:190]
	v_mul_f64 v[189:190], v[8:9], v[189:190]
	v_fma_f64 v[199:200], v[4:5], v[34:35], v[199:200]
	v_fma_f64 v[207:208], v[2:3], v[34:35], -v[36:37]
	scratch_load_b128 v[34:37], off, off offset:688
	ds_load_b128 v[2:5], v1 offset:1328
	v_add_f64 v[195:196], v[195:196], v[205:206]
	v_add_f64 v[197:198], v[197:198], v[203:204]
	v_fma_f64 v[201:202], v[8:9], v[187:188], v[201:202]
	v_fma_f64 v[205:206], v[6:7], v[187:188], -v[189:190]
	ds_load_b128 v[6:9], v1 offset:1344
	s_waitcnt vmcnt(8) lgkmcnt(1)
	v_mul_f64 v[203:204], v[2:3], v[12:13]
	v_mul_f64 v[12:13], v[4:5], v[12:13]
	scratch_load_b128 v[187:190], off, off offset:704
	v_add_f64 v[195:196], v[195:196], v[207:208]
	v_add_f64 v[197:198], v[197:198], v[199:200]
	s_waitcnt vmcnt(8) lgkmcnt(0)
	v_mul_f64 v[199:200], v[6:7], v[16:17]
	v_mul_f64 v[16:17], v[8:9], v[16:17]
	v_fma_f64 v[203:204], v[4:5], v[10:11], v[203:204]
	v_fma_f64 v[207:208], v[2:3], v[10:11], -v[12:13]
	scratch_load_b128 v[10:13], off, off offset:720
	ds_load_b128 v[2:5], v1 offset:1360
	v_add_f64 v[195:196], v[195:196], v[205:206]
	v_add_f64 v[197:198], v[197:198], v[201:202]
	v_fma_f64 v[199:200], v[8:9], v[14:15], v[199:200]
	v_fma_f64 v[205:206], v[6:7], v[14:15], -v[16:17]
	ds_load_b128 v[6:9], v1 offset:1376
	s_waitcnt vmcnt(8) lgkmcnt(1)
	v_mul_f64 v[201:202], v[2:3], v[20:21]
	v_mul_f64 v[20:21], v[4:5], v[20:21]
	scratch_load_b128 v[14:17], off, off offset:736
	v_add_f64 v[195:196], v[195:196], v[207:208]
	v_add_f64 v[197:198], v[197:198], v[203:204]
	s_waitcnt vmcnt(8) lgkmcnt(0)
	v_mul_f64 v[203:204], v[6:7], v[24:25]
	v_mul_f64 v[24:25], v[8:9], v[24:25]
	v_fma_f64 v[201:202], v[4:5], v[18:19], v[201:202]
	v_fma_f64 v[207:208], v[2:3], v[18:19], -v[20:21]
	scratch_load_b128 v[18:21], off, off offset:752
	ds_load_b128 v[2:5], v1 offset:1392
	v_add_f64 v[195:196], v[195:196], v[205:206]
	v_add_f64 v[197:198], v[197:198], v[199:200]
	v_fma_f64 v[203:204], v[8:9], v[22:23], v[203:204]
	v_fma_f64 v[22:23], v[6:7], v[22:23], -v[24:25]
	ds_load_b128 v[6:9], v1 offset:1408
	s_waitcnt vmcnt(8) lgkmcnt(1)
	v_mul_f64 v[199:200], v[2:3], v[28:29]
	v_mul_f64 v[28:29], v[4:5], v[28:29]
	v_add_f64 v[24:25], v[195:196], v[207:208]
	v_add_f64 v[195:196], v[197:198], v[201:202]
	s_waitcnt vmcnt(7) lgkmcnt(0)
	v_mul_f64 v[197:198], v[6:7], v[32:33]
	v_mul_f64 v[32:33], v[8:9], v[32:33]
	v_fma_f64 v[199:200], v[4:5], v[26:27], v[199:200]
	v_fma_f64 v[26:27], v[2:3], v[26:27], -v[28:29]
	ds_load_b128 v[2:5], v1 offset:1424
	v_add_f64 v[22:23], v[24:25], v[22:23]
	v_add_f64 v[24:25], v[195:196], v[203:204]
	v_fma_f64 v[195:196], v[8:9], v[30:31], v[197:198]
	v_fma_f64 v[30:31], v[6:7], v[30:31], -v[32:33]
	ds_load_b128 v[6:9], v1 offset:1440
	s_waitcnt vmcnt(5) lgkmcnt(0)
	v_mul_f64 v[197:198], v[6:7], v[193:194]
	v_mul_f64 v[193:194], v[8:9], v[193:194]
	v_add_f64 v[26:27], v[22:23], v[26:27]
	v_add_f64 v[32:33], v[24:25], v[199:200]
	scratch_load_b128 v[22:25], off, off offset:352
	v_mul_f64 v[28:29], v[2:3], v[40:41]
	v_mul_f64 v[40:41], v[4:5], v[40:41]
	v_add_f64 v[26:27], v[26:27], v[30:31]
	v_add_f64 v[30:31], v[32:33], v[195:196]
	s_delay_alu instid0(VALU_DEP_4) | instskip(NEXT) | instid1(VALU_DEP_4)
	v_fma_f64 v[28:29], v[4:5], v[38:39], v[28:29]
	v_fma_f64 v[38:39], v[2:3], v[38:39], -v[40:41]
	ds_load_b128 v[2:5], v1 offset:1456
	v_fma_f64 v[40:41], v[8:9], v[191:192], v[197:198]
	v_fma_f64 v[191:192], v[6:7], v[191:192], -v[193:194]
	ds_load_b128 v[6:9], v1 offset:1472
	s_waitcnt vmcnt(5) lgkmcnt(1)
	v_mul_f64 v[32:33], v[2:3], v[36:37]
	v_mul_f64 v[36:37], v[4:5], v[36:37]
	v_add_f64 v[28:29], v[30:31], v[28:29]
	v_add_f64 v[26:27], v[26:27], v[38:39]
	s_waitcnt vmcnt(4) lgkmcnt(0)
	v_mul_f64 v[30:31], v[6:7], v[189:190]
	v_mul_f64 v[38:39], v[8:9], v[189:190]
	v_fma_f64 v[32:33], v[4:5], v[34:35], v[32:33]
	v_fma_f64 v[34:35], v[2:3], v[34:35], -v[36:37]
	ds_load_b128 v[2:5], v1 offset:1488
	v_add_f64 v[28:29], v[28:29], v[40:41]
	v_add_f64 v[26:27], v[26:27], v[191:192]
	v_fma_f64 v[30:31], v[8:9], v[187:188], v[30:31]
	v_fma_f64 v[38:39], v[6:7], v[187:188], -v[38:39]
	ds_load_b128 v[6:9], v1 offset:1504
	s_waitcnt vmcnt(3) lgkmcnt(1)
	v_mul_f64 v[36:37], v[2:3], v[12:13]
	v_mul_f64 v[12:13], v[4:5], v[12:13]
	v_add_f64 v[28:29], v[28:29], v[32:33]
	v_add_f64 v[26:27], v[26:27], v[34:35]
	s_waitcnt vmcnt(2) lgkmcnt(0)
	v_mul_f64 v[32:33], v[6:7], v[16:17]
	v_mul_f64 v[16:17], v[8:9], v[16:17]
	v_fma_f64 v[34:35], v[4:5], v[10:11], v[36:37]
	v_fma_f64 v[10:11], v[2:3], v[10:11], -v[12:13]
	ds_load_b128 v[2:5], v1 offset:1520
	v_add_f64 v[12:13], v[26:27], v[38:39]
	v_add_f64 v[26:27], v[28:29], v[30:31]
	s_waitcnt vmcnt(1) lgkmcnt(0)
	v_mul_f64 v[28:29], v[2:3], v[20:21]
	v_mul_f64 v[20:21], v[4:5], v[20:21]
	v_fma_f64 v[8:9], v[8:9], v[14:15], v[32:33]
	v_fma_f64 v[6:7], v[6:7], v[14:15], -v[16:17]
	v_add_f64 v[10:11], v[12:13], v[10:11]
	v_add_f64 v[12:13], v[26:27], v[34:35]
	v_fma_f64 v[4:5], v[4:5], v[18:19], v[28:29]
	v_fma_f64 v[2:3], v[2:3], v[18:19], -v[20:21]
	s_delay_alu instid0(VALU_DEP_4) | instskip(NEXT) | instid1(VALU_DEP_4)
	v_add_f64 v[6:7], v[10:11], v[6:7]
	v_add_f64 v[8:9], v[12:13], v[8:9]
	s_delay_alu instid0(VALU_DEP_2) | instskip(NEXT) | instid1(VALU_DEP_2)
	v_add_f64 v[2:3], v[6:7], v[2:3]
	v_add_f64 v[4:5], v[8:9], v[4:5]
	s_waitcnt vmcnt(0)
	s_delay_alu instid0(VALU_DEP_2) | instskip(NEXT) | instid1(VALU_DEP_2)
	v_add_f64 v[2:3], v[22:23], -v[2:3]
	v_add_f64 v[4:5], v[24:25], -v[4:5]
	scratch_store_b128 off, v[2:5], off offset:352
	v_cmpx_lt_u32_e32 21, v138
	s_cbranch_execz .LBB47_259
; %bb.258:
	scratch_load_b128 v[5:8], v165, off
	v_mov_b32_e32 v2, v1
	v_mov_b32_e32 v3, v1
	;; [unrolled: 1-line block ×3, first 2 shown]
	scratch_store_b128 off, v[1:4], off offset:336
	s_waitcnt vmcnt(0)
	ds_store_b128 v186, v[5:8]
.LBB47_259:
	s_or_b32 exec_lo, exec_lo, s2
	s_waitcnt lgkmcnt(0)
	s_waitcnt_vscnt null, 0x0
	s_barrier
	buffer_gl0_inv
	s_clause 0x7
	scratch_load_b128 v[2:5], off, off offset:352
	scratch_load_b128 v[6:9], off, off offset:368
	;; [unrolled: 1-line block ×8, first 2 shown]
	ds_load_b128 v[38:41], v1 offset:1120
	ds_load_b128 v[187:190], v1 offset:1136
	s_clause 0x1
	scratch_load_b128 v[34:37], off, off offset:480
	scratch_load_b128 v[191:194], off, off offset:496
	s_mov_b32 s2, exec_lo
	s_waitcnt vmcnt(9) lgkmcnt(1)
	v_mul_f64 v[195:196], v[40:41], v[4:5]
	v_mul_f64 v[4:5], v[38:39], v[4:5]
	s_waitcnt vmcnt(8) lgkmcnt(0)
	v_mul_f64 v[197:198], v[187:188], v[8:9]
	v_mul_f64 v[8:9], v[189:190], v[8:9]
	s_delay_alu instid0(VALU_DEP_4) | instskip(NEXT) | instid1(VALU_DEP_4)
	v_fma_f64 v[195:196], v[38:39], v[2:3], -v[195:196]
	v_fma_f64 v[199:200], v[40:41], v[2:3], v[4:5]
	ds_load_b128 v[2:5], v1 offset:1152
	scratch_load_b128 v[38:41], off, off offset:512
	v_fma_f64 v[197:198], v[189:190], v[6:7], v[197:198]
	v_fma_f64 v[203:204], v[187:188], v[6:7], -v[8:9]
	scratch_load_b128 v[187:190], off, off offset:528
	ds_load_b128 v[6:9], v1 offset:1168
	s_waitcnt vmcnt(9) lgkmcnt(1)
	v_mul_f64 v[201:202], v[2:3], v[12:13]
	v_mul_f64 v[12:13], v[4:5], v[12:13]
	s_waitcnt vmcnt(8) lgkmcnt(0)
	v_mul_f64 v[205:206], v[6:7], v[16:17]
	v_mul_f64 v[16:17], v[8:9], v[16:17]
	v_add_f64 v[195:196], v[195:196], 0
	v_add_f64 v[199:200], v[199:200], 0
	v_fma_f64 v[201:202], v[4:5], v[10:11], v[201:202]
	v_fma_f64 v[207:208], v[2:3], v[10:11], -v[12:13]
	ds_load_b128 v[2:5], v1 offset:1184
	scratch_load_b128 v[10:13], off, off offset:544
	v_add_f64 v[195:196], v[195:196], v[203:204]
	v_add_f64 v[197:198], v[199:200], v[197:198]
	v_fma_f64 v[203:204], v[8:9], v[14:15], v[205:206]
	v_fma_f64 v[205:206], v[6:7], v[14:15], -v[16:17]
	scratch_load_b128 v[14:17], off, off offset:560
	ds_load_b128 v[6:9], v1 offset:1200
	s_waitcnt vmcnt(9) lgkmcnt(1)
	v_mul_f64 v[199:200], v[2:3], v[20:21]
	v_mul_f64 v[20:21], v[4:5], v[20:21]
	v_add_f64 v[195:196], v[195:196], v[207:208]
	v_add_f64 v[197:198], v[197:198], v[201:202]
	s_waitcnt vmcnt(8) lgkmcnt(0)
	v_mul_f64 v[201:202], v[6:7], v[24:25]
	v_mul_f64 v[24:25], v[8:9], v[24:25]
	v_fma_f64 v[199:200], v[4:5], v[18:19], v[199:200]
	v_fma_f64 v[207:208], v[2:3], v[18:19], -v[20:21]
	ds_load_b128 v[2:5], v1 offset:1216
	scratch_load_b128 v[18:21], off, off offset:576
	v_add_f64 v[195:196], v[195:196], v[205:206]
	v_add_f64 v[197:198], v[197:198], v[203:204]
	v_fma_f64 v[201:202], v[8:9], v[22:23], v[201:202]
	v_fma_f64 v[205:206], v[6:7], v[22:23], -v[24:25]
	scratch_load_b128 v[22:25], off, off offset:592
	ds_load_b128 v[6:9], v1 offset:1232
	s_waitcnt vmcnt(9) lgkmcnt(1)
	v_mul_f64 v[203:204], v[2:3], v[28:29]
	v_mul_f64 v[28:29], v[4:5], v[28:29]
	v_add_f64 v[195:196], v[195:196], v[207:208]
	v_add_f64 v[197:198], v[197:198], v[199:200]
	s_waitcnt vmcnt(8) lgkmcnt(0)
	v_mul_f64 v[199:200], v[6:7], v[32:33]
	v_mul_f64 v[32:33], v[8:9], v[32:33]
	;; [unrolled: 18-line block ×3, first 2 shown]
	v_fma_f64 v[201:202], v[4:5], v[34:35], v[201:202]
	v_fma_f64 v[207:208], v[2:3], v[34:35], -v[36:37]
	ds_load_b128 v[2:5], v1 offset:1280
	scratch_load_b128 v[34:37], off, off offset:640
	v_add_f64 v[195:196], v[195:196], v[205:206]
	v_add_f64 v[197:198], v[197:198], v[199:200]
	v_fma_f64 v[203:204], v[8:9], v[191:192], v[203:204]
	v_fma_f64 v[205:206], v[6:7], v[191:192], -v[193:194]
	ds_load_b128 v[6:9], v1 offset:1296
	scratch_load_b128 v[191:194], off, off offset:656
	s_waitcnt vmcnt(9) lgkmcnt(1)
	v_mul_f64 v[199:200], v[2:3], v[40:41]
	v_mul_f64 v[40:41], v[4:5], v[40:41]
	v_add_f64 v[195:196], v[195:196], v[207:208]
	v_add_f64 v[197:198], v[197:198], v[201:202]
	s_waitcnt vmcnt(8) lgkmcnt(0)
	v_mul_f64 v[201:202], v[6:7], v[189:190]
	v_mul_f64 v[189:190], v[8:9], v[189:190]
	v_fma_f64 v[199:200], v[4:5], v[38:39], v[199:200]
	v_fma_f64 v[207:208], v[2:3], v[38:39], -v[40:41]
	ds_load_b128 v[2:5], v1 offset:1312
	scratch_load_b128 v[38:41], off, off offset:672
	v_add_f64 v[195:196], v[195:196], v[205:206]
	v_add_f64 v[197:198], v[197:198], v[203:204]
	v_fma_f64 v[201:202], v[8:9], v[187:188], v[201:202]
	v_fma_f64 v[205:206], v[6:7], v[187:188], -v[189:190]
	ds_load_b128 v[6:9], v1 offset:1328
	s_waitcnt vmcnt(8) lgkmcnt(1)
	v_mul_f64 v[203:204], v[2:3], v[12:13]
	v_mul_f64 v[12:13], v[4:5], v[12:13]
	scratch_load_b128 v[187:190], off, off offset:688
	v_add_f64 v[195:196], v[195:196], v[207:208]
	v_add_f64 v[197:198], v[197:198], v[199:200]
	s_waitcnt vmcnt(8) lgkmcnt(0)
	v_mul_f64 v[199:200], v[6:7], v[16:17]
	v_mul_f64 v[16:17], v[8:9], v[16:17]
	v_fma_f64 v[203:204], v[4:5], v[10:11], v[203:204]
	v_fma_f64 v[207:208], v[2:3], v[10:11], -v[12:13]
	scratch_load_b128 v[10:13], off, off offset:704
	ds_load_b128 v[2:5], v1 offset:1344
	v_add_f64 v[195:196], v[195:196], v[205:206]
	v_add_f64 v[197:198], v[197:198], v[201:202]
	v_fma_f64 v[199:200], v[8:9], v[14:15], v[199:200]
	v_fma_f64 v[205:206], v[6:7], v[14:15], -v[16:17]
	ds_load_b128 v[6:9], v1 offset:1360
	s_waitcnt vmcnt(8) lgkmcnt(1)
	v_mul_f64 v[201:202], v[2:3], v[20:21]
	v_mul_f64 v[20:21], v[4:5], v[20:21]
	scratch_load_b128 v[14:17], off, off offset:720
	v_add_f64 v[195:196], v[195:196], v[207:208]
	v_add_f64 v[197:198], v[197:198], v[203:204]
	s_waitcnt vmcnt(8) lgkmcnt(0)
	v_mul_f64 v[203:204], v[6:7], v[24:25]
	v_mul_f64 v[24:25], v[8:9], v[24:25]
	v_fma_f64 v[201:202], v[4:5], v[18:19], v[201:202]
	v_fma_f64 v[207:208], v[2:3], v[18:19], -v[20:21]
	scratch_load_b128 v[18:21], off, off offset:736
	ds_load_b128 v[2:5], v1 offset:1376
	v_add_f64 v[195:196], v[195:196], v[205:206]
	v_add_f64 v[197:198], v[197:198], v[199:200]
	v_fma_f64 v[203:204], v[8:9], v[22:23], v[203:204]
	v_fma_f64 v[205:206], v[6:7], v[22:23], -v[24:25]
	ds_load_b128 v[6:9], v1 offset:1392
	s_waitcnt vmcnt(8) lgkmcnt(1)
	v_mul_f64 v[199:200], v[2:3], v[28:29]
	v_mul_f64 v[28:29], v[4:5], v[28:29]
	scratch_load_b128 v[22:25], off, off offset:752
	v_add_f64 v[195:196], v[195:196], v[207:208]
	v_add_f64 v[197:198], v[197:198], v[201:202]
	s_waitcnt vmcnt(8) lgkmcnt(0)
	v_mul_f64 v[201:202], v[6:7], v[32:33]
	v_mul_f64 v[32:33], v[8:9], v[32:33]
	v_fma_f64 v[199:200], v[4:5], v[26:27], v[199:200]
	v_fma_f64 v[26:27], v[2:3], v[26:27], -v[28:29]
	ds_load_b128 v[2:5], v1 offset:1408
	v_add_f64 v[28:29], v[195:196], v[205:206]
	v_add_f64 v[195:196], v[197:198], v[203:204]
	v_fma_f64 v[201:202], v[8:9], v[30:31], v[201:202]
	v_fma_f64 v[30:31], v[6:7], v[30:31], -v[32:33]
	ds_load_b128 v[6:9], v1 offset:1424
	s_waitcnt vmcnt(7) lgkmcnt(1)
	v_mul_f64 v[197:198], v[2:3], v[36:37]
	v_mul_f64 v[36:37], v[4:5], v[36:37]
	v_add_f64 v[26:27], v[28:29], v[26:27]
	v_add_f64 v[28:29], v[195:196], v[199:200]
	s_delay_alu instid0(VALU_DEP_4) | instskip(NEXT) | instid1(VALU_DEP_4)
	v_fma_f64 v[195:196], v[4:5], v[34:35], v[197:198]
	v_fma_f64 v[34:35], v[2:3], v[34:35], -v[36:37]
	ds_load_b128 v[2:5], v1 offset:1440
	v_add_f64 v[30:31], v[26:27], v[30:31]
	v_add_f64 v[36:37], v[28:29], v[201:202]
	scratch_load_b128 v[26:29], off, off offset:336
	s_waitcnt vmcnt(7) lgkmcnt(1)
	v_mul_f64 v[32:33], v[6:7], v[193:194]
	v_mul_f64 v[193:194], v[8:9], v[193:194]
	v_add_f64 v[30:31], v[30:31], v[34:35]
	v_add_f64 v[34:35], v[36:37], v[195:196]
	s_delay_alu instid0(VALU_DEP_4) | instskip(NEXT) | instid1(VALU_DEP_4)
	v_fma_f64 v[32:33], v[8:9], v[191:192], v[32:33]
	v_fma_f64 v[191:192], v[6:7], v[191:192], -v[193:194]
	ds_load_b128 v[6:9], v1 offset:1456
	s_waitcnt vmcnt(6) lgkmcnt(1)
	v_mul_f64 v[197:198], v[2:3], v[40:41]
	v_mul_f64 v[40:41], v[4:5], v[40:41]
	s_waitcnt vmcnt(5) lgkmcnt(0)
	v_mul_f64 v[36:37], v[6:7], v[189:190]
	v_mul_f64 v[189:190], v[8:9], v[189:190]
	v_add_f64 v[32:33], v[34:35], v[32:33]
	v_add_f64 v[30:31], v[30:31], v[191:192]
	v_fma_f64 v[193:194], v[4:5], v[38:39], v[197:198]
	v_fma_f64 v[38:39], v[2:3], v[38:39], -v[40:41]
	ds_load_b128 v[2:5], v1 offset:1472
	v_fma_f64 v[36:37], v[8:9], v[187:188], v[36:37]
	v_fma_f64 v[40:41], v[6:7], v[187:188], -v[189:190]
	ds_load_b128 v[6:9], v1 offset:1488
	s_waitcnt vmcnt(4) lgkmcnt(1)
	v_mul_f64 v[34:35], v[2:3], v[12:13]
	v_mul_f64 v[12:13], v[4:5], v[12:13]
	v_add_f64 v[32:33], v[32:33], v[193:194]
	v_add_f64 v[30:31], v[30:31], v[38:39]
	s_waitcnt vmcnt(3) lgkmcnt(0)
	v_mul_f64 v[38:39], v[6:7], v[16:17]
	v_mul_f64 v[16:17], v[8:9], v[16:17]
	v_fma_f64 v[34:35], v[4:5], v[10:11], v[34:35]
	v_fma_f64 v[10:11], v[2:3], v[10:11], -v[12:13]
	ds_load_b128 v[2:5], v1 offset:1504
	v_add_f64 v[12:13], v[30:31], v[40:41]
	v_add_f64 v[30:31], v[32:33], v[36:37]
	v_fma_f64 v[36:37], v[8:9], v[14:15], v[38:39]
	v_fma_f64 v[14:15], v[6:7], v[14:15], -v[16:17]
	ds_load_b128 v[6:9], v1 offset:1520
	s_waitcnt vmcnt(2) lgkmcnt(1)
	v_mul_f64 v[32:33], v[2:3], v[20:21]
	v_mul_f64 v[20:21], v[4:5], v[20:21]
	s_waitcnt vmcnt(1) lgkmcnt(0)
	v_mul_f64 v[16:17], v[6:7], v[24:25]
	v_mul_f64 v[24:25], v[8:9], v[24:25]
	v_add_f64 v[10:11], v[12:13], v[10:11]
	v_add_f64 v[12:13], v[30:31], v[34:35]
	v_fma_f64 v[4:5], v[4:5], v[18:19], v[32:33]
	v_fma_f64 v[1:2], v[2:3], v[18:19], -v[20:21]
	v_fma_f64 v[8:9], v[8:9], v[22:23], v[16:17]
	v_fma_f64 v[6:7], v[6:7], v[22:23], -v[24:25]
	v_add_f64 v[10:11], v[10:11], v[14:15]
	v_add_f64 v[12:13], v[12:13], v[36:37]
	s_delay_alu instid0(VALU_DEP_2) | instskip(NEXT) | instid1(VALU_DEP_2)
	v_add_f64 v[1:2], v[10:11], v[1:2]
	v_add_f64 v[3:4], v[12:13], v[4:5]
	s_delay_alu instid0(VALU_DEP_2) | instskip(NEXT) | instid1(VALU_DEP_2)
	v_add_f64 v[1:2], v[1:2], v[6:7]
	v_add_f64 v[3:4], v[3:4], v[8:9]
	s_waitcnt vmcnt(0)
	s_delay_alu instid0(VALU_DEP_2) | instskip(NEXT) | instid1(VALU_DEP_2)
	v_add_f64 v[1:2], v[26:27], -v[1:2]
	v_add_f64 v[3:4], v[28:29], -v[3:4]
	scratch_store_b128 off, v[1:4], off offset:336
	v_cmpx_lt_u32_e32 20, v138
	s_cbranch_execz .LBB47_261
; %bb.260:
	scratch_load_b128 v[1:4], v166, off
	v_mov_b32_e32 v5, 0
	s_delay_alu instid0(VALU_DEP_1)
	v_mov_b32_e32 v6, v5
	v_mov_b32_e32 v7, v5
	v_mov_b32_e32 v8, v5
	scratch_store_b128 off, v[5:8], off offset:320
	s_waitcnt vmcnt(0)
	ds_store_b128 v186, v[1:4]
.LBB47_261:
	s_or_b32 exec_lo, exec_lo, s2
	s_waitcnt lgkmcnt(0)
	s_waitcnt_vscnt null, 0x0
	s_barrier
	buffer_gl0_inv
	s_clause 0x7
	scratch_load_b128 v[2:5], off, off offset:336
	scratch_load_b128 v[6:9], off, off offset:352
	;; [unrolled: 1-line block ×8, first 2 shown]
	v_mov_b32_e32 v1, 0
	s_clause 0x1
	scratch_load_b128 v[34:37], off, off offset:464
	scratch_load_b128 v[191:194], off, off offset:480
	s_mov_b32 s2, exec_lo
	ds_load_b128 v[38:41], v1 offset:1104
	ds_load_b128 v[187:190], v1 offset:1120
	s_waitcnt vmcnt(9) lgkmcnt(1)
	v_mul_f64 v[195:196], v[40:41], v[4:5]
	v_mul_f64 v[4:5], v[38:39], v[4:5]
	s_waitcnt vmcnt(8) lgkmcnt(0)
	v_mul_f64 v[197:198], v[187:188], v[8:9]
	v_mul_f64 v[8:9], v[189:190], v[8:9]
	s_delay_alu instid0(VALU_DEP_4) | instskip(NEXT) | instid1(VALU_DEP_4)
	v_fma_f64 v[195:196], v[38:39], v[2:3], -v[195:196]
	v_fma_f64 v[199:200], v[40:41], v[2:3], v[4:5]
	ds_load_b128 v[2:5], v1 offset:1136
	scratch_load_b128 v[38:41], off, off offset:496
	v_fma_f64 v[197:198], v[189:190], v[6:7], v[197:198]
	v_fma_f64 v[203:204], v[187:188], v[6:7], -v[8:9]
	scratch_load_b128 v[187:190], off, off offset:512
	ds_load_b128 v[6:9], v1 offset:1152
	s_waitcnt vmcnt(9) lgkmcnt(1)
	v_mul_f64 v[201:202], v[2:3], v[12:13]
	v_mul_f64 v[12:13], v[4:5], v[12:13]
	s_waitcnt vmcnt(8) lgkmcnt(0)
	v_mul_f64 v[205:206], v[6:7], v[16:17]
	v_mul_f64 v[16:17], v[8:9], v[16:17]
	v_add_f64 v[195:196], v[195:196], 0
	v_add_f64 v[199:200], v[199:200], 0
	v_fma_f64 v[201:202], v[4:5], v[10:11], v[201:202]
	v_fma_f64 v[207:208], v[2:3], v[10:11], -v[12:13]
	ds_load_b128 v[2:5], v1 offset:1168
	scratch_load_b128 v[10:13], off, off offset:528
	v_add_f64 v[195:196], v[195:196], v[203:204]
	v_add_f64 v[197:198], v[199:200], v[197:198]
	v_fma_f64 v[203:204], v[8:9], v[14:15], v[205:206]
	v_fma_f64 v[205:206], v[6:7], v[14:15], -v[16:17]
	scratch_load_b128 v[14:17], off, off offset:544
	ds_load_b128 v[6:9], v1 offset:1184
	s_waitcnt vmcnt(9) lgkmcnt(1)
	v_mul_f64 v[199:200], v[2:3], v[20:21]
	v_mul_f64 v[20:21], v[4:5], v[20:21]
	v_add_f64 v[195:196], v[195:196], v[207:208]
	v_add_f64 v[197:198], v[197:198], v[201:202]
	s_waitcnt vmcnt(8) lgkmcnt(0)
	v_mul_f64 v[201:202], v[6:7], v[24:25]
	v_mul_f64 v[24:25], v[8:9], v[24:25]
	v_fma_f64 v[199:200], v[4:5], v[18:19], v[199:200]
	v_fma_f64 v[207:208], v[2:3], v[18:19], -v[20:21]
	ds_load_b128 v[2:5], v1 offset:1200
	scratch_load_b128 v[18:21], off, off offset:560
	v_add_f64 v[195:196], v[195:196], v[205:206]
	v_add_f64 v[197:198], v[197:198], v[203:204]
	v_fma_f64 v[201:202], v[8:9], v[22:23], v[201:202]
	v_fma_f64 v[205:206], v[6:7], v[22:23], -v[24:25]
	scratch_load_b128 v[22:25], off, off offset:576
	ds_load_b128 v[6:9], v1 offset:1216
	s_waitcnt vmcnt(9) lgkmcnt(1)
	v_mul_f64 v[203:204], v[2:3], v[28:29]
	v_mul_f64 v[28:29], v[4:5], v[28:29]
	v_add_f64 v[195:196], v[195:196], v[207:208]
	v_add_f64 v[197:198], v[197:198], v[199:200]
	s_waitcnt vmcnt(8) lgkmcnt(0)
	v_mul_f64 v[199:200], v[6:7], v[32:33]
	v_mul_f64 v[32:33], v[8:9], v[32:33]
	;; [unrolled: 18-line block ×4, first 2 shown]
	v_fma_f64 v[199:200], v[4:5], v[38:39], v[199:200]
	v_fma_f64 v[207:208], v[2:3], v[38:39], -v[40:41]
	ds_load_b128 v[2:5], v1 offset:1296
	scratch_load_b128 v[38:41], off, off offset:656
	v_add_f64 v[195:196], v[195:196], v[205:206]
	v_add_f64 v[197:198], v[197:198], v[203:204]
	v_fma_f64 v[201:202], v[8:9], v[187:188], v[201:202]
	v_fma_f64 v[205:206], v[6:7], v[187:188], -v[189:190]
	ds_load_b128 v[6:9], v1 offset:1312
	s_waitcnt vmcnt(8) lgkmcnt(1)
	v_mul_f64 v[203:204], v[2:3], v[12:13]
	v_mul_f64 v[12:13], v[4:5], v[12:13]
	scratch_load_b128 v[187:190], off, off offset:672
	v_add_f64 v[195:196], v[195:196], v[207:208]
	v_add_f64 v[197:198], v[197:198], v[199:200]
	s_waitcnt vmcnt(8) lgkmcnt(0)
	v_mul_f64 v[199:200], v[6:7], v[16:17]
	v_mul_f64 v[16:17], v[8:9], v[16:17]
	v_fma_f64 v[203:204], v[4:5], v[10:11], v[203:204]
	v_fma_f64 v[207:208], v[2:3], v[10:11], -v[12:13]
	scratch_load_b128 v[10:13], off, off offset:688
	ds_load_b128 v[2:5], v1 offset:1328
	v_add_f64 v[195:196], v[195:196], v[205:206]
	v_add_f64 v[197:198], v[197:198], v[201:202]
	v_fma_f64 v[199:200], v[8:9], v[14:15], v[199:200]
	v_fma_f64 v[205:206], v[6:7], v[14:15], -v[16:17]
	ds_load_b128 v[6:9], v1 offset:1344
	s_waitcnt vmcnt(8) lgkmcnt(1)
	v_mul_f64 v[201:202], v[2:3], v[20:21]
	v_mul_f64 v[20:21], v[4:5], v[20:21]
	scratch_load_b128 v[14:17], off, off offset:704
	v_add_f64 v[195:196], v[195:196], v[207:208]
	v_add_f64 v[197:198], v[197:198], v[203:204]
	s_waitcnt vmcnt(8) lgkmcnt(0)
	v_mul_f64 v[203:204], v[6:7], v[24:25]
	v_mul_f64 v[24:25], v[8:9], v[24:25]
	v_fma_f64 v[201:202], v[4:5], v[18:19], v[201:202]
	v_fma_f64 v[207:208], v[2:3], v[18:19], -v[20:21]
	scratch_load_b128 v[18:21], off, off offset:720
	ds_load_b128 v[2:5], v1 offset:1360
	;; [unrolled: 18-line block ×3, first 2 shown]
	v_add_f64 v[195:196], v[195:196], v[205:206]
	v_add_f64 v[197:198], v[197:198], v[203:204]
	v_fma_f64 v[201:202], v[8:9], v[30:31], v[201:202]
	v_fma_f64 v[30:31], v[6:7], v[30:31], -v[32:33]
	ds_load_b128 v[6:9], v1 offset:1408
	s_waitcnt vmcnt(8) lgkmcnt(1)
	v_mul_f64 v[203:204], v[2:3], v[36:37]
	v_mul_f64 v[36:37], v[4:5], v[36:37]
	v_add_f64 v[32:33], v[195:196], v[207:208]
	v_add_f64 v[195:196], v[197:198], v[199:200]
	s_waitcnt vmcnt(7) lgkmcnt(0)
	v_mul_f64 v[197:198], v[6:7], v[193:194]
	v_mul_f64 v[193:194], v[8:9], v[193:194]
	v_fma_f64 v[199:200], v[4:5], v[34:35], v[203:204]
	v_fma_f64 v[34:35], v[2:3], v[34:35], -v[36:37]
	ds_load_b128 v[2:5], v1 offset:1424
	v_add_f64 v[30:31], v[32:33], v[30:31]
	v_add_f64 v[32:33], v[195:196], v[201:202]
	v_fma_f64 v[195:196], v[8:9], v[191:192], v[197:198]
	v_fma_f64 v[191:192], v[6:7], v[191:192], -v[193:194]
	ds_load_b128 v[6:9], v1 offset:1440
	s_waitcnt vmcnt(5) lgkmcnt(0)
	v_mul_f64 v[197:198], v[6:7], v[189:190]
	v_mul_f64 v[189:190], v[8:9], v[189:190]
	v_add_f64 v[34:35], v[30:31], v[34:35]
	v_add_f64 v[193:194], v[32:33], v[199:200]
	scratch_load_b128 v[30:33], off, off offset:320
	v_mul_f64 v[36:37], v[2:3], v[40:41]
	v_mul_f64 v[40:41], v[4:5], v[40:41]
	v_add_f64 v[34:35], v[34:35], v[191:192]
	s_delay_alu instid0(VALU_DEP_3) | instskip(NEXT) | instid1(VALU_DEP_3)
	v_fma_f64 v[36:37], v[4:5], v[38:39], v[36:37]
	v_fma_f64 v[38:39], v[2:3], v[38:39], -v[40:41]
	v_add_f64 v[40:41], v[193:194], v[195:196]
	ds_load_b128 v[2:5], v1 offset:1456
	v_fma_f64 v[193:194], v[8:9], v[187:188], v[197:198]
	v_fma_f64 v[187:188], v[6:7], v[187:188], -v[189:190]
	ds_load_b128 v[6:9], v1 offset:1472
	s_waitcnt vmcnt(5) lgkmcnt(1)
	v_mul_f64 v[191:192], v[2:3], v[12:13]
	v_mul_f64 v[12:13], v[4:5], v[12:13]
	v_add_f64 v[34:35], v[34:35], v[38:39]
	v_add_f64 v[36:37], v[40:41], v[36:37]
	s_waitcnt vmcnt(4) lgkmcnt(0)
	v_mul_f64 v[38:39], v[6:7], v[16:17]
	v_mul_f64 v[16:17], v[8:9], v[16:17]
	v_fma_f64 v[40:41], v[4:5], v[10:11], v[191:192]
	v_fma_f64 v[10:11], v[2:3], v[10:11], -v[12:13]
	ds_load_b128 v[2:5], v1 offset:1488
	v_add_f64 v[12:13], v[34:35], v[187:188]
	v_add_f64 v[34:35], v[36:37], v[193:194]
	v_fma_f64 v[38:39], v[8:9], v[14:15], v[38:39]
	v_fma_f64 v[14:15], v[6:7], v[14:15], -v[16:17]
	ds_load_b128 v[6:9], v1 offset:1504
	s_waitcnt vmcnt(3) lgkmcnt(1)
	v_mul_f64 v[36:37], v[2:3], v[20:21]
	v_mul_f64 v[20:21], v[4:5], v[20:21]
	s_waitcnt vmcnt(2) lgkmcnt(0)
	v_mul_f64 v[16:17], v[6:7], v[24:25]
	v_mul_f64 v[24:25], v[8:9], v[24:25]
	v_add_f64 v[10:11], v[12:13], v[10:11]
	v_add_f64 v[12:13], v[34:35], v[40:41]
	v_fma_f64 v[34:35], v[4:5], v[18:19], v[36:37]
	v_fma_f64 v[18:19], v[2:3], v[18:19], -v[20:21]
	ds_load_b128 v[2:5], v1 offset:1520
	v_fma_f64 v[8:9], v[8:9], v[22:23], v[16:17]
	v_fma_f64 v[6:7], v[6:7], v[22:23], -v[24:25]
	s_waitcnt vmcnt(1) lgkmcnt(0)
	v_mul_f64 v[20:21], v[4:5], v[28:29]
	v_add_f64 v[10:11], v[10:11], v[14:15]
	v_add_f64 v[12:13], v[12:13], v[38:39]
	v_mul_f64 v[14:15], v[2:3], v[28:29]
	s_delay_alu instid0(VALU_DEP_4) | instskip(NEXT) | instid1(VALU_DEP_4)
	v_fma_f64 v[2:3], v[2:3], v[26:27], -v[20:21]
	v_add_f64 v[10:11], v[10:11], v[18:19]
	s_delay_alu instid0(VALU_DEP_4) | instskip(NEXT) | instid1(VALU_DEP_4)
	v_add_f64 v[12:13], v[12:13], v[34:35]
	v_fma_f64 v[4:5], v[4:5], v[26:27], v[14:15]
	s_delay_alu instid0(VALU_DEP_3) | instskip(NEXT) | instid1(VALU_DEP_3)
	v_add_f64 v[6:7], v[10:11], v[6:7]
	v_add_f64 v[8:9], v[12:13], v[8:9]
	s_delay_alu instid0(VALU_DEP_2) | instskip(NEXT) | instid1(VALU_DEP_2)
	v_add_f64 v[2:3], v[6:7], v[2:3]
	v_add_f64 v[4:5], v[8:9], v[4:5]
	s_waitcnt vmcnt(0)
	s_delay_alu instid0(VALU_DEP_2) | instskip(NEXT) | instid1(VALU_DEP_2)
	v_add_f64 v[2:3], v[30:31], -v[2:3]
	v_add_f64 v[4:5], v[32:33], -v[4:5]
	scratch_store_b128 off, v[2:5], off offset:320
	v_cmpx_lt_u32_e32 19, v138
	s_cbranch_execz .LBB47_263
; %bb.262:
	scratch_load_b128 v[5:8], v167, off
	v_mov_b32_e32 v2, v1
	v_mov_b32_e32 v3, v1
	;; [unrolled: 1-line block ×3, first 2 shown]
	scratch_store_b128 off, v[1:4], off offset:304
	s_waitcnt vmcnt(0)
	ds_store_b128 v186, v[5:8]
.LBB47_263:
	s_or_b32 exec_lo, exec_lo, s2
	s_waitcnt lgkmcnt(0)
	s_waitcnt_vscnt null, 0x0
	s_barrier
	buffer_gl0_inv
	s_clause 0x7
	scratch_load_b128 v[2:5], off, off offset:320
	scratch_load_b128 v[6:9], off, off offset:336
	;; [unrolled: 1-line block ×8, first 2 shown]
	ds_load_b128 v[38:41], v1 offset:1088
	ds_load_b128 v[187:190], v1 offset:1104
	s_clause 0x1
	scratch_load_b128 v[34:37], off, off offset:448
	scratch_load_b128 v[191:194], off, off offset:464
	s_mov_b32 s2, exec_lo
	s_waitcnt vmcnt(9) lgkmcnt(1)
	v_mul_f64 v[195:196], v[40:41], v[4:5]
	v_mul_f64 v[4:5], v[38:39], v[4:5]
	s_waitcnt vmcnt(8) lgkmcnt(0)
	v_mul_f64 v[197:198], v[187:188], v[8:9]
	v_mul_f64 v[8:9], v[189:190], v[8:9]
	s_delay_alu instid0(VALU_DEP_4) | instskip(NEXT) | instid1(VALU_DEP_4)
	v_fma_f64 v[195:196], v[38:39], v[2:3], -v[195:196]
	v_fma_f64 v[199:200], v[40:41], v[2:3], v[4:5]
	ds_load_b128 v[2:5], v1 offset:1120
	scratch_load_b128 v[38:41], off, off offset:480
	v_fma_f64 v[197:198], v[189:190], v[6:7], v[197:198]
	v_fma_f64 v[203:204], v[187:188], v[6:7], -v[8:9]
	scratch_load_b128 v[187:190], off, off offset:496
	ds_load_b128 v[6:9], v1 offset:1136
	s_waitcnt vmcnt(9) lgkmcnt(1)
	v_mul_f64 v[201:202], v[2:3], v[12:13]
	v_mul_f64 v[12:13], v[4:5], v[12:13]
	s_waitcnt vmcnt(8) lgkmcnt(0)
	v_mul_f64 v[205:206], v[6:7], v[16:17]
	v_mul_f64 v[16:17], v[8:9], v[16:17]
	v_add_f64 v[195:196], v[195:196], 0
	v_add_f64 v[199:200], v[199:200], 0
	v_fma_f64 v[201:202], v[4:5], v[10:11], v[201:202]
	v_fma_f64 v[207:208], v[2:3], v[10:11], -v[12:13]
	ds_load_b128 v[2:5], v1 offset:1152
	scratch_load_b128 v[10:13], off, off offset:512
	v_add_f64 v[195:196], v[195:196], v[203:204]
	v_add_f64 v[197:198], v[199:200], v[197:198]
	v_fma_f64 v[203:204], v[8:9], v[14:15], v[205:206]
	v_fma_f64 v[205:206], v[6:7], v[14:15], -v[16:17]
	scratch_load_b128 v[14:17], off, off offset:528
	ds_load_b128 v[6:9], v1 offset:1168
	s_waitcnt vmcnt(9) lgkmcnt(1)
	v_mul_f64 v[199:200], v[2:3], v[20:21]
	v_mul_f64 v[20:21], v[4:5], v[20:21]
	v_add_f64 v[195:196], v[195:196], v[207:208]
	v_add_f64 v[197:198], v[197:198], v[201:202]
	s_waitcnt vmcnt(8) lgkmcnt(0)
	v_mul_f64 v[201:202], v[6:7], v[24:25]
	v_mul_f64 v[24:25], v[8:9], v[24:25]
	v_fma_f64 v[199:200], v[4:5], v[18:19], v[199:200]
	v_fma_f64 v[207:208], v[2:3], v[18:19], -v[20:21]
	ds_load_b128 v[2:5], v1 offset:1184
	scratch_load_b128 v[18:21], off, off offset:544
	v_add_f64 v[195:196], v[195:196], v[205:206]
	v_add_f64 v[197:198], v[197:198], v[203:204]
	v_fma_f64 v[201:202], v[8:9], v[22:23], v[201:202]
	v_fma_f64 v[205:206], v[6:7], v[22:23], -v[24:25]
	scratch_load_b128 v[22:25], off, off offset:560
	ds_load_b128 v[6:9], v1 offset:1200
	s_waitcnt vmcnt(9) lgkmcnt(1)
	v_mul_f64 v[203:204], v[2:3], v[28:29]
	v_mul_f64 v[28:29], v[4:5], v[28:29]
	v_add_f64 v[195:196], v[195:196], v[207:208]
	v_add_f64 v[197:198], v[197:198], v[199:200]
	s_waitcnt vmcnt(8) lgkmcnt(0)
	v_mul_f64 v[199:200], v[6:7], v[32:33]
	v_mul_f64 v[32:33], v[8:9], v[32:33]
	;; [unrolled: 18-line block ×4, first 2 shown]
	v_fma_f64 v[199:200], v[4:5], v[38:39], v[199:200]
	v_fma_f64 v[207:208], v[2:3], v[38:39], -v[40:41]
	ds_load_b128 v[2:5], v1 offset:1280
	scratch_load_b128 v[38:41], off, off offset:640
	v_add_f64 v[195:196], v[195:196], v[205:206]
	v_add_f64 v[197:198], v[197:198], v[203:204]
	v_fma_f64 v[201:202], v[8:9], v[187:188], v[201:202]
	v_fma_f64 v[205:206], v[6:7], v[187:188], -v[189:190]
	ds_load_b128 v[6:9], v1 offset:1296
	s_waitcnt vmcnt(8) lgkmcnt(1)
	v_mul_f64 v[203:204], v[2:3], v[12:13]
	v_mul_f64 v[12:13], v[4:5], v[12:13]
	scratch_load_b128 v[187:190], off, off offset:656
	v_add_f64 v[195:196], v[195:196], v[207:208]
	v_add_f64 v[197:198], v[197:198], v[199:200]
	s_waitcnt vmcnt(8) lgkmcnt(0)
	v_mul_f64 v[199:200], v[6:7], v[16:17]
	v_mul_f64 v[16:17], v[8:9], v[16:17]
	v_fma_f64 v[203:204], v[4:5], v[10:11], v[203:204]
	v_fma_f64 v[207:208], v[2:3], v[10:11], -v[12:13]
	ds_load_b128 v[2:5], v1 offset:1312
	scratch_load_b128 v[10:13], off, off offset:672
	v_add_f64 v[195:196], v[195:196], v[205:206]
	v_add_f64 v[197:198], v[197:198], v[201:202]
	v_fma_f64 v[199:200], v[8:9], v[14:15], v[199:200]
	v_fma_f64 v[205:206], v[6:7], v[14:15], -v[16:17]
	ds_load_b128 v[6:9], v1 offset:1328
	s_waitcnt vmcnt(8) lgkmcnt(1)
	v_mul_f64 v[201:202], v[2:3], v[20:21]
	v_mul_f64 v[20:21], v[4:5], v[20:21]
	scratch_load_b128 v[14:17], off, off offset:688
	v_add_f64 v[195:196], v[195:196], v[207:208]
	v_add_f64 v[197:198], v[197:198], v[203:204]
	s_waitcnt vmcnt(8) lgkmcnt(0)
	v_mul_f64 v[203:204], v[6:7], v[24:25]
	v_mul_f64 v[24:25], v[8:9], v[24:25]
	v_fma_f64 v[201:202], v[4:5], v[18:19], v[201:202]
	v_fma_f64 v[207:208], v[2:3], v[18:19], -v[20:21]
	scratch_load_b128 v[18:21], off, off offset:704
	ds_load_b128 v[2:5], v1 offset:1344
	v_add_f64 v[195:196], v[195:196], v[205:206]
	v_add_f64 v[197:198], v[197:198], v[199:200]
	v_fma_f64 v[203:204], v[8:9], v[22:23], v[203:204]
	v_fma_f64 v[205:206], v[6:7], v[22:23], -v[24:25]
	ds_load_b128 v[6:9], v1 offset:1360
	s_waitcnt vmcnt(8) lgkmcnt(1)
	v_mul_f64 v[199:200], v[2:3], v[28:29]
	v_mul_f64 v[28:29], v[4:5], v[28:29]
	scratch_load_b128 v[22:25], off, off offset:720
	v_add_f64 v[195:196], v[195:196], v[207:208]
	v_add_f64 v[197:198], v[197:198], v[201:202]
	s_waitcnt vmcnt(8) lgkmcnt(0)
	v_mul_f64 v[201:202], v[6:7], v[32:33]
	v_mul_f64 v[32:33], v[8:9], v[32:33]
	v_fma_f64 v[199:200], v[4:5], v[26:27], v[199:200]
	v_fma_f64 v[207:208], v[2:3], v[26:27], -v[28:29]
	scratch_load_b128 v[26:29], off, off offset:736
	ds_load_b128 v[2:5], v1 offset:1376
	v_add_f64 v[195:196], v[195:196], v[205:206]
	v_add_f64 v[197:198], v[197:198], v[203:204]
	v_fma_f64 v[201:202], v[8:9], v[30:31], v[201:202]
	v_fma_f64 v[205:206], v[6:7], v[30:31], -v[32:33]
	ds_load_b128 v[6:9], v1 offset:1392
	s_waitcnt vmcnt(8) lgkmcnt(1)
	v_mul_f64 v[203:204], v[2:3], v[36:37]
	v_mul_f64 v[36:37], v[4:5], v[36:37]
	scratch_load_b128 v[30:33], off, off offset:752
	v_add_f64 v[195:196], v[195:196], v[207:208]
	v_add_f64 v[197:198], v[197:198], v[199:200]
	s_waitcnt vmcnt(8) lgkmcnt(0)
	v_mul_f64 v[199:200], v[6:7], v[193:194]
	v_mul_f64 v[193:194], v[8:9], v[193:194]
	v_fma_f64 v[203:204], v[4:5], v[34:35], v[203:204]
	v_fma_f64 v[34:35], v[2:3], v[34:35], -v[36:37]
	ds_load_b128 v[2:5], v1 offset:1408
	v_add_f64 v[36:37], v[195:196], v[205:206]
	v_add_f64 v[195:196], v[197:198], v[201:202]
	v_fma_f64 v[199:200], v[8:9], v[191:192], v[199:200]
	v_fma_f64 v[191:192], v[6:7], v[191:192], -v[193:194]
	ds_load_b128 v[6:9], v1 offset:1424
	s_waitcnt vmcnt(7) lgkmcnt(1)
	v_mul_f64 v[197:198], v[2:3], v[40:41]
	v_mul_f64 v[40:41], v[4:5], v[40:41]
	v_add_f64 v[34:35], v[36:37], v[34:35]
	v_add_f64 v[36:37], v[195:196], v[203:204]
	s_delay_alu instid0(VALU_DEP_4) | instskip(NEXT) | instid1(VALU_DEP_4)
	v_fma_f64 v[195:196], v[4:5], v[38:39], v[197:198]
	v_fma_f64 v[38:39], v[2:3], v[38:39], -v[40:41]
	ds_load_b128 v[2:5], v1 offset:1440
	v_add_f64 v[40:41], v[34:35], v[191:192]
	v_add_f64 v[191:192], v[36:37], v[199:200]
	scratch_load_b128 v[34:37], off, off offset:304
	s_waitcnt vmcnt(7) lgkmcnt(1)
	v_mul_f64 v[193:194], v[6:7], v[189:190]
	v_mul_f64 v[189:190], v[8:9], v[189:190]
	v_add_f64 v[38:39], v[40:41], v[38:39]
	v_add_f64 v[40:41], v[191:192], v[195:196]
	s_delay_alu instid0(VALU_DEP_4) | instskip(NEXT) | instid1(VALU_DEP_4)
	v_fma_f64 v[193:194], v[8:9], v[187:188], v[193:194]
	v_fma_f64 v[187:188], v[6:7], v[187:188], -v[189:190]
	ds_load_b128 v[6:9], v1 offset:1456
	s_waitcnt vmcnt(6) lgkmcnt(1)
	v_mul_f64 v[197:198], v[2:3], v[12:13]
	v_mul_f64 v[12:13], v[4:5], v[12:13]
	s_waitcnt vmcnt(5) lgkmcnt(0)
	v_mul_f64 v[189:190], v[6:7], v[16:17]
	v_mul_f64 v[16:17], v[8:9], v[16:17]
	s_delay_alu instid0(VALU_DEP_4) | instskip(NEXT) | instid1(VALU_DEP_4)
	v_fma_f64 v[191:192], v[4:5], v[10:11], v[197:198]
	v_fma_f64 v[10:11], v[2:3], v[10:11], -v[12:13]
	v_add_f64 v[12:13], v[38:39], v[187:188]
	v_add_f64 v[38:39], v[40:41], v[193:194]
	ds_load_b128 v[2:5], v1 offset:1472
	v_fma_f64 v[187:188], v[8:9], v[14:15], v[189:190]
	v_fma_f64 v[14:15], v[6:7], v[14:15], -v[16:17]
	ds_load_b128 v[6:9], v1 offset:1488
	s_waitcnt vmcnt(4) lgkmcnt(1)
	v_mul_f64 v[40:41], v[2:3], v[20:21]
	v_mul_f64 v[20:21], v[4:5], v[20:21]
	v_add_f64 v[10:11], v[12:13], v[10:11]
	v_add_f64 v[12:13], v[38:39], v[191:192]
	s_waitcnt vmcnt(3) lgkmcnt(0)
	v_mul_f64 v[16:17], v[6:7], v[24:25]
	v_mul_f64 v[24:25], v[8:9], v[24:25]
	v_fma_f64 v[38:39], v[4:5], v[18:19], v[40:41]
	v_fma_f64 v[18:19], v[2:3], v[18:19], -v[20:21]
	ds_load_b128 v[2:5], v1 offset:1504
	v_add_f64 v[10:11], v[10:11], v[14:15]
	v_add_f64 v[12:13], v[12:13], v[187:188]
	v_fma_f64 v[16:17], v[8:9], v[22:23], v[16:17]
	v_fma_f64 v[22:23], v[6:7], v[22:23], -v[24:25]
	ds_load_b128 v[6:9], v1 offset:1520
	s_waitcnt vmcnt(2) lgkmcnt(1)
	v_mul_f64 v[14:15], v[2:3], v[28:29]
	v_mul_f64 v[20:21], v[4:5], v[28:29]
	s_waitcnt vmcnt(1) lgkmcnt(0)
	v_mul_f64 v[24:25], v[8:9], v[32:33]
	v_add_f64 v[10:11], v[10:11], v[18:19]
	v_add_f64 v[12:13], v[12:13], v[38:39]
	v_mul_f64 v[18:19], v[6:7], v[32:33]
	v_fma_f64 v[4:5], v[4:5], v[26:27], v[14:15]
	v_fma_f64 v[1:2], v[2:3], v[26:27], -v[20:21]
	v_fma_f64 v[6:7], v[6:7], v[30:31], -v[24:25]
	v_add_f64 v[10:11], v[10:11], v[22:23]
	v_add_f64 v[12:13], v[12:13], v[16:17]
	v_fma_f64 v[8:9], v[8:9], v[30:31], v[18:19]
	s_delay_alu instid0(VALU_DEP_3) | instskip(NEXT) | instid1(VALU_DEP_3)
	v_add_f64 v[1:2], v[10:11], v[1:2]
	v_add_f64 v[3:4], v[12:13], v[4:5]
	s_delay_alu instid0(VALU_DEP_2) | instskip(NEXT) | instid1(VALU_DEP_2)
	v_add_f64 v[1:2], v[1:2], v[6:7]
	v_add_f64 v[3:4], v[3:4], v[8:9]
	s_waitcnt vmcnt(0)
	s_delay_alu instid0(VALU_DEP_2) | instskip(NEXT) | instid1(VALU_DEP_2)
	v_add_f64 v[1:2], v[34:35], -v[1:2]
	v_add_f64 v[3:4], v[36:37], -v[3:4]
	scratch_store_b128 off, v[1:4], off offset:304
	v_cmpx_lt_u32_e32 18, v138
	s_cbranch_execz .LBB47_265
; %bb.264:
	scratch_load_b128 v[1:4], v168, off
	v_mov_b32_e32 v5, 0
	s_delay_alu instid0(VALU_DEP_1)
	v_mov_b32_e32 v6, v5
	v_mov_b32_e32 v7, v5
	;; [unrolled: 1-line block ×3, first 2 shown]
	scratch_store_b128 off, v[5:8], off offset:288
	s_waitcnt vmcnt(0)
	ds_store_b128 v186, v[1:4]
.LBB47_265:
	s_or_b32 exec_lo, exec_lo, s2
	s_waitcnt lgkmcnt(0)
	s_waitcnt_vscnt null, 0x0
	s_barrier
	buffer_gl0_inv
	s_clause 0x7
	scratch_load_b128 v[2:5], off, off offset:304
	scratch_load_b128 v[6:9], off, off offset:320
	scratch_load_b128 v[10:13], off, off offset:336
	scratch_load_b128 v[14:17], off, off offset:352
	scratch_load_b128 v[18:21], off, off offset:368
	scratch_load_b128 v[22:25], off, off offset:384
	scratch_load_b128 v[26:29], off, off offset:400
	scratch_load_b128 v[30:33], off, off offset:416
	v_mov_b32_e32 v1, 0
	s_clause 0x1
	scratch_load_b128 v[34:37], off, off offset:432
	scratch_load_b128 v[191:194], off, off offset:448
	s_mov_b32 s2, exec_lo
	ds_load_b128 v[38:41], v1 offset:1072
	ds_load_b128 v[187:190], v1 offset:1088
	s_waitcnt vmcnt(9) lgkmcnt(1)
	v_mul_f64 v[195:196], v[40:41], v[4:5]
	v_mul_f64 v[4:5], v[38:39], v[4:5]
	s_waitcnt vmcnt(8) lgkmcnt(0)
	v_mul_f64 v[197:198], v[187:188], v[8:9]
	v_mul_f64 v[8:9], v[189:190], v[8:9]
	s_delay_alu instid0(VALU_DEP_4) | instskip(NEXT) | instid1(VALU_DEP_4)
	v_fma_f64 v[195:196], v[38:39], v[2:3], -v[195:196]
	v_fma_f64 v[199:200], v[40:41], v[2:3], v[4:5]
	ds_load_b128 v[2:5], v1 offset:1104
	scratch_load_b128 v[38:41], off, off offset:464
	v_fma_f64 v[197:198], v[189:190], v[6:7], v[197:198]
	v_fma_f64 v[203:204], v[187:188], v[6:7], -v[8:9]
	scratch_load_b128 v[187:190], off, off offset:480
	ds_load_b128 v[6:9], v1 offset:1120
	s_waitcnt vmcnt(9) lgkmcnt(1)
	v_mul_f64 v[201:202], v[2:3], v[12:13]
	v_mul_f64 v[12:13], v[4:5], v[12:13]
	s_waitcnt vmcnt(8) lgkmcnt(0)
	v_mul_f64 v[205:206], v[6:7], v[16:17]
	v_mul_f64 v[16:17], v[8:9], v[16:17]
	v_add_f64 v[195:196], v[195:196], 0
	v_add_f64 v[199:200], v[199:200], 0
	v_fma_f64 v[201:202], v[4:5], v[10:11], v[201:202]
	v_fma_f64 v[207:208], v[2:3], v[10:11], -v[12:13]
	ds_load_b128 v[2:5], v1 offset:1136
	scratch_load_b128 v[10:13], off, off offset:496
	v_add_f64 v[195:196], v[195:196], v[203:204]
	v_add_f64 v[197:198], v[199:200], v[197:198]
	v_fma_f64 v[203:204], v[8:9], v[14:15], v[205:206]
	v_fma_f64 v[205:206], v[6:7], v[14:15], -v[16:17]
	scratch_load_b128 v[14:17], off, off offset:512
	ds_load_b128 v[6:9], v1 offset:1152
	s_waitcnt vmcnt(9) lgkmcnt(1)
	v_mul_f64 v[199:200], v[2:3], v[20:21]
	v_mul_f64 v[20:21], v[4:5], v[20:21]
	v_add_f64 v[195:196], v[195:196], v[207:208]
	v_add_f64 v[197:198], v[197:198], v[201:202]
	s_waitcnt vmcnt(8) lgkmcnt(0)
	v_mul_f64 v[201:202], v[6:7], v[24:25]
	v_mul_f64 v[24:25], v[8:9], v[24:25]
	v_fma_f64 v[199:200], v[4:5], v[18:19], v[199:200]
	v_fma_f64 v[207:208], v[2:3], v[18:19], -v[20:21]
	ds_load_b128 v[2:5], v1 offset:1168
	scratch_load_b128 v[18:21], off, off offset:528
	v_add_f64 v[195:196], v[195:196], v[205:206]
	v_add_f64 v[197:198], v[197:198], v[203:204]
	v_fma_f64 v[201:202], v[8:9], v[22:23], v[201:202]
	v_fma_f64 v[205:206], v[6:7], v[22:23], -v[24:25]
	scratch_load_b128 v[22:25], off, off offset:544
	ds_load_b128 v[6:9], v1 offset:1184
	s_waitcnt vmcnt(9) lgkmcnt(1)
	v_mul_f64 v[203:204], v[2:3], v[28:29]
	v_mul_f64 v[28:29], v[4:5], v[28:29]
	v_add_f64 v[195:196], v[195:196], v[207:208]
	v_add_f64 v[197:198], v[197:198], v[199:200]
	s_waitcnt vmcnt(8) lgkmcnt(0)
	v_mul_f64 v[199:200], v[6:7], v[32:33]
	v_mul_f64 v[32:33], v[8:9], v[32:33]
	;; [unrolled: 18-line block ×5, first 2 shown]
	v_fma_f64 v[203:204], v[4:5], v[10:11], v[203:204]
	v_fma_f64 v[207:208], v[2:3], v[10:11], -v[12:13]
	ds_load_b128 v[2:5], v1 offset:1296
	scratch_load_b128 v[10:13], off, off offset:656
	v_add_f64 v[195:196], v[195:196], v[205:206]
	v_add_f64 v[197:198], v[197:198], v[201:202]
	v_fma_f64 v[199:200], v[8:9], v[14:15], v[199:200]
	v_fma_f64 v[205:206], v[6:7], v[14:15], -v[16:17]
	ds_load_b128 v[6:9], v1 offset:1312
	s_waitcnt vmcnt(8) lgkmcnt(1)
	v_mul_f64 v[201:202], v[2:3], v[20:21]
	v_mul_f64 v[20:21], v[4:5], v[20:21]
	scratch_load_b128 v[14:17], off, off offset:672
	v_add_f64 v[195:196], v[195:196], v[207:208]
	v_add_f64 v[197:198], v[197:198], v[203:204]
	s_waitcnt vmcnt(8) lgkmcnt(0)
	v_mul_f64 v[203:204], v[6:7], v[24:25]
	v_mul_f64 v[24:25], v[8:9], v[24:25]
	v_fma_f64 v[201:202], v[4:5], v[18:19], v[201:202]
	v_fma_f64 v[207:208], v[2:3], v[18:19], -v[20:21]
	scratch_load_b128 v[18:21], off, off offset:688
	ds_load_b128 v[2:5], v1 offset:1328
	v_add_f64 v[195:196], v[195:196], v[205:206]
	v_add_f64 v[197:198], v[197:198], v[199:200]
	v_fma_f64 v[203:204], v[8:9], v[22:23], v[203:204]
	v_fma_f64 v[205:206], v[6:7], v[22:23], -v[24:25]
	ds_load_b128 v[6:9], v1 offset:1344
	s_waitcnt vmcnt(8) lgkmcnt(1)
	v_mul_f64 v[199:200], v[2:3], v[28:29]
	v_mul_f64 v[28:29], v[4:5], v[28:29]
	scratch_load_b128 v[22:25], off, off offset:704
	v_add_f64 v[195:196], v[195:196], v[207:208]
	v_add_f64 v[197:198], v[197:198], v[201:202]
	s_waitcnt vmcnt(8) lgkmcnt(0)
	v_mul_f64 v[201:202], v[6:7], v[32:33]
	v_mul_f64 v[32:33], v[8:9], v[32:33]
	v_fma_f64 v[199:200], v[4:5], v[26:27], v[199:200]
	v_fma_f64 v[207:208], v[2:3], v[26:27], -v[28:29]
	scratch_load_b128 v[26:29], off, off offset:720
	ds_load_b128 v[2:5], v1 offset:1360
	;; [unrolled: 18-line block ×3, first 2 shown]
	v_add_f64 v[195:196], v[195:196], v[205:206]
	v_add_f64 v[197:198], v[197:198], v[201:202]
	v_fma_f64 v[199:200], v[8:9], v[191:192], v[199:200]
	v_fma_f64 v[191:192], v[6:7], v[191:192], -v[193:194]
	ds_load_b128 v[6:9], v1 offset:1408
	s_waitcnt vmcnt(8) lgkmcnt(1)
	v_mul_f64 v[201:202], v[2:3], v[40:41]
	v_mul_f64 v[40:41], v[4:5], v[40:41]
	v_add_f64 v[193:194], v[195:196], v[207:208]
	v_add_f64 v[195:196], v[197:198], v[203:204]
	s_waitcnt vmcnt(7) lgkmcnt(0)
	v_mul_f64 v[197:198], v[6:7], v[189:190]
	v_mul_f64 v[189:190], v[8:9], v[189:190]
	v_fma_f64 v[201:202], v[4:5], v[38:39], v[201:202]
	v_fma_f64 v[38:39], v[2:3], v[38:39], -v[40:41]
	ds_load_b128 v[2:5], v1 offset:1424
	v_add_f64 v[40:41], v[193:194], v[191:192]
	v_add_f64 v[191:192], v[195:196], v[199:200]
	v_fma_f64 v[195:196], v[8:9], v[187:188], v[197:198]
	v_fma_f64 v[187:188], v[6:7], v[187:188], -v[189:190]
	ds_load_b128 v[6:9], v1 offset:1440
	s_waitcnt vmcnt(5) lgkmcnt(0)
	v_mul_f64 v[197:198], v[6:7], v[16:17]
	v_mul_f64 v[16:17], v[8:9], v[16:17]
	v_add_f64 v[189:190], v[40:41], v[38:39]
	v_add_f64 v[191:192], v[191:192], v[201:202]
	scratch_load_b128 v[38:41], off, off offset:288
	v_mul_f64 v[193:194], v[2:3], v[12:13]
	v_mul_f64 v[12:13], v[4:5], v[12:13]
	s_delay_alu instid0(VALU_DEP_2) | instskip(NEXT) | instid1(VALU_DEP_2)
	v_fma_f64 v[193:194], v[4:5], v[10:11], v[193:194]
	v_fma_f64 v[10:11], v[2:3], v[10:11], -v[12:13]
	v_add_f64 v[12:13], v[189:190], v[187:188]
	v_add_f64 v[187:188], v[191:192], v[195:196]
	ds_load_b128 v[2:5], v1 offset:1456
	v_fma_f64 v[191:192], v[8:9], v[14:15], v[197:198]
	v_fma_f64 v[14:15], v[6:7], v[14:15], -v[16:17]
	ds_load_b128 v[6:9], v1 offset:1472
	s_waitcnt vmcnt(5) lgkmcnt(1)
	v_mul_f64 v[189:190], v[2:3], v[20:21]
	v_mul_f64 v[20:21], v[4:5], v[20:21]
	s_waitcnt vmcnt(4) lgkmcnt(0)
	v_mul_f64 v[16:17], v[6:7], v[24:25]
	v_mul_f64 v[24:25], v[8:9], v[24:25]
	v_add_f64 v[10:11], v[12:13], v[10:11]
	v_add_f64 v[12:13], v[187:188], v[193:194]
	v_fma_f64 v[187:188], v[4:5], v[18:19], v[189:190]
	v_fma_f64 v[18:19], v[2:3], v[18:19], -v[20:21]
	ds_load_b128 v[2:5], v1 offset:1488
	v_fma_f64 v[16:17], v[8:9], v[22:23], v[16:17]
	v_fma_f64 v[22:23], v[6:7], v[22:23], -v[24:25]
	ds_load_b128 v[6:9], v1 offset:1504
	v_add_f64 v[10:11], v[10:11], v[14:15]
	v_add_f64 v[12:13], v[12:13], v[191:192]
	s_waitcnt vmcnt(3) lgkmcnt(1)
	v_mul_f64 v[14:15], v[2:3], v[28:29]
	v_mul_f64 v[20:21], v[4:5], v[28:29]
	s_waitcnt vmcnt(2) lgkmcnt(0)
	v_mul_f64 v[24:25], v[8:9], v[32:33]
	v_add_f64 v[10:11], v[10:11], v[18:19]
	v_add_f64 v[12:13], v[12:13], v[187:188]
	v_mul_f64 v[18:19], v[6:7], v[32:33]
	v_fma_f64 v[14:15], v[4:5], v[26:27], v[14:15]
	v_fma_f64 v[20:21], v[2:3], v[26:27], -v[20:21]
	ds_load_b128 v[2:5], v1 offset:1520
	v_fma_f64 v[6:7], v[6:7], v[30:31], -v[24:25]
	v_add_f64 v[10:11], v[10:11], v[22:23]
	v_add_f64 v[12:13], v[12:13], v[16:17]
	s_waitcnt vmcnt(1) lgkmcnt(0)
	v_mul_f64 v[16:17], v[2:3], v[36:37]
	v_mul_f64 v[22:23], v[4:5], v[36:37]
	v_fma_f64 v[8:9], v[8:9], v[30:31], v[18:19]
	v_add_f64 v[10:11], v[10:11], v[20:21]
	v_add_f64 v[12:13], v[12:13], v[14:15]
	v_fma_f64 v[4:5], v[4:5], v[34:35], v[16:17]
	v_fma_f64 v[2:3], v[2:3], v[34:35], -v[22:23]
	s_delay_alu instid0(VALU_DEP_4) | instskip(NEXT) | instid1(VALU_DEP_4)
	v_add_f64 v[6:7], v[10:11], v[6:7]
	v_add_f64 v[8:9], v[12:13], v[8:9]
	s_delay_alu instid0(VALU_DEP_2) | instskip(NEXT) | instid1(VALU_DEP_2)
	v_add_f64 v[2:3], v[6:7], v[2:3]
	v_add_f64 v[4:5], v[8:9], v[4:5]
	s_waitcnt vmcnt(0)
	s_delay_alu instid0(VALU_DEP_2) | instskip(NEXT) | instid1(VALU_DEP_2)
	v_add_f64 v[2:3], v[38:39], -v[2:3]
	v_add_f64 v[4:5], v[40:41], -v[4:5]
	scratch_store_b128 off, v[2:5], off offset:288
	v_cmpx_lt_u32_e32 17, v138
	s_cbranch_execz .LBB47_267
; %bb.266:
	scratch_load_b128 v[5:8], v169, off
	v_mov_b32_e32 v2, v1
	v_mov_b32_e32 v3, v1
	;; [unrolled: 1-line block ×3, first 2 shown]
	scratch_store_b128 off, v[1:4], off offset:272
	s_waitcnt vmcnt(0)
	ds_store_b128 v186, v[5:8]
.LBB47_267:
	s_or_b32 exec_lo, exec_lo, s2
	s_waitcnt lgkmcnt(0)
	s_waitcnt_vscnt null, 0x0
	s_barrier
	buffer_gl0_inv
	s_clause 0x7
	scratch_load_b128 v[2:5], off, off offset:288
	scratch_load_b128 v[6:9], off, off offset:304
	;; [unrolled: 1-line block ×8, first 2 shown]
	ds_load_b128 v[38:41], v1 offset:1056
	ds_load_b128 v[187:190], v1 offset:1072
	s_clause 0x1
	scratch_load_b128 v[34:37], off, off offset:416
	scratch_load_b128 v[191:194], off, off offset:432
	s_mov_b32 s2, exec_lo
	s_waitcnt vmcnt(9) lgkmcnt(1)
	v_mul_f64 v[195:196], v[40:41], v[4:5]
	v_mul_f64 v[4:5], v[38:39], v[4:5]
	s_waitcnt vmcnt(8) lgkmcnt(0)
	v_mul_f64 v[197:198], v[187:188], v[8:9]
	v_mul_f64 v[8:9], v[189:190], v[8:9]
	s_delay_alu instid0(VALU_DEP_4) | instskip(NEXT) | instid1(VALU_DEP_4)
	v_fma_f64 v[195:196], v[38:39], v[2:3], -v[195:196]
	v_fma_f64 v[199:200], v[40:41], v[2:3], v[4:5]
	ds_load_b128 v[2:5], v1 offset:1088
	scratch_load_b128 v[38:41], off, off offset:448
	v_fma_f64 v[197:198], v[189:190], v[6:7], v[197:198]
	v_fma_f64 v[203:204], v[187:188], v[6:7], -v[8:9]
	scratch_load_b128 v[187:190], off, off offset:464
	ds_load_b128 v[6:9], v1 offset:1104
	s_waitcnt vmcnt(9) lgkmcnt(1)
	v_mul_f64 v[201:202], v[2:3], v[12:13]
	v_mul_f64 v[12:13], v[4:5], v[12:13]
	s_waitcnt vmcnt(8) lgkmcnt(0)
	v_mul_f64 v[205:206], v[6:7], v[16:17]
	v_mul_f64 v[16:17], v[8:9], v[16:17]
	v_add_f64 v[195:196], v[195:196], 0
	v_add_f64 v[199:200], v[199:200], 0
	v_fma_f64 v[201:202], v[4:5], v[10:11], v[201:202]
	v_fma_f64 v[207:208], v[2:3], v[10:11], -v[12:13]
	scratch_load_b128 v[10:13], off, off offset:480
	ds_load_b128 v[2:5], v1 offset:1120
	v_add_f64 v[195:196], v[195:196], v[203:204]
	v_add_f64 v[197:198], v[199:200], v[197:198]
	v_fma_f64 v[203:204], v[8:9], v[14:15], v[205:206]
	v_fma_f64 v[205:206], v[6:7], v[14:15], -v[16:17]
	ds_load_b128 v[6:9], v1 offset:1136
	scratch_load_b128 v[14:17], off, off offset:496
	s_waitcnt vmcnt(9) lgkmcnt(1)
	v_mul_f64 v[199:200], v[2:3], v[20:21]
	v_mul_f64 v[20:21], v[4:5], v[20:21]
	v_add_f64 v[195:196], v[195:196], v[207:208]
	v_add_f64 v[197:198], v[197:198], v[201:202]
	s_waitcnt vmcnt(8) lgkmcnt(0)
	v_mul_f64 v[201:202], v[6:7], v[24:25]
	v_mul_f64 v[24:25], v[8:9], v[24:25]
	v_fma_f64 v[199:200], v[4:5], v[18:19], v[199:200]
	v_fma_f64 v[207:208], v[2:3], v[18:19], -v[20:21]
	ds_load_b128 v[2:5], v1 offset:1152
	scratch_load_b128 v[18:21], off, off offset:512
	v_add_f64 v[195:196], v[195:196], v[205:206]
	v_add_f64 v[197:198], v[197:198], v[203:204]
	v_fma_f64 v[201:202], v[8:9], v[22:23], v[201:202]
	v_fma_f64 v[205:206], v[6:7], v[22:23], -v[24:25]
	scratch_load_b128 v[22:25], off, off offset:528
	ds_load_b128 v[6:9], v1 offset:1168
	s_waitcnt vmcnt(9) lgkmcnt(1)
	v_mul_f64 v[203:204], v[2:3], v[28:29]
	v_mul_f64 v[28:29], v[4:5], v[28:29]
	v_add_f64 v[195:196], v[195:196], v[207:208]
	v_add_f64 v[197:198], v[197:198], v[199:200]
	s_waitcnt vmcnt(8) lgkmcnt(0)
	v_mul_f64 v[199:200], v[6:7], v[32:33]
	v_mul_f64 v[32:33], v[8:9], v[32:33]
	v_fma_f64 v[203:204], v[4:5], v[26:27], v[203:204]
	v_fma_f64 v[207:208], v[2:3], v[26:27], -v[28:29]
	ds_load_b128 v[2:5], v1 offset:1184
	scratch_load_b128 v[26:29], off, off offset:544
	v_add_f64 v[195:196], v[195:196], v[205:206]
	v_add_f64 v[197:198], v[197:198], v[201:202]
	v_fma_f64 v[199:200], v[8:9], v[30:31], v[199:200]
	v_fma_f64 v[205:206], v[6:7], v[30:31], -v[32:33]
	scratch_load_b128 v[30:33], off, off offset:560
	ds_load_b128 v[6:9], v1 offset:1200
	;; [unrolled: 18-line block ×3, first 2 shown]
	s_waitcnt vmcnt(9) lgkmcnt(1)
	v_mul_f64 v[199:200], v[2:3], v[40:41]
	v_mul_f64 v[40:41], v[4:5], v[40:41]
	v_add_f64 v[195:196], v[195:196], v[207:208]
	v_add_f64 v[197:198], v[197:198], v[201:202]
	s_waitcnt vmcnt(8) lgkmcnt(0)
	v_mul_f64 v[201:202], v[6:7], v[189:190]
	v_mul_f64 v[189:190], v[8:9], v[189:190]
	v_fma_f64 v[199:200], v[4:5], v[38:39], v[199:200]
	v_fma_f64 v[207:208], v[2:3], v[38:39], -v[40:41]
	ds_load_b128 v[2:5], v1 offset:1248
	scratch_load_b128 v[38:41], off, off offset:608
	v_add_f64 v[195:196], v[195:196], v[205:206]
	v_add_f64 v[197:198], v[197:198], v[203:204]
	v_fma_f64 v[201:202], v[8:9], v[187:188], v[201:202]
	v_fma_f64 v[205:206], v[6:7], v[187:188], -v[189:190]
	ds_load_b128 v[6:9], v1 offset:1264
	s_waitcnt vmcnt(8) lgkmcnt(1)
	v_mul_f64 v[203:204], v[2:3], v[12:13]
	v_mul_f64 v[12:13], v[4:5], v[12:13]
	scratch_load_b128 v[187:190], off, off offset:624
	v_add_f64 v[195:196], v[195:196], v[207:208]
	v_add_f64 v[197:198], v[197:198], v[199:200]
	s_waitcnt vmcnt(8) lgkmcnt(0)
	v_mul_f64 v[199:200], v[6:7], v[16:17]
	v_mul_f64 v[16:17], v[8:9], v[16:17]
	v_fma_f64 v[203:204], v[4:5], v[10:11], v[203:204]
	v_fma_f64 v[207:208], v[2:3], v[10:11], -v[12:13]
	scratch_load_b128 v[10:13], off, off offset:640
	ds_load_b128 v[2:5], v1 offset:1280
	v_add_f64 v[195:196], v[195:196], v[205:206]
	v_add_f64 v[197:198], v[197:198], v[201:202]
	v_fma_f64 v[199:200], v[8:9], v[14:15], v[199:200]
	v_fma_f64 v[205:206], v[6:7], v[14:15], -v[16:17]
	ds_load_b128 v[6:9], v1 offset:1296
	s_waitcnt vmcnt(8) lgkmcnt(1)
	v_mul_f64 v[201:202], v[2:3], v[20:21]
	v_mul_f64 v[20:21], v[4:5], v[20:21]
	scratch_load_b128 v[14:17], off, off offset:656
	v_add_f64 v[195:196], v[195:196], v[207:208]
	v_add_f64 v[197:198], v[197:198], v[203:204]
	s_waitcnt vmcnt(8) lgkmcnt(0)
	v_mul_f64 v[203:204], v[6:7], v[24:25]
	v_mul_f64 v[24:25], v[8:9], v[24:25]
	v_fma_f64 v[201:202], v[4:5], v[18:19], v[201:202]
	v_fma_f64 v[207:208], v[2:3], v[18:19], -v[20:21]
	scratch_load_b128 v[18:21], off, off offset:672
	ds_load_b128 v[2:5], v1 offset:1312
	;; [unrolled: 18-line block ×4, first 2 shown]
	v_add_f64 v[195:196], v[195:196], v[205:206]
	v_add_f64 v[197:198], v[197:198], v[201:202]
	v_fma_f64 v[199:200], v[8:9], v[191:192], v[199:200]
	v_fma_f64 v[205:206], v[6:7], v[191:192], -v[193:194]
	ds_load_b128 v[6:9], v1 offset:1392
	s_waitcnt vmcnt(8) lgkmcnt(1)
	v_mul_f64 v[201:202], v[2:3], v[40:41]
	v_mul_f64 v[40:41], v[4:5], v[40:41]
	scratch_load_b128 v[191:194], off, off offset:752
	v_add_f64 v[195:196], v[195:196], v[207:208]
	v_add_f64 v[197:198], v[197:198], v[203:204]
	v_fma_f64 v[201:202], v[4:5], v[38:39], v[201:202]
	v_fma_f64 v[38:39], v[2:3], v[38:39], -v[40:41]
	ds_load_b128 v[2:5], v1 offset:1408
	v_add_f64 v[40:41], v[195:196], v[205:206]
	v_add_f64 v[195:196], v[197:198], v[199:200]
	s_waitcnt vmcnt(7) lgkmcnt(0)
	v_mul_f64 v[197:198], v[2:3], v[12:13]
	v_mul_f64 v[12:13], v[4:5], v[12:13]
	s_delay_alu instid0(VALU_DEP_4) | instskip(NEXT) | instid1(VALU_DEP_4)
	v_add_f64 v[38:39], v[40:41], v[38:39]
	v_add_f64 v[40:41], v[195:196], v[201:202]
	s_delay_alu instid0(VALU_DEP_4) | instskip(NEXT) | instid1(VALU_DEP_4)
	v_fma_f64 v[195:196], v[4:5], v[10:11], v[197:198]
	v_fma_f64 v[197:198], v[2:3], v[10:11], -v[12:13]
	scratch_load_b128 v[10:13], off, off offset:272
	v_mul_f64 v[203:204], v[6:7], v[189:190]
	v_mul_f64 v[189:190], v[8:9], v[189:190]
	ds_load_b128 v[2:5], v1 offset:1440
	v_fma_f64 v[199:200], v[8:9], v[187:188], v[203:204]
	v_fma_f64 v[187:188], v[6:7], v[187:188], -v[189:190]
	ds_load_b128 v[6:9], v1 offset:1424
	s_waitcnt vmcnt(7) lgkmcnt(0)
	v_mul_f64 v[189:190], v[6:7], v[16:17]
	v_mul_f64 v[16:17], v[8:9], v[16:17]
	v_add_f64 v[40:41], v[40:41], v[199:200]
	v_add_f64 v[38:39], v[38:39], v[187:188]
	s_waitcnt vmcnt(6)
	v_mul_f64 v[187:188], v[2:3], v[20:21]
	v_mul_f64 v[20:21], v[4:5], v[20:21]
	v_fma_f64 v[189:190], v[8:9], v[14:15], v[189:190]
	v_fma_f64 v[14:15], v[6:7], v[14:15], -v[16:17]
	ds_load_b128 v[6:9], v1 offset:1456
	v_add_f64 v[16:17], v[38:39], v[197:198]
	v_add_f64 v[38:39], v[40:41], v[195:196]
	v_fma_f64 v[187:188], v[4:5], v[18:19], v[187:188]
	v_fma_f64 v[18:19], v[2:3], v[18:19], -v[20:21]
	ds_load_b128 v[2:5], v1 offset:1472
	s_waitcnt vmcnt(5) lgkmcnt(1)
	v_mul_f64 v[40:41], v[6:7], v[24:25]
	v_mul_f64 v[24:25], v[8:9], v[24:25]
	s_waitcnt vmcnt(4) lgkmcnt(0)
	v_mul_f64 v[20:21], v[2:3], v[28:29]
	v_mul_f64 v[28:29], v[4:5], v[28:29]
	v_add_f64 v[14:15], v[16:17], v[14:15]
	v_add_f64 v[16:17], v[38:39], v[189:190]
	v_fma_f64 v[38:39], v[8:9], v[22:23], v[40:41]
	v_fma_f64 v[22:23], v[6:7], v[22:23], -v[24:25]
	ds_load_b128 v[6:9], v1 offset:1488
	v_fma_f64 v[20:21], v[4:5], v[26:27], v[20:21]
	v_fma_f64 v[26:27], v[2:3], v[26:27], -v[28:29]
	ds_load_b128 v[2:5], v1 offset:1504
	s_waitcnt vmcnt(3) lgkmcnt(1)
	v_mul_f64 v[24:25], v[8:9], v[32:33]
	v_add_f64 v[14:15], v[14:15], v[18:19]
	v_add_f64 v[16:17], v[16:17], v[187:188]
	v_mul_f64 v[18:19], v[6:7], v[32:33]
	s_waitcnt vmcnt(2) lgkmcnt(0)
	v_mul_f64 v[28:29], v[4:5], v[36:37]
	v_fma_f64 v[24:25], v[6:7], v[30:31], -v[24:25]
	v_add_f64 v[14:15], v[14:15], v[22:23]
	v_add_f64 v[16:17], v[16:17], v[38:39]
	v_mul_f64 v[22:23], v[2:3], v[36:37]
	v_fma_f64 v[18:19], v[8:9], v[30:31], v[18:19]
	ds_load_b128 v[6:9], v1 offset:1520
	v_fma_f64 v[1:2], v[2:3], v[34:35], -v[28:29]
	v_add_f64 v[14:15], v[14:15], v[26:27]
	v_add_f64 v[16:17], v[16:17], v[20:21]
	s_waitcnt vmcnt(1) lgkmcnt(0)
	v_mul_f64 v[20:21], v[6:7], v[193:194]
	v_mul_f64 v[26:27], v[8:9], v[193:194]
	v_fma_f64 v[4:5], v[4:5], v[34:35], v[22:23]
	v_add_f64 v[14:15], v[14:15], v[24:25]
	v_add_f64 v[16:17], v[16:17], v[18:19]
	v_fma_f64 v[8:9], v[8:9], v[191:192], v[20:21]
	v_fma_f64 v[6:7], v[6:7], v[191:192], -v[26:27]
	s_delay_alu instid0(VALU_DEP_4) | instskip(NEXT) | instid1(VALU_DEP_4)
	v_add_f64 v[1:2], v[14:15], v[1:2]
	v_add_f64 v[3:4], v[16:17], v[4:5]
	s_delay_alu instid0(VALU_DEP_2) | instskip(NEXT) | instid1(VALU_DEP_2)
	v_add_f64 v[1:2], v[1:2], v[6:7]
	v_add_f64 v[3:4], v[3:4], v[8:9]
	s_waitcnt vmcnt(0)
	s_delay_alu instid0(VALU_DEP_2) | instskip(NEXT) | instid1(VALU_DEP_2)
	v_add_f64 v[1:2], v[10:11], -v[1:2]
	v_add_f64 v[3:4], v[12:13], -v[3:4]
	scratch_store_b128 off, v[1:4], off offset:272
	v_cmpx_lt_u32_e32 16, v138
	s_cbranch_execz .LBB47_269
; %bb.268:
	scratch_load_b128 v[1:4], v170, off
	v_mov_b32_e32 v5, 0
	s_delay_alu instid0(VALU_DEP_1)
	v_mov_b32_e32 v6, v5
	v_mov_b32_e32 v7, v5
	;; [unrolled: 1-line block ×3, first 2 shown]
	scratch_store_b128 off, v[5:8], off offset:256
	s_waitcnt vmcnt(0)
	ds_store_b128 v186, v[1:4]
.LBB47_269:
	s_or_b32 exec_lo, exec_lo, s2
	s_waitcnt lgkmcnt(0)
	s_waitcnt_vscnt null, 0x0
	s_barrier
	buffer_gl0_inv
	s_clause 0x7
	scratch_load_b128 v[2:5], off, off offset:272
	scratch_load_b128 v[6:9], off, off offset:288
	;; [unrolled: 1-line block ×8, first 2 shown]
	v_mov_b32_e32 v1, 0
	s_clause 0x1
	scratch_load_b128 v[34:37], off, off offset:400
	scratch_load_b128 v[191:194], off, off offset:416
	s_mov_b32 s2, exec_lo
	ds_load_b128 v[38:41], v1 offset:1040
	ds_load_b128 v[187:190], v1 offset:1056
	s_waitcnt vmcnt(9) lgkmcnt(1)
	v_mul_f64 v[195:196], v[40:41], v[4:5]
	v_mul_f64 v[4:5], v[38:39], v[4:5]
	s_waitcnt vmcnt(8) lgkmcnt(0)
	v_mul_f64 v[197:198], v[187:188], v[8:9]
	v_mul_f64 v[8:9], v[189:190], v[8:9]
	s_delay_alu instid0(VALU_DEP_4) | instskip(NEXT) | instid1(VALU_DEP_4)
	v_fma_f64 v[195:196], v[38:39], v[2:3], -v[195:196]
	v_fma_f64 v[199:200], v[40:41], v[2:3], v[4:5]
	ds_load_b128 v[2:5], v1 offset:1072
	scratch_load_b128 v[38:41], off, off offset:432
	v_fma_f64 v[197:198], v[189:190], v[6:7], v[197:198]
	v_fma_f64 v[203:204], v[187:188], v[6:7], -v[8:9]
	scratch_load_b128 v[187:190], off, off offset:448
	ds_load_b128 v[6:9], v1 offset:1088
	s_waitcnt vmcnt(9) lgkmcnt(1)
	v_mul_f64 v[201:202], v[2:3], v[12:13]
	v_mul_f64 v[12:13], v[4:5], v[12:13]
	s_waitcnt vmcnt(8) lgkmcnt(0)
	v_mul_f64 v[205:206], v[6:7], v[16:17]
	v_mul_f64 v[16:17], v[8:9], v[16:17]
	v_add_f64 v[195:196], v[195:196], 0
	v_add_f64 v[199:200], v[199:200], 0
	v_fma_f64 v[201:202], v[4:5], v[10:11], v[201:202]
	v_fma_f64 v[207:208], v[2:3], v[10:11], -v[12:13]
	ds_load_b128 v[2:5], v1 offset:1104
	scratch_load_b128 v[10:13], off, off offset:464
	v_add_f64 v[195:196], v[195:196], v[203:204]
	v_add_f64 v[197:198], v[199:200], v[197:198]
	v_fma_f64 v[203:204], v[8:9], v[14:15], v[205:206]
	v_fma_f64 v[205:206], v[6:7], v[14:15], -v[16:17]
	scratch_load_b128 v[14:17], off, off offset:480
	ds_load_b128 v[6:9], v1 offset:1120
	s_waitcnt vmcnt(9) lgkmcnt(1)
	v_mul_f64 v[199:200], v[2:3], v[20:21]
	v_mul_f64 v[20:21], v[4:5], v[20:21]
	v_add_f64 v[195:196], v[195:196], v[207:208]
	v_add_f64 v[197:198], v[197:198], v[201:202]
	s_waitcnt vmcnt(8) lgkmcnt(0)
	v_mul_f64 v[201:202], v[6:7], v[24:25]
	v_mul_f64 v[24:25], v[8:9], v[24:25]
	v_fma_f64 v[199:200], v[4:5], v[18:19], v[199:200]
	v_fma_f64 v[207:208], v[2:3], v[18:19], -v[20:21]
	ds_load_b128 v[2:5], v1 offset:1136
	scratch_load_b128 v[18:21], off, off offset:496
	v_add_f64 v[195:196], v[195:196], v[205:206]
	v_add_f64 v[197:198], v[197:198], v[203:204]
	v_fma_f64 v[201:202], v[8:9], v[22:23], v[201:202]
	v_fma_f64 v[205:206], v[6:7], v[22:23], -v[24:25]
	scratch_load_b128 v[22:25], off, off offset:512
	ds_load_b128 v[6:9], v1 offset:1152
	s_waitcnt vmcnt(9) lgkmcnt(1)
	v_mul_f64 v[203:204], v[2:3], v[28:29]
	v_mul_f64 v[28:29], v[4:5], v[28:29]
	v_add_f64 v[195:196], v[195:196], v[207:208]
	v_add_f64 v[197:198], v[197:198], v[199:200]
	s_waitcnt vmcnt(8) lgkmcnt(0)
	v_mul_f64 v[199:200], v[6:7], v[32:33]
	v_mul_f64 v[32:33], v[8:9], v[32:33]
	;; [unrolled: 18-line block ×6, first 2 shown]
	v_fma_f64 v[201:202], v[4:5], v[18:19], v[201:202]
	v_fma_f64 v[207:208], v[2:3], v[18:19], -v[20:21]
	ds_load_b128 v[2:5], v1 offset:1296
	scratch_load_b128 v[18:21], off, off offset:656
	v_add_f64 v[195:196], v[195:196], v[205:206]
	v_add_f64 v[197:198], v[197:198], v[199:200]
	v_fma_f64 v[203:204], v[8:9], v[22:23], v[203:204]
	v_fma_f64 v[205:206], v[6:7], v[22:23], -v[24:25]
	ds_load_b128 v[6:9], v1 offset:1312
	s_waitcnt vmcnt(8) lgkmcnt(1)
	v_mul_f64 v[199:200], v[2:3], v[28:29]
	v_mul_f64 v[28:29], v[4:5], v[28:29]
	scratch_load_b128 v[22:25], off, off offset:672
	v_add_f64 v[195:196], v[195:196], v[207:208]
	v_add_f64 v[197:198], v[197:198], v[201:202]
	s_waitcnt vmcnt(8) lgkmcnt(0)
	v_mul_f64 v[201:202], v[6:7], v[32:33]
	v_mul_f64 v[32:33], v[8:9], v[32:33]
	v_fma_f64 v[199:200], v[4:5], v[26:27], v[199:200]
	v_fma_f64 v[207:208], v[2:3], v[26:27], -v[28:29]
	scratch_load_b128 v[26:29], off, off offset:688
	ds_load_b128 v[2:5], v1 offset:1328
	v_add_f64 v[195:196], v[195:196], v[205:206]
	v_add_f64 v[197:198], v[197:198], v[203:204]
	v_fma_f64 v[201:202], v[8:9], v[30:31], v[201:202]
	v_fma_f64 v[205:206], v[6:7], v[30:31], -v[32:33]
	ds_load_b128 v[6:9], v1 offset:1344
	s_waitcnt vmcnt(8) lgkmcnt(1)
	v_mul_f64 v[203:204], v[2:3], v[36:37]
	v_mul_f64 v[36:37], v[4:5], v[36:37]
	scratch_load_b128 v[30:33], off, off offset:704
	v_add_f64 v[195:196], v[195:196], v[207:208]
	v_add_f64 v[197:198], v[197:198], v[199:200]
	s_waitcnt vmcnt(8) lgkmcnt(0)
	v_mul_f64 v[199:200], v[6:7], v[193:194]
	v_mul_f64 v[193:194], v[8:9], v[193:194]
	v_fma_f64 v[203:204], v[4:5], v[34:35], v[203:204]
	v_fma_f64 v[207:208], v[2:3], v[34:35], -v[36:37]
	scratch_load_b128 v[34:37], off, off offset:720
	ds_load_b128 v[2:5], v1 offset:1360
	;; [unrolled: 18-line block ×3, first 2 shown]
	v_add_f64 v[195:196], v[195:196], v[205:206]
	v_add_f64 v[197:198], v[197:198], v[199:200]
	v_fma_f64 v[203:204], v[8:9], v[187:188], v[203:204]
	v_fma_f64 v[187:188], v[6:7], v[187:188], -v[189:190]
	ds_load_b128 v[6:9], v1 offset:1408
	s_waitcnt vmcnt(8) lgkmcnt(1)
	v_mul_f64 v[199:200], v[2:3], v[12:13]
	v_mul_f64 v[12:13], v[4:5], v[12:13]
	v_add_f64 v[189:190], v[195:196], v[207:208]
	v_add_f64 v[195:196], v[197:198], v[201:202]
	s_waitcnt vmcnt(7) lgkmcnt(0)
	v_mul_f64 v[197:198], v[6:7], v[16:17]
	v_mul_f64 v[16:17], v[8:9], v[16:17]
	v_fma_f64 v[199:200], v[4:5], v[10:11], v[199:200]
	v_fma_f64 v[10:11], v[2:3], v[10:11], -v[12:13]
	ds_load_b128 v[2:5], v1 offset:1424
	v_add_f64 v[12:13], v[189:190], v[187:188]
	v_add_f64 v[187:188], v[195:196], v[203:204]
	v_fma_f64 v[195:196], v[8:9], v[14:15], v[197:198]
	v_fma_f64 v[14:15], v[6:7], v[14:15], -v[16:17]
	ds_load_b128 v[6:9], v1 offset:1440
	s_waitcnt vmcnt(5) lgkmcnt(0)
	v_mul_f64 v[197:198], v[6:7], v[24:25]
	v_mul_f64 v[24:25], v[8:9], v[24:25]
	v_add_f64 v[16:17], v[12:13], v[10:11]
	v_add_f64 v[187:188], v[187:188], v[199:200]
	scratch_load_b128 v[10:13], off, off offset:256
	v_mul_f64 v[189:190], v[2:3], v[20:21]
	v_mul_f64 v[20:21], v[4:5], v[20:21]
	v_add_f64 v[14:15], v[16:17], v[14:15]
	v_add_f64 v[16:17], v[187:188], v[195:196]
	v_fma_f64 v[187:188], v[8:9], v[22:23], v[197:198]
	v_fma_f64 v[189:190], v[4:5], v[18:19], v[189:190]
	v_fma_f64 v[18:19], v[2:3], v[18:19], -v[20:21]
	ds_load_b128 v[2:5], v1 offset:1456
	v_fma_f64 v[22:23], v[6:7], v[22:23], -v[24:25]
	ds_load_b128 v[6:9], v1 offset:1472
	s_waitcnt vmcnt(5) lgkmcnt(1)
	v_mul_f64 v[20:21], v[2:3], v[28:29]
	v_mul_f64 v[28:29], v[4:5], v[28:29]
	s_waitcnt vmcnt(4) lgkmcnt(0)
	v_mul_f64 v[24:25], v[8:9], v[32:33]
	v_add_f64 v[16:17], v[16:17], v[189:190]
	v_add_f64 v[14:15], v[14:15], v[18:19]
	v_mul_f64 v[18:19], v[6:7], v[32:33]
	v_fma_f64 v[20:21], v[4:5], v[26:27], v[20:21]
	v_fma_f64 v[26:27], v[2:3], v[26:27], -v[28:29]
	ds_load_b128 v[2:5], v1 offset:1488
	v_fma_f64 v[24:25], v[6:7], v[30:31], -v[24:25]
	v_add_f64 v[16:17], v[16:17], v[187:188]
	v_add_f64 v[14:15], v[14:15], v[22:23]
	v_fma_f64 v[18:19], v[8:9], v[30:31], v[18:19]
	ds_load_b128 v[6:9], v1 offset:1504
	s_waitcnt vmcnt(3) lgkmcnt(1)
	v_mul_f64 v[22:23], v[2:3], v[36:37]
	v_mul_f64 v[28:29], v[4:5], v[36:37]
	v_add_f64 v[16:17], v[16:17], v[20:21]
	v_add_f64 v[14:15], v[14:15], v[26:27]
	s_waitcnt vmcnt(2) lgkmcnt(0)
	v_mul_f64 v[20:21], v[6:7], v[193:194]
	v_mul_f64 v[26:27], v[8:9], v[193:194]
	v_fma_f64 v[22:23], v[4:5], v[34:35], v[22:23]
	v_fma_f64 v[28:29], v[2:3], v[34:35], -v[28:29]
	ds_load_b128 v[2:5], v1 offset:1520
	v_add_f64 v[16:17], v[16:17], v[18:19]
	v_add_f64 v[14:15], v[14:15], v[24:25]
	s_waitcnt vmcnt(1) lgkmcnt(0)
	v_mul_f64 v[18:19], v[2:3], v[40:41]
	v_mul_f64 v[24:25], v[4:5], v[40:41]
	v_fma_f64 v[8:9], v[8:9], v[191:192], v[20:21]
	v_fma_f64 v[6:7], v[6:7], v[191:192], -v[26:27]
	v_add_f64 v[16:17], v[16:17], v[22:23]
	v_add_f64 v[14:15], v[14:15], v[28:29]
	v_fma_f64 v[4:5], v[4:5], v[38:39], v[18:19]
	v_fma_f64 v[2:3], v[2:3], v[38:39], -v[24:25]
	s_delay_alu instid0(VALU_DEP_4) | instskip(NEXT) | instid1(VALU_DEP_4)
	v_add_f64 v[8:9], v[16:17], v[8:9]
	v_add_f64 v[6:7], v[14:15], v[6:7]
	s_delay_alu instid0(VALU_DEP_2) | instskip(NEXT) | instid1(VALU_DEP_2)
	v_add_f64 v[4:5], v[8:9], v[4:5]
	v_add_f64 v[2:3], v[6:7], v[2:3]
	s_waitcnt vmcnt(0)
	s_delay_alu instid0(VALU_DEP_2) | instskip(NEXT) | instid1(VALU_DEP_2)
	v_add_f64 v[4:5], v[12:13], -v[4:5]
	v_add_f64 v[2:3], v[10:11], -v[2:3]
	scratch_store_b128 off, v[2:5], off offset:256
	v_cmpx_lt_u32_e32 15, v138
	s_cbranch_execz .LBB47_271
; %bb.270:
	scratch_load_b128 v[5:8], v171, off
	v_mov_b32_e32 v2, v1
	v_mov_b32_e32 v3, v1
	;; [unrolled: 1-line block ×3, first 2 shown]
	scratch_store_b128 off, v[1:4], off offset:240
	s_waitcnt vmcnt(0)
	ds_store_b128 v186, v[5:8]
.LBB47_271:
	s_or_b32 exec_lo, exec_lo, s2
	s_waitcnt lgkmcnt(0)
	s_waitcnt_vscnt null, 0x0
	s_barrier
	buffer_gl0_inv
	s_clause 0x7
	scratch_load_b128 v[2:5], off, off offset:256
	scratch_load_b128 v[6:9], off, off offset:272
	;; [unrolled: 1-line block ×8, first 2 shown]
	ds_load_b128 v[38:41], v1 offset:1024
	ds_load_b128 v[187:190], v1 offset:1040
	s_clause 0x1
	scratch_load_b128 v[34:37], off, off offset:384
	scratch_load_b128 v[191:194], off, off offset:400
	s_mov_b32 s2, exec_lo
	s_waitcnt vmcnt(9) lgkmcnt(1)
	v_mul_f64 v[195:196], v[40:41], v[4:5]
	v_mul_f64 v[4:5], v[38:39], v[4:5]
	s_waitcnt vmcnt(8) lgkmcnt(0)
	v_mul_f64 v[197:198], v[187:188], v[8:9]
	v_mul_f64 v[8:9], v[189:190], v[8:9]
	s_delay_alu instid0(VALU_DEP_4) | instskip(NEXT) | instid1(VALU_DEP_4)
	v_fma_f64 v[195:196], v[38:39], v[2:3], -v[195:196]
	v_fma_f64 v[199:200], v[40:41], v[2:3], v[4:5]
	ds_load_b128 v[2:5], v1 offset:1056
	scratch_load_b128 v[38:41], off, off offset:416
	v_fma_f64 v[197:198], v[189:190], v[6:7], v[197:198]
	v_fma_f64 v[203:204], v[187:188], v[6:7], -v[8:9]
	scratch_load_b128 v[187:190], off, off offset:432
	ds_load_b128 v[6:9], v1 offset:1072
	s_waitcnt vmcnt(9) lgkmcnt(1)
	v_mul_f64 v[201:202], v[2:3], v[12:13]
	v_mul_f64 v[12:13], v[4:5], v[12:13]
	s_waitcnt vmcnt(8) lgkmcnt(0)
	v_mul_f64 v[205:206], v[6:7], v[16:17]
	v_mul_f64 v[16:17], v[8:9], v[16:17]
	v_add_f64 v[195:196], v[195:196], 0
	v_add_f64 v[199:200], v[199:200], 0
	v_fma_f64 v[201:202], v[4:5], v[10:11], v[201:202]
	v_fma_f64 v[207:208], v[2:3], v[10:11], -v[12:13]
	ds_load_b128 v[2:5], v1 offset:1088
	scratch_load_b128 v[10:13], off, off offset:448
	v_add_f64 v[195:196], v[195:196], v[203:204]
	v_add_f64 v[197:198], v[199:200], v[197:198]
	v_fma_f64 v[203:204], v[8:9], v[14:15], v[205:206]
	v_fma_f64 v[205:206], v[6:7], v[14:15], -v[16:17]
	scratch_load_b128 v[14:17], off, off offset:464
	ds_load_b128 v[6:9], v1 offset:1104
	s_waitcnt vmcnt(9) lgkmcnt(1)
	v_mul_f64 v[199:200], v[2:3], v[20:21]
	v_mul_f64 v[20:21], v[4:5], v[20:21]
	v_add_f64 v[195:196], v[195:196], v[207:208]
	v_add_f64 v[197:198], v[197:198], v[201:202]
	s_waitcnt vmcnt(8) lgkmcnt(0)
	v_mul_f64 v[201:202], v[6:7], v[24:25]
	v_mul_f64 v[24:25], v[8:9], v[24:25]
	v_fma_f64 v[199:200], v[4:5], v[18:19], v[199:200]
	v_fma_f64 v[207:208], v[2:3], v[18:19], -v[20:21]
	ds_load_b128 v[2:5], v1 offset:1120
	scratch_load_b128 v[18:21], off, off offset:480
	v_add_f64 v[195:196], v[195:196], v[205:206]
	v_add_f64 v[197:198], v[197:198], v[203:204]
	v_fma_f64 v[201:202], v[8:9], v[22:23], v[201:202]
	v_fma_f64 v[205:206], v[6:7], v[22:23], -v[24:25]
	scratch_load_b128 v[22:25], off, off offset:496
	ds_load_b128 v[6:9], v1 offset:1136
	s_waitcnt vmcnt(9) lgkmcnt(1)
	v_mul_f64 v[203:204], v[2:3], v[28:29]
	v_mul_f64 v[28:29], v[4:5], v[28:29]
	v_add_f64 v[195:196], v[195:196], v[207:208]
	v_add_f64 v[197:198], v[197:198], v[199:200]
	s_waitcnt vmcnt(8) lgkmcnt(0)
	v_mul_f64 v[199:200], v[6:7], v[32:33]
	v_mul_f64 v[32:33], v[8:9], v[32:33]
	;; [unrolled: 18-line block ×6, first 2 shown]
	v_fma_f64 v[201:202], v[4:5], v[18:19], v[201:202]
	v_fma_f64 v[207:208], v[2:3], v[18:19], -v[20:21]
	ds_load_b128 v[2:5], v1 offset:1280
	scratch_load_b128 v[18:21], off, off offset:640
	v_add_f64 v[195:196], v[195:196], v[205:206]
	v_add_f64 v[197:198], v[197:198], v[199:200]
	v_fma_f64 v[203:204], v[8:9], v[22:23], v[203:204]
	v_fma_f64 v[205:206], v[6:7], v[22:23], -v[24:25]
	ds_load_b128 v[6:9], v1 offset:1296
	s_waitcnt vmcnt(8) lgkmcnt(1)
	v_mul_f64 v[199:200], v[2:3], v[28:29]
	v_mul_f64 v[28:29], v[4:5], v[28:29]
	scratch_load_b128 v[22:25], off, off offset:656
	v_add_f64 v[195:196], v[195:196], v[207:208]
	v_add_f64 v[197:198], v[197:198], v[201:202]
	s_waitcnt vmcnt(8) lgkmcnt(0)
	v_mul_f64 v[201:202], v[6:7], v[32:33]
	v_mul_f64 v[32:33], v[8:9], v[32:33]
	v_fma_f64 v[199:200], v[4:5], v[26:27], v[199:200]
	v_fma_f64 v[207:208], v[2:3], v[26:27], -v[28:29]
	ds_load_b128 v[2:5], v1 offset:1312
	scratch_load_b128 v[26:29], off, off offset:672
	v_add_f64 v[195:196], v[195:196], v[205:206]
	v_add_f64 v[197:198], v[197:198], v[203:204]
	v_fma_f64 v[201:202], v[8:9], v[30:31], v[201:202]
	v_fma_f64 v[205:206], v[6:7], v[30:31], -v[32:33]
	ds_load_b128 v[6:9], v1 offset:1328
	s_waitcnt vmcnt(8) lgkmcnt(1)
	v_mul_f64 v[203:204], v[2:3], v[36:37]
	v_mul_f64 v[36:37], v[4:5], v[36:37]
	scratch_load_b128 v[30:33], off, off offset:688
	v_add_f64 v[195:196], v[195:196], v[207:208]
	v_add_f64 v[197:198], v[197:198], v[199:200]
	s_waitcnt vmcnt(8) lgkmcnt(0)
	v_mul_f64 v[199:200], v[6:7], v[193:194]
	v_mul_f64 v[193:194], v[8:9], v[193:194]
	v_fma_f64 v[203:204], v[4:5], v[34:35], v[203:204]
	v_fma_f64 v[207:208], v[2:3], v[34:35], -v[36:37]
	scratch_load_b128 v[34:37], off, off offset:704
	ds_load_b128 v[2:5], v1 offset:1344
	v_add_f64 v[195:196], v[195:196], v[205:206]
	v_add_f64 v[197:198], v[197:198], v[201:202]
	v_fma_f64 v[199:200], v[8:9], v[191:192], v[199:200]
	v_fma_f64 v[205:206], v[6:7], v[191:192], -v[193:194]
	ds_load_b128 v[6:9], v1 offset:1360
	s_waitcnt vmcnt(8) lgkmcnt(1)
	v_mul_f64 v[201:202], v[2:3], v[40:41]
	v_mul_f64 v[40:41], v[4:5], v[40:41]
	scratch_load_b128 v[191:194], off, off offset:720
	v_add_f64 v[195:196], v[195:196], v[207:208]
	v_add_f64 v[197:198], v[197:198], v[203:204]
	s_waitcnt vmcnt(8) lgkmcnt(0)
	v_mul_f64 v[203:204], v[6:7], v[189:190]
	v_mul_f64 v[189:190], v[8:9], v[189:190]
	v_fma_f64 v[201:202], v[4:5], v[38:39], v[201:202]
	v_fma_f64 v[207:208], v[2:3], v[38:39], -v[40:41]
	scratch_load_b128 v[38:41], off, off offset:736
	ds_load_b128 v[2:5], v1 offset:1376
	v_add_f64 v[195:196], v[195:196], v[205:206]
	v_add_f64 v[197:198], v[197:198], v[199:200]
	v_fma_f64 v[203:204], v[8:9], v[187:188], v[203:204]
	v_fma_f64 v[205:206], v[6:7], v[187:188], -v[189:190]
	ds_load_b128 v[6:9], v1 offset:1392
	s_waitcnt vmcnt(8) lgkmcnt(1)
	v_mul_f64 v[199:200], v[2:3], v[12:13]
	v_mul_f64 v[12:13], v[4:5], v[12:13]
	scratch_load_b128 v[187:190], off, off offset:752
	v_add_f64 v[195:196], v[195:196], v[207:208]
	v_add_f64 v[197:198], v[197:198], v[201:202]
	s_waitcnt vmcnt(8) lgkmcnt(0)
	v_mul_f64 v[201:202], v[6:7], v[16:17]
	v_mul_f64 v[16:17], v[8:9], v[16:17]
	v_fma_f64 v[199:200], v[4:5], v[10:11], v[199:200]
	v_fma_f64 v[10:11], v[2:3], v[10:11], -v[12:13]
	ds_load_b128 v[2:5], v1 offset:1408
	v_add_f64 v[12:13], v[195:196], v[205:206]
	v_add_f64 v[195:196], v[197:198], v[203:204]
	v_fma_f64 v[201:202], v[8:9], v[14:15], v[201:202]
	v_fma_f64 v[14:15], v[6:7], v[14:15], -v[16:17]
	ds_load_b128 v[6:9], v1 offset:1424
	s_waitcnt vmcnt(7) lgkmcnt(1)
	v_mul_f64 v[197:198], v[2:3], v[20:21]
	v_mul_f64 v[20:21], v[4:5], v[20:21]
	v_add_f64 v[10:11], v[12:13], v[10:11]
	v_add_f64 v[12:13], v[195:196], v[199:200]
	s_delay_alu instid0(VALU_DEP_4) | instskip(NEXT) | instid1(VALU_DEP_4)
	v_fma_f64 v[195:196], v[4:5], v[18:19], v[197:198]
	v_fma_f64 v[18:19], v[2:3], v[18:19], -v[20:21]
	ds_load_b128 v[2:5], v1 offset:1440
	v_add_f64 v[14:15], v[10:11], v[14:15]
	v_add_f64 v[20:21], v[12:13], v[201:202]
	scratch_load_b128 v[10:13], off, off offset:240
	s_waitcnt vmcnt(7) lgkmcnt(1)
	v_mul_f64 v[16:17], v[6:7], v[24:25]
	v_mul_f64 v[24:25], v[8:9], v[24:25]
	v_add_f64 v[14:15], v[14:15], v[18:19]
	v_add_f64 v[18:19], v[20:21], v[195:196]
	s_delay_alu instid0(VALU_DEP_4) | instskip(NEXT) | instid1(VALU_DEP_4)
	v_fma_f64 v[16:17], v[8:9], v[22:23], v[16:17]
	v_fma_f64 v[22:23], v[6:7], v[22:23], -v[24:25]
	ds_load_b128 v[6:9], v1 offset:1456
	s_waitcnt vmcnt(6) lgkmcnt(1)
	v_mul_f64 v[197:198], v[2:3], v[28:29]
	v_mul_f64 v[28:29], v[4:5], v[28:29]
	s_waitcnt vmcnt(5) lgkmcnt(0)
	v_mul_f64 v[20:21], v[6:7], v[32:33]
	v_mul_f64 v[24:25], v[8:9], v[32:33]
	v_add_f64 v[16:17], v[18:19], v[16:17]
	v_add_f64 v[14:15], v[14:15], v[22:23]
	v_fma_f64 v[32:33], v[4:5], v[26:27], v[197:198]
	v_fma_f64 v[26:27], v[2:3], v[26:27], -v[28:29]
	ds_load_b128 v[2:5], v1 offset:1472
	v_fma_f64 v[20:21], v[8:9], v[30:31], v[20:21]
	v_fma_f64 v[24:25], v[6:7], v[30:31], -v[24:25]
	ds_load_b128 v[6:9], v1 offset:1488
	s_waitcnt vmcnt(4) lgkmcnt(1)
	v_mul_f64 v[18:19], v[2:3], v[36:37]
	v_mul_f64 v[22:23], v[4:5], v[36:37]
	v_add_f64 v[16:17], v[16:17], v[32:33]
	v_add_f64 v[14:15], v[14:15], v[26:27]
	s_waitcnt vmcnt(3) lgkmcnt(0)
	v_mul_f64 v[26:27], v[6:7], v[193:194]
	v_mul_f64 v[28:29], v[8:9], v[193:194]
	v_fma_f64 v[18:19], v[4:5], v[34:35], v[18:19]
	v_fma_f64 v[22:23], v[2:3], v[34:35], -v[22:23]
	ds_load_b128 v[2:5], v1 offset:1504
	v_add_f64 v[16:17], v[16:17], v[20:21]
	v_add_f64 v[14:15], v[14:15], v[24:25]
	v_fma_f64 v[26:27], v[8:9], v[191:192], v[26:27]
	v_fma_f64 v[28:29], v[6:7], v[191:192], -v[28:29]
	ds_load_b128 v[6:9], v1 offset:1520
	s_waitcnt vmcnt(2) lgkmcnt(1)
	v_mul_f64 v[20:21], v[2:3], v[40:41]
	v_mul_f64 v[24:25], v[4:5], v[40:41]
	v_add_f64 v[16:17], v[16:17], v[18:19]
	v_add_f64 v[14:15], v[14:15], v[22:23]
	s_waitcnt vmcnt(1) lgkmcnt(0)
	v_mul_f64 v[18:19], v[6:7], v[189:190]
	v_mul_f64 v[22:23], v[8:9], v[189:190]
	v_fma_f64 v[4:5], v[4:5], v[38:39], v[20:21]
	v_fma_f64 v[1:2], v[2:3], v[38:39], -v[24:25]
	v_add_f64 v[16:17], v[16:17], v[26:27]
	v_add_f64 v[14:15], v[14:15], v[28:29]
	v_fma_f64 v[8:9], v[8:9], v[187:188], v[18:19]
	v_fma_f64 v[6:7], v[6:7], v[187:188], -v[22:23]
	s_delay_alu instid0(VALU_DEP_4) | instskip(NEXT) | instid1(VALU_DEP_4)
	v_add_f64 v[3:4], v[16:17], v[4:5]
	v_add_f64 v[1:2], v[14:15], v[1:2]
	s_delay_alu instid0(VALU_DEP_2) | instskip(NEXT) | instid1(VALU_DEP_2)
	v_add_f64 v[3:4], v[3:4], v[8:9]
	v_add_f64 v[1:2], v[1:2], v[6:7]
	s_waitcnt vmcnt(0)
	s_delay_alu instid0(VALU_DEP_2) | instskip(NEXT) | instid1(VALU_DEP_2)
	v_add_f64 v[3:4], v[12:13], -v[3:4]
	v_add_f64 v[1:2], v[10:11], -v[1:2]
	scratch_store_b128 off, v[1:4], off offset:240
	v_cmpx_lt_u32_e32 14, v138
	s_cbranch_execz .LBB47_273
; %bb.272:
	scratch_load_b128 v[1:4], v172, off
	v_mov_b32_e32 v5, 0
	s_delay_alu instid0(VALU_DEP_1)
	v_mov_b32_e32 v6, v5
	v_mov_b32_e32 v7, v5
	;; [unrolled: 1-line block ×3, first 2 shown]
	scratch_store_b128 off, v[5:8], off offset:224
	s_waitcnt vmcnt(0)
	ds_store_b128 v186, v[1:4]
.LBB47_273:
	s_or_b32 exec_lo, exec_lo, s2
	s_waitcnt lgkmcnt(0)
	s_waitcnt_vscnt null, 0x0
	s_barrier
	buffer_gl0_inv
	s_clause 0x7
	scratch_load_b128 v[2:5], off, off offset:240
	scratch_load_b128 v[6:9], off, off offset:256
	;; [unrolled: 1-line block ×8, first 2 shown]
	v_mov_b32_e32 v1, 0
	s_clause 0x1
	scratch_load_b128 v[34:37], off, off offset:368
	scratch_load_b128 v[191:194], off, off offset:384
	s_mov_b32 s2, exec_lo
	ds_load_b128 v[38:41], v1 offset:1008
	ds_load_b128 v[187:190], v1 offset:1024
	s_waitcnt vmcnt(9) lgkmcnt(1)
	v_mul_f64 v[195:196], v[40:41], v[4:5]
	v_mul_f64 v[4:5], v[38:39], v[4:5]
	s_waitcnt vmcnt(8) lgkmcnt(0)
	v_mul_f64 v[197:198], v[187:188], v[8:9]
	v_mul_f64 v[8:9], v[189:190], v[8:9]
	s_delay_alu instid0(VALU_DEP_4) | instskip(NEXT) | instid1(VALU_DEP_4)
	v_fma_f64 v[195:196], v[38:39], v[2:3], -v[195:196]
	v_fma_f64 v[199:200], v[40:41], v[2:3], v[4:5]
	ds_load_b128 v[2:5], v1 offset:1040
	scratch_load_b128 v[38:41], off, off offset:400
	v_fma_f64 v[197:198], v[189:190], v[6:7], v[197:198]
	v_fma_f64 v[203:204], v[187:188], v[6:7], -v[8:9]
	scratch_load_b128 v[187:190], off, off offset:416
	ds_load_b128 v[6:9], v1 offset:1056
	s_waitcnt vmcnt(9) lgkmcnt(1)
	v_mul_f64 v[201:202], v[2:3], v[12:13]
	v_mul_f64 v[12:13], v[4:5], v[12:13]
	s_waitcnt vmcnt(8) lgkmcnt(0)
	v_mul_f64 v[205:206], v[6:7], v[16:17]
	v_mul_f64 v[16:17], v[8:9], v[16:17]
	v_add_f64 v[195:196], v[195:196], 0
	v_add_f64 v[199:200], v[199:200], 0
	v_fma_f64 v[201:202], v[4:5], v[10:11], v[201:202]
	v_fma_f64 v[207:208], v[2:3], v[10:11], -v[12:13]
	ds_load_b128 v[2:5], v1 offset:1072
	scratch_load_b128 v[10:13], off, off offset:432
	v_add_f64 v[195:196], v[195:196], v[203:204]
	v_add_f64 v[197:198], v[199:200], v[197:198]
	v_fma_f64 v[203:204], v[8:9], v[14:15], v[205:206]
	v_fma_f64 v[205:206], v[6:7], v[14:15], -v[16:17]
	scratch_load_b128 v[14:17], off, off offset:448
	ds_load_b128 v[6:9], v1 offset:1088
	s_waitcnt vmcnt(9) lgkmcnt(1)
	v_mul_f64 v[199:200], v[2:3], v[20:21]
	v_mul_f64 v[20:21], v[4:5], v[20:21]
	v_add_f64 v[195:196], v[195:196], v[207:208]
	v_add_f64 v[197:198], v[197:198], v[201:202]
	s_waitcnt vmcnt(8) lgkmcnt(0)
	v_mul_f64 v[201:202], v[6:7], v[24:25]
	v_mul_f64 v[24:25], v[8:9], v[24:25]
	v_fma_f64 v[199:200], v[4:5], v[18:19], v[199:200]
	v_fma_f64 v[207:208], v[2:3], v[18:19], -v[20:21]
	ds_load_b128 v[2:5], v1 offset:1104
	scratch_load_b128 v[18:21], off, off offset:464
	v_add_f64 v[195:196], v[195:196], v[205:206]
	v_add_f64 v[197:198], v[197:198], v[203:204]
	v_fma_f64 v[201:202], v[8:9], v[22:23], v[201:202]
	v_fma_f64 v[205:206], v[6:7], v[22:23], -v[24:25]
	scratch_load_b128 v[22:25], off, off offset:480
	ds_load_b128 v[6:9], v1 offset:1120
	s_waitcnt vmcnt(9) lgkmcnt(1)
	v_mul_f64 v[203:204], v[2:3], v[28:29]
	v_mul_f64 v[28:29], v[4:5], v[28:29]
	v_add_f64 v[195:196], v[195:196], v[207:208]
	v_add_f64 v[197:198], v[197:198], v[199:200]
	s_waitcnt vmcnt(8) lgkmcnt(0)
	v_mul_f64 v[199:200], v[6:7], v[32:33]
	v_mul_f64 v[32:33], v[8:9], v[32:33]
	;; [unrolled: 18-line block ×7, first 2 shown]
	v_fma_f64 v[199:200], v[4:5], v[26:27], v[199:200]
	v_fma_f64 v[207:208], v[2:3], v[26:27], -v[28:29]
	ds_load_b128 v[2:5], v1 offset:1296
	scratch_load_b128 v[26:29], off, off offset:656
	v_add_f64 v[195:196], v[195:196], v[205:206]
	v_add_f64 v[197:198], v[197:198], v[203:204]
	v_fma_f64 v[201:202], v[8:9], v[30:31], v[201:202]
	v_fma_f64 v[205:206], v[6:7], v[30:31], -v[32:33]
	ds_load_b128 v[6:9], v1 offset:1312
	s_waitcnt vmcnt(8) lgkmcnt(1)
	v_mul_f64 v[203:204], v[2:3], v[36:37]
	v_mul_f64 v[36:37], v[4:5], v[36:37]
	scratch_load_b128 v[30:33], off, off offset:672
	v_add_f64 v[195:196], v[195:196], v[207:208]
	v_add_f64 v[197:198], v[197:198], v[199:200]
	s_waitcnt vmcnt(8) lgkmcnt(0)
	v_mul_f64 v[199:200], v[6:7], v[193:194]
	v_mul_f64 v[193:194], v[8:9], v[193:194]
	v_fma_f64 v[203:204], v[4:5], v[34:35], v[203:204]
	v_fma_f64 v[207:208], v[2:3], v[34:35], -v[36:37]
	scratch_load_b128 v[34:37], off, off offset:688
	ds_load_b128 v[2:5], v1 offset:1328
	v_add_f64 v[195:196], v[195:196], v[205:206]
	v_add_f64 v[197:198], v[197:198], v[201:202]
	v_fma_f64 v[199:200], v[8:9], v[191:192], v[199:200]
	v_fma_f64 v[205:206], v[6:7], v[191:192], -v[193:194]
	ds_load_b128 v[6:9], v1 offset:1344
	s_waitcnt vmcnt(8) lgkmcnt(1)
	v_mul_f64 v[201:202], v[2:3], v[40:41]
	v_mul_f64 v[40:41], v[4:5], v[40:41]
	scratch_load_b128 v[191:194], off, off offset:704
	v_add_f64 v[195:196], v[195:196], v[207:208]
	v_add_f64 v[197:198], v[197:198], v[203:204]
	s_waitcnt vmcnt(8) lgkmcnt(0)
	v_mul_f64 v[203:204], v[6:7], v[189:190]
	v_mul_f64 v[189:190], v[8:9], v[189:190]
	v_fma_f64 v[201:202], v[4:5], v[38:39], v[201:202]
	v_fma_f64 v[207:208], v[2:3], v[38:39], -v[40:41]
	scratch_load_b128 v[38:41], off, off offset:720
	ds_load_b128 v[2:5], v1 offset:1360
	;; [unrolled: 18-line block ×3, first 2 shown]
	v_add_f64 v[195:196], v[195:196], v[205:206]
	v_add_f64 v[197:198], v[197:198], v[203:204]
	v_fma_f64 v[201:202], v[8:9], v[14:15], v[201:202]
	v_fma_f64 v[14:15], v[6:7], v[14:15], -v[16:17]
	ds_load_b128 v[6:9], v1 offset:1408
	s_waitcnt vmcnt(8) lgkmcnt(1)
	v_mul_f64 v[203:204], v[2:3], v[20:21]
	v_mul_f64 v[20:21], v[4:5], v[20:21]
	v_add_f64 v[16:17], v[195:196], v[207:208]
	v_add_f64 v[195:196], v[197:198], v[199:200]
	s_waitcnt vmcnt(7) lgkmcnt(0)
	v_mul_f64 v[197:198], v[6:7], v[24:25]
	v_mul_f64 v[24:25], v[8:9], v[24:25]
	v_fma_f64 v[199:200], v[4:5], v[18:19], v[203:204]
	v_fma_f64 v[18:19], v[2:3], v[18:19], -v[20:21]
	ds_load_b128 v[2:5], v1 offset:1424
	v_add_f64 v[14:15], v[16:17], v[14:15]
	v_add_f64 v[16:17], v[195:196], v[201:202]
	v_fma_f64 v[195:196], v[8:9], v[22:23], v[197:198]
	v_fma_f64 v[22:23], v[6:7], v[22:23], -v[24:25]
	ds_load_b128 v[6:9], v1 offset:1440
	s_waitcnt vmcnt(5) lgkmcnt(0)
	v_mul_f64 v[197:198], v[6:7], v[32:33]
	v_mul_f64 v[32:33], v[8:9], v[32:33]
	v_add_f64 v[18:19], v[14:15], v[18:19]
	v_add_f64 v[24:25], v[16:17], v[199:200]
	scratch_load_b128 v[14:17], off, off offset:224
	v_mul_f64 v[20:21], v[2:3], v[28:29]
	v_mul_f64 v[28:29], v[4:5], v[28:29]
	v_add_f64 v[18:19], v[18:19], v[22:23]
	v_add_f64 v[22:23], v[24:25], v[195:196]
	s_delay_alu instid0(VALU_DEP_4) | instskip(NEXT) | instid1(VALU_DEP_4)
	v_fma_f64 v[20:21], v[4:5], v[26:27], v[20:21]
	v_fma_f64 v[26:27], v[2:3], v[26:27], -v[28:29]
	ds_load_b128 v[2:5], v1 offset:1456
	s_waitcnt vmcnt(5) lgkmcnt(0)
	v_mul_f64 v[24:25], v[2:3], v[36:37]
	v_mul_f64 v[28:29], v[4:5], v[36:37]
	v_fma_f64 v[36:37], v[8:9], v[30:31], v[197:198]
	v_fma_f64 v[30:31], v[6:7], v[30:31], -v[32:33]
	ds_load_b128 v[6:9], v1 offset:1472
	v_add_f64 v[20:21], v[22:23], v[20:21]
	v_add_f64 v[18:19], v[18:19], v[26:27]
	v_fma_f64 v[24:25], v[4:5], v[34:35], v[24:25]
	v_fma_f64 v[28:29], v[2:3], v[34:35], -v[28:29]
	ds_load_b128 v[2:5], v1 offset:1488
	s_waitcnt vmcnt(4) lgkmcnt(1)
	v_mul_f64 v[22:23], v[6:7], v[193:194]
	v_mul_f64 v[26:27], v[8:9], v[193:194]
	v_add_f64 v[20:21], v[20:21], v[36:37]
	v_add_f64 v[18:19], v[18:19], v[30:31]
	s_waitcnt vmcnt(3) lgkmcnt(0)
	v_mul_f64 v[30:31], v[2:3], v[40:41]
	v_mul_f64 v[32:33], v[4:5], v[40:41]
	v_fma_f64 v[22:23], v[8:9], v[191:192], v[22:23]
	v_fma_f64 v[26:27], v[6:7], v[191:192], -v[26:27]
	ds_load_b128 v[6:9], v1 offset:1504
	v_add_f64 v[20:21], v[20:21], v[24:25]
	v_add_f64 v[18:19], v[18:19], v[28:29]
	v_fma_f64 v[30:31], v[4:5], v[38:39], v[30:31]
	v_fma_f64 v[32:33], v[2:3], v[38:39], -v[32:33]
	ds_load_b128 v[2:5], v1 offset:1520
	s_waitcnt vmcnt(2) lgkmcnt(1)
	v_mul_f64 v[24:25], v[6:7], v[189:190]
	v_mul_f64 v[28:29], v[8:9], v[189:190]
	v_add_f64 v[20:21], v[20:21], v[22:23]
	v_add_f64 v[18:19], v[18:19], v[26:27]
	s_waitcnt vmcnt(1) lgkmcnt(0)
	v_mul_f64 v[22:23], v[2:3], v[12:13]
	v_mul_f64 v[12:13], v[4:5], v[12:13]
	v_fma_f64 v[8:9], v[8:9], v[187:188], v[24:25]
	v_fma_f64 v[6:7], v[6:7], v[187:188], -v[28:29]
	v_add_f64 v[20:21], v[20:21], v[30:31]
	v_add_f64 v[18:19], v[18:19], v[32:33]
	v_fma_f64 v[4:5], v[4:5], v[10:11], v[22:23]
	v_fma_f64 v[2:3], v[2:3], v[10:11], -v[12:13]
	s_delay_alu instid0(VALU_DEP_4) | instskip(NEXT) | instid1(VALU_DEP_4)
	v_add_f64 v[8:9], v[20:21], v[8:9]
	v_add_f64 v[6:7], v[18:19], v[6:7]
	s_delay_alu instid0(VALU_DEP_2) | instskip(NEXT) | instid1(VALU_DEP_2)
	v_add_f64 v[4:5], v[8:9], v[4:5]
	v_add_f64 v[2:3], v[6:7], v[2:3]
	s_waitcnt vmcnt(0)
	s_delay_alu instid0(VALU_DEP_2) | instskip(NEXT) | instid1(VALU_DEP_2)
	v_add_f64 v[4:5], v[16:17], -v[4:5]
	v_add_f64 v[2:3], v[14:15], -v[2:3]
	scratch_store_b128 off, v[2:5], off offset:224
	v_cmpx_lt_u32_e32 13, v138
	s_cbranch_execz .LBB47_275
; %bb.274:
	scratch_load_b128 v[5:8], v173, off
	v_mov_b32_e32 v2, v1
	v_mov_b32_e32 v3, v1
	;; [unrolled: 1-line block ×3, first 2 shown]
	scratch_store_b128 off, v[1:4], off offset:208
	s_waitcnt vmcnt(0)
	ds_store_b128 v186, v[5:8]
.LBB47_275:
	s_or_b32 exec_lo, exec_lo, s2
	s_waitcnt lgkmcnt(0)
	s_waitcnt_vscnt null, 0x0
	s_barrier
	buffer_gl0_inv
	s_clause 0x7
	scratch_load_b128 v[2:5], off, off offset:224
	scratch_load_b128 v[6:9], off, off offset:240
	;; [unrolled: 1-line block ×8, first 2 shown]
	ds_load_b128 v[38:41], v1 offset:992
	ds_load_b128 v[187:190], v1 offset:1008
	s_clause 0x1
	scratch_load_b128 v[34:37], off, off offset:352
	scratch_load_b128 v[191:194], off, off offset:368
	s_mov_b32 s2, exec_lo
	s_waitcnt vmcnt(9) lgkmcnt(1)
	v_mul_f64 v[195:196], v[40:41], v[4:5]
	v_mul_f64 v[4:5], v[38:39], v[4:5]
	s_waitcnt vmcnt(8) lgkmcnt(0)
	v_mul_f64 v[197:198], v[187:188], v[8:9]
	v_mul_f64 v[8:9], v[189:190], v[8:9]
	s_delay_alu instid0(VALU_DEP_4) | instskip(NEXT) | instid1(VALU_DEP_4)
	v_fma_f64 v[195:196], v[38:39], v[2:3], -v[195:196]
	v_fma_f64 v[199:200], v[40:41], v[2:3], v[4:5]
	ds_load_b128 v[2:5], v1 offset:1024
	scratch_load_b128 v[38:41], off, off offset:384
	v_fma_f64 v[197:198], v[189:190], v[6:7], v[197:198]
	v_fma_f64 v[203:204], v[187:188], v[6:7], -v[8:9]
	scratch_load_b128 v[187:190], off, off offset:400
	ds_load_b128 v[6:9], v1 offset:1040
	s_waitcnt vmcnt(9) lgkmcnt(1)
	v_mul_f64 v[201:202], v[2:3], v[12:13]
	v_mul_f64 v[12:13], v[4:5], v[12:13]
	s_waitcnt vmcnt(8) lgkmcnt(0)
	v_mul_f64 v[205:206], v[6:7], v[16:17]
	v_mul_f64 v[16:17], v[8:9], v[16:17]
	v_add_f64 v[195:196], v[195:196], 0
	v_add_f64 v[199:200], v[199:200], 0
	v_fma_f64 v[201:202], v[4:5], v[10:11], v[201:202]
	v_fma_f64 v[207:208], v[2:3], v[10:11], -v[12:13]
	ds_load_b128 v[2:5], v1 offset:1056
	scratch_load_b128 v[10:13], off, off offset:416
	v_add_f64 v[195:196], v[195:196], v[203:204]
	v_add_f64 v[197:198], v[199:200], v[197:198]
	v_fma_f64 v[203:204], v[8:9], v[14:15], v[205:206]
	v_fma_f64 v[205:206], v[6:7], v[14:15], -v[16:17]
	scratch_load_b128 v[14:17], off, off offset:432
	ds_load_b128 v[6:9], v1 offset:1072
	s_waitcnt vmcnt(9) lgkmcnt(1)
	v_mul_f64 v[199:200], v[2:3], v[20:21]
	v_mul_f64 v[20:21], v[4:5], v[20:21]
	v_add_f64 v[195:196], v[195:196], v[207:208]
	v_add_f64 v[197:198], v[197:198], v[201:202]
	s_waitcnt vmcnt(8) lgkmcnt(0)
	v_mul_f64 v[201:202], v[6:7], v[24:25]
	v_mul_f64 v[24:25], v[8:9], v[24:25]
	v_fma_f64 v[199:200], v[4:5], v[18:19], v[199:200]
	v_fma_f64 v[207:208], v[2:3], v[18:19], -v[20:21]
	ds_load_b128 v[2:5], v1 offset:1088
	scratch_load_b128 v[18:21], off, off offset:448
	v_add_f64 v[195:196], v[195:196], v[205:206]
	v_add_f64 v[197:198], v[197:198], v[203:204]
	v_fma_f64 v[201:202], v[8:9], v[22:23], v[201:202]
	v_fma_f64 v[205:206], v[6:7], v[22:23], -v[24:25]
	scratch_load_b128 v[22:25], off, off offset:464
	ds_load_b128 v[6:9], v1 offset:1104
	s_waitcnt vmcnt(9) lgkmcnt(1)
	v_mul_f64 v[203:204], v[2:3], v[28:29]
	v_mul_f64 v[28:29], v[4:5], v[28:29]
	v_add_f64 v[195:196], v[195:196], v[207:208]
	v_add_f64 v[197:198], v[197:198], v[199:200]
	s_waitcnt vmcnt(8) lgkmcnt(0)
	v_mul_f64 v[199:200], v[6:7], v[32:33]
	v_mul_f64 v[32:33], v[8:9], v[32:33]
	;; [unrolled: 18-line block ×7, first 2 shown]
	v_fma_f64 v[199:200], v[4:5], v[26:27], v[199:200]
	v_fma_f64 v[207:208], v[2:3], v[26:27], -v[28:29]
	ds_load_b128 v[2:5], v1 offset:1280
	scratch_load_b128 v[26:29], off, off offset:640
	v_add_f64 v[195:196], v[195:196], v[205:206]
	v_add_f64 v[197:198], v[197:198], v[203:204]
	v_fma_f64 v[201:202], v[8:9], v[30:31], v[201:202]
	v_fma_f64 v[205:206], v[6:7], v[30:31], -v[32:33]
	ds_load_b128 v[6:9], v1 offset:1296
	s_waitcnt vmcnt(8) lgkmcnt(1)
	v_mul_f64 v[203:204], v[2:3], v[36:37]
	v_mul_f64 v[36:37], v[4:5], v[36:37]
	scratch_load_b128 v[30:33], off, off offset:656
	v_add_f64 v[195:196], v[195:196], v[207:208]
	v_add_f64 v[197:198], v[197:198], v[199:200]
	s_waitcnt vmcnt(8) lgkmcnt(0)
	v_mul_f64 v[199:200], v[6:7], v[193:194]
	v_mul_f64 v[193:194], v[8:9], v[193:194]
	v_fma_f64 v[203:204], v[4:5], v[34:35], v[203:204]
	v_fma_f64 v[207:208], v[2:3], v[34:35], -v[36:37]
	ds_load_b128 v[2:5], v1 offset:1312
	scratch_load_b128 v[34:37], off, off offset:672
	v_add_f64 v[195:196], v[195:196], v[205:206]
	v_add_f64 v[197:198], v[197:198], v[201:202]
	v_fma_f64 v[199:200], v[8:9], v[191:192], v[199:200]
	v_fma_f64 v[205:206], v[6:7], v[191:192], -v[193:194]
	ds_load_b128 v[6:9], v1 offset:1328
	s_waitcnt vmcnt(8) lgkmcnt(1)
	v_mul_f64 v[201:202], v[2:3], v[40:41]
	v_mul_f64 v[40:41], v[4:5], v[40:41]
	scratch_load_b128 v[191:194], off, off offset:688
	v_add_f64 v[195:196], v[195:196], v[207:208]
	v_add_f64 v[197:198], v[197:198], v[203:204]
	s_waitcnt vmcnt(8) lgkmcnt(0)
	v_mul_f64 v[203:204], v[6:7], v[189:190]
	v_mul_f64 v[189:190], v[8:9], v[189:190]
	v_fma_f64 v[201:202], v[4:5], v[38:39], v[201:202]
	v_fma_f64 v[207:208], v[2:3], v[38:39], -v[40:41]
	scratch_load_b128 v[38:41], off, off offset:704
	ds_load_b128 v[2:5], v1 offset:1344
	v_add_f64 v[195:196], v[195:196], v[205:206]
	v_add_f64 v[197:198], v[197:198], v[199:200]
	v_fma_f64 v[203:204], v[8:9], v[187:188], v[203:204]
	v_fma_f64 v[205:206], v[6:7], v[187:188], -v[189:190]
	ds_load_b128 v[6:9], v1 offset:1360
	s_waitcnt vmcnt(8) lgkmcnt(1)
	v_mul_f64 v[199:200], v[2:3], v[12:13]
	v_mul_f64 v[12:13], v[4:5], v[12:13]
	scratch_load_b128 v[187:190], off, off offset:720
	v_add_f64 v[195:196], v[195:196], v[207:208]
	v_add_f64 v[197:198], v[197:198], v[201:202]
	s_waitcnt vmcnt(8) lgkmcnt(0)
	v_mul_f64 v[201:202], v[6:7], v[16:17]
	v_mul_f64 v[16:17], v[8:9], v[16:17]
	v_fma_f64 v[199:200], v[4:5], v[10:11], v[199:200]
	v_fma_f64 v[207:208], v[2:3], v[10:11], -v[12:13]
	scratch_load_b128 v[10:13], off, off offset:736
	ds_load_b128 v[2:5], v1 offset:1376
	v_add_f64 v[195:196], v[195:196], v[205:206]
	v_add_f64 v[197:198], v[197:198], v[203:204]
	v_fma_f64 v[201:202], v[8:9], v[14:15], v[201:202]
	v_fma_f64 v[205:206], v[6:7], v[14:15], -v[16:17]
	ds_load_b128 v[6:9], v1 offset:1392
	s_waitcnt vmcnt(8) lgkmcnt(1)
	v_mul_f64 v[203:204], v[2:3], v[20:21]
	v_mul_f64 v[20:21], v[4:5], v[20:21]
	scratch_load_b128 v[14:17], off, off offset:752
	v_add_f64 v[195:196], v[195:196], v[207:208]
	v_add_f64 v[197:198], v[197:198], v[199:200]
	s_waitcnt vmcnt(8) lgkmcnt(0)
	v_mul_f64 v[199:200], v[6:7], v[24:25]
	v_mul_f64 v[24:25], v[8:9], v[24:25]
	v_fma_f64 v[203:204], v[4:5], v[18:19], v[203:204]
	v_fma_f64 v[18:19], v[2:3], v[18:19], -v[20:21]
	ds_load_b128 v[2:5], v1 offset:1408
	v_add_f64 v[20:21], v[195:196], v[205:206]
	v_add_f64 v[195:196], v[197:198], v[201:202]
	v_fma_f64 v[199:200], v[8:9], v[22:23], v[199:200]
	v_fma_f64 v[22:23], v[6:7], v[22:23], -v[24:25]
	ds_load_b128 v[6:9], v1 offset:1424
	s_waitcnt vmcnt(7) lgkmcnt(1)
	v_mul_f64 v[197:198], v[2:3], v[28:29]
	v_mul_f64 v[28:29], v[4:5], v[28:29]
	v_add_f64 v[18:19], v[20:21], v[18:19]
	v_add_f64 v[20:21], v[195:196], v[203:204]
	s_delay_alu instid0(VALU_DEP_4) | instskip(NEXT) | instid1(VALU_DEP_4)
	v_fma_f64 v[195:196], v[4:5], v[26:27], v[197:198]
	v_fma_f64 v[26:27], v[2:3], v[26:27], -v[28:29]
	ds_load_b128 v[2:5], v1 offset:1440
	v_add_f64 v[22:23], v[18:19], v[22:23]
	v_add_f64 v[28:29], v[20:21], v[199:200]
	scratch_load_b128 v[18:21], off, off offset:208
	s_waitcnt vmcnt(7) lgkmcnt(1)
	v_mul_f64 v[24:25], v[6:7], v[32:33]
	v_mul_f64 v[32:33], v[8:9], v[32:33]
	v_add_f64 v[22:23], v[22:23], v[26:27]
	v_add_f64 v[26:27], v[28:29], v[195:196]
	s_delay_alu instid0(VALU_DEP_4) | instskip(NEXT) | instid1(VALU_DEP_4)
	v_fma_f64 v[24:25], v[8:9], v[30:31], v[24:25]
	v_fma_f64 v[30:31], v[6:7], v[30:31], -v[32:33]
	ds_load_b128 v[6:9], v1 offset:1456
	s_waitcnt vmcnt(6) lgkmcnt(1)
	v_mul_f64 v[197:198], v[2:3], v[36:37]
	v_mul_f64 v[36:37], v[4:5], v[36:37]
	s_waitcnt vmcnt(5) lgkmcnt(0)
	v_mul_f64 v[28:29], v[6:7], v[193:194]
	v_mul_f64 v[32:33], v[8:9], v[193:194]
	v_add_f64 v[24:25], v[26:27], v[24:25]
	v_add_f64 v[22:23], v[22:23], v[30:31]
	v_fma_f64 v[193:194], v[4:5], v[34:35], v[197:198]
	v_fma_f64 v[34:35], v[2:3], v[34:35], -v[36:37]
	ds_load_b128 v[2:5], v1 offset:1472
	v_fma_f64 v[28:29], v[8:9], v[191:192], v[28:29]
	v_fma_f64 v[32:33], v[6:7], v[191:192], -v[32:33]
	ds_load_b128 v[6:9], v1 offset:1488
	s_waitcnt vmcnt(4) lgkmcnt(1)
	v_mul_f64 v[26:27], v[2:3], v[40:41]
	v_mul_f64 v[30:31], v[4:5], v[40:41]
	v_add_f64 v[24:25], v[24:25], v[193:194]
	v_add_f64 v[22:23], v[22:23], v[34:35]
	s_waitcnt vmcnt(3) lgkmcnt(0)
	v_mul_f64 v[34:35], v[6:7], v[189:190]
	v_mul_f64 v[36:37], v[8:9], v[189:190]
	v_fma_f64 v[26:27], v[4:5], v[38:39], v[26:27]
	v_fma_f64 v[30:31], v[2:3], v[38:39], -v[30:31]
	ds_load_b128 v[2:5], v1 offset:1504
	v_add_f64 v[24:25], v[24:25], v[28:29]
	v_add_f64 v[22:23], v[22:23], v[32:33]
	v_fma_f64 v[32:33], v[8:9], v[187:188], v[34:35]
	v_fma_f64 v[34:35], v[6:7], v[187:188], -v[36:37]
	ds_load_b128 v[6:9], v1 offset:1520
	s_waitcnt vmcnt(2) lgkmcnt(1)
	v_mul_f64 v[28:29], v[2:3], v[12:13]
	v_mul_f64 v[12:13], v[4:5], v[12:13]
	v_add_f64 v[24:25], v[24:25], v[26:27]
	v_add_f64 v[22:23], v[22:23], v[30:31]
	s_waitcnt vmcnt(1) lgkmcnt(0)
	v_mul_f64 v[26:27], v[6:7], v[16:17]
	v_mul_f64 v[16:17], v[8:9], v[16:17]
	v_fma_f64 v[4:5], v[4:5], v[10:11], v[28:29]
	v_fma_f64 v[1:2], v[2:3], v[10:11], -v[12:13]
	v_add_f64 v[12:13], v[24:25], v[32:33]
	v_add_f64 v[10:11], v[22:23], v[34:35]
	v_fma_f64 v[8:9], v[8:9], v[14:15], v[26:27]
	v_fma_f64 v[6:7], v[6:7], v[14:15], -v[16:17]
	s_delay_alu instid0(VALU_DEP_4) | instskip(NEXT) | instid1(VALU_DEP_4)
	v_add_f64 v[3:4], v[12:13], v[4:5]
	v_add_f64 v[1:2], v[10:11], v[1:2]
	s_delay_alu instid0(VALU_DEP_2) | instskip(NEXT) | instid1(VALU_DEP_2)
	v_add_f64 v[3:4], v[3:4], v[8:9]
	v_add_f64 v[1:2], v[1:2], v[6:7]
	s_waitcnt vmcnt(0)
	s_delay_alu instid0(VALU_DEP_2) | instskip(NEXT) | instid1(VALU_DEP_2)
	v_add_f64 v[3:4], v[20:21], -v[3:4]
	v_add_f64 v[1:2], v[18:19], -v[1:2]
	scratch_store_b128 off, v[1:4], off offset:208
	v_cmpx_lt_u32_e32 12, v138
	s_cbranch_execz .LBB47_277
; %bb.276:
	scratch_load_b128 v[1:4], v174, off
	v_mov_b32_e32 v5, 0
	s_delay_alu instid0(VALU_DEP_1)
	v_mov_b32_e32 v6, v5
	v_mov_b32_e32 v7, v5
	;; [unrolled: 1-line block ×3, first 2 shown]
	scratch_store_b128 off, v[5:8], off offset:192
	s_waitcnt vmcnt(0)
	ds_store_b128 v186, v[1:4]
.LBB47_277:
	s_or_b32 exec_lo, exec_lo, s2
	s_waitcnt lgkmcnt(0)
	s_waitcnt_vscnt null, 0x0
	s_barrier
	buffer_gl0_inv
	s_clause 0x7
	scratch_load_b128 v[2:5], off, off offset:208
	scratch_load_b128 v[6:9], off, off offset:224
	;; [unrolled: 1-line block ×8, first 2 shown]
	v_mov_b32_e32 v1, 0
	s_clause 0x1
	scratch_load_b128 v[34:37], off, off offset:336
	scratch_load_b128 v[191:194], off, off offset:352
	s_mov_b32 s2, exec_lo
	ds_load_b128 v[38:41], v1 offset:976
	ds_load_b128 v[187:190], v1 offset:992
	s_waitcnt vmcnt(9) lgkmcnt(1)
	v_mul_f64 v[195:196], v[40:41], v[4:5]
	v_mul_f64 v[4:5], v[38:39], v[4:5]
	s_waitcnt vmcnt(8) lgkmcnt(0)
	v_mul_f64 v[197:198], v[187:188], v[8:9]
	v_mul_f64 v[8:9], v[189:190], v[8:9]
	s_delay_alu instid0(VALU_DEP_4) | instskip(NEXT) | instid1(VALU_DEP_4)
	v_fma_f64 v[195:196], v[38:39], v[2:3], -v[195:196]
	v_fma_f64 v[199:200], v[40:41], v[2:3], v[4:5]
	ds_load_b128 v[2:5], v1 offset:1008
	scratch_load_b128 v[38:41], off, off offset:368
	v_fma_f64 v[197:198], v[189:190], v[6:7], v[197:198]
	v_fma_f64 v[203:204], v[187:188], v[6:7], -v[8:9]
	scratch_load_b128 v[187:190], off, off offset:384
	ds_load_b128 v[6:9], v1 offset:1024
	s_waitcnt vmcnt(9) lgkmcnt(1)
	v_mul_f64 v[201:202], v[2:3], v[12:13]
	v_mul_f64 v[12:13], v[4:5], v[12:13]
	s_waitcnt vmcnt(8) lgkmcnt(0)
	v_mul_f64 v[205:206], v[6:7], v[16:17]
	v_mul_f64 v[16:17], v[8:9], v[16:17]
	v_add_f64 v[195:196], v[195:196], 0
	v_add_f64 v[199:200], v[199:200], 0
	v_fma_f64 v[201:202], v[4:5], v[10:11], v[201:202]
	v_fma_f64 v[207:208], v[2:3], v[10:11], -v[12:13]
	ds_load_b128 v[2:5], v1 offset:1040
	scratch_load_b128 v[10:13], off, off offset:400
	v_add_f64 v[195:196], v[195:196], v[203:204]
	v_add_f64 v[197:198], v[199:200], v[197:198]
	v_fma_f64 v[203:204], v[8:9], v[14:15], v[205:206]
	v_fma_f64 v[205:206], v[6:7], v[14:15], -v[16:17]
	scratch_load_b128 v[14:17], off, off offset:416
	ds_load_b128 v[6:9], v1 offset:1056
	s_waitcnt vmcnt(9) lgkmcnt(1)
	v_mul_f64 v[199:200], v[2:3], v[20:21]
	v_mul_f64 v[20:21], v[4:5], v[20:21]
	v_add_f64 v[195:196], v[195:196], v[207:208]
	v_add_f64 v[197:198], v[197:198], v[201:202]
	s_waitcnt vmcnt(8) lgkmcnt(0)
	v_mul_f64 v[201:202], v[6:7], v[24:25]
	v_mul_f64 v[24:25], v[8:9], v[24:25]
	v_fma_f64 v[199:200], v[4:5], v[18:19], v[199:200]
	v_fma_f64 v[207:208], v[2:3], v[18:19], -v[20:21]
	ds_load_b128 v[2:5], v1 offset:1072
	scratch_load_b128 v[18:21], off, off offset:432
	v_add_f64 v[195:196], v[195:196], v[205:206]
	v_add_f64 v[197:198], v[197:198], v[203:204]
	v_fma_f64 v[201:202], v[8:9], v[22:23], v[201:202]
	v_fma_f64 v[205:206], v[6:7], v[22:23], -v[24:25]
	scratch_load_b128 v[22:25], off, off offset:448
	ds_load_b128 v[6:9], v1 offset:1088
	s_waitcnt vmcnt(9) lgkmcnt(1)
	v_mul_f64 v[203:204], v[2:3], v[28:29]
	v_mul_f64 v[28:29], v[4:5], v[28:29]
	v_add_f64 v[195:196], v[195:196], v[207:208]
	v_add_f64 v[197:198], v[197:198], v[199:200]
	s_waitcnt vmcnt(8) lgkmcnt(0)
	v_mul_f64 v[199:200], v[6:7], v[32:33]
	v_mul_f64 v[32:33], v[8:9], v[32:33]
	v_fma_f64 v[203:204], v[4:5], v[26:27], v[203:204]
	v_fma_f64 v[207:208], v[2:3], v[26:27], -v[28:29]
	ds_load_b128 v[2:5], v1 offset:1104
	scratch_load_b128 v[26:29], off, off offset:464
	v_add_f64 v[195:196], v[195:196], v[205:206]
	v_add_f64 v[197:198], v[197:198], v[201:202]
	v_fma_f64 v[199:200], v[8:9], v[30:31], v[199:200]
	v_fma_f64 v[205:206], v[6:7], v[30:31], -v[32:33]
	scratch_load_b128 v[30:33], off, off offset:480
	ds_load_b128 v[6:9], v1 offset:1120
	s_waitcnt vmcnt(9) lgkmcnt(1)
	v_mul_f64 v[201:202], v[2:3], v[36:37]
	v_mul_f64 v[36:37], v[4:5], v[36:37]
	v_add_f64 v[195:196], v[195:196], v[207:208]
	v_add_f64 v[197:198], v[197:198], v[203:204]
	s_waitcnt vmcnt(8) lgkmcnt(0)
	v_mul_f64 v[203:204], v[6:7], v[193:194]
	v_mul_f64 v[193:194], v[8:9], v[193:194]
	v_fma_f64 v[201:202], v[4:5], v[34:35], v[201:202]
	v_fma_f64 v[207:208], v[2:3], v[34:35], -v[36:37]
	ds_load_b128 v[2:5], v1 offset:1136
	scratch_load_b128 v[34:37], off, off offset:496
	v_add_f64 v[195:196], v[195:196], v[205:206]
	v_add_f64 v[197:198], v[197:198], v[199:200]
	v_fma_f64 v[203:204], v[8:9], v[191:192], v[203:204]
	v_fma_f64 v[205:206], v[6:7], v[191:192], -v[193:194]
	scratch_load_b128 v[191:194], off, off offset:512
	ds_load_b128 v[6:9], v1 offset:1152
	s_waitcnt vmcnt(9) lgkmcnt(1)
	v_mul_f64 v[199:200], v[2:3], v[40:41]
	v_mul_f64 v[40:41], v[4:5], v[40:41]
	v_add_f64 v[195:196], v[195:196], v[207:208]
	v_add_f64 v[197:198], v[197:198], v[201:202]
	s_waitcnt vmcnt(8) lgkmcnt(0)
	v_mul_f64 v[201:202], v[6:7], v[189:190]
	v_mul_f64 v[189:190], v[8:9], v[189:190]
	v_fma_f64 v[199:200], v[4:5], v[38:39], v[199:200]
	v_fma_f64 v[207:208], v[2:3], v[38:39], -v[40:41]
	ds_load_b128 v[2:5], v1 offset:1168
	scratch_load_b128 v[38:41], off, off offset:528
	v_add_f64 v[195:196], v[195:196], v[205:206]
	v_add_f64 v[197:198], v[197:198], v[203:204]
	v_fma_f64 v[201:202], v[8:9], v[187:188], v[201:202]
	v_fma_f64 v[205:206], v[6:7], v[187:188], -v[189:190]
	scratch_load_b128 v[187:190], off, off offset:544
	ds_load_b128 v[6:9], v1 offset:1184
	s_waitcnt vmcnt(9) lgkmcnt(1)
	v_mul_f64 v[203:204], v[2:3], v[12:13]
	v_mul_f64 v[12:13], v[4:5], v[12:13]
	v_add_f64 v[195:196], v[195:196], v[207:208]
	v_add_f64 v[197:198], v[197:198], v[199:200]
	s_waitcnt vmcnt(8) lgkmcnt(0)
	v_mul_f64 v[199:200], v[6:7], v[16:17]
	v_mul_f64 v[16:17], v[8:9], v[16:17]
	v_fma_f64 v[203:204], v[4:5], v[10:11], v[203:204]
	v_fma_f64 v[207:208], v[2:3], v[10:11], -v[12:13]
	ds_load_b128 v[2:5], v1 offset:1200
	scratch_load_b128 v[10:13], off, off offset:560
	v_add_f64 v[195:196], v[195:196], v[205:206]
	v_add_f64 v[197:198], v[197:198], v[201:202]
	v_fma_f64 v[199:200], v[8:9], v[14:15], v[199:200]
	v_fma_f64 v[205:206], v[6:7], v[14:15], -v[16:17]
	scratch_load_b128 v[14:17], off, off offset:576
	ds_load_b128 v[6:9], v1 offset:1216
	s_waitcnt vmcnt(9) lgkmcnt(1)
	v_mul_f64 v[201:202], v[2:3], v[20:21]
	v_mul_f64 v[20:21], v[4:5], v[20:21]
	v_add_f64 v[195:196], v[195:196], v[207:208]
	v_add_f64 v[197:198], v[197:198], v[203:204]
	s_waitcnt vmcnt(8) lgkmcnt(0)
	v_mul_f64 v[203:204], v[6:7], v[24:25]
	v_mul_f64 v[24:25], v[8:9], v[24:25]
	v_fma_f64 v[201:202], v[4:5], v[18:19], v[201:202]
	v_fma_f64 v[207:208], v[2:3], v[18:19], -v[20:21]
	ds_load_b128 v[2:5], v1 offset:1232
	scratch_load_b128 v[18:21], off, off offset:592
	v_add_f64 v[195:196], v[195:196], v[205:206]
	v_add_f64 v[197:198], v[197:198], v[199:200]
	v_fma_f64 v[203:204], v[8:9], v[22:23], v[203:204]
	v_fma_f64 v[205:206], v[6:7], v[22:23], -v[24:25]
	scratch_load_b128 v[22:25], off, off offset:608
	ds_load_b128 v[6:9], v1 offset:1248
	s_waitcnt vmcnt(9) lgkmcnt(1)
	v_mul_f64 v[199:200], v[2:3], v[28:29]
	v_mul_f64 v[28:29], v[4:5], v[28:29]
	v_add_f64 v[195:196], v[195:196], v[207:208]
	v_add_f64 v[197:198], v[197:198], v[201:202]
	s_waitcnt vmcnt(8) lgkmcnt(0)
	v_mul_f64 v[201:202], v[6:7], v[32:33]
	v_mul_f64 v[32:33], v[8:9], v[32:33]
	v_fma_f64 v[199:200], v[4:5], v[26:27], v[199:200]
	v_fma_f64 v[207:208], v[2:3], v[26:27], -v[28:29]
	ds_load_b128 v[2:5], v1 offset:1264
	scratch_load_b128 v[26:29], off, off offset:624
	v_add_f64 v[195:196], v[195:196], v[205:206]
	v_add_f64 v[197:198], v[197:198], v[203:204]
	v_fma_f64 v[201:202], v[8:9], v[30:31], v[201:202]
	v_fma_f64 v[205:206], v[6:7], v[30:31], -v[32:33]
	scratch_load_b128 v[30:33], off, off offset:640
	ds_load_b128 v[6:9], v1 offset:1280
	s_waitcnt vmcnt(9) lgkmcnt(1)
	v_mul_f64 v[203:204], v[2:3], v[36:37]
	v_mul_f64 v[36:37], v[4:5], v[36:37]
	v_add_f64 v[195:196], v[195:196], v[207:208]
	v_add_f64 v[197:198], v[197:198], v[199:200]
	s_waitcnt vmcnt(8) lgkmcnt(0)
	v_mul_f64 v[199:200], v[6:7], v[193:194]
	v_mul_f64 v[193:194], v[8:9], v[193:194]
	v_fma_f64 v[203:204], v[4:5], v[34:35], v[203:204]
	v_fma_f64 v[207:208], v[2:3], v[34:35], -v[36:37]
	ds_load_b128 v[2:5], v1 offset:1296
	scratch_load_b128 v[34:37], off, off offset:656
	v_add_f64 v[195:196], v[195:196], v[205:206]
	v_add_f64 v[197:198], v[197:198], v[201:202]
	v_fma_f64 v[199:200], v[8:9], v[191:192], v[199:200]
	v_fma_f64 v[205:206], v[6:7], v[191:192], -v[193:194]
	ds_load_b128 v[6:9], v1 offset:1312
	s_waitcnt vmcnt(8) lgkmcnt(1)
	v_mul_f64 v[201:202], v[2:3], v[40:41]
	v_mul_f64 v[40:41], v[4:5], v[40:41]
	scratch_load_b128 v[191:194], off, off offset:672
	v_add_f64 v[195:196], v[195:196], v[207:208]
	v_add_f64 v[197:198], v[197:198], v[203:204]
	s_waitcnt vmcnt(8) lgkmcnt(0)
	v_mul_f64 v[203:204], v[6:7], v[189:190]
	v_mul_f64 v[189:190], v[8:9], v[189:190]
	v_fma_f64 v[201:202], v[4:5], v[38:39], v[201:202]
	v_fma_f64 v[207:208], v[2:3], v[38:39], -v[40:41]
	scratch_load_b128 v[38:41], off, off offset:688
	ds_load_b128 v[2:5], v1 offset:1328
	v_add_f64 v[195:196], v[195:196], v[205:206]
	v_add_f64 v[197:198], v[197:198], v[199:200]
	v_fma_f64 v[203:204], v[8:9], v[187:188], v[203:204]
	v_fma_f64 v[205:206], v[6:7], v[187:188], -v[189:190]
	ds_load_b128 v[6:9], v1 offset:1344
	s_waitcnt vmcnt(8) lgkmcnt(1)
	v_mul_f64 v[199:200], v[2:3], v[12:13]
	v_mul_f64 v[12:13], v[4:5], v[12:13]
	scratch_load_b128 v[187:190], off, off offset:704
	v_add_f64 v[195:196], v[195:196], v[207:208]
	v_add_f64 v[197:198], v[197:198], v[201:202]
	s_waitcnt vmcnt(8) lgkmcnt(0)
	v_mul_f64 v[201:202], v[6:7], v[16:17]
	v_mul_f64 v[16:17], v[8:9], v[16:17]
	v_fma_f64 v[199:200], v[4:5], v[10:11], v[199:200]
	v_fma_f64 v[207:208], v[2:3], v[10:11], -v[12:13]
	scratch_load_b128 v[10:13], off, off offset:720
	ds_load_b128 v[2:5], v1 offset:1360
	;; [unrolled: 18-line block ×3, first 2 shown]
	v_add_f64 v[195:196], v[195:196], v[205:206]
	v_add_f64 v[197:198], v[197:198], v[201:202]
	v_fma_f64 v[199:200], v[8:9], v[22:23], v[199:200]
	v_fma_f64 v[22:23], v[6:7], v[22:23], -v[24:25]
	ds_load_b128 v[6:9], v1 offset:1408
	s_waitcnt vmcnt(8) lgkmcnt(1)
	v_mul_f64 v[201:202], v[2:3], v[28:29]
	v_mul_f64 v[28:29], v[4:5], v[28:29]
	v_add_f64 v[24:25], v[195:196], v[207:208]
	v_add_f64 v[195:196], v[197:198], v[203:204]
	s_waitcnt vmcnt(7) lgkmcnt(0)
	v_mul_f64 v[197:198], v[6:7], v[32:33]
	v_mul_f64 v[32:33], v[8:9], v[32:33]
	v_fma_f64 v[201:202], v[4:5], v[26:27], v[201:202]
	v_fma_f64 v[26:27], v[2:3], v[26:27], -v[28:29]
	ds_load_b128 v[2:5], v1 offset:1424
	v_add_f64 v[22:23], v[24:25], v[22:23]
	v_add_f64 v[24:25], v[195:196], v[199:200]
	v_fma_f64 v[195:196], v[8:9], v[30:31], v[197:198]
	v_fma_f64 v[30:31], v[6:7], v[30:31], -v[32:33]
	ds_load_b128 v[6:9], v1 offset:1440
	s_waitcnt vmcnt(5) lgkmcnt(0)
	v_mul_f64 v[197:198], v[6:7], v[193:194]
	v_mul_f64 v[193:194], v[8:9], v[193:194]
	v_add_f64 v[26:27], v[22:23], v[26:27]
	v_add_f64 v[32:33], v[24:25], v[201:202]
	scratch_load_b128 v[22:25], off, off offset:192
	v_mul_f64 v[28:29], v[2:3], v[36:37]
	v_mul_f64 v[36:37], v[4:5], v[36:37]
	v_add_f64 v[26:27], v[26:27], v[30:31]
	v_add_f64 v[30:31], v[32:33], v[195:196]
	s_delay_alu instid0(VALU_DEP_4) | instskip(NEXT) | instid1(VALU_DEP_4)
	v_fma_f64 v[28:29], v[4:5], v[34:35], v[28:29]
	v_fma_f64 v[34:35], v[2:3], v[34:35], -v[36:37]
	ds_load_b128 v[2:5], v1 offset:1456
	s_waitcnt vmcnt(5) lgkmcnt(0)
	v_mul_f64 v[32:33], v[2:3], v[40:41]
	v_mul_f64 v[36:37], v[4:5], v[40:41]
	v_fma_f64 v[40:41], v[8:9], v[191:192], v[197:198]
	v_fma_f64 v[191:192], v[6:7], v[191:192], -v[193:194]
	ds_load_b128 v[6:9], v1 offset:1472
	v_add_f64 v[28:29], v[30:31], v[28:29]
	v_add_f64 v[26:27], v[26:27], v[34:35]
	v_fma_f64 v[32:33], v[4:5], v[38:39], v[32:33]
	v_fma_f64 v[36:37], v[2:3], v[38:39], -v[36:37]
	ds_load_b128 v[2:5], v1 offset:1488
	s_waitcnt vmcnt(4) lgkmcnt(1)
	v_mul_f64 v[30:31], v[6:7], v[189:190]
	v_mul_f64 v[34:35], v[8:9], v[189:190]
	v_add_f64 v[28:29], v[28:29], v[40:41]
	v_add_f64 v[26:27], v[26:27], v[191:192]
	s_waitcnt vmcnt(3) lgkmcnt(0)
	v_mul_f64 v[38:39], v[2:3], v[12:13]
	v_mul_f64 v[12:13], v[4:5], v[12:13]
	v_fma_f64 v[30:31], v[8:9], v[187:188], v[30:31]
	v_fma_f64 v[34:35], v[6:7], v[187:188], -v[34:35]
	ds_load_b128 v[6:9], v1 offset:1504
	v_add_f64 v[28:29], v[28:29], v[32:33]
	v_add_f64 v[26:27], v[26:27], v[36:37]
	v_fma_f64 v[36:37], v[4:5], v[10:11], v[38:39]
	v_fma_f64 v[10:11], v[2:3], v[10:11], -v[12:13]
	ds_load_b128 v[2:5], v1 offset:1520
	s_waitcnt vmcnt(2) lgkmcnt(1)
	v_mul_f64 v[32:33], v[6:7], v[16:17]
	v_mul_f64 v[16:17], v[8:9], v[16:17]
	v_add_f64 v[12:13], v[26:27], v[34:35]
	v_add_f64 v[26:27], v[28:29], v[30:31]
	s_waitcnt vmcnt(1) lgkmcnt(0)
	v_mul_f64 v[28:29], v[2:3], v[20:21]
	v_mul_f64 v[20:21], v[4:5], v[20:21]
	v_fma_f64 v[8:9], v[8:9], v[14:15], v[32:33]
	v_fma_f64 v[6:7], v[6:7], v[14:15], -v[16:17]
	v_add_f64 v[10:11], v[12:13], v[10:11]
	v_add_f64 v[12:13], v[26:27], v[36:37]
	v_fma_f64 v[4:5], v[4:5], v[18:19], v[28:29]
	v_fma_f64 v[2:3], v[2:3], v[18:19], -v[20:21]
	s_delay_alu instid0(VALU_DEP_4) | instskip(NEXT) | instid1(VALU_DEP_4)
	v_add_f64 v[6:7], v[10:11], v[6:7]
	v_add_f64 v[8:9], v[12:13], v[8:9]
	s_delay_alu instid0(VALU_DEP_2) | instskip(NEXT) | instid1(VALU_DEP_2)
	v_add_f64 v[2:3], v[6:7], v[2:3]
	v_add_f64 v[4:5], v[8:9], v[4:5]
	s_waitcnt vmcnt(0)
	s_delay_alu instid0(VALU_DEP_2) | instskip(NEXT) | instid1(VALU_DEP_2)
	v_add_f64 v[2:3], v[22:23], -v[2:3]
	v_add_f64 v[4:5], v[24:25], -v[4:5]
	scratch_store_b128 off, v[2:5], off offset:192
	v_cmpx_lt_u32_e32 11, v138
	s_cbranch_execz .LBB47_279
; %bb.278:
	scratch_load_b128 v[5:8], v175, off
	v_mov_b32_e32 v2, v1
	v_mov_b32_e32 v3, v1
	;; [unrolled: 1-line block ×3, first 2 shown]
	scratch_store_b128 off, v[1:4], off offset:176
	s_waitcnt vmcnt(0)
	ds_store_b128 v186, v[5:8]
.LBB47_279:
	s_or_b32 exec_lo, exec_lo, s2
	s_waitcnt lgkmcnt(0)
	s_waitcnt_vscnt null, 0x0
	s_barrier
	buffer_gl0_inv
	s_clause 0x7
	scratch_load_b128 v[2:5], off, off offset:192
	scratch_load_b128 v[6:9], off, off offset:208
	;; [unrolled: 1-line block ×8, first 2 shown]
	ds_load_b128 v[38:41], v1 offset:960
	ds_load_b128 v[187:190], v1 offset:976
	s_clause 0x1
	scratch_load_b128 v[34:37], off, off offset:320
	scratch_load_b128 v[191:194], off, off offset:336
	s_mov_b32 s2, exec_lo
	s_waitcnt vmcnt(9) lgkmcnt(1)
	v_mul_f64 v[195:196], v[40:41], v[4:5]
	v_mul_f64 v[4:5], v[38:39], v[4:5]
	s_waitcnt vmcnt(8) lgkmcnt(0)
	v_mul_f64 v[197:198], v[187:188], v[8:9]
	v_mul_f64 v[8:9], v[189:190], v[8:9]
	s_delay_alu instid0(VALU_DEP_4) | instskip(NEXT) | instid1(VALU_DEP_4)
	v_fma_f64 v[195:196], v[38:39], v[2:3], -v[195:196]
	v_fma_f64 v[199:200], v[40:41], v[2:3], v[4:5]
	ds_load_b128 v[2:5], v1 offset:992
	scratch_load_b128 v[38:41], off, off offset:352
	v_fma_f64 v[197:198], v[189:190], v[6:7], v[197:198]
	v_fma_f64 v[203:204], v[187:188], v[6:7], -v[8:9]
	scratch_load_b128 v[187:190], off, off offset:368
	ds_load_b128 v[6:9], v1 offset:1008
	s_waitcnt vmcnt(9) lgkmcnt(1)
	v_mul_f64 v[201:202], v[2:3], v[12:13]
	v_mul_f64 v[12:13], v[4:5], v[12:13]
	s_waitcnt vmcnt(8) lgkmcnt(0)
	v_mul_f64 v[205:206], v[6:7], v[16:17]
	v_mul_f64 v[16:17], v[8:9], v[16:17]
	v_add_f64 v[195:196], v[195:196], 0
	v_add_f64 v[199:200], v[199:200], 0
	v_fma_f64 v[201:202], v[4:5], v[10:11], v[201:202]
	v_fma_f64 v[207:208], v[2:3], v[10:11], -v[12:13]
	ds_load_b128 v[2:5], v1 offset:1024
	scratch_load_b128 v[10:13], off, off offset:384
	v_add_f64 v[195:196], v[195:196], v[203:204]
	v_add_f64 v[197:198], v[199:200], v[197:198]
	v_fma_f64 v[203:204], v[8:9], v[14:15], v[205:206]
	v_fma_f64 v[205:206], v[6:7], v[14:15], -v[16:17]
	scratch_load_b128 v[14:17], off, off offset:400
	ds_load_b128 v[6:9], v1 offset:1040
	s_waitcnt vmcnt(9) lgkmcnt(1)
	v_mul_f64 v[199:200], v[2:3], v[20:21]
	v_mul_f64 v[20:21], v[4:5], v[20:21]
	v_add_f64 v[195:196], v[195:196], v[207:208]
	v_add_f64 v[197:198], v[197:198], v[201:202]
	s_waitcnt vmcnt(8) lgkmcnt(0)
	v_mul_f64 v[201:202], v[6:7], v[24:25]
	v_mul_f64 v[24:25], v[8:9], v[24:25]
	v_fma_f64 v[199:200], v[4:5], v[18:19], v[199:200]
	v_fma_f64 v[207:208], v[2:3], v[18:19], -v[20:21]
	ds_load_b128 v[2:5], v1 offset:1056
	scratch_load_b128 v[18:21], off, off offset:416
	v_add_f64 v[195:196], v[195:196], v[205:206]
	v_add_f64 v[197:198], v[197:198], v[203:204]
	v_fma_f64 v[201:202], v[8:9], v[22:23], v[201:202]
	v_fma_f64 v[205:206], v[6:7], v[22:23], -v[24:25]
	scratch_load_b128 v[22:25], off, off offset:432
	ds_load_b128 v[6:9], v1 offset:1072
	s_waitcnt vmcnt(9) lgkmcnt(1)
	v_mul_f64 v[203:204], v[2:3], v[28:29]
	v_mul_f64 v[28:29], v[4:5], v[28:29]
	v_add_f64 v[195:196], v[195:196], v[207:208]
	v_add_f64 v[197:198], v[197:198], v[199:200]
	s_waitcnt vmcnt(8) lgkmcnt(0)
	v_mul_f64 v[199:200], v[6:7], v[32:33]
	v_mul_f64 v[32:33], v[8:9], v[32:33]
	;; [unrolled: 18-line block ×8, first 2 shown]
	v_fma_f64 v[203:204], v[4:5], v[34:35], v[203:204]
	v_fma_f64 v[207:208], v[2:3], v[34:35], -v[36:37]
	ds_load_b128 v[2:5], v1 offset:1280
	scratch_load_b128 v[34:37], off, off offset:640
	v_add_f64 v[195:196], v[195:196], v[205:206]
	v_add_f64 v[197:198], v[197:198], v[201:202]
	v_fma_f64 v[199:200], v[8:9], v[191:192], v[199:200]
	v_fma_f64 v[205:206], v[6:7], v[191:192], -v[193:194]
	ds_load_b128 v[6:9], v1 offset:1296
	s_waitcnt vmcnt(8) lgkmcnt(1)
	v_mul_f64 v[201:202], v[2:3], v[40:41]
	v_mul_f64 v[40:41], v[4:5], v[40:41]
	scratch_load_b128 v[191:194], off, off offset:656
	v_add_f64 v[195:196], v[195:196], v[207:208]
	v_add_f64 v[197:198], v[197:198], v[203:204]
	s_waitcnt vmcnt(8) lgkmcnt(0)
	v_mul_f64 v[203:204], v[6:7], v[189:190]
	v_mul_f64 v[189:190], v[8:9], v[189:190]
	v_fma_f64 v[201:202], v[4:5], v[38:39], v[201:202]
	v_fma_f64 v[207:208], v[2:3], v[38:39], -v[40:41]
	ds_load_b128 v[2:5], v1 offset:1312
	scratch_load_b128 v[38:41], off, off offset:672
	v_add_f64 v[195:196], v[195:196], v[205:206]
	v_add_f64 v[197:198], v[197:198], v[199:200]
	v_fma_f64 v[203:204], v[8:9], v[187:188], v[203:204]
	v_fma_f64 v[205:206], v[6:7], v[187:188], -v[189:190]
	ds_load_b128 v[6:9], v1 offset:1328
	s_waitcnt vmcnt(8) lgkmcnt(1)
	v_mul_f64 v[199:200], v[2:3], v[12:13]
	v_mul_f64 v[12:13], v[4:5], v[12:13]
	scratch_load_b128 v[187:190], off, off offset:688
	v_add_f64 v[195:196], v[195:196], v[207:208]
	v_add_f64 v[197:198], v[197:198], v[201:202]
	s_waitcnt vmcnt(8) lgkmcnt(0)
	v_mul_f64 v[201:202], v[6:7], v[16:17]
	v_mul_f64 v[16:17], v[8:9], v[16:17]
	v_fma_f64 v[199:200], v[4:5], v[10:11], v[199:200]
	v_fma_f64 v[207:208], v[2:3], v[10:11], -v[12:13]
	scratch_load_b128 v[10:13], off, off offset:704
	ds_load_b128 v[2:5], v1 offset:1344
	v_add_f64 v[195:196], v[195:196], v[205:206]
	v_add_f64 v[197:198], v[197:198], v[203:204]
	v_fma_f64 v[201:202], v[8:9], v[14:15], v[201:202]
	v_fma_f64 v[205:206], v[6:7], v[14:15], -v[16:17]
	ds_load_b128 v[6:9], v1 offset:1360
	s_waitcnt vmcnt(8) lgkmcnt(1)
	v_mul_f64 v[203:204], v[2:3], v[20:21]
	v_mul_f64 v[20:21], v[4:5], v[20:21]
	scratch_load_b128 v[14:17], off, off offset:720
	v_add_f64 v[195:196], v[195:196], v[207:208]
	v_add_f64 v[197:198], v[197:198], v[199:200]
	s_waitcnt vmcnt(8) lgkmcnt(0)
	v_mul_f64 v[199:200], v[6:7], v[24:25]
	v_mul_f64 v[24:25], v[8:9], v[24:25]
	v_fma_f64 v[203:204], v[4:5], v[18:19], v[203:204]
	v_fma_f64 v[207:208], v[2:3], v[18:19], -v[20:21]
	scratch_load_b128 v[18:21], off, off offset:736
	ds_load_b128 v[2:5], v1 offset:1376
	v_add_f64 v[195:196], v[195:196], v[205:206]
	v_add_f64 v[197:198], v[197:198], v[201:202]
	v_fma_f64 v[199:200], v[8:9], v[22:23], v[199:200]
	v_fma_f64 v[205:206], v[6:7], v[22:23], -v[24:25]
	ds_load_b128 v[6:9], v1 offset:1392
	s_waitcnt vmcnt(8) lgkmcnt(1)
	v_mul_f64 v[201:202], v[2:3], v[28:29]
	v_mul_f64 v[28:29], v[4:5], v[28:29]
	scratch_load_b128 v[22:25], off, off offset:752
	v_add_f64 v[195:196], v[195:196], v[207:208]
	v_add_f64 v[197:198], v[197:198], v[203:204]
	s_waitcnt vmcnt(8) lgkmcnt(0)
	v_mul_f64 v[203:204], v[6:7], v[32:33]
	v_mul_f64 v[32:33], v[8:9], v[32:33]
	v_fma_f64 v[201:202], v[4:5], v[26:27], v[201:202]
	v_fma_f64 v[26:27], v[2:3], v[26:27], -v[28:29]
	ds_load_b128 v[2:5], v1 offset:1408
	v_add_f64 v[28:29], v[195:196], v[205:206]
	v_add_f64 v[195:196], v[197:198], v[199:200]
	v_fma_f64 v[199:200], v[8:9], v[30:31], v[203:204]
	v_fma_f64 v[30:31], v[6:7], v[30:31], -v[32:33]
	ds_load_b128 v[6:9], v1 offset:1424
	s_waitcnt vmcnt(7) lgkmcnt(1)
	v_mul_f64 v[197:198], v[2:3], v[36:37]
	v_mul_f64 v[36:37], v[4:5], v[36:37]
	v_add_f64 v[26:27], v[28:29], v[26:27]
	v_add_f64 v[28:29], v[195:196], v[201:202]
	s_delay_alu instid0(VALU_DEP_4) | instskip(NEXT) | instid1(VALU_DEP_4)
	v_fma_f64 v[195:196], v[4:5], v[34:35], v[197:198]
	v_fma_f64 v[34:35], v[2:3], v[34:35], -v[36:37]
	ds_load_b128 v[2:5], v1 offset:1440
	v_add_f64 v[30:31], v[26:27], v[30:31]
	v_add_f64 v[36:37], v[28:29], v[199:200]
	scratch_load_b128 v[26:29], off, off offset:176
	s_waitcnt vmcnt(7) lgkmcnt(1)
	v_mul_f64 v[32:33], v[6:7], v[193:194]
	v_mul_f64 v[193:194], v[8:9], v[193:194]
	v_add_f64 v[30:31], v[30:31], v[34:35]
	v_add_f64 v[34:35], v[36:37], v[195:196]
	s_delay_alu instid0(VALU_DEP_4) | instskip(NEXT) | instid1(VALU_DEP_4)
	v_fma_f64 v[32:33], v[8:9], v[191:192], v[32:33]
	v_fma_f64 v[191:192], v[6:7], v[191:192], -v[193:194]
	ds_load_b128 v[6:9], v1 offset:1456
	s_waitcnt vmcnt(6) lgkmcnt(1)
	v_mul_f64 v[197:198], v[2:3], v[40:41]
	v_mul_f64 v[40:41], v[4:5], v[40:41]
	s_waitcnt vmcnt(5) lgkmcnt(0)
	v_mul_f64 v[36:37], v[6:7], v[189:190]
	v_mul_f64 v[189:190], v[8:9], v[189:190]
	v_add_f64 v[32:33], v[34:35], v[32:33]
	v_add_f64 v[30:31], v[30:31], v[191:192]
	v_fma_f64 v[193:194], v[4:5], v[38:39], v[197:198]
	v_fma_f64 v[38:39], v[2:3], v[38:39], -v[40:41]
	ds_load_b128 v[2:5], v1 offset:1472
	v_fma_f64 v[36:37], v[8:9], v[187:188], v[36:37]
	v_fma_f64 v[40:41], v[6:7], v[187:188], -v[189:190]
	ds_load_b128 v[6:9], v1 offset:1488
	s_waitcnt vmcnt(4) lgkmcnt(1)
	v_mul_f64 v[34:35], v[2:3], v[12:13]
	v_mul_f64 v[12:13], v[4:5], v[12:13]
	v_add_f64 v[32:33], v[32:33], v[193:194]
	v_add_f64 v[30:31], v[30:31], v[38:39]
	s_waitcnt vmcnt(3) lgkmcnt(0)
	v_mul_f64 v[38:39], v[6:7], v[16:17]
	v_mul_f64 v[16:17], v[8:9], v[16:17]
	v_fma_f64 v[34:35], v[4:5], v[10:11], v[34:35]
	v_fma_f64 v[10:11], v[2:3], v[10:11], -v[12:13]
	ds_load_b128 v[2:5], v1 offset:1504
	v_add_f64 v[12:13], v[30:31], v[40:41]
	v_add_f64 v[30:31], v[32:33], v[36:37]
	v_fma_f64 v[36:37], v[8:9], v[14:15], v[38:39]
	v_fma_f64 v[14:15], v[6:7], v[14:15], -v[16:17]
	ds_load_b128 v[6:9], v1 offset:1520
	s_waitcnt vmcnt(2) lgkmcnt(1)
	v_mul_f64 v[32:33], v[2:3], v[20:21]
	v_mul_f64 v[20:21], v[4:5], v[20:21]
	s_waitcnt vmcnt(1) lgkmcnt(0)
	v_mul_f64 v[16:17], v[6:7], v[24:25]
	v_mul_f64 v[24:25], v[8:9], v[24:25]
	v_add_f64 v[10:11], v[12:13], v[10:11]
	v_add_f64 v[12:13], v[30:31], v[34:35]
	v_fma_f64 v[4:5], v[4:5], v[18:19], v[32:33]
	v_fma_f64 v[1:2], v[2:3], v[18:19], -v[20:21]
	v_fma_f64 v[8:9], v[8:9], v[22:23], v[16:17]
	v_fma_f64 v[6:7], v[6:7], v[22:23], -v[24:25]
	v_add_f64 v[10:11], v[10:11], v[14:15]
	v_add_f64 v[12:13], v[12:13], v[36:37]
	s_delay_alu instid0(VALU_DEP_2) | instskip(NEXT) | instid1(VALU_DEP_2)
	v_add_f64 v[1:2], v[10:11], v[1:2]
	v_add_f64 v[3:4], v[12:13], v[4:5]
	s_delay_alu instid0(VALU_DEP_2) | instskip(NEXT) | instid1(VALU_DEP_2)
	v_add_f64 v[1:2], v[1:2], v[6:7]
	v_add_f64 v[3:4], v[3:4], v[8:9]
	s_waitcnt vmcnt(0)
	s_delay_alu instid0(VALU_DEP_2) | instskip(NEXT) | instid1(VALU_DEP_2)
	v_add_f64 v[1:2], v[26:27], -v[1:2]
	v_add_f64 v[3:4], v[28:29], -v[3:4]
	scratch_store_b128 off, v[1:4], off offset:176
	v_cmpx_lt_u32_e32 10, v138
	s_cbranch_execz .LBB47_281
; %bb.280:
	scratch_load_b128 v[1:4], v176, off
	v_mov_b32_e32 v5, 0
	s_delay_alu instid0(VALU_DEP_1)
	v_mov_b32_e32 v6, v5
	v_mov_b32_e32 v7, v5
	;; [unrolled: 1-line block ×3, first 2 shown]
	scratch_store_b128 off, v[5:8], off offset:160
	s_waitcnt vmcnt(0)
	ds_store_b128 v186, v[1:4]
.LBB47_281:
	s_or_b32 exec_lo, exec_lo, s2
	s_waitcnt lgkmcnt(0)
	s_waitcnt_vscnt null, 0x0
	s_barrier
	buffer_gl0_inv
	s_clause 0x7
	scratch_load_b128 v[2:5], off, off offset:176
	scratch_load_b128 v[6:9], off, off offset:192
	;; [unrolled: 1-line block ×8, first 2 shown]
	v_mov_b32_e32 v1, 0
	s_clause 0x1
	scratch_load_b128 v[34:37], off, off offset:304
	scratch_load_b128 v[191:194], off, off offset:320
	s_mov_b32 s2, exec_lo
	ds_load_b128 v[38:41], v1 offset:944
	ds_load_b128 v[187:190], v1 offset:960
	s_waitcnt vmcnt(9) lgkmcnt(1)
	v_mul_f64 v[195:196], v[40:41], v[4:5]
	v_mul_f64 v[4:5], v[38:39], v[4:5]
	s_waitcnt vmcnt(8) lgkmcnt(0)
	v_mul_f64 v[197:198], v[187:188], v[8:9]
	v_mul_f64 v[8:9], v[189:190], v[8:9]
	s_delay_alu instid0(VALU_DEP_4) | instskip(NEXT) | instid1(VALU_DEP_4)
	v_fma_f64 v[195:196], v[38:39], v[2:3], -v[195:196]
	v_fma_f64 v[199:200], v[40:41], v[2:3], v[4:5]
	ds_load_b128 v[2:5], v1 offset:976
	scratch_load_b128 v[38:41], off, off offset:336
	v_fma_f64 v[197:198], v[189:190], v[6:7], v[197:198]
	v_fma_f64 v[203:204], v[187:188], v[6:7], -v[8:9]
	scratch_load_b128 v[187:190], off, off offset:352
	ds_load_b128 v[6:9], v1 offset:992
	s_waitcnt vmcnt(9) lgkmcnt(1)
	v_mul_f64 v[201:202], v[2:3], v[12:13]
	v_mul_f64 v[12:13], v[4:5], v[12:13]
	s_waitcnt vmcnt(8) lgkmcnt(0)
	v_mul_f64 v[205:206], v[6:7], v[16:17]
	v_mul_f64 v[16:17], v[8:9], v[16:17]
	v_add_f64 v[195:196], v[195:196], 0
	v_add_f64 v[199:200], v[199:200], 0
	v_fma_f64 v[201:202], v[4:5], v[10:11], v[201:202]
	v_fma_f64 v[207:208], v[2:3], v[10:11], -v[12:13]
	ds_load_b128 v[2:5], v1 offset:1008
	scratch_load_b128 v[10:13], off, off offset:368
	v_add_f64 v[195:196], v[195:196], v[203:204]
	v_add_f64 v[197:198], v[199:200], v[197:198]
	v_fma_f64 v[203:204], v[8:9], v[14:15], v[205:206]
	v_fma_f64 v[205:206], v[6:7], v[14:15], -v[16:17]
	scratch_load_b128 v[14:17], off, off offset:384
	ds_load_b128 v[6:9], v1 offset:1024
	s_waitcnt vmcnt(9) lgkmcnt(1)
	v_mul_f64 v[199:200], v[2:3], v[20:21]
	v_mul_f64 v[20:21], v[4:5], v[20:21]
	v_add_f64 v[195:196], v[195:196], v[207:208]
	v_add_f64 v[197:198], v[197:198], v[201:202]
	s_waitcnt vmcnt(8) lgkmcnt(0)
	v_mul_f64 v[201:202], v[6:7], v[24:25]
	v_mul_f64 v[24:25], v[8:9], v[24:25]
	v_fma_f64 v[199:200], v[4:5], v[18:19], v[199:200]
	v_fma_f64 v[207:208], v[2:3], v[18:19], -v[20:21]
	ds_load_b128 v[2:5], v1 offset:1040
	scratch_load_b128 v[18:21], off, off offset:400
	v_add_f64 v[195:196], v[195:196], v[205:206]
	v_add_f64 v[197:198], v[197:198], v[203:204]
	v_fma_f64 v[201:202], v[8:9], v[22:23], v[201:202]
	v_fma_f64 v[205:206], v[6:7], v[22:23], -v[24:25]
	scratch_load_b128 v[22:25], off, off offset:416
	ds_load_b128 v[6:9], v1 offset:1056
	s_waitcnt vmcnt(9) lgkmcnt(1)
	v_mul_f64 v[203:204], v[2:3], v[28:29]
	v_mul_f64 v[28:29], v[4:5], v[28:29]
	v_add_f64 v[195:196], v[195:196], v[207:208]
	v_add_f64 v[197:198], v[197:198], v[199:200]
	s_waitcnt vmcnt(8) lgkmcnt(0)
	v_mul_f64 v[199:200], v[6:7], v[32:33]
	v_mul_f64 v[32:33], v[8:9], v[32:33]
	v_fma_f64 v[203:204], v[4:5], v[26:27], v[203:204]
	v_fma_f64 v[207:208], v[2:3], v[26:27], -v[28:29]
	ds_load_b128 v[2:5], v1 offset:1072
	scratch_load_b128 v[26:29], off, off offset:432
	v_add_f64 v[195:196], v[195:196], v[205:206]
	v_add_f64 v[197:198], v[197:198], v[201:202]
	v_fma_f64 v[199:200], v[8:9], v[30:31], v[199:200]
	v_fma_f64 v[205:206], v[6:7], v[30:31], -v[32:33]
	scratch_load_b128 v[30:33], off, off offset:448
	ds_load_b128 v[6:9], v1 offset:1088
	s_waitcnt vmcnt(9) lgkmcnt(1)
	v_mul_f64 v[201:202], v[2:3], v[36:37]
	v_mul_f64 v[36:37], v[4:5], v[36:37]
	v_add_f64 v[195:196], v[195:196], v[207:208]
	v_add_f64 v[197:198], v[197:198], v[203:204]
	s_waitcnt vmcnt(8) lgkmcnt(0)
	v_mul_f64 v[203:204], v[6:7], v[193:194]
	v_mul_f64 v[193:194], v[8:9], v[193:194]
	v_fma_f64 v[201:202], v[4:5], v[34:35], v[201:202]
	v_fma_f64 v[207:208], v[2:3], v[34:35], -v[36:37]
	ds_load_b128 v[2:5], v1 offset:1104
	scratch_load_b128 v[34:37], off, off offset:464
	v_add_f64 v[195:196], v[195:196], v[205:206]
	v_add_f64 v[197:198], v[197:198], v[199:200]
	v_fma_f64 v[203:204], v[8:9], v[191:192], v[203:204]
	v_fma_f64 v[205:206], v[6:7], v[191:192], -v[193:194]
	scratch_load_b128 v[191:194], off, off offset:480
	ds_load_b128 v[6:9], v1 offset:1120
	s_waitcnt vmcnt(9) lgkmcnt(1)
	v_mul_f64 v[199:200], v[2:3], v[40:41]
	v_mul_f64 v[40:41], v[4:5], v[40:41]
	v_add_f64 v[195:196], v[195:196], v[207:208]
	v_add_f64 v[197:198], v[197:198], v[201:202]
	s_waitcnt vmcnt(8) lgkmcnt(0)
	v_mul_f64 v[201:202], v[6:7], v[189:190]
	v_mul_f64 v[189:190], v[8:9], v[189:190]
	v_fma_f64 v[199:200], v[4:5], v[38:39], v[199:200]
	v_fma_f64 v[207:208], v[2:3], v[38:39], -v[40:41]
	ds_load_b128 v[2:5], v1 offset:1136
	scratch_load_b128 v[38:41], off, off offset:496
	v_add_f64 v[195:196], v[195:196], v[205:206]
	v_add_f64 v[197:198], v[197:198], v[203:204]
	v_fma_f64 v[201:202], v[8:9], v[187:188], v[201:202]
	v_fma_f64 v[205:206], v[6:7], v[187:188], -v[189:190]
	scratch_load_b128 v[187:190], off, off offset:512
	ds_load_b128 v[6:9], v1 offset:1152
	s_waitcnt vmcnt(9) lgkmcnt(1)
	v_mul_f64 v[203:204], v[2:3], v[12:13]
	v_mul_f64 v[12:13], v[4:5], v[12:13]
	v_add_f64 v[195:196], v[195:196], v[207:208]
	v_add_f64 v[197:198], v[197:198], v[199:200]
	s_waitcnt vmcnt(8) lgkmcnt(0)
	v_mul_f64 v[199:200], v[6:7], v[16:17]
	v_mul_f64 v[16:17], v[8:9], v[16:17]
	v_fma_f64 v[203:204], v[4:5], v[10:11], v[203:204]
	v_fma_f64 v[207:208], v[2:3], v[10:11], -v[12:13]
	ds_load_b128 v[2:5], v1 offset:1168
	scratch_load_b128 v[10:13], off, off offset:528
	v_add_f64 v[195:196], v[195:196], v[205:206]
	v_add_f64 v[197:198], v[197:198], v[201:202]
	v_fma_f64 v[199:200], v[8:9], v[14:15], v[199:200]
	v_fma_f64 v[205:206], v[6:7], v[14:15], -v[16:17]
	scratch_load_b128 v[14:17], off, off offset:544
	ds_load_b128 v[6:9], v1 offset:1184
	s_waitcnt vmcnt(9) lgkmcnt(1)
	v_mul_f64 v[201:202], v[2:3], v[20:21]
	v_mul_f64 v[20:21], v[4:5], v[20:21]
	v_add_f64 v[195:196], v[195:196], v[207:208]
	v_add_f64 v[197:198], v[197:198], v[203:204]
	s_waitcnt vmcnt(8) lgkmcnt(0)
	v_mul_f64 v[203:204], v[6:7], v[24:25]
	v_mul_f64 v[24:25], v[8:9], v[24:25]
	v_fma_f64 v[201:202], v[4:5], v[18:19], v[201:202]
	v_fma_f64 v[207:208], v[2:3], v[18:19], -v[20:21]
	ds_load_b128 v[2:5], v1 offset:1200
	scratch_load_b128 v[18:21], off, off offset:560
	v_add_f64 v[195:196], v[195:196], v[205:206]
	v_add_f64 v[197:198], v[197:198], v[199:200]
	v_fma_f64 v[203:204], v[8:9], v[22:23], v[203:204]
	v_fma_f64 v[205:206], v[6:7], v[22:23], -v[24:25]
	scratch_load_b128 v[22:25], off, off offset:576
	ds_load_b128 v[6:9], v1 offset:1216
	s_waitcnt vmcnt(9) lgkmcnt(1)
	v_mul_f64 v[199:200], v[2:3], v[28:29]
	v_mul_f64 v[28:29], v[4:5], v[28:29]
	v_add_f64 v[195:196], v[195:196], v[207:208]
	v_add_f64 v[197:198], v[197:198], v[201:202]
	s_waitcnt vmcnt(8) lgkmcnt(0)
	v_mul_f64 v[201:202], v[6:7], v[32:33]
	v_mul_f64 v[32:33], v[8:9], v[32:33]
	v_fma_f64 v[199:200], v[4:5], v[26:27], v[199:200]
	v_fma_f64 v[207:208], v[2:3], v[26:27], -v[28:29]
	ds_load_b128 v[2:5], v1 offset:1232
	scratch_load_b128 v[26:29], off, off offset:592
	v_add_f64 v[195:196], v[195:196], v[205:206]
	v_add_f64 v[197:198], v[197:198], v[203:204]
	v_fma_f64 v[201:202], v[8:9], v[30:31], v[201:202]
	v_fma_f64 v[205:206], v[6:7], v[30:31], -v[32:33]
	scratch_load_b128 v[30:33], off, off offset:608
	ds_load_b128 v[6:9], v1 offset:1248
	s_waitcnt vmcnt(9) lgkmcnt(1)
	v_mul_f64 v[203:204], v[2:3], v[36:37]
	v_mul_f64 v[36:37], v[4:5], v[36:37]
	v_add_f64 v[195:196], v[195:196], v[207:208]
	v_add_f64 v[197:198], v[197:198], v[199:200]
	s_waitcnt vmcnt(8) lgkmcnt(0)
	v_mul_f64 v[199:200], v[6:7], v[193:194]
	v_mul_f64 v[193:194], v[8:9], v[193:194]
	v_fma_f64 v[203:204], v[4:5], v[34:35], v[203:204]
	v_fma_f64 v[207:208], v[2:3], v[34:35], -v[36:37]
	ds_load_b128 v[2:5], v1 offset:1264
	scratch_load_b128 v[34:37], off, off offset:624
	v_add_f64 v[195:196], v[195:196], v[205:206]
	v_add_f64 v[197:198], v[197:198], v[201:202]
	v_fma_f64 v[199:200], v[8:9], v[191:192], v[199:200]
	v_fma_f64 v[205:206], v[6:7], v[191:192], -v[193:194]
	scratch_load_b128 v[191:194], off, off offset:640
	ds_load_b128 v[6:9], v1 offset:1280
	s_waitcnt vmcnt(9) lgkmcnt(1)
	v_mul_f64 v[201:202], v[2:3], v[40:41]
	v_mul_f64 v[40:41], v[4:5], v[40:41]
	v_add_f64 v[195:196], v[195:196], v[207:208]
	v_add_f64 v[197:198], v[197:198], v[203:204]
	s_waitcnt vmcnt(8) lgkmcnt(0)
	v_mul_f64 v[203:204], v[6:7], v[189:190]
	v_mul_f64 v[189:190], v[8:9], v[189:190]
	v_fma_f64 v[201:202], v[4:5], v[38:39], v[201:202]
	v_fma_f64 v[207:208], v[2:3], v[38:39], -v[40:41]
	ds_load_b128 v[2:5], v1 offset:1296
	scratch_load_b128 v[38:41], off, off offset:656
	v_add_f64 v[195:196], v[195:196], v[205:206]
	v_add_f64 v[197:198], v[197:198], v[199:200]
	v_fma_f64 v[203:204], v[8:9], v[187:188], v[203:204]
	v_fma_f64 v[205:206], v[6:7], v[187:188], -v[189:190]
	ds_load_b128 v[6:9], v1 offset:1312
	s_waitcnt vmcnt(8) lgkmcnt(1)
	v_mul_f64 v[199:200], v[2:3], v[12:13]
	v_mul_f64 v[12:13], v[4:5], v[12:13]
	scratch_load_b128 v[187:190], off, off offset:672
	v_add_f64 v[195:196], v[195:196], v[207:208]
	v_add_f64 v[197:198], v[197:198], v[201:202]
	s_waitcnt vmcnt(8) lgkmcnt(0)
	v_mul_f64 v[201:202], v[6:7], v[16:17]
	v_mul_f64 v[16:17], v[8:9], v[16:17]
	v_fma_f64 v[199:200], v[4:5], v[10:11], v[199:200]
	v_fma_f64 v[207:208], v[2:3], v[10:11], -v[12:13]
	scratch_load_b128 v[10:13], off, off offset:688
	ds_load_b128 v[2:5], v1 offset:1328
	v_add_f64 v[195:196], v[195:196], v[205:206]
	v_add_f64 v[197:198], v[197:198], v[203:204]
	v_fma_f64 v[201:202], v[8:9], v[14:15], v[201:202]
	v_fma_f64 v[205:206], v[6:7], v[14:15], -v[16:17]
	ds_load_b128 v[6:9], v1 offset:1344
	s_waitcnt vmcnt(8) lgkmcnt(1)
	v_mul_f64 v[203:204], v[2:3], v[20:21]
	v_mul_f64 v[20:21], v[4:5], v[20:21]
	scratch_load_b128 v[14:17], off, off offset:704
	v_add_f64 v[195:196], v[195:196], v[207:208]
	v_add_f64 v[197:198], v[197:198], v[199:200]
	s_waitcnt vmcnt(8) lgkmcnt(0)
	v_mul_f64 v[199:200], v[6:7], v[24:25]
	v_mul_f64 v[24:25], v[8:9], v[24:25]
	v_fma_f64 v[203:204], v[4:5], v[18:19], v[203:204]
	v_fma_f64 v[207:208], v[2:3], v[18:19], -v[20:21]
	scratch_load_b128 v[18:21], off, off offset:720
	ds_load_b128 v[2:5], v1 offset:1360
	;; [unrolled: 18-line block ×3, first 2 shown]
	v_add_f64 v[195:196], v[195:196], v[205:206]
	v_add_f64 v[197:198], v[197:198], v[199:200]
	v_fma_f64 v[203:204], v[8:9], v[30:31], v[203:204]
	v_fma_f64 v[30:31], v[6:7], v[30:31], -v[32:33]
	ds_load_b128 v[6:9], v1 offset:1408
	s_waitcnt vmcnt(8) lgkmcnt(1)
	v_mul_f64 v[199:200], v[2:3], v[36:37]
	v_mul_f64 v[36:37], v[4:5], v[36:37]
	v_add_f64 v[32:33], v[195:196], v[207:208]
	v_add_f64 v[195:196], v[197:198], v[201:202]
	s_waitcnt vmcnt(7) lgkmcnt(0)
	v_mul_f64 v[197:198], v[6:7], v[193:194]
	v_mul_f64 v[193:194], v[8:9], v[193:194]
	v_fma_f64 v[199:200], v[4:5], v[34:35], v[199:200]
	v_fma_f64 v[34:35], v[2:3], v[34:35], -v[36:37]
	ds_load_b128 v[2:5], v1 offset:1424
	v_add_f64 v[30:31], v[32:33], v[30:31]
	v_add_f64 v[32:33], v[195:196], v[203:204]
	v_fma_f64 v[195:196], v[8:9], v[191:192], v[197:198]
	v_fma_f64 v[191:192], v[6:7], v[191:192], -v[193:194]
	ds_load_b128 v[6:9], v1 offset:1440
	s_waitcnt vmcnt(5) lgkmcnt(0)
	v_mul_f64 v[197:198], v[6:7], v[189:190]
	v_mul_f64 v[189:190], v[8:9], v[189:190]
	v_add_f64 v[34:35], v[30:31], v[34:35]
	v_add_f64 v[193:194], v[32:33], v[199:200]
	scratch_load_b128 v[30:33], off, off offset:160
	v_mul_f64 v[36:37], v[2:3], v[40:41]
	v_mul_f64 v[40:41], v[4:5], v[40:41]
	v_add_f64 v[34:35], v[34:35], v[191:192]
	s_delay_alu instid0(VALU_DEP_3) | instskip(NEXT) | instid1(VALU_DEP_3)
	v_fma_f64 v[36:37], v[4:5], v[38:39], v[36:37]
	v_fma_f64 v[38:39], v[2:3], v[38:39], -v[40:41]
	v_add_f64 v[40:41], v[193:194], v[195:196]
	ds_load_b128 v[2:5], v1 offset:1456
	v_fma_f64 v[193:194], v[8:9], v[187:188], v[197:198]
	v_fma_f64 v[187:188], v[6:7], v[187:188], -v[189:190]
	ds_load_b128 v[6:9], v1 offset:1472
	s_waitcnt vmcnt(5) lgkmcnt(1)
	v_mul_f64 v[191:192], v[2:3], v[12:13]
	v_mul_f64 v[12:13], v[4:5], v[12:13]
	v_add_f64 v[34:35], v[34:35], v[38:39]
	v_add_f64 v[36:37], v[40:41], v[36:37]
	s_waitcnt vmcnt(4) lgkmcnt(0)
	v_mul_f64 v[38:39], v[6:7], v[16:17]
	v_mul_f64 v[16:17], v[8:9], v[16:17]
	v_fma_f64 v[40:41], v[4:5], v[10:11], v[191:192]
	v_fma_f64 v[10:11], v[2:3], v[10:11], -v[12:13]
	ds_load_b128 v[2:5], v1 offset:1488
	v_add_f64 v[12:13], v[34:35], v[187:188]
	v_add_f64 v[34:35], v[36:37], v[193:194]
	v_fma_f64 v[38:39], v[8:9], v[14:15], v[38:39]
	v_fma_f64 v[14:15], v[6:7], v[14:15], -v[16:17]
	ds_load_b128 v[6:9], v1 offset:1504
	s_waitcnt vmcnt(3) lgkmcnt(1)
	v_mul_f64 v[36:37], v[2:3], v[20:21]
	v_mul_f64 v[20:21], v[4:5], v[20:21]
	s_waitcnt vmcnt(2) lgkmcnt(0)
	v_mul_f64 v[16:17], v[6:7], v[24:25]
	v_mul_f64 v[24:25], v[8:9], v[24:25]
	v_add_f64 v[10:11], v[12:13], v[10:11]
	v_add_f64 v[12:13], v[34:35], v[40:41]
	v_fma_f64 v[34:35], v[4:5], v[18:19], v[36:37]
	v_fma_f64 v[18:19], v[2:3], v[18:19], -v[20:21]
	ds_load_b128 v[2:5], v1 offset:1520
	v_fma_f64 v[8:9], v[8:9], v[22:23], v[16:17]
	v_fma_f64 v[6:7], v[6:7], v[22:23], -v[24:25]
	s_waitcnt vmcnt(1) lgkmcnt(0)
	v_mul_f64 v[20:21], v[4:5], v[28:29]
	v_add_f64 v[10:11], v[10:11], v[14:15]
	v_add_f64 v[12:13], v[12:13], v[38:39]
	v_mul_f64 v[14:15], v[2:3], v[28:29]
	s_delay_alu instid0(VALU_DEP_4) | instskip(NEXT) | instid1(VALU_DEP_4)
	v_fma_f64 v[2:3], v[2:3], v[26:27], -v[20:21]
	v_add_f64 v[10:11], v[10:11], v[18:19]
	s_delay_alu instid0(VALU_DEP_4) | instskip(NEXT) | instid1(VALU_DEP_4)
	v_add_f64 v[12:13], v[12:13], v[34:35]
	v_fma_f64 v[4:5], v[4:5], v[26:27], v[14:15]
	s_delay_alu instid0(VALU_DEP_3) | instskip(NEXT) | instid1(VALU_DEP_3)
	v_add_f64 v[6:7], v[10:11], v[6:7]
	v_add_f64 v[8:9], v[12:13], v[8:9]
	s_delay_alu instid0(VALU_DEP_2) | instskip(NEXT) | instid1(VALU_DEP_2)
	v_add_f64 v[2:3], v[6:7], v[2:3]
	v_add_f64 v[4:5], v[8:9], v[4:5]
	s_waitcnt vmcnt(0)
	s_delay_alu instid0(VALU_DEP_2) | instskip(NEXT) | instid1(VALU_DEP_2)
	v_add_f64 v[2:3], v[30:31], -v[2:3]
	v_add_f64 v[4:5], v[32:33], -v[4:5]
	scratch_store_b128 off, v[2:5], off offset:160
	v_cmpx_lt_u32_e32 9, v138
	s_cbranch_execz .LBB47_283
; %bb.282:
	scratch_load_b128 v[5:8], v177, off
	v_mov_b32_e32 v2, v1
	v_mov_b32_e32 v3, v1
	;; [unrolled: 1-line block ×3, first 2 shown]
	scratch_store_b128 off, v[1:4], off offset:144
	s_waitcnt vmcnt(0)
	ds_store_b128 v186, v[5:8]
.LBB47_283:
	s_or_b32 exec_lo, exec_lo, s2
	s_waitcnt lgkmcnt(0)
	s_waitcnt_vscnt null, 0x0
	s_barrier
	buffer_gl0_inv
	s_clause 0x7
	scratch_load_b128 v[2:5], off, off offset:160
	scratch_load_b128 v[6:9], off, off offset:176
	;; [unrolled: 1-line block ×8, first 2 shown]
	ds_load_b128 v[38:41], v1 offset:928
	ds_load_b128 v[187:190], v1 offset:944
	s_clause 0x1
	scratch_load_b128 v[34:37], off, off offset:288
	scratch_load_b128 v[191:194], off, off offset:304
	s_mov_b32 s2, exec_lo
	s_waitcnt vmcnt(9) lgkmcnt(1)
	v_mul_f64 v[195:196], v[40:41], v[4:5]
	v_mul_f64 v[4:5], v[38:39], v[4:5]
	s_waitcnt vmcnt(8) lgkmcnt(0)
	v_mul_f64 v[197:198], v[187:188], v[8:9]
	v_mul_f64 v[8:9], v[189:190], v[8:9]
	s_delay_alu instid0(VALU_DEP_4) | instskip(NEXT) | instid1(VALU_DEP_4)
	v_fma_f64 v[195:196], v[38:39], v[2:3], -v[195:196]
	v_fma_f64 v[199:200], v[40:41], v[2:3], v[4:5]
	ds_load_b128 v[2:5], v1 offset:960
	scratch_load_b128 v[38:41], off, off offset:320
	v_fma_f64 v[197:198], v[189:190], v[6:7], v[197:198]
	v_fma_f64 v[203:204], v[187:188], v[6:7], -v[8:9]
	scratch_load_b128 v[187:190], off, off offset:336
	ds_load_b128 v[6:9], v1 offset:976
	s_waitcnt vmcnt(9) lgkmcnt(1)
	v_mul_f64 v[201:202], v[2:3], v[12:13]
	v_mul_f64 v[12:13], v[4:5], v[12:13]
	s_waitcnt vmcnt(8) lgkmcnt(0)
	v_mul_f64 v[205:206], v[6:7], v[16:17]
	v_mul_f64 v[16:17], v[8:9], v[16:17]
	v_add_f64 v[195:196], v[195:196], 0
	v_add_f64 v[199:200], v[199:200], 0
	v_fma_f64 v[201:202], v[4:5], v[10:11], v[201:202]
	v_fma_f64 v[207:208], v[2:3], v[10:11], -v[12:13]
	ds_load_b128 v[2:5], v1 offset:992
	scratch_load_b128 v[10:13], off, off offset:352
	v_add_f64 v[195:196], v[195:196], v[203:204]
	v_add_f64 v[197:198], v[199:200], v[197:198]
	v_fma_f64 v[203:204], v[8:9], v[14:15], v[205:206]
	v_fma_f64 v[205:206], v[6:7], v[14:15], -v[16:17]
	scratch_load_b128 v[14:17], off, off offset:368
	ds_load_b128 v[6:9], v1 offset:1008
	s_waitcnt vmcnt(9) lgkmcnt(1)
	v_mul_f64 v[199:200], v[2:3], v[20:21]
	v_mul_f64 v[20:21], v[4:5], v[20:21]
	v_add_f64 v[195:196], v[195:196], v[207:208]
	v_add_f64 v[197:198], v[197:198], v[201:202]
	s_waitcnt vmcnt(8) lgkmcnt(0)
	v_mul_f64 v[201:202], v[6:7], v[24:25]
	v_mul_f64 v[24:25], v[8:9], v[24:25]
	v_fma_f64 v[199:200], v[4:5], v[18:19], v[199:200]
	v_fma_f64 v[207:208], v[2:3], v[18:19], -v[20:21]
	ds_load_b128 v[2:5], v1 offset:1024
	scratch_load_b128 v[18:21], off, off offset:384
	v_add_f64 v[195:196], v[195:196], v[205:206]
	v_add_f64 v[197:198], v[197:198], v[203:204]
	v_fma_f64 v[201:202], v[8:9], v[22:23], v[201:202]
	v_fma_f64 v[205:206], v[6:7], v[22:23], -v[24:25]
	scratch_load_b128 v[22:25], off, off offset:400
	ds_load_b128 v[6:9], v1 offset:1040
	s_waitcnt vmcnt(9) lgkmcnt(1)
	v_mul_f64 v[203:204], v[2:3], v[28:29]
	v_mul_f64 v[28:29], v[4:5], v[28:29]
	v_add_f64 v[195:196], v[195:196], v[207:208]
	v_add_f64 v[197:198], v[197:198], v[199:200]
	s_waitcnt vmcnt(8) lgkmcnt(0)
	v_mul_f64 v[199:200], v[6:7], v[32:33]
	v_mul_f64 v[32:33], v[8:9], v[32:33]
	;; [unrolled: 18-line block ×9, first 2 shown]
	v_fma_f64 v[201:202], v[4:5], v[38:39], v[201:202]
	v_fma_f64 v[207:208], v[2:3], v[38:39], -v[40:41]
	ds_load_b128 v[2:5], v1 offset:1280
	scratch_load_b128 v[38:41], off, off offset:640
	v_add_f64 v[195:196], v[195:196], v[205:206]
	v_add_f64 v[197:198], v[197:198], v[199:200]
	v_fma_f64 v[203:204], v[8:9], v[187:188], v[203:204]
	v_fma_f64 v[205:206], v[6:7], v[187:188], -v[189:190]
	ds_load_b128 v[6:9], v1 offset:1296
	s_waitcnt vmcnt(8) lgkmcnt(1)
	v_mul_f64 v[199:200], v[2:3], v[12:13]
	v_mul_f64 v[12:13], v[4:5], v[12:13]
	scratch_load_b128 v[187:190], off, off offset:656
	v_add_f64 v[195:196], v[195:196], v[207:208]
	v_add_f64 v[197:198], v[197:198], v[201:202]
	s_waitcnt vmcnt(8) lgkmcnt(0)
	v_mul_f64 v[201:202], v[6:7], v[16:17]
	v_mul_f64 v[16:17], v[8:9], v[16:17]
	v_fma_f64 v[199:200], v[4:5], v[10:11], v[199:200]
	v_fma_f64 v[207:208], v[2:3], v[10:11], -v[12:13]
	ds_load_b128 v[2:5], v1 offset:1312
	scratch_load_b128 v[10:13], off, off offset:672
	v_add_f64 v[195:196], v[195:196], v[205:206]
	v_add_f64 v[197:198], v[197:198], v[203:204]
	v_fma_f64 v[201:202], v[8:9], v[14:15], v[201:202]
	v_fma_f64 v[205:206], v[6:7], v[14:15], -v[16:17]
	ds_load_b128 v[6:9], v1 offset:1328
	s_waitcnt vmcnt(8) lgkmcnt(1)
	v_mul_f64 v[203:204], v[2:3], v[20:21]
	v_mul_f64 v[20:21], v[4:5], v[20:21]
	scratch_load_b128 v[14:17], off, off offset:688
	v_add_f64 v[195:196], v[195:196], v[207:208]
	v_add_f64 v[197:198], v[197:198], v[199:200]
	s_waitcnt vmcnt(8) lgkmcnt(0)
	v_mul_f64 v[199:200], v[6:7], v[24:25]
	v_mul_f64 v[24:25], v[8:9], v[24:25]
	v_fma_f64 v[203:204], v[4:5], v[18:19], v[203:204]
	v_fma_f64 v[207:208], v[2:3], v[18:19], -v[20:21]
	scratch_load_b128 v[18:21], off, off offset:704
	ds_load_b128 v[2:5], v1 offset:1344
	v_add_f64 v[195:196], v[195:196], v[205:206]
	v_add_f64 v[197:198], v[197:198], v[201:202]
	v_fma_f64 v[199:200], v[8:9], v[22:23], v[199:200]
	v_fma_f64 v[205:206], v[6:7], v[22:23], -v[24:25]
	ds_load_b128 v[6:9], v1 offset:1360
	s_waitcnt vmcnt(8) lgkmcnt(1)
	v_mul_f64 v[201:202], v[2:3], v[28:29]
	v_mul_f64 v[28:29], v[4:5], v[28:29]
	scratch_load_b128 v[22:25], off, off offset:720
	v_add_f64 v[195:196], v[195:196], v[207:208]
	v_add_f64 v[197:198], v[197:198], v[203:204]
	s_waitcnt vmcnt(8) lgkmcnt(0)
	v_mul_f64 v[203:204], v[6:7], v[32:33]
	v_mul_f64 v[32:33], v[8:9], v[32:33]
	v_fma_f64 v[201:202], v[4:5], v[26:27], v[201:202]
	v_fma_f64 v[207:208], v[2:3], v[26:27], -v[28:29]
	scratch_load_b128 v[26:29], off, off offset:736
	ds_load_b128 v[2:5], v1 offset:1376
	v_add_f64 v[195:196], v[195:196], v[205:206]
	v_add_f64 v[197:198], v[197:198], v[199:200]
	v_fma_f64 v[203:204], v[8:9], v[30:31], v[203:204]
	v_fma_f64 v[205:206], v[6:7], v[30:31], -v[32:33]
	ds_load_b128 v[6:9], v1 offset:1392
	s_waitcnt vmcnt(8) lgkmcnt(1)
	v_mul_f64 v[199:200], v[2:3], v[36:37]
	v_mul_f64 v[36:37], v[4:5], v[36:37]
	scratch_load_b128 v[30:33], off, off offset:752
	v_add_f64 v[195:196], v[195:196], v[207:208]
	v_add_f64 v[197:198], v[197:198], v[201:202]
	s_waitcnt vmcnt(8) lgkmcnt(0)
	v_mul_f64 v[201:202], v[6:7], v[193:194]
	v_mul_f64 v[193:194], v[8:9], v[193:194]
	v_fma_f64 v[199:200], v[4:5], v[34:35], v[199:200]
	v_fma_f64 v[34:35], v[2:3], v[34:35], -v[36:37]
	ds_load_b128 v[2:5], v1 offset:1408
	v_add_f64 v[36:37], v[195:196], v[205:206]
	v_add_f64 v[195:196], v[197:198], v[203:204]
	v_fma_f64 v[201:202], v[8:9], v[191:192], v[201:202]
	v_fma_f64 v[191:192], v[6:7], v[191:192], -v[193:194]
	ds_load_b128 v[6:9], v1 offset:1424
	s_waitcnt vmcnt(7) lgkmcnt(1)
	v_mul_f64 v[197:198], v[2:3], v[40:41]
	v_mul_f64 v[40:41], v[4:5], v[40:41]
	v_add_f64 v[34:35], v[36:37], v[34:35]
	v_add_f64 v[36:37], v[195:196], v[199:200]
	s_delay_alu instid0(VALU_DEP_4) | instskip(NEXT) | instid1(VALU_DEP_4)
	v_fma_f64 v[195:196], v[4:5], v[38:39], v[197:198]
	v_fma_f64 v[38:39], v[2:3], v[38:39], -v[40:41]
	ds_load_b128 v[2:5], v1 offset:1440
	v_add_f64 v[40:41], v[34:35], v[191:192]
	v_add_f64 v[191:192], v[36:37], v[201:202]
	scratch_load_b128 v[34:37], off, off offset:144
	s_waitcnt vmcnt(7) lgkmcnt(1)
	v_mul_f64 v[193:194], v[6:7], v[189:190]
	v_mul_f64 v[189:190], v[8:9], v[189:190]
	v_add_f64 v[38:39], v[40:41], v[38:39]
	v_add_f64 v[40:41], v[191:192], v[195:196]
	s_delay_alu instid0(VALU_DEP_4) | instskip(NEXT) | instid1(VALU_DEP_4)
	v_fma_f64 v[193:194], v[8:9], v[187:188], v[193:194]
	v_fma_f64 v[187:188], v[6:7], v[187:188], -v[189:190]
	ds_load_b128 v[6:9], v1 offset:1456
	s_waitcnt vmcnt(6) lgkmcnt(1)
	v_mul_f64 v[197:198], v[2:3], v[12:13]
	v_mul_f64 v[12:13], v[4:5], v[12:13]
	s_waitcnt vmcnt(5) lgkmcnt(0)
	v_mul_f64 v[189:190], v[6:7], v[16:17]
	v_mul_f64 v[16:17], v[8:9], v[16:17]
	s_delay_alu instid0(VALU_DEP_4) | instskip(NEXT) | instid1(VALU_DEP_4)
	v_fma_f64 v[191:192], v[4:5], v[10:11], v[197:198]
	v_fma_f64 v[10:11], v[2:3], v[10:11], -v[12:13]
	v_add_f64 v[12:13], v[38:39], v[187:188]
	v_add_f64 v[38:39], v[40:41], v[193:194]
	ds_load_b128 v[2:5], v1 offset:1472
	v_fma_f64 v[187:188], v[8:9], v[14:15], v[189:190]
	v_fma_f64 v[14:15], v[6:7], v[14:15], -v[16:17]
	ds_load_b128 v[6:9], v1 offset:1488
	s_waitcnt vmcnt(4) lgkmcnt(1)
	v_mul_f64 v[40:41], v[2:3], v[20:21]
	v_mul_f64 v[20:21], v[4:5], v[20:21]
	v_add_f64 v[10:11], v[12:13], v[10:11]
	v_add_f64 v[12:13], v[38:39], v[191:192]
	s_waitcnt vmcnt(3) lgkmcnt(0)
	v_mul_f64 v[16:17], v[6:7], v[24:25]
	v_mul_f64 v[24:25], v[8:9], v[24:25]
	v_fma_f64 v[38:39], v[4:5], v[18:19], v[40:41]
	v_fma_f64 v[18:19], v[2:3], v[18:19], -v[20:21]
	ds_load_b128 v[2:5], v1 offset:1504
	v_add_f64 v[10:11], v[10:11], v[14:15]
	v_add_f64 v[12:13], v[12:13], v[187:188]
	v_fma_f64 v[16:17], v[8:9], v[22:23], v[16:17]
	v_fma_f64 v[22:23], v[6:7], v[22:23], -v[24:25]
	ds_load_b128 v[6:9], v1 offset:1520
	s_waitcnt vmcnt(2) lgkmcnt(1)
	v_mul_f64 v[14:15], v[2:3], v[28:29]
	v_mul_f64 v[20:21], v[4:5], v[28:29]
	s_waitcnt vmcnt(1) lgkmcnt(0)
	v_mul_f64 v[24:25], v[8:9], v[32:33]
	v_add_f64 v[10:11], v[10:11], v[18:19]
	v_add_f64 v[12:13], v[12:13], v[38:39]
	v_mul_f64 v[18:19], v[6:7], v[32:33]
	v_fma_f64 v[4:5], v[4:5], v[26:27], v[14:15]
	v_fma_f64 v[1:2], v[2:3], v[26:27], -v[20:21]
	v_fma_f64 v[6:7], v[6:7], v[30:31], -v[24:25]
	v_add_f64 v[10:11], v[10:11], v[22:23]
	v_add_f64 v[12:13], v[12:13], v[16:17]
	v_fma_f64 v[8:9], v[8:9], v[30:31], v[18:19]
	s_delay_alu instid0(VALU_DEP_3) | instskip(NEXT) | instid1(VALU_DEP_3)
	v_add_f64 v[1:2], v[10:11], v[1:2]
	v_add_f64 v[3:4], v[12:13], v[4:5]
	s_delay_alu instid0(VALU_DEP_2) | instskip(NEXT) | instid1(VALU_DEP_2)
	v_add_f64 v[1:2], v[1:2], v[6:7]
	v_add_f64 v[3:4], v[3:4], v[8:9]
	s_waitcnt vmcnt(0)
	s_delay_alu instid0(VALU_DEP_2) | instskip(NEXT) | instid1(VALU_DEP_2)
	v_add_f64 v[1:2], v[34:35], -v[1:2]
	v_add_f64 v[3:4], v[36:37], -v[3:4]
	scratch_store_b128 off, v[1:4], off offset:144
	v_cmpx_lt_u32_e32 8, v138
	s_cbranch_execz .LBB47_285
; %bb.284:
	scratch_load_b128 v[1:4], v178, off
	v_mov_b32_e32 v5, 0
	s_delay_alu instid0(VALU_DEP_1)
	v_mov_b32_e32 v6, v5
	v_mov_b32_e32 v7, v5
	;; [unrolled: 1-line block ×3, first 2 shown]
	scratch_store_b128 off, v[5:8], off offset:128
	s_waitcnt vmcnt(0)
	ds_store_b128 v186, v[1:4]
.LBB47_285:
	s_or_b32 exec_lo, exec_lo, s2
	s_waitcnt lgkmcnt(0)
	s_waitcnt_vscnt null, 0x0
	s_barrier
	buffer_gl0_inv
	s_clause 0x7
	scratch_load_b128 v[2:5], off, off offset:144
	scratch_load_b128 v[6:9], off, off offset:160
	;; [unrolled: 1-line block ×8, first 2 shown]
	v_mov_b32_e32 v1, 0
	s_clause 0x1
	scratch_load_b128 v[34:37], off, off offset:272
	scratch_load_b128 v[191:194], off, off offset:288
	s_mov_b32 s2, exec_lo
	ds_load_b128 v[38:41], v1 offset:912
	ds_load_b128 v[187:190], v1 offset:928
	s_waitcnt vmcnt(9) lgkmcnt(1)
	v_mul_f64 v[195:196], v[40:41], v[4:5]
	v_mul_f64 v[4:5], v[38:39], v[4:5]
	s_waitcnt vmcnt(8) lgkmcnt(0)
	v_mul_f64 v[197:198], v[187:188], v[8:9]
	v_mul_f64 v[8:9], v[189:190], v[8:9]
	s_delay_alu instid0(VALU_DEP_4) | instskip(NEXT) | instid1(VALU_DEP_4)
	v_fma_f64 v[195:196], v[38:39], v[2:3], -v[195:196]
	v_fma_f64 v[199:200], v[40:41], v[2:3], v[4:5]
	ds_load_b128 v[2:5], v1 offset:944
	scratch_load_b128 v[38:41], off, off offset:304
	v_fma_f64 v[197:198], v[189:190], v[6:7], v[197:198]
	v_fma_f64 v[203:204], v[187:188], v[6:7], -v[8:9]
	scratch_load_b128 v[187:190], off, off offset:320
	ds_load_b128 v[6:9], v1 offset:960
	s_waitcnt vmcnt(9) lgkmcnt(1)
	v_mul_f64 v[201:202], v[2:3], v[12:13]
	v_mul_f64 v[12:13], v[4:5], v[12:13]
	s_waitcnt vmcnt(8) lgkmcnt(0)
	v_mul_f64 v[205:206], v[6:7], v[16:17]
	v_mul_f64 v[16:17], v[8:9], v[16:17]
	v_add_f64 v[195:196], v[195:196], 0
	v_add_f64 v[199:200], v[199:200], 0
	v_fma_f64 v[201:202], v[4:5], v[10:11], v[201:202]
	v_fma_f64 v[207:208], v[2:3], v[10:11], -v[12:13]
	ds_load_b128 v[2:5], v1 offset:976
	scratch_load_b128 v[10:13], off, off offset:336
	v_add_f64 v[195:196], v[195:196], v[203:204]
	v_add_f64 v[197:198], v[199:200], v[197:198]
	v_fma_f64 v[203:204], v[8:9], v[14:15], v[205:206]
	v_fma_f64 v[205:206], v[6:7], v[14:15], -v[16:17]
	scratch_load_b128 v[14:17], off, off offset:352
	ds_load_b128 v[6:9], v1 offset:992
	s_waitcnt vmcnt(9) lgkmcnt(1)
	v_mul_f64 v[199:200], v[2:3], v[20:21]
	v_mul_f64 v[20:21], v[4:5], v[20:21]
	v_add_f64 v[195:196], v[195:196], v[207:208]
	v_add_f64 v[197:198], v[197:198], v[201:202]
	s_waitcnt vmcnt(8) lgkmcnt(0)
	v_mul_f64 v[201:202], v[6:7], v[24:25]
	v_mul_f64 v[24:25], v[8:9], v[24:25]
	v_fma_f64 v[199:200], v[4:5], v[18:19], v[199:200]
	v_fma_f64 v[207:208], v[2:3], v[18:19], -v[20:21]
	ds_load_b128 v[2:5], v1 offset:1008
	scratch_load_b128 v[18:21], off, off offset:368
	v_add_f64 v[195:196], v[195:196], v[205:206]
	v_add_f64 v[197:198], v[197:198], v[203:204]
	v_fma_f64 v[201:202], v[8:9], v[22:23], v[201:202]
	v_fma_f64 v[205:206], v[6:7], v[22:23], -v[24:25]
	scratch_load_b128 v[22:25], off, off offset:384
	ds_load_b128 v[6:9], v1 offset:1024
	s_waitcnt vmcnt(9) lgkmcnt(1)
	v_mul_f64 v[203:204], v[2:3], v[28:29]
	v_mul_f64 v[28:29], v[4:5], v[28:29]
	v_add_f64 v[195:196], v[195:196], v[207:208]
	v_add_f64 v[197:198], v[197:198], v[199:200]
	s_waitcnt vmcnt(8) lgkmcnt(0)
	v_mul_f64 v[199:200], v[6:7], v[32:33]
	v_mul_f64 v[32:33], v[8:9], v[32:33]
	;; [unrolled: 18-line block ×10, first 2 shown]
	v_fma_f64 v[199:200], v[4:5], v[10:11], v[199:200]
	v_fma_f64 v[207:208], v[2:3], v[10:11], -v[12:13]
	ds_load_b128 v[2:5], v1 offset:1296
	scratch_load_b128 v[10:13], off, off offset:656
	v_add_f64 v[195:196], v[195:196], v[205:206]
	v_add_f64 v[197:198], v[197:198], v[203:204]
	v_fma_f64 v[201:202], v[8:9], v[14:15], v[201:202]
	v_fma_f64 v[205:206], v[6:7], v[14:15], -v[16:17]
	ds_load_b128 v[6:9], v1 offset:1312
	s_waitcnt vmcnt(8) lgkmcnt(1)
	v_mul_f64 v[203:204], v[2:3], v[20:21]
	v_mul_f64 v[20:21], v[4:5], v[20:21]
	scratch_load_b128 v[14:17], off, off offset:672
	v_add_f64 v[195:196], v[195:196], v[207:208]
	v_add_f64 v[197:198], v[197:198], v[199:200]
	s_waitcnt vmcnt(8) lgkmcnt(0)
	v_mul_f64 v[199:200], v[6:7], v[24:25]
	v_mul_f64 v[24:25], v[8:9], v[24:25]
	v_fma_f64 v[203:204], v[4:5], v[18:19], v[203:204]
	v_fma_f64 v[207:208], v[2:3], v[18:19], -v[20:21]
	scratch_load_b128 v[18:21], off, off offset:688
	ds_load_b128 v[2:5], v1 offset:1328
	v_add_f64 v[195:196], v[195:196], v[205:206]
	v_add_f64 v[197:198], v[197:198], v[201:202]
	v_fma_f64 v[199:200], v[8:9], v[22:23], v[199:200]
	v_fma_f64 v[205:206], v[6:7], v[22:23], -v[24:25]
	ds_load_b128 v[6:9], v1 offset:1344
	s_waitcnt vmcnt(8) lgkmcnt(1)
	v_mul_f64 v[201:202], v[2:3], v[28:29]
	v_mul_f64 v[28:29], v[4:5], v[28:29]
	scratch_load_b128 v[22:25], off, off offset:704
	v_add_f64 v[195:196], v[195:196], v[207:208]
	v_add_f64 v[197:198], v[197:198], v[203:204]
	s_waitcnt vmcnt(8) lgkmcnt(0)
	v_mul_f64 v[203:204], v[6:7], v[32:33]
	v_mul_f64 v[32:33], v[8:9], v[32:33]
	v_fma_f64 v[201:202], v[4:5], v[26:27], v[201:202]
	v_fma_f64 v[207:208], v[2:3], v[26:27], -v[28:29]
	scratch_load_b128 v[26:29], off, off offset:720
	ds_load_b128 v[2:5], v1 offset:1360
	;; [unrolled: 18-line block ×3, first 2 shown]
	v_add_f64 v[195:196], v[195:196], v[205:206]
	v_add_f64 v[197:198], v[197:198], v[203:204]
	v_fma_f64 v[201:202], v[8:9], v[191:192], v[201:202]
	v_fma_f64 v[191:192], v[6:7], v[191:192], -v[193:194]
	ds_load_b128 v[6:9], v1 offset:1408
	s_waitcnt vmcnt(8) lgkmcnt(1)
	v_mul_f64 v[203:204], v[2:3], v[40:41]
	v_mul_f64 v[40:41], v[4:5], v[40:41]
	v_add_f64 v[193:194], v[195:196], v[207:208]
	v_add_f64 v[195:196], v[197:198], v[199:200]
	s_waitcnt vmcnt(7) lgkmcnt(0)
	v_mul_f64 v[197:198], v[6:7], v[189:190]
	v_mul_f64 v[189:190], v[8:9], v[189:190]
	v_fma_f64 v[199:200], v[4:5], v[38:39], v[203:204]
	v_fma_f64 v[38:39], v[2:3], v[38:39], -v[40:41]
	ds_load_b128 v[2:5], v1 offset:1424
	v_add_f64 v[40:41], v[193:194], v[191:192]
	v_add_f64 v[191:192], v[195:196], v[201:202]
	v_fma_f64 v[195:196], v[8:9], v[187:188], v[197:198]
	v_fma_f64 v[187:188], v[6:7], v[187:188], -v[189:190]
	ds_load_b128 v[6:9], v1 offset:1440
	s_waitcnt vmcnt(5) lgkmcnt(0)
	v_mul_f64 v[197:198], v[6:7], v[16:17]
	v_mul_f64 v[16:17], v[8:9], v[16:17]
	v_add_f64 v[189:190], v[40:41], v[38:39]
	v_add_f64 v[191:192], v[191:192], v[199:200]
	scratch_load_b128 v[38:41], off, off offset:128
	v_mul_f64 v[193:194], v[2:3], v[12:13]
	v_mul_f64 v[12:13], v[4:5], v[12:13]
	s_delay_alu instid0(VALU_DEP_2) | instskip(NEXT) | instid1(VALU_DEP_2)
	v_fma_f64 v[193:194], v[4:5], v[10:11], v[193:194]
	v_fma_f64 v[10:11], v[2:3], v[10:11], -v[12:13]
	v_add_f64 v[12:13], v[189:190], v[187:188]
	v_add_f64 v[187:188], v[191:192], v[195:196]
	ds_load_b128 v[2:5], v1 offset:1456
	v_fma_f64 v[191:192], v[8:9], v[14:15], v[197:198]
	v_fma_f64 v[14:15], v[6:7], v[14:15], -v[16:17]
	ds_load_b128 v[6:9], v1 offset:1472
	s_waitcnt vmcnt(5) lgkmcnt(1)
	v_mul_f64 v[189:190], v[2:3], v[20:21]
	v_mul_f64 v[20:21], v[4:5], v[20:21]
	s_waitcnt vmcnt(4) lgkmcnt(0)
	v_mul_f64 v[16:17], v[6:7], v[24:25]
	v_mul_f64 v[24:25], v[8:9], v[24:25]
	v_add_f64 v[10:11], v[12:13], v[10:11]
	v_add_f64 v[12:13], v[187:188], v[193:194]
	v_fma_f64 v[187:188], v[4:5], v[18:19], v[189:190]
	v_fma_f64 v[18:19], v[2:3], v[18:19], -v[20:21]
	ds_load_b128 v[2:5], v1 offset:1488
	v_fma_f64 v[16:17], v[8:9], v[22:23], v[16:17]
	v_fma_f64 v[22:23], v[6:7], v[22:23], -v[24:25]
	ds_load_b128 v[6:9], v1 offset:1504
	v_add_f64 v[10:11], v[10:11], v[14:15]
	v_add_f64 v[12:13], v[12:13], v[191:192]
	s_waitcnt vmcnt(3) lgkmcnt(1)
	v_mul_f64 v[14:15], v[2:3], v[28:29]
	v_mul_f64 v[20:21], v[4:5], v[28:29]
	s_waitcnt vmcnt(2) lgkmcnt(0)
	v_mul_f64 v[24:25], v[8:9], v[32:33]
	v_add_f64 v[10:11], v[10:11], v[18:19]
	v_add_f64 v[12:13], v[12:13], v[187:188]
	v_mul_f64 v[18:19], v[6:7], v[32:33]
	v_fma_f64 v[14:15], v[4:5], v[26:27], v[14:15]
	v_fma_f64 v[20:21], v[2:3], v[26:27], -v[20:21]
	ds_load_b128 v[2:5], v1 offset:1520
	v_fma_f64 v[6:7], v[6:7], v[30:31], -v[24:25]
	v_add_f64 v[10:11], v[10:11], v[22:23]
	v_add_f64 v[12:13], v[12:13], v[16:17]
	s_waitcnt vmcnt(1) lgkmcnt(0)
	v_mul_f64 v[16:17], v[2:3], v[36:37]
	v_mul_f64 v[22:23], v[4:5], v[36:37]
	v_fma_f64 v[8:9], v[8:9], v[30:31], v[18:19]
	v_add_f64 v[10:11], v[10:11], v[20:21]
	v_add_f64 v[12:13], v[12:13], v[14:15]
	v_fma_f64 v[4:5], v[4:5], v[34:35], v[16:17]
	v_fma_f64 v[2:3], v[2:3], v[34:35], -v[22:23]
	s_delay_alu instid0(VALU_DEP_4) | instskip(NEXT) | instid1(VALU_DEP_4)
	v_add_f64 v[6:7], v[10:11], v[6:7]
	v_add_f64 v[8:9], v[12:13], v[8:9]
	s_delay_alu instid0(VALU_DEP_2) | instskip(NEXT) | instid1(VALU_DEP_2)
	v_add_f64 v[2:3], v[6:7], v[2:3]
	v_add_f64 v[4:5], v[8:9], v[4:5]
	s_waitcnt vmcnt(0)
	s_delay_alu instid0(VALU_DEP_2) | instskip(NEXT) | instid1(VALU_DEP_2)
	v_add_f64 v[2:3], v[38:39], -v[2:3]
	v_add_f64 v[4:5], v[40:41], -v[4:5]
	scratch_store_b128 off, v[2:5], off offset:128
	v_cmpx_lt_u32_e32 7, v138
	s_cbranch_execz .LBB47_287
; %bb.286:
	scratch_load_b128 v[5:8], v179, off
	v_mov_b32_e32 v2, v1
	v_mov_b32_e32 v3, v1
	v_mov_b32_e32 v4, v1
	scratch_store_b128 off, v[1:4], off offset:112
	s_waitcnt vmcnt(0)
	ds_store_b128 v186, v[5:8]
.LBB47_287:
	s_or_b32 exec_lo, exec_lo, s2
	s_waitcnt lgkmcnt(0)
	s_waitcnt_vscnt null, 0x0
	s_barrier
	buffer_gl0_inv
	s_clause 0x7
	scratch_load_b128 v[2:5], off, off offset:128
	scratch_load_b128 v[6:9], off, off offset:144
	;; [unrolled: 1-line block ×8, first 2 shown]
	ds_load_b128 v[38:41], v1 offset:896
	ds_load_b128 v[187:190], v1 offset:912
	s_clause 0x1
	scratch_load_b128 v[34:37], off, off offset:256
	scratch_load_b128 v[191:194], off, off offset:272
	s_mov_b32 s2, exec_lo
	s_waitcnt vmcnt(9) lgkmcnt(1)
	v_mul_f64 v[195:196], v[40:41], v[4:5]
	v_mul_f64 v[4:5], v[38:39], v[4:5]
	s_waitcnt vmcnt(8) lgkmcnt(0)
	v_mul_f64 v[197:198], v[187:188], v[8:9]
	v_mul_f64 v[8:9], v[189:190], v[8:9]
	s_delay_alu instid0(VALU_DEP_4) | instskip(NEXT) | instid1(VALU_DEP_4)
	v_fma_f64 v[195:196], v[38:39], v[2:3], -v[195:196]
	v_fma_f64 v[199:200], v[40:41], v[2:3], v[4:5]
	ds_load_b128 v[2:5], v1 offset:928
	scratch_load_b128 v[38:41], off, off offset:288
	v_fma_f64 v[197:198], v[189:190], v[6:7], v[197:198]
	v_fma_f64 v[203:204], v[187:188], v[6:7], -v[8:9]
	scratch_load_b128 v[187:190], off, off offset:304
	ds_load_b128 v[6:9], v1 offset:944
	s_waitcnt vmcnt(9) lgkmcnt(1)
	v_mul_f64 v[201:202], v[2:3], v[12:13]
	v_mul_f64 v[12:13], v[4:5], v[12:13]
	s_waitcnt vmcnt(8) lgkmcnt(0)
	v_mul_f64 v[205:206], v[6:7], v[16:17]
	v_mul_f64 v[16:17], v[8:9], v[16:17]
	v_add_f64 v[195:196], v[195:196], 0
	v_add_f64 v[199:200], v[199:200], 0
	v_fma_f64 v[201:202], v[4:5], v[10:11], v[201:202]
	v_fma_f64 v[207:208], v[2:3], v[10:11], -v[12:13]
	ds_load_b128 v[2:5], v1 offset:960
	scratch_load_b128 v[10:13], off, off offset:320
	v_add_f64 v[195:196], v[195:196], v[203:204]
	v_add_f64 v[197:198], v[199:200], v[197:198]
	v_fma_f64 v[203:204], v[8:9], v[14:15], v[205:206]
	v_fma_f64 v[205:206], v[6:7], v[14:15], -v[16:17]
	scratch_load_b128 v[14:17], off, off offset:336
	ds_load_b128 v[6:9], v1 offset:976
	s_waitcnt vmcnt(9) lgkmcnt(1)
	v_mul_f64 v[199:200], v[2:3], v[20:21]
	v_mul_f64 v[20:21], v[4:5], v[20:21]
	v_add_f64 v[195:196], v[195:196], v[207:208]
	v_add_f64 v[197:198], v[197:198], v[201:202]
	s_waitcnt vmcnt(8) lgkmcnt(0)
	v_mul_f64 v[201:202], v[6:7], v[24:25]
	v_mul_f64 v[24:25], v[8:9], v[24:25]
	v_fma_f64 v[199:200], v[4:5], v[18:19], v[199:200]
	v_fma_f64 v[207:208], v[2:3], v[18:19], -v[20:21]
	ds_load_b128 v[2:5], v1 offset:992
	scratch_load_b128 v[18:21], off, off offset:352
	v_add_f64 v[195:196], v[195:196], v[205:206]
	v_add_f64 v[197:198], v[197:198], v[203:204]
	v_fma_f64 v[201:202], v[8:9], v[22:23], v[201:202]
	v_fma_f64 v[205:206], v[6:7], v[22:23], -v[24:25]
	scratch_load_b128 v[22:25], off, off offset:368
	ds_load_b128 v[6:9], v1 offset:1008
	s_waitcnt vmcnt(9) lgkmcnt(1)
	v_mul_f64 v[203:204], v[2:3], v[28:29]
	v_mul_f64 v[28:29], v[4:5], v[28:29]
	v_add_f64 v[195:196], v[195:196], v[207:208]
	v_add_f64 v[197:198], v[197:198], v[199:200]
	s_waitcnt vmcnt(8) lgkmcnt(0)
	v_mul_f64 v[199:200], v[6:7], v[32:33]
	v_mul_f64 v[32:33], v[8:9], v[32:33]
	;; [unrolled: 18-line block ×5, first 2 shown]
	v_fma_f64 v[203:204], v[4:5], v[10:11], v[203:204]
	v_fma_f64 v[207:208], v[2:3], v[10:11], -v[12:13]
	scratch_load_b128 v[10:13], off, off offset:480
	ds_load_b128 v[2:5], v1 offset:1120
	v_add_f64 v[195:196], v[195:196], v[205:206]
	v_add_f64 v[197:198], v[197:198], v[201:202]
	v_fma_f64 v[199:200], v[8:9], v[14:15], v[199:200]
	v_fma_f64 v[205:206], v[6:7], v[14:15], -v[16:17]
	ds_load_b128 v[6:9], v1 offset:1136
	s_waitcnt vmcnt(8) lgkmcnt(1)
	v_mul_f64 v[201:202], v[2:3], v[20:21]
	v_mul_f64 v[20:21], v[4:5], v[20:21]
	scratch_load_b128 v[14:17], off, off offset:496
	v_add_f64 v[195:196], v[195:196], v[207:208]
	v_add_f64 v[197:198], v[197:198], v[203:204]
	s_waitcnt vmcnt(8) lgkmcnt(0)
	v_mul_f64 v[203:204], v[6:7], v[24:25]
	v_mul_f64 v[24:25], v[8:9], v[24:25]
	v_fma_f64 v[201:202], v[4:5], v[18:19], v[201:202]
	v_fma_f64 v[207:208], v[2:3], v[18:19], -v[20:21]
	ds_load_b128 v[2:5], v1 offset:1152
	scratch_load_b128 v[18:21], off, off offset:512
	v_add_f64 v[195:196], v[195:196], v[205:206]
	v_add_f64 v[197:198], v[197:198], v[199:200]
	v_fma_f64 v[203:204], v[8:9], v[22:23], v[203:204]
	v_fma_f64 v[205:206], v[6:7], v[22:23], -v[24:25]
	scratch_load_b128 v[22:25], off, off offset:528
	ds_load_b128 v[6:9], v1 offset:1168
	s_waitcnt vmcnt(9) lgkmcnt(1)
	v_mul_f64 v[199:200], v[2:3], v[28:29]
	v_mul_f64 v[28:29], v[4:5], v[28:29]
	v_add_f64 v[195:196], v[195:196], v[207:208]
	v_add_f64 v[197:198], v[197:198], v[201:202]
	s_waitcnt vmcnt(8) lgkmcnt(0)
	v_mul_f64 v[201:202], v[6:7], v[32:33]
	v_mul_f64 v[32:33], v[8:9], v[32:33]
	v_fma_f64 v[199:200], v[4:5], v[26:27], v[199:200]
	v_fma_f64 v[207:208], v[2:3], v[26:27], -v[28:29]
	ds_load_b128 v[2:5], v1 offset:1184
	scratch_load_b128 v[26:29], off, off offset:544
	v_add_f64 v[195:196], v[195:196], v[205:206]
	v_add_f64 v[197:198], v[197:198], v[203:204]
	v_fma_f64 v[201:202], v[8:9], v[30:31], v[201:202]
	v_fma_f64 v[205:206], v[6:7], v[30:31], -v[32:33]
	scratch_load_b128 v[30:33], off, off offset:560
	ds_load_b128 v[6:9], v1 offset:1200
	s_waitcnt vmcnt(9) lgkmcnt(1)
	v_mul_f64 v[203:204], v[2:3], v[36:37]
	v_mul_f64 v[36:37], v[4:5], v[36:37]
	;; [unrolled: 18-line block ×3, first 2 shown]
	v_add_f64 v[195:196], v[195:196], v[207:208]
	v_add_f64 v[197:198], v[197:198], v[203:204]
	s_waitcnt vmcnt(8) lgkmcnt(0)
	v_mul_f64 v[203:204], v[6:7], v[189:190]
	v_mul_f64 v[189:190], v[8:9], v[189:190]
	v_fma_f64 v[201:202], v[4:5], v[38:39], v[201:202]
	v_fma_f64 v[207:208], v[2:3], v[38:39], -v[40:41]
	ds_load_b128 v[2:5], v1 offset:1248
	scratch_load_b128 v[38:41], off, off offset:608
	v_add_f64 v[195:196], v[195:196], v[205:206]
	v_add_f64 v[197:198], v[197:198], v[199:200]
	v_fma_f64 v[203:204], v[8:9], v[187:188], v[203:204]
	v_fma_f64 v[205:206], v[6:7], v[187:188], -v[189:190]
	ds_load_b128 v[6:9], v1 offset:1264
	s_waitcnt vmcnt(8) lgkmcnt(1)
	v_mul_f64 v[199:200], v[2:3], v[12:13]
	v_mul_f64 v[12:13], v[4:5], v[12:13]
	scratch_load_b128 v[187:190], off, off offset:624
	v_add_f64 v[195:196], v[195:196], v[207:208]
	v_add_f64 v[197:198], v[197:198], v[201:202]
	s_waitcnt vmcnt(8) lgkmcnt(0)
	v_mul_f64 v[201:202], v[6:7], v[16:17]
	v_mul_f64 v[16:17], v[8:9], v[16:17]
	v_fma_f64 v[199:200], v[4:5], v[10:11], v[199:200]
	v_fma_f64 v[207:208], v[2:3], v[10:11], -v[12:13]
	scratch_load_b128 v[10:13], off, off offset:640
	ds_load_b128 v[2:5], v1 offset:1280
	v_add_f64 v[195:196], v[195:196], v[205:206]
	v_add_f64 v[197:198], v[197:198], v[203:204]
	v_fma_f64 v[201:202], v[8:9], v[14:15], v[201:202]
	v_fma_f64 v[205:206], v[6:7], v[14:15], -v[16:17]
	ds_load_b128 v[6:9], v1 offset:1296
	s_waitcnt vmcnt(8) lgkmcnt(1)
	v_mul_f64 v[203:204], v[2:3], v[20:21]
	v_mul_f64 v[20:21], v[4:5], v[20:21]
	scratch_load_b128 v[14:17], off, off offset:656
	v_add_f64 v[195:196], v[195:196], v[207:208]
	v_add_f64 v[197:198], v[197:198], v[199:200]
	s_waitcnt vmcnt(8) lgkmcnt(0)
	v_mul_f64 v[199:200], v[6:7], v[24:25]
	v_mul_f64 v[24:25], v[8:9], v[24:25]
	v_fma_f64 v[203:204], v[4:5], v[18:19], v[203:204]
	v_fma_f64 v[207:208], v[2:3], v[18:19], -v[20:21]
	scratch_load_b128 v[18:21], off, off offset:672
	ds_load_b128 v[2:5], v1 offset:1312
	;; [unrolled: 18-line block ×4, first 2 shown]
	v_add_f64 v[195:196], v[195:196], v[205:206]
	v_add_f64 v[197:198], v[197:198], v[203:204]
	v_fma_f64 v[201:202], v[8:9], v[191:192], v[201:202]
	v_fma_f64 v[205:206], v[6:7], v[191:192], -v[193:194]
	ds_load_b128 v[6:9], v1 offset:1392
	s_waitcnt vmcnt(8) lgkmcnt(1)
	v_mul_f64 v[203:204], v[2:3], v[40:41]
	v_mul_f64 v[40:41], v[4:5], v[40:41]
	scratch_load_b128 v[191:194], off, off offset:752
	v_add_f64 v[195:196], v[195:196], v[207:208]
	v_add_f64 v[197:198], v[197:198], v[199:200]
	v_fma_f64 v[203:204], v[4:5], v[38:39], v[203:204]
	v_fma_f64 v[38:39], v[2:3], v[38:39], -v[40:41]
	ds_load_b128 v[2:5], v1 offset:1408
	v_add_f64 v[40:41], v[195:196], v[205:206]
	v_add_f64 v[195:196], v[197:198], v[201:202]
	s_waitcnt vmcnt(7) lgkmcnt(0)
	v_mul_f64 v[197:198], v[2:3], v[12:13]
	v_mul_f64 v[12:13], v[4:5], v[12:13]
	s_delay_alu instid0(VALU_DEP_4) | instskip(NEXT) | instid1(VALU_DEP_4)
	v_add_f64 v[38:39], v[40:41], v[38:39]
	v_add_f64 v[40:41], v[195:196], v[203:204]
	s_delay_alu instid0(VALU_DEP_4) | instskip(NEXT) | instid1(VALU_DEP_4)
	v_fma_f64 v[195:196], v[4:5], v[10:11], v[197:198]
	v_fma_f64 v[197:198], v[2:3], v[10:11], -v[12:13]
	scratch_load_b128 v[10:13], off, off offset:112
	v_mul_f64 v[199:200], v[6:7], v[189:190]
	v_mul_f64 v[189:190], v[8:9], v[189:190]
	ds_load_b128 v[2:5], v1 offset:1440
	v_fma_f64 v[199:200], v[8:9], v[187:188], v[199:200]
	v_fma_f64 v[187:188], v[6:7], v[187:188], -v[189:190]
	ds_load_b128 v[6:9], v1 offset:1424
	s_waitcnt vmcnt(7) lgkmcnt(0)
	v_mul_f64 v[189:190], v[6:7], v[16:17]
	v_mul_f64 v[16:17], v[8:9], v[16:17]
	v_add_f64 v[40:41], v[40:41], v[199:200]
	v_add_f64 v[38:39], v[38:39], v[187:188]
	s_waitcnt vmcnt(6)
	v_mul_f64 v[187:188], v[2:3], v[20:21]
	v_mul_f64 v[20:21], v[4:5], v[20:21]
	v_fma_f64 v[189:190], v[8:9], v[14:15], v[189:190]
	v_fma_f64 v[14:15], v[6:7], v[14:15], -v[16:17]
	ds_load_b128 v[6:9], v1 offset:1456
	v_add_f64 v[16:17], v[38:39], v[197:198]
	v_add_f64 v[38:39], v[40:41], v[195:196]
	v_fma_f64 v[187:188], v[4:5], v[18:19], v[187:188]
	v_fma_f64 v[18:19], v[2:3], v[18:19], -v[20:21]
	ds_load_b128 v[2:5], v1 offset:1472
	s_waitcnt vmcnt(5) lgkmcnt(1)
	v_mul_f64 v[40:41], v[6:7], v[24:25]
	v_mul_f64 v[24:25], v[8:9], v[24:25]
	s_waitcnt vmcnt(4) lgkmcnt(0)
	v_mul_f64 v[20:21], v[2:3], v[28:29]
	v_mul_f64 v[28:29], v[4:5], v[28:29]
	v_add_f64 v[14:15], v[16:17], v[14:15]
	v_add_f64 v[16:17], v[38:39], v[189:190]
	v_fma_f64 v[38:39], v[8:9], v[22:23], v[40:41]
	v_fma_f64 v[22:23], v[6:7], v[22:23], -v[24:25]
	ds_load_b128 v[6:9], v1 offset:1488
	v_fma_f64 v[20:21], v[4:5], v[26:27], v[20:21]
	v_fma_f64 v[26:27], v[2:3], v[26:27], -v[28:29]
	ds_load_b128 v[2:5], v1 offset:1504
	s_waitcnt vmcnt(3) lgkmcnt(1)
	v_mul_f64 v[24:25], v[8:9], v[32:33]
	v_add_f64 v[14:15], v[14:15], v[18:19]
	v_add_f64 v[16:17], v[16:17], v[187:188]
	v_mul_f64 v[18:19], v[6:7], v[32:33]
	s_waitcnt vmcnt(2) lgkmcnt(0)
	v_mul_f64 v[28:29], v[4:5], v[36:37]
	v_fma_f64 v[24:25], v[6:7], v[30:31], -v[24:25]
	v_add_f64 v[14:15], v[14:15], v[22:23]
	v_add_f64 v[16:17], v[16:17], v[38:39]
	v_mul_f64 v[22:23], v[2:3], v[36:37]
	v_fma_f64 v[18:19], v[8:9], v[30:31], v[18:19]
	ds_load_b128 v[6:9], v1 offset:1520
	v_fma_f64 v[1:2], v[2:3], v[34:35], -v[28:29]
	v_add_f64 v[14:15], v[14:15], v[26:27]
	v_add_f64 v[16:17], v[16:17], v[20:21]
	s_waitcnt vmcnt(1) lgkmcnt(0)
	v_mul_f64 v[20:21], v[6:7], v[193:194]
	v_mul_f64 v[26:27], v[8:9], v[193:194]
	v_fma_f64 v[4:5], v[4:5], v[34:35], v[22:23]
	v_add_f64 v[14:15], v[14:15], v[24:25]
	v_add_f64 v[16:17], v[16:17], v[18:19]
	v_fma_f64 v[8:9], v[8:9], v[191:192], v[20:21]
	v_fma_f64 v[6:7], v[6:7], v[191:192], -v[26:27]
	s_delay_alu instid0(VALU_DEP_4) | instskip(NEXT) | instid1(VALU_DEP_4)
	v_add_f64 v[1:2], v[14:15], v[1:2]
	v_add_f64 v[3:4], v[16:17], v[4:5]
	s_delay_alu instid0(VALU_DEP_2) | instskip(NEXT) | instid1(VALU_DEP_2)
	v_add_f64 v[1:2], v[1:2], v[6:7]
	v_add_f64 v[3:4], v[3:4], v[8:9]
	s_waitcnt vmcnt(0)
	s_delay_alu instid0(VALU_DEP_2) | instskip(NEXT) | instid1(VALU_DEP_2)
	v_add_f64 v[1:2], v[10:11], -v[1:2]
	v_add_f64 v[3:4], v[12:13], -v[3:4]
	scratch_store_b128 off, v[1:4], off offset:112
	v_cmpx_lt_u32_e32 6, v138
	s_cbranch_execz .LBB47_289
; %bb.288:
	scratch_load_b128 v[1:4], v180, off
	v_mov_b32_e32 v5, 0
	s_delay_alu instid0(VALU_DEP_1)
	v_mov_b32_e32 v6, v5
	v_mov_b32_e32 v7, v5
	;; [unrolled: 1-line block ×3, first 2 shown]
	scratch_store_b128 off, v[5:8], off offset:96
	s_waitcnt vmcnt(0)
	ds_store_b128 v186, v[1:4]
.LBB47_289:
	s_or_b32 exec_lo, exec_lo, s2
	s_waitcnt lgkmcnt(0)
	s_waitcnt_vscnt null, 0x0
	s_barrier
	buffer_gl0_inv
	s_clause 0x7
	scratch_load_b128 v[2:5], off, off offset:112
	scratch_load_b128 v[6:9], off, off offset:128
	;; [unrolled: 1-line block ×8, first 2 shown]
	v_mov_b32_e32 v1, 0
	s_clause 0x1
	scratch_load_b128 v[34:37], off, off offset:240
	scratch_load_b128 v[191:194], off, off offset:256
	s_mov_b32 s2, exec_lo
	ds_load_b128 v[38:41], v1 offset:880
	ds_load_b128 v[187:190], v1 offset:896
	s_waitcnt vmcnt(9) lgkmcnt(1)
	v_mul_f64 v[195:196], v[40:41], v[4:5]
	v_mul_f64 v[4:5], v[38:39], v[4:5]
	s_waitcnt vmcnt(8) lgkmcnt(0)
	v_mul_f64 v[197:198], v[187:188], v[8:9]
	v_mul_f64 v[8:9], v[189:190], v[8:9]
	s_delay_alu instid0(VALU_DEP_4) | instskip(NEXT) | instid1(VALU_DEP_4)
	v_fma_f64 v[195:196], v[38:39], v[2:3], -v[195:196]
	v_fma_f64 v[199:200], v[40:41], v[2:3], v[4:5]
	ds_load_b128 v[2:5], v1 offset:912
	scratch_load_b128 v[38:41], off, off offset:272
	v_fma_f64 v[197:198], v[189:190], v[6:7], v[197:198]
	v_fma_f64 v[203:204], v[187:188], v[6:7], -v[8:9]
	scratch_load_b128 v[187:190], off, off offset:288
	ds_load_b128 v[6:9], v1 offset:928
	s_waitcnt vmcnt(9) lgkmcnt(1)
	v_mul_f64 v[201:202], v[2:3], v[12:13]
	v_mul_f64 v[12:13], v[4:5], v[12:13]
	s_waitcnt vmcnt(8) lgkmcnt(0)
	v_mul_f64 v[205:206], v[6:7], v[16:17]
	v_mul_f64 v[16:17], v[8:9], v[16:17]
	v_add_f64 v[195:196], v[195:196], 0
	v_add_f64 v[199:200], v[199:200], 0
	v_fma_f64 v[201:202], v[4:5], v[10:11], v[201:202]
	v_fma_f64 v[207:208], v[2:3], v[10:11], -v[12:13]
	ds_load_b128 v[2:5], v1 offset:944
	scratch_load_b128 v[10:13], off, off offset:304
	v_add_f64 v[195:196], v[195:196], v[203:204]
	v_add_f64 v[197:198], v[199:200], v[197:198]
	v_fma_f64 v[203:204], v[8:9], v[14:15], v[205:206]
	v_fma_f64 v[205:206], v[6:7], v[14:15], -v[16:17]
	scratch_load_b128 v[14:17], off, off offset:320
	ds_load_b128 v[6:9], v1 offset:960
	s_waitcnt vmcnt(9) lgkmcnt(1)
	v_mul_f64 v[199:200], v[2:3], v[20:21]
	v_mul_f64 v[20:21], v[4:5], v[20:21]
	v_add_f64 v[195:196], v[195:196], v[207:208]
	v_add_f64 v[197:198], v[197:198], v[201:202]
	s_waitcnt vmcnt(8) lgkmcnt(0)
	v_mul_f64 v[201:202], v[6:7], v[24:25]
	v_mul_f64 v[24:25], v[8:9], v[24:25]
	v_fma_f64 v[199:200], v[4:5], v[18:19], v[199:200]
	v_fma_f64 v[207:208], v[2:3], v[18:19], -v[20:21]
	ds_load_b128 v[2:5], v1 offset:976
	scratch_load_b128 v[18:21], off, off offset:336
	v_add_f64 v[195:196], v[195:196], v[205:206]
	v_add_f64 v[197:198], v[197:198], v[203:204]
	v_fma_f64 v[201:202], v[8:9], v[22:23], v[201:202]
	v_fma_f64 v[205:206], v[6:7], v[22:23], -v[24:25]
	scratch_load_b128 v[22:25], off, off offset:352
	ds_load_b128 v[6:9], v1 offset:992
	s_waitcnt vmcnt(9) lgkmcnt(1)
	v_mul_f64 v[203:204], v[2:3], v[28:29]
	v_mul_f64 v[28:29], v[4:5], v[28:29]
	v_add_f64 v[195:196], v[195:196], v[207:208]
	v_add_f64 v[197:198], v[197:198], v[199:200]
	s_waitcnt vmcnt(8) lgkmcnt(0)
	v_mul_f64 v[199:200], v[6:7], v[32:33]
	v_mul_f64 v[32:33], v[8:9], v[32:33]
	;; [unrolled: 18-line block ×11, first 2 shown]
	v_fma_f64 v[203:204], v[4:5], v[18:19], v[203:204]
	v_fma_f64 v[207:208], v[2:3], v[18:19], -v[20:21]
	ds_load_b128 v[2:5], v1 offset:1296
	scratch_load_b128 v[18:21], off, off offset:656
	v_add_f64 v[195:196], v[195:196], v[205:206]
	v_add_f64 v[197:198], v[197:198], v[201:202]
	v_fma_f64 v[199:200], v[8:9], v[22:23], v[199:200]
	v_fma_f64 v[205:206], v[6:7], v[22:23], -v[24:25]
	ds_load_b128 v[6:9], v1 offset:1312
	s_waitcnt vmcnt(8) lgkmcnt(1)
	v_mul_f64 v[201:202], v[2:3], v[28:29]
	v_mul_f64 v[28:29], v[4:5], v[28:29]
	scratch_load_b128 v[22:25], off, off offset:672
	v_add_f64 v[195:196], v[195:196], v[207:208]
	v_add_f64 v[197:198], v[197:198], v[203:204]
	s_waitcnt vmcnt(8) lgkmcnt(0)
	v_mul_f64 v[203:204], v[6:7], v[32:33]
	v_mul_f64 v[32:33], v[8:9], v[32:33]
	v_fma_f64 v[201:202], v[4:5], v[26:27], v[201:202]
	v_fma_f64 v[207:208], v[2:3], v[26:27], -v[28:29]
	scratch_load_b128 v[26:29], off, off offset:688
	ds_load_b128 v[2:5], v1 offset:1328
	v_add_f64 v[195:196], v[195:196], v[205:206]
	v_add_f64 v[197:198], v[197:198], v[199:200]
	v_fma_f64 v[203:204], v[8:9], v[30:31], v[203:204]
	v_fma_f64 v[205:206], v[6:7], v[30:31], -v[32:33]
	ds_load_b128 v[6:9], v1 offset:1344
	s_waitcnt vmcnt(8) lgkmcnt(1)
	v_mul_f64 v[199:200], v[2:3], v[36:37]
	v_mul_f64 v[36:37], v[4:5], v[36:37]
	scratch_load_b128 v[30:33], off, off offset:704
	v_add_f64 v[195:196], v[195:196], v[207:208]
	v_add_f64 v[197:198], v[197:198], v[201:202]
	s_waitcnt vmcnt(8) lgkmcnt(0)
	v_mul_f64 v[201:202], v[6:7], v[193:194]
	v_mul_f64 v[193:194], v[8:9], v[193:194]
	v_fma_f64 v[199:200], v[4:5], v[34:35], v[199:200]
	v_fma_f64 v[207:208], v[2:3], v[34:35], -v[36:37]
	scratch_load_b128 v[34:37], off, off offset:720
	ds_load_b128 v[2:5], v1 offset:1360
	;; [unrolled: 18-line block ×3, first 2 shown]
	v_add_f64 v[195:196], v[195:196], v[205:206]
	v_add_f64 v[197:198], v[197:198], v[201:202]
	v_fma_f64 v[199:200], v[8:9], v[187:188], v[199:200]
	v_fma_f64 v[187:188], v[6:7], v[187:188], -v[189:190]
	ds_load_b128 v[6:9], v1 offset:1408
	s_waitcnt vmcnt(8) lgkmcnt(1)
	v_mul_f64 v[201:202], v[2:3], v[12:13]
	v_mul_f64 v[12:13], v[4:5], v[12:13]
	v_add_f64 v[189:190], v[195:196], v[207:208]
	v_add_f64 v[195:196], v[197:198], v[203:204]
	s_waitcnt vmcnt(7) lgkmcnt(0)
	v_mul_f64 v[197:198], v[6:7], v[16:17]
	v_mul_f64 v[16:17], v[8:9], v[16:17]
	v_fma_f64 v[201:202], v[4:5], v[10:11], v[201:202]
	v_fma_f64 v[10:11], v[2:3], v[10:11], -v[12:13]
	ds_load_b128 v[2:5], v1 offset:1424
	v_add_f64 v[12:13], v[189:190], v[187:188]
	v_add_f64 v[187:188], v[195:196], v[199:200]
	v_fma_f64 v[195:196], v[8:9], v[14:15], v[197:198]
	v_fma_f64 v[14:15], v[6:7], v[14:15], -v[16:17]
	ds_load_b128 v[6:9], v1 offset:1440
	s_waitcnt vmcnt(5) lgkmcnt(0)
	v_mul_f64 v[197:198], v[6:7], v[24:25]
	v_mul_f64 v[24:25], v[8:9], v[24:25]
	v_add_f64 v[16:17], v[12:13], v[10:11]
	v_add_f64 v[187:188], v[187:188], v[201:202]
	scratch_load_b128 v[10:13], off, off offset:96
	v_mul_f64 v[189:190], v[2:3], v[20:21]
	v_mul_f64 v[20:21], v[4:5], v[20:21]
	v_add_f64 v[14:15], v[16:17], v[14:15]
	v_add_f64 v[16:17], v[187:188], v[195:196]
	v_fma_f64 v[187:188], v[8:9], v[22:23], v[197:198]
	v_fma_f64 v[189:190], v[4:5], v[18:19], v[189:190]
	v_fma_f64 v[18:19], v[2:3], v[18:19], -v[20:21]
	ds_load_b128 v[2:5], v1 offset:1456
	v_fma_f64 v[22:23], v[6:7], v[22:23], -v[24:25]
	ds_load_b128 v[6:9], v1 offset:1472
	s_waitcnt vmcnt(5) lgkmcnt(1)
	v_mul_f64 v[20:21], v[2:3], v[28:29]
	v_mul_f64 v[28:29], v[4:5], v[28:29]
	s_waitcnt vmcnt(4) lgkmcnt(0)
	v_mul_f64 v[24:25], v[8:9], v[32:33]
	v_add_f64 v[16:17], v[16:17], v[189:190]
	v_add_f64 v[14:15], v[14:15], v[18:19]
	v_mul_f64 v[18:19], v[6:7], v[32:33]
	v_fma_f64 v[20:21], v[4:5], v[26:27], v[20:21]
	v_fma_f64 v[26:27], v[2:3], v[26:27], -v[28:29]
	ds_load_b128 v[2:5], v1 offset:1488
	v_fma_f64 v[24:25], v[6:7], v[30:31], -v[24:25]
	v_add_f64 v[16:17], v[16:17], v[187:188]
	v_add_f64 v[14:15], v[14:15], v[22:23]
	v_fma_f64 v[18:19], v[8:9], v[30:31], v[18:19]
	ds_load_b128 v[6:9], v1 offset:1504
	s_waitcnt vmcnt(3) lgkmcnt(1)
	v_mul_f64 v[22:23], v[2:3], v[36:37]
	v_mul_f64 v[28:29], v[4:5], v[36:37]
	v_add_f64 v[16:17], v[16:17], v[20:21]
	v_add_f64 v[14:15], v[14:15], v[26:27]
	s_waitcnt vmcnt(2) lgkmcnt(0)
	v_mul_f64 v[20:21], v[6:7], v[193:194]
	v_mul_f64 v[26:27], v[8:9], v[193:194]
	v_fma_f64 v[22:23], v[4:5], v[34:35], v[22:23]
	v_fma_f64 v[28:29], v[2:3], v[34:35], -v[28:29]
	ds_load_b128 v[2:5], v1 offset:1520
	v_add_f64 v[16:17], v[16:17], v[18:19]
	v_add_f64 v[14:15], v[14:15], v[24:25]
	s_waitcnt vmcnt(1) lgkmcnt(0)
	v_mul_f64 v[18:19], v[2:3], v[40:41]
	v_mul_f64 v[24:25], v[4:5], v[40:41]
	v_fma_f64 v[8:9], v[8:9], v[191:192], v[20:21]
	v_fma_f64 v[6:7], v[6:7], v[191:192], -v[26:27]
	v_add_f64 v[16:17], v[16:17], v[22:23]
	v_add_f64 v[14:15], v[14:15], v[28:29]
	v_fma_f64 v[4:5], v[4:5], v[38:39], v[18:19]
	v_fma_f64 v[2:3], v[2:3], v[38:39], -v[24:25]
	s_delay_alu instid0(VALU_DEP_4) | instskip(NEXT) | instid1(VALU_DEP_4)
	v_add_f64 v[8:9], v[16:17], v[8:9]
	v_add_f64 v[6:7], v[14:15], v[6:7]
	s_delay_alu instid0(VALU_DEP_2) | instskip(NEXT) | instid1(VALU_DEP_2)
	v_add_f64 v[4:5], v[8:9], v[4:5]
	v_add_f64 v[2:3], v[6:7], v[2:3]
	s_waitcnt vmcnt(0)
	s_delay_alu instid0(VALU_DEP_2) | instskip(NEXT) | instid1(VALU_DEP_2)
	v_add_f64 v[4:5], v[12:13], -v[4:5]
	v_add_f64 v[2:3], v[10:11], -v[2:3]
	scratch_store_b128 off, v[2:5], off offset:96
	v_cmpx_lt_u32_e32 5, v138
	s_cbranch_execz .LBB47_291
; %bb.290:
	scratch_load_b128 v[5:8], v181, off
	v_mov_b32_e32 v2, v1
	v_mov_b32_e32 v3, v1
	;; [unrolled: 1-line block ×3, first 2 shown]
	scratch_store_b128 off, v[1:4], off offset:80
	s_waitcnt vmcnt(0)
	ds_store_b128 v186, v[5:8]
.LBB47_291:
	s_or_b32 exec_lo, exec_lo, s2
	s_waitcnt lgkmcnt(0)
	s_waitcnt_vscnt null, 0x0
	s_barrier
	buffer_gl0_inv
	s_clause 0x7
	scratch_load_b128 v[2:5], off, off offset:96
	scratch_load_b128 v[6:9], off, off offset:112
	;; [unrolled: 1-line block ×8, first 2 shown]
	ds_load_b128 v[38:41], v1 offset:864
	ds_load_b128 v[187:190], v1 offset:880
	s_clause 0x1
	scratch_load_b128 v[34:37], off, off offset:224
	scratch_load_b128 v[191:194], off, off offset:240
	s_mov_b32 s2, exec_lo
	s_waitcnt vmcnt(9) lgkmcnt(1)
	v_mul_f64 v[195:196], v[40:41], v[4:5]
	v_mul_f64 v[4:5], v[38:39], v[4:5]
	s_waitcnt vmcnt(8) lgkmcnt(0)
	v_mul_f64 v[197:198], v[187:188], v[8:9]
	v_mul_f64 v[8:9], v[189:190], v[8:9]
	s_delay_alu instid0(VALU_DEP_4) | instskip(NEXT) | instid1(VALU_DEP_4)
	v_fma_f64 v[195:196], v[38:39], v[2:3], -v[195:196]
	v_fma_f64 v[199:200], v[40:41], v[2:3], v[4:5]
	ds_load_b128 v[2:5], v1 offset:896
	scratch_load_b128 v[38:41], off, off offset:256
	v_fma_f64 v[197:198], v[189:190], v[6:7], v[197:198]
	v_fma_f64 v[203:204], v[187:188], v[6:7], -v[8:9]
	scratch_load_b128 v[187:190], off, off offset:272
	ds_load_b128 v[6:9], v1 offset:912
	s_waitcnt vmcnt(9) lgkmcnt(1)
	v_mul_f64 v[201:202], v[2:3], v[12:13]
	v_mul_f64 v[12:13], v[4:5], v[12:13]
	s_waitcnt vmcnt(8) lgkmcnt(0)
	v_mul_f64 v[205:206], v[6:7], v[16:17]
	v_mul_f64 v[16:17], v[8:9], v[16:17]
	v_add_f64 v[195:196], v[195:196], 0
	v_add_f64 v[199:200], v[199:200], 0
	v_fma_f64 v[201:202], v[4:5], v[10:11], v[201:202]
	v_fma_f64 v[207:208], v[2:3], v[10:11], -v[12:13]
	ds_load_b128 v[2:5], v1 offset:928
	scratch_load_b128 v[10:13], off, off offset:288
	v_add_f64 v[195:196], v[195:196], v[203:204]
	v_add_f64 v[197:198], v[199:200], v[197:198]
	v_fma_f64 v[203:204], v[8:9], v[14:15], v[205:206]
	v_fma_f64 v[205:206], v[6:7], v[14:15], -v[16:17]
	scratch_load_b128 v[14:17], off, off offset:304
	ds_load_b128 v[6:9], v1 offset:944
	s_waitcnt vmcnt(9) lgkmcnt(1)
	v_mul_f64 v[199:200], v[2:3], v[20:21]
	v_mul_f64 v[20:21], v[4:5], v[20:21]
	v_add_f64 v[195:196], v[195:196], v[207:208]
	v_add_f64 v[197:198], v[197:198], v[201:202]
	s_waitcnt vmcnt(8) lgkmcnt(0)
	v_mul_f64 v[201:202], v[6:7], v[24:25]
	v_mul_f64 v[24:25], v[8:9], v[24:25]
	v_fma_f64 v[199:200], v[4:5], v[18:19], v[199:200]
	v_fma_f64 v[207:208], v[2:3], v[18:19], -v[20:21]
	ds_load_b128 v[2:5], v1 offset:960
	scratch_load_b128 v[18:21], off, off offset:320
	v_add_f64 v[195:196], v[195:196], v[205:206]
	v_add_f64 v[197:198], v[197:198], v[203:204]
	v_fma_f64 v[201:202], v[8:9], v[22:23], v[201:202]
	v_fma_f64 v[205:206], v[6:7], v[22:23], -v[24:25]
	scratch_load_b128 v[22:25], off, off offset:336
	ds_load_b128 v[6:9], v1 offset:976
	s_waitcnt vmcnt(9) lgkmcnt(1)
	v_mul_f64 v[203:204], v[2:3], v[28:29]
	v_mul_f64 v[28:29], v[4:5], v[28:29]
	v_add_f64 v[195:196], v[195:196], v[207:208]
	v_add_f64 v[197:198], v[197:198], v[199:200]
	s_waitcnt vmcnt(8) lgkmcnt(0)
	v_mul_f64 v[199:200], v[6:7], v[32:33]
	v_mul_f64 v[32:33], v[8:9], v[32:33]
	;; [unrolled: 18-line block ×11, first 2 shown]
	v_fma_f64 v[203:204], v[4:5], v[18:19], v[203:204]
	v_fma_f64 v[207:208], v[2:3], v[18:19], -v[20:21]
	ds_load_b128 v[2:5], v1 offset:1280
	scratch_load_b128 v[18:21], off, off offset:640
	v_add_f64 v[195:196], v[195:196], v[205:206]
	v_add_f64 v[197:198], v[197:198], v[201:202]
	v_fma_f64 v[199:200], v[8:9], v[22:23], v[199:200]
	v_fma_f64 v[205:206], v[6:7], v[22:23], -v[24:25]
	ds_load_b128 v[6:9], v1 offset:1296
	s_waitcnt vmcnt(8) lgkmcnt(1)
	v_mul_f64 v[201:202], v[2:3], v[28:29]
	v_mul_f64 v[28:29], v[4:5], v[28:29]
	scratch_load_b128 v[22:25], off, off offset:656
	v_add_f64 v[195:196], v[195:196], v[207:208]
	v_add_f64 v[197:198], v[197:198], v[203:204]
	s_waitcnt vmcnt(8) lgkmcnt(0)
	v_mul_f64 v[203:204], v[6:7], v[32:33]
	v_mul_f64 v[32:33], v[8:9], v[32:33]
	v_fma_f64 v[201:202], v[4:5], v[26:27], v[201:202]
	v_fma_f64 v[207:208], v[2:3], v[26:27], -v[28:29]
	ds_load_b128 v[2:5], v1 offset:1312
	scratch_load_b128 v[26:29], off, off offset:672
	v_add_f64 v[195:196], v[195:196], v[205:206]
	v_add_f64 v[197:198], v[197:198], v[199:200]
	v_fma_f64 v[203:204], v[8:9], v[30:31], v[203:204]
	v_fma_f64 v[205:206], v[6:7], v[30:31], -v[32:33]
	ds_load_b128 v[6:9], v1 offset:1328
	s_waitcnt vmcnt(8) lgkmcnt(1)
	v_mul_f64 v[199:200], v[2:3], v[36:37]
	v_mul_f64 v[36:37], v[4:5], v[36:37]
	scratch_load_b128 v[30:33], off, off offset:688
	v_add_f64 v[195:196], v[195:196], v[207:208]
	v_add_f64 v[197:198], v[197:198], v[201:202]
	s_waitcnt vmcnt(8) lgkmcnt(0)
	v_mul_f64 v[201:202], v[6:7], v[193:194]
	v_mul_f64 v[193:194], v[8:9], v[193:194]
	v_fma_f64 v[199:200], v[4:5], v[34:35], v[199:200]
	v_fma_f64 v[207:208], v[2:3], v[34:35], -v[36:37]
	scratch_load_b128 v[34:37], off, off offset:704
	ds_load_b128 v[2:5], v1 offset:1344
	v_add_f64 v[195:196], v[195:196], v[205:206]
	v_add_f64 v[197:198], v[197:198], v[203:204]
	v_fma_f64 v[201:202], v[8:9], v[191:192], v[201:202]
	v_fma_f64 v[205:206], v[6:7], v[191:192], -v[193:194]
	ds_load_b128 v[6:9], v1 offset:1360
	s_waitcnt vmcnt(8) lgkmcnt(1)
	v_mul_f64 v[203:204], v[2:3], v[40:41]
	v_mul_f64 v[40:41], v[4:5], v[40:41]
	scratch_load_b128 v[191:194], off, off offset:720
	v_add_f64 v[195:196], v[195:196], v[207:208]
	v_add_f64 v[197:198], v[197:198], v[199:200]
	s_waitcnt vmcnt(8) lgkmcnt(0)
	v_mul_f64 v[199:200], v[6:7], v[189:190]
	v_mul_f64 v[189:190], v[8:9], v[189:190]
	v_fma_f64 v[203:204], v[4:5], v[38:39], v[203:204]
	v_fma_f64 v[207:208], v[2:3], v[38:39], -v[40:41]
	scratch_load_b128 v[38:41], off, off offset:736
	ds_load_b128 v[2:5], v1 offset:1376
	v_add_f64 v[195:196], v[195:196], v[205:206]
	v_add_f64 v[197:198], v[197:198], v[201:202]
	v_fma_f64 v[199:200], v[8:9], v[187:188], v[199:200]
	v_fma_f64 v[205:206], v[6:7], v[187:188], -v[189:190]
	ds_load_b128 v[6:9], v1 offset:1392
	s_waitcnt vmcnt(8) lgkmcnt(1)
	v_mul_f64 v[201:202], v[2:3], v[12:13]
	v_mul_f64 v[12:13], v[4:5], v[12:13]
	scratch_load_b128 v[187:190], off, off offset:752
	v_add_f64 v[195:196], v[195:196], v[207:208]
	v_add_f64 v[197:198], v[197:198], v[203:204]
	s_waitcnt vmcnt(8) lgkmcnt(0)
	v_mul_f64 v[203:204], v[6:7], v[16:17]
	v_mul_f64 v[16:17], v[8:9], v[16:17]
	v_fma_f64 v[201:202], v[4:5], v[10:11], v[201:202]
	v_fma_f64 v[10:11], v[2:3], v[10:11], -v[12:13]
	ds_load_b128 v[2:5], v1 offset:1408
	v_add_f64 v[12:13], v[195:196], v[205:206]
	v_add_f64 v[195:196], v[197:198], v[199:200]
	v_fma_f64 v[199:200], v[8:9], v[14:15], v[203:204]
	v_fma_f64 v[14:15], v[6:7], v[14:15], -v[16:17]
	ds_load_b128 v[6:9], v1 offset:1424
	s_waitcnt vmcnt(7) lgkmcnt(1)
	v_mul_f64 v[197:198], v[2:3], v[20:21]
	v_mul_f64 v[20:21], v[4:5], v[20:21]
	v_add_f64 v[10:11], v[12:13], v[10:11]
	v_add_f64 v[12:13], v[195:196], v[201:202]
	s_delay_alu instid0(VALU_DEP_4) | instskip(NEXT) | instid1(VALU_DEP_4)
	v_fma_f64 v[195:196], v[4:5], v[18:19], v[197:198]
	v_fma_f64 v[18:19], v[2:3], v[18:19], -v[20:21]
	ds_load_b128 v[2:5], v1 offset:1440
	v_add_f64 v[14:15], v[10:11], v[14:15]
	v_add_f64 v[20:21], v[12:13], v[199:200]
	scratch_load_b128 v[10:13], off, off offset:80
	s_waitcnt vmcnt(7) lgkmcnt(1)
	v_mul_f64 v[16:17], v[6:7], v[24:25]
	v_mul_f64 v[24:25], v[8:9], v[24:25]
	v_add_f64 v[14:15], v[14:15], v[18:19]
	v_add_f64 v[18:19], v[20:21], v[195:196]
	s_delay_alu instid0(VALU_DEP_4) | instskip(NEXT) | instid1(VALU_DEP_4)
	v_fma_f64 v[16:17], v[8:9], v[22:23], v[16:17]
	v_fma_f64 v[22:23], v[6:7], v[22:23], -v[24:25]
	ds_load_b128 v[6:9], v1 offset:1456
	s_waitcnt vmcnt(6) lgkmcnt(1)
	v_mul_f64 v[197:198], v[2:3], v[28:29]
	v_mul_f64 v[28:29], v[4:5], v[28:29]
	s_waitcnt vmcnt(5) lgkmcnt(0)
	v_mul_f64 v[20:21], v[6:7], v[32:33]
	v_mul_f64 v[24:25], v[8:9], v[32:33]
	v_add_f64 v[16:17], v[18:19], v[16:17]
	v_add_f64 v[14:15], v[14:15], v[22:23]
	v_fma_f64 v[32:33], v[4:5], v[26:27], v[197:198]
	v_fma_f64 v[26:27], v[2:3], v[26:27], -v[28:29]
	ds_load_b128 v[2:5], v1 offset:1472
	v_fma_f64 v[20:21], v[8:9], v[30:31], v[20:21]
	v_fma_f64 v[24:25], v[6:7], v[30:31], -v[24:25]
	ds_load_b128 v[6:9], v1 offset:1488
	s_waitcnt vmcnt(4) lgkmcnt(1)
	v_mul_f64 v[18:19], v[2:3], v[36:37]
	v_mul_f64 v[22:23], v[4:5], v[36:37]
	v_add_f64 v[16:17], v[16:17], v[32:33]
	v_add_f64 v[14:15], v[14:15], v[26:27]
	s_waitcnt vmcnt(3) lgkmcnt(0)
	v_mul_f64 v[26:27], v[6:7], v[193:194]
	v_mul_f64 v[28:29], v[8:9], v[193:194]
	v_fma_f64 v[18:19], v[4:5], v[34:35], v[18:19]
	v_fma_f64 v[22:23], v[2:3], v[34:35], -v[22:23]
	ds_load_b128 v[2:5], v1 offset:1504
	v_add_f64 v[16:17], v[16:17], v[20:21]
	v_add_f64 v[14:15], v[14:15], v[24:25]
	v_fma_f64 v[26:27], v[8:9], v[191:192], v[26:27]
	v_fma_f64 v[28:29], v[6:7], v[191:192], -v[28:29]
	ds_load_b128 v[6:9], v1 offset:1520
	s_waitcnt vmcnt(2) lgkmcnt(1)
	v_mul_f64 v[20:21], v[2:3], v[40:41]
	v_mul_f64 v[24:25], v[4:5], v[40:41]
	v_add_f64 v[16:17], v[16:17], v[18:19]
	v_add_f64 v[14:15], v[14:15], v[22:23]
	s_waitcnt vmcnt(1) lgkmcnt(0)
	v_mul_f64 v[18:19], v[6:7], v[189:190]
	v_mul_f64 v[22:23], v[8:9], v[189:190]
	v_fma_f64 v[4:5], v[4:5], v[38:39], v[20:21]
	v_fma_f64 v[1:2], v[2:3], v[38:39], -v[24:25]
	v_add_f64 v[16:17], v[16:17], v[26:27]
	v_add_f64 v[14:15], v[14:15], v[28:29]
	v_fma_f64 v[8:9], v[8:9], v[187:188], v[18:19]
	v_fma_f64 v[6:7], v[6:7], v[187:188], -v[22:23]
	s_delay_alu instid0(VALU_DEP_4) | instskip(NEXT) | instid1(VALU_DEP_4)
	v_add_f64 v[3:4], v[16:17], v[4:5]
	v_add_f64 v[1:2], v[14:15], v[1:2]
	s_delay_alu instid0(VALU_DEP_2) | instskip(NEXT) | instid1(VALU_DEP_2)
	v_add_f64 v[3:4], v[3:4], v[8:9]
	v_add_f64 v[1:2], v[1:2], v[6:7]
	s_waitcnt vmcnt(0)
	s_delay_alu instid0(VALU_DEP_2) | instskip(NEXT) | instid1(VALU_DEP_2)
	v_add_f64 v[3:4], v[12:13], -v[3:4]
	v_add_f64 v[1:2], v[10:11], -v[1:2]
	scratch_store_b128 off, v[1:4], off offset:80
	v_cmpx_lt_u32_e32 4, v138
	s_cbranch_execz .LBB47_293
; %bb.292:
	scratch_load_b128 v[1:4], v182, off
	v_mov_b32_e32 v5, 0
	s_delay_alu instid0(VALU_DEP_1)
	v_mov_b32_e32 v6, v5
	v_mov_b32_e32 v7, v5
	v_mov_b32_e32 v8, v5
	scratch_store_b128 off, v[5:8], off offset:64
	s_waitcnt vmcnt(0)
	ds_store_b128 v186, v[1:4]
.LBB47_293:
	s_or_b32 exec_lo, exec_lo, s2
	s_waitcnt lgkmcnt(0)
	s_waitcnt_vscnt null, 0x0
	s_barrier
	buffer_gl0_inv
	s_clause 0x7
	scratch_load_b128 v[2:5], off, off offset:80
	scratch_load_b128 v[6:9], off, off offset:96
	;; [unrolled: 1-line block ×8, first 2 shown]
	v_mov_b32_e32 v1, 0
	s_clause 0x1
	scratch_load_b128 v[34:37], off, off offset:208
	scratch_load_b128 v[191:194], off, off offset:224
	s_mov_b32 s2, exec_lo
	ds_load_b128 v[38:41], v1 offset:848
	ds_load_b128 v[187:190], v1 offset:864
	s_waitcnt vmcnt(9) lgkmcnt(1)
	v_mul_f64 v[195:196], v[40:41], v[4:5]
	v_mul_f64 v[4:5], v[38:39], v[4:5]
	s_waitcnt vmcnt(8) lgkmcnt(0)
	v_mul_f64 v[197:198], v[187:188], v[8:9]
	v_mul_f64 v[8:9], v[189:190], v[8:9]
	s_delay_alu instid0(VALU_DEP_4) | instskip(NEXT) | instid1(VALU_DEP_4)
	v_fma_f64 v[195:196], v[38:39], v[2:3], -v[195:196]
	v_fma_f64 v[199:200], v[40:41], v[2:3], v[4:5]
	ds_load_b128 v[2:5], v1 offset:880
	scratch_load_b128 v[38:41], off, off offset:240
	v_fma_f64 v[197:198], v[189:190], v[6:7], v[197:198]
	v_fma_f64 v[203:204], v[187:188], v[6:7], -v[8:9]
	scratch_load_b128 v[187:190], off, off offset:256
	ds_load_b128 v[6:9], v1 offset:896
	s_waitcnt vmcnt(9) lgkmcnt(1)
	v_mul_f64 v[201:202], v[2:3], v[12:13]
	v_mul_f64 v[12:13], v[4:5], v[12:13]
	s_waitcnt vmcnt(8) lgkmcnt(0)
	v_mul_f64 v[205:206], v[6:7], v[16:17]
	v_mul_f64 v[16:17], v[8:9], v[16:17]
	v_add_f64 v[195:196], v[195:196], 0
	v_add_f64 v[199:200], v[199:200], 0
	v_fma_f64 v[201:202], v[4:5], v[10:11], v[201:202]
	v_fma_f64 v[207:208], v[2:3], v[10:11], -v[12:13]
	ds_load_b128 v[2:5], v1 offset:912
	scratch_load_b128 v[10:13], off, off offset:272
	v_add_f64 v[195:196], v[195:196], v[203:204]
	v_add_f64 v[197:198], v[199:200], v[197:198]
	v_fma_f64 v[203:204], v[8:9], v[14:15], v[205:206]
	v_fma_f64 v[205:206], v[6:7], v[14:15], -v[16:17]
	scratch_load_b128 v[14:17], off, off offset:288
	ds_load_b128 v[6:9], v1 offset:928
	s_waitcnt vmcnt(9) lgkmcnt(1)
	v_mul_f64 v[199:200], v[2:3], v[20:21]
	v_mul_f64 v[20:21], v[4:5], v[20:21]
	v_add_f64 v[195:196], v[195:196], v[207:208]
	v_add_f64 v[197:198], v[197:198], v[201:202]
	s_waitcnt vmcnt(8) lgkmcnt(0)
	v_mul_f64 v[201:202], v[6:7], v[24:25]
	v_mul_f64 v[24:25], v[8:9], v[24:25]
	v_fma_f64 v[199:200], v[4:5], v[18:19], v[199:200]
	v_fma_f64 v[207:208], v[2:3], v[18:19], -v[20:21]
	ds_load_b128 v[2:5], v1 offset:944
	scratch_load_b128 v[18:21], off, off offset:304
	v_add_f64 v[195:196], v[195:196], v[205:206]
	v_add_f64 v[197:198], v[197:198], v[203:204]
	v_fma_f64 v[201:202], v[8:9], v[22:23], v[201:202]
	v_fma_f64 v[205:206], v[6:7], v[22:23], -v[24:25]
	scratch_load_b128 v[22:25], off, off offset:320
	ds_load_b128 v[6:9], v1 offset:960
	s_waitcnt vmcnt(9) lgkmcnt(1)
	v_mul_f64 v[203:204], v[2:3], v[28:29]
	v_mul_f64 v[28:29], v[4:5], v[28:29]
	v_add_f64 v[195:196], v[195:196], v[207:208]
	v_add_f64 v[197:198], v[197:198], v[199:200]
	s_waitcnt vmcnt(8) lgkmcnt(0)
	v_mul_f64 v[199:200], v[6:7], v[32:33]
	v_mul_f64 v[32:33], v[8:9], v[32:33]
	;; [unrolled: 18-line block ×12, first 2 shown]
	v_fma_f64 v[201:202], v[4:5], v[26:27], v[201:202]
	v_fma_f64 v[207:208], v[2:3], v[26:27], -v[28:29]
	ds_load_b128 v[2:5], v1 offset:1296
	scratch_load_b128 v[26:29], off, off offset:656
	v_add_f64 v[195:196], v[195:196], v[205:206]
	v_add_f64 v[197:198], v[197:198], v[199:200]
	v_fma_f64 v[203:204], v[8:9], v[30:31], v[203:204]
	v_fma_f64 v[205:206], v[6:7], v[30:31], -v[32:33]
	ds_load_b128 v[6:9], v1 offset:1312
	s_waitcnt vmcnt(8) lgkmcnt(1)
	v_mul_f64 v[199:200], v[2:3], v[36:37]
	v_mul_f64 v[36:37], v[4:5], v[36:37]
	scratch_load_b128 v[30:33], off, off offset:672
	v_add_f64 v[195:196], v[195:196], v[207:208]
	v_add_f64 v[197:198], v[197:198], v[201:202]
	s_waitcnt vmcnt(8) lgkmcnt(0)
	v_mul_f64 v[201:202], v[6:7], v[193:194]
	v_mul_f64 v[193:194], v[8:9], v[193:194]
	v_fma_f64 v[199:200], v[4:5], v[34:35], v[199:200]
	v_fma_f64 v[207:208], v[2:3], v[34:35], -v[36:37]
	scratch_load_b128 v[34:37], off, off offset:688
	ds_load_b128 v[2:5], v1 offset:1328
	v_add_f64 v[195:196], v[195:196], v[205:206]
	v_add_f64 v[197:198], v[197:198], v[203:204]
	v_fma_f64 v[201:202], v[8:9], v[191:192], v[201:202]
	v_fma_f64 v[205:206], v[6:7], v[191:192], -v[193:194]
	ds_load_b128 v[6:9], v1 offset:1344
	s_waitcnt vmcnt(8) lgkmcnt(1)
	v_mul_f64 v[203:204], v[2:3], v[40:41]
	v_mul_f64 v[40:41], v[4:5], v[40:41]
	scratch_load_b128 v[191:194], off, off offset:704
	v_add_f64 v[195:196], v[195:196], v[207:208]
	v_add_f64 v[197:198], v[197:198], v[199:200]
	s_waitcnt vmcnt(8) lgkmcnt(0)
	v_mul_f64 v[199:200], v[6:7], v[189:190]
	v_mul_f64 v[189:190], v[8:9], v[189:190]
	v_fma_f64 v[203:204], v[4:5], v[38:39], v[203:204]
	v_fma_f64 v[207:208], v[2:3], v[38:39], -v[40:41]
	scratch_load_b128 v[38:41], off, off offset:720
	ds_load_b128 v[2:5], v1 offset:1360
	v_add_f64 v[195:196], v[195:196], v[205:206]
	v_add_f64 v[197:198], v[197:198], v[201:202]
	v_fma_f64 v[199:200], v[8:9], v[187:188], v[199:200]
	v_fma_f64 v[205:206], v[6:7], v[187:188], -v[189:190]
	ds_load_b128 v[6:9], v1 offset:1376
	s_waitcnt vmcnt(8) lgkmcnt(1)
	v_mul_f64 v[201:202], v[2:3], v[12:13]
	v_mul_f64 v[12:13], v[4:5], v[12:13]
	scratch_load_b128 v[187:190], off, off offset:736
	v_add_f64 v[195:196], v[195:196], v[207:208]
	v_add_f64 v[197:198], v[197:198], v[203:204]
	s_waitcnt vmcnt(8) lgkmcnt(0)
	v_mul_f64 v[203:204], v[6:7], v[16:17]
	v_mul_f64 v[16:17], v[8:9], v[16:17]
	v_fma_f64 v[201:202], v[4:5], v[10:11], v[201:202]
	v_fma_f64 v[207:208], v[2:3], v[10:11], -v[12:13]
	scratch_load_b128 v[10:13], off, off offset:752
	ds_load_b128 v[2:5], v1 offset:1392
	v_add_f64 v[195:196], v[195:196], v[205:206]
	v_add_f64 v[197:198], v[197:198], v[199:200]
	v_fma_f64 v[203:204], v[8:9], v[14:15], v[203:204]
	v_fma_f64 v[14:15], v[6:7], v[14:15], -v[16:17]
	ds_load_b128 v[6:9], v1 offset:1408
	s_waitcnt vmcnt(8) lgkmcnt(1)
	v_mul_f64 v[199:200], v[2:3], v[20:21]
	v_mul_f64 v[20:21], v[4:5], v[20:21]
	v_add_f64 v[16:17], v[195:196], v[207:208]
	v_add_f64 v[195:196], v[197:198], v[201:202]
	s_waitcnt vmcnt(7) lgkmcnt(0)
	v_mul_f64 v[197:198], v[6:7], v[24:25]
	v_mul_f64 v[24:25], v[8:9], v[24:25]
	v_fma_f64 v[199:200], v[4:5], v[18:19], v[199:200]
	v_fma_f64 v[18:19], v[2:3], v[18:19], -v[20:21]
	ds_load_b128 v[2:5], v1 offset:1424
	v_add_f64 v[14:15], v[16:17], v[14:15]
	v_add_f64 v[16:17], v[195:196], v[203:204]
	v_fma_f64 v[195:196], v[8:9], v[22:23], v[197:198]
	v_fma_f64 v[22:23], v[6:7], v[22:23], -v[24:25]
	ds_load_b128 v[6:9], v1 offset:1440
	s_waitcnt vmcnt(5) lgkmcnt(0)
	v_mul_f64 v[197:198], v[6:7], v[32:33]
	v_mul_f64 v[32:33], v[8:9], v[32:33]
	v_add_f64 v[18:19], v[14:15], v[18:19]
	v_add_f64 v[24:25], v[16:17], v[199:200]
	scratch_load_b128 v[14:17], off, off offset:64
	v_mul_f64 v[20:21], v[2:3], v[28:29]
	v_mul_f64 v[28:29], v[4:5], v[28:29]
	v_add_f64 v[18:19], v[18:19], v[22:23]
	v_add_f64 v[22:23], v[24:25], v[195:196]
	s_delay_alu instid0(VALU_DEP_4) | instskip(NEXT) | instid1(VALU_DEP_4)
	v_fma_f64 v[20:21], v[4:5], v[26:27], v[20:21]
	v_fma_f64 v[26:27], v[2:3], v[26:27], -v[28:29]
	ds_load_b128 v[2:5], v1 offset:1456
	s_waitcnt vmcnt(5) lgkmcnt(0)
	v_mul_f64 v[24:25], v[2:3], v[36:37]
	v_mul_f64 v[28:29], v[4:5], v[36:37]
	v_fma_f64 v[36:37], v[8:9], v[30:31], v[197:198]
	v_fma_f64 v[30:31], v[6:7], v[30:31], -v[32:33]
	ds_load_b128 v[6:9], v1 offset:1472
	v_add_f64 v[20:21], v[22:23], v[20:21]
	v_add_f64 v[18:19], v[18:19], v[26:27]
	v_fma_f64 v[24:25], v[4:5], v[34:35], v[24:25]
	v_fma_f64 v[28:29], v[2:3], v[34:35], -v[28:29]
	ds_load_b128 v[2:5], v1 offset:1488
	s_waitcnt vmcnt(4) lgkmcnt(1)
	v_mul_f64 v[22:23], v[6:7], v[193:194]
	v_mul_f64 v[26:27], v[8:9], v[193:194]
	v_add_f64 v[20:21], v[20:21], v[36:37]
	v_add_f64 v[18:19], v[18:19], v[30:31]
	s_waitcnt vmcnt(3) lgkmcnt(0)
	v_mul_f64 v[30:31], v[2:3], v[40:41]
	v_mul_f64 v[32:33], v[4:5], v[40:41]
	v_fma_f64 v[22:23], v[8:9], v[191:192], v[22:23]
	v_fma_f64 v[26:27], v[6:7], v[191:192], -v[26:27]
	ds_load_b128 v[6:9], v1 offset:1504
	v_add_f64 v[20:21], v[20:21], v[24:25]
	v_add_f64 v[18:19], v[18:19], v[28:29]
	v_fma_f64 v[30:31], v[4:5], v[38:39], v[30:31]
	v_fma_f64 v[32:33], v[2:3], v[38:39], -v[32:33]
	ds_load_b128 v[2:5], v1 offset:1520
	s_waitcnt vmcnt(2) lgkmcnt(1)
	v_mul_f64 v[24:25], v[6:7], v[189:190]
	v_mul_f64 v[28:29], v[8:9], v[189:190]
	v_add_f64 v[20:21], v[20:21], v[22:23]
	v_add_f64 v[18:19], v[18:19], v[26:27]
	s_waitcnt vmcnt(1) lgkmcnt(0)
	v_mul_f64 v[22:23], v[2:3], v[12:13]
	v_mul_f64 v[12:13], v[4:5], v[12:13]
	v_fma_f64 v[8:9], v[8:9], v[187:188], v[24:25]
	v_fma_f64 v[6:7], v[6:7], v[187:188], -v[28:29]
	v_add_f64 v[20:21], v[20:21], v[30:31]
	v_add_f64 v[18:19], v[18:19], v[32:33]
	v_fma_f64 v[4:5], v[4:5], v[10:11], v[22:23]
	v_fma_f64 v[2:3], v[2:3], v[10:11], -v[12:13]
	s_delay_alu instid0(VALU_DEP_4) | instskip(NEXT) | instid1(VALU_DEP_4)
	v_add_f64 v[8:9], v[20:21], v[8:9]
	v_add_f64 v[6:7], v[18:19], v[6:7]
	s_delay_alu instid0(VALU_DEP_2) | instskip(NEXT) | instid1(VALU_DEP_2)
	v_add_f64 v[4:5], v[8:9], v[4:5]
	v_add_f64 v[2:3], v[6:7], v[2:3]
	s_waitcnt vmcnt(0)
	s_delay_alu instid0(VALU_DEP_2) | instskip(NEXT) | instid1(VALU_DEP_2)
	v_add_f64 v[4:5], v[16:17], -v[4:5]
	v_add_f64 v[2:3], v[14:15], -v[2:3]
	scratch_store_b128 off, v[2:5], off offset:64
	v_cmpx_lt_u32_e32 3, v138
	s_cbranch_execz .LBB47_295
; %bb.294:
	scratch_load_b128 v[5:8], v183, off
	v_mov_b32_e32 v2, v1
	v_mov_b32_e32 v3, v1
	;; [unrolled: 1-line block ×3, first 2 shown]
	scratch_store_b128 off, v[1:4], off offset:48
	s_waitcnt vmcnt(0)
	ds_store_b128 v186, v[5:8]
.LBB47_295:
	s_or_b32 exec_lo, exec_lo, s2
	s_waitcnt lgkmcnt(0)
	s_waitcnt_vscnt null, 0x0
	s_barrier
	buffer_gl0_inv
	s_clause 0x7
	scratch_load_b128 v[2:5], off, off offset:64
	scratch_load_b128 v[6:9], off, off offset:80
	;; [unrolled: 1-line block ×8, first 2 shown]
	ds_load_b128 v[38:41], v1 offset:832
	ds_load_b128 v[187:190], v1 offset:848
	s_clause 0x1
	scratch_load_b128 v[34:37], off, off offset:192
	scratch_load_b128 v[191:194], off, off offset:208
	s_mov_b32 s2, exec_lo
	s_waitcnt vmcnt(9) lgkmcnt(1)
	v_mul_f64 v[195:196], v[40:41], v[4:5]
	v_mul_f64 v[4:5], v[38:39], v[4:5]
	s_waitcnt vmcnt(8) lgkmcnt(0)
	v_mul_f64 v[197:198], v[187:188], v[8:9]
	v_mul_f64 v[8:9], v[189:190], v[8:9]
	s_delay_alu instid0(VALU_DEP_4) | instskip(NEXT) | instid1(VALU_DEP_4)
	v_fma_f64 v[195:196], v[38:39], v[2:3], -v[195:196]
	v_fma_f64 v[199:200], v[40:41], v[2:3], v[4:5]
	ds_load_b128 v[2:5], v1 offset:864
	scratch_load_b128 v[38:41], off, off offset:224
	v_fma_f64 v[197:198], v[189:190], v[6:7], v[197:198]
	v_fma_f64 v[203:204], v[187:188], v[6:7], -v[8:9]
	scratch_load_b128 v[187:190], off, off offset:240
	ds_load_b128 v[6:9], v1 offset:880
	s_waitcnt vmcnt(9) lgkmcnt(1)
	v_mul_f64 v[201:202], v[2:3], v[12:13]
	v_mul_f64 v[12:13], v[4:5], v[12:13]
	s_waitcnt vmcnt(8) lgkmcnt(0)
	v_mul_f64 v[205:206], v[6:7], v[16:17]
	v_mul_f64 v[16:17], v[8:9], v[16:17]
	v_add_f64 v[195:196], v[195:196], 0
	v_add_f64 v[199:200], v[199:200], 0
	v_fma_f64 v[201:202], v[4:5], v[10:11], v[201:202]
	v_fma_f64 v[207:208], v[2:3], v[10:11], -v[12:13]
	ds_load_b128 v[2:5], v1 offset:896
	scratch_load_b128 v[10:13], off, off offset:256
	v_add_f64 v[195:196], v[195:196], v[203:204]
	v_add_f64 v[197:198], v[199:200], v[197:198]
	v_fma_f64 v[203:204], v[8:9], v[14:15], v[205:206]
	v_fma_f64 v[205:206], v[6:7], v[14:15], -v[16:17]
	scratch_load_b128 v[14:17], off, off offset:272
	ds_load_b128 v[6:9], v1 offset:912
	s_waitcnt vmcnt(9) lgkmcnt(1)
	v_mul_f64 v[199:200], v[2:3], v[20:21]
	v_mul_f64 v[20:21], v[4:5], v[20:21]
	v_add_f64 v[195:196], v[195:196], v[207:208]
	v_add_f64 v[197:198], v[197:198], v[201:202]
	s_waitcnt vmcnt(8) lgkmcnt(0)
	v_mul_f64 v[201:202], v[6:7], v[24:25]
	v_mul_f64 v[24:25], v[8:9], v[24:25]
	v_fma_f64 v[199:200], v[4:5], v[18:19], v[199:200]
	v_fma_f64 v[207:208], v[2:3], v[18:19], -v[20:21]
	ds_load_b128 v[2:5], v1 offset:928
	scratch_load_b128 v[18:21], off, off offset:288
	v_add_f64 v[195:196], v[195:196], v[205:206]
	v_add_f64 v[197:198], v[197:198], v[203:204]
	v_fma_f64 v[201:202], v[8:9], v[22:23], v[201:202]
	v_fma_f64 v[205:206], v[6:7], v[22:23], -v[24:25]
	scratch_load_b128 v[22:25], off, off offset:304
	ds_load_b128 v[6:9], v1 offset:944
	s_waitcnt vmcnt(9) lgkmcnt(1)
	v_mul_f64 v[203:204], v[2:3], v[28:29]
	v_mul_f64 v[28:29], v[4:5], v[28:29]
	v_add_f64 v[195:196], v[195:196], v[207:208]
	v_add_f64 v[197:198], v[197:198], v[199:200]
	s_waitcnt vmcnt(8) lgkmcnt(0)
	v_mul_f64 v[199:200], v[6:7], v[32:33]
	v_mul_f64 v[32:33], v[8:9], v[32:33]
	;; [unrolled: 18-line block ×12, first 2 shown]
	v_fma_f64 v[201:202], v[4:5], v[26:27], v[201:202]
	v_fma_f64 v[207:208], v[2:3], v[26:27], -v[28:29]
	ds_load_b128 v[2:5], v1 offset:1280
	scratch_load_b128 v[26:29], off, off offset:640
	v_add_f64 v[195:196], v[195:196], v[205:206]
	v_add_f64 v[197:198], v[197:198], v[199:200]
	v_fma_f64 v[203:204], v[8:9], v[30:31], v[203:204]
	v_fma_f64 v[205:206], v[6:7], v[30:31], -v[32:33]
	ds_load_b128 v[6:9], v1 offset:1296
	s_waitcnt vmcnt(8) lgkmcnt(1)
	v_mul_f64 v[199:200], v[2:3], v[36:37]
	v_mul_f64 v[36:37], v[4:5], v[36:37]
	scratch_load_b128 v[30:33], off, off offset:656
	v_add_f64 v[195:196], v[195:196], v[207:208]
	v_add_f64 v[197:198], v[197:198], v[201:202]
	s_waitcnt vmcnt(8) lgkmcnt(0)
	v_mul_f64 v[201:202], v[6:7], v[193:194]
	v_mul_f64 v[193:194], v[8:9], v[193:194]
	v_fma_f64 v[199:200], v[4:5], v[34:35], v[199:200]
	v_fma_f64 v[207:208], v[2:3], v[34:35], -v[36:37]
	ds_load_b128 v[2:5], v1 offset:1312
	scratch_load_b128 v[34:37], off, off offset:672
	v_add_f64 v[195:196], v[195:196], v[205:206]
	v_add_f64 v[197:198], v[197:198], v[203:204]
	v_fma_f64 v[201:202], v[8:9], v[191:192], v[201:202]
	v_fma_f64 v[205:206], v[6:7], v[191:192], -v[193:194]
	ds_load_b128 v[6:9], v1 offset:1328
	s_waitcnt vmcnt(8) lgkmcnt(1)
	v_mul_f64 v[203:204], v[2:3], v[40:41]
	v_mul_f64 v[40:41], v[4:5], v[40:41]
	scratch_load_b128 v[191:194], off, off offset:688
	v_add_f64 v[195:196], v[195:196], v[207:208]
	v_add_f64 v[197:198], v[197:198], v[199:200]
	s_waitcnt vmcnt(8) lgkmcnt(0)
	v_mul_f64 v[199:200], v[6:7], v[189:190]
	v_mul_f64 v[189:190], v[8:9], v[189:190]
	v_fma_f64 v[203:204], v[4:5], v[38:39], v[203:204]
	v_fma_f64 v[207:208], v[2:3], v[38:39], -v[40:41]
	scratch_load_b128 v[38:41], off, off offset:704
	ds_load_b128 v[2:5], v1 offset:1344
	v_add_f64 v[195:196], v[195:196], v[205:206]
	v_add_f64 v[197:198], v[197:198], v[201:202]
	v_fma_f64 v[199:200], v[8:9], v[187:188], v[199:200]
	v_fma_f64 v[205:206], v[6:7], v[187:188], -v[189:190]
	ds_load_b128 v[6:9], v1 offset:1360
	s_waitcnt vmcnt(8) lgkmcnt(1)
	v_mul_f64 v[201:202], v[2:3], v[12:13]
	v_mul_f64 v[12:13], v[4:5], v[12:13]
	scratch_load_b128 v[187:190], off, off offset:720
	v_add_f64 v[195:196], v[195:196], v[207:208]
	v_add_f64 v[197:198], v[197:198], v[203:204]
	s_waitcnt vmcnt(8) lgkmcnt(0)
	v_mul_f64 v[203:204], v[6:7], v[16:17]
	v_mul_f64 v[16:17], v[8:9], v[16:17]
	v_fma_f64 v[201:202], v[4:5], v[10:11], v[201:202]
	v_fma_f64 v[207:208], v[2:3], v[10:11], -v[12:13]
	scratch_load_b128 v[10:13], off, off offset:736
	ds_load_b128 v[2:5], v1 offset:1376
	v_add_f64 v[195:196], v[195:196], v[205:206]
	v_add_f64 v[197:198], v[197:198], v[199:200]
	v_fma_f64 v[203:204], v[8:9], v[14:15], v[203:204]
	v_fma_f64 v[205:206], v[6:7], v[14:15], -v[16:17]
	ds_load_b128 v[6:9], v1 offset:1392
	s_waitcnt vmcnt(8) lgkmcnt(1)
	v_mul_f64 v[199:200], v[2:3], v[20:21]
	v_mul_f64 v[20:21], v[4:5], v[20:21]
	scratch_load_b128 v[14:17], off, off offset:752
	v_add_f64 v[195:196], v[195:196], v[207:208]
	v_add_f64 v[197:198], v[197:198], v[201:202]
	s_waitcnt vmcnt(8) lgkmcnt(0)
	v_mul_f64 v[201:202], v[6:7], v[24:25]
	v_mul_f64 v[24:25], v[8:9], v[24:25]
	v_fma_f64 v[199:200], v[4:5], v[18:19], v[199:200]
	v_fma_f64 v[18:19], v[2:3], v[18:19], -v[20:21]
	ds_load_b128 v[2:5], v1 offset:1408
	v_add_f64 v[20:21], v[195:196], v[205:206]
	v_add_f64 v[195:196], v[197:198], v[203:204]
	v_fma_f64 v[201:202], v[8:9], v[22:23], v[201:202]
	v_fma_f64 v[22:23], v[6:7], v[22:23], -v[24:25]
	ds_load_b128 v[6:9], v1 offset:1424
	s_waitcnt vmcnt(7) lgkmcnt(1)
	v_mul_f64 v[197:198], v[2:3], v[28:29]
	v_mul_f64 v[28:29], v[4:5], v[28:29]
	v_add_f64 v[18:19], v[20:21], v[18:19]
	v_add_f64 v[20:21], v[195:196], v[199:200]
	s_delay_alu instid0(VALU_DEP_4) | instskip(NEXT) | instid1(VALU_DEP_4)
	v_fma_f64 v[195:196], v[4:5], v[26:27], v[197:198]
	v_fma_f64 v[26:27], v[2:3], v[26:27], -v[28:29]
	ds_load_b128 v[2:5], v1 offset:1440
	v_add_f64 v[22:23], v[18:19], v[22:23]
	v_add_f64 v[28:29], v[20:21], v[201:202]
	scratch_load_b128 v[18:21], off, off offset:48
	s_waitcnt vmcnt(7) lgkmcnt(1)
	v_mul_f64 v[24:25], v[6:7], v[32:33]
	v_mul_f64 v[32:33], v[8:9], v[32:33]
	v_add_f64 v[22:23], v[22:23], v[26:27]
	v_add_f64 v[26:27], v[28:29], v[195:196]
	s_delay_alu instid0(VALU_DEP_4) | instskip(NEXT) | instid1(VALU_DEP_4)
	v_fma_f64 v[24:25], v[8:9], v[30:31], v[24:25]
	v_fma_f64 v[30:31], v[6:7], v[30:31], -v[32:33]
	ds_load_b128 v[6:9], v1 offset:1456
	s_waitcnt vmcnt(6) lgkmcnt(1)
	v_mul_f64 v[197:198], v[2:3], v[36:37]
	v_mul_f64 v[36:37], v[4:5], v[36:37]
	s_waitcnt vmcnt(5) lgkmcnt(0)
	v_mul_f64 v[28:29], v[6:7], v[193:194]
	v_mul_f64 v[32:33], v[8:9], v[193:194]
	v_add_f64 v[24:25], v[26:27], v[24:25]
	v_add_f64 v[22:23], v[22:23], v[30:31]
	v_fma_f64 v[193:194], v[4:5], v[34:35], v[197:198]
	v_fma_f64 v[34:35], v[2:3], v[34:35], -v[36:37]
	ds_load_b128 v[2:5], v1 offset:1472
	v_fma_f64 v[28:29], v[8:9], v[191:192], v[28:29]
	v_fma_f64 v[32:33], v[6:7], v[191:192], -v[32:33]
	ds_load_b128 v[6:9], v1 offset:1488
	s_waitcnt vmcnt(4) lgkmcnt(1)
	v_mul_f64 v[26:27], v[2:3], v[40:41]
	v_mul_f64 v[30:31], v[4:5], v[40:41]
	v_add_f64 v[24:25], v[24:25], v[193:194]
	v_add_f64 v[22:23], v[22:23], v[34:35]
	s_waitcnt vmcnt(3) lgkmcnt(0)
	v_mul_f64 v[34:35], v[6:7], v[189:190]
	v_mul_f64 v[36:37], v[8:9], v[189:190]
	v_fma_f64 v[26:27], v[4:5], v[38:39], v[26:27]
	v_fma_f64 v[30:31], v[2:3], v[38:39], -v[30:31]
	ds_load_b128 v[2:5], v1 offset:1504
	v_add_f64 v[24:25], v[24:25], v[28:29]
	v_add_f64 v[22:23], v[22:23], v[32:33]
	v_fma_f64 v[32:33], v[8:9], v[187:188], v[34:35]
	v_fma_f64 v[34:35], v[6:7], v[187:188], -v[36:37]
	ds_load_b128 v[6:9], v1 offset:1520
	s_waitcnt vmcnt(2) lgkmcnt(1)
	v_mul_f64 v[28:29], v[2:3], v[12:13]
	v_mul_f64 v[12:13], v[4:5], v[12:13]
	v_add_f64 v[24:25], v[24:25], v[26:27]
	v_add_f64 v[22:23], v[22:23], v[30:31]
	s_waitcnt vmcnt(1) lgkmcnt(0)
	v_mul_f64 v[26:27], v[6:7], v[16:17]
	v_mul_f64 v[16:17], v[8:9], v[16:17]
	v_fma_f64 v[4:5], v[4:5], v[10:11], v[28:29]
	v_fma_f64 v[1:2], v[2:3], v[10:11], -v[12:13]
	v_add_f64 v[12:13], v[24:25], v[32:33]
	v_add_f64 v[10:11], v[22:23], v[34:35]
	v_fma_f64 v[8:9], v[8:9], v[14:15], v[26:27]
	v_fma_f64 v[6:7], v[6:7], v[14:15], -v[16:17]
	s_delay_alu instid0(VALU_DEP_4) | instskip(NEXT) | instid1(VALU_DEP_4)
	v_add_f64 v[3:4], v[12:13], v[4:5]
	v_add_f64 v[1:2], v[10:11], v[1:2]
	s_delay_alu instid0(VALU_DEP_2) | instskip(NEXT) | instid1(VALU_DEP_2)
	v_add_f64 v[3:4], v[3:4], v[8:9]
	v_add_f64 v[1:2], v[1:2], v[6:7]
	s_waitcnt vmcnt(0)
	s_delay_alu instid0(VALU_DEP_2) | instskip(NEXT) | instid1(VALU_DEP_2)
	v_add_f64 v[3:4], v[20:21], -v[3:4]
	v_add_f64 v[1:2], v[18:19], -v[1:2]
	scratch_store_b128 off, v[1:4], off offset:48
	v_cmpx_lt_u32_e32 2, v138
	s_cbranch_execz .LBB47_297
; %bb.296:
	scratch_load_b128 v[1:4], v184, off
	v_mov_b32_e32 v5, 0
	s_delay_alu instid0(VALU_DEP_1)
	v_mov_b32_e32 v6, v5
	v_mov_b32_e32 v7, v5
	;; [unrolled: 1-line block ×3, first 2 shown]
	scratch_store_b128 off, v[5:8], off offset:32
	s_waitcnt vmcnt(0)
	ds_store_b128 v186, v[1:4]
.LBB47_297:
	s_or_b32 exec_lo, exec_lo, s2
	s_waitcnt lgkmcnt(0)
	s_waitcnt_vscnt null, 0x0
	s_barrier
	buffer_gl0_inv
	s_clause 0x7
	scratch_load_b128 v[2:5], off, off offset:48
	scratch_load_b128 v[6:9], off, off offset:64
	;; [unrolled: 1-line block ×8, first 2 shown]
	v_mov_b32_e32 v1, 0
	s_clause 0x1
	scratch_load_b128 v[34:37], off, off offset:176
	scratch_load_b128 v[191:194], off, off offset:192
	s_mov_b32 s2, exec_lo
	ds_load_b128 v[38:41], v1 offset:816
	ds_load_b128 v[187:190], v1 offset:832
	s_waitcnt vmcnt(9) lgkmcnt(1)
	v_mul_f64 v[195:196], v[40:41], v[4:5]
	v_mul_f64 v[4:5], v[38:39], v[4:5]
	s_waitcnt vmcnt(8) lgkmcnt(0)
	v_mul_f64 v[197:198], v[187:188], v[8:9]
	v_mul_f64 v[8:9], v[189:190], v[8:9]
	s_delay_alu instid0(VALU_DEP_4) | instskip(NEXT) | instid1(VALU_DEP_4)
	v_fma_f64 v[195:196], v[38:39], v[2:3], -v[195:196]
	v_fma_f64 v[199:200], v[40:41], v[2:3], v[4:5]
	ds_load_b128 v[2:5], v1 offset:848
	scratch_load_b128 v[38:41], off, off offset:208
	v_fma_f64 v[197:198], v[189:190], v[6:7], v[197:198]
	v_fma_f64 v[203:204], v[187:188], v[6:7], -v[8:9]
	scratch_load_b128 v[187:190], off, off offset:224
	ds_load_b128 v[6:9], v1 offset:864
	s_waitcnt vmcnt(9) lgkmcnt(1)
	v_mul_f64 v[201:202], v[2:3], v[12:13]
	v_mul_f64 v[12:13], v[4:5], v[12:13]
	s_waitcnt vmcnt(8) lgkmcnt(0)
	v_mul_f64 v[205:206], v[6:7], v[16:17]
	v_mul_f64 v[16:17], v[8:9], v[16:17]
	v_add_f64 v[195:196], v[195:196], 0
	v_add_f64 v[199:200], v[199:200], 0
	v_fma_f64 v[201:202], v[4:5], v[10:11], v[201:202]
	v_fma_f64 v[207:208], v[2:3], v[10:11], -v[12:13]
	ds_load_b128 v[2:5], v1 offset:880
	scratch_load_b128 v[10:13], off, off offset:240
	v_add_f64 v[195:196], v[195:196], v[203:204]
	v_add_f64 v[197:198], v[199:200], v[197:198]
	v_fma_f64 v[203:204], v[8:9], v[14:15], v[205:206]
	v_fma_f64 v[205:206], v[6:7], v[14:15], -v[16:17]
	scratch_load_b128 v[14:17], off, off offset:256
	ds_load_b128 v[6:9], v1 offset:896
	s_waitcnt vmcnt(9) lgkmcnt(1)
	v_mul_f64 v[199:200], v[2:3], v[20:21]
	v_mul_f64 v[20:21], v[4:5], v[20:21]
	v_add_f64 v[195:196], v[195:196], v[207:208]
	v_add_f64 v[197:198], v[197:198], v[201:202]
	s_waitcnt vmcnt(8) lgkmcnt(0)
	v_mul_f64 v[201:202], v[6:7], v[24:25]
	v_mul_f64 v[24:25], v[8:9], v[24:25]
	v_fma_f64 v[199:200], v[4:5], v[18:19], v[199:200]
	v_fma_f64 v[207:208], v[2:3], v[18:19], -v[20:21]
	ds_load_b128 v[2:5], v1 offset:912
	scratch_load_b128 v[18:21], off, off offset:272
	v_add_f64 v[195:196], v[195:196], v[205:206]
	v_add_f64 v[197:198], v[197:198], v[203:204]
	v_fma_f64 v[201:202], v[8:9], v[22:23], v[201:202]
	v_fma_f64 v[205:206], v[6:7], v[22:23], -v[24:25]
	scratch_load_b128 v[22:25], off, off offset:288
	ds_load_b128 v[6:9], v1 offset:928
	s_waitcnt vmcnt(9) lgkmcnt(1)
	v_mul_f64 v[203:204], v[2:3], v[28:29]
	v_mul_f64 v[28:29], v[4:5], v[28:29]
	v_add_f64 v[195:196], v[195:196], v[207:208]
	v_add_f64 v[197:198], v[197:198], v[199:200]
	s_waitcnt vmcnt(8) lgkmcnt(0)
	v_mul_f64 v[199:200], v[6:7], v[32:33]
	v_mul_f64 v[32:33], v[8:9], v[32:33]
	;; [unrolled: 18-line block ×13, first 2 shown]
	v_fma_f64 v[199:200], v[4:5], v[34:35], v[199:200]
	v_fma_f64 v[207:208], v[2:3], v[34:35], -v[36:37]
	ds_load_b128 v[2:5], v1 offset:1296
	scratch_load_b128 v[34:37], off, off offset:656
	v_add_f64 v[195:196], v[195:196], v[205:206]
	v_add_f64 v[197:198], v[197:198], v[203:204]
	v_fma_f64 v[201:202], v[8:9], v[191:192], v[201:202]
	v_fma_f64 v[205:206], v[6:7], v[191:192], -v[193:194]
	ds_load_b128 v[6:9], v1 offset:1312
	s_waitcnt vmcnt(8) lgkmcnt(1)
	v_mul_f64 v[203:204], v[2:3], v[40:41]
	v_mul_f64 v[40:41], v[4:5], v[40:41]
	scratch_load_b128 v[191:194], off, off offset:672
	v_add_f64 v[195:196], v[195:196], v[207:208]
	v_add_f64 v[197:198], v[197:198], v[199:200]
	s_waitcnt vmcnt(8) lgkmcnt(0)
	v_mul_f64 v[199:200], v[6:7], v[189:190]
	v_mul_f64 v[189:190], v[8:9], v[189:190]
	v_fma_f64 v[203:204], v[4:5], v[38:39], v[203:204]
	v_fma_f64 v[207:208], v[2:3], v[38:39], -v[40:41]
	scratch_load_b128 v[38:41], off, off offset:688
	ds_load_b128 v[2:5], v1 offset:1328
	v_add_f64 v[195:196], v[195:196], v[205:206]
	v_add_f64 v[197:198], v[197:198], v[201:202]
	v_fma_f64 v[199:200], v[8:9], v[187:188], v[199:200]
	v_fma_f64 v[205:206], v[6:7], v[187:188], -v[189:190]
	ds_load_b128 v[6:9], v1 offset:1344
	s_waitcnt vmcnt(8) lgkmcnt(1)
	v_mul_f64 v[201:202], v[2:3], v[12:13]
	v_mul_f64 v[12:13], v[4:5], v[12:13]
	scratch_load_b128 v[187:190], off, off offset:704
	v_add_f64 v[195:196], v[195:196], v[207:208]
	v_add_f64 v[197:198], v[197:198], v[203:204]
	s_waitcnt vmcnt(8) lgkmcnt(0)
	v_mul_f64 v[203:204], v[6:7], v[16:17]
	v_mul_f64 v[16:17], v[8:9], v[16:17]
	v_fma_f64 v[201:202], v[4:5], v[10:11], v[201:202]
	v_fma_f64 v[207:208], v[2:3], v[10:11], -v[12:13]
	scratch_load_b128 v[10:13], off, off offset:720
	ds_load_b128 v[2:5], v1 offset:1360
	;; [unrolled: 18-line block ×3, first 2 shown]
	v_add_f64 v[195:196], v[195:196], v[205:206]
	v_add_f64 v[197:198], v[197:198], v[203:204]
	v_fma_f64 v[201:202], v[8:9], v[22:23], v[201:202]
	v_fma_f64 v[22:23], v[6:7], v[22:23], -v[24:25]
	ds_load_b128 v[6:9], v1 offset:1408
	s_waitcnt vmcnt(8) lgkmcnt(1)
	v_mul_f64 v[203:204], v[2:3], v[28:29]
	v_mul_f64 v[28:29], v[4:5], v[28:29]
	v_add_f64 v[24:25], v[195:196], v[207:208]
	v_add_f64 v[195:196], v[197:198], v[199:200]
	s_waitcnt vmcnt(7) lgkmcnt(0)
	v_mul_f64 v[197:198], v[6:7], v[32:33]
	v_mul_f64 v[32:33], v[8:9], v[32:33]
	v_fma_f64 v[199:200], v[4:5], v[26:27], v[203:204]
	v_fma_f64 v[26:27], v[2:3], v[26:27], -v[28:29]
	ds_load_b128 v[2:5], v1 offset:1424
	v_add_f64 v[22:23], v[24:25], v[22:23]
	v_add_f64 v[24:25], v[195:196], v[201:202]
	v_fma_f64 v[195:196], v[8:9], v[30:31], v[197:198]
	v_fma_f64 v[30:31], v[6:7], v[30:31], -v[32:33]
	ds_load_b128 v[6:9], v1 offset:1440
	s_waitcnt vmcnt(5) lgkmcnt(0)
	v_mul_f64 v[197:198], v[6:7], v[193:194]
	v_mul_f64 v[193:194], v[8:9], v[193:194]
	v_add_f64 v[26:27], v[22:23], v[26:27]
	v_add_f64 v[32:33], v[24:25], v[199:200]
	scratch_load_b128 v[22:25], off, off offset:32
	v_mul_f64 v[28:29], v[2:3], v[36:37]
	v_mul_f64 v[36:37], v[4:5], v[36:37]
	v_add_f64 v[26:27], v[26:27], v[30:31]
	v_add_f64 v[30:31], v[32:33], v[195:196]
	s_delay_alu instid0(VALU_DEP_4) | instskip(NEXT) | instid1(VALU_DEP_4)
	v_fma_f64 v[28:29], v[4:5], v[34:35], v[28:29]
	v_fma_f64 v[34:35], v[2:3], v[34:35], -v[36:37]
	ds_load_b128 v[2:5], v1 offset:1456
	s_waitcnt vmcnt(5) lgkmcnt(0)
	v_mul_f64 v[32:33], v[2:3], v[40:41]
	v_mul_f64 v[36:37], v[4:5], v[40:41]
	v_fma_f64 v[40:41], v[8:9], v[191:192], v[197:198]
	v_fma_f64 v[191:192], v[6:7], v[191:192], -v[193:194]
	ds_load_b128 v[6:9], v1 offset:1472
	v_add_f64 v[28:29], v[30:31], v[28:29]
	v_add_f64 v[26:27], v[26:27], v[34:35]
	v_fma_f64 v[32:33], v[4:5], v[38:39], v[32:33]
	v_fma_f64 v[36:37], v[2:3], v[38:39], -v[36:37]
	ds_load_b128 v[2:5], v1 offset:1488
	s_waitcnt vmcnt(4) lgkmcnt(1)
	v_mul_f64 v[30:31], v[6:7], v[189:190]
	v_mul_f64 v[34:35], v[8:9], v[189:190]
	v_add_f64 v[28:29], v[28:29], v[40:41]
	v_add_f64 v[26:27], v[26:27], v[191:192]
	s_waitcnt vmcnt(3) lgkmcnt(0)
	v_mul_f64 v[38:39], v[2:3], v[12:13]
	v_mul_f64 v[12:13], v[4:5], v[12:13]
	v_fma_f64 v[30:31], v[8:9], v[187:188], v[30:31]
	v_fma_f64 v[34:35], v[6:7], v[187:188], -v[34:35]
	ds_load_b128 v[6:9], v1 offset:1504
	v_add_f64 v[28:29], v[28:29], v[32:33]
	v_add_f64 v[26:27], v[26:27], v[36:37]
	v_fma_f64 v[36:37], v[4:5], v[10:11], v[38:39]
	v_fma_f64 v[10:11], v[2:3], v[10:11], -v[12:13]
	ds_load_b128 v[2:5], v1 offset:1520
	s_waitcnt vmcnt(2) lgkmcnt(1)
	v_mul_f64 v[32:33], v[6:7], v[16:17]
	v_mul_f64 v[16:17], v[8:9], v[16:17]
	v_add_f64 v[12:13], v[26:27], v[34:35]
	v_add_f64 v[26:27], v[28:29], v[30:31]
	s_waitcnt vmcnt(1) lgkmcnt(0)
	v_mul_f64 v[28:29], v[2:3], v[20:21]
	v_mul_f64 v[20:21], v[4:5], v[20:21]
	v_fma_f64 v[8:9], v[8:9], v[14:15], v[32:33]
	v_fma_f64 v[6:7], v[6:7], v[14:15], -v[16:17]
	v_add_f64 v[10:11], v[12:13], v[10:11]
	v_add_f64 v[12:13], v[26:27], v[36:37]
	v_fma_f64 v[4:5], v[4:5], v[18:19], v[28:29]
	v_fma_f64 v[2:3], v[2:3], v[18:19], -v[20:21]
	s_delay_alu instid0(VALU_DEP_4) | instskip(NEXT) | instid1(VALU_DEP_4)
	v_add_f64 v[6:7], v[10:11], v[6:7]
	v_add_f64 v[8:9], v[12:13], v[8:9]
	s_delay_alu instid0(VALU_DEP_2) | instskip(NEXT) | instid1(VALU_DEP_2)
	v_add_f64 v[2:3], v[6:7], v[2:3]
	v_add_f64 v[4:5], v[8:9], v[4:5]
	s_waitcnt vmcnt(0)
	s_delay_alu instid0(VALU_DEP_2) | instskip(NEXT) | instid1(VALU_DEP_2)
	v_add_f64 v[2:3], v[22:23], -v[2:3]
	v_add_f64 v[4:5], v[24:25], -v[4:5]
	scratch_store_b128 off, v[2:5], off offset:32
	v_cmpx_lt_u32_e32 1, v138
	s_cbranch_execz .LBB47_299
; %bb.298:
	scratch_load_b128 v[5:8], v185, off
	v_mov_b32_e32 v2, v1
	v_mov_b32_e32 v3, v1
	;; [unrolled: 1-line block ×3, first 2 shown]
	scratch_store_b128 off, v[1:4], off offset:16
	s_waitcnt vmcnt(0)
	ds_store_b128 v186, v[5:8]
.LBB47_299:
	s_or_b32 exec_lo, exec_lo, s2
	s_waitcnt lgkmcnt(0)
	s_waitcnt_vscnt null, 0x0
	s_barrier
	buffer_gl0_inv
	s_clause 0x7
	scratch_load_b128 v[2:5], off, off offset:32
	scratch_load_b128 v[6:9], off, off offset:48
	;; [unrolled: 1-line block ×8, first 2 shown]
	ds_load_b128 v[38:41], v1 offset:800
	ds_load_b128 v[187:190], v1 offset:816
	s_clause 0x1
	scratch_load_b128 v[34:37], off, off offset:160
	scratch_load_b128 v[191:194], off, off offset:176
	s_mov_b32 s2, exec_lo
	s_waitcnt vmcnt(9) lgkmcnt(1)
	v_mul_f64 v[195:196], v[40:41], v[4:5]
	v_mul_f64 v[4:5], v[38:39], v[4:5]
	s_waitcnt vmcnt(8) lgkmcnt(0)
	v_mul_f64 v[197:198], v[187:188], v[8:9]
	v_mul_f64 v[8:9], v[189:190], v[8:9]
	s_delay_alu instid0(VALU_DEP_4) | instskip(NEXT) | instid1(VALU_DEP_4)
	v_fma_f64 v[195:196], v[38:39], v[2:3], -v[195:196]
	v_fma_f64 v[199:200], v[40:41], v[2:3], v[4:5]
	ds_load_b128 v[2:5], v1 offset:832
	scratch_load_b128 v[38:41], off, off offset:192
	v_fma_f64 v[197:198], v[189:190], v[6:7], v[197:198]
	v_fma_f64 v[203:204], v[187:188], v[6:7], -v[8:9]
	scratch_load_b128 v[187:190], off, off offset:208
	ds_load_b128 v[6:9], v1 offset:848
	s_waitcnt vmcnt(9) lgkmcnt(1)
	v_mul_f64 v[201:202], v[2:3], v[12:13]
	v_mul_f64 v[12:13], v[4:5], v[12:13]
	s_waitcnt vmcnt(8) lgkmcnt(0)
	v_mul_f64 v[205:206], v[6:7], v[16:17]
	v_mul_f64 v[16:17], v[8:9], v[16:17]
	v_add_f64 v[195:196], v[195:196], 0
	v_add_f64 v[199:200], v[199:200], 0
	v_fma_f64 v[201:202], v[4:5], v[10:11], v[201:202]
	v_fma_f64 v[207:208], v[2:3], v[10:11], -v[12:13]
	ds_load_b128 v[2:5], v1 offset:864
	scratch_load_b128 v[10:13], off, off offset:224
	v_add_f64 v[195:196], v[195:196], v[203:204]
	v_add_f64 v[197:198], v[199:200], v[197:198]
	v_fma_f64 v[203:204], v[8:9], v[14:15], v[205:206]
	v_fma_f64 v[205:206], v[6:7], v[14:15], -v[16:17]
	scratch_load_b128 v[14:17], off, off offset:240
	ds_load_b128 v[6:9], v1 offset:880
	s_waitcnt vmcnt(9) lgkmcnt(1)
	v_mul_f64 v[199:200], v[2:3], v[20:21]
	v_mul_f64 v[20:21], v[4:5], v[20:21]
	v_add_f64 v[195:196], v[195:196], v[207:208]
	v_add_f64 v[197:198], v[197:198], v[201:202]
	s_waitcnt vmcnt(8) lgkmcnt(0)
	v_mul_f64 v[201:202], v[6:7], v[24:25]
	v_mul_f64 v[24:25], v[8:9], v[24:25]
	v_fma_f64 v[199:200], v[4:5], v[18:19], v[199:200]
	v_fma_f64 v[207:208], v[2:3], v[18:19], -v[20:21]
	ds_load_b128 v[2:5], v1 offset:896
	scratch_load_b128 v[18:21], off, off offset:256
	v_add_f64 v[195:196], v[195:196], v[205:206]
	v_add_f64 v[197:198], v[197:198], v[203:204]
	v_fma_f64 v[201:202], v[8:9], v[22:23], v[201:202]
	v_fma_f64 v[205:206], v[6:7], v[22:23], -v[24:25]
	scratch_load_b128 v[22:25], off, off offset:272
	ds_load_b128 v[6:9], v1 offset:912
	s_waitcnt vmcnt(9) lgkmcnt(1)
	v_mul_f64 v[203:204], v[2:3], v[28:29]
	v_mul_f64 v[28:29], v[4:5], v[28:29]
	v_add_f64 v[195:196], v[195:196], v[207:208]
	v_add_f64 v[197:198], v[197:198], v[199:200]
	s_waitcnt vmcnt(8) lgkmcnt(0)
	v_mul_f64 v[199:200], v[6:7], v[32:33]
	v_mul_f64 v[32:33], v[8:9], v[32:33]
	;; [unrolled: 18-line block ×13, first 2 shown]
	v_fma_f64 v[199:200], v[4:5], v[34:35], v[199:200]
	v_fma_f64 v[207:208], v[2:3], v[34:35], -v[36:37]
	ds_load_b128 v[2:5], v1 offset:1280
	scratch_load_b128 v[34:37], off, off offset:640
	v_add_f64 v[195:196], v[195:196], v[205:206]
	v_add_f64 v[197:198], v[197:198], v[203:204]
	v_fma_f64 v[201:202], v[8:9], v[191:192], v[201:202]
	v_fma_f64 v[205:206], v[6:7], v[191:192], -v[193:194]
	ds_load_b128 v[6:9], v1 offset:1296
	s_waitcnt vmcnt(8) lgkmcnt(1)
	v_mul_f64 v[203:204], v[2:3], v[40:41]
	v_mul_f64 v[40:41], v[4:5], v[40:41]
	scratch_load_b128 v[191:194], off, off offset:656
	v_add_f64 v[195:196], v[195:196], v[207:208]
	v_add_f64 v[197:198], v[197:198], v[199:200]
	s_waitcnt vmcnt(8) lgkmcnt(0)
	v_mul_f64 v[199:200], v[6:7], v[189:190]
	v_mul_f64 v[189:190], v[8:9], v[189:190]
	v_fma_f64 v[203:204], v[4:5], v[38:39], v[203:204]
	v_fma_f64 v[207:208], v[2:3], v[38:39], -v[40:41]
	ds_load_b128 v[2:5], v1 offset:1312
	scratch_load_b128 v[38:41], off, off offset:672
	v_add_f64 v[195:196], v[195:196], v[205:206]
	v_add_f64 v[197:198], v[197:198], v[201:202]
	v_fma_f64 v[199:200], v[8:9], v[187:188], v[199:200]
	v_fma_f64 v[205:206], v[6:7], v[187:188], -v[189:190]
	ds_load_b128 v[6:9], v1 offset:1328
	s_waitcnt vmcnt(8) lgkmcnt(1)
	v_mul_f64 v[201:202], v[2:3], v[12:13]
	v_mul_f64 v[12:13], v[4:5], v[12:13]
	scratch_load_b128 v[187:190], off, off offset:688
	v_add_f64 v[195:196], v[195:196], v[207:208]
	v_add_f64 v[197:198], v[197:198], v[203:204]
	s_waitcnt vmcnt(8) lgkmcnt(0)
	v_mul_f64 v[203:204], v[6:7], v[16:17]
	v_mul_f64 v[16:17], v[8:9], v[16:17]
	v_fma_f64 v[201:202], v[4:5], v[10:11], v[201:202]
	v_fma_f64 v[207:208], v[2:3], v[10:11], -v[12:13]
	scratch_load_b128 v[10:13], off, off offset:704
	ds_load_b128 v[2:5], v1 offset:1344
	v_add_f64 v[195:196], v[195:196], v[205:206]
	v_add_f64 v[197:198], v[197:198], v[199:200]
	v_fma_f64 v[203:204], v[8:9], v[14:15], v[203:204]
	v_fma_f64 v[205:206], v[6:7], v[14:15], -v[16:17]
	ds_load_b128 v[6:9], v1 offset:1360
	s_waitcnt vmcnt(8) lgkmcnt(1)
	v_mul_f64 v[199:200], v[2:3], v[20:21]
	v_mul_f64 v[20:21], v[4:5], v[20:21]
	scratch_load_b128 v[14:17], off, off offset:720
	v_add_f64 v[195:196], v[195:196], v[207:208]
	v_add_f64 v[197:198], v[197:198], v[201:202]
	s_waitcnt vmcnt(8) lgkmcnt(0)
	v_mul_f64 v[201:202], v[6:7], v[24:25]
	v_mul_f64 v[24:25], v[8:9], v[24:25]
	v_fma_f64 v[199:200], v[4:5], v[18:19], v[199:200]
	v_fma_f64 v[207:208], v[2:3], v[18:19], -v[20:21]
	scratch_load_b128 v[18:21], off, off offset:736
	ds_load_b128 v[2:5], v1 offset:1376
	v_add_f64 v[195:196], v[195:196], v[205:206]
	v_add_f64 v[197:198], v[197:198], v[203:204]
	v_fma_f64 v[201:202], v[8:9], v[22:23], v[201:202]
	v_fma_f64 v[205:206], v[6:7], v[22:23], -v[24:25]
	ds_load_b128 v[6:9], v1 offset:1392
	s_waitcnt vmcnt(8) lgkmcnt(1)
	v_mul_f64 v[203:204], v[2:3], v[28:29]
	v_mul_f64 v[28:29], v[4:5], v[28:29]
	scratch_load_b128 v[22:25], off, off offset:752
	v_add_f64 v[195:196], v[195:196], v[207:208]
	v_add_f64 v[197:198], v[197:198], v[199:200]
	s_waitcnt vmcnt(8) lgkmcnt(0)
	v_mul_f64 v[199:200], v[6:7], v[32:33]
	v_mul_f64 v[32:33], v[8:9], v[32:33]
	v_fma_f64 v[203:204], v[4:5], v[26:27], v[203:204]
	v_fma_f64 v[26:27], v[2:3], v[26:27], -v[28:29]
	ds_load_b128 v[2:5], v1 offset:1408
	v_add_f64 v[28:29], v[195:196], v[205:206]
	v_add_f64 v[195:196], v[197:198], v[201:202]
	v_fma_f64 v[199:200], v[8:9], v[30:31], v[199:200]
	v_fma_f64 v[30:31], v[6:7], v[30:31], -v[32:33]
	ds_load_b128 v[6:9], v1 offset:1424
	s_waitcnt vmcnt(7) lgkmcnt(1)
	v_mul_f64 v[197:198], v[2:3], v[36:37]
	v_mul_f64 v[36:37], v[4:5], v[36:37]
	v_add_f64 v[26:27], v[28:29], v[26:27]
	v_add_f64 v[28:29], v[195:196], v[203:204]
	s_delay_alu instid0(VALU_DEP_4) | instskip(NEXT) | instid1(VALU_DEP_4)
	v_fma_f64 v[195:196], v[4:5], v[34:35], v[197:198]
	v_fma_f64 v[34:35], v[2:3], v[34:35], -v[36:37]
	ds_load_b128 v[2:5], v1 offset:1440
	v_add_f64 v[30:31], v[26:27], v[30:31]
	v_add_f64 v[36:37], v[28:29], v[199:200]
	scratch_load_b128 v[26:29], off, off offset:16
	s_waitcnt vmcnt(7) lgkmcnt(1)
	v_mul_f64 v[32:33], v[6:7], v[193:194]
	v_mul_f64 v[193:194], v[8:9], v[193:194]
	v_add_f64 v[30:31], v[30:31], v[34:35]
	v_add_f64 v[34:35], v[36:37], v[195:196]
	s_delay_alu instid0(VALU_DEP_4) | instskip(NEXT) | instid1(VALU_DEP_4)
	v_fma_f64 v[32:33], v[8:9], v[191:192], v[32:33]
	v_fma_f64 v[191:192], v[6:7], v[191:192], -v[193:194]
	ds_load_b128 v[6:9], v1 offset:1456
	s_waitcnt vmcnt(6) lgkmcnt(1)
	v_mul_f64 v[197:198], v[2:3], v[40:41]
	v_mul_f64 v[40:41], v[4:5], v[40:41]
	s_waitcnt vmcnt(5) lgkmcnt(0)
	v_mul_f64 v[36:37], v[6:7], v[189:190]
	v_mul_f64 v[189:190], v[8:9], v[189:190]
	v_add_f64 v[32:33], v[34:35], v[32:33]
	v_add_f64 v[30:31], v[30:31], v[191:192]
	v_fma_f64 v[193:194], v[4:5], v[38:39], v[197:198]
	v_fma_f64 v[38:39], v[2:3], v[38:39], -v[40:41]
	ds_load_b128 v[2:5], v1 offset:1472
	v_fma_f64 v[36:37], v[8:9], v[187:188], v[36:37]
	v_fma_f64 v[40:41], v[6:7], v[187:188], -v[189:190]
	ds_load_b128 v[6:9], v1 offset:1488
	s_waitcnt vmcnt(4) lgkmcnt(1)
	v_mul_f64 v[34:35], v[2:3], v[12:13]
	v_mul_f64 v[12:13], v[4:5], v[12:13]
	v_add_f64 v[32:33], v[32:33], v[193:194]
	v_add_f64 v[30:31], v[30:31], v[38:39]
	s_waitcnt vmcnt(3) lgkmcnt(0)
	v_mul_f64 v[38:39], v[6:7], v[16:17]
	v_mul_f64 v[16:17], v[8:9], v[16:17]
	v_fma_f64 v[34:35], v[4:5], v[10:11], v[34:35]
	v_fma_f64 v[10:11], v[2:3], v[10:11], -v[12:13]
	ds_load_b128 v[2:5], v1 offset:1504
	v_add_f64 v[12:13], v[30:31], v[40:41]
	v_add_f64 v[30:31], v[32:33], v[36:37]
	v_fma_f64 v[36:37], v[8:9], v[14:15], v[38:39]
	v_fma_f64 v[14:15], v[6:7], v[14:15], -v[16:17]
	ds_load_b128 v[6:9], v1 offset:1520
	s_waitcnt vmcnt(2) lgkmcnt(1)
	v_mul_f64 v[32:33], v[2:3], v[20:21]
	v_mul_f64 v[20:21], v[4:5], v[20:21]
	s_waitcnt vmcnt(1) lgkmcnt(0)
	v_mul_f64 v[16:17], v[6:7], v[24:25]
	v_mul_f64 v[24:25], v[8:9], v[24:25]
	v_add_f64 v[10:11], v[12:13], v[10:11]
	v_add_f64 v[12:13], v[30:31], v[34:35]
	v_fma_f64 v[4:5], v[4:5], v[18:19], v[32:33]
	v_fma_f64 v[1:2], v[2:3], v[18:19], -v[20:21]
	v_fma_f64 v[8:9], v[8:9], v[22:23], v[16:17]
	v_fma_f64 v[6:7], v[6:7], v[22:23], -v[24:25]
	v_add_f64 v[10:11], v[10:11], v[14:15]
	v_add_f64 v[12:13], v[12:13], v[36:37]
	s_delay_alu instid0(VALU_DEP_2) | instskip(NEXT) | instid1(VALU_DEP_2)
	v_add_f64 v[1:2], v[10:11], v[1:2]
	v_add_f64 v[3:4], v[12:13], v[4:5]
	s_delay_alu instid0(VALU_DEP_2) | instskip(NEXT) | instid1(VALU_DEP_2)
	v_add_f64 v[1:2], v[1:2], v[6:7]
	v_add_f64 v[3:4], v[3:4], v[8:9]
	s_waitcnt vmcnt(0)
	s_delay_alu instid0(VALU_DEP_2) | instskip(NEXT) | instid1(VALU_DEP_2)
	v_add_f64 v[1:2], v[26:27], -v[1:2]
	v_add_f64 v[3:4], v[28:29], -v[3:4]
	scratch_store_b128 off, v[1:4], off offset:16
	v_cmpx_ne_u32_e32 0, v138
	s_cbranch_execz .LBB47_301
; %bb.300:
	scratch_load_b128 v[1:4], off, off
	v_mov_b32_e32 v5, 0
	s_delay_alu instid0(VALU_DEP_1)
	v_mov_b32_e32 v6, v5
	v_mov_b32_e32 v7, v5
	;; [unrolled: 1-line block ×3, first 2 shown]
	scratch_store_b128 off, v[5:8], off
	s_waitcnt vmcnt(0)
	ds_store_b128 v186, v[1:4]
.LBB47_301:
	s_or_b32 exec_lo, exec_lo, s2
	s_waitcnt lgkmcnt(0)
	s_waitcnt_vscnt null, 0x0
	s_barrier
	buffer_gl0_inv
	s_clause 0x7
	scratch_load_b128 v[1:4], off, off offset:16
	scratch_load_b128 v[5:8], off, off offset:32
	;; [unrolled: 1-line block ×8, first 2 shown]
	v_mov_b32_e32 v41, 0
	s_and_b32 vcc_lo, exec_lo, s20
	ds_load_b128 v[37:40], v41 offset:784
	s_clause 0x1
	scratch_load_b128 v[33:36], off, off offset:144
	scratch_load_b128 v[186:189], off, off
	ds_load_b128 v[190:193], v41 offset:800
	scratch_load_b128 v[194:197], off, off offset:160
	s_waitcnt vmcnt(10) lgkmcnt(1)
	v_mul_f64 v[198:199], v[39:40], v[3:4]
	v_mul_f64 v[3:4], v[37:38], v[3:4]
	s_delay_alu instid0(VALU_DEP_2) | instskip(NEXT) | instid1(VALU_DEP_2)
	v_fma_f64 v[204:205], v[37:38], v[1:2], -v[198:199]
	v_fma_f64 v[206:207], v[39:40], v[1:2], v[3:4]
	scratch_load_b128 v[37:40], off, off offset:176
	ds_load_b128 v[1:4], v41 offset:816
	s_waitcnt vmcnt(10) lgkmcnt(1)
	v_mul_f64 v[202:203], v[190:191], v[7:8]
	v_mul_f64 v[7:8], v[192:193], v[7:8]
	ds_load_b128 v[198:201], v41 offset:832
	s_waitcnt vmcnt(9) lgkmcnt(1)
	v_mul_f64 v[208:209], v[1:2], v[11:12]
	v_mul_f64 v[11:12], v[3:4], v[11:12]
	v_fma_f64 v[192:193], v[192:193], v[5:6], v[202:203]
	v_fma_f64 v[190:191], v[190:191], v[5:6], -v[7:8]
	v_add_f64 v[202:203], v[204:205], 0
	v_add_f64 v[204:205], v[206:207], 0
	scratch_load_b128 v[5:8], off, off offset:192
	v_fma_f64 v[208:209], v[3:4], v[9:10], v[208:209]
	v_fma_f64 v[210:211], v[1:2], v[9:10], -v[11:12]
	scratch_load_b128 v[9:12], off, off offset:208
	ds_load_b128 v[1:4], v41 offset:848
	s_waitcnt vmcnt(10) lgkmcnt(1)
	v_mul_f64 v[206:207], v[198:199], v[15:16]
	v_mul_f64 v[15:16], v[200:201], v[15:16]
	v_add_f64 v[202:203], v[202:203], v[190:191]
	v_add_f64 v[204:205], v[204:205], v[192:193]
	s_waitcnt vmcnt(9) lgkmcnt(0)
	v_mul_f64 v[212:213], v[1:2], v[19:20]
	v_mul_f64 v[19:20], v[3:4], v[19:20]
	ds_load_b128 v[190:193], v41 offset:864
	v_fma_f64 v[200:201], v[200:201], v[13:14], v[206:207]
	v_fma_f64 v[198:199], v[198:199], v[13:14], -v[15:16]
	scratch_load_b128 v[13:16], off, off offset:224
	v_add_f64 v[202:203], v[202:203], v[210:211]
	v_add_f64 v[204:205], v[204:205], v[208:209]
	v_fma_f64 v[208:209], v[3:4], v[17:18], v[212:213]
	v_fma_f64 v[210:211], v[1:2], v[17:18], -v[19:20]
	scratch_load_b128 v[17:20], off, off offset:240
	ds_load_b128 v[1:4], v41 offset:880
	s_waitcnt vmcnt(10) lgkmcnt(1)
	v_mul_f64 v[206:207], v[190:191], v[23:24]
	v_mul_f64 v[23:24], v[192:193], v[23:24]
	s_waitcnt vmcnt(9) lgkmcnt(0)
	v_mul_f64 v[212:213], v[1:2], v[27:28]
	v_mul_f64 v[27:28], v[3:4], v[27:28]
	v_add_f64 v[202:203], v[202:203], v[198:199]
	v_add_f64 v[204:205], v[204:205], v[200:201]
	ds_load_b128 v[198:201], v41 offset:896
	v_fma_f64 v[192:193], v[192:193], v[21:22], v[206:207]
	v_fma_f64 v[190:191], v[190:191], v[21:22], -v[23:24]
	scratch_load_b128 v[21:24], off, off offset:256
	v_add_f64 v[202:203], v[202:203], v[210:211]
	v_add_f64 v[204:205], v[204:205], v[208:209]
	v_fma_f64 v[208:209], v[3:4], v[25:26], v[212:213]
	v_fma_f64 v[210:211], v[1:2], v[25:26], -v[27:28]
	scratch_load_b128 v[25:28], off, off offset:272
	ds_load_b128 v[1:4], v41 offset:912
	s_waitcnt vmcnt(10) lgkmcnt(1)
	v_mul_f64 v[206:207], v[198:199], v[31:32]
	v_mul_f64 v[31:32], v[200:201], v[31:32]
	s_waitcnt vmcnt(9) lgkmcnt(0)
	v_mul_f64 v[212:213], v[1:2], v[35:36]
	v_mul_f64 v[35:36], v[3:4], v[35:36]
	v_add_f64 v[202:203], v[202:203], v[190:191]
	v_add_f64 v[204:205], v[204:205], v[192:193]
	ds_load_b128 v[190:193], v41 offset:928
	v_fma_f64 v[200:201], v[200:201], v[29:30], v[206:207]
	v_fma_f64 v[198:199], v[198:199], v[29:30], -v[31:32]
	scratch_load_b128 v[29:32], off, off offset:288
	v_add_f64 v[202:203], v[202:203], v[210:211]
	v_add_f64 v[204:205], v[204:205], v[208:209]
	v_fma_f64 v[210:211], v[3:4], v[33:34], v[212:213]
	v_fma_f64 v[212:213], v[1:2], v[33:34], -v[35:36]
	scratch_load_b128 v[33:36], off, off offset:304
	ds_load_b128 v[1:4], v41 offset:944
	s_waitcnt vmcnt(9) lgkmcnt(1)
	v_mul_f64 v[206:207], v[190:191], v[196:197]
	v_mul_f64 v[208:209], v[192:193], v[196:197]
	v_add_f64 v[202:203], v[202:203], v[198:199]
	v_add_f64 v[200:201], v[204:205], v[200:201]
	ds_load_b128 v[196:199], v41 offset:960
	v_fma_f64 v[206:207], v[192:193], v[194:195], v[206:207]
	v_fma_f64 v[194:195], v[190:191], v[194:195], -v[208:209]
	scratch_load_b128 v[190:193], off, off offset:320
	s_waitcnt vmcnt(9) lgkmcnt(1)
	v_mul_f64 v[204:205], v[1:2], v[39:40]
	v_mul_f64 v[39:40], v[3:4], v[39:40]
	v_add_f64 v[202:203], v[202:203], v[212:213]
	v_add_f64 v[200:201], v[200:201], v[210:211]
	s_delay_alu instid0(VALU_DEP_4) | instskip(NEXT) | instid1(VALU_DEP_4)
	v_fma_f64 v[204:205], v[3:4], v[37:38], v[204:205]
	v_fma_f64 v[210:211], v[1:2], v[37:38], -v[39:40]
	scratch_load_b128 v[37:40], off, off offset:336
	ds_load_b128 v[1:4], v41 offset:976
	s_waitcnt vmcnt(9) lgkmcnt(1)
	v_mul_f64 v[208:209], v[196:197], v[7:8]
	v_mul_f64 v[7:8], v[198:199], v[7:8]
	s_waitcnt vmcnt(8) lgkmcnt(0)
	v_mul_f64 v[212:213], v[1:2], v[11:12]
	v_mul_f64 v[11:12], v[3:4], v[11:12]
	v_add_f64 v[194:195], v[202:203], v[194:195]
	v_add_f64 v[206:207], v[200:201], v[206:207]
	ds_load_b128 v[200:203], v41 offset:992
	v_fma_f64 v[198:199], v[198:199], v[5:6], v[208:209]
	v_fma_f64 v[196:197], v[196:197], v[5:6], -v[7:8]
	scratch_load_b128 v[5:8], off, off offset:352
	v_fma_f64 v[208:209], v[3:4], v[9:10], v[212:213]
	v_add_f64 v[194:195], v[194:195], v[210:211]
	v_add_f64 v[204:205], v[206:207], v[204:205]
	v_fma_f64 v[210:211], v[1:2], v[9:10], -v[11:12]
	scratch_load_b128 v[9:12], off, off offset:368
	ds_load_b128 v[1:4], v41 offset:1008
	s_waitcnt vmcnt(9) lgkmcnt(1)
	v_mul_f64 v[206:207], v[200:201], v[15:16]
	v_mul_f64 v[15:16], v[202:203], v[15:16]
	v_add_f64 v[212:213], v[194:195], v[196:197]
	v_add_f64 v[198:199], v[204:205], v[198:199]
	s_waitcnt vmcnt(8) lgkmcnt(0)
	v_mul_f64 v[204:205], v[1:2], v[19:20]
	v_mul_f64 v[19:20], v[3:4], v[19:20]
	ds_load_b128 v[194:197], v41 offset:1024
	v_fma_f64 v[202:203], v[202:203], v[13:14], v[206:207]
	v_fma_f64 v[200:201], v[200:201], v[13:14], -v[15:16]
	scratch_load_b128 v[13:16], off, off offset:384
	v_add_f64 v[206:207], v[212:213], v[210:211]
	v_add_f64 v[198:199], v[198:199], v[208:209]
	v_fma_f64 v[204:205], v[3:4], v[17:18], v[204:205]
	v_fma_f64 v[210:211], v[1:2], v[17:18], -v[19:20]
	scratch_load_b128 v[17:20], off, off offset:400
	ds_load_b128 v[1:4], v41 offset:1040
	s_waitcnt vmcnt(9) lgkmcnt(1)
	v_mul_f64 v[208:209], v[194:195], v[23:24]
	v_mul_f64 v[23:24], v[196:197], v[23:24]
	s_waitcnt vmcnt(8) lgkmcnt(0)
	v_mul_f64 v[212:213], v[1:2], v[27:28]
	v_mul_f64 v[27:28], v[3:4], v[27:28]
	v_add_f64 v[206:207], v[206:207], v[200:201]
	v_add_f64 v[202:203], v[198:199], v[202:203]
	ds_load_b128 v[198:201], v41 offset:1056
	v_fma_f64 v[196:197], v[196:197], v[21:22], v[208:209]
	v_fma_f64 v[194:195], v[194:195], v[21:22], -v[23:24]
	scratch_load_b128 v[21:24], off, off offset:416
	v_fma_f64 v[208:209], v[3:4], v[25:26], v[212:213]
	v_add_f64 v[206:207], v[206:207], v[210:211]
	v_add_f64 v[202:203], v[202:203], v[204:205]
	v_fma_f64 v[210:211], v[1:2], v[25:26], -v[27:28]
	scratch_load_b128 v[25:28], off, off offset:432
	ds_load_b128 v[1:4], v41 offset:1072
	s_waitcnt vmcnt(9) lgkmcnt(1)
	v_mul_f64 v[204:205], v[198:199], v[31:32]
	v_mul_f64 v[31:32], v[200:201], v[31:32]
	s_waitcnt vmcnt(8) lgkmcnt(0)
	v_mul_f64 v[212:213], v[1:2], v[35:36]
	v_mul_f64 v[35:36], v[3:4], v[35:36]
	v_add_f64 v[206:207], v[206:207], v[194:195]
	v_add_f64 v[202:203], v[202:203], v[196:197]
	ds_load_b128 v[194:197], v41 offset:1088
	v_fma_f64 v[200:201], v[200:201], v[29:30], v[204:205]
	v_fma_f64 v[198:199], v[198:199], v[29:30], -v[31:32]
	scratch_load_b128 v[29:32], off, off offset:448
	v_add_f64 v[204:205], v[206:207], v[210:211]
	v_add_f64 v[202:203], v[202:203], v[208:209]
	v_fma_f64 v[208:209], v[3:4], v[33:34], v[212:213]
	v_fma_f64 v[210:211], v[1:2], v[33:34], -v[35:36]
	scratch_load_b128 v[33:36], off, off offset:464
	ds_load_b128 v[1:4], v41 offset:1104
	s_waitcnt vmcnt(9) lgkmcnt(1)
	v_mul_f64 v[206:207], v[194:195], v[192:193]
	v_mul_f64 v[192:193], v[196:197], v[192:193]
	s_waitcnt vmcnt(8) lgkmcnt(0)
	v_mul_f64 v[212:213], v[1:2], v[39:40]
	v_mul_f64 v[39:40], v[3:4], v[39:40]
	v_add_f64 v[204:205], v[204:205], v[198:199]
	v_add_f64 v[202:203], v[202:203], v[200:201]
	ds_load_b128 v[198:201], v41 offset:1120
	v_fma_f64 v[196:197], v[196:197], v[190:191], v[206:207]
	v_fma_f64 v[194:195], v[194:195], v[190:191], -v[192:193]
	scratch_load_b128 v[190:193], off, off offset:480
	v_add_f64 v[204:205], v[204:205], v[210:211]
	v_add_f64 v[202:203], v[202:203], v[208:209]
	v_fma_f64 v[208:209], v[3:4], v[37:38], v[212:213]
	;; [unrolled: 18-line block ×6, first 2 shown]
	v_fma_f64 v[212:213], v[1:2], v[33:34], -v[35:36]
	scratch_load_b128 v[33:36], off, off offset:624
	ds_load_b128 v[1:4], v41 offset:1264
	s_waitcnt vmcnt(9) lgkmcnt(1)
	v_mul_f64 v[206:207], v[198:199], v[192:193]
	v_mul_f64 v[208:209], v[200:201], v[192:193]
	v_add_f64 v[204:205], v[204:205], v[194:195]
	v_add_f64 v[196:197], v[202:203], v[196:197]
	s_waitcnt vmcnt(8) lgkmcnt(0)
	v_mul_f64 v[202:203], v[1:2], v[39:40]
	v_mul_f64 v[39:40], v[3:4], v[39:40]
	ds_load_b128 v[192:195], v41 offset:1280
	v_fma_f64 v[200:201], v[200:201], v[190:191], v[206:207]
	v_fma_f64 v[190:191], v[198:199], v[190:191], -v[208:209]
	v_add_f64 v[204:205], v[204:205], v[212:213]
	v_add_f64 v[206:207], v[196:197], v[210:211]
	scratch_load_b128 v[196:199], off, off offset:640
	v_fma_f64 v[210:211], v[3:4], v[37:38], v[202:203]
	v_fma_f64 v[212:213], v[1:2], v[37:38], -v[39:40]
	scratch_load_b128 v[37:40], off, off offset:656
	ds_load_b128 v[1:4], v41 offset:1296
	s_waitcnt vmcnt(9) lgkmcnt(1)
	v_mul_f64 v[208:209], v[192:193], v[7:8]
	v_mul_f64 v[7:8], v[194:195], v[7:8]
	v_add_f64 v[190:191], v[204:205], v[190:191]
	v_add_f64 v[204:205], v[206:207], v[200:201]
	s_waitcnt vmcnt(8) lgkmcnt(0)
	v_mul_f64 v[206:207], v[1:2], v[11:12]
	v_mul_f64 v[11:12], v[3:4], v[11:12]
	ds_load_b128 v[200:203], v41 offset:1312
	v_fma_f64 v[194:195], v[194:195], v[5:6], v[208:209]
	v_fma_f64 v[192:193], v[192:193], v[5:6], -v[7:8]
	scratch_load_b128 v[5:8], off, off offset:672
	v_add_f64 v[190:191], v[190:191], v[212:213]
	v_add_f64 v[204:205], v[204:205], v[210:211]
	v_fma_f64 v[206:207], v[3:4], v[9:10], v[206:207]
	v_fma_f64 v[210:211], v[1:2], v[9:10], -v[11:12]
	scratch_load_b128 v[9:12], off, off offset:688
	ds_load_b128 v[1:4], v41 offset:1328
	s_waitcnt vmcnt(9) lgkmcnt(1)
	v_mul_f64 v[208:209], v[200:201], v[15:16]
	v_mul_f64 v[15:16], v[202:203], v[15:16]
	v_add_f64 v[212:213], v[190:191], v[192:193]
	v_add_f64 v[194:195], v[204:205], v[194:195]
	s_waitcnt vmcnt(8) lgkmcnt(0)
	v_mul_f64 v[204:205], v[1:2], v[19:20]
	v_mul_f64 v[19:20], v[3:4], v[19:20]
	ds_load_b128 v[190:193], v41 offset:1344
	v_fma_f64 v[202:203], v[202:203], v[13:14], v[208:209]
	v_fma_f64 v[200:201], v[200:201], v[13:14], -v[15:16]
	scratch_load_b128 v[13:16], off, off offset:704
	v_add_f64 v[208:209], v[212:213], v[210:211]
	v_add_f64 v[194:195], v[194:195], v[206:207]
	v_fma_f64 v[204:205], v[3:4], v[17:18], v[204:205]
	v_fma_f64 v[210:211], v[1:2], v[17:18], -v[19:20]
	scratch_load_b128 v[17:20], off, off offset:720
	ds_load_b128 v[1:4], v41 offset:1360
	s_waitcnt vmcnt(9) lgkmcnt(1)
	v_mul_f64 v[206:207], v[190:191], v[23:24]
	v_mul_f64 v[23:24], v[192:193], v[23:24]
	s_waitcnt vmcnt(8) lgkmcnt(0)
	v_mul_f64 v[212:213], v[1:2], v[27:28]
	v_mul_f64 v[27:28], v[3:4], v[27:28]
	v_add_f64 v[208:209], v[208:209], v[200:201]
	v_add_f64 v[194:195], v[194:195], v[202:203]
	ds_load_b128 v[200:203], v41 offset:1376
	v_fma_f64 v[192:193], v[192:193], v[21:22], v[206:207]
	v_fma_f64 v[190:191], v[190:191], v[21:22], -v[23:24]
	scratch_load_b128 v[21:24], off, off offset:736
	v_add_f64 v[206:207], v[208:209], v[210:211]
	v_add_f64 v[194:195], v[194:195], v[204:205]
	v_fma_f64 v[208:209], v[3:4], v[25:26], v[212:213]
	v_fma_f64 v[210:211], v[1:2], v[25:26], -v[27:28]
	scratch_load_b128 v[25:28], off, off offset:752
	ds_load_b128 v[1:4], v41 offset:1392
	s_waitcnt vmcnt(9) lgkmcnt(1)
	v_mul_f64 v[204:205], v[200:201], v[31:32]
	v_mul_f64 v[31:32], v[202:203], v[31:32]
	s_waitcnt vmcnt(8) lgkmcnt(0)
	v_mul_f64 v[212:213], v[1:2], v[35:36]
	v_mul_f64 v[35:36], v[3:4], v[35:36]
	v_add_f64 v[206:207], v[206:207], v[190:191]
	v_add_f64 v[194:195], v[194:195], v[192:193]
	ds_load_b128 v[190:193], v41 offset:1408
	v_fma_f64 v[202:203], v[202:203], v[29:30], v[204:205]
	v_fma_f64 v[29:30], v[200:201], v[29:30], -v[31:32]
	v_fma_f64 v[204:205], v[3:4], v[33:34], v[212:213]
	v_fma_f64 v[33:34], v[1:2], v[33:34], -v[35:36]
	v_add_f64 v[31:32], v[206:207], v[210:211]
	v_add_f64 v[194:195], v[194:195], v[208:209]
	s_waitcnt vmcnt(7) lgkmcnt(0)
	v_mul_f64 v[200:201], v[190:191], v[198:199]
	v_mul_f64 v[198:199], v[192:193], v[198:199]
	s_delay_alu instid0(VALU_DEP_4) | instskip(NEXT) | instid1(VALU_DEP_4)
	v_add_f64 v[35:36], v[31:32], v[29:30]
	v_add_f64 v[194:195], v[194:195], v[202:203]
	ds_load_b128 v[1:4], v41 offset:1424
	ds_load_b128 v[29:32], v41 offset:1440
	v_fma_f64 v[192:193], v[192:193], v[196:197], v[200:201]
	v_fma_f64 v[190:191], v[190:191], v[196:197], -v[198:199]
	s_waitcnt vmcnt(6) lgkmcnt(1)
	v_mul_f64 v[202:203], v[1:2], v[39:40]
	v_mul_f64 v[39:40], v[3:4], v[39:40]
	v_add_f64 v[33:34], v[35:36], v[33:34]
	v_add_f64 v[35:36], v[194:195], v[204:205]
	s_waitcnt vmcnt(5) lgkmcnt(0)
	v_mul_f64 v[194:195], v[29:30], v[7:8]
	v_mul_f64 v[7:8], v[31:32], v[7:8]
	v_fma_f64 v[196:197], v[3:4], v[37:38], v[202:203]
	v_fma_f64 v[37:38], v[1:2], v[37:38], -v[39:40]
	v_add_f64 v[39:40], v[33:34], v[190:191]
	v_add_f64 v[190:191], v[35:36], v[192:193]
	ds_load_b128 v[1:4], v41 offset:1456
	ds_load_b128 v[33:36], v41 offset:1472
	v_fma_f64 v[31:32], v[31:32], v[5:6], v[194:195]
	v_fma_f64 v[5:6], v[29:30], v[5:6], -v[7:8]
	s_waitcnt vmcnt(4) lgkmcnt(1)
	v_mul_f64 v[192:193], v[1:2], v[11:12]
	v_mul_f64 v[11:12], v[3:4], v[11:12]
	v_add_f64 v[7:8], v[39:40], v[37:38]
	v_add_f64 v[29:30], v[190:191], v[196:197]
	s_waitcnt vmcnt(3) lgkmcnt(0)
	v_mul_f64 v[37:38], v[33:34], v[15:16]
	v_mul_f64 v[15:16], v[35:36], v[15:16]
	v_fma_f64 v[39:40], v[3:4], v[9:10], v[192:193]
	v_fma_f64 v[9:10], v[1:2], v[9:10], -v[11:12]
	v_add_f64 v[11:12], v[7:8], v[5:6]
	v_add_f64 v[29:30], v[29:30], v[31:32]
	ds_load_b128 v[1:4], v41 offset:1488
	ds_load_b128 v[5:8], v41 offset:1504
	v_fma_f64 v[35:36], v[35:36], v[13:14], v[37:38]
	v_fma_f64 v[13:14], v[33:34], v[13:14], -v[15:16]
	s_waitcnt vmcnt(2) lgkmcnt(1)
	v_mul_f64 v[31:32], v[1:2], v[19:20]
	v_mul_f64 v[19:20], v[3:4], v[19:20]
	s_waitcnt vmcnt(1) lgkmcnt(0)
	v_mul_f64 v[15:16], v[5:6], v[23:24]
	v_mul_f64 v[23:24], v[7:8], v[23:24]
	v_add_f64 v[9:10], v[11:12], v[9:10]
	v_add_f64 v[11:12], v[29:30], v[39:40]
	v_fma_f64 v[29:30], v[3:4], v[17:18], v[31:32]
	v_fma_f64 v[17:18], v[1:2], v[17:18], -v[19:20]
	ds_load_b128 v[1:4], v41 offset:1520
	v_fma_f64 v[7:8], v[7:8], v[21:22], v[15:16]
	v_fma_f64 v[5:6], v[5:6], v[21:22], -v[23:24]
	v_add_f64 v[9:10], v[9:10], v[13:14]
	v_add_f64 v[11:12], v[11:12], v[35:36]
	s_waitcnt vmcnt(0) lgkmcnt(0)
	v_mul_f64 v[13:14], v[1:2], v[27:28]
	v_mul_f64 v[19:20], v[3:4], v[27:28]
	s_delay_alu instid0(VALU_DEP_4) | instskip(NEXT) | instid1(VALU_DEP_4)
	v_add_f64 v[9:10], v[9:10], v[17:18]
	v_add_f64 v[11:12], v[11:12], v[29:30]
	s_delay_alu instid0(VALU_DEP_4) | instskip(NEXT) | instid1(VALU_DEP_4)
	v_fma_f64 v[3:4], v[3:4], v[25:26], v[13:14]
	v_fma_f64 v[1:2], v[1:2], v[25:26], -v[19:20]
	s_delay_alu instid0(VALU_DEP_4) | instskip(NEXT) | instid1(VALU_DEP_4)
	v_add_f64 v[5:6], v[9:10], v[5:6]
	v_add_f64 v[7:8], v[11:12], v[7:8]
	s_delay_alu instid0(VALU_DEP_2) | instskip(NEXT) | instid1(VALU_DEP_2)
	v_add_f64 v[1:2], v[5:6], v[1:2]
	v_add_f64 v[3:4], v[7:8], v[3:4]
	s_delay_alu instid0(VALU_DEP_2) | instskip(NEXT) | instid1(VALU_DEP_2)
	v_add_f64 v[1:2], v[186:187], -v[1:2]
	v_add_f64 v[3:4], v[188:189], -v[3:4]
	scratch_store_b128 off, v[1:4], off
	s_cbranch_vccz .LBB47_397
; %bb.302:
	v_dual_mov_b32 v1, s16 :: v_dual_mov_b32 v2, s17
	s_load_b64 s[0:1], s[0:1], 0x4
	flat_load_b32 v1, v[1:2] offset:184
	v_bfe_u32 v2, v0, 10, 10
	v_bfe_u32 v0, v0, 20, 10
	s_waitcnt lgkmcnt(0)
	s_lshr_b32 s0, s0, 16
	s_delay_alu instid0(VALU_DEP_2) | instskip(SKIP_1) | instid1(SALU_CYCLE_1)
	v_mul_u32_u24_e32 v2, s1, v2
	s_mul_i32 s0, s0, s1
	v_mul_u32_u24_e32 v3, s0, v138
	s_mov_b32 s0, exec_lo
	s_delay_alu instid0(VALU_DEP_1) | instskip(NEXT) | instid1(VALU_DEP_1)
	v_add3_u32 v0, v3, v2, v0
	v_lshl_add_u32 v0, v0, 4, 0x608
	s_waitcnt vmcnt(0)
	v_cmpx_ne_u32_e32 47, v1
	s_cbranch_execz .LBB47_304
; %bb.303:
	v_lshl_add_u32 v9, v1, 4, 0
	s_clause 0x1
	scratch_load_b128 v[1:4], v145, off
	scratch_load_b128 v[5:8], v9, off offset:-16
	s_waitcnt vmcnt(1)
	ds_store_2addr_b64 v0, v[1:2], v[3:4] offset1:1
	s_waitcnt vmcnt(0)
	s_clause 0x1
	scratch_store_b128 v145, v[5:8], off
	scratch_store_b128 v9, v[1:4], off offset:-16
.LBB47_304:
	s_or_b32 exec_lo, exec_lo, s0
	v_dual_mov_b32 v1, s16 :: v_dual_mov_b32 v2, s17
	s_mov_b32 s0, exec_lo
	flat_load_b32 v1, v[1:2] offset:180
	s_waitcnt vmcnt(0) lgkmcnt(0)
	v_cmpx_ne_u32_e32 46, v1
	s_cbranch_execz .LBB47_306
; %bb.305:
	v_lshl_add_u32 v9, v1, 4, 0
	s_clause 0x1
	scratch_load_b128 v[1:4], v146, off
	scratch_load_b128 v[5:8], v9, off offset:-16
	s_waitcnt vmcnt(1)
	ds_store_2addr_b64 v0, v[1:2], v[3:4] offset1:1
	s_waitcnt vmcnt(0)
	s_clause 0x1
	scratch_store_b128 v146, v[5:8], off
	scratch_store_b128 v9, v[1:4], off offset:-16
.LBB47_306:
	s_or_b32 exec_lo, exec_lo, s0
	v_dual_mov_b32 v1, s16 :: v_dual_mov_b32 v2, s17
	s_mov_b32 s0, exec_lo
	flat_load_b32 v1, v[1:2] offset:176
	s_waitcnt vmcnt(0) lgkmcnt(0)
	v_cmpx_ne_u32_e32 45, v1
	s_cbranch_execz .LBB47_308
; %bb.307:
	v_lshl_add_u32 v9, v1, 4, 0
	s_clause 0x1
	scratch_load_b128 v[1:4], v147, off
	scratch_load_b128 v[5:8], v9, off offset:-16
	s_waitcnt vmcnt(1)
	ds_store_2addr_b64 v0, v[1:2], v[3:4] offset1:1
	s_waitcnt vmcnt(0)
	s_clause 0x1
	scratch_store_b128 v147, v[5:8], off
	scratch_store_b128 v9, v[1:4], off offset:-16
.LBB47_308:
	s_or_b32 exec_lo, exec_lo, s0
	v_dual_mov_b32 v1, s16 :: v_dual_mov_b32 v2, s17
	s_mov_b32 s0, exec_lo
	flat_load_b32 v1, v[1:2] offset:172
	s_waitcnt vmcnt(0) lgkmcnt(0)
	v_cmpx_ne_u32_e32 44, v1
	s_cbranch_execz .LBB47_310
; %bb.309:
	v_lshl_add_u32 v9, v1, 4, 0
	s_clause 0x1
	scratch_load_b128 v[1:4], v150, off
	scratch_load_b128 v[5:8], v9, off offset:-16
	s_waitcnt vmcnt(1)
	ds_store_2addr_b64 v0, v[1:2], v[3:4] offset1:1
	s_waitcnt vmcnt(0)
	s_clause 0x1
	scratch_store_b128 v150, v[5:8], off
	scratch_store_b128 v9, v[1:4], off offset:-16
.LBB47_310:
	s_or_b32 exec_lo, exec_lo, s0
	v_dual_mov_b32 v1, s16 :: v_dual_mov_b32 v2, s17
	s_mov_b32 s0, exec_lo
	flat_load_b32 v1, v[1:2] offset:168
	s_waitcnt vmcnt(0) lgkmcnt(0)
	v_cmpx_ne_u32_e32 43, v1
	s_cbranch_execz .LBB47_312
; %bb.311:
	v_lshl_add_u32 v9, v1, 4, 0
	s_clause 0x1
	scratch_load_b128 v[1:4], v151, off
	scratch_load_b128 v[5:8], v9, off offset:-16
	s_waitcnt vmcnt(1)
	ds_store_2addr_b64 v0, v[1:2], v[3:4] offset1:1
	s_waitcnt vmcnt(0)
	s_clause 0x1
	scratch_store_b128 v151, v[5:8], off
	scratch_store_b128 v9, v[1:4], off offset:-16
.LBB47_312:
	s_or_b32 exec_lo, exec_lo, s0
	v_dual_mov_b32 v1, s16 :: v_dual_mov_b32 v2, s17
	s_mov_b32 s0, exec_lo
	flat_load_b32 v1, v[1:2] offset:164
	s_waitcnt vmcnt(0) lgkmcnt(0)
	v_cmpx_ne_u32_e32 42, v1
	s_cbranch_execz .LBB47_314
; %bb.313:
	v_lshl_add_u32 v9, v1, 4, 0
	s_clause 0x1
	scratch_load_b128 v[1:4], v152, off
	scratch_load_b128 v[5:8], v9, off offset:-16
	s_waitcnt vmcnt(1)
	ds_store_2addr_b64 v0, v[1:2], v[3:4] offset1:1
	s_waitcnt vmcnt(0)
	s_clause 0x1
	scratch_store_b128 v152, v[5:8], off
	scratch_store_b128 v9, v[1:4], off offset:-16
.LBB47_314:
	s_or_b32 exec_lo, exec_lo, s0
	v_dual_mov_b32 v1, s16 :: v_dual_mov_b32 v2, s17
	s_mov_b32 s0, exec_lo
	flat_load_b32 v1, v[1:2] offset:160
	s_waitcnt vmcnt(0) lgkmcnt(0)
	v_cmpx_ne_u32_e32 41, v1
	s_cbranch_execz .LBB47_316
; %bb.315:
	v_lshl_add_u32 v9, v1, 4, 0
	s_clause 0x1
	scratch_load_b128 v[1:4], v139, off
	scratch_load_b128 v[5:8], v9, off offset:-16
	s_waitcnt vmcnt(1)
	ds_store_2addr_b64 v0, v[1:2], v[3:4] offset1:1
	s_waitcnt vmcnt(0)
	s_clause 0x1
	scratch_store_b128 v139, v[5:8], off
	scratch_store_b128 v9, v[1:4], off offset:-16
.LBB47_316:
	s_or_b32 exec_lo, exec_lo, s0
	v_dual_mov_b32 v1, s16 :: v_dual_mov_b32 v2, s17
	s_mov_b32 s0, exec_lo
	flat_load_b32 v1, v[1:2] offset:156
	s_waitcnt vmcnt(0) lgkmcnt(0)
	v_cmpx_ne_u32_e32 40, v1
	s_cbranch_execz .LBB47_318
; %bb.317:
	v_lshl_add_u32 v9, v1, 4, 0
	s_clause 0x1
	scratch_load_b128 v[1:4], v141, off
	scratch_load_b128 v[5:8], v9, off offset:-16
	s_waitcnt vmcnt(1)
	ds_store_2addr_b64 v0, v[1:2], v[3:4] offset1:1
	s_waitcnt vmcnt(0)
	s_clause 0x1
	scratch_store_b128 v141, v[5:8], off
	scratch_store_b128 v9, v[1:4], off offset:-16
.LBB47_318:
	s_or_b32 exec_lo, exec_lo, s0
	v_dual_mov_b32 v1, s16 :: v_dual_mov_b32 v2, s17
	s_mov_b32 s0, exec_lo
	flat_load_b32 v1, v[1:2] offset:152
	s_waitcnt vmcnt(0) lgkmcnt(0)
	v_cmpx_ne_u32_e32 39, v1
	s_cbranch_execz .LBB47_320
; %bb.319:
	v_lshl_add_u32 v9, v1, 4, 0
	s_clause 0x1
	scratch_load_b128 v[1:4], v140, off
	scratch_load_b128 v[5:8], v9, off offset:-16
	s_waitcnt vmcnt(1)
	ds_store_2addr_b64 v0, v[1:2], v[3:4] offset1:1
	s_waitcnt vmcnt(0)
	s_clause 0x1
	scratch_store_b128 v140, v[5:8], off
	scratch_store_b128 v9, v[1:4], off offset:-16
.LBB47_320:
	s_or_b32 exec_lo, exec_lo, s0
	v_dual_mov_b32 v1, s16 :: v_dual_mov_b32 v2, s17
	s_mov_b32 s0, exec_lo
	flat_load_b32 v1, v[1:2] offset:148
	s_waitcnt vmcnt(0) lgkmcnt(0)
	v_cmpx_ne_u32_e32 38, v1
	s_cbranch_execz .LBB47_322
; %bb.321:
	v_lshl_add_u32 v9, v1, 4, 0
	s_clause 0x1
	scratch_load_b128 v[1:4], v142, off
	scratch_load_b128 v[5:8], v9, off offset:-16
	s_waitcnt vmcnt(1)
	ds_store_2addr_b64 v0, v[1:2], v[3:4] offset1:1
	s_waitcnt vmcnt(0)
	s_clause 0x1
	scratch_store_b128 v142, v[5:8], off
	scratch_store_b128 v9, v[1:4], off offset:-16
.LBB47_322:
	s_or_b32 exec_lo, exec_lo, s0
	v_dual_mov_b32 v1, s16 :: v_dual_mov_b32 v2, s17
	s_mov_b32 s0, exec_lo
	flat_load_b32 v1, v[1:2] offset:144
	s_waitcnt vmcnt(0) lgkmcnt(0)
	v_cmpx_ne_u32_e32 37, v1
	s_cbranch_execz .LBB47_324
; %bb.323:
	v_lshl_add_u32 v9, v1, 4, 0
	s_clause 0x1
	scratch_load_b128 v[1:4], v143, off
	scratch_load_b128 v[5:8], v9, off offset:-16
	s_waitcnt vmcnt(1)
	ds_store_2addr_b64 v0, v[1:2], v[3:4] offset1:1
	s_waitcnt vmcnt(0)
	s_clause 0x1
	scratch_store_b128 v143, v[5:8], off
	scratch_store_b128 v9, v[1:4], off offset:-16
.LBB47_324:
	s_or_b32 exec_lo, exec_lo, s0
	v_dual_mov_b32 v1, s16 :: v_dual_mov_b32 v2, s17
	s_mov_b32 s0, exec_lo
	flat_load_b32 v1, v[1:2] offset:140
	s_waitcnt vmcnt(0) lgkmcnt(0)
	v_cmpx_ne_u32_e32 36, v1
	s_cbranch_execz .LBB47_326
; %bb.325:
	v_lshl_add_u32 v9, v1, 4, 0
	s_clause 0x1
	scratch_load_b128 v[1:4], v149, off
	scratch_load_b128 v[5:8], v9, off offset:-16
	s_waitcnt vmcnt(1)
	ds_store_2addr_b64 v0, v[1:2], v[3:4] offset1:1
	s_waitcnt vmcnt(0)
	s_clause 0x1
	scratch_store_b128 v149, v[5:8], off
	scratch_store_b128 v9, v[1:4], off offset:-16
.LBB47_326:
	s_or_b32 exec_lo, exec_lo, s0
	v_dual_mov_b32 v1, s16 :: v_dual_mov_b32 v2, s17
	s_mov_b32 s0, exec_lo
	flat_load_b32 v1, v[1:2] offset:136
	s_waitcnt vmcnt(0) lgkmcnt(0)
	v_cmpx_ne_u32_e32 35, v1
	s_cbranch_execz .LBB47_328
; %bb.327:
	v_lshl_add_u32 v9, v1, 4, 0
	s_clause 0x1
	scratch_load_b128 v[1:4], v148, off
	scratch_load_b128 v[5:8], v9, off offset:-16
	s_waitcnt vmcnt(1)
	ds_store_2addr_b64 v0, v[1:2], v[3:4] offset1:1
	s_waitcnt vmcnt(0)
	s_clause 0x1
	scratch_store_b128 v148, v[5:8], off
	scratch_store_b128 v9, v[1:4], off offset:-16
.LBB47_328:
	s_or_b32 exec_lo, exec_lo, s0
	v_dual_mov_b32 v1, s16 :: v_dual_mov_b32 v2, s17
	s_mov_b32 s0, exec_lo
	flat_load_b32 v1, v[1:2] offset:132
	s_waitcnt vmcnt(0) lgkmcnt(0)
	v_cmpx_ne_u32_e32 34, v1
	s_cbranch_execz .LBB47_330
; %bb.329:
	v_lshl_add_u32 v9, v1, 4, 0
	s_clause 0x1
	scratch_load_b128 v[1:4], v153, off
	scratch_load_b128 v[5:8], v9, off offset:-16
	s_waitcnt vmcnt(1)
	ds_store_2addr_b64 v0, v[1:2], v[3:4] offset1:1
	s_waitcnt vmcnt(0)
	s_clause 0x1
	scratch_store_b128 v153, v[5:8], off
	scratch_store_b128 v9, v[1:4], off offset:-16
.LBB47_330:
	s_or_b32 exec_lo, exec_lo, s0
	v_dual_mov_b32 v1, s16 :: v_dual_mov_b32 v2, s17
	s_mov_b32 s0, exec_lo
	flat_load_b32 v1, v[1:2] offset:128
	s_waitcnt vmcnt(0) lgkmcnt(0)
	v_cmpx_ne_u32_e32 33, v1
	s_cbranch_execz .LBB47_332
; %bb.331:
	v_lshl_add_u32 v9, v1, 4, 0
	s_clause 0x1
	scratch_load_b128 v[1:4], v154, off
	scratch_load_b128 v[5:8], v9, off offset:-16
	s_waitcnt vmcnt(1)
	ds_store_2addr_b64 v0, v[1:2], v[3:4] offset1:1
	s_waitcnt vmcnt(0)
	s_clause 0x1
	scratch_store_b128 v154, v[5:8], off
	scratch_store_b128 v9, v[1:4], off offset:-16
.LBB47_332:
	s_or_b32 exec_lo, exec_lo, s0
	v_dual_mov_b32 v1, s16 :: v_dual_mov_b32 v2, s17
	s_mov_b32 s0, exec_lo
	flat_load_b32 v1, v[1:2] offset:124
	s_waitcnt vmcnt(0) lgkmcnt(0)
	v_cmpx_ne_u32_e32 32, v1
	s_cbranch_execz .LBB47_334
; %bb.333:
	v_lshl_add_u32 v9, v1, 4, 0
	s_clause 0x1
	scratch_load_b128 v[1:4], v156, off
	scratch_load_b128 v[5:8], v9, off offset:-16
	s_waitcnt vmcnt(1)
	ds_store_2addr_b64 v0, v[1:2], v[3:4] offset1:1
	s_waitcnt vmcnt(0)
	s_clause 0x1
	scratch_store_b128 v156, v[5:8], off
	scratch_store_b128 v9, v[1:4], off offset:-16
.LBB47_334:
	s_or_b32 exec_lo, exec_lo, s0
	v_dual_mov_b32 v1, s16 :: v_dual_mov_b32 v2, s17
	s_mov_b32 s0, exec_lo
	flat_load_b32 v1, v[1:2] offset:120
	s_waitcnt vmcnt(0) lgkmcnt(0)
	v_cmpx_ne_u32_e32 31, v1
	s_cbranch_execz .LBB47_336
; %bb.335:
	v_lshl_add_u32 v9, v1, 4, 0
	s_clause 0x1
	scratch_load_b128 v[1:4], v155, off
	scratch_load_b128 v[5:8], v9, off offset:-16
	s_waitcnt vmcnt(1)
	ds_store_2addr_b64 v0, v[1:2], v[3:4] offset1:1
	s_waitcnt vmcnt(0)
	s_clause 0x1
	scratch_store_b128 v155, v[5:8], off
	scratch_store_b128 v9, v[1:4], off offset:-16
.LBB47_336:
	s_or_b32 exec_lo, exec_lo, s0
	v_dual_mov_b32 v1, s16 :: v_dual_mov_b32 v2, s17
	s_mov_b32 s0, exec_lo
	flat_load_b32 v1, v[1:2] offset:116
	s_waitcnt vmcnt(0) lgkmcnt(0)
	v_cmpx_ne_u32_e32 30, v1
	s_cbranch_execz .LBB47_338
; %bb.337:
	v_lshl_add_u32 v9, v1, 4, 0
	s_clause 0x1
	scratch_load_b128 v[1:4], v157, off
	scratch_load_b128 v[5:8], v9, off offset:-16
	s_waitcnt vmcnt(1)
	ds_store_2addr_b64 v0, v[1:2], v[3:4] offset1:1
	s_waitcnt vmcnt(0)
	s_clause 0x1
	scratch_store_b128 v157, v[5:8], off
	scratch_store_b128 v9, v[1:4], off offset:-16
.LBB47_338:
	s_or_b32 exec_lo, exec_lo, s0
	v_dual_mov_b32 v1, s16 :: v_dual_mov_b32 v2, s17
	s_mov_b32 s0, exec_lo
	flat_load_b32 v1, v[1:2] offset:112
	s_waitcnt vmcnt(0) lgkmcnt(0)
	v_cmpx_ne_u32_e32 29, v1
	s_cbranch_execz .LBB47_340
; %bb.339:
	v_lshl_add_u32 v9, v1, 4, 0
	s_clause 0x1
	scratch_load_b128 v[1:4], v158, off
	scratch_load_b128 v[5:8], v9, off offset:-16
	s_waitcnt vmcnt(1)
	ds_store_2addr_b64 v0, v[1:2], v[3:4] offset1:1
	s_waitcnt vmcnt(0)
	s_clause 0x1
	scratch_store_b128 v158, v[5:8], off
	scratch_store_b128 v9, v[1:4], off offset:-16
.LBB47_340:
	s_or_b32 exec_lo, exec_lo, s0
	v_dual_mov_b32 v1, s16 :: v_dual_mov_b32 v2, s17
	s_mov_b32 s0, exec_lo
	flat_load_b32 v1, v[1:2] offset:108
	s_waitcnt vmcnt(0) lgkmcnt(0)
	v_cmpx_ne_u32_e32 28, v1
	s_cbranch_execz .LBB47_342
; %bb.341:
	v_lshl_add_u32 v9, v1, 4, 0
	s_clause 0x1
	scratch_load_b128 v[1:4], v160, off
	scratch_load_b128 v[5:8], v9, off offset:-16
	s_waitcnt vmcnt(1)
	ds_store_2addr_b64 v0, v[1:2], v[3:4] offset1:1
	s_waitcnt vmcnt(0)
	s_clause 0x1
	scratch_store_b128 v160, v[5:8], off
	scratch_store_b128 v9, v[1:4], off offset:-16
.LBB47_342:
	s_or_b32 exec_lo, exec_lo, s0
	v_dual_mov_b32 v1, s16 :: v_dual_mov_b32 v2, s17
	s_mov_b32 s0, exec_lo
	flat_load_b32 v1, v[1:2] offset:104
	s_waitcnt vmcnt(0) lgkmcnt(0)
	v_cmpx_ne_u32_e32 27, v1
	s_cbranch_execz .LBB47_344
; %bb.343:
	v_lshl_add_u32 v9, v1, 4, 0
	s_clause 0x1
	scratch_load_b128 v[1:4], v159, off
	scratch_load_b128 v[5:8], v9, off offset:-16
	s_waitcnt vmcnt(1)
	ds_store_2addr_b64 v0, v[1:2], v[3:4] offset1:1
	s_waitcnt vmcnt(0)
	s_clause 0x1
	scratch_store_b128 v159, v[5:8], off
	scratch_store_b128 v9, v[1:4], off offset:-16
.LBB47_344:
	s_or_b32 exec_lo, exec_lo, s0
	v_dual_mov_b32 v1, s16 :: v_dual_mov_b32 v2, s17
	s_mov_b32 s0, exec_lo
	flat_load_b32 v1, v[1:2] offset:100
	s_waitcnt vmcnt(0) lgkmcnt(0)
	v_cmpx_ne_u32_e32 26, v1
	s_cbranch_execz .LBB47_346
; %bb.345:
	v_lshl_add_u32 v9, v1, 4, 0
	s_clause 0x1
	scratch_load_b128 v[1:4], v161, off
	scratch_load_b128 v[5:8], v9, off offset:-16
	s_waitcnt vmcnt(1)
	ds_store_2addr_b64 v0, v[1:2], v[3:4] offset1:1
	s_waitcnt vmcnt(0)
	s_clause 0x1
	scratch_store_b128 v161, v[5:8], off
	scratch_store_b128 v9, v[1:4], off offset:-16
.LBB47_346:
	s_or_b32 exec_lo, exec_lo, s0
	v_dual_mov_b32 v1, s16 :: v_dual_mov_b32 v2, s17
	s_mov_b32 s0, exec_lo
	flat_load_b32 v1, v[1:2] offset:96
	s_waitcnt vmcnt(0) lgkmcnt(0)
	v_cmpx_ne_u32_e32 25, v1
	s_cbranch_execz .LBB47_348
; %bb.347:
	v_lshl_add_u32 v9, v1, 4, 0
	s_clause 0x1
	scratch_load_b128 v[1:4], v162, off
	scratch_load_b128 v[5:8], v9, off offset:-16
	s_waitcnt vmcnt(1)
	ds_store_2addr_b64 v0, v[1:2], v[3:4] offset1:1
	s_waitcnt vmcnt(0)
	s_clause 0x1
	scratch_store_b128 v162, v[5:8], off
	scratch_store_b128 v9, v[1:4], off offset:-16
.LBB47_348:
	s_or_b32 exec_lo, exec_lo, s0
	v_dual_mov_b32 v1, s16 :: v_dual_mov_b32 v2, s17
	s_mov_b32 s0, exec_lo
	flat_load_b32 v1, v[1:2] offset:92
	s_waitcnt vmcnt(0) lgkmcnt(0)
	v_cmpx_ne_u32_e32 24, v1
	s_cbranch_execz .LBB47_350
; %bb.349:
	v_lshl_add_u32 v9, v1, 4, 0
	s_clause 0x1
	scratch_load_b128 v[1:4], v164, off
	scratch_load_b128 v[5:8], v9, off offset:-16
	s_waitcnt vmcnt(1)
	ds_store_2addr_b64 v0, v[1:2], v[3:4] offset1:1
	s_waitcnt vmcnt(0)
	s_clause 0x1
	scratch_store_b128 v164, v[5:8], off
	scratch_store_b128 v9, v[1:4], off offset:-16
.LBB47_350:
	s_or_b32 exec_lo, exec_lo, s0
	v_dual_mov_b32 v1, s16 :: v_dual_mov_b32 v2, s17
	s_mov_b32 s0, exec_lo
	flat_load_b32 v1, v[1:2] offset:88
	s_waitcnt vmcnt(0) lgkmcnt(0)
	v_cmpx_ne_u32_e32 23, v1
	s_cbranch_execz .LBB47_352
; %bb.351:
	v_lshl_add_u32 v9, v1, 4, 0
	s_clause 0x1
	scratch_load_b128 v[1:4], v163, off
	scratch_load_b128 v[5:8], v9, off offset:-16
	s_waitcnt vmcnt(1)
	ds_store_2addr_b64 v0, v[1:2], v[3:4] offset1:1
	s_waitcnt vmcnt(0)
	s_clause 0x1
	scratch_store_b128 v163, v[5:8], off
	scratch_store_b128 v9, v[1:4], off offset:-16
.LBB47_352:
	s_or_b32 exec_lo, exec_lo, s0
	v_dual_mov_b32 v1, s16 :: v_dual_mov_b32 v2, s17
	s_mov_b32 s0, exec_lo
	flat_load_b32 v1, v[1:2] offset:84
	s_waitcnt vmcnt(0) lgkmcnt(0)
	v_cmpx_ne_u32_e32 22, v1
	s_cbranch_execz .LBB47_354
; %bb.353:
	v_lshl_add_u32 v9, v1, 4, 0
	s_clause 0x1
	scratch_load_b128 v[1:4], v165, off
	scratch_load_b128 v[5:8], v9, off offset:-16
	s_waitcnt vmcnt(1)
	ds_store_2addr_b64 v0, v[1:2], v[3:4] offset1:1
	s_waitcnt vmcnt(0)
	s_clause 0x1
	scratch_store_b128 v165, v[5:8], off
	scratch_store_b128 v9, v[1:4], off offset:-16
.LBB47_354:
	s_or_b32 exec_lo, exec_lo, s0
	v_dual_mov_b32 v1, s16 :: v_dual_mov_b32 v2, s17
	s_mov_b32 s0, exec_lo
	flat_load_b32 v1, v[1:2] offset:80
	s_waitcnt vmcnt(0) lgkmcnt(0)
	v_cmpx_ne_u32_e32 21, v1
	s_cbranch_execz .LBB47_356
; %bb.355:
	v_lshl_add_u32 v9, v1, 4, 0
	s_clause 0x1
	scratch_load_b128 v[1:4], v166, off
	scratch_load_b128 v[5:8], v9, off offset:-16
	s_waitcnt vmcnt(1)
	ds_store_2addr_b64 v0, v[1:2], v[3:4] offset1:1
	s_waitcnt vmcnt(0)
	s_clause 0x1
	scratch_store_b128 v166, v[5:8], off
	scratch_store_b128 v9, v[1:4], off offset:-16
.LBB47_356:
	s_or_b32 exec_lo, exec_lo, s0
	v_dual_mov_b32 v1, s16 :: v_dual_mov_b32 v2, s17
	s_mov_b32 s0, exec_lo
	flat_load_b32 v1, v[1:2] offset:76
	s_waitcnt vmcnt(0) lgkmcnt(0)
	v_cmpx_ne_u32_e32 20, v1
	s_cbranch_execz .LBB47_358
; %bb.357:
	v_lshl_add_u32 v9, v1, 4, 0
	s_clause 0x1
	scratch_load_b128 v[1:4], v167, off
	scratch_load_b128 v[5:8], v9, off offset:-16
	s_waitcnt vmcnt(1)
	ds_store_2addr_b64 v0, v[1:2], v[3:4] offset1:1
	s_waitcnt vmcnt(0)
	s_clause 0x1
	scratch_store_b128 v167, v[5:8], off
	scratch_store_b128 v9, v[1:4], off offset:-16
.LBB47_358:
	s_or_b32 exec_lo, exec_lo, s0
	v_dual_mov_b32 v1, s16 :: v_dual_mov_b32 v2, s17
	s_mov_b32 s0, exec_lo
	flat_load_b32 v1, v[1:2] offset:72
	s_waitcnt vmcnt(0) lgkmcnt(0)
	v_cmpx_ne_u32_e32 19, v1
	s_cbranch_execz .LBB47_360
; %bb.359:
	v_lshl_add_u32 v9, v1, 4, 0
	s_clause 0x1
	scratch_load_b128 v[1:4], v168, off
	scratch_load_b128 v[5:8], v9, off offset:-16
	s_waitcnt vmcnt(1)
	ds_store_2addr_b64 v0, v[1:2], v[3:4] offset1:1
	s_waitcnt vmcnt(0)
	s_clause 0x1
	scratch_store_b128 v168, v[5:8], off
	scratch_store_b128 v9, v[1:4], off offset:-16
.LBB47_360:
	s_or_b32 exec_lo, exec_lo, s0
	v_dual_mov_b32 v1, s16 :: v_dual_mov_b32 v2, s17
	s_mov_b32 s0, exec_lo
	flat_load_b32 v1, v[1:2] offset:68
	s_waitcnt vmcnt(0) lgkmcnt(0)
	v_cmpx_ne_u32_e32 18, v1
	s_cbranch_execz .LBB47_362
; %bb.361:
	v_lshl_add_u32 v9, v1, 4, 0
	s_clause 0x1
	scratch_load_b128 v[1:4], v169, off
	scratch_load_b128 v[5:8], v9, off offset:-16
	s_waitcnt vmcnt(1)
	ds_store_2addr_b64 v0, v[1:2], v[3:4] offset1:1
	s_waitcnt vmcnt(0)
	s_clause 0x1
	scratch_store_b128 v169, v[5:8], off
	scratch_store_b128 v9, v[1:4], off offset:-16
.LBB47_362:
	s_or_b32 exec_lo, exec_lo, s0
	v_dual_mov_b32 v1, s16 :: v_dual_mov_b32 v2, s17
	s_mov_b32 s0, exec_lo
	flat_load_b32 v1, v[1:2] offset:64
	s_waitcnt vmcnt(0) lgkmcnt(0)
	v_cmpx_ne_u32_e32 17, v1
	s_cbranch_execz .LBB47_364
; %bb.363:
	v_lshl_add_u32 v9, v1, 4, 0
	s_clause 0x1
	scratch_load_b128 v[1:4], v170, off
	scratch_load_b128 v[5:8], v9, off offset:-16
	s_waitcnt vmcnt(1)
	ds_store_2addr_b64 v0, v[1:2], v[3:4] offset1:1
	s_waitcnt vmcnt(0)
	s_clause 0x1
	scratch_store_b128 v170, v[5:8], off
	scratch_store_b128 v9, v[1:4], off offset:-16
.LBB47_364:
	s_or_b32 exec_lo, exec_lo, s0
	v_dual_mov_b32 v1, s16 :: v_dual_mov_b32 v2, s17
	s_mov_b32 s0, exec_lo
	flat_load_b32 v1, v[1:2] offset:60
	s_waitcnt vmcnt(0) lgkmcnt(0)
	v_cmpx_ne_u32_e32 16, v1
	s_cbranch_execz .LBB47_366
; %bb.365:
	v_lshl_add_u32 v9, v1, 4, 0
	s_clause 0x1
	scratch_load_b128 v[1:4], v171, off
	scratch_load_b128 v[5:8], v9, off offset:-16
	s_waitcnt vmcnt(1)
	ds_store_2addr_b64 v0, v[1:2], v[3:4] offset1:1
	s_waitcnt vmcnt(0)
	s_clause 0x1
	scratch_store_b128 v171, v[5:8], off
	scratch_store_b128 v9, v[1:4], off offset:-16
.LBB47_366:
	s_or_b32 exec_lo, exec_lo, s0
	v_dual_mov_b32 v1, s16 :: v_dual_mov_b32 v2, s17
	s_mov_b32 s0, exec_lo
	flat_load_b32 v1, v[1:2] offset:56
	s_waitcnt vmcnt(0) lgkmcnt(0)
	v_cmpx_ne_u32_e32 15, v1
	s_cbranch_execz .LBB47_368
; %bb.367:
	v_lshl_add_u32 v9, v1, 4, 0
	s_clause 0x1
	scratch_load_b128 v[1:4], v172, off
	scratch_load_b128 v[5:8], v9, off offset:-16
	s_waitcnt vmcnt(1)
	ds_store_2addr_b64 v0, v[1:2], v[3:4] offset1:1
	s_waitcnt vmcnt(0)
	s_clause 0x1
	scratch_store_b128 v172, v[5:8], off
	scratch_store_b128 v9, v[1:4], off offset:-16
.LBB47_368:
	s_or_b32 exec_lo, exec_lo, s0
	v_dual_mov_b32 v1, s16 :: v_dual_mov_b32 v2, s17
	s_mov_b32 s0, exec_lo
	flat_load_b32 v1, v[1:2] offset:52
	s_waitcnt vmcnt(0) lgkmcnt(0)
	v_cmpx_ne_u32_e32 14, v1
	s_cbranch_execz .LBB47_370
; %bb.369:
	v_lshl_add_u32 v9, v1, 4, 0
	s_clause 0x1
	scratch_load_b128 v[1:4], v173, off
	scratch_load_b128 v[5:8], v9, off offset:-16
	s_waitcnt vmcnt(1)
	ds_store_2addr_b64 v0, v[1:2], v[3:4] offset1:1
	s_waitcnt vmcnt(0)
	s_clause 0x1
	scratch_store_b128 v173, v[5:8], off
	scratch_store_b128 v9, v[1:4], off offset:-16
.LBB47_370:
	s_or_b32 exec_lo, exec_lo, s0
	v_dual_mov_b32 v1, s16 :: v_dual_mov_b32 v2, s17
	s_mov_b32 s0, exec_lo
	flat_load_b32 v1, v[1:2] offset:48
	s_waitcnt vmcnt(0) lgkmcnt(0)
	v_cmpx_ne_u32_e32 13, v1
	s_cbranch_execz .LBB47_372
; %bb.371:
	v_lshl_add_u32 v9, v1, 4, 0
	s_clause 0x1
	scratch_load_b128 v[1:4], v174, off
	scratch_load_b128 v[5:8], v9, off offset:-16
	s_waitcnt vmcnt(1)
	ds_store_2addr_b64 v0, v[1:2], v[3:4] offset1:1
	s_waitcnt vmcnt(0)
	s_clause 0x1
	scratch_store_b128 v174, v[5:8], off
	scratch_store_b128 v9, v[1:4], off offset:-16
.LBB47_372:
	s_or_b32 exec_lo, exec_lo, s0
	v_dual_mov_b32 v1, s16 :: v_dual_mov_b32 v2, s17
	s_mov_b32 s0, exec_lo
	flat_load_b32 v1, v[1:2] offset:44
	s_waitcnt vmcnt(0) lgkmcnt(0)
	v_cmpx_ne_u32_e32 12, v1
	s_cbranch_execz .LBB47_374
; %bb.373:
	v_lshl_add_u32 v9, v1, 4, 0
	s_clause 0x1
	scratch_load_b128 v[1:4], v175, off
	scratch_load_b128 v[5:8], v9, off offset:-16
	s_waitcnt vmcnt(1)
	ds_store_2addr_b64 v0, v[1:2], v[3:4] offset1:1
	s_waitcnt vmcnt(0)
	s_clause 0x1
	scratch_store_b128 v175, v[5:8], off
	scratch_store_b128 v9, v[1:4], off offset:-16
.LBB47_374:
	s_or_b32 exec_lo, exec_lo, s0
	v_dual_mov_b32 v1, s16 :: v_dual_mov_b32 v2, s17
	s_mov_b32 s0, exec_lo
	flat_load_b32 v1, v[1:2] offset:40
	s_waitcnt vmcnt(0) lgkmcnt(0)
	v_cmpx_ne_u32_e32 11, v1
	s_cbranch_execz .LBB47_376
; %bb.375:
	v_lshl_add_u32 v9, v1, 4, 0
	s_clause 0x1
	scratch_load_b128 v[1:4], v176, off
	scratch_load_b128 v[5:8], v9, off offset:-16
	s_waitcnt vmcnt(1)
	ds_store_2addr_b64 v0, v[1:2], v[3:4] offset1:1
	s_waitcnt vmcnt(0)
	s_clause 0x1
	scratch_store_b128 v176, v[5:8], off
	scratch_store_b128 v9, v[1:4], off offset:-16
.LBB47_376:
	s_or_b32 exec_lo, exec_lo, s0
	v_dual_mov_b32 v1, s16 :: v_dual_mov_b32 v2, s17
	s_mov_b32 s0, exec_lo
	flat_load_b32 v1, v[1:2] offset:36
	s_waitcnt vmcnt(0) lgkmcnt(0)
	v_cmpx_ne_u32_e32 10, v1
	s_cbranch_execz .LBB47_378
; %bb.377:
	v_lshl_add_u32 v9, v1, 4, 0
	s_clause 0x1
	scratch_load_b128 v[1:4], v177, off
	scratch_load_b128 v[5:8], v9, off offset:-16
	s_waitcnt vmcnt(1)
	ds_store_2addr_b64 v0, v[1:2], v[3:4] offset1:1
	s_waitcnt vmcnt(0)
	s_clause 0x1
	scratch_store_b128 v177, v[5:8], off
	scratch_store_b128 v9, v[1:4], off offset:-16
.LBB47_378:
	s_or_b32 exec_lo, exec_lo, s0
	v_dual_mov_b32 v1, s16 :: v_dual_mov_b32 v2, s17
	s_mov_b32 s0, exec_lo
	flat_load_b32 v1, v[1:2] offset:32
	s_waitcnt vmcnt(0) lgkmcnt(0)
	v_cmpx_ne_u32_e32 9, v1
	s_cbranch_execz .LBB47_380
; %bb.379:
	v_lshl_add_u32 v9, v1, 4, 0
	s_clause 0x1
	scratch_load_b128 v[1:4], v178, off
	scratch_load_b128 v[5:8], v9, off offset:-16
	s_waitcnt vmcnt(1)
	ds_store_2addr_b64 v0, v[1:2], v[3:4] offset1:1
	s_waitcnt vmcnt(0)
	s_clause 0x1
	scratch_store_b128 v178, v[5:8], off
	scratch_store_b128 v9, v[1:4], off offset:-16
.LBB47_380:
	s_or_b32 exec_lo, exec_lo, s0
	v_dual_mov_b32 v1, s16 :: v_dual_mov_b32 v2, s17
	s_mov_b32 s0, exec_lo
	flat_load_b32 v1, v[1:2] offset:28
	s_waitcnt vmcnt(0) lgkmcnt(0)
	v_cmpx_ne_u32_e32 8, v1
	s_cbranch_execz .LBB47_382
; %bb.381:
	v_lshl_add_u32 v9, v1, 4, 0
	s_clause 0x1
	scratch_load_b128 v[1:4], v179, off
	scratch_load_b128 v[5:8], v9, off offset:-16
	s_waitcnt vmcnt(1)
	ds_store_2addr_b64 v0, v[1:2], v[3:4] offset1:1
	s_waitcnt vmcnt(0)
	s_clause 0x1
	scratch_store_b128 v179, v[5:8], off
	scratch_store_b128 v9, v[1:4], off offset:-16
.LBB47_382:
	s_or_b32 exec_lo, exec_lo, s0
	v_dual_mov_b32 v1, s16 :: v_dual_mov_b32 v2, s17
	s_mov_b32 s0, exec_lo
	flat_load_b32 v1, v[1:2] offset:24
	s_waitcnt vmcnt(0) lgkmcnt(0)
	v_cmpx_ne_u32_e32 7, v1
	s_cbranch_execz .LBB47_384
; %bb.383:
	v_lshl_add_u32 v9, v1, 4, 0
	s_clause 0x1
	scratch_load_b128 v[1:4], v180, off
	scratch_load_b128 v[5:8], v9, off offset:-16
	s_waitcnt vmcnt(1)
	ds_store_2addr_b64 v0, v[1:2], v[3:4] offset1:1
	s_waitcnt vmcnt(0)
	s_clause 0x1
	scratch_store_b128 v180, v[5:8], off
	scratch_store_b128 v9, v[1:4], off offset:-16
.LBB47_384:
	s_or_b32 exec_lo, exec_lo, s0
	v_dual_mov_b32 v1, s16 :: v_dual_mov_b32 v2, s17
	s_mov_b32 s0, exec_lo
	flat_load_b32 v1, v[1:2] offset:20
	s_waitcnt vmcnt(0) lgkmcnt(0)
	v_cmpx_ne_u32_e32 6, v1
	s_cbranch_execz .LBB47_386
; %bb.385:
	v_lshl_add_u32 v9, v1, 4, 0
	s_clause 0x1
	scratch_load_b128 v[1:4], v181, off
	scratch_load_b128 v[5:8], v9, off offset:-16
	s_waitcnt vmcnt(1)
	ds_store_2addr_b64 v0, v[1:2], v[3:4] offset1:1
	s_waitcnt vmcnt(0)
	s_clause 0x1
	scratch_store_b128 v181, v[5:8], off
	scratch_store_b128 v9, v[1:4], off offset:-16
.LBB47_386:
	s_or_b32 exec_lo, exec_lo, s0
	v_dual_mov_b32 v1, s16 :: v_dual_mov_b32 v2, s17
	s_mov_b32 s0, exec_lo
	flat_load_b32 v1, v[1:2] offset:16
	s_waitcnt vmcnt(0) lgkmcnt(0)
	v_cmpx_ne_u32_e32 5, v1
	s_cbranch_execz .LBB47_388
; %bb.387:
	v_lshl_add_u32 v9, v1, 4, 0
	s_clause 0x1
	scratch_load_b128 v[1:4], v182, off
	scratch_load_b128 v[5:8], v9, off offset:-16
	s_waitcnt vmcnt(1)
	ds_store_2addr_b64 v0, v[1:2], v[3:4] offset1:1
	s_waitcnt vmcnt(0)
	s_clause 0x1
	scratch_store_b128 v182, v[5:8], off
	scratch_store_b128 v9, v[1:4], off offset:-16
.LBB47_388:
	s_or_b32 exec_lo, exec_lo, s0
	v_dual_mov_b32 v1, s16 :: v_dual_mov_b32 v2, s17
	s_mov_b32 s0, exec_lo
	flat_load_b32 v1, v[1:2] offset:12
	s_waitcnt vmcnt(0) lgkmcnt(0)
	v_cmpx_ne_u32_e32 4, v1
	s_cbranch_execz .LBB47_390
; %bb.389:
	v_lshl_add_u32 v9, v1, 4, 0
	s_clause 0x1
	scratch_load_b128 v[1:4], v183, off
	scratch_load_b128 v[5:8], v9, off offset:-16
	s_waitcnt vmcnt(1)
	ds_store_2addr_b64 v0, v[1:2], v[3:4] offset1:1
	s_waitcnt vmcnt(0)
	s_clause 0x1
	scratch_store_b128 v183, v[5:8], off
	scratch_store_b128 v9, v[1:4], off offset:-16
.LBB47_390:
	s_or_b32 exec_lo, exec_lo, s0
	v_dual_mov_b32 v1, s16 :: v_dual_mov_b32 v2, s17
	s_mov_b32 s0, exec_lo
	flat_load_b32 v1, v[1:2] offset:8
	s_waitcnt vmcnt(0) lgkmcnt(0)
	v_cmpx_ne_u32_e32 3, v1
	s_cbranch_execz .LBB47_392
; %bb.391:
	v_lshl_add_u32 v9, v1, 4, 0
	s_clause 0x1
	scratch_load_b128 v[1:4], v184, off
	scratch_load_b128 v[5:8], v9, off offset:-16
	s_waitcnt vmcnt(1)
	ds_store_2addr_b64 v0, v[1:2], v[3:4] offset1:1
	s_waitcnt vmcnt(0)
	s_clause 0x1
	scratch_store_b128 v184, v[5:8], off
	scratch_store_b128 v9, v[1:4], off offset:-16
.LBB47_392:
	s_or_b32 exec_lo, exec_lo, s0
	v_dual_mov_b32 v1, s16 :: v_dual_mov_b32 v2, s17
	s_mov_b32 s0, exec_lo
	flat_load_b32 v1, v[1:2] offset:4
	s_waitcnt vmcnt(0) lgkmcnt(0)
	v_cmpx_ne_u32_e32 2, v1
	s_cbranch_execz .LBB47_394
; %bb.393:
	v_lshl_add_u32 v9, v1, 4, 0
	s_clause 0x1
	scratch_load_b128 v[1:4], v185, off
	scratch_load_b128 v[5:8], v9, off offset:-16
	s_waitcnt vmcnt(1)
	ds_store_2addr_b64 v0, v[1:2], v[3:4] offset1:1
	s_waitcnt vmcnt(0)
	s_clause 0x1
	scratch_store_b128 v185, v[5:8], off
	scratch_store_b128 v9, v[1:4], off offset:-16
.LBB47_394:
	s_or_b32 exec_lo, exec_lo, s0
	v_dual_mov_b32 v1, s16 :: v_dual_mov_b32 v2, s17
	s_mov_b32 s0, exec_lo
	flat_load_b32 v1, v[1:2]
	s_waitcnt vmcnt(0) lgkmcnt(0)
	v_cmpx_ne_u32_e32 1, v1
	s_cbranch_execz .LBB47_396
; %bb.395:
	v_lshl_add_u32 v9, v1, 4, 0
	scratch_load_b128 v[1:4], off, off
	scratch_load_b128 v[5:8], v9, off offset:-16
	s_waitcnt vmcnt(1)
	ds_store_2addr_b64 v0, v[1:2], v[3:4] offset1:1
	s_waitcnt vmcnt(0)
	scratch_store_b128 off, v[5:8], off
	scratch_store_b128 v9, v[1:4], off offset:-16
.LBB47_396:
	s_or_b32 exec_lo, exec_lo, s0
.LBB47_397:
	scratch_load_b128 v[0:3], off, off
	s_clause 0x14
	scratch_load_b128 v[4:7], v185, off
	scratch_load_b128 v[8:11], v184, off
	;; [unrolled: 1-line block ×21, first 2 shown]
	s_waitcnt vmcnt(21)
	global_store_b128 v[42:43], v[0:3], off
	s_clause 0x1
	scratch_load_b128 v[0:3], v163, off
	scratch_load_b128 v[40:43], v164, off
	s_waitcnt vmcnt(22)
	global_store_b128 v[44:45], v[4:7], off
	s_clause 0x1
	scratch_load_b128 v[4:7], v162, off
	scratch_load_b128 v[161:164], v161, off
	;; [unrolled: 5-line block ×13, first 2 shown]
	s_waitcnt vmcnt(34)
	global_store_b128 v[68:69], v[188:191], off
	s_waitcnt vmcnt(33)
	global_store_b128 v[70:71], v[172:175], off
	;; [unrolled: 2-line block ×35, first 2 shown]
	s_endpgm
	.section	.rodata,"a",@progbits
	.p2align	6, 0x0
	.amdhsa_kernel _ZN9rocsolver6v33100L18getri_kernel_smallILi48E19rocblas_complex_numIdEPS3_EEvT1_iilPiilS6_bb
		.amdhsa_group_segment_fixed_size 2568
		.amdhsa_private_segment_fixed_size 784
		.amdhsa_kernarg_size 60
		.amdhsa_user_sgpr_count 15
		.amdhsa_user_sgpr_dispatch_ptr 1
		.amdhsa_user_sgpr_queue_ptr 0
		.amdhsa_user_sgpr_kernarg_segment_ptr 1
		.amdhsa_user_sgpr_dispatch_id 0
		.amdhsa_user_sgpr_private_segment_size 0
		.amdhsa_wavefront_size32 1
		.amdhsa_uses_dynamic_stack 0
		.amdhsa_enable_private_segment 1
		.amdhsa_system_sgpr_workgroup_id_x 1
		.amdhsa_system_sgpr_workgroup_id_y 0
		.amdhsa_system_sgpr_workgroup_id_z 0
		.amdhsa_system_sgpr_workgroup_info 0
		.amdhsa_system_vgpr_workitem_id 2
		.amdhsa_next_free_vgpr 242
		.amdhsa_next_free_sgpr 54
		.amdhsa_reserve_vcc 1
		.amdhsa_float_round_mode_32 0
		.amdhsa_float_round_mode_16_64 0
		.amdhsa_float_denorm_mode_32 3
		.amdhsa_float_denorm_mode_16_64 3
		.amdhsa_dx10_clamp 1
		.amdhsa_ieee_mode 1
		.amdhsa_fp16_overflow 0
		.amdhsa_workgroup_processor_mode 1
		.amdhsa_memory_ordered 1
		.amdhsa_forward_progress 0
		.amdhsa_shared_vgpr_count 0
		.amdhsa_exception_fp_ieee_invalid_op 0
		.amdhsa_exception_fp_denorm_src 0
		.amdhsa_exception_fp_ieee_div_zero 0
		.amdhsa_exception_fp_ieee_overflow 0
		.amdhsa_exception_fp_ieee_underflow 0
		.amdhsa_exception_fp_ieee_inexact 0
		.amdhsa_exception_int_div_zero 0
	.end_amdhsa_kernel
	.section	.text._ZN9rocsolver6v33100L18getri_kernel_smallILi48E19rocblas_complex_numIdEPS3_EEvT1_iilPiilS6_bb,"axG",@progbits,_ZN9rocsolver6v33100L18getri_kernel_smallILi48E19rocblas_complex_numIdEPS3_EEvT1_iilPiilS6_bb,comdat
.Lfunc_end47:
	.size	_ZN9rocsolver6v33100L18getri_kernel_smallILi48E19rocblas_complex_numIdEPS3_EEvT1_iilPiilS6_bb, .Lfunc_end47-_ZN9rocsolver6v33100L18getri_kernel_smallILi48E19rocblas_complex_numIdEPS3_EEvT1_iilPiilS6_bb
                                        ; -- End function
	.section	.AMDGPU.csdata,"",@progbits
; Kernel info:
; codeLenInByte = 106628
; NumSgprs: 56
; NumVgprs: 242
; ScratchSize: 784
; MemoryBound: 0
; FloatMode: 240
; IeeeMode: 1
; LDSByteSize: 2568 bytes/workgroup (compile time only)
; SGPRBlocks: 6
; VGPRBlocks: 30
; NumSGPRsForWavesPerEU: 56
; NumVGPRsForWavesPerEU: 242
; Occupancy: 5
; WaveLimiterHint : 1
; COMPUTE_PGM_RSRC2:SCRATCH_EN: 1
; COMPUTE_PGM_RSRC2:USER_SGPR: 15
; COMPUTE_PGM_RSRC2:TRAP_HANDLER: 0
; COMPUTE_PGM_RSRC2:TGID_X_EN: 1
; COMPUTE_PGM_RSRC2:TGID_Y_EN: 0
; COMPUTE_PGM_RSRC2:TGID_Z_EN: 0
; COMPUTE_PGM_RSRC2:TIDIG_COMP_CNT: 2
	.section	.text._ZN9rocsolver6v33100L18getri_kernel_smallILi49E19rocblas_complex_numIdEPS3_EEvT1_iilPiilS6_bb,"axG",@progbits,_ZN9rocsolver6v33100L18getri_kernel_smallILi49E19rocblas_complex_numIdEPS3_EEvT1_iilPiilS6_bb,comdat
	.globl	_ZN9rocsolver6v33100L18getri_kernel_smallILi49E19rocblas_complex_numIdEPS3_EEvT1_iilPiilS6_bb ; -- Begin function _ZN9rocsolver6v33100L18getri_kernel_smallILi49E19rocblas_complex_numIdEPS3_EEvT1_iilPiilS6_bb
	.p2align	8
	.type	_ZN9rocsolver6v33100L18getri_kernel_smallILi49E19rocblas_complex_numIdEPS3_EEvT1_iilPiilS6_bb,@function
_ZN9rocsolver6v33100L18getri_kernel_smallILi49E19rocblas_complex_numIdEPS3_EEvT1_iilPiilS6_bb: ; @_ZN9rocsolver6v33100L18getri_kernel_smallILi49E19rocblas_complex_numIdEPS3_EEvT1_iilPiilS6_bb
; %bb.0:
	v_and_b32_e32 v140, 0x3ff, v0
	s_mov_b32 s4, exec_lo
	s_delay_alu instid0(VALU_DEP_1)
	v_cmpx_gt_u32_e32 49, v140
	s_cbranch_execz .LBB48_210
; %bb.1:
	s_mov_b32 s18, s15
	s_clause 0x2
	s_load_b32 s21, s[2:3], 0x38
	s_load_b128 s[12:15], s[2:3], 0x10
	s_load_b128 s[4:7], s[2:3], 0x28
                                        ; implicit-def: $sgpr16_sgpr17
	s_waitcnt lgkmcnt(0)
	s_bitcmp1_b32 s21, 8
	s_cselect_b32 s20, -1, 0
	s_bfe_u32 s8, s21, 0x10008
	s_ashr_i32 s19, s18, 31
	s_cmp_eq_u32 s8, 0
	s_cbranch_scc1 .LBB48_3
; %bb.2:
	s_load_b32 s8, s[2:3], 0x20
	s_mul_i32 s5, s18, s5
	s_mul_hi_u32 s9, s18, s4
	s_mul_i32 s10, s19, s4
	s_add_i32 s5, s9, s5
	s_mul_i32 s4, s18, s4
	s_add_i32 s5, s5, s10
	s_delay_alu instid0(SALU_CYCLE_1)
	s_lshl_b64 s[4:5], s[4:5], 2
	s_waitcnt lgkmcnt(0)
	s_ashr_i32 s9, s8, 31
	s_add_u32 s10, s14, s4
	s_addc_u32 s11, s15, s5
	s_lshl_b64 s[4:5], s[8:9], 2
	s_delay_alu instid0(SALU_CYCLE_1)
	s_add_u32 s16, s10, s4
	s_addc_u32 s17, s11, s5
.LBB48_3:
	s_load_b128 s[8:11], s[2:3], 0x0
	s_mul_i32 s2, s18, s13
	s_mul_hi_u32 s3, s18, s12
	s_mul_i32 s4, s19, s12
	s_add_i32 s3, s3, s2
	s_mul_i32 s2, s18, s12
	s_add_i32 s3, s3, s4
	v_lshlrev_b32_e32 v13, 4, v140
	s_lshl_b64 s[2:3], s[2:3], 4
	s_movk_i32 s12, 0xd0
	s_movk_i32 s13, 0xe0
	;; [unrolled: 1-line block ×11, first 2 shown]
	s_waitcnt lgkmcnt(0)
	v_add3_u32 v5, s11, s11, v140
	s_ashr_i32 s5, s10, 31
	s_mov_b32 s4, s10
	s_add_u32 s8, s8, s2
	s_addc_u32 s9, s9, s3
	v_add_nc_u32_e32 v7, s11, v5
	s_lshl_b64 s[2:3], s[4:5], 4
	v_ashrrev_i32_e32 v6, 31, v5
	s_add_u32 s2, s8, s2
	s_addc_u32 s3, s9, s3
	v_add_co_u32 v42, s8, s2, v13
	v_add_nc_u32_e32 v9, s11, v7
	s_mov_b32 s4, s11
	s_ashr_i32 s5, s11, 31
	v_add_co_ci_u32_e64 v43, null, s3, 0, s8
	v_ashrrev_i32_e32 v8, 31, v7
	v_lshlrev_b64 v[5:6], 4, v[5:6]
	s_lshl_b64 s[4:5], s[4:5], 4
	v_ashrrev_i32_e32 v10, 31, v9
	v_add_co_u32 v44, vcc_lo, v42, s4
	v_add_nc_u32_e32 v11, s11, v9
	v_add_co_ci_u32_e32 v45, vcc_lo, s5, v43, vcc_lo
	v_lshlrev_b64 v[7:8], 4, v[7:8]
	v_add_co_u32 v46, vcc_lo, s2, v5
	v_add_co_ci_u32_e32 v47, vcc_lo, s3, v6, vcc_lo
	v_lshlrev_b64 v[5:6], 4, v[9:10]
	v_ashrrev_i32_e32 v12, 31, v11
	v_add_nc_u32_e32 v9, s11, v11
	v_add_co_u32 v48, vcc_lo, s2, v7
	v_add_co_ci_u32_e32 v49, vcc_lo, s3, v8, vcc_lo
	s_delay_alu instid0(VALU_DEP_4) | instskip(NEXT) | instid1(VALU_DEP_4)
	v_lshlrev_b64 v[7:8], 4, v[11:12]
	v_ashrrev_i32_e32 v10, 31, v9
	v_add_nc_u32_e32 v11, s11, v9
	v_add_co_u32 v50, vcc_lo, s2, v5
	v_add_co_ci_u32_e32 v51, vcc_lo, s3, v6, vcc_lo
	s_delay_alu instid0(VALU_DEP_4) | instskip(NEXT) | instid1(VALU_DEP_4)
	;; [unrolled: 6-line block ×11, first 2 shown]
	v_lshlrev_b64 v[7:8], 4, v[11:12]
	v_add_nc_u32_e32 v11, s11, v9
	v_ashrrev_i32_e32 v10, 31, v9
	v_add_co_u32 v70, vcc_lo, s2, v5
	v_add_co_ci_u32_e32 v71, vcc_lo, s3, v6, vcc_lo
	s_delay_alu instid0(VALU_DEP_4) | instskip(SKIP_3) | instid1(VALU_DEP_4)
	v_ashrrev_i32_e32 v12, 31, v11
	v_add_nc_u32_e32 v30, s11, v11
	v_lshlrev_b64 v[22:23], 4, v[9:10]
	v_add_co_u32 v72, vcc_lo, s2, v7
	v_lshlrev_b64 v[76:77], 4, v[11:12]
	s_delay_alu instid0(VALU_DEP_4)
	v_ashrrev_i32_e32 v31, 31, v30
	global_load_b128 v[1:4], v13, s[2:3]
	v_add_co_ci_u32_e32 v73, vcc_lo, s3, v8, vcc_lo
	v_add_co_u32 v74, vcc_lo, s2, v22
	s_clause 0x3
	global_load_b128 v[5:8], v[44:45], off
	global_load_b128 v[9:12], v[46:47], off
	;; [unrolled: 1-line block ×4, first 2 shown]
	v_add_co_ci_u32_e32 v75, vcc_lo, s3, v23, vcc_lo
	s_clause 0x1
	global_load_b128 v[22:25], v[52:53], off
	global_load_b128 v[26:29], v[54:55], off
	v_add_nc_u32_e32 v78, s11, v30
	v_lshlrev_b64 v[80:81], 4, v[30:31]
	s_clause 0x1
	global_load_b128 v[30:33], v[56:57], off
	global_load_b128 v[34:37], v[58:59], off
	v_add_co_u32 v76, vcc_lo, s2, v76
	s_clause 0x3
	global_load_b128 v[38:41], v[60:61], off
	global_load_b128 v[141:144], v[62:63], off
	;; [unrolled: 1-line block ×4, first 2 shown]
	v_add_co_ci_u32_e32 v77, vcc_lo, s3, v77, vcc_lo
	s_clause 0x4
	global_load_b128 v[153:156], v[68:69], off
	global_load_b128 v[157:160], v[70:71], off
	;; [unrolled: 1-line block ×5, first 2 shown]
	v_add_nc_u32_e32 v84, s11, v78
	v_ashrrev_i32_e32 v79, 31, v78
	s_movk_i32 s4, 0x70
	s_movk_i32 s5, 0x80
	;; [unrolled: 1-line block ×3, first 2 shown]
	v_ashrrev_i32_e32 v85, 31, v84
	v_lshlrev_b64 v[82:83], 4, v[78:79]
	v_add_co_u32 v78, vcc_lo, s2, v80
	v_add_co_ci_u32_e32 v79, vcc_lo, s3, v81, vcc_lo
	s_delay_alu instid0(VALU_DEP_4) | instskip(NEXT) | instid1(VALU_DEP_4)
	v_lshlrev_b64 v[85:86], 4, v[84:85]
	v_add_co_u32 v80, vcc_lo, s2, v82
	v_add_nc_u32_e32 v84, s11, v84
	v_add_co_ci_u32_e32 v81, vcc_lo, s3, v83, vcc_lo
	s_delay_alu instid0(VALU_DEP_4) | instskip(SKIP_1) | instid1(VALU_DEP_4)
	v_add_co_u32 v82, vcc_lo, s2, v85
	v_add_co_ci_u32_e32 v83, vcc_lo, s3, v86, vcc_lo
	v_add_nc_u32_e32 v86, s11, v84
	v_ashrrev_i32_e32 v85, 31, v84
	s_clause 0x2
	global_load_b128 v[173:176], v[78:79], off
	global_load_b128 v[177:180], v[80:81], off
	;; [unrolled: 1-line block ×3, first 2 shown]
	s_movk_i32 s9, 0xa0
	s_movk_i32 s10, 0xb0
	v_add_nc_u32_e32 v88, s11, v86
	v_ashrrev_i32_e32 v87, 31, v86
	v_lshlrev_b64 v[84:85], 4, v[84:85]
	s_movk_i32 s29, 0x180
	s_movk_i32 s30, 0x190
	v_add_nc_u32_e32 v90, s11, v88
	v_ashrrev_i32_e32 v89, 31, v88
	v_lshlrev_b64 v[86:87], 4, v[86:87]
	v_add_co_u32 v84, vcc_lo, s2, v84
	s_delay_alu instid0(VALU_DEP_4) | instskip(SKIP_3) | instid1(VALU_DEP_4)
	v_add_nc_u32_e32 v92, s11, v90
	v_ashrrev_i32_e32 v91, 31, v90
	v_lshlrev_b64 v[88:89], 4, v[88:89]
	v_add_co_ci_u32_e32 v85, vcc_lo, s3, v85, vcc_lo
	v_add_nc_u32_e32 v94, s11, v92
	v_ashrrev_i32_e32 v93, 31, v92
	v_add_co_u32 v86, vcc_lo, s2, v86
	v_lshlrev_b64 v[90:91], 4, v[90:91]
	s_delay_alu instid0(VALU_DEP_4) | instskip(SKIP_3) | instid1(VALU_DEP_4)
	v_add_nc_u32_e32 v96, s11, v94
	v_ashrrev_i32_e32 v95, 31, v94
	v_add_co_ci_u32_e32 v87, vcc_lo, s3, v87, vcc_lo
	v_add_co_u32 v88, vcc_lo, s2, v88
	v_add_nc_u32_e32 v98, s11, v96
	v_lshlrev_b64 v[92:93], 4, v[92:93]
	v_ashrrev_i32_e32 v97, 31, v96
	v_add_co_ci_u32_e32 v89, vcc_lo, s3, v89, vcc_lo
	s_delay_alu instid0(VALU_DEP_4) | instskip(SKIP_3) | instid1(VALU_DEP_4)
	v_add_nc_u32_e32 v100, s11, v98
	v_add_co_u32 v90, vcc_lo, s2, v90
	v_lshlrev_b64 v[94:95], 4, v[94:95]
	v_ashrrev_i32_e32 v99, 31, v98
	v_add_nc_u32_e32 v102, s11, v100
	v_add_co_ci_u32_e32 v91, vcc_lo, s3, v91, vcc_lo
	v_add_co_u32 v92, vcc_lo, s2, v92
	s_delay_alu instid0(VALU_DEP_3) | instskip(SKIP_3) | instid1(VALU_DEP_4)
	v_add_nc_u32_e32 v104, s11, v102
	v_lshlrev_b64 v[96:97], 4, v[96:97]
	v_ashrrev_i32_e32 v101, 31, v100
	v_add_co_ci_u32_e32 v93, vcc_lo, s3, v93, vcc_lo
	v_add_nc_u32_e32 v106, s11, v104
	v_add_co_u32 v94, vcc_lo, s2, v94
	v_lshlrev_b64 v[98:99], 4, v[98:99]
	v_ashrrev_i32_e32 v103, 31, v102
	s_delay_alu instid0(VALU_DEP_4) | instskip(SKIP_2) | instid1(VALU_DEP_3)
	v_add_nc_u32_e32 v108, s11, v106
	v_add_co_ci_u32_e32 v95, vcc_lo, s3, v95, vcc_lo
	v_add_co_u32 v96, vcc_lo, s2, v96
	v_add_nc_u32_e32 v110, s11, v108
	v_lshlrev_b64 v[100:101], 4, v[100:101]
	v_ashrrev_i32_e32 v105, 31, v104
	v_add_co_ci_u32_e32 v97, vcc_lo, s3, v97, vcc_lo
	s_delay_alu instid0(VALU_DEP_4) | instskip(SKIP_3) | instid1(VALU_DEP_4)
	v_add_nc_u32_e32 v112, s11, v110
	v_add_co_u32 v98, vcc_lo, s2, v98
	v_lshlrev_b64 v[102:103], 4, v[102:103]
	v_ashrrev_i32_e32 v107, 31, v106
	v_add_nc_u32_e32 v114, s11, v112
	v_add_co_ci_u32_e32 v99, vcc_lo, s3, v99, vcc_lo
	v_add_co_u32 v100, vcc_lo, s2, v100
	s_delay_alu instid0(VALU_DEP_3) | instskip(SKIP_3) | instid1(VALU_DEP_4)
	v_add_nc_u32_e32 v116, s11, v114
	v_lshlrev_b64 v[104:105], 4, v[104:105]
	v_ashrrev_i32_e32 v109, 31, v108
	v_add_co_ci_u32_e32 v101, vcc_lo, s3, v101, vcc_lo
	v_add_nc_u32_e32 v118, s11, v116
	v_add_co_u32 v102, vcc_lo, s2, v102
	v_lshlrev_b64 v[106:107], 4, v[106:107]
	v_ashrrev_i32_e32 v111, 31, v110
	s_delay_alu instid0(VALU_DEP_4) | instskip(SKIP_2) | instid1(VALU_DEP_3)
	v_add_nc_u32_e32 v120, s11, v118
	v_add_co_ci_u32_e32 v103, vcc_lo, s3, v103, vcc_lo
	v_add_co_u32 v104, vcc_lo, s2, v104
	v_add_nc_u32_e32 v122, s11, v120
	v_lshlrev_b64 v[108:109], 4, v[108:109]
	v_ashrrev_i32_e32 v113, 31, v112
	v_add_co_ci_u32_e32 v105, vcc_lo, s3, v105, vcc_lo
	s_delay_alu instid0(VALU_DEP_4)
	v_add_nc_u32_e32 v124, s11, v122
	v_add_co_u32 v106, vcc_lo, s2, v106
	v_lshlrev_b64 v[110:111], 4, v[110:111]
	v_ashrrev_i32_e32 v115, 31, v114
	v_add_co_ci_u32_e32 v107, vcc_lo, s3, v107, vcc_lo
	v_add_nc_u32_e32 v126, s11, v124
	v_add_co_u32 v108, vcc_lo, s2, v108
	v_lshlrev_b64 v[112:113], 4, v[112:113]
	v_ashrrev_i32_e32 v117, 31, v116
	v_add_co_ci_u32_e32 v109, vcc_lo, s3, v109, vcc_lo
	v_add_co_u32 v110, vcc_lo, s2, v110
	v_lshlrev_b64 v[114:115], 4, v[114:115]
	v_ashrrev_i32_e32 v119, 31, v118
	v_add_nc_u32_e32 v128, s11, v126
	v_add_co_ci_u32_e32 v111, vcc_lo, s3, v111, vcc_lo
	v_add_co_u32 v112, vcc_lo, s2, v112
	v_lshlrev_b64 v[116:117], 4, v[116:117]
	v_ashrrev_i32_e32 v121, 31, v120
	v_add_co_ci_u32_e32 v113, vcc_lo, s3, v113, vcc_lo
	v_add_co_u32 v114, vcc_lo, s2, v114
	v_lshlrev_b64 v[118:119], 4, v[118:119]
	v_add_nc_u32_e32 v130, s11, v128
	v_ashrrev_i32_e32 v123, 31, v122
	v_add_co_ci_u32_e32 v115, vcc_lo, s3, v115, vcc_lo
	v_add_co_u32 v116, vcc_lo, s2, v116
	v_lshlrev_b64 v[120:121], 4, v[120:121]
	v_ashrrev_i32_e32 v125, 31, v124
	v_add_co_ci_u32_e32 v117, vcc_lo, s3, v117, vcc_lo
	v_add_nc_u32_e32 v132, s11, v130
	v_add_co_u32 v118, vcc_lo, s2, v118
	v_lshlrev_b64 v[122:123], 4, v[122:123]
	v_ashrrev_i32_e32 v127, 31, v126
	v_add_co_ci_u32_e32 v119, vcc_lo, s3, v119, vcc_lo
	v_add_co_u32 v120, vcc_lo, s2, v120
	v_lshlrev_b64 v[124:125], 4, v[124:125]
	v_ashrrev_i32_e32 v129, 31, v128
	v_add_nc_u32_e32 v134, s11, v132
	v_add_co_ci_u32_e32 v121, vcc_lo, s3, v121, vcc_lo
	v_add_co_u32 v122, vcc_lo, s2, v122
	v_lshlrev_b64 v[126:127], 4, v[126:127]
	v_ashrrev_i32_e32 v131, 31, v130
	v_add_co_ci_u32_e32 v123, vcc_lo, s3, v123, vcc_lo
	v_add_co_u32 v124, vcc_lo, s2, v124
	v_lshlrev_b64 v[128:129], 4, v[128:129]
	v_add_nc_u32_e32 v136, s11, v134
	v_ashrrev_i32_e32 v133, 31, v132
	v_add_co_ci_u32_e32 v125, vcc_lo, s3, v125, vcc_lo
	v_add_co_u32 v126, vcc_lo, s2, v126
	v_lshlrev_b64 v[130:131], 4, v[130:131]
	v_ashrrev_i32_e32 v135, 31, v134
	v_add_co_ci_u32_e32 v127, vcc_lo, s3, v127, vcc_lo
	v_add_nc_u32_e32 v138, s11, v136
	v_add_co_u32 v128, vcc_lo, s2, v128
	v_lshlrev_b64 v[132:133], 4, v[132:133]
	v_ashrrev_i32_e32 v137, 31, v136
	v_add_co_ci_u32_e32 v129, vcc_lo, s3, v129, vcc_lo
	v_add_co_u32 v130, vcc_lo, s2, v130
	v_lshlrev_b64 v[134:135], 4, v[134:135]
	v_ashrrev_i32_e32 v139, 31, v138
	v_add_co_ci_u32_e32 v131, vcc_lo, s3, v131, vcc_lo
	v_add_co_u32 v132, vcc_lo, s2, v132
	v_lshlrev_b64 v[136:137], 4, v[136:137]
	s_clause 0x5
	global_load_b128 v[185:188], v[84:85], off
	global_load_b128 v[189:192], v[86:87], off
	;; [unrolled: 1-line block ×6, first 2 shown]
	v_add_co_ci_u32_e32 v133, vcc_lo, s3, v133, vcc_lo
	v_add_co_u32 v134, vcc_lo, s2, v134
	v_lshlrev_b64 v[138:139], 4, v[138:139]
	v_add_co_ci_u32_e32 v135, vcc_lo, s3, v135, vcc_lo
	v_add_co_u32 v136, vcc_lo, s2, v136
	v_add_co_ci_u32_e32 v137, vcc_lo, s3, v137, vcc_lo
	s_delay_alu instid0(VALU_DEP_4)
	v_add_co_u32 v138, vcc_lo, s2, v138
	v_add_co_ci_u32_e32 v139, vcc_lo, s3, v139, vcc_lo
	s_movk_i32 s2, 0x50
	s_movk_i32 s3, 0x60
	;; [unrolled: 1-line block ×26, first 2 shown]
	s_bitcmp0_b32 s21, 0
	s_waitcnt vmcnt(26)
	scratch_store_b128 off, v[1:4], off
	s_clause 0x1
	global_load_b128 v[1:4], v[96:97], off
	global_load_b128 v[209:212], v[98:99], off
	s_waitcnt vmcnt(27)
	scratch_store_b128 off, v[5:8], off offset:16
	s_waitcnt vmcnt(26)
	scratch_store_b128 off, v[9:12], off offset:32
	s_clause 0x1
	global_load_b128 v[5:8], v[100:101], off
	global_load_b128 v[9:12], v[102:103], off
	s_waitcnt vmcnt(27)
	scratch_store_b128 off, v[14:17], off offset:48
	s_waitcnt vmcnt(26)
	scratch_store_b128 off, v[18:21], off offset:64
	;; [unrolled: 7-line block ×8, first 2 shown]
	s_clause 0x5
	global_load_b128 v[225:228], v[128:129], off
	global_load_b128 v[229:232], v[130:131], off
	;; [unrolled: 1-line block ×6, first 2 shown]
	s_waitcnt vmcnt(31)
	scratch_store_b128 off, v[169:172], off offset:272
	v_add_nc_u32_e64 v172, s22, 0
	v_add_nc_u32_e64 v171, s23, 0
	;; [unrolled: 1-line block ×14, first 2 shown]
	s_waitcnt vmcnt(30)
	scratch_store_b128 off, v[173:176], off offset:288
	s_waitcnt vmcnt(29)
	scratch_store_b128 off, v[177:180], off offset:304
	;; [unrolled: 2-line block ×3, first 2 shown]
	v_add_nc_u32_e64 v184, s2, 0
	v_add_nc_u32_e64 v183, s3, 0
	;; [unrolled: 1-line block ×22, first 2 shown]
	s_mov_b32 s3, -1
	s_waitcnt vmcnt(27)
	scratch_store_b128 off, v[185:188], off offset:336
	s_waitcnt vmcnt(26)
	scratch_store_b128 off, v[189:192], off offset:352
	v_add_nc_u32_e64 v188, 0, 16
	v_add_nc_u32_e64 v187, 0, 32
	;; [unrolled: 1-line block ×4, first 2 shown]
	s_waitcnt vmcnt(25)
	scratch_store_b128 off, v[193:196], off offset:368
	s_waitcnt vmcnt(24)
	scratch_store_b128 off, v[197:200], off offset:384
	;; [unrolled: 2-line block ×23, first 2 shown]
	v_add_nc_u32_e64 v153, s45, 0
	v_add_nc_u32_e64 v152, s46, 0
	;; [unrolled: 1-line block ×8, first 2 shown]
	s_waitcnt vmcnt(2)
	scratch_store_b128 off, v[237:240], off offset:736
	s_waitcnt vmcnt(1)
	scratch_store_b128 off, v[241:244], off offset:752
	;; [unrolled: 2-line block ×3, first 2 shown]
	s_cbranch_scc1 .LBB48_208
; %bb.4:
	v_cmp_eq_u32_e64 s2, 0, v140
	s_delay_alu instid0(VALU_DEP_1)
	s_and_saveexec_b32 s3, s2
	s_cbranch_execz .LBB48_6
; %bb.5:
	v_mov_b32_e32 v1, 0
	ds_store_b32 v1, v1 offset:1568
.LBB48_6:
	s_or_b32 exec_lo, exec_lo, s3
	s_waitcnt lgkmcnt(0)
	s_waitcnt_vscnt null, 0x0
	s_barrier
	buffer_gl0_inv
	scratch_load_b128 v[1:4], v13, off
	s_waitcnt vmcnt(0)
	v_cmp_eq_f64_e32 vcc_lo, 0, v[1:2]
	v_cmp_eq_f64_e64 s3, 0, v[3:4]
	s_delay_alu instid0(VALU_DEP_1) | instskip(NEXT) | instid1(SALU_CYCLE_1)
	s_and_b32 s3, vcc_lo, s3
	s_and_saveexec_b32 s4, s3
	s_cbranch_execz .LBB48_10
; %bb.7:
	v_mov_b32_e32 v1, 0
	s_mov_b32 s5, 0
	ds_load_b32 v2, v1 offset:1568
	s_waitcnt lgkmcnt(0)
	v_readfirstlane_b32 s3, v2
	v_add_nc_u32_e32 v2, 1, v140
	s_delay_alu instid0(VALU_DEP_2) | instskip(NEXT) | instid1(VALU_DEP_1)
	s_cmp_eq_u32 s3, 0
	v_cmp_gt_i32_e32 vcc_lo, s3, v2
	s_cselect_b32 s8, -1, 0
	s_delay_alu instid0(SALU_CYCLE_1) | instskip(NEXT) | instid1(SALU_CYCLE_1)
	s_or_b32 s8, s8, vcc_lo
	s_and_b32 exec_lo, exec_lo, s8
	s_cbranch_execz .LBB48_10
; %bb.8:
	v_mov_b32_e32 v3, s3
.LBB48_9:                               ; =>This Inner Loop Header: Depth=1
	ds_cmpstore_rtn_b32 v3, v1, v2, v3 offset:1568
	s_waitcnt lgkmcnt(0)
	v_cmp_ne_u32_e32 vcc_lo, 0, v3
	v_cmp_le_i32_e64 s3, v3, v2
	s_delay_alu instid0(VALU_DEP_1) | instskip(NEXT) | instid1(SALU_CYCLE_1)
	s_and_b32 s3, vcc_lo, s3
	s_and_b32 s3, exec_lo, s3
	s_delay_alu instid0(SALU_CYCLE_1) | instskip(NEXT) | instid1(SALU_CYCLE_1)
	s_or_b32 s5, s3, s5
	s_and_not1_b32 exec_lo, exec_lo, s5
	s_cbranch_execnz .LBB48_9
.LBB48_10:
	s_or_b32 exec_lo, exec_lo, s4
	v_mov_b32_e32 v1, 0
	s_barrier
	buffer_gl0_inv
	ds_load_b32 v2, v1 offset:1568
	s_and_saveexec_b32 s3, s2
	s_cbranch_execz .LBB48_12
; %bb.11:
	s_lshl_b64 s[4:5], s[18:19], 2
	s_delay_alu instid0(SALU_CYCLE_1)
	s_add_u32 s4, s6, s4
	s_addc_u32 s5, s7, s5
	s_waitcnt lgkmcnt(0)
	global_store_b32 v1, v2, s[4:5]
.LBB48_12:
	s_or_b32 exec_lo, exec_lo, s3
	s_waitcnt lgkmcnt(0)
	v_cmp_ne_u32_e32 vcc_lo, 0, v2
	s_mov_b32 s3, 0
	s_cbranch_vccnz .LBB48_208
; %bb.13:
	v_add_nc_u32_e32 v14, 0, v13
                                        ; implicit-def: $vgpr9_vgpr10
	scratch_load_b128 v[1:4], v14, off
	s_waitcnt vmcnt(0)
	v_mov_b32_e32 v5, v1
	v_cmp_gt_f64_e32 vcc_lo, 0, v[1:2]
	v_xor_b32_e32 v6, 0x80000000, v2
	v_xor_b32_e32 v7, 0x80000000, v4
	s_delay_alu instid0(VALU_DEP_2) | instskip(SKIP_1) | instid1(VALU_DEP_3)
	v_cndmask_b32_e32 v6, v2, v6, vcc_lo
	v_cmp_gt_f64_e32 vcc_lo, 0, v[3:4]
	v_dual_cndmask_b32 v8, v4, v7 :: v_dual_mov_b32 v7, v3
	s_delay_alu instid0(VALU_DEP_1) | instskip(SKIP_1) | instid1(SALU_CYCLE_1)
	v_cmp_ngt_f64_e32 vcc_lo, v[5:6], v[7:8]
                                        ; implicit-def: $vgpr5_vgpr6
	s_and_saveexec_b32 s3, vcc_lo
	s_xor_b32 s3, exec_lo, s3
	s_cbranch_execz .LBB48_15
; %bb.14:
	v_div_scale_f64 v[5:6], null, v[3:4], v[3:4], v[1:2]
	v_div_scale_f64 v[11:12], vcc_lo, v[1:2], v[3:4], v[1:2]
	s_delay_alu instid0(VALU_DEP_2) | instskip(SKIP_2) | instid1(VALU_DEP_1)
	v_rcp_f64_e32 v[7:8], v[5:6]
	s_waitcnt_depctr 0xfff
	v_fma_f64 v[9:10], -v[5:6], v[7:8], 1.0
	v_fma_f64 v[7:8], v[7:8], v[9:10], v[7:8]
	s_delay_alu instid0(VALU_DEP_1) | instskip(NEXT) | instid1(VALU_DEP_1)
	v_fma_f64 v[9:10], -v[5:6], v[7:8], 1.0
	v_fma_f64 v[7:8], v[7:8], v[9:10], v[7:8]
	s_delay_alu instid0(VALU_DEP_1) | instskip(NEXT) | instid1(VALU_DEP_1)
	v_mul_f64 v[9:10], v[11:12], v[7:8]
	v_fma_f64 v[5:6], -v[5:6], v[9:10], v[11:12]
	s_delay_alu instid0(VALU_DEP_1) | instskip(NEXT) | instid1(VALU_DEP_1)
	v_div_fmas_f64 v[5:6], v[5:6], v[7:8], v[9:10]
	v_div_fixup_f64 v[5:6], v[5:6], v[3:4], v[1:2]
	s_delay_alu instid0(VALU_DEP_1) | instskip(NEXT) | instid1(VALU_DEP_1)
	v_fma_f64 v[1:2], v[1:2], v[5:6], v[3:4]
	v_div_scale_f64 v[3:4], null, v[1:2], v[1:2], 1.0
	v_div_scale_f64 v[11:12], vcc_lo, 1.0, v[1:2], 1.0
	s_delay_alu instid0(VALU_DEP_2) | instskip(SKIP_2) | instid1(VALU_DEP_1)
	v_rcp_f64_e32 v[7:8], v[3:4]
	s_waitcnt_depctr 0xfff
	v_fma_f64 v[9:10], -v[3:4], v[7:8], 1.0
	v_fma_f64 v[7:8], v[7:8], v[9:10], v[7:8]
	s_delay_alu instid0(VALU_DEP_1) | instskip(NEXT) | instid1(VALU_DEP_1)
	v_fma_f64 v[9:10], -v[3:4], v[7:8], 1.0
	v_fma_f64 v[7:8], v[7:8], v[9:10], v[7:8]
	s_delay_alu instid0(VALU_DEP_1) | instskip(NEXT) | instid1(VALU_DEP_1)
	v_mul_f64 v[9:10], v[11:12], v[7:8]
	v_fma_f64 v[3:4], -v[3:4], v[9:10], v[11:12]
	s_delay_alu instid0(VALU_DEP_1) | instskip(NEXT) | instid1(VALU_DEP_1)
	v_div_fmas_f64 v[3:4], v[3:4], v[7:8], v[9:10]
	v_div_fixup_f64 v[7:8], v[3:4], v[1:2], 1.0
                                        ; implicit-def: $vgpr1_vgpr2
	s_delay_alu instid0(VALU_DEP_1) | instskip(SKIP_1) | instid1(VALU_DEP_2)
	v_mul_f64 v[5:6], v[5:6], v[7:8]
	v_xor_b32_e32 v8, 0x80000000, v8
	v_xor_b32_e32 v10, 0x80000000, v6
	s_delay_alu instid0(VALU_DEP_3)
	v_mov_b32_e32 v9, v5
.LBB48_15:
	s_and_not1_saveexec_b32 s3, s3
	s_cbranch_execz .LBB48_17
; %bb.16:
	v_div_scale_f64 v[5:6], null, v[1:2], v[1:2], v[3:4]
	v_div_scale_f64 v[11:12], vcc_lo, v[3:4], v[1:2], v[3:4]
	s_delay_alu instid0(VALU_DEP_2) | instskip(SKIP_2) | instid1(VALU_DEP_1)
	v_rcp_f64_e32 v[7:8], v[5:6]
	s_waitcnt_depctr 0xfff
	v_fma_f64 v[9:10], -v[5:6], v[7:8], 1.0
	v_fma_f64 v[7:8], v[7:8], v[9:10], v[7:8]
	s_delay_alu instid0(VALU_DEP_1) | instskip(NEXT) | instid1(VALU_DEP_1)
	v_fma_f64 v[9:10], -v[5:6], v[7:8], 1.0
	v_fma_f64 v[7:8], v[7:8], v[9:10], v[7:8]
	s_delay_alu instid0(VALU_DEP_1) | instskip(NEXT) | instid1(VALU_DEP_1)
	v_mul_f64 v[9:10], v[11:12], v[7:8]
	v_fma_f64 v[5:6], -v[5:6], v[9:10], v[11:12]
	s_delay_alu instid0(VALU_DEP_1) | instskip(NEXT) | instid1(VALU_DEP_1)
	v_div_fmas_f64 v[5:6], v[5:6], v[7:8], v[9:10]
	v_div_fixup_f64 v[7:8], v[5:6], v[1:2], v[3:4]
	s_delay_alu instid0(VALU_DEP_1) | instskip(NEXT) | instid1(VALU_DEP_1)
	v_fma_f64 v[1:2], v[3:4], v[7:8], v[1:2]
	v_div_scale_f64 v[3:4], null, v[1:2], v[1:2], 1.0
	s_delay_alu instid0(VALU_DEP_1) | instskip(SKIP_2) | instid1(VALU_DEP_1)
	v_rcp_f64_e32 v[5:6], v[3:4]
	s_waitcnt_depctr 0xfff
	v_fma_f64 v[9:10], -v[3:4], v[5:6], 1.0
	v_fma_f64 v[5:6], v[5:6], v[9:10], v[5:6]
	s_delay_alu instid0(VALU_DEP_1) | instskip(NEXT) | instid1(VALU_DEP_1)
	v_fma_f64 v[9:10], -v[3:4], v[5:6], 1.0
	v_fma_f64 v[5:6], v[5:6], v[9:10], v[5:6]
	v_div_scale_f64 v[9:10], vcc_lo, 1.0, v[1:2], 1.0
	s_delay_alu instid0(VALU_DEP_1) | instskip(NEXT) | instid1(VALU_DEP_1)
	v_mul_f64 v[11:12], v[9:10], v[5:6]
	v_fma_f64 v[3:4], -v[3:4], v[11:12], v[9:10]
	s_delay_alu instid0(VALU_DEP_1) | instskip(NEXT) | instid1(VALU_DEP_1)
	v_div_fmas_f64 v[3:4], v[3:4], v[5:6], v[11:12]
	v_div_fixup_f64 v[5:6], v[3:4], v[1:2], 1.0
	s_delay_alu instid0(VALU_DEP_1)
	v_mul_f64 v[7:8], v[7:8], -v[5:6]
	v_xor_b32_e32 v10, 0x80000000, v6
	v_mov_b32_e32 v9, v5
.LBB48_17:
	s_or_b32 exec_lo, exec_lo, s3
	scratch_store_b128 v14, v[5:8], off
	scratch_load_b128 v[1:4], v188, off
	v_xor_b32_e32 v12, 0x80000000, v8
	v_mov_b32_e32 v11, v7
	v_add_nc_u32_e32 v5, 0x310, v13
	ds_store_b128 v13, v[9:12]
	s_waitcnt vmcnt(0)
	ds_store_b128 v13, v[1:4] offset:784
	s_waitcnt lgkmcnt(0)
	s_waitcnt_vscnt null, 0x0
	s_barrier
	buffer_gl0_inv
	s_and_saveexec_b32 s3, s2
	s_cbranch_execz .LBB48_19
; %bb.18:
	scratch_load_b128 v[1:4], v14, off
	ds_load_b128 v[6:9], v5
	v_mov_b32_e32 v10, 0
	ds_load_b128 v[15:18], v10 offset:16
	s_waitcnt vmcnt(0) lgkmcnt(1)
	v_mul_f64 v[10:11], v[6:7], v[3:4]
	v_mul_f64 v[3:4], v[8:9], v[3:4]
	s_delay_alu instid0(VALU_DEP_2) | instskip(NEXT) | instid1(VALU_DEP_2)
	v_fma_f64 v[8:9], v[8:9], v[1:2], v[10:11]
	v_fma_f64 v[1:2], v[6:7], v[1:2], -v[3:4]
	s_delay_alu instid0(VALU_DEP_2) | instskip(NEXT) | instid1(VALU_DEP_2)
	v_add_f64 v[3:4], v[8:9], 0
	v_add_f64 v[1:2], v[1:2], 0
	s_waitcnt lgkmcnt(0)
	s_delay_alu instid0(VALU_DEP_2) | instskip(NEXT) | instid1(VALU_DEP_2)
	v_mul_f64 v[6:7], v[3:4], v[17:18]
	v_mul_f64 v[8:9], v[1:2], v[17:18]
	s_delay_alu instid0(VALU_DEP_2) | instskip(NEXT) | instid1(VALU_DEP_2)
	v_fma_f64 v[1:2], v[1:2], v[15:16], -v[6:7]
	v_fma_f64 v[3:4], v[3:4], v[15:16], v[8:9]
	scratch_store_b128 off, v[1:4], off offset:16
.LBB48_19:
	s_or_b32 exec_lo, exec_lo, s3
	s_waitcnt_vscnt null, 0x0
	s_barrier
	buffer_gl0_inv
	scratch_load_b128 v[1:4], v187, off
	s_mov_b32 s3, exec_lo
	s_waitcnt vmcnt(0)
	ds_store_b128 v5, v[1:4]
	s_waitcnt lgkmcnt(0)
	s_barrier
	buffer_gl0_inv
	v_cmpx_gt_u32_e32 2, v140
	s_cbranch_execz .LBB48_23
; %bb.20:
	scratch_load_b128 v[1:4], v14, off
	ds_load_b128 v[6:9], v5
	s_waitcnt vmcnt(0) lgkmcnt(0)
	v_mul_f64 v[10:11], v[8:9], v[3:4]
	v_mul_f64 v[3:4], v[6:7], v[3:4]
	s_delay_alu instid0(VALU_DEP_2) | instskip(NEXT) | instid1(VALU_DEP_2)
	v_fma_f64 v[6:7], v[6:7], v[1:2], -v[10:11]
	v_fma_f64 v[3:4], v[8:9], v[1:2], v[3:4]
	s_delay_alu instid0(VALU_DEP_2) | instskip(NEXT) | instid1(VALU_DEP_2)
	v_add_f64 v[1:2], v[6:7], 0
	v_add_f64 v[3:4], v[3:4], 0
	s_and_saveexec_b32 s4, s2
	s_cbranch_execz .LBB48_22
; %bb.21:
	scratch_load_b128 v[6:9], off, off offset:16
	v_mov_b32_e32 v10, 0
	ds_load_b128 v[15:18], v10 offset:800
	s_waitcnt vmcnt(0) lgkmcnt(0)
	v_mul_f64 v[10:11], v[15:16], v[8:9]
	v_mul_f64 v[8:9], v[17:18], v[8:9]
	s_delay_alu instid0(VALU_DEP_2) | instskip(NEXT) | instid1(VALU_DEP_2)
	v_fma_f64 v[10:11], v[17:18], v[6:7], v[10:11]
	v_fma_f64 v[6:7], v[15:16], v[6:7], -v[8:9]
	s_delay_alu instid0(VALU_DEP_2) | instskip(NEXT) | instid1(VALU_DEP_2)
	v_add_f64 v[3:4], v[3:4], v[10:11]
	v_add_f64 v[1:2], v[1:2], v[6:7]
.LBB48_22:
	s_or_b32 exec_lo, exec_lo, s4
	v_mov_b32_e32 v6, 0
	ds_load_b128 v[6:9], v6 offset:32
	s_waitcnt lgkmcnt(0)
	v_mul_f64 v[10:11], v[3:4], v[8:9]
	v_mul_f64 v[8:9], v[1:2], v[8:9]
	s_delay_alu instid0(VALU_DEP_2) | instskip(NEXT) | instid1(VALU_DEP_2)
	v_fma_f64 v[1:2], v[1:2], v[6:7], -v[10:11]
	v_fma_f64 v[3:4], v[3:4], v[6:7], v[8:9]
	scratch_store_b128 off, v[1:4], off offset:32
.LBB48_23:
	s_or_b32 exec_lo, exec_lo, s3
	s_waitcnt_vscnt null, 0x0
	s_barrier
	buffer_gl0_inv
	scratch_load_b128 v[1:4], v186, off
	v_add_nc_u32_e32 v6, -1, v140
	s_mov_b32 s2, exec_lo
	s_waitcnt vmcnt(0)
	ds_store_b128 v5, v[1:4]
	s_waitcnt lgkmcnt(0)
	s_barrier
	buffer_gl0_inv
	v_cmpx_gt_u32_e32 3, v140
	s_cbranch_execz .LBB48_27
; %bb.24:
	v_dual_mov_b32 v1, 0 :: v_dual_add_nc_u32 v8, 0x310, v13
	v_dual_mov_b32 v2, 0 :: v_dual_add_nc_u32 v7, -1, v140
	v_or_b32_e32 v9, 8, v14
	s_mov_b32 s3, 0
	s_delay_alu instid0(VALU_DEP_2)
	v_dual_mov_b32 v4, v2 :: v_dual_mov_b32 v3, v1
	.p2align	6
.LBB48_25:                              ; =>This Inner Loop Header: Depth=1
	scratch_load_b128 v[15:18], v9, off offset:-8
	ds_load_b128 v[19:22], v8
	v_add_nc_u32_e32 v7, 1, v7
	v_add_nc_u32_e32 v8, 16, v8
	;; [unrolled: 1-line block ×3, first 2 shown]
	s_delay_alu instid0(VALU_DEP_3) | instskip(SKIP_4) | instid1(VALU_DEP_2)
	v_cmp_lt_u32_e32 vcc_lo, 1, v7
	s_or_b32 s3, vcc_lo, s3
	s_waitcnt vmcnt(0) lgkmcnt(0)
	v_mul_f64 v[10:11], v[21:22], v[17:18]
	v_mul_f64 v[17:18], v[19:20], v[17:18]
	v_fma_f64 v[10:11], v[19:20], v[15:16], -v[10:11]
	s_delay_alu instid0(VALU_DEP_2) | instskip(NEXT) | instid1(VALU_DEP_2)
	v_fma_f64 v[15:16], v[21:22], v[15:16], v[17:18]
	v_add_f64 v[3:4], v[3:4], v[10:11]
	s_delay_alu instid0(VALU_DEP_2)
	v_add_f64 v[1:2], v[1:2], v[15:16]
	s_and_not1_b32 exec_lo, exec_lo, s3
	s_cbranch_execnz .LBB48_25
; %bb.26:
	s_or_b32 exec_lo, exec_lo, s3
	v_mov_b32_e32 v7, 0
	ds_load_b128 v[7:10], v7 offset:48
	s_waitcnt lgkmcnt(0)
	v_mul_f64 v[11:12], v[1:2], v[9:10]
	v_mul_f64 v[15:16], v[3:4], v[9:10]
	s_delay_alu instid0(VALU_DEP_2) | instskip(NEXT) | instid1(VALU_DEP_2)
	v_fma_f64 v[9:10], v[3:4], v[7:8], -v[11:12]
	v_fma_f64 v[11:12], v[1:2], v[7:8], v[15:16]
	scratch_store_b128 off, v[9:12], off offset:48
.LBB48_27:
	s_or_b32 exec_lo, exec_lo, s2
	s_waitcnt_vscnt null, 0x0
	s_barrier
	buffer_gl0_inv
	scratch_load_b128 v[1:4], v185, off
	s_mov_b32 s2, exec_lo
	s_waitcnt vmcnt(0)
	ds_store_b128 v5, v[1:4]
	s_waitcnt lgkmcnt(0)
	s_barrier
	buffer_gl0_inv
	v_cmpx_gt_u32_e32 4, v140
	s_cbranch_execz .LBB48_31
; %bb.28:
	v_dual_mov_b32 v1, 0 :: v_dual_add_nc_u32 v8, 0x310, v13
	v_dual_mov_b32 v2, 0 :: v_dual_add_nc_u32 v7, -1, v140
	v_or_b32_e32 v9, 8, v14
	s_mov_b32 s3, 0
	s_delay_alu instid0(VALU_DEP_2)
	v_dual_mov_b32 v4, v2 :: v_dual_mov_b32 v3, v1
	.p2align	6
.LBB48_29:                              ; =>This Inner Loop Header: Depth=1
	scratch_load_b128 v[15:18], v9, off offset:-8
	ds_load_b128 v[19:22], v8
	v_add_nc_u32_e32 v7, 1, v7
	v_add_nc_u32_e32 v8, 16, v8
	;; [unrolled: 1-line block ×3, first 2 shown]
	s_delay_alu instid0(VALU_DEP_3) | instskip(SKIP_4) | instid1(VALU_DEP_2)
	v_cmp_lt_u32_e32 vcc_lo, 2, v7
	s_or_b32 s3, vcc_lo, s3
	s_waitcnt vmcnt(0) lgkmcnt(0)
	v_mul_f64 v[10:11], v[21:22], v[17:18]
	v_mul_f64 v[17:18], v[19:20], v[17:18]
	v_fma_f64 v[10:11], v[19:20], v[15:16], -v[10:11]
	s_delay_alu instid0(VALU_DEP_2) | instskip(NEXT) | instid1(VALU_DEP_2)
	v_fma_f64 v[15:16], v[21:22], v[15:16], v[17:18]
	v_add_f64 v[3:4], v[3:4], v[10:11]
	s_delay_alu instid0(VALU_DEP_2)
	v_add_f64 v[1:2], v[1:2], v[15:16]
	s_and_not1_b32 exec_lo, exec_lo, s3
	s_cbranch_execnz .LBB48_29
; %bb.30:
	s_or_b32 exec_lo, exec_lo, s3
	v_mov_b32_e32 v7, 0
	ds_load_b128 v[7:10], v7 offset:64
	s_waitcnt lgkmcnt(0)
	v_mul_f64 v[11:12], v[1:2], v[9:10]
	v_mul_f64 v[15:16], v[3:4], v[9:10]
	s_delay_alu instid0(VALU_DEP_2) | instskip(NEXT) | instid1(VALU_DEP_2)
	v_fma_f64 v[9:10], v[3:4], v[7:8], -v[11:12]
	v_fma_f64 v[11:12], v[1:2], v[7:8], v[15:16]
	scratch_store_b128 off, v[9:12], off offset:64
.LBB48_31:
	s_or_b32 exec_lo, exec_lo, s2
	s_waitcnt_vscnt null, 0x0
	s_barrier
	buffer_gl0_inv
	scratch_load_b128 v[1:4], v184, off
	s_mov_b32 s2, exec_lo
	s_waitcnt vmcnt(0)
	ds_store_b128 v5, v[1:4]
	s_waitcnt lgkmcnt(0)
	s_barrier
	buffer_gl0_inv
	v_cmpx_gt_u32_e32 5, v140
	s_cbranch_execz .LBB48_35
; %bb.32:
	v_dual_mov_b32 v1, 0 :: v_dual_add_nc_u32 v8, 0x310, v13
	v_dual_mov_b32 v2, 0 :: v_dual_add_nc_u32 v7, -1, v140
	v_or_b32_e32 v9, 8, v14
	s_mov_b32 s3, 0
	s_delay_alu instid0(VALU_DEP_2)
	v_dual_mov_b32 v4, v2 :: v_dual_mov_b32 v3, v1
	.p2align	6
.LBB48_33:                              ; =>This Inner Loop Header: Depth=1
	scratch_load_b128 v[15:18], v9, off offset:-8
	ds_load_b128 v[19:22], v8
	v_add_nc_u32_e32 v7, 1, v7
	v_add_nc_u32_e32 v8, 16, v8
	;; [unrolled: 1-line block ×3, first 2 shown]
	s_delay_alu instid0(VALU_DEP_3) | instskip(SKIP_4) | instid1(VALU_DEP_2)
	v_cmp_lt_u32_e32 vcc_lo, 3, v7
	s_or_b32 s3, vcc_lo, s3
	s_waitcnt vmcnt(0) lgkmcnt(0)
	v_mul_f64 v[10:11], v[21:22], v[17:18]
	v_mul_f64 v[17:18], v[19:20], v[17:18]
	v_fma_f64 v[10:11], v[19:20], v[15:16], -v[10:11]
	s_delay_alu instid0(VALU_DEP_2) | instskip(NEXT) | instid1(VALU_DEP_2)
	v_fma_f64 v[15:16], v[21:22], v[15:16], v[17:18]
	v_add_f64 v[3:4], v[3:4], v[10:11]
	s_delay_alu instid0(VALU_DEP_2)
	v_add_f64 v[1:2], v[1:2], v[15:16]
	s_and_not1_b32 exec_lo, exec_lo, s3
	s_cbranch_execnz .LBB48_33
; %bb.34:
	s_or_b32 exec_lo, exec_lo, s3
	v_mov_b32_e32 v7, 0
	ds_load_b128 v[7:10], v7 offset:80
	s_waitcnt lgkmcnt(0)
	v_mul_f64 v[11:12], v[1:2], v[9:10]
	v_mul_f64 v[15:16], v[3:4], v[9:10]
	s_delay_alu instid0(VALU_DEP_2) | instskip(NEXT) | instid1(VALU_DEP_2)
	v_fma_f64 v[9:10], v[3:4], v[7:8], -v[11:12]
	v_fma_f64 v[11:12], v[1:2], v[7:8], v[15:16]
	scratch_store_b128 off, v[9:12], off offset:80
.LBB48_35:
	s_or_b32 exec_lo, exec_lo, s2
	s_waitcnt_vscnt null, 0x0
	s_barrier
	buffer_gl0_inv
	scratch_load_b128 v[1:4], v183, off
	s_mov_b32 s2, exec_lo
	s_waitcnt vmcnt(0)
	ds_store_b128 v5, v[1:4]
	s_waitcnt lgkmcnt(0)
	s_barrier
	buffer_gl0_inv
	v_cmpx_gt_u32_e32 6, v140
	s_cbranch_execz .LBB48_39
; %bb.36:
	v_dual_mov_b32 v1, 0 :: v_dual_add_nc_u32 v8, 0x310, v13
	v_dual_mov_b32 v2, 0 :: v_dual_add_nc_u32 v7, -1, v140
	v_or_b32_e32 v9, 8, v14
	s_mov_b32 s3, 0
	s_delay_alu instid0(VALU_DEP_2)
	v_dual_mov_b32 v4, v2 :: v_dual_mov_b32 v3, v1
	.p2align	6
.LBB48_37:                              ; =>This Inner Loop Header: Depth=1
	scratch_load_b128 v[15:18], v9, off offset:-8
	ds_load_b128 v[19:22], v8
	v_add_nc_u32_e32 v7, 1, v7
	v_add_nc_u32_e32 v8, 16, v8
	;; [unrolled: 1-line block ×3, first 2 shown]
	s_delay_alu instid0(VALU_DEP_3) | instskip(SKIP_4) | instid1(VALU_DEP_2)
	v_cmp_lt_u32_e32 vcc_lo, 4, v7
	s_or_b32 s3, vcc_lo, s3
	s_waitcnt vmcnt(0) lgkmcnt(0)
	v_mul_f64 v[10:11], v[21:22], v[17:18]
	v_mul_f64 v[17:18], v[19:20], v[17:18]
	v_fma_f64 v[10:11], v[19:20], v[15:16], -v[10:11]
	s_delay_alu instid0(VALU_DEP_2) | instskip(NEXT) | instid1(VALU_DEP_2)
	v_fma_f64 v[15:16], v[21:22], v[15:16], v[17:18]
	v_add_f64 v[3:4], v[3:4], v[10:11]
	s_delay_alu instid0(VALU_DEP_2)
	v_add_f64 v[1:2], v[1:2], v[15:16]
	s_and_not1_b32 exec_lo, exec_lo, s3
	s_cbranch_execnz .LBB48_37
; %bb.38:
	s_or_b32 exec_lo, exec_lo, s3
	v_mov_b32_e32 v7, 0
	ds_load_b128 v[7:10], v7 offset:96
	s_waitcnt lgkmcnt(0)
	v_mul_f64 v[11:12], v[1:2], v[9:10]
	v_mul_f64 v[15:16], v[3:4], v[9:10]
	s_delay_alu instid0(VALU_DEP_2) | instskip(NEXT) | instid1(VALU_DEP_2)
	v_fma_f64 v[9:10], v[3:4], v[7:8], -v[11:12]
	v_fma_f64 v[11:12], v[1:2], v[7:8], v[15:16]
	scratch_store_b128 off, v[9:12], off offset:96
.LBB48_39:
	s_or_b32 exec_lo, exec_lo, s2
	s_waitcnt_vscnt null, 0x0
	s_barrier
	buffer_gl0_inv
	scratch_load_b128 v[1:4], v182, off
	s_mov_b32 s2, exec_lo
	s_waitcnt vmcnt(0)
	ds_store_b128 v5, v[1:4]
	s_waitcnt lgkmcnt(0)
	s_barrier
	buffer_gl0_inv
	v_cmpx_gt_u32_e32 7, v140
	s_cbranch_execz .LBB48_43
; %bb.40:
	v_dual_mov_b32 v1, 0 :: v_dual_add_nc_u32 v8, 0x310, v13
	v_dual_mov_b32 v2, 0 :: v_dual_add_nc_u32 v7, -1, v140
	v_or_b32_e32 v9, 8, v14
	s_mov_b32 s3, 0
	s_delay_alu instid0(VALU_DEP_2)
	v_dual_mov_b32 v4, v2 :: v_dual_mov_b32 v3, v1
	.p2align	6
.LBB48_41:                              ; =>This Inner Loop Header: Depth=1
	scratch_load_b128 v[15:18], v9, off offset:-8
	ds_load_b128 v[19:22], v8
	v_add_nc_u32_e32 v7, 1, v7
	v_add_nc_u32_e32 v8, 16, v8
	;; [unrolled: 1-line block ×3, first 2 shown]
	s_delay_alu instid0(VALU_DEP_3) | instskip(SKIP_4) | instid1(VALU_DEP_2)
	v_cmp_lt_u32_e32 vcc_lo, 5, v7
	s_or_b32 s3, vcc_lo, s3
	s_waitcnt vmcnt(0) lgkmcnt(0)
	v_mul_f64 v[10:11], v[21:22], v[17:18]
	v_mul_f64 v[17:18], v[19:20], v[17:18]
	v_fma_f64 v[10:11], v[19:20], v[15:16], -v[10:11]
	s_delay_alu instid0(VALU_DEP_2) | instskip(NEXT) | instid1(VALU_DEP_2)
	v_fma_f64 v[15:16], v[21:22], v[15:16], v[17:18]
	v_add_f64 v[3:4], v[3:4], v[10:11]
	s_delay_alu instid0(VALU_DEP_2)
	v_add_f64 v[1:2], v[1:2], v[15:16]
	s_and_not1_b32 exec_lo, exec_lo, s3
	s_cbranch_execnz .LBB48_41
; %bb.42:
	s_or_b32 exec_lo, exec_lo, s3
	v_mov_b32_e32 v7, 0
	ds_load_b128 v[7:10], v7 offset:112
	s_waitcnt lgkmcnt(0)
	v_mul_f64 v[11:12], v[1:2], v[9:10]
	v_mul_f64 v[15:16], v[3:4], v[9:10]
	s_delay_alu instid0(VALU_DEP_2) | instskip(NEXT) | instid1(VALU_DEP_2)
	v_fma_f64 v[9:10], v[3:4], v[7:8], -v[11:12]
	v_fma_f64 v[11:12], v[1:2], v[7:8], v[15:16]
	scratch_store_b128 off, v[9:12], off offset:112
.LBB48_43:
	s_or_b32 exec_lo, exec_lo, s2
	s_waitcnt_vscnt null, 0x0
	s_barrier
	buffer_gl0_inv
	scratch_load_b128 v[1:4], v181, off
	s_mov_b32 s2, exec_lo
	s_waitcnt vmcnt(0)
	ds_store_b128 v5, v[1:4]
	s_waitcnt lgkmcnt(0)
	s_barrier
	buffer_gl0_inv
	v_cmpx_gt_u32_e32 8, v140
	s_cbranch_execz .LBB48_47
; %bb.44:
	v_dual_mov_b32 v1, 0 :: v_dual_add_nc_u32 v8, 0x310, v13
	v_dual_mov_b32 v2, 0 :: v_dual_add_nc_u32 v7, -1, v140
	v_or_b32_e32 v9, 8, v14
	s_mov_b32 s3, 0
	s_delay_alu instid0(VALU_DEP_2)
	v_dual_mov_b32 v4, v2 :: v_dual_mov_b32 v3, v1
	.p2align	6
.LBB48_45:                              ; =>This Inner Loop Header: Depth=1
	scratch_load_b128 v[15:18], v9, off offset:-8
	ds_load_b128 v[19:22], v8
	v_add_nc_u32_e32 v7, 1, v7
	v_add_nc_u32_e32 v8, 16, v8
	;; [unrolled: 1-line block ×3, first 2 shown]
	s_delay_alu instid0(VALU_DEP_3) | instskip(SKIP_4) | instid1(VALU_DEP_2)
	v_cmp_lt_u32_e32 vcc_lo, 6, v7
	s_or_b32 s3, vcc_lo, s3
	s_waitcnt vmcnt(0) lgkmcnt(0)
	v_mul_f64 v[10:11], v[21:22], v[17:18]
	v_mul_f64 v[17:18], v[19:20], v[17:18]
	v_fma_f64 v[10:11], v[19:20], v[15:16], -v[10:11]
	s_delay_alu instid0(VALU_DEP_2) | instskip(NEXT) | instid1(VALU_DEP_2)
	v_fma_f64 v[15:16], v[21:22], v[15:16], v[17:18]
	v_add_f64 v[3:4], v[3:4], v[10:11]
	s_delay_alu instid0(VALU_DEP_2)
	v_add_f64 v[1:2], v[1:2], v[15:16]
	s_and_not1_b32 exec_lo, exec_lo, s3
	s_cbranch_execnz .LBB48_45
; %bb.46:
	s_or_b32 exec_lo, exec_lo, s3
	v_mov_b32_e32 v7, 0
	ds_load_b128 v[7:10], v7 offset:128
	s_waitcnt lgkmcnt(0)
	v_mul_f64 v[11:12], v[1:2], v[9:10]
	v_mul_f64 v[15:16], v[3:4], v[9:10]
	s_delay_alu instid0(VALU_DEP_2) | instskip(NEXT) | instid1(VALU_DEP_2)
	v_fma_f64 v[9:10], v[3:4], v[7:8], -v[11:12]
	v_fma_f64 v[11:12], v[1:2], v[7:8], v[15:16]
	scratch_store_b128 off, v[9:12], off offset:128
.LBB48_47:
	s_or_b32 exec_lo, exec_lo, s2
	s_waitcnt_vscnt null, 0x0
	s_barrier
	buffer_gl0_inv
	scratch_load_b128 v[1:4], v180, off
	s_mov_b32 s2, exec_lo
	s_waitcnt vmcnt(0)
	ds_store_b128 v5, v[1:4]
	s_waitcnt lgkmcnt(0)
	s_barrier
	buffer_gl0_inv
	v_cmpx_gt_u32_e32 9, v140
	s_cbranch_execz .LBB48_51
; %bb.48:
	v_dual_mov_b32 v1, 0 :: v_dual_add_nc_u32 v8, 0x310, v13
	v_dual_mov_b32 v2, 0 :: v_dual_add_nc_u32 v7, -1, v140
	v_or_b32_e32 v9, 8, v14
	s_mov_b32 s3, 0
	s_delay_alu instid0(VALU_DEP_2)
	v_dual_mov_b32 v4, v2 :: v_dual_mov_b32 v3, v1
	.p2align	6
.LBB48_49:                              ; =>This Inner Loop Header: Depth=1
	scratch_load_b128 v[15:18], v9, off offset:-8
	ds_load_b128 v[19:22], v8
	v_add_nc_u32_e32 v7, 1, v7
	v_add_nc_u32_e32 v8, 16, v8
	;; [unrolled: 1-line block ×3, first 2 shown]
	s_delay_alu instid0(VALU_DEP_3) | instskip(SKIP_4) | instid1(VALU_DEP_2)
	v_cmp_lt_u32_e32 vcc_lo, 7, v7
	s_or_b32 s3, vcc_lo, s3
	s_waitcnt vmcnt(0) lgkmcnt(0)
	v_mul_f64 v[10:11], v[21:22], v[17:18]
	v_mul_f64 v[17:18], v[19:20], v[17:18]
	v_fma_f64 v[10:11], v[19:20], v[15:16], -v[10:11]
	s_delay_alu instid0(VALU_DEP_2) | instskip(NEXT) | instid1(VALU_DEP_2)
	v_fma_f64 v[15:16], v[21:22], v[15:16], v[17:18]
	v_add_f64 v[3:4], v[3:4], v[10:11]
	s_delay_alu instid0(VALU_DEP_2)
	v_add_f64 v[1:2], v[1:2], v[15:16]
	s_and_not1_b32 exec_lo, exec_lo, s3
	s_cbranch_execnz .LBB48_49
; %bb.50:
	s_or_b32 exec_lo, exec_lo, s3
	v_mov_b32_e32 v7, 0
	ds_load_b128 v[7:10], v7 offset:144
	s_waitcnt lgkmcnt(0)
	v_mul_f64 v[11:12], v[1:2], v[9:10]
	v_mul_f64 v[15:16], v[3:4], v[9:10]
	s_delay_alu instid0(VALU_DEP_2) | instskip(NEXT) | instid1(VALU_DEP_2)
	v_fma_f64 v[9:10], v[3:4], v[7:8], -v[11:12]
	v_fma_f64 v[11:12], v[1:2], v[7:8], v[15:16]
	scratch_store_b128 off, v[9:12], off offset:144
.LBB48_51:
	s_or_b32 exec_lo, exec_lo, s2
	s_waitcnt_vscnt null, 0x0
	s_barrier
	buffer_gl0_inv
	scratch_load_b128 v[1:4], v179, off
	s_mov_b32 s2, exec_lo
	s_waitcnt vmcnt(0)
	ds_store_b128 v5, v[1:4]
	s_waitcnt lgkmcnt(0)
	s_barrier
	buffer_gl0_inv
	v_cmpx_gt_u32_e32 10, v140
	s_cbranch_execz .LBB48_55
; %bb.52:
	v_dual_mov_b32 v1, 0 :: v_dual_add_nc_u32 v8, 0x310, v13
	v_dual_mov_b32 v2, 0 :: v_dual_add_nc_u32 v7, -1, v140
	v_or_b32_e32 v9, 8, v14
	s_mov_b32 s3, 0
	s_delay_alu instid0(VALU_DEP_2)
	v_dual_mov_b32 v4, v2 :: v_dual_mov_b32 v3, v1
	.p2align	6
.LBB48_53:                              ; =>This Inner Loop Header: Depth=1
	scratch_load_b128 v[15:18], v9, off offset:-8
	ds_load_b128 v[19:22], v8
	v_add_nc_u32_e32 v7, 1, v7
	v_add_nc_u32_e32 v8, 16, v8
	;; [unrolled: 1-line block ×3, first 2 shown]
	s_delay_alu instid0(VALU_DEP_3) | instskip(SKIP_4) | instid1(VALU_DEP_2)
	v_cmp_lt_u32_e32 vcc_lo, 8, v7
	s_or_b32 s3, vcc_lo, s3
	s_waitcnt vmcnt(0) lgkmcnt(0)
	v_mul_f64 v[10:11], v[21:22], v[17:18]
	v_mul_f64 v[17:18], v[19:20], v[17:18]
	v_fma_f64 v[10:11], v[19:20], v[15:16], -v[10:11]
	s_delay_alu instid0(VALU_DEP_2) | instskip(NEXT) | instid1(VALU_DEP_2)
	v_fma_f64 v[15:16], v[21:22], v[15:16], v[17:18]
	v_add_f64 v[3:4], v[3:4], v[10:11]
	s_delay_alu instid0(VALU_DEP_2)
	v_add_f64 v[1:2], v[1:2], v[15:16]
	s_and_not1_b32 exec_lo, exec_lo, s3
	s_cbranch_execnz .LBB48_53
; %bb.54:
	s_or_b32 exec_lo, exec_lo, s3
	v_mov_b32_e32 v7, 0
	ds_load_b128 v[7:10], v7 offset:160
	s_waitcnt lgkmcnt(0)
	v_mul_f64 v[11:12], v[1:2], v[9:10]
	v_mul_f64 v[15:16], v[3:4], v[9:10]
	s_delay_alu instid0(VALU_DEP_2) | instskip(NEXT) | instid1(VALU_DEP_2)
	v_fma_f64 v[9:10], v[3:4], v[7:8], -v[11:12]
	v_fma_f64 v[11:12], v[1:2], v[7:8], v[15:16]
	scratch_store_b128 off, v[9:12], off offset:160
.LBB48_55:
	s_or_b32 exec_lo, exec_lo, s2
	s_waitcnt_vscnt null, 0x0
	s_barrier
	buffer_gl0_inv
	scratch_load_b128 v[1:4], v178, off
	s_mov_b32 s2, exec_lo
	s_waitcnt vmcnt(0)
	ds_store_b128 v5, v[1:4]
	s_waitcnt lgkmcnt(0)
	s_barrier
	buffer_gl0_inv
	v_cmpx_gt_u32_e32 11, v140
	s_cbranch_execz .LBB48_59
; %bb.56:
	v_dual_mov_b32 v1, 0 :: v_dual_add_nc_u32 v8, 0x310, v13
	v_dual_mov_b32 v2, 0 :: v_dual_add_nc_u32 v7, -1, v140
	v_or_b32_e32 v9, 8, v14
	s_mov_b32 s3, 0
	s_delay_alu instid0(VALU_DEP_2)
	v_dual_mov_b32 v4, v2 :: v_dual_mov_b32 v3, v1
	.p2align	6
.LBB48_57:                              ; =>This Inner Loop Header: Depth=1
	scratch_load_b128 v[15:18], v9, off offset:-8
	ds_load_b128 v[19:22], v8
	v_add_nc_u32_e32 v7, 1, v7
	v_add_nc_u32_e32 v8, 16, v8
	;; [unrolled: 1-line block ×3, first 2 shown]
	s_delay_alu instid0(VALU_DEP_3) | instskip(SKIP_4) | instid1(VALU_DEP_2)
	v_cmp_lt_u32_e32 vcc_lo, 9, v7
	s_or_b32 s3, vcc_lo, s3
	s_waitcnt vmcnt(0) lgkmcnt(0)
	v_mul_f64 v[10:11], v[21:22], v[17:18]
	v_mul_f64 v[17:18], v[19:20], v[17:18]
	v_fma_f64 v[10:11], v[19:20], v[15:16], -v[10:11]
	s_delay_alu instid0(VALU_DEP_2) | instskip(NEXT) | instid1(VALU_DEP_2)
	v_fma_f64 v[15:16], v[21:22], v[15:16], v[17:18]
	v_add_f64 v[3:4], v[3:4], v[10:11]
	s_delay_alu instid0(VALU_DEP_2)
	v_add_f64 v[1:2], v[1:2], v[15:16]
	s_and_not1_b32 exec_lo, exec_lo, s3
	s_cbranch_execnz .LBB48_57
; %bb.58:
	s_or_b32 exec_lo, exec_lo, s3
	v_mov_b32_e32 v7, 0
	ds_load_b128 v[7:10], v7 offset:176
	s_waitcnt lgkmcnt(0)
	v_mul_f64 v[11:12], v[1:2], v[9:10]
	v_mul_f64 v[15:16], v[3:4], v[9:10]
	s_delay_alu instid0(VALU_DEP_2) | instskip(NEXT) | instid1(VALU_DEP_2)
	v_fma_f64 v[9:10], v[3:4], v[7:8], -v[11:12]
	v_fma_f64 v[11:12], v[1:2], v[7:8], v[15:16]
	scratch_store_b128 off, v[9:12], off offset:176
.LBB48_59:
	s_or_b32 exec_lo, exec_lo, s2
	s_waitcnt_vscnt null, 0x0
	s_barrier
	buffer_gl0_inv
	scratch_load_b128 v[1:4], v177, off
	s_mov_b32 s2, exec_lo
	s_waitcnt vmcnt(0)
	ds_store_b128 v5, v[1:4]
	s_waitcnt lgkmcnt(0)
	s_barrier
	buffer_gl0_inv
	v_cmpx_gt_u32_e32 12, v140
	s_cbranch_execz .LBB48_63
; %bb.60:
	v_dual_mov_b32 v1, 0 :: v_dual_add_nc_u32 v8, 0x310, v13
	v_dual_mov_b32 v2, 0 :: v_dual_add_nc_u32 v7, -1, v140
	v_or_b32_e32 v9, 8, v14
	s_mov_b32 s3, 0
	s_delay_alu instid0(VALU_DEP_2)
	v_dual_mov_b32 v4, v2 :: v_dual_mov_b32 v3, v1
	.p2align	6
.LBB48_61:                              ; =>This Inner Loop Header: Depth=1
	scratch_load_b128 v[15:18], v9, off offset:-8
	ds_load_b128 v[19:22], v8
	v_add_nc_u32_e32 v7, 1, v7
	v_add_nc_u32_e32 v8, 16, v8
	;; [unrolled: 1-line block ×3, first 2 shown]
	s_delay_alu instid0(VALU_DEP_3) | instskip(SKIP_4) | instid1(VALU_DEP_2)
	v_cmp_lt_u32_e32 vcc_lo, 10, v7
	s_or_b32 s3, vcc_lo, s3
	s_waitcnt vmcnt(0) lgkmcnt(0)
	v_mul_f64 v[10:11], v[21:22], v[17:18]
	v_mul_f64 v[17:18], v[19:20], v[17:18]
	v_fma_f64 v[10:11], v[19:20], v[15:16], -v[10:11]
	s_delay_alu instid0(VALU_DEP_2) | instskip(NEXT) | instid1(VALU_DEP_2)
	v_fma_f64 v[15:16], v[21:22], v[15:16], v[17:18]
	v_add_f64 v[3:4], v[3:4], v[10:11]
	s_delay_alu instid0(VALU_DEP_2)
	v_add_f64 v[1:2], v[1:2], v[15:16]
	s_and_not1_b32 exec_lo, exec_lo, s3
	s_cbranch_execnz .LBB48_61
; %bb.62:
	s_or_b32 exec_lo, exec_lo, s3
	v_mov_b32_e32 v7, 0
	ds_load_b128 v[7:10], v7 offset:192
	s_waitcnt lgkmcnt(0)
	v_mul_f64 v[11:12], v[1:2], v[9:10]
	v_mul_f64 v[15:16], v[3:4], v[9:10]
	s_delay_alu instid0(VALU_DEP_2) | instskip(NEXT) | instid1(VALU_DEP_2)
	v_fma_f64 v[9:10], v[3:4], v[7:8], -v[11:12]
	v_fma_f64 v[11:12], v[1:2], v[7:8], v[15:16]
	scratch_store_b128 off, v[9:12], off offset:192
.LBB48_63:
	s_or_b32 exec_lo, exec_lo, s2
	s_waitcnt_vscnt null, 0x0
	s_barrier
	buffer_gl0_inv
	scratch_load_b128 v[1:4], v176, off
	s_mov_b32 s2, exec_lo
	s_waitcnt vmcnt(0)
	ds_store_b128 v5, v[1:4]
	s_waitcnt lgkmcnt(0)
	s_barrier
	buffer_gl0_inv
	v_cmpx_gt_u32_e32 13, v140
	s_cbranch_execz .LBB48_67
; %bb.64:
	v_dual_mov_b32 v1, 0 :: v_dual_add_nc_u32 v8, 0x310, v13
	v_dual_mov_b32 v2, 0 :: v_dual_add_nc_u32 v7, -1, v140
	v_or_b32_e32 v9, 8, v14
	s_mov_b32 s3, 0
	s_delay_alu instid0(VALU_DEP_2)
	v_dual_mov_b32 v4, v2 :: v_dual_mov_b32 v3, v1
	.p2align	6
.LBB48_65:                              ; =>This Inner Loop Header: Depth=1
	scratch_load_b128 v[15:18], v9, off offset:-8
	ds_load_b128 v[19:22], v8
	v_add_nc_u32_e32 v7, 1, v7
	v_add_nc_u32_e32 v8, 16, v8
	;; [unrolled: 1-line block ×3, first 2 shown]
	s_delay_alu instid0(VALU_DEP_3) | instskip(SKIP_4) | instid1(VALU_DEP_2)
	v_cmp_lt_u32_e32 vcc_lo, 11, v7
	s_or_b32 s3, vcc_lo, s3
	s_waitcnt vmcnt(0) lgkmcnt(0)
	v_mul_f64 v[10:11], v[21:22], v[17:18]
	v_mul_f64 v[17:18], v[19:20], v[17:18]
	v_fma_f64 v[10:11], v[19:20], v[15:16], -v[10:11]
	s_delay_alu instid0(VALU_DEP_2) | instskip(NEXT) | instid1(VALU_DEP_2)
	v_fma_f64 v[15:16], v[21:22], v[15:16], v[17:18]
	v_add_f64 v[3:4], v[3:4], v[10:11]
	s_delay_alu instid0(VALU_DEP_2)
	v_add_f64 v[1:2], v[1:2], v[15:16]
	s_and_not1_b32 exec_lo, exec_lo, s3
	s_cbranch_execnz .LBB48_65
; %bb.66:
	s_or_b32 exec_lo, exec_lo, s3
	v_mov_b32_e32 v7, 0
	ds_load_b128 v[7:10], v7 offset:208
	s_waitcnt lgkmcnt(0)
	v_mul_f64 v[11:12], v[1:2], v[9:10]
	v_mul_f64 v[15:16], v[3:4], v[9:10]
	s_delay_alu instid0(VALU_DEP_2) | instskip(NEXT) | instid1(VALU_DEP_2)
	v_fma_f64 v[9:10], v[3:4], v[7:8], -v[11:12]
	v_fma_f64 v[11:12], v[1:2], v[7:8], v[15:16]
	scratch_store_b128 off, v[9:12], off offset:208
.LBB48_67:
	s_or_b32 exec_lo, exec_lo, s2
	s_waitcnt_vscnt null, 0x0
	s_barrier
	buffer_gl0_inv
	scratch_load_b128 v[1:4], v175, off
	s_mov_b32 s2, exec_lo
	s_waitcnt vmcnt(0)
	ds_store_b128 v5, v[1:4]
	s_waitcnt lgkmcnt(0)
	s_barrier
	buffer_gl0_inv
	v_cmpx_gt_u32_e32 14, v140
	s_cbranch_execz .LBB48_71
; %bb.68:
	v_dual_mov_b32 v1, 0 :: v_dual_add_nc_u32 v8, 0x310, v13
	v_dual_mov_b32 v2, 0 :: v_dual_add_nc_u32 v7, -1, v140
	v_or_b32_e32 v9, 8, v14
	s_mov_b32 s3, 0
	s_delay_alu instid0(VALU_DEP_2)
	v_dual_mov_b32 v4, v2 :: v_dual_mov_b32 v3, v1
	.p2align	6
.LBB48_69:                              ; =>This Inner Loop Header: Depth=1
	scratch_load_b128 v[15:18], v9, off offset:-8
	ds_load_b128 v[19:22], v8
	v_add_nc_u32_e32 v7, 1, v7
	v_add_nc_u32_e32 v8, 16, v8
	;; [unrolled: 1-line block ×3, first 2 shown]
	s_delay_alu instid0(VALU_DEP_3) | instskip(SKIP_4) | instid1(VALU_DEP_2)
	v_cmp_lt_u32_e32 vcc_lo, 12, v7
	s_or_b32 s3, vcc_lo, s3
	s_waitcnt vmcnt(0) lgkmcnt(0)
	v_mul_f64 v[10:11], v[21:22], v[17:18]
	v_mul_f64 v[17:18], v[19:20], v[17:18]
	v_fma_f64 v[10:11], v[19:20], v[15:16], -v[10:11]
	s_delay_alu instid0(VALU_DEP_2) | instskip(NEXT) | instid1(VALU_DEP_2)
	v_fma_f64 v[15:16], v[21:22], v[15:16], v[17:18]
	v_add_f64 v[3:4], v[3:4], v[10:11]
	s_delay_alu instid0(VALU_DEP_2)
	v_add_f64 v[1:2], v[1:2], v[15:16]
	s_and_not1_b32 exec_lo, exec_lo, s3
	s_cbranch_execnz .LBB48_69
; %bb.70:
	s_or_b32 exec_lo, exec_lo, s3
	v_mov_b32_e32 v7, 0
	ds_load_b128 v[7:10], v7 offset:224
	s_waitcnt lgkmcnt(0)
	v_mul_f64 v[11:12], v[1:2], v[9:10]
	v_mul_f64 v[15:16], v[3:4], v[9:10]
	s_delay_alu instid0(VALU_DEP_2) | instskip(NEXT) | instid1(VALU_DEP_2)
	v_fma_f64 v[9:10], v[3:4], v[7:8], -v[11:12]
	v_fma_f64 v[11:12], v[1:2], v[7:8], v[15:16]
	scratch_store_b128 off, v[9:12], off offset:224
.LBB48_71:
	s_or_b32 exec_lo, exec_lo, s2
	s_waitcnt_vscnt null, 0x0
	s_barrier
	buffer_gl0_inv
	scratch_load_b128 v[1:4], v174, off
	s_mov_b32 s2, exec_lo
	s_waitcnt vmcnt(0)
	ds_store_b128 v5, v[1:4]
	s_waitcnt lgkmcnt(0)
	s_barrier
	buffer_gl0_inv
	v_cmpx_gt_u32_e32 15, v140
	s_cbranch_execz .LBB48_75
; %bb.72:
	v_dual_mov_b32 v1, 0 :: v_dual_add_nc_u32 v8, 0x310, v13
	v_dual_mov_b32 v2, 0 :: v_dual_add_nc_u32 v7, -1, v140
	v_or_b32_e32 v9, 8, v14
	s_mov_b32 s3, 0
	s_delay_alu instid0(VALU_DEP_2)
	v_dual_mov_b32 v4, v2 :: v_dual_mov_b32 v3, v1
	.p2align	6
.LBB48_73:                              ; =>This Inner Loop Header: Depth=1
	scratch_load_b128 v[15:18], v9, off offset:-8
	ds_load_b128 v[19:22], v8
	v_add_nc_u32_e32 v7, 1, v7
	v_add_nc_u32_e32 v8, 16, v8
	;; [unrolled: 1-line block ×3, first 2 shown]
	s_delay_alu instid0(VALU_DEP_3) | instskip(SKIP_4) | instid1(VALU_DEP_2)
	v_cmp_lt_u32_e32 vcc_lo, 13, v7
	s_or_b32 s3, vcc_lo, s3
	s_waitcnt vmcnt(0) lgkmcnt(0)
	v_mul_f64 v[10:11], v[21:22], v[17:18]
	v_mul_f64 v[17:18], v[19:20], v[17:18]
	v_fma_f64 v[10:11], v[19:20], v[15:16], -v[10:11]
	s_delay_alu instid0(VALU_DEP_2) | instskip(NEXT) | instid1(VALU_DEP_2)
	v_fma_f64 v[15:16], v[21:22], v[15:16], v[17:18]
	v_add_f64 v[3:4], v[3:4], v[10:11]
	s_delay_alu instid0(VALU_DEP_2)
	v_add_f64 v[1:2], v[1:2], v[15:16]
	s_and_not1_b32 exec_lo, exec_lo, s3
	s_cbranch_execnz .LBB48_73
; %bb.74:
	s_or_b32 exec_lo, exec_lo, s3
	v_mov_b32_e32 v7, 0
	ds_load_b128 v[7:10], v7 offset:240
	s_waitcnt lgkmcnt(0)
	v_mul_f64 v[11:12], v[1:2], v[9:10]
	v_mul_f64 v[15:16], v[3:4], v[9:10]
	s_delay_alu instid0(VALU_DEP_2) | instskip(NEXT) | instid1(VALU_DEP_2)
	v_fma_f64 v[9:10], v[3:4], v[7:8], -v[11:12]
	v_fma_f64 v[11:12], v[1:2], v[7:8], v[15:16]
	scratch_store_b128 off, v[9:12], off offset:240
.LBB48_75:
	s_or_b32 exec_lo, exec_lo, s2
	s_waitcnt_vscnt null, 0x0
	s_barrier
	buffer_gl0_inv
	scratch_load_b128 v[1:4], v173, off
	s_mov_b32 s2, exec_lo
	s_waitcnt vmcnt(0)
	ds_store_b128 v5, v[1:4]
	s_waitcnt lgkmcnt(0)
	s_barrier
	buffer_gl0_inv
	v_cmpx_gt_u32_e32 16, v140
	s_cbranch_execz .LBB48_79
; %bb.76:
	v_dual_mov_b32 v1, 0 :: v_dual_add_nc_u32 v8, 0x310, v13
	v_dual_mov_b32 v2, 0 :: v_dual_add_nc_u32 v7, -1, v140
	v_or_b32_e32 v9, 8, v14
	s_mov_b32 s3, 0
	s_delay_alu instid0(VALU_DEP_2)
	v_dual_mov_b32 v4, v2 :: v_dual_mov_b32 v3, v1
	.p2align	6
.LBB48_77:                              ; =>This Inner Loop Header: Depth=1
	scratch_load_b128 v[15:18], v9, off offset:-8
	ds_load_b128 v[19:22], v8
	v_add_nc_u32_e32 v7, 1, v7
	v_add_nc_u32_e32 v8, 16, v8
	;; [unrolled: 1-line block ×3, first 2 shown]
	s_delay_alu instid0(VALU_DEP_3) | instskip(SKIP_4) | instid1(VALU_DEP_2)
	v_cmp_lt_u32_e32 vcc_lo, 14, v7
	s_or_b32 s3, vcc_lo, s3
	s_waitcnt vmcnt(0) lgkmcnt(0)
	v_mul_f64 v[10:11], v[21:22], v[17:18]
	v_mul_f64 v[17:18], v[19:20], v[17:18]
	v_fma_f64 v[10:11], v[19:20], v[15:16], -v[10:11]
	s_delay_alu instid0(VALU_DEP_2) | instskip(NEXT) | instid1(VALU_DEP_2)
	v_fma_f64 v[15:16], v[21:22], v[15:16], v[17:18]
	v_add_f64 v[3:4], v[3:4], v[10:11]
	s_delay_alu instid0(VALU_DEP_2)
	v_add_f64 v[1:2], v[1:2], v[15:16]
	s_and_not1_b32 exec_lo, exec_lo, s3
	s_cbranch_execnz .LBB48_77
; %bb.78:
	s_or_b32 exec_lo, exec_lo, s3
	v_mov_b32_e32 v7, 0
	ds_load_b128 v[7:10], v7 offset:256
	s_waitcnt lgkmcnt(0)
	v_mul_f64 v[11:12], v[1:2], v[9:10]
	v_mul_f64 v[15:16], v[3:4], v[9:10]
	s_delay_alu instid0(VALU_DEP_2) | instskip(NEXT) | instid1(VALU_DEP_2)
	v_fma_f64 v[9:10], v[3:4], v[7:8], -v[11:12]
	v_fma_f64 v[11:12], v[1:2], v[7:8], v[15:16]
	scratch_store_b128 off, v[9:12], off offset:256
.LBB48_79:
	s_or_b32 exec_lo, exec_lo, s2
	s_waitcnt_vscnt null, 0x0
	s_barrier
	buffer_gl0_inv
	scratch_load_b128 v[1:4], v172, off
	s_mov_b32 s2, exec_lo
	s_waitcnt vmcnt(0)
	ds_store_b128 v5, v[1:4]
	s_waitcnt lgkmcnt(0)
	s_barrier
	buffer_gl0_inv
	v_cmpx_gt_u32_e32 17, v140
	s_cbranch_execz .LBB48_83
; %bb.80:
	v_dual_mov_b32 v1, 0 :: v_dual_add_nc_u32 v8, 0x310, v13
	v_dual_mov_b32 v2, 0 :: v_dual_add_nc_u32 v7, -1, v140
	v_or_b32_e32 v9, 8, v14
	s_mov_b32 s3, 0
	s_delay_alu instid0(VALU_DEP_2)
	v_dual_mov_b32 v4, v2 :: v_dual_mov_b32 v3, v1
	.p2align	6
.LBB48_81:                              ; =>This Inner Loop Header: Depth=1
	scratch_load_b128 v[15:18], v9, off offset:-8
	ds_load_b128 v[19:22], v8
	v_add_nc_u32_e32 v7, 1, v7
	v_add_nc_u32_e32 v8, 16, v8
	;; [unrolled: 1-line block ×3, first 2 shown]
	s_delay_alu instid0(VALU_DEP_3) | instskip(SKIP_4) | instid1(VALU_DEP_2)
	v_cmp_lt_u32_e32 vcc_lo, 15, v7
	s_or_b32 s3, vcc_lo, s3
	s_waitcnt vmcnt(0) lgkmcnt(0)
	v_mul_f64 v[10:11], v[21:22], v[17:18]
	v_mul_f64 v[17:18], v[19:20], v[17:18]
	v_fma_f64 v[10:11], v[19:20], v[15:16], -v[10:11]
	s_delay_alu instid0(VALU_DEP_2) | instskip(NEXT) | instid1(VALU_DEP_2)
	v_fma_f64 v[15:16], v[21:22], v[15:16], v[17:18]
	v_add_f64 v[3:4], v[3:4], v[10:11]
	s_delay_alu instid0(VALU_DEP_2)
	v_add_f64 v[1:2], v[1:2], v[15:16]
	s_and_not1_b32 exec_lo, exec_lo, s3
	s_cbranch_execnz .LBB48_81
; %bb.82:
	s_or_b32 exec_lo, exec_lo, s3
	v_mov_b32_e32 v7, 0
	ds_load_b128 v[7:10], v7 offset:272
	s_waitcnt lgkmcnt(0)
	v_mul_f64 v[11:12], v[1:2], v[9:10]
	v_mul_f64 v[15:16], v[3:4], v[9:10]
	s_delay_alu instid0(VALU_DEP_2) | instskip(NEXT) | instid1(VALU_DEP_2)
	v_fma_f64 v[9:10], v[3:4], v[7:8], -v[11:12]
	v_fma_f64 v[11:12], v[1:2], v[7:8], v[15:16]
	scratch_store_b128 off, v[9:12], off offset:272
.LBB48_83:
	s_or_b32 exec_lo, exec_lo, s2
	s_waitcnt_vscnt null, 0x0
	s_barrier
	buffer_gl0_inv
	scratch_load_b128 v[1:4], v171, off
	s_mov_b32 s2, exec_lo
	s_waitcnt vmcnt(0)
	ds_store_b128 v5, v[1:4]
	s_waitcnt lgkmcnt(0)
	s_barrier
	buffer_gl0_inv
	v_cmpx_gt_u32_e32 18, v140
	s_cbranch_execz .LBB48_87
; %bb.84:
	v_dual_mov_b32 v1, 0 :: v_dual_add_nc_u32 v8, 0x310, v13
	v_dual_mov_b32 v2, 0 :: v_dual_add_nc_u32 v7, -1, v140
	v_or_b32_e32 v9, 8, v14
	s_mov_b32 s3, 0
	s_delay_alu instid0(VALU_DEP_2)
	v_dual_mov_b32 v4, v2 :: v_dual_mov_b32 v3, v1
	.p2align	6
.LBB48_85:                              ; =>This Inner Loop Header: Depth=1
	scratch_load_b128 v[15:18], v9, off offset:-8
	ds_load_b128 v[19:22], v8
	v_add_nc_u32_e32 v7, 1, v7
	v_add_nc_u32_e32 v8, 16, v8
	;; [unrolled: 1-line block ×3, first 2 shown]
	s_delay_alu instid0(VALU_DEP_3) | instskip(SKIP_4) | instid1(VALU_DEP_2)
	v_cmp_lt_u32_e32 vcc_lo, 16, v7
	s_or_b32 s3, vcc_lo, s3
	s_waitcnt vmcnt(0) lgkmcnt(0)
	v_mul_f64 v[10:11], v[21:22], v[17:18]
	v_mul_f64 v[17:18], v[19:20], v[17:18]
	v_fma_f64 v[10:11], v[19:20], v[15:16], -v[10:11]
	s_delay_alu instid0(VALU_DEP_2) | instskip(NEXT) | instid1(VALU_DEP_2)
	v_fma_f64 v[15:16], v[21:22], v[15:16], v[17:18]
	v_add_f64 v[3:4], v[3:4], v[10:11]
	s_delay_alu instid0(VALU_DEP_2)
	v_add_f64 v[1:2], v[1:2], v[15:16]
	s_and_not1_b32 exec_lo, exec_lo, s3
	s_cbranch_execnz .LBB48_85
; %bb.86:
	s_or_b32 exec_lo, exec_lo, s3
	v_mov_b32_e32 v7, 0
	ds_load_b128 v[7:10], v7 offset:288
	s_waitcnt lgkmcnt(0)
	v_mul_f64 v[11:12], v[1:2], v[9:10]
	v_mul_f64 v[15:16], v[3:4], v[9:10]
	s_delay_alu instid0(VALU_DEP_2) | instskip(NEXT) | instid1(VALU_DEP_2)
	v_fma_f64 v[9:10], v[3:4], v[7:8], -v[11:12]
	v_fma_f64 v[11:12], v[1:2], v[7:8], v[15:16]
	scratch_store_b128 off, v[9:12], off offset:288
.LBB48_87:
	s_or_b32 exec_lo, exec_lo, s2
	s_waitcnt_vscnt null, 0x0
	s_barrier
	buffer_gl0_inv
	scratch_load_b128 v[1:4], v170, off
	s_mov_b32 s2, exec_lo
	s_waitcnt vmcnt(0)
	ds_store_b128 v5, v[1:4]
	s_waitcnt lgkmcnt(0)
	s_barrier
	buffer_gl0_inv
	v_cmpx_gt_u32_e32 19, v140
	s_cbranch_execz .LBB48_91
; %bb.88:
	v_dual_mov_b32 v1, 0 :: v_dual_add_nc_u32 v8, 0x310, v13
	v_dual_mov_b32 v2, 0 :: v_dual_add_nc_u32 v7, -1, v140
	v_or_b32_e32 v9, 8, v14
	s_mov_b32 s3, 0
	s_delay_alu instid0(VALU_DEP_2)
	v_dual_mov_b32 v4, v2 :: v_dual_mov_b32 v3, v1
	.p2align	6
.LBB48_89:                              ; =>This Inner Loop Header: Depth=1
	scratch_load_b128 v[15:18], v9, off offset:-8
	ds_load_b128 v[19:22], v8
	v_add_nc_u32_e32 v7, 1, v7
	v_add_nc_u32_e32 v8, 16, v8
	;; [unrolled: 1-line block ×3, first 2 shown]
	s_delay_alu instid0(VALU_DEP_3) | instskip(SKIP_4) | instid1(VALU_DEP_2)
	v_cmp_lt_u32_e32 vcc_lo, 17, v7
	s_or_b32 s3, vcc_lo, s3
	s_waitcnt vmcnt(0) lgkmcnt(0)
	v_mul_f64 v[10:11], v[21:22], v[17:18]
	v_mul_f64 v[17:18], v[19:20], v[17:18]
	v_fma_f64 v[10:11], v[19:20], v[15:16], -v[10:11]
	s_delay_alu instid0(VALU_DEP_2) | instskip(NEXT) | instid1(VALU_DEP_2)
	v_fma_f64 v[15:16], v[21:22], v[15:16], v[17:18]
	v_add_f64 v[3:4], v[3:4], v[10:11]
	s_delay_alu instid0(VALU_DEP_2)
	v_add_f64 v[1:2], v[1:2], v[15:16]
	s_and_not1_b32 exec_lo, exec_lo, s3
	s_cbranch_execnz .LBB48_89
; %bb.90:
	s_or_b32 exec_lo, exec_lo, s3
	v_mov_b32_e32 v7, 0
	ds_load_b128 v[7:10], v7 offset:304
	s_waitcnt lgkmcnt(0)
	v_mul_f64 v[11:12], v[1:2], v[9:10]
	v_mul_f64 v[15:16], v[3:4], v[9:10]
	s_delay_alu instid0(VALU_DEP_2) | instskip(NEXT) | instid1(VALU_DEP_2)
	v_fma_f64 v[9:10], v[3:4], v[7:8], -v[11:12]
	v_fma_f64 v[11:12], v[1:2], v[7:8], v[15:16]
	scratch_store_b128 off, v[9:12], off offset:304
.LBB48_91:
	s_or_b32 exec_lo, exec_lo, s2
	s_waitcnt_vscnt null, 0x0
	s_barrier
	buffer_gl0_inv
	scratch_load_b128 v[1:4], v169, off
	s_mov_b32 s2, exec_lo
	s_waitcnt vmcnt(0)
	ds_store_b128 v5, v[1:4]
	s_waitcnt lgkmcnt(0)
	s_barrier
	buffer_gl0_inv
	v_cmpx_gt_u32_e32 20, v140
	s_cbranch_execz .LBB48_95
; %bb.92:
	v_dual_mov_b32 v1, 0 :: v_dual_add_nc_u32 v8, 0x310, v13
	v_dual_mov_b32 v2, 0 :: v_dual_add_nc_u32 v7, -1, v140
	v_or_b32_e32 v9, 8, v14
	s_mov_b32 s3, 0
	s_delay_alu instid0(VALU_DEP_2)
	v_dual_mov_b32 v4, v2 :: v_dual_mov_b32 v3, v1
	.p2align	6
.LBB48_93:                              ; =>This Inner Loop Header: Depth=1
	scratch_load_b128 v[15:18], v9, off offset:-8
	ds_load_b128 v[19:22], v8
	v_add_nc_u32_e32 v7, 1, v7
	v_add_nc_u32_e32 v8, 16, v8
	;; [unrolled: 1-line block ×3, first 2 shown]
	s_delay_alu instid0(VALU_DEP_3) | instskip(SKIP_4) | instid1(VALU_DEP_2)
	v_cmp_lt_u32_e32 vcc_lo, 18, v7
	s_or_b32 s3, vcc_lo, s3
	s_waitcnt vmcnt(0) lgkmcnt(0)
	v_mul_f64 v[10:11], v[21:22], v[17:18]
	v_mul_f64 v[17:18], v[19:20], v[17:18]
	v_fma_f64 v[10:11], v[19:20], v[15:16], -v[10:11]
	s_delay_alu instid0(VALU_DEP_2) | instskip(NEXT) | instid1(VALU_DEP_2)
	v_fma_f64 v[15:16], v[21:22], v[15:16], v[17:18]
	v_add_f64 v[3:4], v[3:4], v[10:11]
	s_delay_alu instid0(VALU_DEP_2)
	v_add_f64 v[1:2], v[1:2], v[15:16]
	s_and_not1_b32 exec_lo, exec_lo, s3
	s_cbranch_execnz .LBB48_93
; %bb.94:
	s_or_b32 exec_lo, exec_lo, s3
	v_mov_b32_e32 v7, 0
	ds_load_b128 v[7:10], v7 offset:320
	s_waitcnt lgkmcnt(0)
	v_mul_f64 v[11:12], v[1:2], v[9:10]
	v_mul_f64 v[15:16], v[3:4], v[9:10]
	s_delay_alu instid0(VALU_DEP_2) | instskip(NEXT) | instid1(VALU_DEP_2)
	v_fma_f64 v[9:10], v[3:4], v[7:8], -v[11:12]
	v_fma_f64 v[11:12], v[1:2], v[7:8], v[15:16]
	scratch_store_b128 off, v[9:12], off offset:320
.LBB48_95:
	s_or_b32 exec_lo, exec_lo, s2
	s_waitcnt_vscnt null, 0x0
	s_barrier
	buffer_gl0_inv
	scratch_load_b128 v[1:4], v168, off
	s_mov_b32 s2, exec_lo
	s_waitcnt vmcnt(0)
	ds_store_b128 v5, v[1:4]
	s_waitcnt lgkmcnt(0)
	s_barrier
	buffer_gl0_inv
	v_cmpx_gt_u32_e32 21, v140
	s_cbranch_execz .LBB48_99
; %bb.96:
	v_dual_mov_b32 v1, 0 :: v_dual_add_nc_u32 v8, 0x310, v13
	v_dual_mov_b32 v2, 0 :: v_dual_add_nc_u32 v7, -1, v140
	v_or_b32_e32 v9, 8, v14
	s_mov_b32 s3, 0
	s_delay_alu instid0(VALU_DEP_2)
	v_dual_mov_b32 v4, v2 :: v_dual_mov_b32 v3, v1
	.p2align	6
.LBB48_97:                              ; =>This Inner Loop Header: Depth=1
	scratch_load_b128 v[15:18], v9, off offset:-8
	ds_load_b128 v[19:22], v8
	v_add_nc_u32_e32 v7, 1, v7
	v_add_nc_u32_e32 v8, 16, v8
	;; [unrolled: 1-line block ×3, first 2 shown]
	s_delay_alu instid0(VALU_DEP_3) | instskip(SKIP_4) | instid1(VALU_DEP_2)
	v_cmp_lt_u32_e32 vcc_lo, 19, v7
	s_or_b32 s3, vcc_lo, s3
	s_waitcnt vmcnt(0) lgkmcnt(0)
	v_mul_f64 v[10:11], v[21:22], v[17:18]
	v_mul_f64 v[17:18], v[19:20], v[17:18]
	v_fma_f64 v[10:11], v[19:20], v[15:16], -v[10:11]
	s_delay_alu instid0(VALU_DEP_2) | instskip(NEXT) | instid1(VALU_DEP_2)
	v_fma_f64 v[15:16], v[21:22], v[15:16], v[17:18]
	v_add_f64 v[3:4], v[3:4], v[10:11]
	s_delay_alu instid0(VALU_DEP_2)
	v_add_f64 v[1:2], v[1:2], v[15:16]
	s_and_not1_b32 exec_lo, exec_lo, s3
	s_cbranch_execnz .LBB48_97
; %bb.98:
	s_or_b32 exec_lo, exec_lo, s3
	v_mov_b32_e32 v7, 0
	ds_load_b128 v[7:10], v7 offset:336
	s_waitcnt lgkmcnt(0)
	v_mul_f64 v[11:12], v[1:2], v[9:10]
	v_mul_f64 v[15:16], v[3:4], v[9:10]
	s_delay_alu instid0(VALU_DEP_2) | instskip(NEXT) | instid1(VALU_DEP_2)
	v_fma_f64 v[9:10], v[3:4], v[7:8], -v[11:12]
	v_fma_f64 v[11:12], v[1:2], v[7:8], v[15:16]
	scratch_store_b128 off, v[9:12], off offset:336
.LBB48_99:
	s_or_b32 exec_lo, exec_lo, s2
	s_waitcnt_vscnt null, 0x0
	s_barrier
	buffer_gl0_inv
	scratch_load_b128 v[1:4], v167, off
	s_mov_b32 s2, exec_lo
	s_waitcnt vmcnt(0)
	ds_store_b128 v5, v[1:4]
	s_waitcnt lgkmcnt(0)
	s_barrier
	buffer_gl0_inv
	v_cmpx_gt_u32_e32 22, v140
	s_cbranch_execz .LBB48_103
; %bb.100:
	v_dual_mov_b32 v1, 0 :: v_dual_add_nc_u32 v8, 0x310, v13
	v_dual_mov_b32 v2, 0 :: v_dual_add_nc_u32 v7, -1, v140
	v_or_b32_e32 v9, 8, v14
	s_mov_b32 s3, 0
	s_delay_alu instid0(VALU_DEP_2)
	v_dual_mov_b32 v4, v2 :: v_dual_mov_b32 v3, v1
	.p2align	6
.LBB48_101:                             ; =>This Inner Loop Header: Depth=1
	scratch_load_b128 v[15:18], v9, off offset:-8
	ds_load_b128 v[19:22], v8
	v_add_nc_u32_e32 v7, 1, v7
	v_add_nc_u32_e32 v8, 16, v8
	;; [unrolled: 1-line block ×3, first 2 shown]
	s_delay_alu instid0(VALU_DEP_3) | instskip(SKIP_4) | instid1(VALU_DEP_2)
	v_cmp_lt_u32_e32 vcc_lo, 20, v7
	s_or_b32 s3, vcc_lo, s3
	s_waitcnt vmcnt(0) lgkmcnt(0)
	v_mul_f64 v[10:11], v[21:22], v[17:18]
	v_mul_f64 v[17:18], v[19:20], v[17:18]
	v_fma_f64 v[10:11], v[19:20], v[15:16], -v[10:11]
	s_delay_alu instid0(VALU_DEP_2) | instskip(NEXT) | instid1(VALU_DEP_2)
	v_fma_f64 v[15:16], v[21:22], v[15:16], v[17:18]
	v_add_f64 v[3:4], v[3:4], v[10:11]
	s_delay_alu instid0(VALU_DEP_2)
	v_add_f64 v[1:2], v[1:2], v[15:16]
	s_and_not1_b32 exec_lo, exec_lo, s3
	s_cbranch_execnz .LBB48_101
; %bb.102:
	s_or_b32 exec_lo, exec_lo, s3
	v_mov_b32_e32 v7, 0
	ds_load_b128 v[7:10], v7 offset:352
	s_waitcnt lgkmcnt(0)
	v_mul_f64 v[11:12], v[1:2], v[9:10]
	v_mul_f64 v[15:16], v[3:4], v[9:10]
	s_delay_alu instid0(VALU_DEP_2) | instskip(NEXT) | instid1(VALU_DEP_2)
	v_fma_f64 v[9:10], v[3:4], v[7:8], -v[11:12]
	v_fma_f64 v[11:12], v[1:2], v[7:8], v[15:16]
	scratch_store_b128 off, v[9:12], off offset:352
.LBB48_103:
	s_or_b32 exec_lo, exec_lo, s2
	s_waitcnt_vscnt null, 0x0
	s_barrier
	buffer_gl0_inv
	scratch_load_b128 v[1:4], v166, off
	s_mov_b32 s2, exec_lo
	s_waitcnt vmcnt(0)
	ds_store_b128 v5, v[1:4]
	s_waitcnt lgkmcnt(0)
	s_barrier
	buffer_gl0_inv
	v_cmpx_gt_u32_e32 23, v140
	s_cbranch_execz .LBB48_107
; %bb.104:
	v_dual_mov_b32 v1, 0 :: v_dual_add_nc_u32 v8, 0x310, v13
	v_dual_mov_b32 v2, 0 :: v_dual_add_nc_u32 v7, -1, v140
	v_or_b32_e32 v9, 8, v14
	s_mov_b32 s3, 0
	s_delay_alu instid0(VALU_DEP_2)
	v_dual_mov_b32 v4, v2 :: v_dual_mov_b32 v3, v1
	.p2align	6
.LBB48_105:                             ; =>This Inner Loop Header: Depth=1
	scratch_load_b128 v[15:18], v9, off offset:-8
	ds_load_b128 v[19:22], v8
	v_add_nc_u32_e32 v7, 1, v7
	v_add_nc_u32_e32 v8, 16, v8
	;; [unrolled: 1-line block ×3, first 2 shown]
	s_delay_alu instid0(VALU_DEP_3) | instskip(SKIP_4) | instid1(VALU_DEP_2)
	v_cmp_lt_u32_e32 vcc_lo, 21, v7
	s_or_b32 s3, vcc_lo, s3
	s_waitcnt vmcnt(0) lgkmcnt(0)
	v_mul_f64 v[10:11], v[21:22], v[17:18]
	v_mul_f64 v[17:18], v[19:20], v[17:18]
	v_fma_f64 v[10:11], v[19:20], v[15:16], -v[10:11]
	s_delay_alu instid0(VALU_DEP_2) | instskip(NEXT) | instid1(VALU_DEP_2)
	v_fma_f64 v[15:16], v[21:22], v[15:16], v[17:18]
	v_add_f64 v[3:4], v[3:4], v[10:11]
	s_delay_alu instid0(VALU_DEP_2)
	v_add_f64 v[1:2], v[1:2], v[15:16]
	s_and_not1_b32 exec_lo, exec_lo, s3
	s_cbranch_execnz .LBB48_105
; %bb.106:
	s_or_b32 exec_lo, exec_lo, s3
	v_mov_b32_e32 v7, 0
	ds_load_b128 v[7:10], v7 offset:368
	s_waitcnt lgkmcnt(0)
	v_mul_f64 v[11:12], v[1:2], v[9:10]
	v_mul_f64 v[15:16], v[3:4], v[9:10]
	s_delay_alu instid0(VALU_DEP_2) | instskip(NEXT) | instid1(VALU_DEP_2)
	v_fma_f64 v[9:10], v[3:4], v[7:8], -v[11:12]
	v_fma_f64 v[11:12], v[1:2], v[7:8], v[15:16]
	scratch_store_b128 off, v[9:12], off offset:368
.LBB48_107:
	s_or_b32 exec_lo, exec_lo, s2
	s_waitcnt_vscnt null, 0x0
	s_barrier
	buffer_gl0_inv
	scratch_load_b128 v[1:4], v165, off
	s_mov_b32 s2, exec_lo
	s_waitcnt vmcnt(0)
	ds_store_b128 v5, v[1:4]
	s_waitcnt lgkmcnt(0)
	s_barrier
	buffer_gl0_inv
	v_cmpx_gt_u32_e32 24, v140
	s_cbranch_execz .LBB48_111
; %bb.108:
	v_dual_mov_b32 v1, 0 :: v_dual_add_nc_u32 v8, 0x310, v13
	v_dual_mov_b32 v2, 0 :: v_dual_add_nc_u32 v7, -1, v140
	v_or_b32_e32 v9, 8, v14
	s_mov_b32 s3, 0
	s_delay_alu instid0(VALU_DEP_2)
	v_dual_mov_b32 v4, v2 :: v_dual_mov_b32 v3, v1
	.p2align	6
.LBB48_109:                             ; =>This Inner Loop Header: Depth=1
	scratch_load_b128 v[15:18], v9, off offset:-8
	ds_load_b128 v[19:22], v8
	v_add_nc_u32_e32 v7, 1, v7
	v_add_nc_u32_e32 v8, 16, v8
	;; [unrolled: 1-line block ×3, first 2 shown]
	s_delay_alu instid0(VALU_DEP_3) | instskip(SKIP_4) | instid1(VALU_DEP_2)
	v_cmp_lt_u32_e32 vcc_lo, 22, v7
	s_or_b32 s3, vcc_lo, s3
	s_waitcnt vmcnt(0) lgkmcnt(0)
	v_mul_f64 v[10:11], v[21:22], v[17:18]
	v_mul_f64 v[17:18], v[19:20], v[17:18]
	v_fma_f64 v[10:11], v[19:20], v[15:16], -v[10:11]
	s_delay_alu instid0(VALU_DEP_2) | instskip(NEXT) | instid1(VALU_DEP_2)
	v_fma_f64 v[15:16], v[21:22], v[15:16], v[17:18]
	v_add_f64 v[3:4], v[3:4], v[10:11]
	s_delay_alu instid0(VALU_DEP_2)
	v_add_f64 v[1:2], v[1:2], v[15:16]
	s_and_not1_b32 exec_lo, exec_lo, s3
	s_cbranch_execnz .LBB48_109
; %bb.110:
	s_or_b32 exec_lo, exec_lo, s3
	v_mov_b32_e32 v7, 0
	ds_load_b128 v[7:10], v7 offset:384
	s_waitcnt lgkmcnt(0)
	v_mul_f64 v[11:12], v[1:2], v[9:10]
	v_mul_f64 v[15:16], v[3:4], v[9:10]
	s_delay_alu instid0(VALU_DEP_2) | instskip(NEXT) | instid1(VALU_DEP_2)
	v_fma_f64 v[9:10], v[3:4], v[7:8], -v[11:12]
	v_fma_f64 v[11:12], v[1:2], v[7:8], v[15:16]
	scratch_store_b128 off, v[9:12], off offset:384
.LBB48_111:
	s_or_b32 exec_lo, exec_lo, s2
	s_waitcnt_vscnt null, 0x0
	s_barrier
	buffer_gl0_inv
	scratch_load_b128 v[1:4], v164, off
	s_mov_b32 s2, exec_lo
	s_waitcnt vmcnt(0)
	ds_store_b128 v5, v[1:4]
	s_waitcnt lgkmcnt(0)
	s_barrier
	buffer_gl0_inv
	v_cmpx_gt_u32_e32 25, v140
	s_cbranch_execz .LBB48_115
; %bb.112:
	v_dual_mov_b32 v1, 0 :: v_dual_add_nc_u32 v8, 0x310, v13
	v_dual_mov_b32 v2, 0 :: v_dual_add_nc_u32 v7, -1, v140
	v_or_b32_e32 v9, 8, v14
	s_mov_b32 s3, 0
	s_delay_alu instid0(VALU_DEP_2)
	v_dual_mov_b32 v4, v2 :: v_dual_mov_b32 v3, v1
	.p2align	6
.LBB48_113:                             ; =>This Inner Loop Header: Depth=1
	scratch_load_b128 v[15:18], v9, off offset:-8
	ds_load_b128 v[19:22], v8
	v_add_nc_u32_e32 v7, 1, v7
	v_add_nc_u32_e32 v8, 16, v8
	;; [unrolled: 1-line block ×3, first 2 shown]
	s_delay_alu instid0(VALU_DEP_3) | instskip(SKIP_4) | instid1(VALU_DEP_2)
	v_cmp_lt_u32_e32 vcc_lo, 23, v7
	s_or_b32 s3, vcc_lo, s3
	s_waitcnt vmcnt(0) lgkmcnt(0)
	v_mul_f64 v[10:11], v[21:22], v[17:18]
	v_mul_f64 v[17:18], v[19:20], v[17:18]
	v_fma_f64 v[10:11], v[19:20], v[15:16], -v[10:11]
	s_delay_alu instid0(VALU_DEP_2) | instskip(NEXT) | instid1(VALU_DEP_2)
	v_fma_f64 v[15:16], v[21:22], v[15:16], v[17:18]
	v_add_f64 v[3:4], v[3:4], v[10:11]
	s_delay_alu instid0(VALU_DEP_2)
	v_add_f64 v[1:2], v[1:2], v[15:16]
	s_and_not1_b32 exec_lo, exec_lo, s3
	s_cbranch_execnz .LBB48_113
; %bb.114:
	s_or_b32 exec_lo, exec_lo, s3
	v_mov_b32_e32 v7, 0
	ds_load_b128 v[7:10], v7 offset:400
	s_waitcnt lgkmcnt(0)
	v_mul_f64 v[11:12], v[1:2], v[9:10]
	v_mul_f64 v[15:16], v[3:4], v[9:10]
	s_delay_alu instid0(VALU_DEP_2) | instskip(NEXT) | instid1(VALU_DEP_2)
	v_fma_f64 v[9:10], v[3:4], v[7:8], -v[11:12]
	v_fma_f64 v[11:12], v[1:2], v[7:8], v[15:16]
	scratch_store_b128 off, v[9:12], off offset:400
.LBB48_115:
	s_or_b32 exec_lo, exec_lo, s2
	s_waitcnt_vscnt null, 0x0
	s_barrier
	buffer_gl0_inv
	scratch_load_b128 v[1:4], v163, off
	s_mov_b32 s2, exec_lo
	s_waitcnt vmcnt(0)
	ds_store_b128 v5, v[1:4]
	s_waitcnt lgkmcnt(0)
	s_barrier
	buffer_gl0_inv
	v_cmpx_gt_u32_e32 26, v140
	s_cbranch_execz .LBB48_119
; %bb.116:
	v_dual_mov_b32 v1, 0 :: v_dual_add_nc_u32 v8, 0x310, v13
	v_dual_mov_b32 v2, 0 :: v_dual_add_nc_u32 v7, -1, v140
	v_or_b32_e32 v9, 8, v14
	s_mov_b32 s3, 0
	s_delay_alu instid0(VALU_DEP_2)
	v_dual_mov_b32 v4, v2 :: v_dual_mov_b32 v3, v1
	.p2align	6
.LBB48_117:                             ; =>This Inner Loop Header: Depth=1
	scratch_load_b128 v[15:18], v9, off offset:-8
	ds_load_b128 v[19:22], v8
	v_add_nc_u32_e32 v7, 1, v7
	v_add_nc_u32_e32 v8, 16, v8
	;; [unrolled: 1-line block ×3, first 2 shown]
	s_delay_alu instid0(VALU_DEP_3) | instskip(SKIP_4) | instid1(VALU_DEP_2)
	v_cmp_lt_u32_e32 vcc_lo, 24, v7
	s_or_b32 s3, vcc_lo, s3
	s_waitcnt vmcnt(0) lgkmcnt(0)
	v_mul_f64 v[10:11], v[21:22], v[17:18]
	v_mul_f64 v[17:18], v[19:20], v[17:18]
	v_fma_f64 v[10:11], v[19:20], v[15:16], -v[10:11]
	s_delay_alu instid0(VALU_DEP_2) | instskip(NEXT) | instid1(VALU_DEP_2)
	v_fma_f64 v[15:16], v[21:22], v[15:16], v[17:18]
	v_add_f64 v[3:4], v[3:4], v[10:11]
	s_delay_alu instid0(VALU_DEP_2)
	v_add_f64 v[1:2], v[1:2], v[15:16]
	s_and_not1_b32 exec_lo, exec_lo, s3
	s_cbranch_execnz .LBB48_117
; %bb.118:
	s_or_b32 exec_lo, exec_lo, s3
	v_mov_b32_e32 v7, 0
	ds_load_b128 v[7:10], v7 offset:416
	s_waitcnt lgkmcnt(0)
	v_mul_f64 v[11:12], v[1:2], v[9:10]
	v_mul_f64 v[15:16], v[3:4], v[9:10]
	s_delay_alu instid0(VALU_DEP_2) | instskip(NEXT) | instid1(VALU_DEP_2)
	v_fma_f64 v[9:10], v[3:4], v[7:8], -v[11:12]
	v_fma_f64 v[11:12], v[1:2], v[7:8], v[15:16]
	scratch_store_b128 off, v[9:12], off offset:416
.LBB48_119:
	s_or_b32 exec_lo, exec_lo, s2
	s_waitcnt_vscnt null, 0x0
	s_barrier
	buffer_gl0_inv
	scratch_load_b128 v[1:4], v162, off
	s_mov_b32 s2, exec_lo
	s_waitcnt vmcnt(0)
	ds_store_b128 v5, v[1:4]
	s_waitcnt lgkmcnt(0)
	s_barrier
	buffer_gl0_inv
	v_cmpx_gt_u32_e32 27, v140
	s_cbranch_execz .LBB48_123
; %bb.120:
	v_dual_mov_b32 v1, 0 :: v_dual_add_nc_u32 v8, 0x310, v13
	v_dual_mov_b32 v2, 0 :: v_dual_add_nc_u32 v7, -1, v140
	v_or_b32_e32 v9, 8, v14
	s_mov_b32 s3, 0
	s_delay_alu instid0(VALU_DEP_2)
	v_dual_mov_b32 v4, v2 :: v_dual_mov_b32 v3, v1
	.p2align	6
.LBB48_121:                             ; =>This Inner Loop Header: Depth=1
	scratch_load_b128 v[15:18], v9, off offset:-8
	ds_load_b128 v[19:22], v8
	v_add_nc_u32_e32 v7, 1, v7
	v_add_nc_u32_e32 v8, 16, v8
	;; [unrolled: 1-line block ×3, first 2 shown]
	s_delay_alu instid0(VALU_DEP_3) | instskip(SKIP_4) | instid1(VALU_DEP_2)
	v_cmp_lt_u32_e32 vcc_lo, 25, v7
	s_or_b32 s3, vcc_lo, s3
	s_waitcnt vmcnt(0) lgkmcnt(0)
	v_mul_f64 v[10:11], v[21:22], v[17:18]
	v_mul_f64 v[17:18], v[19:20], v[17:18]
	v_fma_f64 v[10:11], v[19:20], v[15:16], -v[10:11]
	s_delay_alu instid0(VALU_DEP_2) | instskip(NEXT) | instid1(VALU_DEP_2)
	v_fma_f64 v[15:16], v[21:22], v[15:16], v[17:18]
	v_add_f64 v[3:4], v[3:4], v[10:11]
	s_delay_alu instid0(VALU_DEP_2)
	v_add_f64 v[1:2], v[1:2], v[15:16]
	s_and_not1_b32 exec_lo, exec_lo, s3
	s_cbranch_execnz .LBB48_121
; %bb.122:
	s_or_b32 exec_lo, exec_lo, s3
	v_mov_b32_e32 v7, 0
	ds_load_b128 v[7:10], v7 offset:432
	s_waitcnt lgkmcnt(0)
	v_mul_f64 v[11:12], v[1:2], v[9:10]
	v_mul_f64 v[15:16], v[3:4], v[9:10]
	s_delay_alu instid0(VALU_DEP_2) | instskip(NEXT) | instid1(VALU_DEP_2)
	v_fma_f64 v[9:10], v[3:4], v[7:8], -v[11:12]
	v_fma_f64 v[11:12], v[1:2], v[7:8], v[15:16]
	scratch_store_b128 off, v[9:12], off offset:432
.LBB48_123:
	s_or_b32 exec_lo, exec_lo, s2
	s_waitcnt_vscnt null, 0x0
	s_barrier
	buffer_gl0_inv
	scratch_load_b128 v[1:4], v161, off
	s_mov_b32 s2, exec_lo
	s_waitcnt vmcnt(0)
	ds_store_b128 v5, v[1:4]
	s_waitcnt lgkmcnt(0)
	s_barrier
	buffer_gl0_inv
	v_cmpx_gt_u32_e32 28, v140
	s_cbranch_execz .LBB48_127
; %bb.124:
	v_dual_mov_b32 v1, 0 :: v_dual_add_nc_u32 v8, 0x310, v13
	v_dual_mov_b32 v2, 0 :: v_dual_add_nc_u32 v7, -1, v140
	v_or_b32_e32 v9, 8, v14
	s_mov_b32 s3, 0
	s_delay_alu instid0(VALU_DEP_2)
	v_dual_mov_b32 v4, v2 :: v_dual_mov_b32 v3, v1
	.p2align	6
.LBB48_125:                             ; =>This Inner Loop Header: Depth=1
	scratch_load_b128 v[15:18], v9, off offset:-8
	ds_load_b128 v[19:22], v8
	v_add_nc_u32_e32 v7, 1, v7
	v_add_nc_u32_e32 v8, 16, v8
	;; [unrolled: 1-line block ×3, first 2 shown]
	s_delay_alu instid0(VALU_DEP_3) | instskip(SKIP_4) | instid1(VALU_DEP_2)
	v_cmp_lt_u32_e32 vcc_lo, 26, v7
	s_or_b32 s3, vcc_lo, s3
	s_waitcnt vmcnt(0) lgkmcnt(0)
	v_mul_f64 v[10:11], v[21:22], v[17:18]
	v_mul_f64 v[17:18], v[19:20], v[17:18]
	v_fma_f64 v[10:11], v[19:20], v[15:16], -v[10:11]
	s_delay_alu instid0(VALU_DEP_2) | instskip(NEXT) | instid1(VALU_DEP_2)
	v_fma_f64 v[15:16], v[21:22], v[15:16], v[17:18]
	v_add_f64 v[3:4], v[3:4], v[10:11]
	s_delay_alu instid0(VALU_DEP_2)
	v_add_f64 v[1:2], v[1:2], v[15:16]
	s_and_not1_b32 exec_lo, exec_lo, s3
	s_cbranch_execnz .LBB48_125
; %bb.126:
	s_or_b32 exec_lo, exec_lo, s3
	v_mov_b32_e32 v7, 0
	ds_load_b128 v[7:10], v7 offset:448
	s_waitcnt lgkmcnt(0)
	v_mul_f64 v[11:12], v[1:2], v[9:10]
	v_mul_f64 v[15:16], v[3:4], v[9:10]
	s_delay_alu instid0(VALU_DEP_2) | instskip(NEXT) | instid1(VALU_DEP_2)
	v_fma_f64 v[9:10], v[3:4], v[7:8], -v[11:12]
	v_fma_f64 v[11:12], v[1:2], v[7:8], v[15:16]
	scratch_store_b128 off, v[9:12], off offset:448
.LBB48_127:
	s_or_b32 exec_lo, exec_lo, s2
	s_waitcnt_vscnt null, 0x0
	s_barrier
	buffer_gl0_inv
	scratch_load_b128 v[1:4], v160, off
	s_mov_b32 s2, exec_lo
	s_waitcnt vmcnt(0)
	ds_store_b128 v5, v[1:4]
	s_waitcnt lgkmcnt(0)
	s_barrier
	buffer_gl0_inv
	v_cmpx_gt_u32_e32 29, v140
	s_cbranch_execz .LBB48_131
; %bb.128:
	v_dual_mov_b32 v1, 0 :: v_dual_add_nc_u32 v8, 0x310, v13
	v_dual_mov_b32 v2, 0 :: v_dual_add_nc_u32 v7, -1, v140
	v_or_b32_e32 v9, 8, v14
	s_mov_b32 s3, 0
	s_delay_alu instid0(VALU_DEP_2)
	v_dual_mov_b32 v4, v2 :: v_dual_mov_b32 v3, v1
	.p2align	6
.LBB48_129:                             ; =>This Inner Loop Header: Depth=1
	scratch_load_b128 v[15:18], v9, off offset:-8
	ds_load_b128 v[19:22], v8
	v_add_nc_u32_e32 v7, 1, v7
	v_add_nc_u32_e32 v8, 16, v8
	;; [unrolled: 1-line block ×3, first 2 shown]
	s_delay_alu instid0(VALU_DEP_3) | instskip(SKIP_4) | instid1(VALU_DEP_2)
	v_cmp_lt_u32_e32 vcc_lo, 27, v7
	s_or_b32 s3, vcc_lo, s3
	s_waitcnt vmcnt(0) lgkmcnt(0)
	v_mul_f64 v[10:11], v[21:22], v[17:18]
	v_mul_f64 v[17:18], v[19:20], v[17:18]
	v_fma_f64 v[10:11], v[19:20], v[15:16], -v[10:11]
	s_delay_alu instid0(VALU_DEP_2) | instskip(NEXT) | instid1(VALU_DEP_2)
	v_fma_f64 v[15:16], v[21:22], v[15:16], v[17:18]
	v_add_f64 v[3:4], v[3:4], v[10:11]
	s_delay_alu instid0(VALU_DEP_2)
	v_add_f64 v[1:2], v[1:2], v[15:16]
	s_and_not1_b32 exec_lo, exec_lo, s3
	s_cbranch_execnz .LBB48_129
; %bb.130:
	s_or_b32 exec_lo, exec_lo, s3
	v_mov_b32_e32 v7, 0
	ds_load_b128 v[7:10], v7 offset:464
	s_waitcnt lgkmcnt(0)
	v_mul_f64 v[11:12], v[1:2], v[9:10]
	v_mul_f64 v[15:16], v[3:4], v[9:10]
	s_delay_alu instid0(VALU_DEP_2) | instskip(NEXT) | instid1(VALU_DEP_2)
	v_fma_f64 v[9:10], v[3:4], v[7:8], -v[11:12]
	v_fma_f64 v[11:12], v[1:2], v[7:8], v[15:16]
	scratch_store_b128 off, v[9:12], off offset:464
.LBB48_131:
	s_or_b32 exec_lo, exec_lo, s2
	s_waitcnt_vscnt null, 0x0
	s_barrier
	buffer_gl0_inv
	scratch_load_b128 v[1:4], v159, off
	s_mov_b32 s2, exec_lo
	s_waitcnt vmcnt(0)
	ds_store_b128 v5, v[1:4]
	s_waitcnt lgkmcnt(0)
	s_barrier
	buffer_gl0_inv
	v_cmpx_gt_u32_e32 30, v140
	s_cbranch_execz .LBB48_135
; %bb.132:
	v_dual_mov_b32 v1, 0 :: v_dual_add_nc_u32 v8, 0x310, v13
	v_dual_mov_b32 v2, 0 :: v_dual_add_nc_u32 v7, -1, v140
	v_or_b32_e32 v9, 8, v14
	s_mov_b32 s3, 0
	s_delay_alu instid0(VALU_DEP_2)
	v_dual_mov_b32 v4, v2 :: v_dual_mov_b32 v3, v1
	.p2align	6
.LBB48_133:                             ; =>This Inner Loop Header: Depth=1
	scratch_load_b128 v[15:18], v9, off offset:-8
	ds_load_b128 v[19:22], v8
	v_add_nc_u32_e32 v7, 1, v7
	v_add_nc_u32_e32 v8, 16, v8
	;; [unrolled: 1-line block ×3, first 2 shown]
	s_delay_alu instid0(VALU_DEP_3) | instskip(SKIP_4) | instid1(VALU_DEP_2)
	v_cmp_lt_u32_e32 vcc_lo, 28, v7
	s_or_b32 s3, vcc_lo, s3
	s_waitcnt vmcnt(0) lgkmcnt(0)
	v_mul_f64 v[10:11], v[21:22], v[17:18]
	v_mul_f64 v[17:18], v[19:20], v[17:18]
	v_fma_f64 v[10:11], v[19:20], v[15:16], -v[10:11]
	s_delay_alu instid0(VALU_DEP_2) | instskip(NEXT) | instid1(VALU_DEP_2)
	v_fma_f64 v[15:16], v[21:22], v[15:16], v[17:18]
	v_add_f64 v[3:4], v[3:4], v[10:11]
	s_delay_alu instid0(VALU_DEP_2)
	v_add_f64 v[1:2], v[1:2], v[15:16]
	s_and_not1_b32 exec_lo, exec_lo, s3
	s_cbranch_execnz .LBB48_133
; %bb.134:
	s_or_b32 exec_lo, exec_lo, s3
	v_mov_b32_e32 v7, 0
	ds_load_b128 v[7:10], v7 offset:480
	s_waitcnt lgkmcnt(0)
	v_mul_f64 v[11:12], v[1:2], v[9:10]
	v_mul_f64 v[15:16], v[3:4], v[9:10]
	s_delay_alu instid0(VALU_DEP_2) | instskip(NEXT) | instid1(VALU_DEP_2)
	v_fma_f64 v[9:10], v[3:4], v[7:8], -v[11:12]
	v_fma_f64 v[11:12], v[1:2], v[7:8], v[15:16]
	scratch_store_b128 off, v[9:12], off offset:480
.LBB48_135:
	s_or_b32 exec_lo, exec_lo, s2
	s_waitcnt_vscnt null, 0x0
	s_barrier
	buffer_gl0_inv
	scratch_load_b128 v[1:4], v158, off
	s_mov_b32 s2, exec_lo
	s_waitcnt vmcnt(0)
	ds_store_b128 v5, v[1:4]
	s_waitcnt lgkmcnt(0)
	s_barrier
	buffer_gl0_inv
	v_cmpx_gt_u32_e32 31, v140
	s_cbranch_execz .LBB48_139
; %bb.136:
	v_dual_mov_b32 v1, 0 :: v_dual_add_nc_u32 v8, 0x310, v13
	v_dual_mov_b32 v2, 0 :: v_dual_add_nc_u32 v7, -1, v140
	v_or_b32_e32 v9, 8, v14
	s_mov_b32 s3, 0
	s_delay_alu instid0(VALU_DEP_2)
	v_dual_mov_b32 v4, v2 :: v_dual_mov_b32 v3, v1
	.p2align	6
.LBB48_137:                             ; =>This Inner Loop Header: Depth=1
	scratch_load_b128 v[15:18], v9, off offset:-8
	ds_load_b128 v[19:22], v8
	v_add_nc_u32_e32 v7, 1, v7
	v_add_nc_u32_e32 v8, 16, v8
	;; [unrolled: 1-line block ×3, first 2 shown]
	s_delay_alu instid0(VALU_DEP_3) | instskip(SKIP_4) | instid1(VALU_DEP_2)
	v_cmp_lt_u32_e32 vcc_lo, 29, v7
	s_or_b32 s3, vcc_lo, s3
	s_waitcnt vmcnt(0) lgkmcnt(0)
	v_mul_f64 v[10:11], v[21:22], v[17:18]
	v_mul_f64 v[17:18], v[19:20], v[17:18]
	v_fma_f64 v[10:11], v[19:20], v[15:16], -v[10:11]
	s_delay_alu instid0(VALU_DEP_2) | instskip(NEXT) | instid1(VALU_DEP_2)
	v_fma_f64 v[15:16], v[21:22], v[15:16], v[17:18]
	v_add_f64 v[3:4], v[3:4], v[10:11]
	s_delay_alu instid0(VALU_DEP_2)
	v_add_f64 v[1:2], v[1:2], v[15:16]
	s_and_not1_b32 exec_lo, exec_lo, s3
	s_cbranch_execnz .LBB48_137
; %bb.138:
	s_or_b32 exec_lo, exec_lo, s3
	v_mov_b32_e32 v7, 0
	ds_load_b128 v[7:10], v7 offset:496
	s_waitcnt lgkmcnt(0)
	v_mul_f64 v[11:12], v[1:2], v[9:10]
	v_mul_f64 v[15:16], v[3:4], v[9:10]
	s_delay_alu instid0(VALU_DEP_2) | instskip(NEXT) | instid1(VALU_DEP_2)
	v_fma_f64 v[9:10], v[3:4], v[7:8], -v[11:12]
	v_fma_f64 v[11:12], v[1:2], v[7:8], v[15:16]
	scratch_store_b128 off, v[9:12], off offset:496
.LBB48_139:
	s_or_b32 exec_lo, exec_lo, s2
	s_waitcnt_vscnt null, 0x0
	s_barrier
	buffer_gl0_inv
	scratch_load_b128 v[1:4], v157, off
	s_mov_b32 s2, exec_lo
	s_waitcnt vmcnt(0)
	ds_store_b128 v5, v[1:4]
	s_waitcnt lgkmcnt(0)
	s_barrier
	buffer_gl0_inv
	v_cmpx_gt_u32_e32 32, v140
	s_cbranch_execz .LBB48_143
; %bb.140:
	v_dual_mov_b32 v1, 0 :: v_dual_add_nc_u32 v8, 0x310, v13
	v_dual_mov_b32 v2, 0 :: v_dual_add_nc_u32 v7, -1, v140
	v_or_b32_e32 v9, 8, v14
	s_mov_b32 s3, 0
	s_delay_alu instid0(VALU_DEP_2)
	v_dual_mov_b32 v4, v2 :: v_dual_mov_b32 v3, v1
	.p2align	6
.LBB48_141:                             ; =>This Inner Loop Header: Depth=1
	scratch_load_b128 v[15:18], v9, off offset:-8
	ds_load_b128 v[19:22], v8
	v_add_nc_u32_e32 v7, 1, v7
	v_add_nc_u32_e32 v8, 16, v8
	;; [unrolled: 1-line block ×3, first 2 shown]
	s_delay_alu instid0(VALU_DEP_3) | instskip(SKIP_4) | instid1(VALU_DEP_2)
	v_cmp_lt_u32_e32 vcc_lo, 30, v7
	s_or_b32 s3, vcc_lo, s3
	s_waitcnt vmcnt(0) lgkmcnt(0)
	v_mul_f64 v[10:11], v[21:22], v[17:18]
	v_mul_f64 v[17:18], v[19:20], v[17:18]
	v_fma_f64 v[10:11], v[19:20], v[15:16], -v[10:11]
	s_delay_alu instid0(VALU_DEP_2) | instskip(NEXT) | instid1(VALU_DEP_2)
	v_fma_f64 v[15:16], v[21:22], v[15:16], v[17:18]
	v_add_f64 v[3:4], v[3:4], v[10:11]
	s_delay_alu instid0(VALU_DEP_2)
	v_add_f64 v[1:2], v[1:2], v[15:16]
	s_and_not1_b32 exec_lo, exec_lo, s3
	s_cbranch_execnz .LBB48_141
; %bb.142:
	s_or_b32 exec_lo, exec_lo, s3
	v_mov_b32_e32 v7, 0
	ds_load_b128 v[7:10], v7 offset:512
	s_waitcnt lgkmcnt(0)
	v_mul_f64 v[11:12], v[1:2], v[9:10]
	v_mul_f64 v[15:16], v[3:4], v[9:10]
	s_delay_alu instid0(VALU_DEP_2) | instskip(NEXT) | instid1(VALU_DEP_2)
	v_fma_f64 v[9:10], v[3:4], v[7:8], -v[11:12]
	v_fma_f64 v[11:12], v[1:2], v[7:8], v[15:16]
	scratch_store_b128 off, v[9:12], off offset:512
.LBB48_143:
	s_or_b32 exec_lo, exec_lo, s2
	s_waitcnt_vscnt null, 0x0
	s_barrier
	buffer_gl0_inv
	scratch_load_b128 v[1:4], v155, off
	s_mov_b32 s2, exec_lo
	s_waitcnt vmcnt(0)
	ds_store_b128 v5, v[1:4]
	s_waitcnt lgkmcnt(0)
	s_barrier
	buffer_gl0_inv
	v_cmpx_gt_u32_e32 33, v140
	s_cbranch_execz .LBB48_147
; %bb.144:
	v_dual_mov_b32 v1, 0 :: v_dual_add_nc_u32 v8, 0x310, v13
	v_dual_mov_b32 v2, 0 :: v_dual_add_nc_u32 v7, -1, v140
	v_or_b32_e32 v9, 8, v14
	s_mov_b32 s3, 0
	s_delay_alu instid0(VALU_DEP_2)
	v_dual_mov_b32 v4, v2 :: v_dual_mov_b32 v3, v1
	.p2align	6
.LBB48_145:                             ; =>This Inner Loop Header: Depth=1
	scratch_load_b128 v[15:18], v9, off offset:-8
	ds_load_b128 v[19:22], v8
	v_add_nc_u32_e32 v7, 1, v7
	v_add_nc_u32_e32 v8, 16, v8
	;; [unrolled: 1-line block ×3, first 2 shown]
	s_delay_alu instid0(VALU_DEP_3) | instskip(SKIP_4) | instid1(VALU_DEP_2)
	v_cmp_lt_u32_e32 vcc_lo, 31, v7
	s_or_b32 s3, vcc_lo, s3
	s_waitcnt vmcnt(0) lgkmcnt(0)
	v_mul_f64 v[10:11], v[21:22], v[17:18]
	v_mul_f64 v[17:18], v[19:20], v[17:18]
	v_fma_f64 v[10:11], v[19:20], v[15:16], -v[10:11]
	s_delay_alu instid0(VALU_DEP_2) | instskip(NEXT) | instid1(VALU_DEP_2)
	v_fma_f64 v[15:16], v[21:22], v[15:16], v[17:18]
	v_add_f64 v[3:4], v[3:4], v[10:11]
	s_delay_alu instid0(VALU_DEP_2)
	v_add_f64 v[1:2], v[1:2], v[15:16]
	s_and_not1_b32 exec_lo, exec_lo, s3
	s_cbranch_execnz .LBB48_145
; %bb.146:
	s_or_b32 exec_lo, exec_lo, s3
	v_mov_b32_e32 v7, 0
	ds_load_b128 v[7:10], v7 offset:528
	s_waitcnt lgkmcnt(0)
	v_mul_f64 v[11:12], v[1:2], v[9:10]
	v_mul_f64 v[15:16], v[3:4], v[9:10]
	s_delay_alu instid0(VALU_DEP_2) | instskip(NEXT) | instid1(VALU_DEP_2)
	v_fma_f64 v[9:10], v[3:4], v[7:8], -v[11:12]
	v_fma_f64 v[11:12], v[1:2], v[7:8], v[15:16]
	scratch_store_b128 off, v[9:12], off offset:528
.LBB48_147:
	s_or_b32 exec_lo, exec_lo, s2
	s_waitcnt_vscnt null, 0x0
	s_barrier
	buffer_gl0_inv
	scratch_load_b128 v[1:4], v154, off
	s_mov_b32 s2, exec_lo
	s_waitcnt vmcnt(0)
	ds_store_b128 v5, v[1:4]
	s_waitcnt lgkmcnt(0)
	s_barrier
	buffer_gl0_inv
	v_cmpx_gt_u32_e32 34, v140
	s_cbranch_execz .LBB48_151
; %bb.148:
	v_dual_mov_b32 v1, 0 :: v_dual_add_nc_u32 v8, 0x310, v13
	v_dual_mov_b32 v2, 0 :: v_dual_add_nc_u32 v7, -1, v140
	v_or_b32_e32 v9, 8, v14
	s_mov_b32 s3, 0
	s_delay_alu instid0(VALU_DEP_2)
	v_dual_mov_b32 v4, v2 :: v_dual_mov_b32 v3, v1
	.p2align	6
.LBB48_149:                             ; =>This Inner Loop Header: Depth=1
	scratch_load_b128 v[15:18], v9, off offset:-8
	ds_load_b128 v[19:22], v8
	v_add_nc_u32_e32 v7, 1, v7
	v_add_nc_u32_e32 v8, 16, v8
	v_add_nc_u32_e32 v9, 16, v9
	s_delay_alu instid0(VALU_DEP_3) | instskip(SKIP_4) | instid1(VALU_DEP_2)
	v_cmp_lt_u32_e32 vcc_lo, 32, v7
	s_or_b32 s3, vcc_lo, s3
	s_waitcnt vmcnt(0) lgkmcnt(0)
	v_mul_f64 v[10:11], v[21:22], v[17:18]
	v_mul_f64 v[17:18], v[19:20], v[17:18]
	v_fma_f64 v[10:11], v[19:20], v[15:16], -v[10:11]
	s_delay_alu instid0(VALU_DEP_2) | instskip(NEXT) | instid1(VALU_DEP_2)
	v_fma_f64 v[15:16], v[21:22], v[15:16], v[17:18]
	v_add_f64 v[3:4], v[3:4], v[10:11]
	s_delay_alu instid0(VALU_DEP_2)
	v_add_f64 v[1:2], v[1:2], v[15:16]
	s_and_not1_b32 exec_lo, exec_lo, s3
	s_cbranch_execnz .LBB48_149
; %bb.150:
	s_or_b32 exec_lo, exec_lo, s3
	v_mov_b32_e32 v7, 0
	ds_load_b128 v[7:10], v7 offset:544
	s_waitcnt lgkmcnt(0)
	v_mul_f64 v[11:12], v[1:2], v[9:10]
	v_mul_f64 v[15:16], v[3:4], v[9:10]
	s_delay_alu instid0(VALU_DEP_2) | instskip(NEXT) | instid1(VALU_DEP_2)
	v_fma_f64 v[9:10], v[3:4], v[7:8], -v[11:12]
	v_fma_f64 v[11:12], v[1:2], v[7:8], v[15:16]
	scratch_store_b128 off, v[9:12], off offset:544
.LBB48_151:
	s_or_b32 exec_lo, exec_lo, s2
	s_waitcnt_vscnt null, 0x0
	s_barrier
	buffer_gl0_inv
	scratch_load_b128 v[1:4], v149, off
	s_mov_b32 s2, exec_lo
	s_waitcnt vmcnt(0)
	ds_store_b128 v5, v[1:4]
	s_waitcnt lgkmcnt(0)
	s_barrier
	buffer_gl0_inv
	v_cmpx_gt_u32_e32 35, v140
	s_cbranch_execz .LBB48_155
; %bb.152:
	v_dual_mov_b32 v1, 0 :: v_dual_add_nc_u32 v8, 0x310, v13
	v_dual_mov_b32 v2, 0 :: v_dual_add_nc_u32 v7, -1, v140
	v_or_b32_e32 v9, 8, v14
	s_mov_b32 s3, 0
	s_delay_alu instid0(VALU_DEP_2)
	v_dual_mov_b32 v4, v2 :: v_dual_mov_b32 v3, v1
	.p2align	6
.LBB48_153:                             ; =>This Inner Loop Header: Depth=1
	scratch_load_b128 v[15:18], v9, off offset:-8
	ds_load_b128 v[19:22], v8
	v_add_nc_u32_e32 v7, 1, v7
	v_add_nc_u32_e32 v8, 16, v8
	;; [unrolled: 1-line block ×3, first 2 shown]
	s_delay_alu instid0(VALU_DEP_3) | instskip(SKIP_4) | instid1(VALU_DEP_2)
	v_cmp_lt_u32_e32 vcc_lo, 33, v7
	s_or_b32 s3, vcc_lo, s3
	s_waitcnt vmcnt(0) lgkmcnt(0)
	v_mul_f64 v[10:11], v[21:22], v[17:18]
	v_mul_f64 v[17:18], v[19:20], v[17:18]
	v_fma_f64 v[10:11], v[19:20], v[15:16], -v[10:11]
	s_delay_alu instid0(VALU_DEP_2) | instskip(NEXT) | instid1(VALU_DEP_2)
	v_fma_f64 v[15:16], v[21:22], v[15:16], v[17:18]
	v_add_f64 v[3:4], v[3:4], v[10:11]
	s_delay_alu instid0(VALU_DEP_2)
	v_add_f64 v[1:2], v[1:2], v[15:16]
	s_and_not1_b32 exec_lo, exec_lo, s3
	s_cbranch_execnz .LBB48_153
; %bb.154:
	s_or_b32 exec_lo, exec_lo, s3
	v_mov_b32_e32 v7, 0
	ds_load_b128 v[7:10], v7 offset:560
	s_waitcnt lgkmcnt(0)
	v_mul_f64 v[11:12], v[1:2], v[9:10]
	v_mul_f64 v[15:16], v[3:4], v[9:10]
	s_delay_alu instid0(VALU_DEP_2) | instskip(NEXT) | instid1(VALU_DEP_2)
	v_fma_f64 v[9:10], v[3:4], v[7:8], -v[11:12]
	v_fma_f64 v[11:12], v[1:2], v[7:8], v[15:16]
	scratch_store_b128 off, v[9:12], off offset:560
.LBB48_155:
	s_or_b32 exec_lo, exec_lo, s2
	s_waitcnt_vscnt null, 0x0
	s_barrier
	buffer_gl0_inv
	scratch_load_b128 v[1:4], v148, off
	s_mov_b32 s2, exec_lo
	s_waitcnt vmcnt(0)
	ds_store_b128 v5, v[1:4]
	s_waitcnt lgkmcnt(0)
	s_barrier
	buffer_gl0_inv
	v_cmpx_gt_u32_e32 36, v140
	s_cbranch_execz .LBB48_159
; %bb.156:
	v_dual_mov_b32 v1, 0 :: v_dual_add_nc_u32 v8, 0x310, v13
	v_dual_mov_b32 v2, 0 :: v_dual_add_nc_u32 v7, -1, v140
	v_or_b32_e32 v9, 8, v14
	s_mov_b32 s3, 0
	s_delay_alu instid0(VALU_DEP_2)
	v_dual_mov_b32 v4, v2 :: v_dual_mov_b32 v3, v1
	.p2align	6
.LBB48_157:                             ; =>This Inner Loop Header: Depth=1
	scratch_load_b128 v[15:18], v9, off offset:-8
	ds_load_b128 v[19:22], v8
	v_add_nc_u32_e32 v7, 1, v7
	v_add_nc_u32_e32 v8, 16, v8
	;; [unrolled: 1-line block ×3, first 2 shown]
	s_delay_alu instid0(VALU_DEP_3) | instskip(SKIP_4) | instid1(VALU_DEP_2)
	v_cmp_lt_u32_e32 vcc_lo, 34, v7
	s_or_b32 s3, vcc_lo, s3
	s_waitcnt vmcnt(0) lgkmcnt(0)
	v_mul_f64 v[10:11], v[21:22], v[17:18]
	v_mul_f64 v[17:18], v[19:20], v[17:18]
	v_fma_f64 v[10:11], v[19:20], v[15:16], -v[10:11]
	s_delay_alu instid0(VALU_DEP_2) | instskip(NEXT) | instid1(VALU_DEP_2)
	v_fma_f64 v[15:16], v[21:22], v[15:16], v[17:18]
	v_add_f64 v[3:4], v[3:4], v[10:11]
	s_delay_alu instid0(VALU_DEP_2)
	v_add_f64 v[1:2], v[1:2], v[15:16]
	s_and_not1_b32 exec_lo, exec_lo, s3
	s_cbranch_execnz .LBB48_157
; %bb.158:
	s_or_b32 exec_lo, exec_lo, s3
	v_mov_b32_e32 v7, 0
	ds_load_b128 v[7:10], v7 offset:576
	s_waitcnt lgkmcnt(0)
	v_mul_f64 v[11:12], v[1:2], v[9:10]
	v_mul_f64 v[15:16], v[3:4], v[9:10]
	s_delay_alu instid0(VALU_DEP_2) | instskip(NEXT) | instid1(VALU_DEP_2)
	v_fma_f64 v[9:10], v[3:4], v[7:8], -v[11:12]
	v_fma_f64 v[11:12], v[1:2], v[7:8], v[15:16]
	scratch_store_b128 off, v[9:12], off offset:576
.LBB48_159:
	s_or_b32 exec_lo, exec_lo, s2
	s_waitcnt_vscnt null, 0x0
	s_barrier
	buffer_gl0_inv
	scratch_load_b128 v[1:4], v141, off
	s_mov_b32 s2, exec_lo
	s_waitcnt vmcnt(0)
	ds_store_b128 v5, v[1:4]
	s_waitcnt lgkmcnt(0)
	s_barrier
	buffer_gl0_inv
	v_cmpx_gt_u32_e32 37, v140
	s_cbranch_execz .LBB48_163
; %bb.160:
	v_dual_mov_b32 v1, 0 :: v_dual_add_nc_u32 v8, 0x310, v13
	v_dual_mov_b32 v2, 0 :: v_dual_add_nc_u32 v7, -1, v140
	v_or_b32_e32 v9, 8, v14
	s_mov_b32 s3, 0
	s_delay_alu instid0(VALU_DEP_2)
	v_dual_mov_b32 v4, v2 :: v_dual_mov_b32 v3, v1
	.p2align	6
.LBB48_161:                             ; =>This Inner Loop Header: Depth=1
	scratch_load_b128 v[15:18], v9, off offset:-8
	ds_load_b128 v[19:22], v8
	v_add_nc_u32_e32 v7, 1, v7
	v_add_nc_u32_e32 v8, 16, v8
	;; [unrolled: 1-line block ×3, first 2 shown]
	s_delay_alu instid0(VALU_DEP_3) | instskip(SKIP_4) | instid1(VALU_DEP_2)
	v_cmp_lt_u32_e32 vcc_lo, 35, v7
	s_or_b32 s3, vcc_lo, s3
	s_waitcnt vmcnt(0) lgkmcnt(0)
	v_mul_f64 v[10:11], v[21:22], v[17:18]
	v_mul_f64 v[17:18], v[19:20], v[17:18]
	v_fma_f64 v[10:11], v[19:20], v[15:16], -v[10:11]
	s_delay_alu instid0(VALU_DEP_2) | instskip(NEXT) | instid1(VALU_DEP_2)
	v_fma_f64 v[15:16], v[21:22], v[15:16], v[17:18]
	v_add_f64 v[3:4], v[3:4], v[10:11]
	s_delay_alu instid0(VALU_DEP_2)
	v_add_f64 v[1:2], v[1:2], v[15:16]
	s_and_not1_b32 exec_lo, exec_lo, s3
	s_cbranch_execnz .LBB48_161
; %bb.162:
	s_or_b32 exec_lo, exec_lo, s3
	v_mov_b32_e32 v7, 0
	ds_load_b128 v[7:10], v7 offset:592
	s_waitcnt lgkmcnt(0)
	v_mul_f64 v[11:12], v[1:2], v[9:10]
	v_mul_f64 v[15:16], v[3:4], v[9:10]
	s_delay_alu instid0(VALU_DEP_2) | instskip(NEXT) | instid1(VALU_DEP_2)
	v_fma_f64 v[9:10], v[3:4], v[7:8], -v[11:12]
	v_fma_f64 v[11:12], v[1:2], v[7:8], v[15:16]
	scratch_store_b128 off, v[9:12], off offset:592
.LBB48_163:
	s_or_b32 exec_lo, exec_lo, s2
	s_waitcnt_vscnt null, 0x0
	s_barrier
	buffer_gl0_inv
	scratch_load_b128 v[1:4], v156, off
	s_mov_b32 s2, exec_lo
	s_waitcnt vmcnt(0)
	ds_store_b128 v5, v[1:4]
	s_waitcnt lgkmcnt(0)
	s_barrier
	buffer_gl0_inv
	v_cmpx_gt_u32_e32 38, v140
	s_cbranch_execz .LBB48_167
; %bb.164:
	v_dual_mov_b32 v1, 0 :: v_dual_add_nc_u32 v8, 0x310, v13
	v_dual_mov_b32 v2, 0 :: v_dual_add_nc_u32 v7, -1, v140
	v_or_b32_e32 v9, 8, v14
	s_mov_b32 s3, 0
	s_delay_alu instid0(VALU_DEP_2)
	v_dual_mov_b32 v4, v2 :: v_dual_mov_b32 v3, v1
	.p2align	6
.LBB48_165:                             ; =>This Inner Loop Header: Depth=1
	scratch_load_b128 v[15:18], v9, off offset:-8
	ds_load_b128 v[19:22], v8
	v_add_nc_u32_e32 v7, 1, v7
	v_add_nc_u32_e32 v8, 16, v8
	;; [unrolled: 1-line block ×3, first 2 shown]
	s_delay_alu instid0(VALU_DEP_3) | instskip(SKIP_4) | instid1(VALU_DEP_2)
	v_cmp_lt_u32_e32 vcc_lo, 36, v7
	s_or_b32 s3, vcc_lo, s3
	s_waitcnt vmcnt(0) lgkmcnt(0)
	v_mul_f64 v[10:11], v[21:22], v[17:18]
	v_mul_f64 v[17:18], v[19:20], v[17:18]
	v_fma_f64 v[10:11], v[19:20], v[15:16], -v[10:11]
	s_delay_alu instid0(VALU_DEP_2) | instskip(NEXT) | instid1(VALU_DEP_2)
	v_fma_f64 v[15:16], v[21:22], v[15:16], v[17:18]
	v_add_f64 v[3:4], v[3:4], v[10:11]
	s_delay_alu instid0(VALU_DEP_2)
	v_add_f64 v[1:2], v[1:2], v[15:16]
	s_and_not1_b32 exec_lo, exec_lo, s3
	s_cbranch_execnz .LBB48_165
; %bb.166:
	s_or_b32 exec_lo, exec_lo, s3
	v_mov_b32_e32 v7, 0
	ds_load_b128 v[7:10], v7 offset:608
	s_waitcnt lgkmcnt(0)
	v_mul_f64 v[11:12], v[1:2], v[9:10]
	v_mul_f64 v[15:16], v[3:4], v[9:10]
	s_delay_alu instid0(VALU_DEP_2) | instskip(NEXT) | instid1(VALU_DEP_2)
	v_fma_f64 v[9:10], v[3:4], v[7:8], -v[11:12]
	v_fma_f64 v[11:12], v[1:2], v[7:8], v[15:16]
	scratch_store_b128 off, v[9:12], off offset:608
.LBB48_167:
	s_or_b32 exec_lo, exec_lo, s2
	s_waitcnt_vscnt null, 0x0
	s_barrier
	buffer_gl0_inv
	scratch_load_b128 v[1:4], v153, off
	s_mov_b32 s2, exec_lo
	s_waitcnt vmcnt(0)
	ds_store_b128 v5, v[1:4]
	s_waitcnt lgkmcnt(0)
	s_barrier
	buffer_gl0_inv
	v_cmpx_gt_u32_e32 39, v140
	s_cbranch_execz .LBB48_171
; %bb.168:
	v_dual_mov_b32 v1, 0 :: v_dual_add_nc_u32 v8, 0x310, v13
	v_dual_mov_b32 v2, 0 :: v_dual_add_nc_u32 v7, -1, v140
	v_or_b32_e32 v9, 8, v14
	s_mov_b32 s3, 0
	s_delay_alu instid0(VALU_DEP_2)
	v_dual_mov_b32 v4, v2 :: v_dual_mov_b32 v3, v1
	.p2align	6
.LBB48_169:                             ; =>This Inner Loop Header: Depth=1
	scratch_load_b128 v[15:18], v9, off offset:-8
	ds_load_b128 v[19:22], v8
	v_add_nc_u32_e32 v7, 1, v7
	v_add_nc_u32_e32 v8, 16, v8
	;; [unrolled: 1-line block ×3, first 2 shown]
	s_delay_alu instid0(VALU_DEP_3) | instskip(SKIP_4) | instid1(VALU_DEP_2)
	v_cmp_lt_u32_e32 vcc_lo, 37, v7
	s_or_b32 s3, vcc_lo, s3
	s_waitcnt vmcnt(0) lgkmcnt(0)
	v_mul_f64 v[10:11], v[21:22], v[17:18]
	v_mul_f64 v[17:18], v[19:20], v[17:18]
	v_fma_f64 v[10:11], v[19:20], v[15:16], -v[10:11]
	s_delay_alu instid0(VALU_DEP_2) | instskip(NEXT) | instid1(VALU_DEP_2)
	v_fma_f64 v[15:16], v[21:22], v[15:16], v[17:18]
	v_add_f64 v[3:4], v[3:4], v[10:11]
	s_delay_alu instid0(VALU_DEP_2)
	v_add_f64 v[1:2], v[1:2], v[15:16]
	s_and_not1_b32 exec_lo, exec_lo, s3
	s_cbranch_execnz .LBB48_169
; %bb.170:
	s_or_b32 exec_lo, exec_lo, s3
	v_mov_b32_e32 v7, 0
	ds_load_b128 v[7:10], v7 offset:624
	s_waitcnt lgkmcnt(0)
	v_mul_f64 v[11:12], v[1:2], v[9:10]
	v_mul_f64 v[15:16], v[3:4], v[9:10]
	s_delay_alu instid0(VALU_DEP_2) | instskip(NEXT) | instid1(VALU_DEP_2)
	v_fma_f64 v[9:10], v[3:4], v[7:8], -v[11:12]
	v_fma_f64 v[11:12], v[1:2], v[7:8], v[15:16]
	scratch_store_b128 off, v[9:12], off offset:624
.LBB48_171:
	s_or_b32 exec_lo, exec_lo, s2
	s_waitcnt_vscnt null, 0x0
	s_barrier
	buffer_gl0_inv
	scratch_load_b128 v[1:4], v152, off
	s_mov_b32 s2, exec_lo
	s_waitcnt vmcnt(0)
	ds_store_b128 v5, v[1:4]
	s_waitcnt lgkmcnt(0)
	s_barrier
	buffer_gl0_inv
	v_cmpx_gt_u32_e32 40, v140
	s_cbranch_execz .LBB48_175
; %bb.172:
	v_dual_mov_b32 v1, 0 :: v_dual_add_nc_u32 v8, 0x310, v13
	v_dual_mov_b32 v2, 0 :: v_dual_add_nc_u32 v7, -1, v140
	v_or_b32_e32 v9, 8, v14
	s_mov_b32 s3, 0
	s_delay_alu instid0(VALU_DEP_2)
	v_dual_mov_b32 v4, v2 :: v_dual_mov_b32 v3, v1
	.p2align	6
.LBB48_173:                             ; =>This Inner Loop Header: Depth=1
	scratch_load_b128 v[15:18], v9, off offset:-8
	ds_load_b128 v[19:22], v8
	v_add_nc_u32_e32 v7, 1, v7
	v_add_nc_u32_e32 v8, 16, v8
	;; [unrolled: 1-line block ×3, first 2 shown]
	s_delay_alu instid0(VALU_DEP_3) | instskip(SKIP_4) | instid1(VALU_DEP_2)
	v_cmp_lt_u32_e32 vcc_lo, 38, v7
	s_or_b32 s3, vcc_lo, s3
	s_waitcnt vmcnt(0) lgkmcnt(0)
	v_mul_f64 v[10:11], v[21:22], v[17:18]
	v_mul_f64 v[17:18], v[19:20], v[17:18]
	v_fma_f64 v[10:11], v[19:20], v[15:16], -v[10:11]
	s_delay_alu instid0(VALU_DEP_2) | instskip(NEXT) | instid1(VALU_DEP_2)
	v_fma_f64 v[15:16], v[21:22], v[15:16], v[17:18]
	v_add_f64 v[3:4], v[3:4], v[10:11]
	s_delay_alu instid0(VALU_DEP_2)
	v_add_f64 v[1:2], v[1:2], v[15:16]
	s_and_not1_b32 exec_lo, exec_lo, s3
	s_cbranch_execnz .LBB48_173
; %bb.174:
	s_or_b32 exec_lo, exec_lo, s3
	v_mov_b32_e32 v7, 0
	ds_load_b128 v[7:10], v7 offset:640
	s_waitcnt lgkmcnt(0)
	v_mul_f64 v[11:12], v[1:2], v[9:10]
	v_mul_f64 v[15:16], v[3:4], v[9:10]
	s_delay_alu instid0(VALU_DEP_2) | instskip(NEXT) | instid1(VALU_DEP_2)
	v_fma_f64 v[9:10], v[3:4], v[7:8], -v[11:12]
	v_fma_f64 v[11:12], v[1:2], v[7:8], v[15:16]
	scratch_store_b128 off, v[9:12], off offset:640
.LBB48_175:
	s_or_b32 exec_lo, exec_lo, s2
	s_waitcnt_vscnt null, 0x0
	s_barrier
	buffer_gl0_inv
	scratch_load_b128 v[1:4], v151, off
	s_mov_b32 s2, exec_lo
	s_waitcnt vmcnt(0)
	ds_store_b128 v5, v[1:4]
	s_waitcnt lgkmcnt(0)
	s_barrier
	buffer_gl0_inv
	v_cmpx_gt_u32_e32 41, v140
	s_cbranch_execz .LBB48_179
; %bb.176:
	v_dual_mov_b32 v1, 0 :: v_dual_add_nc_u32 v8, 0x310, v13
	v_dual_mov_b32 v2, 0 :: v_dual_add_nc_u32 v7, -1, v140
	v_or_b32_e32 v9, 8, v14
	s_mov_b32 s3, 0
	s_delay_alu instid0(VALU_DEP_2)
	v_dual_mov_b32 v4, v2 :: v_dual_mov_b32 v3, v1
	.p2align	6
.LBB48_177:                             ; =>This Inner Loop Header: Depth=1
	scratch_load_b128 v[15:18], v9, off offset:-8
	ds_load_b128 v[19:22], v8
	v_add_nc_u32_e32 v7, 1, v7
	v_add_nc_u32_e32 v8, 16, v8
	;; [unrolled: 1-line block ×3, first 2 shown]
	s_delay_alu instid0(VALU_DEP_3) | instskip(SKIP_4) | instid1(VALU_DEP_2)
	v_cmp_lt_u32_e32 vcc_lo, 39, v7
	s_or_b32 s3, vcc_lo, s3
	s_waitcnt vmcnt(0) lgkmcnt(0)
	v_mul_f64 v[10:11], v[21:22], v[17:18]
	v_mul_f64 v[17:18], v[19:20], v[17:18]
	v_fma_f64 v[10:11], v[19:20], v[15:16], -v[10:11]
	s_delay_alu instid0(VALU_DEP_2) | instskip(NEXT) | instid1(VALU_DEP_2)
	v_fma_f64 v[15:16], v[21:22], v[15:16], v[17:18]
	v_add_f64 v[3:4], v[3:4], v[10:11]
	s_delay_alu instid0(VALU_DEP_2)
	v_add_f64 v[1:2], v[1:2], v[15:16]
	s_and_not1_b32 exec_lo, exec_lo, s3
	s_cbranch_execnz .LBB48_177
; %bb.178:
	s_or_b32 exec_lo, exec_lo, s3
	v_mov_b32_e32 v7, 0
	ds_load_b128 v[7:10], v7 offset:656
	s_waitcnt lgkmcnt(0)
	v_mul_f64 v[11:12], v[1:2], v[9:10]
	v_mul_f64 v[15:16], v[3:4], v[9:10]
	s_delay_alu instid0(VALU_DEP_2) | instskip(NEXT) | instid1(VALU_DEP_2)
	v_fma_f64 v[9:10], v[3:4], v[7:8], -v[11:12]
	v_fma_f64 v[11:12], v[1:2], v[7:8], v[15:16]
	scratch_store_b128 off, v[9:12], off offset:656
.LBB48_179:
	s_or_b32 exec_lo, exec_lo, s2
	s_waitcnt_vscnt null, 0x0
	s_barrier
	buffer_gl0_inv
	scratch_load_b128 v[1:4], v150, off
	s_mov_b32 s2, exec_lo
	s_waitcnt vmcnt(0)
	ds_store_b128 v5, v[1:4]
	s_waitcnt lgkmcnt(0)
	s_barrier
	buffer_gl0_inv
	v_cmpx_gt_u32_e32 42, v140
	s_cbranch_execz .LBB48_183
; %bb.180:
	v_dual_mov_b32 v1, 0 :: v_dual_add_nc_u32 v8, 0x310, v13
	v_dual_mov_b32 v2, 0 :: v_dual_add_nc_u32 v7, -1, v140
	v_or_b32_e32 v9, 8, v14
	s_mov_b32 s3, 0
	s_delay_alu instid0(VALU_DEP_2)
	v_dual_mov_b32 v4, v2 :: v_dual_mov_b32 v3, v1
	.p2align	6
.LBB48_181:                             ; =>This Inner Loop Header: Depth=1
	scratch_load_b128 v[15:18], v9, off offset:-8
	ds_load_b128 v[19:22], v8
	v_add_nc_u32_e32 v7, 1, v7
	v_add_nc_u32_e32 v8, 16, v8
	v_add_nc_u32_e32 v9, 16, v9
	s_delay_alu instid0(VALU_DEP_3) | instskip(SKIP_4) | instid1(VALU_DEP_2)
	v_cmp_lt_u32_e32 vcc_lo, 40, v7
	s_or_b32 s3, vcc_lo, s3
	s_waitcnt vmcnt(0) lgkmcnt(0)
	v_mul_f64 v[10:11], v[21:22], v[17:18]
	v_mul_f64 v[17:18], v[19:20], v[17:18]
	v_fma_f64 v[10:11], v[19:20], v[15:16], -v[10:11]
	s_delay_alu instid0(VALU_DEP_2) | instskip(NEXT) | instid1(VALU_DEP_2)
	v_fma_f64 v[15:16], v[21:22], v[15:16], v[17:18]
	v_add_f64 v[3:4], v[3:4], v[10:11]
	s_delay_alu instid0(VALU_DEP_2)
	v_add_f64 v[1:2], v[1:2], v[15:16]
	s_and_not1_b32 exec_lo, exec_lo, s3
	s_cbranch_execnz .LBB48_181
; %bb.182:
	s_or_b32 exec_lo, exec_lo, s3
	v_mov_b32_e32 v7, 0
	ds_load_b128 v[7:10], v7 offset:672
	s_waitcnt lgkmcnt(0)
	v_mul_f64 v[11:12], v[1:2], v[9:10]
	v_mul_f64 v[15:16], v[3:4], v[9:10]
	s_delay_alu instid0(VALU_DEP_2) | instskip(NEXT) | instid1(VALU_DEP_2)
	v_fma_f64 v[9:10], v[3:4], v[7:8], -v[11:12]
	v_fma_f64 v[11:12], v[1:2], v[7:8], v[15:16]
	scratch_store_b128 off, v[9:12], off offset:672
.LBB48_183:
	s_or_b32 exec_lo, exec_lo, s2
	s_waitcnt_vscnt null, 0x0
	s_barrier
	buffer_gl0_inv
	scratch_load_b128 v[1:4], v147, off
	s_mov_b32 s2, exec_lo
	s_waitcnt vmcnt(0)
	ds_store_b128 v5, v[1:4]
	s_waitcnt lgkmcnt(0)
	s_barrier
	buffer_gl0_inv
	v_cmpx_gt_u32_e32 43, v140
	s_cbranch_execz .LBB48_187
; %bb.184:
	v_dual_mov_b32 v1, 0 :: v_dual_add_nc_u32 v8, 0x310, v13
	v_dual_mov_b32 v2, 0 :: v_dual_add_nc_u32 v7, -1, v140
	v_or_b32_e32 v9, 8, v14
	s_mov_b32 s3, 0
	s_delay_alu instid0(VALU_DEP_2)
	v_dual_mov_b32 v4, v2 :: v_dual_mov_b32 v3, v1
	.p2align	6
.LBB48_185:                             ; =>This Inner Loop Header: Depth=1
	scratch_load_b128 v[15:18], v9, off offset:-8
	ds_load_b128 v[19:22], v8
	v_add_nc_u32_e32 v7, 1, v7
	v_add_nc_u32_e32 v8, 16, v8
	;; [unrolled: 1-line block ×3, first 2 shown]
	s_delay_alu instid0(VALU_DEP_3) | instskip(SKIP_4) | instid1(VALU_DEP_2)
	v_cmp_lt_u32_e32 vcc_lo, 41, v7
	s_or_b32 s3, vcc_lo, s3
	s_waitcnt vmcnt(0) lgkmcnt(0)
	v_mul_f64 v[10:11], v[21:22], v[17:18]
	v_mul_f64 v[17:18], v[19:20], v[17:18]
	v_fma_f64 v[10:11], v[19:20], v[15:16], -v[10:11]
	s_delay_alu instid0(VALU_DEP_2) | instskip(NEXT) | instid1(VALU_DEP_2)
	v_fma_f64 v[15:16], v[21:22], v[15:16], v[17:18]
	v_add_f64 v[3:4], v[3:4], v[10:11]
	s_delay_alu instid0(VALU_DEP_2)
	v_add_f64 v[1:2], v[1:2], v[15:16]
	s_and_not1_b32 exec_lo, exec_lo, s3
	s_cbranch_execnz .LBB48_185
; %bb.186:
	s_or_b32 exec_lo, exec_lo, s3
	v_mov_b32_e32 v7, 0
	ds_load_b128 v[7:10], v7 offset:688
	s_waitcnt lgkmcnt(0)
	v_mul_f64 v[11:12], v[1:2], v[9:10]
	v_mul_f64 v[15:16], v[3:4], v[9:10]
	s_delay_alu instid0(VALU_DEP_2) | instskip(NEXT) | instid1(VALU_DEP_2)
	v_fma_f64 v[9:10], v[3:4], v[7:8], -v[11:12]
	v_fma_f64 v[11:12], v[1:2], v[7:8], v[15:16]
	scratch_store_b128 off, v[9:12], off offset:688
.LBB48_187:
	s_or_b32 exec_lo, exec_lo, s2
	s_waitcnt_vscnt null, 0x0
	s_barrier
	buffer_gl0_inv
	scratch_load_b128 v[1:4], v146, off
	s_mov_b32 s2, exec_lo
	s_waitcnt vmcnt(0)
	ds_store_b128 v5, v[1:4]
	s_waitcnt lgkmcnt(0)
	s_barrier
	buffer_gl0_inv
	v_cmpx_gt_u32_e32 44, v140
	s_cbranch_execz .LBB48_191
; %bb.188:
	v_dual_mov_b32 v1, 0 :: v_dual_add_nc_u32 v8, 0x310, v13
	v_dual_mov_b32 v2, 0 :: v_dual_add_nc_u32 v7, -1, v140
	v_or_b32_e32 v9, 8, v14
	s_mov_b32 s3, 0
	s_delay_alu instid0(VALU_DEP_2)
	v_dual_mov_b32 v4, v2 :: v_dual_mov_b32 v3, v1
	.p2align	6
.LBB48_189:                             ; =>This Inner Loop Header: Depth=1
	scratch_load_b128 v[15:18], v9, off offset:-8
	ds_load_b128 v[19:22], v8
	v_add_nc_u32_e32 v7, 1, v7
	v_add_nc_u32_e32 v8, 16, v8
	;; [unrolled: 1-line block ×3, first 2 shown]
	s_delay_alu instid0(VALU_DEP_3) | instskip(SKIP_4) | instid1(VALU_DEP_2)
	v_cmp_lt_u32_e32 vcc_lo, 42, v7
	s_or_b32 s3, vcc_lo, s3
	s_waitcnt vmcnt(0) lgkmcnt(0)
	v_mul_f64 v[10:11], v[21:22], v[17:18]
	v_mul_f64 v[17:18], v[19:20], v[17:18]
	v_fma_f64 v[10:11], v[19:20], v[15:16], -v[10:11]
	s_delay_alu instid0(VALU_DEP_2) | instskip(NEXT) | instid1(VALU_DEP_2)
	v_fma_f64 v[15:16], v[21:22], v[15:16], v[17:18]
	v_add_f64 v[3:4], v[3:4], v[10:11]
	s_delay_alu instid0(VALU_DEP_2)
	v_add_f64 v[1:2], v[1:2], v[15:16]
	s_and_not1_b32 exec_lo, exec_lo, s3
	s_cbranch_execnz .LBB48_189
; %bb.190:
	s_or_b32 exec_lo, exec_lo, s3
	v_mov_b32_e32 v7, 0
	ds_load_b128 v[7:10], v7 offset:704
	s_waitcnt lgkmcnt(0)
	v_mul_f64 v[11:12], v[1:2], v[9:10]
	v_mul_f64 v[15:16], v[3:4], v[9:10]
	s_delay_alu instid0(VALU_DEP_2) | instskip(NEXT) | instid1(VALU_DEP_2)
	v_fma_f64 v[9:10], v[3:4], v[7:8], -v[11:12]
	v_fma_f64 v[11:12], v[1:2], v[7:8], v[15:16]
	scratch_store_b128 off, v[9:12], off offset:704
.LBB48_191:
	s_or_b32 exec_lo, exec_lo, s2
	s_waitcnt_vscnt null, 0x0
	s_barrier
	buffer_gl0_inv
	scratch_load_b128 v[1:4], v145, off
	s_mov_b32 s2, exec_lo
	s_waitcnt vmcnt(0)
	ds_store_b128 v5, v[1:4]
	s_waitcnt lgkmcnt(0)
	s_barrier
	buffer_gl0_inv
	v_cmpx_gt_u32_e32 45, v140
	s_cbranch_execz .LBB48_195
; %bb.192:
	v_dual_mov_b32 v1, 0 :: v_dual_add_nc_u32 v8, 0x310, v13
	v_dual_mov_b32 v2, 0 :: v_dual_add_nc_u32 v7, -1, v140
	v_or_b32_e32 v9, 8, v14
	s_mov_b32 s3, 0
	s_delay_alu instid0(VALU_DEP_2)
	v_dual_mov_b32 v4, v2 :: v_dual_mov_b32 v3, v1
	.p2align	6
.LBB48_193:                             ; =>This Inner Loop Header: Depth=1
	scratch_load_b128 v[15:18], v9, off offset:-8
	ds_load_b128 v[19:22], v8
	v_add_nc_u32_e32 v7, 1, v7
	v_add_nc_u32_e32 v8, 16, v8
	;; [unrolled: 1-line block ×3, first 2 shown]
	s_delay_alu instid0(VALU_DEP_3) | instskip(SKIP_4) | instid1(VALU_DEP_2)
	v_cmp_lt_u32_e32 vcc_lo, 43, v7
	s_or_b32 s3, vcc_lo, s3
	s_waitcnt vmcnt(0) lgkmcnt(0)
	v_mul_f64 v[10:11], v[21:22], v[17:18]
	v_mul_f64 v[17:18], v[19:20], v[17:18]
	v_fma_f64 v[10:11], v[19:20], v[15:16], -v[10:11]
	s_delay_alu instid0(VALU_DEP_2) | instskip(NEXT) | instid1(VALU_DEP_2)
	v_fma_f64 v[15:16], v[21:22], v[15:16], v[17:18]
	v_add_f64 v[3:4], v[3:4], v[10:11]
	s_delay_alu instid0(VALU_DEP_2)
	v_add_f64 v[1:2], v[1:2], v[15:16]
	s_and_not1_b32 exec_lo, exec_lo, s3
	s_cbranch_execnz .LBB48_193
; %bb.194:
	s_or_b32 exec_lo, exec_lo, s3
	v_mov_b32_e32 v7, 0
	ds_load_b128 v[7:10], v7 offset:720
	s_waitcnt lgkmcnt(0)
	v_mul_f64 v[11:12], v[1:2], v[9:10]
	v_mul_f64 v[15:16], v[3:4], v[9:10]
	s_delay_alu instid0(VALU_DEP_2) | instskip(NEXT) | instid1(VALU_DEP_2)
	v_fma_f64 v[9:10], v[3:4], v[7:8], -v[11:12]
	v_fma_f64 v[11:12], v[1:2], v[7:8], v[15:16]
	scratch_store_b128 off, v[9:12], off offset:720
.LBB48_195:
	s_or_b32 exec_lo, exec_lo, s2
	s_waitcnt_vscnt null, 0x0
	s_barrier
	buffer_gl0_inv
	scratch_load_b128 v[1:4], v144, off
	s_mov_b32 s2, exec_lo
	s_waitcnt vmcnt(0)
	ds_store_b128 v5, v[1:4]
	s_waitcnt lgkmcnt(0)
	s_barrier
	buffer_gl0_inv
	v_cmpx_gt_u32_e32 46, v140
	s_cbranch_execz .LBB48_199
; %bb.196:
	v_dual_mov_b32 v1, 0 :: v_dual_add_nc_u32 v8, 0x310, v13
	v_dual_mov_b32 v2, 0 :: v_dual_add_nc_u32 v7, -1, v140
	v_or_b32_e32 v9, 8, v14
	s_mov_b32 s3, 0
	s_delay_alu instid0(VALU_DEP_2)
	v_dual_mov_b32 v4, v2 :: v_dual_mov_b32 v3, v1
	.p2align	6
.LBB48_197:                             ; =>This Inner Loop Header: Depth=1
	scratch_load_b128 v[15:18], v9, off offset:-8
	ds_load_b128 v[19:22], v8
	v_add_nc_u32_e32 v7, 1, v7
	v_add_nc_u32_e32 v8, 16, v8
	;; [unrolled: 1-line block ×3, first 2 shown]
	s_delay_alu instid0(VALU_DEP_3) | instskip(SKIP_4) | instid1(VALU_DEP_2)
	v_cmp_lt_u32_e32 vcc_lo, 44, v7
	s_or_b32 s3, vcc_lo, s3
	s_waitcnt vmcnt(0) lgkmcnt(0)
	v_mul_f64 v[10:11], v[21:22], v[17:18]
	v_mul_f64 v[17:18], v[19:20], v[17:18]
	v_fma_f64 v[10:11], v[19:20], v[15:16], -v[10:11]
	s_delay_alu instid0(VALU_DEP_2) | instskip(NEXT) | instid1(VALU_DEP_2)
	v_fma_f64 v[15:16], v[21:22], v[15:16], v[17:18]
	v_add_f64 v[3:4], v[3:4], v[10:11]
	s_delay_alu instid0(VALU_DEP_2)
	v_add_f64 v[1:2], v[1:2], v[15:16]
	s_and_not1_b32 exec_lo, exec_lo, s3
	s_cbranch_execnz .LBB48_197
; %bb.198:
	s_or_b32 exec_lo, exec_lo, s3
	v_mov_b32_e32 v7, 0
	ds_load_b128 v[7:10], v7 offset:736
	s_waitcnt lgkmcnt(0)
	v_mul_f64 v[11:12], v[1:2], v[9:10]
	v_mul_f64 v[15:16], v[3:4], v[9:10]
	s_delay_alu instid0(VALU_DEP_2) | instskip(NEXT) | instid1(VALU_DEP_2)
	v_fma_f64 v[9:10], v[3:4], v[7:8], -v[11:12]
	v_fma_f64 v[11:12], v[1:2], v[7:8], v[15:16]
	scratch_store_b128 off, v[9:12], off offset:736
.LBB48_199:
	s_or_b32 exec_lo, exec_lo, s2
	s_waitcnt_vscnt null, 0x0
	s_barrier
	buffer_gl0_inv
	scratch_load_b128 v[1:4], v143, off
	s_mov_b32 s2, exec_lo
	s_waitcnt vmcnt(0)
	ds_store_b128 v5, v[1:4]
	s_waitcnt lgkmcnt(0)
	s_barrier
	buffer_gl0_inv
	v_cmpx_gt_u32_e32 47, v140
	s_cbranch_execz .LBB48_203
; %bb.200:
	v_dual_mov_b32 v1, 0 :: v_dual_add_nc_u32 v8, 0x310, v13
	v_dual_mov_b32 v2, 0 :: v_dual_add_nc_u32 v7, -1, v140
	v_or_b32_e32 v9, 8, v14
	s_mov_b32 s3, 0
	s_delay_alu instid0(VALU_DEP_2)
	v_dual_mov_b32 v4, v2 :: v_dual_mov_b32 v3, v1
	.p2align	6
.LBB48_201:                             ; =>This Inner Loop Header: Depth=1
	scratch_load_b128 v[10:13], v9, off offset:-8
	ds_load_b128 v[15:18], v8
	v_add_nc_u32_e32 v7, 1, v7
	v_add_nc_u32_e32 v8, 16, v8
	;; [unrolled: 1-line block ×3, first 2 shown]
	s_delay_alu instid0(VALU_DEP_3) | instskip(SKIP_4) | instid1(VALU_DEP_2)
	v_cmp_lt_u32_e32 vcc_lo, 45, v7
	s_or_b32 s3, vcc_lo, s3
	s_waitcnt vmcnt(0) lgkmcnt(0)
	v_mul_f64 v[19:20], v[17:18], v[12:13]
	v_mul_f64 v[12:13], v[15:16], v[12:13]
	v_fma_f64 v[15:16], v[15:16], v[10:11], -v[19:20]
	s_delay_alu instid0(VALU_DEP_2) | instskip(NEXT) | instid1(VALU_DEP_2)
	v_fma_f64 v[10:11], v[17:18], v[10:11], v[12:13]
	v_add_f64 v[3:4], v[3:4], v[15:16]
	s_delay_alu instid0(VALU_DEP_2)
	v_add_f64 v[1:2], v[1:2], v[10:11]
	s_and_not1_b32 exec_lo, exec_lo, s3
	s_cbranch_execnz .LBB48_201
; %bb.202:
	s_or_b32 exec_lo, exec_lo, s3
	v_mov_b32_e32 v7, 0
	ds_load_b128 v[7:10], v7 offset:752
	s_waitcnt lgkmcnt(0)
	v_mul_f64 v[11:12], v[1:2], v[9:10]
	v_mul_f64 v[15:16], v[3:4], v[9:10]
	s_delay_alu instid0(VALU_DEP_2) | instskip(NEXT) | instid1(VALU_DEP_2)
	v_fma_f64 v[9:10], v[3:4], v[7:8], -v[11:12]
	v_fma_f64 v[11:12], v[1:2], v[7:8], v[15:16]
	scratch_store_b128 off, v[9:12], off offset:752
.LBB48_203:
	s_or_b32 exec_lo, exec_lo, s2
	s_waitcnt_vscnt null, 0x0
	s_barrier
	buffer_gl0_inv
	scratch_load_b128 v[1:4], v142, off
	s_mov_b32 s2, exec_lo
	s_waitcnt vmcnt(0)
	ds_store_b128 v5, v[1:4]
	s_waitcnt lgkmcnt(0)
	s_barrier
	buffer_gl0_inv
	v_cmpx_ne_u32_e32 48, v140
	s_cbranch_execz .LBB48_207
; %bb.204:
	v_mov_b32_e32 v1, 0
	v_mov_b32_e32 v2, 0
	v_or_b32_e32 v7, 8, v14
	s_mov_b32 s3, 0
	s_delay_alu instid0(VALU_DEP_2)
	v_dual_mov_b32 v4, v2 :: v_dual_mov_b32 v3, v1
	.p2align	6
.LBB48_205:                             ; =>This Inner Loop Header: Depth=1
	scratch_load_b128 v[8:11], v7, off offset:-8
	ds_load_b128 v[12:15], v5
	v_add_nc_u32_e32 v6, 1, v6
	v_add_nc_u32_e32 v5, 16, v5
	;; [unrolled: 1-line block ×3, first 2 shown]
	s_delay_alu instid0(VALU_DEP_3) | instskip(SKIP_4) | instid1(VALU_DEP_2)
	v_cmp_lt_u32_e32 vcc_lo, 46, v6
	s_or_b32 s3, vcc_lo, s3
	s_waitcnt vmcnt(0) lgkmcnt(0)
	v_mul_f64 v[16:17], v[14:15], v[10:11]
	v_mul_f64 v[10:11], v[12:13], v[10:11]
	v_fma_f64 v[12:13], v[12:13], v[8:9], -v[16:17]
	s_delay_alu instid0(VALU_DEP_2) | instskip(NEXT) | instid1(VALU_DEP_2)
	v_fma_f64 v[8:9], v[14:15], v[8:9], v[10:11]
	v_add_f64 v[3:4], v[3:4], v[12:13]
	s_delay_alu instid0(VALU_DEP_2)
	v_add_f64 v[1:2], v[1:2], v[8:9]
	s_and_not1_b32 exec_lo, exec_lo, s3
	s_cbranch_execnz .LBB48_205
; %bb.206:
	s_or_b32 exec_lo, exec_lo, s3
	v_mov_b32_e32 v5, 0
	ds_load_b128 v[5:8], v5 offset:768
	s_waitcnt lgkmcnt(0)
	v_mul_f64 v[9:10], v[1:2], v[7:8]
	v_mul_f64 v[7:8], v[3:4], v[7:8]
	s_delay_alu instid0(VALU_DEP_2) | instskip(NEXT) | instid1(VALU_DEP_2)
	v_fma_f64 v[3:4], v[3:4], v[5:6], -v[9:10]
	v_fma_f64 v[5:6], v[1:2], v[5:6], v[7:8]
	scratch_store_b128 off, v[3:6], off offset:768
.LBB48_207:
	s_or_b32 exec_lo, exec_lo, s2
	s_mov_b32 s3, -1
	s_waitcnt_vscnt null, 0x0
	s_barrier
	buffer_gl0_inv
.LBB48_208:
	s_and_b32 vcc_lo, exec_lo, s3
	s_cbranch_vccz .LBB48_210
; %bb.209:
	s_lshl_b64 s[2:3], s[18:19], 2
	v_mov_b32_e32 v1, 0
	s_add_u32 s2, s6, s2
	s_addc_u32 s3, s7, s3
	global_load_b32 v1, v1, s[2:3]
	s_waitcnt vmcnt(0)
	v_cmp_ne_u32_e32 vcc_lo, 0, v1
	s_cbranch_vccz .LBB48_211
.LBB48_210:
	s_endpgm
.LBB48_211:
	v_lshl_add_u32 v189, v140, 4, 0x310
	s_mov_b32 s2, exec_lo
	v_cmpx_eq_u32_e32 48, v140
	s_cbranch_execz .LBB48_213
; %bb.212:
	scratch_load_b128 v[1:4], v143, off
	v_mov_b32_e32 v5, 0
	s_delay_alu instid0(VALU_DEP_1)
	v_mov_b32_e32 v6, v5
	v_mov_b32_e32 v7, v5
	;; [unrolled: 1-line block ×3, first 2 shown]
	scratch_store_b128 off, v[5:8], off offset:752
	s_waitcnt vmcnt(0)
	ds_store_b128 v189, v[1:4]
.LBB48_213:
	s_or_b32 exec_lo, exec_lo, s2
	s_waitcnt lgkmcnt(0)
	s_waitcnt_vscnt null, 0x0
	s_barrier
	buffer_gl0_inv
	s_clause 0x1
	scratch_load_b128 v[2:5], off, off offset:768
	scratch_load_b128 v[6:9], off, off offset:752
	v_mov_b32_e32 v1, 0
	s_mov_b32 s2, exec_lo
	ds_load_b128 v[10:13], v1 offset:1552
	s_waitcnt vmcnt(1) lgkmcnt(0)
	v_mul_f64 v[14:15], v[12:13], v[4:5]
	v_mul_f64 v[4:5], v[10:11], v[4:5]
	s_delay_alu instid0(VALU_DEP_2) | instskip(NEXT) | instid1(VALU_DEP_2)
	v_fma_f64 v[10:11], v[10:11], v[2:3], -v[14:15]
	v_fma_f64 v[2:3], v[12:13], v[2:3], v[4:5]
	s_delay_alu instid0(VALU_DEP_2) | instskip(NEXT) | instid1(VALU_DEP_2)
	v_add_f64 v[4:5], v[10:11], 0
	v_add_f64 v[10:11], v[2:3], 0
	s_waitcnt vmcnt(0)
	s_delay_alu instid0(VALU_DEP_2) | instskip(NEXT) | instid1(VALU_DEP_2)
	v_add_f64 v[2:3], v[6:7], -v[4:5]
	v_add_f64 v[4:5], v[8:9], -v[10:11]
	scratch_store_b128 off, v[2:5], off offset:752
	v_cmpx_lt_u32_e32 46, v140
	s_cbranch_execz .LBB48_215
; %bb.214:
	scratch_load_b128 v[5:8], v144, off
	v_mov_b32_e32 v2, v1
	v_mov_b32_e32 v3, v1
	v_mov_b32_e32 v4, v1
	scratch_store_b128 off, v[1:4], off offset:736
	s_waitcnt vmcnt(0)
	ds_store_b128 v189, v[5:8]
.LBB48_215:
	s_or_b32 exec_lo, exec_lo, s2
	s_waitcnt lgkmcnt(0)
	s_waitcnt_vscnt null, 0x0
	s_barrier
	buffer_gl0_inv
	s_clause 0x2
	scratch_load_b128 v[2:5], off, off offset:752
	scratch_load_b128 v[6:9], off, off offset:768
	;; [unrolled: 1-line block ×3, first 2 shown]
	ds_load_b128 v[14:17], v1 offset:1536
	ds_load_b128 v[18:21], v1 offset:1552
	s_mov_b32 s2, exec_lo
	s_waitcnt vmcnt(2) lgkmcnt(1)
	v_mul_f64 v[22:23], v[16:17], v[4:5]
	v_mul_f64 v[4:5], v[14:15], v[4:5]
	s_waitcnt vmcnt(1) lgkmcnt(0)
	v_mul_f64 v[24:25], v[18:19], v[8:9]
	v_mul_f64 v[8:9], v[20:21], v[8:9]
	s_delay_alu instid0(VALU_DEP_4) | instskip(NEXT) | instid1(VALU_DEP_4)
	v_fma_f64 v[14:15], v[14:15], v[2:3], -v[22:23]
	v_fma_f64 v[1:2], v[16:17], v[2:3], v[4:5]
	s_delay_alu instid0(VALU_DEP_4) | instskip(NEXT) | instid1(VALU_DEP_4)
	v_fma_f64 v[3:4], v[20:21], v[6:7], v[24:25]
	v_fma_f64 v[5:6], v[18:19], v[6:7], -v[8:9]
	s_delay_alu instid0(VALU_DEP_4) | instskip(NEXT) | instid1(VALU_DEP_4)
	v_add_f64 v[7:8], v[14:15], 0
	v_add_f64 v[1:2], v[1:2], 0
	s_delay_alu instid0(VALU_DEP_2) | instskip(NEXT) | instid1(VALU_DEP_2)
	v_add_f64 v[5:6], v[7:8], v[5:6]
	v_add_f64 v[3:4], v[1:2], v[3:4]
	s_waitcnt vmcnt(0)
	s_delay_alu instid0(VALU_DEP_2) | instskip(NEXT) | instid1(VALU_DEP_2)
	v_add_f64 v[1:2], v[10:11], -v[5:6]
	v_add_f64 v[3:4], v[12:13], -v[3:4]
	scratch_store_b128 off, v[1:4], off offset:736
	v_cmpx_lt_u32_e32 45, v140
	s_cbranch_execz .LBB48_217
; %bb.216:
	scratch_load_b128 v[1:4], v145, off
	v_mov_b32_e32 v5, 0
	s_delay_alu instid0(VALU_DEP_1)
	v_mov_b32_e32 v6, v5
	v_mov_b32_e32 v7, v5
	;; [unrolled: 1-line block ×3, first 2 shown]
	scratch_store_b128 off, v[5:8], off offset:720
	s_waitcnt vmcnt(0)
	ds_store_b128 v189, v[1:4]
.LBB48_217:
	s_or_b32 exec_lo, exec_lo, s2
	s_waitcnt lgkmcnt(0)
	s_waitcnt_vscnt null, 0x0
	s_barrier
	buffer_gl0_inv
	s_clause 0x3
	scratch_load_b128 v[2:5], off, off offset:736
	scratch_load_b128 v[6:9], off, off offset:752
	;; [unrolled: 1-line block ×4, first 2 shown]
	v_mov_b32_e32 v1, 0
	ds_load_b128 v[18:21], v1 offset:1520
	ds_load_b128 v[22:25], v1 offset:1536
	s_mov_b32 s2, exec_lo
	s_waitcnt vmcnt(3) lgkmcnt(1)
	v_mul_f64 v[26:27], v[20:21], v[4:5]
	v_mul_f64 v[4:5], v[18:19], v[4:5]
	s_waitcnt vmcnt(2) lgkmcnt(0)
	v_mul_f64 v[28:29], v[22:23], v[8:9]
	v_mul_f64 v[8:9], v[24:25], v[8:9]
	s_delay_alu instid0(VALU_DEP_4) | instskip(NEXT) | instid1(VALU_DEP_4)
	v_fma_f64 v[18:19], v[18:19], v[2:3], -v[26:27]
	v_fma_f64 v[20:21], v[20:21], v[2:3], v[4:5]
	ds_load_b128 v[2:5], v1 offset:1552
	v_fma_f64 v[24:25], v[24:25], v[6:7], v[28:29]
	v_fma_f64 v[6:7], v[22:23], v[6:7], -v[8:9]
	s_waitcnt vmcnt(1) lgkmcnt(0)
	v_mul_f64 v[26:27], v[2:3], v[12:13]
	v_mul_f64 v[12:13], v[4:5], v[12:13]
	v_add_f64 v[8:9], v[18:19], 0
	v_add_f64 v[18:19], v[20:21], 0
	s_delay_alu instid0(VALU_DEP_4) | instskip(NEXT) | instid1(VALU_DEP_4)
	v_fma_f64 v[4:5], v[4:5], v[10:11], v[26:27]
	v_fma_f64 v[2:3], v[2:3], v[10:11], -v[12:13]
	s_delay_alu instid0(VALU_DEP_4) | instskip(NEXT) | instid1(VALU_DEP_4)
	v_add_f64 v[6:7], v[8:9], v[6:7]
	v_add_f64 v[8:9], v[18:19], v[24:25]
	s_delay_alu instid0(VALU_DEP_2) | instskip(NEXT) | instid1(VALU_DEP_2)
	v_add_f64 v[2:3], v[6:7], v[2:3]
	v_add_f64 v[4:5], v[8:9], v[4:5]
	s_waitcnt vmcnt(0)
	s_delay_alu instid0(VALU_DEP_2) | instskip(NEXT) | instid1(VALU_DEP_2)
	v_add_f64 v[2:3], v[14:15], -v[2:3]
	v_add_f64 v[4:5], v[16:17], -v[4:5]
	scratch_store_b128 off, v[2:5], off offset:720
	v_cmpx_lt_u32_e32 44, v140
	s_cbranch_execz .LBB48_219
; %bb.218:
	scratch_load_b128 v[5:8], v146, off
	v_mov_b32_e32 v2, v1
	v_mov_b32_e32 v3, v1
	v_mov_b32_e32 v4, v1
	scratch_store_b128 off, v[1:4], off offset:704
	s_waitcnt vmcnt(0)
	ds_store_b128 v189, v[5:8]
.LBB48_219:
	s_or_b32 exec_lo, exec_lo, s2
	s_waitcnt lgkmcnt(0)
	s_waitcnt_vscnt null, 0x0
	s_barrier
	buffer_gl0_inv
	s_clause 0x4
	scratch_load_b128 v[2:5], off, off offset:720
	scratch_load_b128 v[6:9], off, off offset:736
	;; [unrolled: 1-line block ×5, first 2 shown]
	ds_load_b128 v[22:25], v1 offset:1504
	ds_load_b128 v[26:29], v1 offset:1520
	s_mov_b32 s2, exec_lo
	s_waitcnt vmcnt(4) lgkmcnt(1)
	v_mul_f64 v[30:31], v[24:25], v[4:5]
	v_mul_f64 v[4:5], v[22:23], v[4:5]
	s_waitcnt vmcnt(3) lgkmcnt(0)
	v_mul_f64 v[32:33], v[26:27], v[8:9]
	v_mul_f64 v[8:9], v[28:29], v[8:9]
	s_delay_alu instid0(VALU_DEP_4) | instskip(NEXT) | instid1(VALU_DEP_4)
	v_fma_f64 v[30:31], v[22:23], v[2:3], -v[30:31]
	v_fma_f64 v[34:35], v[24:25], v[2:3], v[4:5]
	ds_load_b128 v[2:5], v1 offset:1536
	ds_load_b128 v[22:25], v1 offset:1552
	v_fma_f64 v[28:29], v[28:29], v[6:7], v[32:33]
	v_fma_f64 v[6:7], v[26:27], v[6:7], -v[8:9]
	s_waitcnt vmcnt(2) lgkmcnt(1)
	v_mul_f64 v[36:37], v[2:3], v[12:13]
	v_mul_f64 v[12:13], v[4:5], v[12:13]
	v_add_f64 v[8:9], v[30:31], 0
	v_add_f64 v[26:27], v[34:35], 0
	s_waitcnt vmcnt(1) lgkmcnt(0)
	v_mul_f64 v[30:31], v[22:23], v[16:17]
	v_mul_f64 v[16:17], v[24:25], v[16:17]
	v_fma_f64 v[4:5], v[4:5], v[10:11], v[36:37]
	v_fma_f64 v[1:2], v[2:3], v[10:11], -v[12:13]
	v_add_f64 v[6:7], v[8:9], v[6:7]
	v_add_f64 v[8:9], v[26:27], v[28:29]
	v_fma_f64 v[10:11], v[24:25], v[14:15], v[30:31]
	v_fma_f64 v[12:13], v[22:23], v[14:15], -v[16:17]
	s_delay_alu instid0(VALU_DEP_4) | instskip(NEXT) | instid1(VALU_DEP_4)
	v_add_f64 v[1:2], v[6:7], v[1:2]
	v_add_f64 v[3:4], v[8:9], v[4:5]
	s_delay_alu instid0(VALU_DEP_2) | instskip(NEXT) | instid1(VALU_DEP_2)
	v_add_f64 v[1:2], v[1:2], v[12:13]
	v_add_f64 v[3:4], v[3:4], v[10:11]
	s_waitcnt vmcnt(0)
	s_delay_alu instid0(VALU_DEP_2) | instskip(NEXT) | instid1(VALU_DEP_2)
	v_add_f64 v[1:2], v[18:19], -v[1:2]
	v_add_f64 v[3:4], v[20:21], -v[3:4]
	scratch_store_b128 off, v[1:4], off offset:704
	v_cmpx_lt_u32_e32 43, v140
	s_cbranch_execz .LBB48_221
; %bb.220:
	scratch_load_b128 v[1:4], v147, off
	v_mov_b32_e32 v5, 0
	s_delay_alu instid0(VALU_DEP_1)
	v_mov_b32_e32 v6, v5
	v_mov_b32_e32 v7, v5
	;; [unrolled: 1-line block ×3, first 2 shown]
	scratch_store_b128 off, v[5:8], off offset:688
	s_waitcnt vmcnt(0)
	ds_store_b128 v189, v[1:4]
.LBB48_221:
	s_or_b32 exec_lo, exec_lo, s2
	s_waitcnt lgkmcnt(0)
	s_waitcnt_vscnt null, 0x0
	s_barrier
	buffer_gl0_inv
	s_clause 0x5
	scratch_load_b128 v[2:5], off, off offset:704
	scratch_load_b128 v[6:9], off, off offset:720
	;; [unrolled: 1-line block ×6, first 2 shown]
	v_mov_b32_e32 v1, 0
	ds_load_b128 v[26:29], v1 offset:1488
	ds_load_b128 v[30:33], v1 offset:1504
	s_mov_b32 s2, exec_lo
	s_waitcnt vmcnt(5) lgkmcnt(1)
	v_mul_f64 v[34:35], v[28:29], v[4:5]
	v_mul_f64 v[4:5], v[26:27], v[4:5]
	s_waitcnt vmcnt(4) lgkmcnt(0)
	v_mul_f64 v[36:37], v[30:31], v[8:9]
	v_mul_f64 v[8:9], v[32:33], v[8:9]
	s_delay_alu instid0(VALU_DEP_4) | instskip(NEXT) | instid1(VALU_DEP_4)
	v_fma_f64 v[34:35], v[26:27], v[2:3], -v[34:35]
	v_fma_f64 v[38:39], v[28:29], v[2:3], v[4:5]
	ds_load_b128 v[2:5], v1 offset:1520
	ds_load_b128 v[26:29], v1 offset:1536
	v_fma_f64 v[32:33], v[32:33], v[6:7], v[36:37]
	v_fma_f64 v[6:7], v[30:31], v[6:7], -v[8:9]
	s_waitcnt vmcnt(3) lgkmcnt(1)
	v_mul_f64 v[40:41], v[2:3], v[12:13]
	v_mul_f64 v[12:13], v[4:5], v[12:13]
	v_add_f64 v[8:9], v[34:35], 0
	v_add_f64 v[30:31], v[38:39], 0
	s_waitcnt vmcnt(2) lgkmcnt(0)
	v_mul_f64 v[34:35], v[26:27], v[16:17]
	v_mul_f64 v[16:17], v[28:29], v[16:17]
	v_fma_f64 v[36:37], v[4:5], v[10:11], v[40:41]
	v_fma_f64 v[10:11], v[2:3], v[10:11], -v[12:13]
	ds_load_b128 v[2:5], v1 offset:1552
	v_add_f64 v[6:7], v[8:9], v[6:7]
	v_add_f64 v[8:9], v[30:31], v[32:33]
	v_fma_f64 v[28:29], v[28:29], v[14:15], v[34:35]
	v_fma_f64 v[14:15], v[26:27], v[14:15], -v[16:17]
	s_waitcnt vmcnt(1) lgkmcnt(0)
	v_mul_f64 v[12:13], v[2:3], v[20:21]
	v_mul_f64 v[20:21], v[4:5], v[20:21]
	v_add_f64 v[6:7], v[6:7], v[10:11]
	v_add_f64 v[8:9], v[8:9], v[36:37]
	s_delay_alu instid0(VALU_DEP_4) | instskip(NEXT) | instid1(VALU_DEP_4)
	v_fma_f64 v[4:5], v[4:5], v[18:19], v[12:13]
	v_fma_f64 v[2:3], v[2:3], v[18:19], -v[20:21]
	s_delay_alu instid0(VALU_DEP_4) | instskip(NEXT) | instid1(VALU_DEP_4)
	v_add_f64 v[6:7], v[6:7], v[14:15]
	v_add_f64 v[8:9], v[8:9], v[28:29]
	s_delay_alu instid0(VALU_DEP_2) | instskip(NEXT) | instid1(VALU_DEP_2)
	v_add_f64 v[2:3], v[6:7], v[2:3]
	v_add_f64 v[4:5], v[8:9], v[4:5]
	s_waitcnt vmcnt(0)
	s_delay_alu instid0(VALU_DEP_2) | instskip(NEXT) | instid1(VALU_DEP_2)
	v_add_f64 v[2:3], v[22:23], -v[2:3]
	v_add_f64 v[4:5], v[24:25], -v[4:5]
	scratch_store_b128 off, v[2:5], off offset:688
	v_cmpx_lt_u32_e32 42, v140
	s_cbranch_execz .LBB48_223
; %bb.222:
	scratch_load_b128 v[5:8], v150, off
	v_mov_b32_e32 v2, v1
	v_mov_b32_e32 v3, v1
	;; [unrolled: 1-line block ×3, first 2 shown]
	scratch_store_b128 off, v[1:4], off offset:672
	s_waitcnt vmcnt(0)
	ds_store_b128 v189, v[5:8]
.LBB48_223:
	s_or_b32 exec_lo, exec_lo, s2
	s_waitcnt lgkmcnt(0)
	s_waitcnt_vscnt null, 0x0
	s_barrier
	buffer_gl0_inv
	s_clause 0x5
	scratch_load_b128 v[2:5], off, off offset:688
	scratch_load_b128 v[6:9], off, off offset:704
	;; [unrolled: 1-line block ×6, first 2 shown]
	ds_load_b128 v[26:29], v1 offset:1472
	ds_load_b128 v[34:37], v1 offset:1488
	scratch_load_b128 v[30:33], off, off offset:672
	s_mov_b32 s2, exec_lo
	s_waitcnt vmcnt(6) lgkmcnt(1)
	v_mul_f64 v[38:39], v[28:29], v[4:5]
	v_mul_f64 v[4:5], v[26:27], v[4:5]
	s_waitcnt vmcnt(5) lgkmcnt(0)
	v_mul_f64 v[40:41], v[34:35], v[8:9]
	v_mul_f64 v[8:9], v[36:37], v[8:9]
	s_delay_alu instid0(VALU_DEP_4) | instskip(NEXT) | instid1(VALU_DEP_4)
	v_fma_f64 v[38:39], v[26:27], v[2:3], -v[38:39]
	v_fma_f64 v[190:191], v[28:29], v[2:3], v[4:5]
	ds_load_b128 v[2:5], v1 offset:1504
	ds_load_b128 v[26:29], v1 offset:1520
	v_fma_f64 v[36:37], v[36:37], v[6:7], v[40:41]
	v_fma_f64 v[6:7], v[34:35], v[6:7], -v[8:9]
	s_waitcnt vmcnt(4) lgkmcnt(1)
	v_mul_f64 v[192:193], v[2:3], v[12:13]
	v_mul_f64 v[12:13], v[4:5], v[12:13]
	v_add_f64 v[8:9], v[38:39], 0
	v_add_f64 v[34:35], v[190:191], 0
	s_waitcnt vmcnt(3) lgkmcnt(0)
	v_mul_f64 v[38:39], v[26:27], v[16:17]
	v_mul_f64 v[16:17], v[28:29], v[16:17]
	v_fma_f64 v[40:41], v[4:5], v[10:11], v[192:193]
	v_fma_f64 v[10:11], v[2:3], v[10:11], -v[12:13]
	v_add_f64 v[12:13], v[8:9], v[6:7]
	v_add_f64 v[34:35], v[34:35], v[36:37]
	ds_load_b128 v[2:5], v1 offset:1536
	ds_load_b128 v[6:9], v1 offset:1552
	v_fma_f64 v[28:29], v[28:29], v[14:15], v[38:39]
	v_fma_f64 v[14:15], v[26:27], v[14:15], -v[16:17]
	s_waitcnt vmcnt(2) lgkmcnt(1)
	v_mul_f64 v[36:37], v[2:3], v[20:21]
	v_mul_f64 v[20:21], v[4:5], v[20:21]
	s_waitcnt vmcnt(1) lgkmcnt(0)
	v_mul_f64 v[16:17], v[6:7], v[24:25]
	v_mul_f64 v[24:25], v[8:9], v[24:25]
	v_add_f64 v[10:11], v[12:13], v[10:11]
	v_add_f64 v[12:13], v[34:35], v[40:41]
	v_fma_f64 v[4:5], v[4:5], v[18:19], v[36:37]
	v_fma_f64 v[1:2], v[2:3], v[18:19], -v[20:21]
	v_fma_f64 v[8:9], v[8:9], v[22:23], v[16:17]
	v_fma_f64 v[6:7], v[6:7], v[22:23], -v[24:25]
	v_add_f64 v[10:11], v[10:11], v[14:15]
	v_add_f64 v[12:13], v[12:13], v[28:29]
	s_delay_alu instid0(VALU_DEP_2) | instskip(NEXT) | instid1(VALU_DEP_2)
	v_add_f64 v[1:2], v[10:11], v[1:2]
	v_add_f64 v[3:4], v[12:13], v[4:5]
	s_delay_alu instid0(VALU_DEP_2) | instskip(NEXT) | instid1(VALU_DEP_2)
	v_add_f64 v[1:2], v[1:2], v[6:7]
	v_add_f64 v[3:4], v[3:4], v[8:9]
	s_waitcnt vmcnt(0)
	s_delay_alu instid0(VALU_DEP_2) | instskip(NEXT) | instid1(VALU_DEP_2)
	v_add_f64 v[1:2], v[30:31], -v[1:2]
	v_add_f64 v[3:4], v[32:33], -v[3:4]
	scratch_store_b128 off, v[1:4], off offset:672
	v_cmpx_lt_u32_e32 41, v140
	s_cbranch_execz .LBB48_225
; %bb.224:
	scratch_load_b128 v[1:4], v151, off
	v_mov_b32_e32 v5, 0
	s_delay_alu instid0(VALU_DEP_1)
	v_mov_b32_e32 v6, v5
	v_mov_b32_e32 v7, v5
	;; [unrolled: 1-line block ×3, first 2 shown]
	scratch_store_b128 off, v[5:8], off offset:656
	s_waitcnt vmcnt(0)
	ds_store_b128 v189, v[1:4]
.LBB48_225:
	s_or_b32 exec_lo, exec_lo, s2
	s_waitcnt lgkmcnt(0)
	s_waitcnt_vscnt null, 0x0
	s_barrier
	buffer_gl0_inv
	s_clause 0x6
	scratch_load_b128 v[2:5], off, off offset:672
	scratch_load_b128 v[6:9], off, off offset:688
	;; [unrolled: 1-line block ×7, first 2 shown]
	v_mov_b32_e32 v1, 0
	scratch_load_b128 v[34:37], off, off offset:656
	s_mov_b32 s2, exec_lo
	ds_load_b128 v[30:33], v1 offset:1456
	ds_load_b128 v[38:41], v1 offset:1472
	s_waitcnt vmcnt(7) lgkmcnt(1)
	v_mul_f64 v[190:191], v[32:33], v[4:5]
	v_mul_f64 v[4:5], v[30:31], v[4:5]
	s_waitcnt vmcnt(6) lgkmcnt(0)
	v_mul_f64 v[192:193], v[38:39], v[8:9]
	v_mul_f64 v[8:9], v[40:41], v[8:9]
	s_delay_alu instid0(VALU_DEP_4) | instskip(NEXT) | instid1(VALU_DEP_4)
	v_fma_f64 v[190:191], v[30:31], v[2:3], -v[190:191]
	v_fma_f64 v[194:195], v[32:33], v[2:3], v[4:5]
	ds_load_b128 v[2:5], v1 offset:1488
	ds_load_b128 v[30:33], v1 offset:1504
	v_fma_f64 v[40:41], v[40:41], v[6:7], v[192:193]
	v_fma_f64 v[6:7], v[38:39], v[6:7], -v[8:9]
	s_waitcnt vmcnt(5) lgkmcnt(1)
	v_mul_f64 v[196:197], v[2:3], v[12:13]
	v_mul_f64 v[12:13], v[4:5], v[12:13]
	v_add_f64 v[8:9], v[190:191], 0
	v_add_f64 v[38:39], v[194:195], 0
	s_waitcnt vmcnt(4) lgkmcnt(0)
	v_mul_f64 v[190:191], v[30:31], v[16:17]
	v_mul_f64 v[16:17], v[32:33], v[16:17]
	v_fma_f64 v[192:193], v[4:5], v[10:11], v[196:197]
	v_fma_f64 v[10:11], v[2:3], v[10:11], -v[12:13]
	v_add_f64 v[12:13], v[8:9], v[6:7]
	v_add_f64 v[38:39], v[38:39], v[40:41]
	ds_load_b128 v[2:5], v1 offset:1520
	ds_load_b128 v[6:9], v1 offset:1536
	v_fma_f64 v[32:33], v[32:33], v[14:15], v[190:191]
	v_fma_f64 v[14:15], v[30:31], v[14:15], -v[16:17]
	s_waitcnt vmcnt(3) lgkmcnt(1)
	v_mul_f64 v[40:41], v[2:3], v[20:21]
	v_mul_f64 v[20:21], v[4:5], v[20:21]
	s_waitcnt vmcnt(2) lgkmcnt(0)
	v_mul_f64 v[16:17], v[6:7], v[24:25]
	v_mul_f64 v[24:25], v[8:9], v[24:25]
	v_add_f64 v[10:11], v[12:13], v[10:11]
	v_add_f64 v[12:13], v[38:39], v[192:193]
	v_fma_f64 v[30:31], v[4:5], v[18:19], v[40:41]
	v_fma_f64 v[18:19], v[2:3], v[18:19], -v[20:21]
	ds_load_b128 v[2:5], v1 offset:1552
	v_fma_f64 v[8:9], v[8:9], v[22:23], v[16:17]
	v_fma_f64 v[6:7], v[6:7], v[22:23], -v[24:25]
	v_add_f64 v[10:11], v[10:11], v[14:15]
	v_add_f64 v[12:13], v[12:13], v[32:33]
	s_waitcnt vmcnt(1) lgkmcnt(0)
	v_mul_f64 v[14:15], v[2:3], v[28:29]
	v_mul_f64 v[20:21], v[4:5], v[28:29]
	s_delay_alu instid0(VALU_DEP_4) | instskip(NEXT) | instid1(VALU_DEP_4)
	v_add_f64 v[10:11], v[10:11], v[18:19]
	v_add_f64 v[12:13], v[12:13], v[30:31]
	s_delay_alu instid0(VALU_DEP_4) | instskip(NEXT) | instid1(VALU_DEP_4)
	v_fma_f64 v[4:5], v[4:5], v[26:27], v[14:15]
	v_fma_f64 v[2:3], v[2:3], v[26:27], -v[20:21]
	s_delay_alu instid0(VALU_DEP_4) | instskip(NEXT) | instid1(VALU_DEP_4)
	v_add_f64 v[6:7], v[10:11], v[6:7]
	v_add_f64 v[8:9], v[12:13], v[8:9]
	s_delay_alu instid0(VALU_DEP_2) | instskip(NEXT) | instid1(VALU_DEP_2)
	v_add_f64 v[2:3], v[6:7], v[2:3]
	v_add_f64 v[4:5], v[8:9], v[4:5]
	s_waitcnt vmcnt(0)
	s_delay_alu instid0(VALU_DEP_2) | instskip(NEXT) | instid1(VALU_DEP_2)
	v_add_f64 v[2:3], v[34:35], -v[2:3]
	v_add_f64 v[4:5], v[36:37], -v[4:5]
	scratch_store_b128 off, v[2:5], off offset:656
	v_cmpx_lt_u32_e32 40, v140
	s_cbranch_execz .LBB48_227
; %bb.226:
	scratch_load_b128 v[5:8], v152, off
	v_mov_b32_e32 v2, v1
	v_mov_b32_e32 v3, v1
	;; [unrolled: 1-line block ×3, first 2 shown]
	scratch_store_b128 off, v[1:4], off offset:640
	s_waitcnt vmcnt(0)
	ds_store_b128 v189, v[5:8]
.LBB48_227:
	s_or_b32 exec_lo, exec_lo, s2
	s_waitcnt lgkmcnt(0)
	s_waitcnt_vscnt null, 0x0
	s_barrier
	buffer_gl0_inv
	s_clause 0x7
	scratch_load_b128 v[2:5], off, off offset:656
	scratch_load_b128 v[6:9], off, off offset:672
	scratch_load_b128 v[10:13], off, off offset:688
	scratch_load_b128 v[14:17], off, off offset:704
	scratch_load_b128 v[18:21], off, off offset:720
	scratch_load_b128 v[22:25], off, off offset:736
	scratch_load_b128 v[26:29], off, off offset:752
	scratch_load_b128 v[30:33], off, off offset:768
	ds_load_b128 v[34:37], v1 offset:1440
	ds_load_b128 v[38:41], v1 offset:1456
	scratch_load_b128 v[190:193], off, off offset:640
	s_mov_b32 s2, exec_lo
	s_waitcnt vmcnt(8) lgkmcnt(1)
	v_mul_f64 v[194:195], v[36:37], v[4:5]
	v_mul_f64 v[4:5], v[34:35], v[4:5]
	s_waitcnt vmcnt(7) lgkmcnt(0)
	v_mul_f64 v[196:197], v[38:39], v[8:9]
	v_mul_f64 v[8:9], v[40:41], v[8:9]
	s_delay_alu instid0(VALU_DEP_4) | instskip(NEXT) | instid1(VALU_DEP_4)
	v_fma_f64 v[194:195], v[34:35], v[2:3], -v[194:195]
	v_fma_f64 v[198:199], v[36:37], v[2:3], v[4:5]
	ds_load_b128 v[2:5], v1 offset:1472
	ds_load_b128 v[34:37], v1 offset:1488
	v_fma_f64 v[40:41], v[40:41], v[6:7], v[196:197]
	v_fma_f64 v[6:7], v[38:39], v[6:7], -v[8:9]
	s_waitcnt vmcnt(6) lgkmcnt(1)
	v_mul_f64 v[200:201], v[2:3], v[12:13]
	v_mul_f64 v[12:13], v[4:5], v[12:13]
	v_add_f64 v[8:9], v[194:195], 0
	v_add_f64 v[38:39], v[198:199], 0
	s_waitcnt vmcnt(5) lgkmcnt(0)
	v_mul_f64 v[194:195], v[34:35], v[16:17]
	v_mul_f64 v[16:17], v[36:37], v[16:17]
	v_fma_f64 v[196:197], v[4:5], v[10:11], v[200:201]
	v_fma_f64 v[10:11], v[2:3], v[10:11], -v[12:13]
	v_add_f64 v[12:13], v[8:9], v[6:7]
	v_add_f64 v[38:39], v[38:39], v[40:41]
	ds_load_b128 v[2:5], v1 offset:1504
	ds_load_b128 v[6:9], v1 offset:1520
	v_fma_f64 v[36:37], v[36:37], v[14:15], v[194:195]
	v_fma_f64 v[14:15], v[34:35], v[14:15], -v[16:17]
	s_waitcnt vmcnt(4) lgkmcnt(1)
	v_mul_f64 v[40:41], v[2:3], v[20:21]
	v_mul_f64 v[20:21], v[4:5], v[20:21]
	s_waitcnt vmcnt(3) lgkmcnt(0)
	v_mul_f64 v[16:17], v[6:7], v[24:25]
	v_mul_f64 v[24:25], v[8:9], v[24:25]
	v_add_f64 v[10:11], v[12:13], v[10:11]
	v_add_f64 v[12:13], v[38:39], v[196:197]
	v_fma_f64 v[34:35], v[4:5], v[18:19], v[40:41]
	v_fma_f64 v[18:19], v[2:3], v[18:19], -v[20:21]
	v_fma_f64 v[8:9], v[8:9], v[22:23], v[16:17]
	v_fma_f64 v[6:7], v[6:7], v[22:23], -v[24:25]
	v_add_f64 v[14:15], v[10:11], v[14:15]
	v_add_f64 v[20:21], v[12:13], v[36:37]
	ds_load_b128 v[2:5], v1 offset:1536
	ds_load_b128 v[10:13], v1 offset:1552
	s_waitcnt vmcnt(2) lgkmcnt(1)
	v_mul_f64 v[36:37], v[2:3], v[28:29]
	v_mul_f64 v[28:29], v[4:5], v[28:29]
	v_add_f64 v[14:15], v[14:15], v[18:19]
	v_add_f64 v[16:17], v[20:21], v[34:35]
	s_waitcnt vmcnt(1) lgkmcnt(0)
	v_mul_f64 v[18:19], v[10:11], v[32:33]
	v_mul_f64 v[20:21], v[12:13], v[32:33]
	v_fma_f64 v[4:5], v[4:5], v[26:27], v[36:37]
	v_fma_f64 v[1:2], v[2:3], v[26:27], -v[28:29]
	v_add_f64 v[6:7], v[14:15], v[6:7]
	v_add_f64 v[8:9], v[16:17], v[8:9]
	v_fma_f64 v[12:13], v[12:13], v[30:31], v[18:19]
	v_fma_f64 v[10:11], v[10:11], v[30:31], -v[20:21]
	s_delay_alu instid0(VALU_DEP_4) | instskip(NEXT) | instid1(VALU_DEP_4)
	v_add_f64 v[1:2], v[6:7], v[1:2]
	v_add_f64 v[3:4], v[8:9], v[4:5]
	s_delay_alu instid0(VALU_DEP_2) | instskip(NEXT) | instid1(VALU_DEP_2)
	v_add_f64 v[1:2], v[1:2], v[10:11]
	v_add_f64 v[3:4], v[3:4], v[12:13]
	s_waitcnt vmcnt(0)
	s_delay_alu instid0(VALU_DEP_2) | instskip(NEXT) | instid1(VALU_DEP_2)
	v_add_f64 v[1:2], v[190:191], -v[1:2]
	v_add_f64 v[3:4], v[192:193], -v[3:4]
	scratch_store_b128 off, v[1:4], off offset:640
	v_cmpx_lt_u32_e32 39, v140
	s_cbranch_execz .LBB48_229
; %bb.228:
	scratch_load_b128 v[1:4], v153, off
	v_mov_b32_e32 v5, 0
	s_delay_alu instid0(VALU_DEP_1)
	v_mov_b32_e32 v6, v5
	v_mov_b32_e32 v7, v5
	;; [unrolled: 1-line block ×3, first 2 shown]
	scratch_store_b128 off, v[5:8], off offset:624
	s_waitcnt vmcnt(0)
	ds_store_b128 v189, v[1:4]
.LBB48_229:
	s_or_b32 exec_lo, exec_lo, s2
	s_waitcnt lgkmcnt(0)
	s_waitcnt_vscnt null, 0x0
	s_barrier
	buffer_gl0_inv
	s_clause 0x7
	scratch_load_b128 v[2:5], off, off offset:640
	scratch_load_b128 v[6:9], off, off offset:656
	;; [unrolled: 1-line block ×8, first 2 shown]
	v_mov_b32_e32 v1, 0
	s_mov_b32 s2, exec_lo
	ds_load_b128 v[34:37], v1 offset:1424
	s_clause 0x1
	scratch_load_b128 v[38:41], off, off offset:768
	scratch_load_b128 v[190:193], off, off offset:624
	ds_load_b128 v[194:197], v1 offset:1440
	s_waitcnt vmcnt(9) lgkmcnt(1)
	v_mul_f64 v[198:199], v[36:37], v[4:5]
	v_mul_f64 v[4:5], v[34:35], v[4:5]
	s_waitcnt vmcnt(8) lgkmcnt(0)
	v_mul_f64 v[200:201], v[194:195], v[8:9]
	v_mul_f64 v[8:9], v[196:197], v[8:9]
	s_delay_alu instid0(VALU_DEP_4) | instskip(NEXT) | instid1(VALU_DEP_4)
	v_fma_f64 v[198:199], v[34:35], v[2:3], -v[198:199]
	v_fma_f64 v[202:203], v[36:37], v[2:3], v[4:5]
	ds_load_b128 v[2:5], v1 offset:1456
	ds_load_b128 v[34:37], v1 offset:1472
	v_fma_f64 v[196:197], v[196:197], v[6:7], v[200:201]
	v_fma_f64 v[6:7], v[194:195], v[6:7], -v[8:9]
	s_waitcnt vmcnt(7) lgkmcnt(1)
	v_mul_f64 v[204:205], v[2:3], v[12:13]
	v_mul_f64 v[12:13], v[4:5], v[12:13]
	v_add_f64 v[8:9], v[198:199], 0
	v_add_f64 v[194:195], v[202:203], 0
	s_waitcnt vmcnt(6) lgkmcnt(0)
	v_mul_f64 v[198:199], v[34:35], v[16:17]
	v_mul_f64 v[16:17], v[36:37], v[16:17]
	v_fma_f64 v[200:201], v[4:5], v[10:11], v[204:205]
	v_fma_f64 v[10:11], v[2:3], v[10:11], -v[12:13]
	v_add_f64 v[12:13], v[8:9], v[6:7]
	v_add_f64 v[194:195], v[194:195], v[196:197]
	ds_load_b128 v[2:5], v1 offset:1488
	ds_load_b128 v[6:9], v1 offset:1504
	v_fma_f64 v[36:37], v[36:37], v[14:15], v[198:199]
	v_fma_f64 v[14:15], v[34:35], v[14:15], -v[16:17]
	s_waitcnt vmcnt(5) lgkmcnt(1)
	v_mul_f64 v[196:197], v[2:3], v[20:21]
	v_mul_f64 v[20:21], v[4:5], v[20:21]
	s_waitcnt vmcnt(4) lgkmcnt(0)
	v_mul_f64 v[16:17], v[6:7], v[24:25]
	v_mul_f64 v[24:25], v[8:9], v[24:25]
	v_add_f64 v[10:11], v[12:13], v[10:11]
	v_add_f64 v[12:13], v[194:195], v[200:201]
	v_fma_f64 v[34:35], v[4:5], v[18:19], v[196:197]
	v_fma_f64 v[18:19], v[2:3], v[18:19], -v[20:21]
	v_fma_f64 v[8:9], v[8:9], v[22:23], v[16:17]
	v_fma_f64 v[6:7], v[6:7], v[22:23], -v[24:25]
	v_add_f64 v[14:15], v[10:11], v[14:15]
	v_add_f64 v[20:21], v[12:13], v[36:37]
	ds_load_b128 v[2:5], v1 offset:1520
	ds_load_b128 v[10:13], v1 offset:1536
	s_waitcnt vmcnt(3) lgkmcnt(1)
	v_mul_f64 v[36:37], v[2:3], v[28:29]
	v_mul_f64 v[28:29], v[4:5], v[28:29]
	v_add_f64 v[14:15], v[14:15], v[18:19]
	v_add_f64 v[16:17], v[20:21], v[34:35]
	s_waitcnt vmcnt(2) lgkmcnt(0)
	v_mul_f64 v[18:19], v[10:11], v[32:33]
	v_mul_f64 v[20:21], v[12:13], v[32:33]
	v_fma_f64 v[22:23], v[4:5], v[26:27], v[36:37]
	v_fma_f64 v[24:25], v[2:3], v[26:27], -v[28:29]
	ds_load_b128 v[2:5], v1 offset:1552
	v_add_f64 v[6:7], v[14:15], v[6:7]
	v_add_f64 v[8:9], v[16:17], v[8:9]
	v_fma_f64 v[12:13], v[12:13], v[30:31], v[18:19]
	v_fma_f64 v[10:11], v[10:11], v[30:31], -v[20:21]
	s_waitcnt vmcnt(1) lgkmcnt(0)
	v_mul_f64 v[14:15], v[2:3], v[40:41]
	v_mul_f64 v[16:17], v[4:5], v[40:41]
	v_add_f64 v[6:7], v[6:7], v[24:25]
	v_add_f64 v[8:9], v[8:9], v[22:23]
	s_delay_alu instid0(VALU_DEP_4) | instskip(NEXT) | instid1(VALU_DEP_4)
	v_fma_f64 v[4:5], v[4:5], v[38:39], v[14:15]
	v_fma_f64 v[2:3], v[2:3], v[38:39], -v[16:17]
	s_delay_alu instid0(VALU_DEP_4) | instskip(NEXT) | instid1(VALU_DEP_4)
	v_add_f64 v[6:7], v[6:7], v[10:11]
	v_add_f64 v[8:9], v[8:9], v[12:13]
	s_delay_alu instid0(VALU_DEP_2) | instskip(NEXT) | instid1(VALU_DEP_2)
	v_add_f64 v[2:3], v[6:7], v[2:3]
	v_add_f64 v[4:5], v[8:9], v[4:5]
	s_waitcnt vmcnt(0)
	s_delay_alu instid0(VALU_DEP_2) | instskip(NEXT) | instid1(VALU_DEP_2)
	v_add_f64 v[2:3], v[190:191], -v[2:3]
	v_add_f64 v[4:5], v[192:193], -v[4:5]
	scratch_store_b128 off, v[2:5], off offset:624
	v_cmpx_lt_u32_e32 38, v140
	s_cbranch_execz .LBB48_231
; %bb.230:
	scratch_load_b128 v[5:8], v156, off
	v_mov_b32_e32 v2, v1
	v_mov_b32_e32 v3, v1
	;; [unrolled: 1-line block ×3, first 2 shown]
	scratch_store_b128 off, v[1:4], off offset:608
	s_waitcnt vmcnt(0)
	ds_store_b128 v189, v[5:8]
.LBB48_231:
	s_or_b32 exec_lo, exec_lo, s2
	s_waitcnt lgkmcnt(0)
	s_waitcnt_vscnt null, 0x0
	s_barrier
	buffer_gl0_inv
	s_clause 0x8
	scratch_load_b128 v[2:5], off, off offset:624
	scratch_load_b128 v[6:9], off, off offset:640
	;; [unrolled: 1-line block ×9, first 2 shown]
	ds_load_b128 v[38:41], v1 offset:1408
	ds_load_b128 v[190:193], v1 offset:1424
	s_clause 0x1
	scratch_load_b128 v[194:197], off, off offset:608
	scratch_load_b128 v[198:201], off, off offset:768
	s_mov_b32 s2, exec_lo
	s_waitcnt vmcnt(10) lgkmcnt(1)
	v_mul_f64 v[202:203], v[40:41], v[4:5]
	v_mul_f64 v[4:5], v[38:39], v[4:5]
	s_waitcnt vmcnt(9) lgkmcnt(0)
	v_mul_f64 v[204:205], v[190:191], v[8:9]
	v_mul_f64 v[8:9], v[192:193], v[8:9]
	s_delay_alu instid0(VALU_DEP_4) | instskip(NEXT) | instid1(VALU_DEP_4)
	v_fma_f64 v[202:203], v[38:39], v[2:3], -v[202:203]
	v_fma_f64 v[206:207], v[40:41], v[2:3], v[4:5]
	ds_load_b128 v[2:5], v1 offset:1440
	ds_load_b128 v[38:41], v1 offset:1456
	v_fma_f64 v[192:193], v[192:193], v[6:7], v[204:205]
	v_fma_f64 v[6:7], v[190:191], v[6:7], -v[8:9]
	s_waitcnt vmcnt(8) lgkmcnt(1)
	v_mul_f64 v[208:209], v[2:3], v[12:13]
	v_mul_f64 v[12:13], v[4:5], v[12:13]
	v_add_f64 v[8:9], v[202:203], 0
	v_add_f64 v[190:191], v[206:207], 0
	s_waitcnt vmcnt(7) lgkmcnt(0)
	v_mul_f64 v[202:203], v[38:39], v[16:17]
	v_mul_f64 v[16:17], v[40:41], v[16:17]
	v_fma_f64 v[204:205], v[4:5], v[10:11], v[208:209]
	v_fma_f64 v[10:11], v[2:3], v[10:11], -v[12:13]
	v_add_f64 v[12:13], v[8:9], v[6:7]
	v_add_f64 v[190:191], v[190:191], v[192:193]
	ds_load_b128 v[2:5], v1 offset:1472
	ds_load_b128 v[6:9], v1 offset:1488
	v_fma_f64 v[40:41], v[40:41], v[14:15], v[202:203]
	v_fma_f64 v[14:15], v[38:39], v[14:15], -v[16:17]
	s_waitcnt vmcnt(6) lgkmcnt(1)
	v_mul_f64 v[192:193], v[2:3], v[20:21]
	v_mul_f64 v[20:21], v[4:5], v[20:21]
	s_waitcnt vmcnt(5) lgkmcnt(0)
	v_mul_f64 v[16:17], v[6:7], v[24:25]
	v_mul_f64 v[24:25], v[8:9], v[24:25]
	v_add_f64 v[10:11], v[12:13], v[10:11]
	v_add_f64 v[12:13], v[190:191], v[204:205]
	v_fma_f64 v[38:39], v[4:5], v[18:19], v[192:193]
	v_fma_f64 v[18:19], v[2:3], v[18:19], -v[20:21]
	v_fma_f64 v[8:9], v[8:9], v[22:23], v[16:17]
	v_fma_f64 v[6:7], v[6:7], v[22:23], -v[24:25]
	v_add_f64 v[14:15], v[10:11], v[14:15]
	v_add_f64 v[20:21], v[12:13], v[40:41]
	ds_load_b128 v[2:5], v1 offset:1504
	ds_load_b128 v[10:13], v1 offset:1520
	s_waitcnt vmcnt(4) lgkmcnt(1)
	v_mul_f64 v[40:41], v[2:3], v[28:29]
	v_mul_f64 v[28:29], v[4:5], v[28:29]
	v_add_f64 v[14:15], v[14:15], v[18:19]
	v_add_f64 v[16:17], v[20:21], v[38:39]
	s_waitcnt vmcnt(3) lgkmcnt(0)
	v_mul_f64 v[18:19], v[10:11], v[32:33]
	v_mul_f64 v[20:21], v[12:13], v[32:33]
	v_fma_f64 v[22:23], v[4:5], v[26:27], v[40:41]
	v_fma_f64 v[24:25], v[2:3], v[26:27], -v[28:29]
	v_add_f64 v[14:15], v[14:15], v[6:7]
	v_add_f64 v[16:17], v[16:17], v[8:9]
	ds_load_b128 v[2:5], v1 offset:1536
	ds_load_b128 v[6:9], v1 offset:1552
	v_fma_f64 v[12:13], v[12:13], v[30:31], v[18:19]
	v_fma_f64 v[10:11], v[10:11], v[30:31], -v[20:21]
	s_waitcnt vmcnt(2) lgkmcnt(1)
	v_mul_f64 v[26:27], v[2:3], v[36:37]
	v_mul_f64 v[28:29], v[4:5], v[36:37]
	s_waitcnt vmcnt(0) lgkmcnt(0)
	v_mul_f64 v[18:19], v[6:7], v[200:201]
	v_mul_f64 v[20:21], v[8:9], v[200:201]
	v_add_f64 v[14:15], v[14:15], v[24:25]
	v_add_f64 v[16:17], v[16:17], v[22:23]
	v_fma_f64 v[4:5], v[4:5], v[34:35], v[26:27]
	v_fma_f64 v[1:2], v[2:3], v[34:35], -v[28:29]
	v_fma_f64 v[8:9], v[8:9], v[198:199], v[18:19]
	v_fma_f64 v[6:7], v[6:7], v[198:199], -v[20:21]
	v_add_f64 v[10:11], v[14:15], v[10:11]
	v_add_f64 v[12:13], v[16:17], v[12:13]
	s_delay_alu instid0(VALU_DEP_2) | instskip(NEXT) | instid1(VALU_DEP_2)
	v_add_f64 v[1:2], v[10:11], v[1:2]
	v_add_f64 v[3:4], v[12:13], v[4:5]
	s_delay_alu instid0(VALU_DEP_2) | instskip(NEXT) | instid1(VALU_DEP_2)
	v_add_f64 v[1:2], v[1:2], v[6:7]
	v_add_f64 v[3:4], v[3:4], v[8:9]
	s_delay_alu instid0(VALU_DEP_2) | instskip(NEXT) | instid1(VALU_DEP_2)
	v_add_f64 v[1:2], v[194:195], -v[1:2]
	v_add_f64 v[3:4], v[196:197], -v[3:4]
	scratch_store_b128 off, v[1:4], off offset:608
	v_cmpx_lt_u32_e32 37, v140
	s_cbranch_execz .LBB48_233
; %bb.232:
	scratch_load_b128 v[1:4], v141, off
	v_mov_b32_e32 v5, 0
	s_delay_alu instid0(VALU_DEP_1)
	v_mov_b32_e32 v6, v5
	v_mov_b32_e32 v7, v5
	;; [unrolled: 1-line block ×3, first 2 shown]
	scratch_store_b128 off, v[5:8], off offset:592
	s_waitcnt vmcnt(0)
	ds_store_b128 v189, v[1:4]
.LBB48_233:
	s_or_b32 exec_lo, exec_lo, s2
	s_waitcnt lgkmcnt(0)
	s_waitcnt_vscnt null, 0x0
	s_barrier
	buffer_gl0_inv
	s_clause 0x7
	scratch_load_b128 v[2:5], off, off offset:608
	scratch_load_b128 v[6:9], off, off offset:624
	;; [unrolled: 1-line block ×8, first 2 shown]
	v_mov_b32_e32 v1, 0
	s_mov_b32 s2, exec_lo
	ds_load_b128 v[34:37], v1 offset:1392
	s_clause 0x1
	scratch_load_b128 v[38:41], off, off offset:736
	scratch_load_b128 v[190:193], off, off offset:592
	ds_load_b128 v[194:197], v1 offset:1408
	scratch_load_b128 v[198:201], off, off offset:752
	s_waitcnt vmcnt(10) lgkmcnt(1)
	v_mul_f64 v[202:203], v[36:37], v[4:5]
	v_mul_f64 v[4:5], v[34:35], v[4:5]
	s_delay_alu instid0(VALU_DEP_2) | instskip(NEXT) | instid1(VALU_DEP_2)
	v_fma_f64 v[208:209], v[34:35], v[2:3], -v[202:203]
	v_fma_f64 v[210:211], v[36:37], v[2:3], v[4:5]
	scratch_load_b128 v[34:37], off, off offset:768
	ds_load_b128 v[2:5], v1 offset:1424
	s_waitcnt vmcnt(10) lgkmcnt(1)
	v_mul_f64 v[206:207], v[194:195], v[8:9]
	v_mul_f64 v[8:9], v[196:197], v[8:9]
	ds_load_b128 v[202:205], v1 offset:1440
	s_waitcnt vmcnt(9) lgkmcnt(1)
	v_mul_f64 v[212:213], v[2:3], v[12:13]
	v_mul_f64 v[12:13], v[4:5], v[12:13]
	v_fma_f64 v[196:197], v[196:197], v[6:7], v[206:207]
	v_fma_f64 v[6:7], v[194:195], v[6:7], -v[8:9]
	v_add_f64 v[8:9], v[208:209], 0
	v_add_f64 v[194:195], v[210:211], 0
	s_waitcnt vmcnt(8) lgkmcnt(0)
	v_mul_f64 v[206:207], v[202:203], v[16:17]
	v_mul_f64 v[16:17], v[204:205], v[16:17]
	v_fma_f64 v[208:209], v[4:5], v[10:11], v[212:213]
	v_fma_f64 v[10:11], v[2:3], v[10:11], -v[12:13]
	v_add_f64 v[12:13], v[8:9], v[6:7]
	v_add_f64 v[194:195], v[194:195], v[196:197]
	ds_load_b128 v[2:5], v1 offset:1456
	ds_load_b128 v[6:9], v1 offset:1472
	v_fma_f64 v[204:205], v[204:205], v[14:15], v[206:207]
	v_fma_f64 v[14:15], v[202:203], v[14:15], -v[16:17]
	s_waitcnt vmcnt(7) lgkmcnt(1)
	v_mul_f64 v[196:197], v[2:3], v[20:21]
	v_mul_f64 v[20:21], v[4:5], v[20:21]
	s_waitcnt vmcnt(6) lgkmcnt(0)
	v_mul_f64 v[16:17], v[6:7], v[24:25]
	v_mul_f64 v[24:25], v[8:9], v[24:25]
	v_add_f64 v[10:11], v[12:13], v[10:11]
	v_add_f64 v[12:13], v[194:195], v[208:209]
	v_fma_f64 v[194:195], v[4:5], v[18:19], v[196:197]
	v_fma_f64 v[18:19], v[2:3], v[18:19], -v[20:21]
	v_fma_f64 v[8:9], v[8:9], v[22:23], v[16:17]
	v_fma_f64 v[6:7], v[6:7], v[22:23], -v[24:25]
	v_add_f64 v[14:15], v[10:11], v[14:15]
	v_add_f64 v[20:21], v[12:13], v[204:205]
	ds_load_b128 v[2:5], v1 offset:1488
	ds_load_b128 v[10:13], v1 offset:1504
	s_waitcnt vmcnt(5) lgkmcnt(1)
	v_mul_f64 v[196:197], v[2:3], v[28:29]
	v_mul_f64 v[28:29], v[4:5], v[28:29]
	v_add_f64 v[14:15], v[14:15], v[18:19]
	v_add_f64 v[16:17], v[20:21], v[194:195]
	s_waitcnt vmcnt(4) lgkmcnt(0)
	v_mul_f64 v[18:19], v[10:11], v[32:33]
	v_mul_f64 v[20:21], v[12:13], v[32:33]
	v_fma_f64 v[22:23], v[4:5], v[26:27], v[196:197]
	v_fma_f64 v[24:25], v[2:3], v[26:27], -v[28:29]
	v_add_f64 v[14:15], v[14:15], v[6:7]
	v_add_f64 v[16:17], v[16:17], v[8:9]
	ds_load_b128 v[2:5], v1 offset:1520
	ds_load_b128 v[6:9], v1 offset:1536
	v_fma_f64 v[12:13], v[12:13], v[30:31], v[18:19]
	v_fma_f64 v[10:11], v[10:11], v[30:31], -v[20:21]
	s_waitcnt vmcnt(3) lgkmcnt(1)
	v_mul_f64 v[26:27], v[2:3], v[40:41]
	v_mul_f64 v[28:29], v[4:5], v[40:41]
	s_waitcnt vmcnt(1) lgkmcnt(0)
	v_mul_f64 v[18:19], v[6:7], v[200:201]
	v_mul_f64 v[20:21], v[8:9], v[200:201]
	v_add_f64 v[14:15], v[14:15], v[24:25]
	v_add_f64 v[16:17], v[16:17], v[22:23]
	v_fma_f64 v[22:23], v[4:5], v[38:39], v[26:27]
	v_fma_f64 v[24:25], v[2:3], v[38:39], -v[28:29]
	ds_load_b128 v[2:5], v1 offset:1552
	v_fma_f64 v[8:9], v[8:9], v[198:199], v[18:19]
	v_fma_f64 v[6:7], v[6:7], v[198:199], -v[20:21]
	v_add_f64 v[10:11], v[14:15], v[10:11]
	v_add_f64 v[12:13], v[16:17], v[12:13]
	s_waitcnt vmcnt(0) lgkmcnt(0)
	v_mul_f64 v[14:15], v[2:3], v[36:37]
	v_mul_f64 v[16:17], v[4:5], v[36:37]
	s_delay_alu instid0(VALU_DEP_4) | instskip(NEXT) | instid1(VALU_DEP_4)
	v_add_f64 v[10:11], v[10:11], v[24:25]
	v_add_f64 v[12:13], v[12:13], v[22:23]
	s_delay_alu instid0(VALU_DEP_4) | instskip(NEXT) | instid1(VALU_DEP_4)
	v_fma_f64 v[4:5], v[4:5], v[34:35], v[14:15]
	v_fma_f64 v[2:3], v[2:3], v[34:35], -v[16:17]
	s_delay_alu instid0(VALU_DEP_4) | instskip(NEXT) | instid1(VALU_DEP_4)
	v_add_f64 v[6:7], v[10:11], v[6:7]
	v_add_f64 v[8:9], v[12:13], v[8:9]
	s_delay_alu instid0(VALU_DEP_2) | instskip(NEXT) | instid1(VALU_DEP_2)
	v_add_f64 v[2:3], v[6:7], v[2:3]
	v_add_f64 v[4:5], v[8:9], v[4:5]
	s_delay_alu instid0(VALU_DEP_2) | instskip(NEXT) | instid1(VALU_DEP_2)
	v_add_f64 v[2:3], v[190:191], -v[2:3]
	v_add_f64 v[4:5], v[192:193], -v[4:5]
	scratch_store_b128 off, v[2:5], off offset:592
	v_cmpx_lt_u32_e32 36, v140
	s_cbranch_execz .LBB48_235
; %bb.234:
	scratch_load_b128 v[5:8], v148, off
	v_mov_b32_e32 v2, v1
	v_mov_b32_e32 v3, v1
	;; [unrolled: 1-line block ×3, first 2 shown]
	scratch_store_b128 off, v[1:4], off offset:576
	s_waitcnt vmcnt(0)
	ds_store_b128 v189, v[5:8]
.LBB48_235:
	s_or_b32 exec_lo, exec_lo, s2
	s_waitcnt lgkmcnt(0)
	s_waitcnt_vscnt null, 0x0
	s_barrier
	buffer_gl0_inv
	s_clause 0x8
	scratch_load_b128 v[2:5], off, off offset:592
	scratch_load_b128 v[6:9], off, off offset:608
	;; [unrolled: 1-line block ×9, first 2 shown]
	ds_load_b128 v[38:41], v1 offset:1376
	ds_load_b128 v[190:193], v1 offset:1392
	s_clause 0x1
	scratch_load_b128 v[194:197], off, off offset:576
	scratch_load_b128 v[198:201], off, off offset:736
	s_mov_b32 s2, exec_lo
	s_waitcnt vmcnt(10) lgkmcnt(1)
	v_mul_f64 v[202:203], v[40:41], v[4:5]
	v_mul_f64 v[4:5], v[38:39], v[4:5]
	s_waitcnt vmcnt(9) lgkmcnt(0)
	v_mul_f64 v[206:207], v[190:191], v[8:9]
	v_mul_f64 v[8:9], v[192:193], v[8:9]
	s_delay_alu instid0(VALU_DEP_4) | instskip(NEXT) | instid1(VALU_DEP_4)
	v_fma_f64 v[208:209], v[38:39], v[2:3], -v[202:203]
	v_fma_f64 v[210:211], v[40:41], v[2:3], v[4:5]
	ds_load_b128 v[2:5], v1 offset:1408
	ds_load_b128 v[202:205], v1 offset:1424
	scratch_load_b128 v[38:41], off, off offset:752
	v_fma_f64 v[192:193], v[192:193], v[6:7], v[206:207]
	v_fma_f64 v[190:191], v[190:191], v[6:7], -v[8:9]
	scratch_load_b128 v[6:9], off, off offset:768
	s_waitcnt vmcnt(10) lgkmcnt(1)
	v_mul_f64 v[212:213], v[2:3], v[12:13]
	v_mul_f64 v[12:13], v[4:5], v[12:13]
	v_add_f64 v[206:207], v[208:209], 0
	v_add_f64 v[208:209], v[210:211], 0
	s_waitcnt vmcnt(9) lgkmcnt(0)
	v_mul_f64 v[210:211], v[202:203], v[16:17]
	v_mul_f64 v[16:17], v[204:205], v[16:17]
	v_fma_f64 v[212:213], v[4:5], v[10:11], v[212:213]
	v_fma_f64 v[214:215], v[2:3], v[10:11], -v[12:13]
	ds_load_b128 v[2:5], v1 offset:1440
	ds_load_b128 v[10:13], v1 offset:1456
	v_add_f64 v[190:191], v[206:207], v[190:191]
	v_add_f64 v[192:193], v[208:209], v[192:193]
	v_fma_f64 v[204:205], v[204:205], v[14:15], v[210:211]
	v_fma_f64 v[14:15], v[202:203], v[14:15], -v[16:17]
	s_waitcnt vmcnt(8) lgkmcnt(1)
	v_mul_f64 v[206:207], v[2:3], v[20:21]
	v_mul_f64 v[20:21], v[4:5], v[20:21]
	v_add_f64 v[16:17], v[190:191], v[214:215]
	v_add_f64 v[190:191], v[192:193], v[212:213]
	s_waitcnt vmcnt(7) lgkmcnt(0)
	v_mul_f64 v[192:193], v[10:11], v[24:25]
	v_mul_f64 v[24:25], v[12:13], v[24:25]
	v_fma_f64 v[202:203], v[4:5], v[18:19], v[206:207]
	v_fma_f64 v[18:19], v[2:3], v[18:19], -v[20:21]
	v_add_f64 v[20:21], v[16:17], v[14:15]
	v_add_f64 v[190:191], v[190:191], v[204:205]
	ds_load_b128 v[2:5], v1 offset:1472
	ds_load_b128 v[14:17], v1 offset:1488
	v_fma_f64 v[12:13], v[12:13], v[22:23], v[192:193]
	v_fma_f64 v[10:11], v[10:11], v[22:23], -v[24:25]
	s_waitcnt vmcnt(6) lgkmcnt(1)
	v_mul_f64 v[204:205], v[2:3], v[28:29]
	v_mul_f64 v[28:29], v[4:5], v[28:29]
	s_waitcnt vmcnt(5) lgkmcnt(0)
	v_mul_f64 v[22:23], v[14:15], v[32:33]
	v_mul_f64 v[24:25], v[16:17], v[32:33]
	v_add_f64 v[18:19], v[20:21], v[18:19]
	v_add_f64 v[20:21], v[190:191], v[202:203]
	v_fma_f64 v[32:33], v[4:5], v[26:27], v[204:205]
	v_fma_f64 v[26:27], v[2:3], v[26:27], -v[28:29]
	v_fma_f64 v[16:17], v[16:17], v[30:31], v[22:23]
	v_fma_f64 v[14:15], v[14:15], v[30:31], -v[24:25]
	v_add_f64 v[18:19], v[18:19], v[10:11]
	v_add_f64 v[20:21], v[20:21], v[12:13]
	ds_load_b128 v[2:5], v1 offset:1504
	ds_load_b128 v[10:13], v1 offset:1520
	s_waitcnt vmcnt(4) lgkmcnt(1)
	v_mul_f64 v[28:29], v[2:3], v[36:37]
	v_mul_f64 v[36:37], v[4:5], v[36:37]
	s_waitcnt vmcnt(2) lgkmcnt(0)
	v_mul_f64 v[22:23], v[10:11], v[200:201]
	v_mul_f64 v[24:25], v[12:13], v[200:201]
	v_add_f64 v[18:19], v[18:19], v[26:27]
	v_add_f64 v[20:21], v[20:21], v[32:33]
	v_fma_f64 v[26:27], v[4:5], v[34:35], v[28:29]
	v_fma_f64 v[28:29], v[2:3], v[34:35], -v[36:37]
	v_fma_f64 v[12:13], v[12:13], v[198:199], v[22:23]
	v_fma_f64 v[10:11], v[10:11], v[198:199], -v[24:25]
	v_add_f64 v[18:19], v[18:19], v[14:15]
	v_add_f64 v[20:21], v[20:21], v[16:17]
	ds_load_b128 v[2:5], v1 offset:1536
	ds_load_b128 v[14:17], v1 offset:1552
	s_waitcnt vmcnt(1) lgkmcnt(1)
	v_mul_f64 v[30:31], v[2:3], v[40:41]
	v_mul_f64 v[32:33], v[4:5], v[40:41]
	s_waitcnt vmcnt(0) lgkmcnt(0)
	v_mul_f64 v[22:23], v[14:15], v[8:9]
	v_mul_f64 v[8:9], v[16:17], v[8:9]
	v_add_f64 v[18:19], v[18:19], v[28:29]
	v_add_f64 v[20:21], v[20:21], v[26:27]
	v_fma_f64 v[4:5], v[4:5], v[38:39], v[30:31]
	v_fma_f64 v[1:2], v[2:3], v[38:39], -v[32:33]
	v_fma_f64 v[16:17], v[16:17], v[6:7], v[22:23]
	v_fma_f64 v[6:7], v[14:15], v[6:7], -v[8:9]
	v_add_f64 v[10:11], v[18:19], v[10:11]
	v_add_f64 v[12:13], v[20:21], v[12:13]
	s_delay_alu instid0(VALU_DEP_2) | instskip(NEXT) | instid1(VALU_DEP_2)
	v_add_f64 v[1:2], v[10:11], v[1:2]
	v_add_f64 v[3:4], v[12:13], v[4:5]
	s_delay_alu instid0(VALU_DEP_2) | instskip(NEXT) | instid1(VALU_DEP_2)
	;; [unrolled: 3-line block ×3, first 2 shown]
	v_add_f64 v[1:2], v[194:195], -v[1:2]
	v_add_f64 v[3:4], v[196:197], -v[3:4]
	scratch_store_b128 off, v[1:4], off offset:576
	v_cmpx_lt_u32_e32 35, v140
	s_cbranch_execz .LBB48_237
; %bb.236:
	scratch_load_b128 v[1:4], v149, off
	v_mov_b32_e32 v5, 0
	s_delay_alu instid0(VALU_DEP_1)
	v_mov_b32_e32 v6, v5
	v_mov_b32_e32 v7, v5
	;; [unrolled: 1-line block ×3, first 2 shown]
	scratch_store_b128 off, v[5:8], off offset:560
	s_waitcnt vmcnt(0)
	ds_store_b128 v189, v[1:4]
.LBB48_237:
	s_or_b32 exec_lo, exec_lo, s2
	s_waitcnt lgkmcnt(0)
	s_waitcnt_vscnt null, 0x0
	s_barrier
	buffer_gl0_inv
	s_clause 0x7
	scratch_load_b128 v[2:5], off, off offset:576
	scratch_load_b128 v[6:9], off, off offset:592
	;; [unrolled: 1-line block ×8, first 2 shown]
	v_mov_b32_e32 v1, 0
	s_clause 0x1
	scratch_load_b128 v[38:41], off, off offset:704
	scratch_load_b128 v[194:197], off, off offset:720
	s_mov_b32 s2, exec_lo
	ds_load_b128 v[34:37], v1 offset:1360
	ds_load_b128 v[190:193], v1 offset:1376
	s_waitcnt vmcnt(9) lgkmcnt(1)
	v_mul_f64 v[198:199], v[36:37], v[4:5]
	v_mul_f64 v[4:5], v[34:35], v[4:5]
	s_waitcnt vmcnt(8) lgkmcnt(0)
	v_mul_f64 v[200:201], v[190:191], v[8:9]
	v_mul_f64 v[8:9], v[192:193], v[8:9]
	s_delay_alu instid0(VALU_DEP_4) | instskip(NEXT) | instid1(VALU_DEP_4)
	v_fma_f64 v[198:199], v[34:35], v[2:3], -v[198:199]
	v_fma_f64 v[202:203], v[36:37], v[2:3], v[4:5]
	ds_load_b128 v[2:5], v1 offset:1392
	scratch_load_b128 v[34:37], off, off offset:736
	v_fma_f64 v[200:201], v[192:193], v[6:7], v[200:201]
	v_fma_f64 v[206:207], v[190:191], v[6:7], -v[8:9]
	ds_load_b128 v[6:9], v1 offset:1408
	scratch_load_b128 v[190:193], off, off offset:752
	s_waitcnt vmcnt(9) lgkmcnt(1)
	v_mul_f64 v[204:205], v[2:3], v[12:13]
	v_mul_f64 v[12:13], v[4:5], v[12:13]
	s_waitcnt vmcnt(8) lgkmcnt(0)
	v_mul_f64 v[208:209], v[6:7], v[16:17]
	v_mul_f64 v[16:17], v[8:9], v[16:17]
	v_add_f64 v[198:199], v[198:199], 0
	v_add_f64 v[202:203], v[202:203], 0
	v_fma_f64 v[204:205], v[4:5], v[10:11], v[204:205]
	v_fma_f64 v[210:211], v[2:3], v[10:11], -v[12:13]
	scratch_load_b128 v[10:13], off, off offset:768
	ds_load_b128 v[2:5], v1 offset:1424
	v_add_f64 v[198:199], v[198:199], v[206:207]
	v_add_f64 v[200:201], v[202:203], v[200:201]
	v_fma_f64 v[206:207], v[8:9], v[14:15], v[208:209]
	v_fma_f64 v[14:15], v[6:7], v[14:15], -v[16:17]
	ds_load_b128 v[6:9], v1 offset:1440
	s_waitcnt vmcnt(8) lgkmcnt(1)
	v_mul_f64 v[202:203], v[2:3], v[20:21]
	v_mul_f64 v[20:21], v[4:5], v[20:21]
	v_add_f64 v[16:17], v[198:199], v[210:211]
	v_add_f64 v[198:199], v[200:201], v[204:205]
	s_waitcnt vmcnt(7) lgkmcnt(0)
	v_mul_f64 v[200:201], v[6:7], v[24:25]
	v_mul_f64 v[24:25], v[8:9], v[24:25]
	v_fma_f64 v[202:203], v[4:5], v[18:19], v[202:203]
	v_fma_f64 v[18:19], v[2:3], v[18:19], -v[20:21]
	ds_load_b128 v[2:5], v1 offset:1456
	v_add_f64 v[14:15], v[16:17], v[14:15]
	v_add_f64 v[16:17], v[198:199], v[206:207]
	v_fma_f64 v[198:199], v[8:9], v[22:23], v[200:201]
	v_fma_f64 v[22:23], v[6:7], v[22:23], -v[24:25]
	ds_load_b128 v[6:9], v1 offset:1472
	s_waitcnt vmcnt(6) lgkmcnt(1)
	v_mul_f64 v[20:21], v[2:3], v[28:29]
	v_mul_f64 v[28:29], v[4:5], v[28:29]
	s_waitcnt vmcnt(5) lgkmcnt(0)
	v_mul_f64 v[200:201], v[6:7], v[32:33]
	v_mul_f64 v[32:33], v[8:9], v[32:33]
	v_add_f64 v[18:19], v[14:15], v[18:19]
	v_add_f64 v[24:25], v[16:17], v[202:203]
	scratch_load_b128 v[14:17], off, off offset:560
	v_fma_f64 v[20:21], v[4:5], v[26:27], v[20:21]
	v_fma_f64 v[26:27], v[2:3], v[26:27], -v[28:29]
	ds_load_b128 v[2:5], v1 offset:1488
	s_waitcnt vmcnt(5) lgkmcnt(0)
	v_mul_f64 v[28:29], v[4:5], v[40:41]
	v_add_f64 v[18:19], v[18:19], v[22:23]
	v_add_f64 v[22:23], v[24:25], v[198:199]
	v_mul_f64 v[24:25], v[2:3], v[40:41]
	v_fma_f64 v[40:41], v[8:9], v[30:31], v[200:201]
	v_fma_f64 v[30:31], v[6:7], v[30:31], -v[32:33]
	ds_load_b128 v[6:9], v1 offset:1504
	v_fma_f64 v[28:29], v[2:3], v[38:39], -v[28:29]
	v_add_f64 v[18:19], v[18:19], v[26:27]
	v_add_f64 v[20:21], v[22:23], v[20:21]
	v_fma_f64 v[24:25], v[4:5], v[38:39], v[24:25]
	ds_load_b128 v[2:5], v1 offset:1520
	s_waitcnt vmcnt(4) lgkmcnt(1)
	v_mul_f64 v[22:23], v[6:7], v[196:197]
	v_mul_f64 v[26:27], v[8:9], v[196:197]
	v_add_f64 v[18:19], v[18:19], v[30:31]
	v_add_f64 v[20:21], v[20:21], v[40:41]
	s_delay_alu instid0(VALU_DEP_4) | instskip(NEXT) | instid1(VALU_DEP_4)
	v_fma_f64 v[22:23], v[8:9], v[194:195], v[22:23]
	v_fma_f64 v[26:27], v[6:7], v[194:195], -v[26:27]
	ds_load_b128 v[6:9], v1 offset:1536
	s_waitcnt vmcnt(3) lgkmcnt(1)
	v_mul_f64 v[30:31], v[2:3], v[36:37]
	v_mul_f64 v[32:33], v[4:5], v[36:37]
	v_add_f64 v[18:19], v[18:19], v[28:29]
	v_add_f64 v[20:21], v[20:21], v[24:25]
	s_delay_alu instid0(VALU_DEP_4) | instskip(NEXT) | instid1(VALU_DEP_4)
	v_fma_f64 v[30:31], v[4:5], v[34:35], v[30:31]
	v_fma_f64 v[32:33], v[2:3], v[34:35], -v[32:33]
	ds_load_b128 v[2:5], v1 offset:1552
	s_waitcnt vmcnt(2) lgkmcnt(1)
	v_mul_f64 v[24:25], v[6:7], v[192:193]
	v_mul_f64 v[28:29], v[8:9], v[192:193]
	v_add_f64 v[18:19], v[18:19], v[26:27]
	v_add_f64 v[20:21], v[20:21], v[22:23]
	s_waitcnt vmcnt(1) lgkmcnt(0)
	v_mul_f64 v[22:23], v[2:3], v[12:13]
	v_mul_f64 v[12:13], v[4:5], v[12:13]
	v_fma_f64 v[8:9], v[8:9], v[190:191], v[24:25]
	v_fma_f64 v[6:7], v[6:7], v[190:191], -v[28:29]
	v_add_f64 v[18:19], v[18:19], v[32:33]
	v_add_f64 v[20:21], v[20:21], v[30:31]
	v_fma_f64 v[4:5], v[4:5], v[10:11], v[22:23]
	v_fma_f64 v[2:3], v[2:3], v[10:11], -v[12:13]
	s_delay_alu instid0(VALU_DEP_4) | instskip(NEXT) | instid1(VALU_DEP_4)
	v_add_f64 v[6:7], v[18:19], v[6:7]
	v_add_f64 v[8:9], v[20:21], v[8:9]
	s_delay_alu instid0(VALU_DEP_2) | instskip(NEXT) | instid1(VALU_DEP_2)
	v_add_f64 v[2:3], v[6:7], v[2:3]
	v_add_f64 v[4:5], v[8:9], v[4:5]
	s_waitcnt vmcnt(0)
	s_delay_alu instid0(VALU_DEP_2) | instskip(NEXT) | instid1(VALU_DEP_2)
	v_add_f64 v[2:3], v[14:15], -v[2:3]
	v_add_f64 v[4:5], v[16:17], -v[4:5]
	scratch_store_b128 off, v[2:5], off offset:560
	v_cmpx_lt_u32_e32 34, v140
	s_cbranch_execz .LBB48_239
; %bb.238:
	scratch_load_b128 v[5:8], v154, off
	v_mov_b32_e32 v2, v1
	v_mov_b32_e32 v3, v1
	;; [unrolled: 1-line block ×3, first 2 shown]
	scratch_store_b128 off, v[1:4], off offset:544
	s_waitcnt vmcnt(0)
	ds_store_b128 v189, v[5:8]
.LBB48_239:
	s_or_b32 exec_lo, exec_lo, s2
	s_waitcnt lgkmcnt(0)
	s_waitcnt_vscnt null, 0x0
	s_barrier
	buffer_gl0_inv
	s_clause 0x7
	scratch_load_b128 v[2:5], off, off offset:560
	scratch_load_b128 v[6:9], off, off offset:576
	;; [unrolled: 1-line block ×8, first 2 shown]
	ds_load_b128 v[34:37], v1 offset:1344
	ds_load_b128 v[190:193], v1 offset:1360
	s_clause 0x1
	scratch_load_b128 v[38:41], off, off offset:688
	scratch_load_b128 v[194:197], off, off offset:704
	s_mov_b32 s2, exec_lo
	s_waitcnt vmcnt(9) lgkmcnt(1)
	v_mul_f64 v[198:199], v[36:37], v[4:5]
	v_mul_f64 v[4:5], v[34:35], v[4:5]
	s_waitcnt vmcnt(8) lgkmcnt(0)
	v_mul_f64 v[200:201], v[190:191], v[8:9]
	v_mul_f64 v[8:9], v[192:193], v[8:9]
	s_delay_alu instid0(VALU_DEP_4) | instskip(NEXT) | instid1(VALU_DEP_4)
	v_fma_f64 v[198:199], v[34:35], v[2:3], -v[198:199]
	v_fma_f64 v[202:203], v[36:37], v[2:3], v[4:5]
	scratch_load_b128 v[34:37], off, off offset:720
	ds_load_b128 v[2:5], v1 offset:1376
	v_fma_f64 v[200:201], v[192:193], v[6:7], v[200:201]
	v_fma_f64 v[206:207], v[190:191], v[6:7], -v[8:9]
	ds_load_b128 v[6:9], v1 offset:1392
	scratch_load_b128 v[190:193], off, off offset:736
	s_waitcnt vmcnt(9) lgkmcnt(1)
	v_mul_f64 v[204:205], v[2:3], v[12:13]
	v_mul_f64 v[12:13], v[4:5], v[12:13]
	s_waitcnt vmcnt(8) lgkmcnt(0)
	v_mul_f64 v[208:209], v[6:7], v[16:17]
	v_mul_f64 v[16:17], v[8:9], v[16:17]
	v_add_f64 v[198:199], v[198:199], 0
	v_add_f64 v[202:203], v[202:203], 0
	v_fma_f64 v[204:205], v[4:5], v[10:11], v[204:205]
	v_fma_f64 v[210:211], v[2:3], v[10:11], -v[12:13]
	scratch_load_b128 v[10:13], off, off offset:752
	ds_load_b128 v[2:5], v1 offset:1408
	v_add_f64 v[198:199], v[198:199], v[206:207]
	v_add_f64 v[200:201], v[202:203], v[200:201]
	v_fma_f64 v[206:207], v[8:9], v[14:15], v[208:209]
	v_fma_f64 v[208:209], v[6:7], v[14:15], -v[16:17]
	ds_load_b128 v[6:9], v1 offset:1424
	scratch_load_b128 v[14:17], off, off offset:768
	s_waitcnt vmcnt(9) lgkmcnt(1)
	v_mul_f64 v[202:203], v[2:3], v[20:21]
	v_mul_f64 v[20:21], v[4:5], v[20:21]
	v_add_f64 v[198:199], v[198:199], v[210:211]
	v_add_f64 v[200:201], v[200:201], v[204:205]
	s_waitcnt vmcnt(8) lgkmcnt(0)
	v_mul_f64 v[204:205], v[6:7], v[24:25]
	v_mul_f64 v[24:25], v[8:9], v[24:25]
	v_fma_f64 v[202:203], v[4:5], v[18:19], v[202:203]
	v_fma_f64 v[18:19], v[2:3], v[18:19], -v[20:21]
	ds_load_b128 v[2:5], v1 offset:1440
	v_add_f64 v[20:21], v[198:199], v[208:209]
	v_add_f64 v[198:199], v[200:201], v[206:207]
	v_fma_f64 v[204:205], v[8:9], v[22:23], v[204:205]
	v_fma_f64 v[22:23], v[6:7], v[22:23], -v[24:25]
	ds_load_b128 v[6:9], v1 offset:1456
	s_waitcnt vmcnt(7) lgkmcnt(1)
	v_mul_f64 v[200:201], v[2:3], v[28:29]
	v_mul_f64 v[28:29], v[4:5], v[28:29]
	s_waitcnt vmcnt(6) lgkmcnt(0)
	v_mul_f64 v[24:25], v[6:7], v[32:33]
	v_mul_f64 v[32:33], v[8:9], v[32:33]
	v_add_f64 v[18:19], v[20:21], v[18:19]
	v_add_f64 v[20:21], v[198:199], v[202:203]
	v_fma_f64 v[198:199], v[4:5], v[26:27], v[200:201]
	v_fma_f64 v[26:27], v[2:3], v[26:27], -v[28:29]
	ds_load_b128 v[2:5], v1 offset:1472
	v_fma_f64 v[24:25], v[8:9], v[30:31], v[24:25]
	v_fma_f64 v[30:31], v[6:7], v[30:31], -v[32:33]
	ds_load_b128 v[6:9], v1 offset:1488
	v_add_f64 v[22:23], v[18:19], v[22:23]
	v_add_f64 v[28:29], v[20:21], v[204:205]
	scratch_load_b128 v[18:21], off, off offset:544
	s_waitcnt vmcnt(6) lgkmcnt(1)
	v_mul_f64 v[200:201], v[2:3], v[40:41]
	v_mul_f64 v[40:41], v[4:5], v[40:41]
	s_waitcnt vmcnt(5) lgkmcnt(0)
	v_mul_f64 v[32:33], v[8:9], v[196:197]
	v_add_f64 v[22:23], v[22:23], v[26:27]
	v_add_f64 v[26:27], v[28:29], v[198:199]
	v_mul_f64 v[28:29], v[6:7], v[196:197]
	v_fma_f64 v[196:197], v[4:5], v[38:39], v[200:201]
	v_fma_f64 v[38:39], v[2:3], v[38:39], -v[40:41]
	ds_load_b128 v[2:5], v1 offset:1504
	v_fma_f64 v[32:33], v[6:7], v[194:195], -v[32:33]
	v_add_f64 v[22:23], v[22:23], v[30:31]
	v_add_f64 v[24:25], v[26:27], v[24:25]
	v_fma_f64 v[28:29], v[8:9], v[194:195], v[28:29]
	ds_load_b128 v[6:9], v1 offset:1520
	s_waitcnt vmcnt(4) lgkmcnt(1)
	v_mul_f64 v[26:27], v[2:3], v[36:37]
	v_mul_f64 v[30:31], v[4:5], v[36:37]
	s_waitcnt vmcnt(3) lgkmcnt(0)
	v_mul_f64 v[36:37], v[6:7], v[192:193]
	v_add_f64 v[22:23], v[22:23], v[38:39]
	v_add_f64 v[24:25], v[24:25], v[196:197]
	v_mul_f64 v[38:39], v[8:9], v[192:193]
	v_fma_f64 v[26:27], v[4:5], v[34:35], v[26:27]
	v_fma_f64 v[30:31], v[2:3], v[34:35], -v[30:31]
	ds_load_b128 v[2:5], v1 offset:1536
	v_add_f64 v[22:23], v[22:23], v[32:33]
	v_add_f64 v[24:25], v[24:25], v[28:29]
	v_fma_f64 v[32:33], v[8:9], v[190:191], v[36:37]
	v_fma_f64 v[34:35], v[6:7], v[190:191], -v[38:39]
	ds_load_b128 v[6:9], v1 offset:1552
	s_waitcnt vmcnt(2) lgkmcnt(1)
	v_mul_f64 v[28:29], v[2:3], v[12:13]
	v_mul_f64 v[12:13], v[4:5], v[12:13]
	v_add_f64 v[22:23], v[22:23], v[30:31]
	v_add_f64 v[24:25], v[24:25], v[26:27]
	s_waitcnt vmcnt(1) lgkmcnt(0)
	v_mul_f64 v[26:27], v[6:7], v[16:17]
	v_mul_f64 v[16:17], v[8:9], v[16:17]
	v_fma_f64 v[4:5], v[4:5], v[10:11], v[28:29]
	v_fma_f64 v[1:2], v[2:3], v[10:11], -v[12:13]
	v_add_f64 v[10:11], v[22:23], v[34:35]
	v_add_f64 v[12:13], v[24:25], v[32:33]
	v_fma_f64 v[8:9], v[8:9], v[14:15], v[26:27]
	v_fma_f64 v[6:7], v[6:7], v[14:15], -v[16:17]
	s_delay_alu instid0(VALU_DEP_4) | instskip(NEXT) | instid1(VALU_DEP_4)
	v_add_f64 v[1:2], v[10:11], v[1:2]
	v_add_f64 v[3:4], v[12:13], v[4:5]
	s_delay_alu instid0(VALU_DEP_2) | instskip(NEXT) | instid1(VALU_DEP_2)
	v_add_f64 v[1:2], v[1:2], v[6:7]
	v_add_f64 v[3:4], v[3:4], v[8:9]
	s_waitcnt vmcnt(0)
	s_delay_alu instid0(VALU_DEP_2) | instskip(NEXT) | instid1(VALU_DEP_2)
	v_add_f64 v[1:2], v[18:19], -v[1:2]
	v_add_f64 v[3:4], v[20:21], -v[3:4]
	scratch_store_b128 off, v[1:4], off offset:544
	v_cmpx_lt_u32_e32 33, v140
	s_cbranch_execz .LBB48_241
; %bb.240:
	scratch_load_b128 v[1:4], v155, off
	v_mov_b32_e32 v5, 0
	s_delay_alu instid0(VALU_DEP_1)
	v_mov_b32_e32 v6, v5
	v_mov_b32_e32 v7, v5
	;; [unrolled: 1-line block ×3, first 2 shown]
	scratch_store_b128 off, v[5:8], off offset:528
	s_waitcnt vmcnt(0)
	ds_store_b128 v189, v[1:4]
.LBB48_241:
	s_or_b32 exec_lo, exec_lo, s2
	s_waitcnt lgkmcnt(0)
	s_waitcnt_vscnt null, 0x0
	s_barrier
	buffer_gl0_inv
	s_clause 0x7
	scratch_load_b128 v[2:5], off, off offset:544
	scratch_load_b128 v[6:9], off, off offset:560
	;; [unrolled: 1-line block ×8, first 2 shown]
	v_mov_b32_e32 v1, 0
	s_clause 0x1
	scratch_load_b128 v[38:41], off, off offset:672
	scratch_load_b128 v[194:197], off, off offset:688
	s_mov_b32 s2, exec_lo
	ds_load_b128 v[34:37], v1 offset:1328
	ds_load_b128 v[190:193], v1 offset:1344
	s_waitcnt vmcnt(9) lgkmcnt(1)
	v_mul_f64 v[198:199], v[36:37], v[4:5]
	v_mul_f64 v[4:5], v[34:35], v[4:5]
	s_waitcnt vmcnt(8) lgkmcnt(0)
	v_mul_f64 v[200:201], v[190:191], v[8:9]
	v_mul_f64 v[8:9], v[192:193], v[8:9]
	s_delay_alu instid0(VALU_DEP_4) | instskip(NEXT) | instid1(VALU_DEP_4)
	v_fma_f64 v[198:199], v[34:35], v[2:3], -v[198:199]
	v_fma_f64 v[202:203], v[36:37], v[2:3], v[4:5]
	ds_load_b128 v[2:5], v1 offset:1360
	scratch_load_b128 v[34:37], off, off offset:704
	v_fma_f64 v[200:201], v[192:193], v[6:7], v[200:201]
	v_fma_f64 v[206:207], v[190:191], v[6:7], -v[8:9]
	ds_load_b128 v[6:9], v1 offset:1376
	scratch_load_b128 v[190:193], off, off offset:720
	s_waitcnt vmcnt(9) lgkmcnt(1)
	v_mul_f64 v[204:205], v[2:3], v[12:13]
	v_mul_f64 v[12:13], v[4:5], v[12:13]
	s_waitcnt vmcnt(8) lgkmcnt(0)
	v_mul_f64 v[208:209], v[6:7], v[16:17]
	v_mul_f64 v[16:17], v[8:9], v[16:17]
	v_add_f64 v[198:199], v[198:199], 0
	v_add_f64 v[202:203], v[202:203], 0
	v_fma_f64 v[204:205], v[4:5], v[10:11], v[204:205]
	v_fma_f64 v[210:211], v[2:3], v[10:11], -v[12:13]
	scratch_load_b128 v[10:13], off, off offset:736
	ds_load_b128 v[2:5], v1 offset:1392
	v_add_f64 v[198:199], v[198:199], v[206:207]
	v_add_f64 v[200:201], v[202:203], v[200:201]
	v_fma_f64 v[206:207], v[8:9], v[14:15], v[208:209]
	v_fma_f64 v[208:209], v[6:7], v[14:15], -v[16:17]
	ds_load_b128 v[6:9], v1 offset:1408
	scratch_load_b128 v[14:17], off, off offset:752
	s_waitcnt vmcnt(9) lgkmcnt(1)
	v_mul_f64 v[202:203], v[2:3], v[20:21]
	v_mul_f64 v[20:21], v[4:5], v[20:21]
	v_add_f64 v[198:199], v[198:199], v[210:211]
	v_add_f64 v[200:201], v[200:201], v[204:205]
	s_waitcnt vmcnt(8) lgkmcnt(0)
	v_mul_f64 v[204:205], v[6:7], v[24:25]
	v_mul_f64 v[24:25], v[8:9], v[24:25]
	v_fma_f64 v[202:203], v[4:5], v[18:19], v[202:203]
	v_fma_f64 v[210:211], v[2:3], v[18:19], -v[20:21]
	scratch_load_b128 v[18:21], off, off offset:768
	ds_load_b128 v[2:5], v1 offset:1424
	v_add_f64 v[198:199], v[198:199], v[208:209]
	v_add_f64 v[200:201], v[200:201], v[206:207]
	v_fma_f64 v[204:205], v[8:9], v[22:23], v[204:205]
	v_fma_f64 v[22:23], v[6:7], v[22:23], -v[24:25]
	ds_load_b128 v[6:9], v1 offset:1440
	s_waitcnt vmcnt(8) lgkmcnt(1)
	v_mul_f64 v[206:207], v[2:3], v[28:29]
	v_mul_f64 v[28:29], v[4:5], v[28:29]
	v_add_f64 v[24:25], v[198:199], v[210:211]
	v_add_f64 v[198:199], v[200:201], v[202:203]
	s_waitcnt vmcnt(7) lgkmcnt(0)
	v_mul_f64 v[200:201], v[6:7], v[32:33]
	v_mul_f64 v[32:33], v[8:9], v[32:33]
	v_fma_f64 v[202:203], v[4:5], v[26:27], v[206:207]
	v_fma_f64 v[26:27], v[2:3], v[26:27], -v[28:29]
	ds_load_b128 v[2:5], v1 offset:1456
	v_add_f64 v[22:23], v[24:25], v[22:23]
	v_add_f64 v[24:25], v[198:199], v[204:205]
	v_fma_f64 v[198:199], v[8:9], v[30:31], v[200:201]
	v_fma_f64 v[30:31], v[6:7], v[30:31], -v[32:33]
	ds_load_b128 v[6:9], v1 offset:1472
	s_waitcnt vmcnt(5) lgkmcnt(0)
	v_mul_f64 v[200:201], v[6:7], v[196:197]
	v_mul_f64 v[196:197], v[8:9], v[196:197]
	v_add_f64 v[26:27], v[22:23], v[26:27]
	v_add_f64 v[32:33], v[24:25], v[202:203]
	scratch_load_b128 v[22:25], off, off offset:528
	v_mul_f64 v[28:29], v[2:3], v[40:41]
	v_mul_f64 v[40:41], v[4:5], v[40:41]
	v_add_f64 v[26:27], v[26:27], v[30:31]
	v_add_f64 v[30:31], v[32:33], v[198:199]
	s_delay_alu instid0(VALU_DEP_4) | instskip(NEXT) | instid1(VALU_DEP_4)
	v_fma_f64 v[28:29], v[4:5], v[38:39], v[28:29]
	v_fma_f64 v[38:39], v[2:3], v[38:39], -v[40:41]
	ds_load_b128 v[2:5], v1 offset:1488
	v_fma_f64 v[40:41], v[8:9], v[194:195], v[200:201]
	v_fma_f64 v[194:195], v[6:7], v[194:195], -v[196:197]
	ds_load_b128 v[6:9], v1 offset:1504
	s_waitcnt vmcnt(5) lgkmcnt(1)
	v_mul_f64 v[32:33], v[2:3], v[36:37]
	v_mul_f64 v[36:37], v[4:5], v[36:37]
	v_add_f64 v[28:29], v[30:31], v[28:29]
	v_add_f64 v[26:27], v[26:27], v[38:39]
	s_waitcnt vmcnt(4) lgkmcnt(0)
	v_mul_f64 v[30:31], v[6:7], v[192:193]
	v_mul_f64 v[38:39], v[8:9], v[192:193]
	v_fma_f64 v[32:33], v[4:5], v[34:35], v[32:33]
	v_fma_f64 v[34:35], v[2:3], v[34:35], -v[36:37]
	ds_load_b128 v[2:5], v1 offset:1520
	v_add_f64 v[28:29], v[28:29], v[40:41]
	v_add_f64 v[26:27], v[26:27], v[194:195]
	v_fma_f64 v[30:31], v[8:9], v[190:191], v[30:31]
	v_fma_f64 v[38:39], v[6:7], v[190:191], -v[38:39]
	ds_load_b128 v[6:9], v1 offset:1536
	s_waitcnt vmcnt(3) lgkmcnt(1)
	v_mul_f64 v[36:37], v[2:3], v[12:13]
	v_mul_f64 v[12:13], v[4:5], v[12:13]
	v_add_f64 v[28:29], v[28:29], v[32:33]
	v_add_f64 v[26:27], v[26:27], v[34:35]
	s_waitcnt vmcnt(2) lgkmcnt(0)
	v_mul_f64 v[32:33], v[6:7], v[16:17]
	v_mul_f64 v[16:17], v[8:9], v[16:17]
	v_fma_f64 v[34:35], v[4:5], v[10:11], v[36:37]
	v_fma_f64 v[10:11], v[2:3], v[10:11], -v[12:13]
	ds_load_b128 v[2:5], v1 offset:1552
	v_add_f64 v[12:13], v[26:27], v[38:39]
	v_add_f64 v[26:27], v[28:29], v[30:31]
	s_waitcnt vmcnt(1) lgkmcnt(0)
	v_mul_f64 v[28:29], v[2:3], v[20:21]
	v_mul_f64 v[20:21], v[4:5], v[20:21]
	v_fma_f64 v[8:9], v[8:9], v[14:15], v[32:33]
	v_fma_f64 v[6:7], v[6:7], v[14:15], -v[16:17]
	v_add_f64 v[10:11], v[12:13], v[10:11]
	v_add_f64 v[12:13], v[26:27], v[34:35]
	v_fma_f64 v[4:5], v[4:5], v[18:19], v[28:29]
	v_fma_f64 v[2:3], v[2:3], v[18:19], -v[20:21]
	s_delay_alu instid0(VALU_DEP_4) | instskip(NEXT) | instid1(VALU_DEP_4)
	v_add_f64 v[6:7], v[10:11], v[6:7]
	v_add_f64 v[8:9], v[12:13], v[8:9]
	s_delay_alu instid0(VALU_DEP_2) | instskip(NEXT) | instid1(VALU_DEP_2)
	v_add_f64 v[2:3], v[6:7], v[2:3]
	v_add_f64 v[4:5], v[8:9], v[4:5]
	s_waitcnt vmcnt(0)
	s_delay_alu instid0(VALU_DEP_2) | instskip(NEXT) | instid1(VALU_DEP_2)
	v_add_f64 v[2:3], v[22:23], -v[2:3]
	v_add_f64 v[4:5], v[24:25], -v[4:5]
	scratch_store_b128 off, v[2:5], off offset:528
	v_cmpx_lt_u32_e32 32, v140
	s_cbranch_execz .LBB48_243
; %bb.242:
	scratch_load_b128 v[5:8], v157, off
	v_mov_b32_e32 v2, v1
	v_mov_b32_e32 v3, v1
	;; [unrolled: 1-line block ×3, first 2 shown]
	scratch_store_b128 off, v[1:4], off offset:512
	s_waitcnt vmcnt(0)
	ds_store_b128 v189, v[5:8]
.LBB48_243:
	s_or_b32 exec_lo, exec_lo, s2
	s_waitcnt lgkmcnt(0)
	s_waitcnt_vscnt null, 0x0
	s_barrier
	buffer_gl0_inv
	s_clause 0x7
	scratch_load_b128 v[2:5], off, off offset:528
	scratch_load_b128 v[6:9], off, off offset:544
	;; [unrolled: 1-line block ×8, first 2 shown]
	ds_load_b128 v[34:37], v1 offset:1312
	ds_load_b128 v[190:193], v1 offset:1328
	s_clause 0x1
	scratch_load_b128 v[38:41], off, off offset:656
	scratch_load_b128 v[194:197], off, off offset:672
	s_mov_b32 s2, exec_lo
	s_waitcnt vmcnt(9) lgkmcnt(1)
	v_mul_f64 v[198:199], v[36:37], v[4:5]
	v_mul_f64 v[4:5], v[34:35], v[4:5]
	s_waitcnt vmcnt(8) lgkmcnt(0)
	v_mul_f64 v[200:201], v[190:191], v[8:9]
	v_mul_f64 v[8:9], v[192:193], v[8:9]
	s_delay_alu instid0(VALU_DEP_4) | instskip(NEXT) | instid1(VALU_DEP_4)
	v_fma_f64 v[198:199], v[34:35], v[2:3], -v[198:199]
	v_fma_f64 v[202:203], v[36:37], v[2:3], v[4:5]
	ds_load_b128 v[2:5], v1 offset:1344
	scratch_load_b128 v[34:37], off, off offset:688
	v_fma_f64 v[200:201], v[192:193], v[6:7], v[200:201]
	v_fma_f64 v[206:207], v[190:191], v[6:7], -v[8:9]
	ds_load_b128 v[6:9], v1 offset:1360
	scratch_load_b128 v[190:193], off, off offset:704
	s_waitcnt vmcnt(9) lgkmcnt(1)
	v_mul_f64 v[204:205], v[2:3], v[12:13]
	v_mul_f64 v[12:13], v[4:5], v[12:13]
	s_waitcnt vmcnt(8) lgkmcnt(0)
	v_mul_f64 v[208:209], v[6:7], v[16:17]
	v_mul_f64 v[16:17], v[8:9], v[16:17]
	v_add_f64 v[198:199], v[198:199], 0
	v_add_f64 v[202:203], v[202:203], 0
	v_fma_f64 v[204:205], v[4:5], v[10:11], v[204:205]
	v_fma_f64 v[210:211], v[2:3], v[10:11], -v[12:13]
	scratch_load_b128 v[10:13], off, off offset:720
	ds_load_b128 v[2:5], v1 offset:1376
	v_add_f64 v[198:199], v[198:199], v[206:207]
	v_add_f64 v[200:201], v[202:203], v[200:201]
	v_fma_f64 v[206:207], v[8:9], v[14:15], v[208:209]
	v_fma_f64 v[208:209], v[6:7], v[14:15], -v[16:17]
	ds_load_b128 v[6:9], v1 offset:1392
	scratch_load_b128 v[14:17], off, off offset:736
	s_waitcnt vmcnt(9) lgkmcnt(1)
	v_mul_f64 v[202:203], v[2:3], v[20:21]
	v_mul_f64 v[20:21], v[4:5], v[20:21]
	v_add_f64 v[198:199], v[198:199], v[210:211]
	v_add_f64 v[200:201], v[200:201], v[204:205]
	s_waitcnt vmcnt(8) lgkmcnt(0)
	v_mul_f64 v[204:205], v[6:7], v[24:25]
	v_mul_f64 v[24:25], v[8:9], v[24:25]
	v_fma_f64 v[202:203], v[4:5], v[18:19], v[202:203]
	v_fma_f64 v[210:211], v[2:3], v[18:19], -v[20:21]
	scratch_load_b128 v[18:21], off, off offset:752
	ds_load_b128 v[2:5], v1 offset:1408
	v_add_f64 v[198:199], v[198:199], v[208:209]
	v_add_f64 v[200:201], v[200:201], v[206:207]
	v_fma_f64 v[204:205], v[8:9], v[22:23], v[204:205]
	v_fma_f64 v[208:209], v[6:7], v[22:23], -v[24:25]
	ds_load_b128 v[6:9], v1 offset:1424
	s_waitcnt vmcnt(8) lgkmcnt(1)
	v_mul_f64 v[206:207], v[2:3], v[28:29]
	v_mul_f64 v[28:29], v[4:5], v[28:29]
	scratch_load_b128 v[22:25], off, off offset:768
	v_add_f64 v[198:199], v[198:199], v[210:211]
	v_add_f64 v[200:201], v[200:201], v[202:203]
	s_waitcnt vmcnt(8) lgkmcnt(0)
	v_mul_f64 v[202:203], v[6:7], v[32:33]
	v_mul_f64 v[32:33], v[8:9], v[32:33]
	v_fma_f64 v[206:207], v[4:5], v[26:27], v[206:207]
	v_fma_f64 v[26:27], v[2:3], v[26:27], -v[28:29]
	ds_load_b128 v[2:5], v1 offset:1440
	v_add_f64 v[28:29], v[198:199], v[208:209]
	v_add_f64 v[198:199], v[200:201], v[204:205]
	v_fma_f64 v[202:203], v[8:9], v[30:31], v[202:203]
	v_fma_f64 v[30:31], v[6:7], v[30:31], -v[32:33]
	ds_load_b128 v[6:9], v1 offset:1456
	s_waitcnt vmcnt(7) lgkmcnt(1)
	v_mul_f64 v[200:201], v[2:3], v[40:41]
	v_mul_f64 v[40:41], v[4:5], v[40:41]
	v_add_f64 v[26:27], v[28:29], v[26:27]
	v_add_f64 v[28:29], v[198:199], v[206:207]
	s_delay_alu instid0(VALU_DEP_4) | instskip(NEXT) | instid1(VALU_DEP_4)
	v_fma_f64 v[198:199], v[4:5], v[38:39], v[200:201]
	v_fma_f64 v[38:39], v[2:3], v[38:39], -v[40:41]
	ds_load_b128 v[2:5], v1 offset:1472
	v_add_f64 v[30:31], v[26:27], v[30:31]
	v_add_f64 v[40:41], v[28:29], v[202:203]
	scratch_load_b128 v[26:29], off, off offset:512
	s_waitcnt vmcnt(7) lgkmcnt(1)
	v_mul_f64 v[32:33], v[6:7], v[196:197]
	v_mul_f64 v[196:197], v[8:9], v[196:197]
	v_add_f64 v[30:31], v[30:31], v[38:39]
	v_add_f64 v[38:39], v[40:41], v[198:199]
	s_delay_alu instid0(VALU_DEP_4) | instskip(NEXT) | instid1(VALU_DEP_4)
	v_fma_f64 v[32:33], v[8:9], v[194:195], v[32:33]
	v_fma_f64 v[194:195], v[6:7], v[194:195], -v[196:197]
	ds_load_b128 v[6:9], v1 offset:1488
	s_waitcnt vmcnt(6) lgkmcnt(1)
	v_mul_f64 v[200:201], v[2:3], v[36:37]
	v_mul_f64 v[36:37], v[4:5], v[36:37]
	s_waitcnt vmcnt(5) lgkmcnt(0)
	v_mul_f64 v[40:41], v[6:7], v[192:193]
	v_mul_f64 v[192:193], v[8:9], v[192:193]
	v_add_f64 v[32:33], v[38:39], v[32:33]
	v_add_f64 v[30:31], v[30:31], v[194:195]
	v_fma_f64 v[196:197], v[4:5], v[34:35], v[200:201]
	v_fma_f64 v[34:35], v[2:3], v[34:35], -v[36:37]
	ds_load_b128 v[2:5], v1 offset:1504
	v_fma_f64 v[38:39], v[8:9], v[190:191], v[40:41]
	v_fma_f64 v[40:41], v[6:7], v[190:191], -v[192:193]
	ds_load_b128 v[6:9], v1 offset:1520
	s_waitcnt vmcnt(4) lgkmcnt(1)
	v_mul_f64 v[36:37], v[2:3], v[12:13]
	v_mul_f64 v[12:13], v[4:5], v[12:13]
	v_add_f64 v[32:33], v[32:33], v[196:197]
	v_add_f64 v[30:31], v[30:31], v[34:35]
	s_waitcnt vmcnt(3) lgkmcnt(0)
	v_mul_f64 v[34:35], v[6:7], v[16:17]
	v_mul_f64 v[16:17], v[8:9], v[16:17]
	v_fma_f64 v[36:37], v[4:5], v[10:11], v[36:37]
	v_fma_f64 v[10:11], v[2:3], v[10:11], -v[12:13]
	ds_load_b128 v[2:5], v1 offset:1536
	v_add_f64 v[12:13], v[30:31], v[40:41]
	v_add_f64 v[30:31], v[32:33], v[38:39]
	v_fma_f64 v[34:35], v[8:9], v[14:15], v[34:35]
	v_fma_f64 v[14:15], v[6:7], v[14:15], -v[16:17]
	ds_load_b128 v[6:9], v1 offset:1552
	s_waitcnt vmcnt(2) lgkmcnt(1)
	v_mul_f64 v[32:33], v[2:3], v[20:21]
	v_mul_f64 v[20:21], v[4:5], v[20:21]
	s_waitcnt vmcnt(1) lgkmcnt(0)
	v_mul_f64 v[16:17], v[6:7], v[24:25]
	v_mul_f64 v[24:25], v[8:9], v[24:25]
	v_add_f64 v[10:11], v[12:13], v[10:11]
	v_add_f64 v[12:13], v[30:31], v[36:37]
	v_fma_f64 v[4:5], v[4:5], v[18:19], v[32:33]
	v_fma_f64 v[1:2], v[2:3], v[18:19], -v[20:21]
	v_fma_f64 v[8:9], v[8:9], v[22:23], v[16:17]
	v_fma_f64 v[6:7], v[6:7], v[22:23], -v[24:25]
	v_add_f64 v[10:11], v[10:11], v[14:15]
	v_add_f64 v[12:13], v[12:13], v[34:35]
	s_delay_alu instid0(VALU_DEP_2) | instskip(NEXT) | instid1(VALU_DEP_2)
	v_add_f64 v[1:2], v[10:11], v[1:2]
	v_add_f64 v[3:4], v[12:13], v[4:5]
	s_delay_alu instid0(VALU_DEP_2) | instskip(NEXT) | instid1(VALU_DEP_2)
	v_add_f64 v[1:2], v[1:2], v[6:7]
	v_add_f64 v[3:4], v[3:4], v[8:9]
	s_waitcnt vmcnt(0)
	s_delay_alu instid0(VALU_DEP_2) | instskip(NEXT) | instid1(VALU_DEP_2)
	v_add_f64 v[1:2], v[26:27], -v[1:2]
	v_add_f64 v[3:4], v[28:29], -v[3:4]
	scratch_store_b128 off, v[1:4], off offset:512
	v_cmpx_lt_u32_e32 31, v140
	s_cbranch_execz .LBB48_245
; %bb.244:
	scratch_load_b128 v[1:4], v158, off
	v_mov_b32_e32 v5, 0
	s_delay_alu instid0(VALU_DEP_1)
	v_mov_b32_e32 v6, v5
	v_mov_b32_e32 v7, v5
	;; [unrolled: 1-line block ×3, first 2 shown]
	scratch_store_b128 off, v[5:8], off offset:496
	s_waitcnt vmcnt(0)
	ds_store_b128 v189, v[1:4]
.LBB48_245:
	s_or_b32 exec_lo, exec_lo, s2
	s_waitcnt lgkmcnt(0)
	s_waitcnt_vscnt null, 0x0
	s_barrier
	buffer_gl0_inv
	s_clause 0x7
	scratch_load_b128 v[2:5], off, off offset:512
	scratch_load_b128 v[6:9], off, off offset:528
	;; [unrolled: 1-line block ×8, first 2 shown]
	v_mov_b32_e32 v1, 0
	s_clause 0x1
	scratch_load_b128 v[38:41], off, off offset:640
	scratch_load_b128 v[194:197], off, off offset:656
	s_mov_b32 s2, exec_lo
	ds_load_b128 v[34:37], v1 offset:1296
	ds_load_b128 v[190:193], v1 offset:1312
	s_waitcnt vmcnt(9) lgkmcnt(1)
	v_mul_f64 v[198:199], v[36:37], v[4:5]
	v_mul_f64 v[4:5], v[34:35], v[4:5]
	s_waitcnt vmcnt(8) lgkmcnt(0)
	v_mul_f64 v[200:201], v[190:191], v[8:9]
	v_mul_f64 v[8:9], v[192:193], v[8:9]
	s_delay_alu instid0(VALU_DEP_4) | instskip(NEXT) | instid1(VALU_DEP_4)
	v_fma_f64 v[198:199], v[34:35], v[2:3], -v[198:199]
	v_fma_f64 v[202:203], v[36:37], v[2:3], v[4:5]
	ds_load_b128 v[2:5], v1 offset:1328
	scratch_load_b128 v[34:37], off, off offset:672
	v_fma_f64 v[200:201], v[192:193], v[6:7], v[200:201]
	v_fma_f64 v[206:207], v[190:191], v[6:7], -v[8:9]
	ds_load_b128 v[6:9], v1 offset:1344
	scratch_load_b128 v[190:193], off, off offset:688
	s_waitcnt vmcnt(9) lgkmcnt(1)
	v_mul_f64 v[204:205], v[2:3], v[12:13]
	v_mul_f64 v[12:13], v[4:5], v[12:13]
	s_waitcnt vmcnt(8) lgkmcnt(0)
	v_mul_f64 v[208:209], v[6:7], v[16:17]
	v_mul_f64 v[16:17], v[8:9], v[16:17]
	v_add_f64 v[198:199], v[198:199], 0
	v_add_f64 v[202:203], v[202:203], 0
	v_fma_f64 v[204:205], v[4:5], v[10:11], v[204:205]
	v_fma_f64 v[210:211], v[2:3], v[10:11], -v[12:13]
	scratch_load_b128 v[10:13], off, off offset:704
	ds_load_b128 v[2:5], v1 offset:1360
	v_add_f64 v[198:199], v[198:199], v[206:207]
	v_add_f64 v[200:201], v[202:203], v[200:201]
	v_fma_f64 v[206:207], v[8:9], v[14:15], v[208:209]
	v_fma_f64 v[208:209], v[6:7], v[14:15], -v[16:17]
	ds_load_b128 v[6:9], v1 offset:1376
	scratch_load_b128 v[14:17], off, off offset:720
	s_waitcnt vmcnt(9) lgkmcnt(1)
	v_mul_f64 v[202:203], v[2:3], v[20:21]
	v_mul_f64 v[20:21], v[4:5], v[20:21]
	v_add_f64 v[198:199], v[198:199], v[210:211]
	v_add_f64 v[200:201], v[200:201], v[204:205]
	s_waitcnt vmcnt(8) lgkmcnt(0)
	v_mul_f64 v[204:205], v[6:7], v[24:25]
	v_mul_f64 v[24:25], v[8:9], v[24:25]
	v_fma_f64 v[202:203], v[4:5], v[18:19], v[202:203]
	v_fma_f64 v[210:211], v[2:3], v[18:19], -v[20:21]
	scratch_load_b128 v[18:21], off, off offset:736
	ds_load_b128 v[2:5], v1 offset:1392
	v_add_f64 v[198:199], v[198:199], v[208:209]
	v_add_f64 v[200:201], v[200:201], v[206:207]
	v_fma_f64 v[204:205], v[8:9], v[22:23], v[204:205]
	v_fma_f64 v[208:209], v[6:7], v[22:23], -v[24:25]
	ds_load_b128 v[6:9], v1 offset:1408
	s_waitcnt vmcnt(8) lgkmcnt(1)
	v_mul_f64 v[206:207], v[2:3], v[28:29]
	v_mul_f64 v[28:29], v[4:5], v[28:29]
	scratch_load_b128 v[22:25], off, off offset:752
	v_add_f64 v[198:199], v[198:199], v[210:211]
	v_add_f64 v[200:201], v[200:201], v[202:203]
	s_waitcnt vmcnt(8) lgkmcnt(0)
	v_mul_f64 v[202:203], v[6:7], v[32:33]
	v_mul_f64 v[32:33], v[8:9], v[32:33]
	v_fma_f64 v[206:207], v[4:5], v[26:27], v[206:207]
	v_fma_f64 v[210:211], v[2:3], v[26:27], -v[28:29]
	scratch_load_b128 v[26:29], off, off offset:768
	ds_load_b128 v[2:5], v1 offset:1424
	v_add_f64 v[198:199], v[198:199], v[208:209]
	v_add_f64 v[200:201], v[200:201], v[204:205]
	v_fma_f64 v[202:203], v[8:9], v[30:31], v[202:203]
	v_fma_f64 v[30:31], v[6:7], v[30:31], -v[32:33]
	ds_load_b128 v[6:9], v1 offset:1440
	s_waitcnt vmcnt(8) lgkmcnt(1)
	v_mul_f64 v[204:205], v[2:3], v[40:41]
	v_mul_f64 v[40:41], v[4:5], v[40:41]
	v_add_f64 v[32:33], v[198:199], v[210:211]
	v_add_f64 v[198:199], v[200:201], v[206:207]
	s_waitcnt vmcnt(7) lgkmcnt(0)
	v_mul_f64 v[200:201], v[6:7], v[196:197]
	v_mul_f64 v[196:197], v[8:9], v[196:197]
	v_fma_f64 v[204:205], v[4:5], v[38:39], v[204:205]
	v_fma_f64 v[38:39], v[2:3], v[38:39], -v[40:41]
	ds_load_b128 v[2:5], v1 offset:1456
	v_add_f64 v[30:31], v[32:33], v[30:31]
	v_add_f64 v[32:33], v[198:199], v[202:203]
	v_fma_f64 v[198:199], v[8:9], v[194:195], v[200:201]
	v_fma_f64 v[194:195], v[6:7], v[194:195], -v[196:197]
	ds_load_b128 v[6:9], v1 offset:1472
	s_waitcnt vmcnt(5) lgkmcnt(0)
	v_mul_f64 v[200:201], v[6:7], v[192:193]
	v_mul_f64 v[192:193], v[8:9], v[192:193]
	v_add_f64 v[38:39], v[30:31], v[38:39]
	v_add_f64 v[196:197], v[32:33], v[204:205]
	scratch_load_b128 v[30:33], off, off offset:496
	v_mul_f64 v[40:41], v[2:3], v[36:37]
	v_mul_f64 v[36:37], v[4:5], v[36:37]
	s_delay_alu instid0(VALU_DEP_2) | instskip(NEXT) | instid1(VALU_DEP_2)
	v_fma_f64 v[40:41], v[4:5], v[34:35], v[40:41]
	v_fma_f64 v[34:35], v[2:3], v[34:35], -v[36:37]
	v_add_f64 v[36:37], v[38:39], v[194:195]
	v_add_f64 v[38:39], v[196:197], v[198:199]
	ds_load_b128 v[2:5], v1 offset:1488
	v_fma_f64 v[196:197], v[8:9], v[190:191], v[200:201]
	v_fma_f64 v[190:191], v[6:7], v[190:191], -v[192:193]
	ds_load_b128 v[6:9], v1 offset:1504
	s_waitcnt vmcnt(5) lgkmcnt(1)
	v_mul_f64 v[194:195], v[2:3], v[12:13]
	v_mul_f64 v[12:13], v[4:5], v[12:13]
	v_add_f64 v[34:35], v[36:37], v[34:35]
	v_add_f64 v[36:37], v[38:39], v[40:41]
	s_waitcnt vmcnt(4) lgkmcnt(0)
	v_mul_f64 v[38:39], v[6:7], v[16:17]
	v_mul_f64 v[16:17], v[8:9], v[16:17]
	v_fma_f64 v[40:41], v[4:5], v[10:11], v[194:195]
	v_fma_f64 v[10:11], v[2:3], v[10:11], -v[12:13]
	ds_load_b128 v[2:5], v1 offset:1520
	v_add_f64 v[12:13], v[34:35], v[190:191]
	v_add_f64 v[34:35], v[36:37], v[196:197]
	v_fma_f64 v[38:39], v[8:9], v[14:15], v[38:39]
	v_fma_f64 v[14:15], v[6:7], v[14:15], -v[16:17]
	ds_load_b128 v[6:9], v1 offset:1536
	s_waitcnt vmcnt(3) lgkmcnt(1)
	v_mul_f64 v[36:37], v[2:3], v[20:21]
	v_mul_f64 v[20:21], v[4:5], v[20:21]
	s_waitcnt vmcnt(2) lgkmcnt(0)
	v_mul_f64 v[16:17], v[6:7], v[24:25]
	v_mul_f64 v[24:25], v[8:9], v[24:25]
	v_add_f64 v[10:11], v[12:13], v[10:11]
	v_add_f64 v[12:13], v[34:35], v[40:41]
	v_fma_f64 v[34:35], v[4:5], v[18:19], v[36:37]
	v_fma_f64 v[18:19], v[2:3], v[18:19], -v[20:21]
	ds_load_b128 v[2:5], v1 offset:1552
	v_fma_f64 v[8:9], v[8:9], v[22:23], v[16:17]
	v_fma_f64 v[6:7], v[6:7], v[22:23], -v[24:25]
	s_waitcnt vmcnt(1) lgkmcnt(0)
	v_mul_f64 v[20:21], v[4:5], v[28:29]
	v_add_f64 v[10:11], v[10:11], v[14:15]
	v_add_f64 v[12:13], v[12:13], v[38:39]
	v_mul_f64 v[14:15], v[2:3], v[28:29]
	s_delay_alu instid0(VALU_DEP_4) | instskip(NEXT) | instid1(VALU_DEP_4)
	v_fma_f64 v[2:3], v[2:3], v[26:27], -v[20:21]
	v_add_f64 v[10:11], v[10:11], v[18:19]
	s_delay_alu instid0(VALU_DEP_4) | instskip(NEXT) | instid1(VALU_DEP_4)
	v_add_f64 v[12:13], v[12:13], v[34:35]
	v_fma_f64 v[4:5], v[4:5], v[26:27], v[14:15]
	s_delay_alu instid0(VALU_DEP_3) | instskip(NEXT) | instid1(VALU_DEP_3)
	v_add_f64 v[6:7], v[10:11], v[6:7]
	v_add_f64 v[8:9], v[12:13], v[8:9]
	s_delay_alu instid0(VALU_DEP_2) | instskip(NEXT) | instid1(VALU_DEP_2)
	v_add_f64 v[2:3], v[6:7], v[2:3]
	v_add_f64 v[4:5], v[8:9], v[4:5]
	s_waitcnt vmcnt(0)
	s_delay_alu instid0(VALU_DEP_2) | instskip(NEXT) | instid1(VALU_DEP_2)
	v_add_f64 v[2:3], v[30:31], -v[2:3]
	v_add_f64 v[4:5], v[32:33], -v[4:5]
	scratch_store_b128 off, v[2:5], off offset:496
	v_cmpx_lt_u32_e32 30, v140
	s_cbranch_execz .LBB48_247
; %bb.246:
	scratch_load_b128 v[5:8], v159, off
	v_mov_b32_e32 v2, v1
	v_mov_b32_e32 v3, v1
	;; [unrolled: 1-line block ×3, first 2 shown]
	scratch_store_b128 off, v[1:4], off offset:480
	s_waitcnt vmcnt(0)
	ds_store_b128 v189, v[5:8]
.LBB48_247:
	s_or_b32 exec_lo, exec_lo, s2
	s_waitcnt lgkmcnt(0)
	s_waitcnt_vscnt null, 0x0
	s_barrier
	buffer_gl0_inv
	s_clause 0x7
	scratch_load_b128 v[2:5], off, off offset:496
	scratch_load_b128 v[6:9], off, off offset:512
	;; [unrolled: 1-line block ×8, first 2 shown]
	ds_load_b128 v[34:37], v1 offset:1280
	ds_load_b128 v[190:193], v1 offset:1296
	s_clause 0x1
	scratch_load_b128 v[38:41], off, off offset:624
	scratch_load_b128 v[194:197], off, off offset:640
	s_mov_b32 s2, exec_lo
	s_waitcnt vmcnt(9) lgkmcnt(1)
	v_mul_f64 v[198:199], v[36:37], v[4:5]
	v_mul_f64 v[4:5], v[34:35], v[4:5]
	s_waitcnt vmcnt(8) lgkmcnt(0)
	v_mul_f64 v[200:201], v[190:191], v[8:9]
	v_mul_f64 v[8:9], v[192:193], v[8:9]
	s_delay_alu instid0(VALU_DEP_4) | instskip(NEXT) | instid1(VALU_DEP_4)
	v_fma_f64 v[198:199], v[34:35], v[2:3], -v[198:199]
	v_fma_f64 v[202:203], v[36:37], v[2:3], v[4:5]
	scratch_load_b128 v[34:37], off, off offset:656
	ds_load_b128 v[2:5], v1 offset:1312
	v_fma_f64 v[200:201], v[192:193], v[6:7], v[200:201]
	v_fma_f64 v[206:207], v[190:191], v[6:7], -v[8:9]
	ds_load_b128 v[6:9], v1 offset:1328
	scratch_load_b128 v[190:193], off, off offset:672
	s_waitcnt vmcnt(9) lgkmcnt(1)
	v_mul_f64 v[204:205], v[2:3], v[12:13]
	v_mul_f64 v[12:13], v[4:5], v[12:13]
	s_waitcnt vmcnt(8) lgkmcnt(0)
	v_mul_f64 v[208:209], v[6:7], v[16:17]
	v_mul_f64 v[16:17], v[8:9], v[16:17]
	v_add_f64 v[198:199], v[198:199], 0
	v_add_f64 v[202:203], v[202:203], 0
	v_fma_f64 v[204:205], v[4:5], v[10:11], v[204:205]
	v_fma_f64 v[210:211], v[2:3], v[10:11], -v[12:13]
	scratch_load_b128 v[10:13], off, off offset:688
	ds_load_b128 v[2:5], v1 offset:1344
	v_add_f64 v[198:199], v[198:199], v[206:207]
	v_add_f64 v[200:201], v[202:203], v[200:201]
	v_fma_f64 v[206:207], v[8:9], v[14:15], v[208:209]
	v_fma_f64 v[208:209], v[6:7], v[14:15], -v[16:17]
	ds_load_b128 v[6:9], v1 offset:1360
	scratch_load_b128 v[14:17], off, off offset:704
	s_waitcnt vmcnt(9) lgkmcnt(1)
	v_mul_f64 v[202:203], v[2:3], v[20:21]
	v_mul_f64 v[20:21], v[4:5], v[20:21]
	v_add_f64 v[198:199], v[198:199], v[210:211]
	v_add_f64 v[200:201], v[200:201], v[204:205]
	s_waitcnt vmcnt(8) lgkmcnt(0)
	v_mul_f64 v[204:205], v[6:7], v[24:25]
	v_mul_f64 v[24:25], v[8:9], v[24:25]
	v_fma_f64 v[202:203], v[4:5], v[18:19], v[202:203]
	v_fma_f64 v[210:211], v[2:3], v[18:19], -v[20:21]
	scratch_load_b128 v[18:21], off, off offset:720
	ds_load_b128 v[2:5], v1 offset:1376
	v_add_f64 v[198:199], v[198:199], v[208:209]
	v_add_f64 v[200:201], v[200:201], v[206:207]
	v_fma_f64 v[204:205], v[8:9], v[22:23], v[204:205]
	v_fma_f64 v[208:209], v[6:7], v[22:23], -v[24:25]
	ds_load_b128 v[6:9], v1 offset:1392
	s_waitcnt vmcnt(8) lgkmcnt(1)
	v_mul_f64 v[206:207], v[2:3], v[28:29]
	v_mul_f64 v[28:29], v[4:5], v[28:29]
	scratch_load_b128 v[22:25], off, off offset:736
	v_add_f64 v[198:199], v[198:199], v[210:211]
	v_add_f64 v[200:201], v[200:201], v[202:203]
	s_waitcnt vmcnt(8) lgkmcnt(0)
	v_mul_f64 v[202:203], v[6:7], v[32:33]
	v_mul_f64 v[32:33], v[8:9], v[32:33]
	v_fma_f64 v[206:207], v[4:5], v[26:27], v[206:207]
	v_fma_f64 v[210:211], v[2:3], v[26:27], -v[28:29]
	scratch_load_b128 v[26:29], off, off offset:752
	ds_load_b128 v[2:5], v1 offset:1408
	v_add_f64 v[198:199], v[198:199], v[208:209]
	v_add_f64 v[200:201], v[200:201], v[204:205]
	v_fma_f64 v[202:203], v[8:9], v[30:31], v[202:203]
	v_fma_f64 v[208:209], v[6:7], v[30:31], -v[32:33]
	ds_load_b128 v[6:9], v1 offset:1424
	s_waitcnt vmcnt(8) lgkmcnt(1)
	v_mul_f64 v[204:205], v[2:3], v[40:41]
	v_mul_f64 v[40:41], v[4:5], v[40:41]
	scratch_load_b128 v[30:33], off, off offset:768
	v_add_f64 v[198:199], v[198:199], v[210:211]
	v_add_f64 v[200:201], v[200:201], v[206:207]
	v_fma_f64 v[204:205], v[4:5], v[38:39], v[204:205]
	v_fma_f64 v[38:39], v[2:3], v[38:39], -v[40:41]
	ds_load_b128 v[2:5], v1 offset:1440
	v_add_f64 v[40:41], v[198:199], v[208:209]
	v_add_f64 v[198:199], v[200:201], v[202:203]
	s_waitcnt vmcnt(7) lgkmcnt(0)
	v_mul_f64 v[200:201], v[2:3], v[36:37]
	v_mul_f64 v[36:37], v[4:5], v[36:37]
	s_delay_alu instid0(VALU_DEP_4) | instskip(NEXT) | instid1(VALU_DEP_4)
	v_add_f64 v[38:39], v[40:41], v[38:39]
	v_add_f64 v[40:41], v[198:199], v[204:205]
	s_delay_alu instid0(VALU_DEP_4) | instskip(NEXT) | instid1(VALU_DEP_4)
	v_fma_f64 v[198:199], v[4:5], v[34:35], v[200:201]
	v_fma_f64 v[200:201], v[2:3], v[34:35], -v[36:37]
	scratch_load_b128 v[34:37], off, off offset:480
	v_mul_f64 v[206:207], v[6:7], v[196:197]
	v_mul_f64 v[196:197], v[8:9], v[196:197]
	ds_load_b128 v[2:5], v1 offset:1472
	v_fma_f64 v[202:203], v[8:9], v[194:195], v[206:207]
	v_fma_f64 v[194:195], v[6:7], v[194:195], -v[196:197]
	ds_load_b128 v[6:9], v1 offset:1456
	s_waitcnt vmcnt(7) lgkmcnt(0)
	v_mul_f64 v[196:197], v[6:7], v[192:193]
	v_mul_f64 v[192:193], v[8:9], v[192:193]
	v_add_f64 v[40:41], v[40:41], v[202:203]
	v_add_f64 v[38:39], v[38:39], v[194:195]
	s_waitcnt vmcnt(6)
	v_mul_f64 v[194:195], v[2:3], v[12:13]
	v_mul_f64 v[12:13], v[4:5], v[12:13]
	v_fma_f64 v[196:197], v[8:9], v[190:191], v[196:197]
	v_fma_f64 v[190:191], v[6:7], v[190:191], -v[192:193]
	ds_load_b128 v[6:9], v1 offset:1488
	v_add_f64 v[40:41], v[40:41], v[198:199]
	v_add_f64 v[38:39], v[38:39], v[200:201]
	v_fma_f64 v[194:195], v[4:5], v[10:11], v[194:195]
	v_fma_f64 v[10:11], v[2:3], v[10:11], -v[12:13]
	ds_load_b128 v[2:5], v1 offset:1504
	s_waitcnt vmcnt(5) lgkmcnt(1)
	v_mul_f64 v[192:193], v[6:7], v[16:17]
	v_mul_f64 v[16:17], v[8:9], v[16:17]
	v_add_f64 v[12:13], v[38:39], v[190:191]
	v_add_f64 v[38:39], v[40:41], v[196:197]
	s_waitcnt vmcnt(4) lgkmcnt(0)
	v_mul_f64 v[40:41], v[2:3], v[20:21]
	v_mul_f64 v[20:21], v[4:5], v[20:21]
	v_fma_f64 v[190:191], v[8:9], v[14:15], v[192:193]
	v_fma_f64 v[14:15], v[6:7], v[14:15], -v[16:17]
	ds_load_b128 v[6:9], v1 offset:1520
	v_add_f64 v[10:11], v[12:13], v[10:11]
	v_add_f64 v[12:13], v[38:39], v[194:195]
	v_fma_f64 v[38:39], v[4:5], v[18:19], v[40:41]
	v_fma_f64 v[18:19], v[2:3], v[18:19], -v[20:21]
	ds_load_b128 v[2:5], v1 offset:1536
	s_waitcnt vmcnt(3) lgkmcnt(1)
	v_mul_f64 v[16:17], v[6:7], v[24:25]
	v_mul_f64 v[24:25], v[8:9], v[24:25]
	s_waitcnt vmcnt(2) lgkmcnt(0)
	v_mul_f64 v[20:21], v[4:5], v[28:29]
	v_add_f64 v[10:11], v[10:11], v[14:15]
	v_add_f64 v[12:13], v[12:13], v[190:191]
	v_mul_f64 v[14:15], v[2:3], v[28:29]
	v_fma_f64 v[16:17], v[8:9], v[22:23], v[16:17]
	v_fma_f64 v[22:23], v[6:7], v[22:23], -v[24:25]
	ds_load_b128 v[6:9], v1 offset:1552
	v_fma_f64 v[1:2], v[2:3], v[26:27], -v[20:21]
	s_waitcnt vmcnt(1) lgkmcnt(0)
	v_mul_f64 v[24:25], v[8:9], v[32:33]
	v_add_f64 v[10:11], v[10:11], v[18:19]
	v_add_f64 v[12:13], v[12:13], v[38:39]
	v_mul_f64 v[18:19], v[6:7], v[32:33]
	v_fma_f64 v[4:5], v[4:5], v[26:27], v[14:15]
	v_fma_f64 v[6:7], v[6:7], v[30:31], -v[24:25]
	v_add_f64 v[10:11], v[10:11], v[22:23]
	v_add_f64 v[12:13], v[12:13], v[16:17]
	v_fma_f64 v[8:9], v[8:9], v[30:31], v[18:19]
	s_delay_alu instid0(VALU_DEP_3) | instskip(NEXT) | instid1(VALU_DEP_3)
	v_add_f64 v[1:2], v[10:11], v[1:2]
	v_add_f64 v[3:4], v[12:13], v[4:5]
	s_delay_alu instid0(VALU_DEP_2) | instskip(NEXT) | instid1(VALU_DEP_2)
	v_add_f64 v[1:2], v[1:2], v[6:7]
	v_add_f64 v[3:4], v[3:4], v[8:9]
	s_waitcnt vmcnt(0)
	s_delay_alu instid0(VALU_DEP_2) | instskip(NEXT) | instid1(VALU_DEP_2)
	v_add_f64 v[1:2], v[34:35], -v[1:2]
	v_add_f64 v[3:4], v[36:37], -v[3:4]
	scratch_store_b128 off, v[1:4], off offset:480
	v_cmpx_lt_u32_e32 29, v140
	s_cbranch_execz .LBB48_249
; %bb.248:
	scratch_load_b128 v[1:4], v160, off
	v_mov_b32_e32 v5, 0
	s_delay_alu instid0(VALU_DEP_1)
	v_mov_b32_e32 v6, v5
	v_mov_b32_e32 v7, v5
	;; [unrolled: 1-line block ×3, first 2 shown]
	scratch_store_b128 off, v[5:8], off offset:464
	s_waitcnt vmcnt(0)
	ds_store_b128 v189, v[1:4]
.LBB48_249:
	s_or_b32 exec_lo, exec_lo, s2
	s_waitcnt lgkmcnt(0)
	s_waitcnt_vscnt null, 0x0
	s_barrier
	buffer_gl0_inv
	s_clause 0x7
	scratch_load_b128 v[2:5], off, off offset:480
	scratch_load_b128 v[6:9], off, off offset:496
	;; [unrolled: 1-line block ×8, first 2 shown]
	v_mov_b32_e32 v1, 0
	s_clause 0x1
	scratch_load_b128 v[38:41], off, off offset:608
	scratch_load_b128 v[194:197], off, off offset:624
	s_mov_b32 s2, exec_lo
	ds_load_b128 v[34:37], v1 offset:1264
	ds_load_b128 v[190:193], v1 offset:1280
	s_waitcnt vmcnt(9) lgkmcnt(1)
	v_mul_f64 v[198:199], v[36:37], v[4:5]
	v_mul_f64 v[4:5], v[34:35], v[4:5]
	s_waitcnt vmcnt(8) lgkmcnt(0)
	v_mul_f64 v[200:201], v[190:191], v[8:9]
	v_mul_f64 v[8:9], v[192:193], v[8:9]
	s_delay_alu instid0(VALU_DEP_4) | instskip(NEXT) | instid1(VALU_DEP_4)
	v_fma_f64 v[198:199], v[34:35], v[2:3], -v[198:199]
	v_fma_f64 v[202:203], v[36:37], v[2:3], v[4:5]
	ds_load_b128 v[2:5], v1 offset:1296
	scratch_load_b128 v[34:37], off, off offset:640
	v_fma_f64 v[200:201], v[192:193], v[6:7], v[200:201]
	v_fma_f64 v[206:207], v[190:191], v[6:7], -v[8:9]
	scratch_load_b128 v[190:193], off, off offset:656
	ds_load_b128 v[6:9], v1 offset:1312
	s_waitcnt vmcnt(9) lgkmcnt(1)
	v_mul_f64 v[204:205], v[2:3], v[12:13]
	v_mul_f64 v[12:13], v[4:5], v[12:13]
	s_waitcnt vmcnt(8) lgkmcnt(0)
	v_mul_f64 v[208:209], v[6:7], v[16:17]
	v_mul_f64 v[16:17], v[8:9], v[16:17]
	v_add_f64 v[198:199], v[198:199], 0
	v_add_f64 v[202:203], v[202:203], 0
	v_fma_f64 v[204:205], v[4:5], v[10:11], v[204:205]
	v_fma_f64 v[210:211], v[2:3], v[10:11], -v[12:13]
	ds_load_b128 v[2:5], v1 offset:1328
	scratch_load_b128 v[10:13], off, off offset:672
	v_add_f64 v[198:199], v[198:199], v[206:207]
	v_add_f64 v[200:201], v[202:203], v[200:201]
	v_fma_f64 v[206:207], v[8:9], v[14:15], v[208:209]
	v_fma_f64 v[208:209], v[6:7], v[14:15], -v[16:17]
	ds_load_b128 v[6:9], v1 offset:1344
	scratch_load_b128 v[14:17], off, off offset:688
	s_waitcnt vmcnt(9) lgkmcnt(1)
	v_mul_f64 v[202:203], v[2:3], v[20:21]
	v_mul_f64 v[20:21], v[4:5], v[20:21]
	v_add_f64 v[198:199], v[198:199], v[210:211]
	v_add_f64 v[200:201], v[200:201], v[204:205]
	s_waitcnt vmcnt(8) lgkmcnt(0)
	v_mul_f64 v[204:205], v[6:7], v[24:25]
	v_mul_f64 v[24:25], v[8:9], v[24:25]
	v_fma_f64 v[202:203], v[4:5], v[18:19], v[202:203]
	v_fma_f64 v[210:211], v[2:3], v[18:19], -v[20:21]
	scratch_load_b128 v[18:21], off, off offset:704
	ds_load_b128 v[2:5], v1 offset:1360
	v_add_f64 v[198:199], v[198:199], v[208:209]
	v_add_f64 v[200:201], v[200:201], v[206:207]
	v_fma_f64 v[204:205], v[8:9], v[22:23], v[204:205]
	v_fma_f64 v[208:209], v[6:7], v[22:23], -v[24:25]
	ds_load_b128 v[6:9], v1 offset:1376
	s_waitcnt vmcnt(8) lgkmcnt(1)
	v_mul_f64 v[206:207], v[2:3], v[28:29]
	v_mul_f64 v[28:29], v[4:5], v[28:29]
	scratch_load_b128 v[22:25], off, off offset:720
	v_add_f64 v[198:199], v[198:199], v[210:211]
	v_add_f64 v[200:201], v[200:201], v[202:203]
	s_waitcnt vmcnt(8) lgkmcnt(0)
	v_mul_f64 v[202:203], v[6:7], v[32:33]
	v_mul_f64 v[32:33], v[8:9], v[32:33]
	v_fma_f64 v[206:207], v[4:5], v[26:27], v[206:207]
	v_fma_f64 v[210:211], v[2:3], v[26:27], -v[28:29]
	scratch_load_b128 v[26:29], off, off offset:736
	ds_load_b128 v[2:5], v1 offset:1392
	v_add_f64 v[198:199], v[198:199], v[208:209]
	v_add_f64 v[200:201], v[200:201], v[204:205]
	v_fma_f64 v[202:203], v[8:9], v[30:31], v[202:203]
	v_fma_f64 v[208:209], v[6:7], v[30:31], -v[32:33]
	ds_load_b128 v[6:9], v1 offset:1408
	s_waitcnt vmcnt(8) lgkmcnt(1)
	v_mul_f64 v[204:205], v[2:3], v[40:41]
	v_mul_f64 v[40:41], v[4:5], v[40:41]
	scratch_load_b128 v[30:33], off, off offset:752
	v_add_f64 v[198:199], v[198:199], v[210:211]
	v_add_f64 v[200:201], v[200:201], v[206:207]
	s_waitcnt vmcnt(8) lgkmcnt(0)
	v_mul_f64 v[206:207], v[6:7], v[196:197]
	v_mul_f64 v[196:197], v[8:9], v[196:197]
	v_fma_f64 v[204:205], v[4:5], v[38:39], v[204:205]
	v_fma_f64 v[210:211], v[2:3], v[38:39], -v[40:41]
	scratch_load_b128 v[38:41], off, off offset:768
	ds_load_b128 v[2:5], v1 offset:1424
	v_add_f64 v[198:199], v[198:199], v[208:209]
	v_add_f64 v[200:201], v[200:201], v[202:203]
	v_fma_f64 v[206:207], v[8:9], v[194:195], v[206:207]
	v_fma_f64 v[194:195], v[6:7], v[194:195], -v[196:197]
	ds_load_b128 v[6:9], v1 offset:1440
	s_waitcnt vmcnt(8) lgkmcnt(1)
	v_mul_f64 v[202:203], v[2:3], v[36:37]
	v_mul_f64 v[36:37], v[4:5], v[36:37]
	v_add_f64 v[196:197], v[198:199], v[210:211]
	v_add_f64 v[198:199], v[200:201], v[204:205]
	s_waitcnt vmcnt(7) lgkmcnt(0)
	v_mul_f64 v[200:201], v[6:7], v[192:193]
	v_mul_f64 v[192:193], v[8:9], v[192:193]
	v_fma_f64 v[202:203], v[4:5], v[34:35], v[202:203]
	v_fma_f64 v[34:35], v[2:3], v[34:35], -v[36:37]
	ds_load_b128 v[2:5], v1 offset:1456
	v_add_f64 v[36:37], v[196:197], v[194:195]
	v_add_f64 v[194:195], v[198:199], v[206:207]
	v_fma_f64 v[198:199], v[8:9], v[190:191], v[200:201]
	v_fma_f64 v[190:191], v[6:7], v[190:191], -v[192:193]
	ds_load_b128 v[6:9], v1 offset:1472
	s_waitcnt vmcnt(5) lgkmcnt(0)
	v_mul_f64 v[200:201], v[6:7], v[16:17]
	v_mul_f64 v[16:17], v[8:9], v[16:17]
	v_add_f64 v[192:193], v[36:37], v[34:35]
	v_add_f64 v[194:195], v[194:195], v[202:203]
	scratch_load_b128 v[34:37], off, off offset:464
	v_mul_f64 v[196:197], v[2:3], v[12:13]
	v_mul_f64 v[12:13], v[4:5], v[12:13]
	s_delay_alu instid0(VALU_DEP_2) | instskip(NEXT) | instid1(VALU_DEP_2)
	v_fma_f64 v[196:197], v[4:5], v[10:11], v[196:197]
	v_fma_f64 v[10:11], v[2:3], v[10:11], -v[12:13]
	v_add_f64 v[12:13], v[192:193], v[190:191]
	v_add_f64 v[190:191], v[194:195], v[198:199]
	ds_load_b128 v[2:5], v1 offset:1488
	v_fma_f64 v[194:195], v[8:9], v[14:15], v[200:201]
	v_fma_f64 v[14:15], v[6:7], v[14:15], -v[16:17]
	ds_load_b128 v[6:9], v1 offset:1504
	s_waitcnt vmcnt(5) lgkmcnt(1)
	v_mul_f64 v[192:193], v[2:3], v[20:21]
	v_mul_f64 v[20:21], v[4:5], v[20:21]
	s_waitcnt vmcnt(4) lgkmcnt(0)
	v_mul_f64 v[16:17], v[6:7], v[24:25]
	v_mul_f64 v[24:25], v[8:9], v[24:25]
	v_add_f64 v[10:11], v[12:13], v[10:11]
	v_add_f64 v[12:13], v[190:191], v[196:197]
	v_fma_f64 v[190:191], v[4:5], v[18:19], v[192:193]
	v_fma_f64 v[18:19], v[2:3], v[18:19], -v[20:21]
	ds_load_b128 v[2:5], v1 offset:1520
	v_fma_f64 v[16:17], v[8:9], v[22:23], v[16:17]
	v_fma_f64 v[22:23], v[6:7], v[22:23], -v[24:25]
	ds_load_b128 v[6:9], v1 offset:1536
	v_add_f64 v[10:11], v[10:11], v[14:15]
	v_add_f64 v[12:13], v[12:13], v[194:195]
	s_waitcnt vmcnt(3) lgkmcnt(1)
	v_mul_f64 v[14:15], v[2:3], v[28:29]
	v_mul_f64 v[20:21], v[4:5], v[28:29]
	s_waitcnt vmcnt(2) lgkmcnt(0)
	v_mul_f64 v[24:25], v[8:9], v[32:33]
	v_add_f64 v[10:11], v[10:11], v[18:19]
	v_add_f64 v[12:13], v[12:13], v[190:191]
	v_mul_f64 v[18:19], v[6:7], v[32:33]
	v_fma_f64 v[14:15], v[4:5], v[26:27], v[14:15]
	v_fma_f64 v[20:21], v[2:3], v[26:27], -v[20:21]
	ds_load_b128 v[2:5], v1 offset:1552
	v_fma_f64 v[6:7], v[6:7], v[30:31], -v[24:25]
	v_add_f64 v[10:11], v[10:11], v[22:23]
	v_add_f64 v[12:13], v[12:13], v[16:17]
	s_waitcnt vmcnt(1) lgkmcnt(0)
	v_mul_f64 v[16:17], v[2:3], v[40:41]
	v_mul_f64 v[22:23], v[4:5], v[40:41]
	v_fma_f64 v[8:9], v[8:9], v[30:31], v[18:19]
	v_add_f64 v[10:11], v[10:11], v[20:21]
	v_add_f64 v[12:13], v[12:13], v[14:15]
	v_fma_f64 v[4:5], v[4:5], v[38:39], v[16:17]
	v_fma_f64 v[2:3], v[2:3], v[38:39], -v[22:23]
	s_delay_alu instid0(VALU_DEP_4) | instskip(NEXT) | instid1(VALU_DEP_4)
	v_add_f64 v[6:7], v[10:11], v[6:7]
	v_add_f64 v[8:9], v[12:13], v[8:9]
	s_delay_alu instid0(VALU_DEP_2) | instskip(NEXT) | instid1(VALU_DEP_2)
	v_add_f64 v[2:3], v[6:7], v[2:3]
	v_add_f64 v[4:5], v[8:9], v[4:5]
	s_waitcnt vmcnt(0)
	s_delay_alu instid0(VALU_DEP_2) | instskip(NEXT) | instid1(VALU_DEP_2)
	v_add_f64 v[2:3], v[34:35], -v[2:3]
	v_add_f64 v[4:5], v[36:37], -v[4:5]
	scratch_store_b128 off, v[2:5], off offset:464
	v_cmpx_lt_u32_e32 28, v140
	s_cbranch_execz .LBB48_251
; %bb.250:
	scratch_load_b128 v[5:8], v161, off
	v_mov_b32_e32 v2, v1
	v_mov_b32_e32 v3, v1
	;; [unrolled: 1-line block ×3, first 2 shown]
	scratch_store_b128 off, v[1:4], off offset:448
	s_waitcnt vmcnt(0)
	ds_store_b128 v189, v[5:8]
.LBB48_251:
	s_or_b32 exec_lo, exec_lo, s2
	s_waitcnt lgkmcnt(0)
	s_waitcnt_vscnt null, 0x0
	s_barrier
	buffer_gl0_inv
	s_clause 0x7
	scratch_load_b128 v[2:5], off, off offset:464
	scratch_load_b128 v[6:9], off, off offset:480
	;; [unrolled: 1-line block ×8, first 2 shown]
	ds_load_b128 v[34:37], v1 offset:1248
	ds_load_b128 v[190:193], v1 offset:1264
	s_clause 0x1
	scratch_load_b128 v[38:41], off, off offset:592
	scratch_load_b128 v[194:197], off, off offset:608
	s_mov_b32 s2, exec_lo
	s_waitcnt vmcnt(9) lgkmcnt(1)
	v_mul_f64 v[198:199], v[36:37], v[4:5]
	v_mul_f64 v[4:5], v[34:35], v[4:5]
	s_waitcnt vmcnt(8) lgkmcnt(0)
	v_mul_f64 v[200:201], v[190:191], v[8:9]
	v_mul_f64 v[8:9], v[192:193], v[8:9]
	s_delay_alu instid0(VALU_DEP_4) | instskip(NEXT) | instid1(VALU_DEP_4)
	v_fma_f64 v[198:199], v[34:35], v[2:3], -v[198:199]
	v_fma_f64 v[202:203], v[36:37], v[2:3], v[4:5]
	ds_load_b128 v[2:5], v1 offset:1280
	scratch_load_b128 v[34:37], off, off offset:624
	v_fma_f64 v[200:201], v[192:193], v[6:7], v[200:201]
	v_fma_f64 v[206:207], v[190:191], v[6:7], -v[8:9]
	ds_load_b128 v[6:9], v1 offset:1296
	scratch_load_b128 v[190:193], off, off offset:640
	s_waitcnt vmcnt(9) lgkmcnt(1)
	v_mul_f64 v[204:205], v[2:3], v[12:13]
	v_mul_f64 v[12:13], v[4:5], v[12:13]
	s_waitcnt vmcnt(8) lgkmcnt(0)
	v_mul_f64 v[208:209], v[6:7], v[16:17]
	v_mul_f64 v[16:17], v[8:9], v[16:17]
	v_add_f64 v[198:199], v[198:199], 0
	v_add_f64 v[202:203], v[202:203], 0
	v_fma_f64 v[204:205], v[4:5], v[10:11], v[204:205]
	v_fma_f64 v[210:211], v[2:3], v[10:11], -v[12:13]
	scratch_load_b128 v[10:13], off, off offset:656
	ds_load_b128 v[2:5], v1 offset:1312
	v_add_f64 v[198:199], v[198:199], v[206:207]
	v_add_f64 v[200:201], v[202:203], v[200:201]
	v_fma_f64 v[206:207], v[8:9], v[14:15], v[208:209]
	v_fma_f64 v[208:209], v[6:7], v[14:15], -v[16:17]
	ds_load_b128 v[6:9], v1 offset:1328
	scratch_load_b128 v[14:17], off, off offset:672
	s_waitcnt vmcnt(9) lgkmcnt(1)
	v_mul_f64 v[202:203], v[2:3], v[20:21]
	v_mul_f64 v[20:21], v[4:5], v[20:21]
	v_add_f64 v[198:199], v[198:199], v[210:211]
	v_add_f64 v[200:201], v[200:201], v[204:205]
	s_waitcnt vmcnt(8) lgkmcnt(0)
	v_mul_f64 v[204:205], v[6:7], v[24:25]
	v_mul_f64 v[24:25], v[8:9], v[24:25]
	v_fma_f64 v[202:203], v[4:5], v[18:19], v[202:203]
	v_fma_f64 v[210:211], v[2:3], v[18:19], -v[20:21]
	scratch_load_b128 v[18:21], off, off offset:688
	ds_load_b128 v[2:5], v1 offset:1344
	v_add_f64 v[198:199], v[198:199], v[208:209]
	v_add_f64 v[200:201], v[200:201], v[206:207]
	v_fma_f64 v[204:205], v[8:9], v[22:23], v[204:205]
	v_fma_f64 v[208:209], v[6:7], v[22:23], -v[24:25]
	ds_load_b128 v[6:9], v1 offset:1360
	s_waitcnt vmcnt(8) lgkmcnt(1)
	v_mul_f64 v[206:207], v[2:3], v[28:29]
	v_mul_f64 v[28:29], v[4:5], v[28:29]
	scratch_load_b128 v[22:25], off, off offset:704
	v_add_f64 v[198:199], v[198:199], v[210:211]
	v_add_f64 v[200:201], v[200:201], v[202:203]
	s_waitcnt vmcnt(8) lgkmcnt(0)
	v_mul_f64 v[202:203], v[6:7], v[32:33]
	v_mul_f64 v[32:33], v[8:9], v[32:33]
	v_fma_f64 v[206:207], v[4:5], v[26:27], v[206:207]
	v_fma_f64 v[210:211], v[2:3], v[26:27], -v[28:29]
	scratch_load_b128 v[26:29], off, off offset:720
	ds_load_b128 v[2:5], v1 offset:1376
	v_add_f64 v[198:199], v[198:199], v[208:209]
	v_add_f64 v[200:201], v[200:201], v[204:205]
	v_fma_f64 v[202:203], v[8:9], v[30:31], v[202:203]
	v_fma_f64 v[208:209], v[6:7], v[30:31], -v[32:33]
	ds_load_b128 v[6:9], v1 offset:1392
	s_waitcnt vmcnt(8) lgkmcnt(1)
	v_mul_f64 v[204:205], v[2:3], v[40:41]
	v_mul_f64 v[40:41], v[4:5], v[40:41]
	scratch_load_b128 v[30:33], off, off offset:736
	v_add_f64 v[198:199], v[198:199], v[210:211]
	v_add_f64 v[200:201], v[200:201], v[206:207]
	s_waitcnt vmcnt(8) lgkmcnt(0)
	v_mul_f64 v[206:207], v[6:7], v[196:197]
	v_mul_f64 v[196:197], v[8:9], v[196:197]
	v_fma_f64 v[204:205], v[4:5], v[38:39], v[204:205]
	v_fma_f64 v[210:211], v[2:3], v[38:39], -v[40:41]
	scratch_load_b128 v[38:41], off, off offset:752
	ds_load_b128 v[2:5], v1 offset:1408
	v_add_f64 v[198:199], v[198:199], v[208:209]
	v_add_f64 v[200:201], v[200:201], v[202:203]
	v_fma_f64 v[206:207], v[8:9], v[194:195], v[206:207]
	v_fma_f64 v[208:209], v[6:7], v[194:195], -v[196:197]
	ds_load_b128 v[6:9], v1 offset:1424
	scratch_load_b128 v[194:197], off, off offset:768
	s_waitcnt vmcnt(9) lgkmcnt(1)
	v_mul_f64 v[202:203], v[2:3], v[36:37]
	v_mul_f64 v[36:37], v[4:5], v[36:37]
	v_add_f64 v[198:199], v[198:199], v[210:211]
	v_add_f64 v[200:201], v[200:201], v[204:205]
	s_delay_alu instid0(VALU_DEP_4) | instskip(NEXT) | instid1(VALU_DEP_4)
	v_fma_f64 v[202:203], v[4:5], v[34:35], v[202:203]
	v_fma_f64 v[34:35], v[2:3], v[34:35], -v[36:37]
	ds_load_b128 v[2:5], v1 offset:1440
	v_add_f64 v[36:37], v[198:199], v[208:209]
	v_add_f64 v[198:199], v[200:201], v[206:207]
	s_waitcnt vmcnt(7) lgkmcnt(0)
	v_mul_f64 v[200:201], v[2:3], v[12:13]
	v_mul_f64 v[12:13], v[4:5], v[12:13]
	s_delay_alu instid0(VALU_DEP_4) | instskip(NEXT) | instid1(VALU_DEP_4)
	v_add_f64 v[34:35], v[36:37], v[34:35]
	v_add_f64 v[36:37], v[198:199], v[202:203]
	s_delay_alu instid0(VALU_DEP_4) | instskip(NEXT) | instid1(VALU_DEP_4)
	v_fma_f64 v[198:199], v[4:5], v[10:11], v[200:201]
	v_fma_f64 v[200:201], v[2:3], v[10:11], -v[12:13]
	scratch_load_b128 v[10:13], off, off offset:448
	v_mul_f64 v[204:205], v[6:7], v[192:193]
	v_mul_f64 v[192:193], v[8:9], v[192:193]
	ds_load_b128 v[2:5], v1 offset:1472
	v_fma_f64 v[204:205], v[8:9], v[190:191], v[204:205]
	v_fma_f64 v[190:191], v[6:7], v[190:191], -v[192:193]
	ds_load_b128 v[6:9], v1 offset:1456
	s_waitcnt vmcnt(7) lgkmcnt(0)
	v_mul_f64 v[192:193], v[6:7], v[16:17]
	v_mul_f64 v[16:17], v[8:9], v[16:17]
	v_add_f64 v[36:37], v[36:37], v[204:205]
	v_add_f64 v[34:35], v[34:35], v[190:191]
	s_waitcnt vmcnt(6)
	v_mul_f64 v[190:191], v[2:3], v[20:21]
	v_mul_f64 v[20:21], v[4:5], v[20:21]
	v_fma_f64 v[192:193], v[8:9], v[14:15], v[192:193]
	v_fma_f64 v[14:15], v[6:7], v[14:15], -v[16:17]
	ds_load_b128 v[6:9], v1 offset:1488
	v_add_f64 v[16:17], v[34:35], v[200:201]
	v_add_f64 v[34:35], v[36:37], v[198:199]
	v_fma_f64 v[190:191], v[4:5], v[18:19], v[190:191]
	v_fma_f64 v[18:19], v[2:3], v[18:19], -v[20:21]
	ds_load_b128 v[2:5], v1 offset:1504
	s_waitcnt vmcnt(5) lgkmcnt(1)
	v_mul_f64 v[36:37], v[6:7], v[24:25]
	v_mul_f64 v[24:25], v[8:9], v[24:25]
	s_waitcnt vmcnt(4) lgkmcnt(0)
	v_mul_f64 v[20:21], v[2:3], v[28:29]
	v_mul_f64 v[28:29], v[4:5], v[28:29]
	v_add_f64 v[14:15], v[16:17], v[14:15]
	v_add_f64 v[16:17], v[34:35], v[192:193]
	v_fma_f64 v[34:35], v[8:9], v[22:23], v[36:37]
	v_fma_f64 v[22:23], v[6:7], v[22:23], -v[24:25]
	ds_load_b128 v[6:9], v1 offset:1520
	v_fma_f64 v[20:21], v[4:5], v[26:27], v[20:21]
	v_fma_f64 v[26:27], v[2:3], v[26:27], -v[28:29]
	ds_load_b128 v[2:5], v1 offset:1536
	s_waitcnt vmcnt(3) lgkmcnt(1)
	v_mul_f64 v[24:25], v[8:9], v[32:33]
	v_add_f64 v[14:15], v[14:15], v[18:19]
	v_add_f64 v[16:17], v[16:17], v[190:191]
	v_mul_f64 v[18:19], v[6:7], v[32:33]
	s_waitcnt vmcnt(2) lgkmcnt(0)
	v_mul_f64 v[28:29], v[4:5], v[40:41]
	v_fma_f64 v[24:25], v[6:7], v[30:31], -v[24:25]
	v_add_f64 v[14:15], v[14:15], v[22:23]
	v_add_f64 v[16:17], v[16:17], v[34:35]
	v_mul_f64 v[22:23], v[2:3], v[40:41]
	v_fma_f64 v[18:19], v[8:9], v[30:31], v[18:19]
	ds_load_b128 v[6:9], v1 offset:1552
	v_fma_f64 v[1:2], v[2:3], v[38:39], -v[28:29]
	v_add_f64 v[14:15], v[14:15], v[26:27]
	v_add_f64 v[16:17], v[16:17], v[20:21]
	s_waitcnt vmcnt(1) lgkmcnt(0)
	v_mul_f64 v[20:21], v[6:7], v[196:197]
	v_mul_f64 v[26:27], v[8:9], v[196:197]
	v_fma_f64 v[4:5], v[4:5], v[38:39], v[22:23]
	v_add_f64 v[14:15], v[14:15], v[24:25]
	v_add_f64 v[16:17], v[16:17], v[18:19]
	v_fma_f64 v[8:9], v[8:9], v[194:195], v[20:21]
	v_fma_f64 v[6:7], v[6:7], v[194:195], -v[26:27]
	s_delay_alu instid0(VALU_DEP_4) | instskip(NEXT) | instid1(VALU_DEP_4)
	v_add_f64 v[1:2], v[14:15], v[1:2]
	v_add_f64 v[3:4], v[16:17], v[4:5]
	s_delay_alu instid0(VALU_DEP_2) | instskip(NEXT) | instid1(VALU_DEP_2)
	v_add_f64 v[1:2], v[1:2], v[6:7]
	v_add_f64 v[3:4], v[3:4], v[8:9]
	s_waitcnt vmcnt(0)
	s_delay_alu instid0(VALU_DEP_2) | instskip(NEXT) | instid1(VALU_DEP_2)
	v_add_f64 v[1:2], v[10:11], -v[1:2]
	v_add_f64 v[3:4], v[12:13], -v[3:4]
	scratch_store_b128 off, v[1:4], off offset:448
	v_cmpx_lt_u32_e32 27, v140
	s_cbranch_execz .LBB48_253
; %bb.252:
	scratch_load_b128 v[1:4], v162, off
	v_mov_b32_e32 v5, 0
	s_delay_alu instid0(VALU_DEP_1)
	v_mov_b32_e32 v6, v5
	v_mov_b32_e32 v7, v5
	;; [unrolled: 1-line block ×3, first 2 shown]
	scratch_store_b128 off, v[5:8], off offset:432
	s_waitcnt vmcnt(0)
	ds_store_b128 v189, v[1:4]
.LBB48_253:
	s_or_b32 exec_lo, exec_lo, s2
	s_waitcnt lgkmcnt(0)
	s_waitcnt_vscnt null, 0x0
	s_barrier
	buffer_gl0_inv
	s_clause 0x7
	scratch_load_b128 v[2:5], off, off offset:448
	scratch_load_b128 v[6:9], off, off offset:464
	;; [unrolled: 1-line block ×8, first 2 shown]
	v_mov_b32_e32 v1, 0
	s_clause 0x1
	scratch_load_b128 v[38:41], off, off offset:576
	scratch_load_b128 v[194:197], off, off offset:592
	s_mov_b32 s2, exec_lo
	ds_load_b128 v[34:37], v1 offset:1232
	ds_load_b128 v[190:193], v1 offset:1248
	s_waitcnt vmcnt(9) lgkmcnt(1)
	v_mul_f64 v[198:199], v[36:37], v[4:5]
	v_mul_f64 v[4:5], v[34:35], v[4:5]
	s_waitcnt vmcnt(8) lgkmcnt(0)
	v_mul_f64 v[200:201], v[190:191], v[8:9]
	v_mul_f64 v[8:9], v[192:193], v[8:9]
	s_delay_alu instid0(VALU_DEP_4) | instskip(NEXT) | instid1(VALU_DEP_4)
	v_fma_f64 v[198:199], v[34:35], v[2:3], -v[198:199]
	v_fma_f64 v[202:203], v[36:37], v[2:3], v[4:5]
	ds_load_b128 v[2:5], v1 offset:1264
	scratch_load_b128 v[34:37], off, off offset:608
	v_fma_f64 v[200:201], v[192:193], v[6:7], v[200:201]
	v_fma_f64 v[206:207], v[190:191], v[6:7], -v[8:9]
	scratch_load_b128 v[190:193], off, off offset:624
	ds_load_b128 v[6:9], v1 offset:1280
	s_waitcnt vmcnt(9) lgkmcnt(1)
	v_mul_f64 v[204:205], v[2:3], v[12:13]
	v_mul_f64 v[12:13], v[4:5], v[12:13]
	s_waitcnt vmcnt(8) lgkmcnt(0)
	v_mul_f64 v[208:209], v[6:7], v[16:17]
	v_mul_f64 v[16:17], v[8:9], v[16:17]
	v_add_f64 v[198:199], v[198:199], 0
	v_add_f64 v[202:203], v[202:203], 0
	v_fma_f64 v[204:205], v[4:5], v[10:11], v[204:205]
	v_fma_f64 v[210:211], v[2:3], v[10:11], -v[12:13]
	ds_load_b128 v[2:5], v1 offset:1296
	scratch_load_b128 v[10:13], off, off offset:640
	v_add_f64 v[198:199], v[198:199], v[206:207]
	v_add_f64 v[200:201], v[202:203], v[200:201]
	v_fma_f64 v[206:207], v[8:9], v[14:15], v[208:209]
	v_fma_f64 v[208:209], v[6:7], v[14:15], -v[16:17]
	scratch_load_b128 v[14:17], off, off offset:656
	ds_load_b128 v[6:9], v1 offset:1312
	s_waitcnt vmcnt(9) lgkmcnt(1)
	v_mul_f64 v[202:203], v[2:3], v[20:21]
	v_mul_f64 v[20:21], v[4:5], v[20:21]
	v_add_f64 v[198:199], v[198:199], v[210:211]
	v_add_f64 v[200:201], v[200:201], v[204:205]
	s_waitcnt vmcnt(8) lgkmcnt(0)
	v_mul_f64 v[204:205], v[6:7], v[24:25]
	v_mul_f64 v[24:25], v[8:9], v[24:25]
	v_fma_f64 v[202:203], v[4:5], v[18:19], v[202:203]
	v_fma_f64 v[210:211], v[2:3], v[18:19], -v[20:21]
	ds_load_b128 v[2:5], v1 offset:1328
	scratch_load_b128 v[18:21], off, off offset:672
	v_add_f64 v[198:199], v[198:199], v[208:209]
	v_add_f64 v[200:201], v[200:201], v[206:207]
	v_fma_f64 v[204:205], v[8:9], v[22:23], v[204:205]
	v_fma_f64 v[208:209], v[6:7], v[22:23], -v[24:25]
	ds_load_b128 v[6:9], v1 offset:1344
	s_waitcnt vmcnt(8) lgkmcnt(1)
	v_mul_f64 v[206:207], v[2:3], v[28:29]
	v_mul_f64 v[28:29], v[4:5], v[28:29]
	scratch_load_b128 v[22:25], off, off offset:688
	v_add_f64 v[198:199], v[198:199], v[210:211]
	v_add_f64 v[200:201], v[200:201], v[202:203]
	s_waitcnt vmcnt(8) lgkmcnt(0)
	v_mul_f64 v[202:203], v[6:7], v[32:33]
	v_mul_f64 v[32:33], v[8:9], v[32:33]
	v_fma_f64 v[206:207], v[4:5], v[26:27], v[206:207]
	v_fma_f64 v[210:211], v[2:3], v[26:27], -v[28:29]
	scratch_load_b128 v[26:29], off, off offset:704
	ds_load_b128 v[2:5], v1 offset:1360
	v_add_f64 v[198:199], v[198:199], v[208:209]
	v_add_f64 v[200:201], v[200:201], v[204:205]
	v_fma_f64 v[202:203], v[8:9], v[30:31], v[202:203]
	v_fma_f64 v[208:209], v[6:7], v[30:31], -v[32:33]
	ds_load_b128 v[6:9], v1 offset:1376
	s_waitcnt vmcnt(8) lgkmcnt(1)
	v_mul_f64 v[204:205], v[2:3], v[40:41]
	v_mul_f64 v[40:41], v[4:5], v[40:41]
	scratch_load_b128 v[30:33], off, off offset:720
	v_add_f64 v[198:199], v[198:199], v[210:211]
	v_add_f64 v[200:201], v[200:201], v[206:207]
	s_waitcnt vmcnt(8) lgkmcnt(0)
	v_mul_f64 v[206:207], v[6:7], v[196:197]
	v_mul_f64 v[196:197], v[8:9], v[196:197]
	v_fma_f64 v[204:205], v[4:5], v[38:39], v[204:205]
	v_fma_f64 v[210:211], v[2:3], v[38:39], -v[40:41]
	scratch_load_b128 v[38:41], off, off offset:736
	ds_load_b128 v[2:5], v1 offset:1392
	v_add_f64 v[198:199], v[198:199], v[208:209]
	v_add_f64 v[200:201], v[200:201], v[202:203]
	v_fma_f64 v[206:207], v[8:9], v[194:195], v[206:207]
	v_fma_f64 v[208:209], v[6:7], v[194:195], -v[196:197]
	ds_load_b128 v[6:9], v1 offset:1408
	scratch_load_b128 v[194:197], off, off offset:752
	s_waitcnt vmcnt(9) lgkmcnt(1)
	v_mul_f64 v[202:203], v[2:3], v[36:37]
	v_mul_f64 v[36:37], v[4:5], v[36:37]
	v_add_f64 v[198:199], v[198:199], v[210:211]
	v_add_f64 v[200:201], v[200:201], v[204:205]
	s_waitcnt vmcnt(8) lgkmcnt(0)
	v_mul_f64 v[204:205], v[6:7], v[192:193]
	v_mul_f64 v[192:193], v[8:9], v[192:193]
	v_fma_f64 v[202:203], v[4:5], v[34:35], v[202:203]
	v_fma_f64 v[210:211], v[2:3], v[34:35], -v[36:37]
	scratch_load_b128 v[34:37], off, off offset:768
	ds_load_b128 v[2:5], v1 offset:1424
	v_add_f64 v[198:199], v[198:199], v[208:209]
	v_add_f64 v[200:201], v[200:201], v[206:207]
	v_fma_f64 v[204:205], v[8:9], v[190:191], v[204:205]
	v_fma_f64 v[190:191], v[6:7], v[190:191], -v[192:193]
	ds_load_b128 v[6:9], v1 offset:1440
	s_waitcnt vmcnt(8) lgkmcnt(1)
	v_mul_f64 v[206:207], v[2:3], v[12:13]
	v_mul_f64 v[12:13], v[4:5], v[12:13]
	v_add_f64 v[192:193], v[198:199], v[210:211]
	v_add_f64 v[198:199], v[200:201], v[202:203]
	s_waitcnt vmcnt(7) lgkmcnt(0)
	v_mul_f64 v[200:201], v[6:7], v[16:17]
	v_mul_f64 v[16:17], v[8:9], v[16:17]
	v_fma_f64 v[202:203], v[4:5], v[10:11], v[206:207]
	v_fma_f64 v[10:11], v[2:3], v[10:11], -v[12:13]
	ds_load_b128 v[2:5], v1 offset:1456
	v_add_f64 v[12:13], v[192:193], v[190:191]
	v_add_f64 v[190:191], v[198:199], v[204:205]
	v_fma_f64 v[198:199], v[8:9], v[14:15], v[200:201]
	v_fma_f64 v[14:15], v[6:7], v[14:15], -v[16:17]
	ds_load_b128 v[6:9], v1 offset:1472
	s_waitcnt vmcnt(5) lgkmcnt(0)
	v_mul_f64 v[200:201], v[6:7], v[24:25]
	v_mul_f64 v[24:25], v[8:9], v[24:25]
	v_add_f64 v[16:17], v[12:13], v[10:11]
	v_add_f64 v[190:191], v[190:191], v[202:203]
	scratch_load_b128 v[10:13], off, off offset:432
	v_mul_f64 v[192:193], v[2:3], v[20:21]
	v_mul_f64 v[20:21], v[4:5], v[20:21]
	v_add_f64 v[14:15], v[16:17], v[14:15]
	v_add_f64 v[16:17], v[190:191], v[198:199]
	v_fma_f64 v[190:191], v[8:9], v[22:23], v[200:201]
	v_fma_f64 v[192:193], v[4:5], v[18:19], v[192:193]
	v_fma_f64 v[18:19], v[2:3], v[18:19], -v[20:21]
	ds_load_b128 v[2:5], v1 offset:1488
	v_fma_f64 v[22:23], v[6:7], v[22:23], -v[24:25]
	ds_load_b128 v[6:9], v1 offset:1504
	s_waitcnt vmcnt(5) lgkmcnt(1)
	v_mul_f64 v[20:21], v[2:3], v[28:29]
	v_mul_f64 v[28:29], v[4:5], v[28:29]
	s_waitcnt vmcnt(4) lgkmcnt(0)
	v_mul_f64 v[24:25], v[8:9], v[32:33]
	v_add_f64 v[16:17], v[16:17], v[192:193]
	v_add_f64 v[14:15], v[14:15], v[18:19]
	v_mul_f64 v[18:19], v[6:7], v[32:33]
	v_fma_f64 v[20:21], v[4:5], v[26:27], v[20:21]
	v_fma_f64 v[26:27], v[2:3], v[26:27], -v[28:29]
	ds_load_b128 v[2:5], v1 offset:1520
	v_fma_f64 v[24:25], v[6:7], v[30:31], -v[24:25]
	v_add_f64 v[16:17], v[16:17], v[190:191]
	v_add_f64 v[14:15], v[14:15], v[22:23]
	v_fma_f64 v[18:19], v[8:9], v[30:31], v[18:19]
	ds_load_b128 v[6:9], v1 offset:1536
	s_waitcnt vmcnt(3) lgkmcnt(1)
	v_mul_f64 v[22:23], v[2:3], v[40:41]
	v_mul_f64 v[28:29], v[4:5], v[40:41]
	v_add_f64 v[16:17], v[16:17], v[20:21]
	v_add_f64 v[14:15], v[14:15], v[26:27]
	s_waitcnt vmcnt(2) lgkmcnt(0)
	v_mul_f64 v[20:21], v[6:7], v[196:197]
	v_mul_f64 v[26:27], v[8:9], v[196:197]
	v_fma_f64 v[22:23], v[4:5], v[38:39], v[22:23]
	v_fma_f64 v[28:29], v[2:3], v[38:39], -v[28:29]
	ds_load_b128 v[2:5], v1 offset:1552
	v_add_f64 v[16:17], v[16:17], v[18:19]
	v_add_f64 v[14:15], v[14:15], v[24:25]
	s_waitcnt vmcnt(1) lgkmcnt(0)
	v_mul_f64 v[18:19], v[2:3], v[36:37]
	v_mul_f64 v[24:25], v[4:5], v[36:37]
	v_fma_f64 v[8:9], v[8:9], v[194:195], v[20:21]
	v_fma_f64 v[6:7], v[6:7], v[194:195], -v[26:27]
	v_add_f64 v[16:17], v[16:17], v[22:23]
	v_add_f64 v[14:15], v[14:15], v[28:29]
	v_fma_f64 v[4:5], v[4:5], v[34:35], v[18:19]
	v_fma_f64 v[2:3], v[2:3], v[34:35], -v[24:25]
	s_delay_alu instid0(VALU_DEP_4) | instskip(NEXT) | instid1(VALU_DEP_4)
	v_add_f64 v[8:9], v[16:17], v[8:9]
	v_add_f64 v[6:7], v[14:15], v[6:7]
	s_delay_alu instid0(VALU_DEP_2) | instskip(NEXT) | instid1(VALU_DEP_2)
	v_add_f64 v[4:5], v[8:9], v[4:5]
	v_add_f64 v[2:3], v[6:7], v[2:3]
	s_waitcnt vmcnt(0)
	s_delay_alu instid0(VALU_DEP_2) | instskip(NEXT) | instid1(VALU_DEP_2)
	v_add_f64 v[4:5], v[12:13], -v[4:5]
	v_add_f64 v[2:3], v[10:11], -v[2:3]
	scratch_store_b128 off, v[2:5], off offset:432
	v_cmpx_lt_u32_e32 26, v140
	s_cbranch_execz .LBB48_255
; %bb.254:
	scratch_load_b128 v[5:8], v163, off
	v_mov_b32_e32 v2, v1
	v_mov_b32_e32 v3, v1
	;; [unrolled: 1-line block ×3, first 2 shown]
	scratch_store_b128 off, v[1:4], off offset:416
	s_waitcnt vmcnt(0)
	ds_store_b128 v189, v[5:8]
.LBB48_255:
	s_or_b32 exec_lo, exec_lo, s2
	s_waitcnt lgkmcnt(0)
	s_waitcnt_vscnt null, 0x0
	s_barrier
	buffer_gl0_inv
	s_clause 0x7
	scratch_load_b128 v[2:5], off, off offset:432
	scratch_load_b128 v[6:9], off, off offset:448
	;; [unrolled: 1-line block ×8, first 2 shown]
	ds_load_b128 v[34:37], v1 offset:1216
	ds_load_b128 v[190:193], v1 offset:1232
	s_clause 0x1
	scratch_load_b128 v[38:41], off, off offset:560
	scratch_load_b128 v[194:197], off, off offset:576
	s_mov_b32 s2, exec_lo
	s_waitcnt vmcnt(9) lgkmcnt(1)
	v_mul_f64 v[198:199], v[36:37], v[4:5]
	v_mul_f64 v[4:5], v[34:35], v[4:5]
	s_waitcnt vmcnt(8) lgkmcnt(0)
	v_mul_f64 v[200:201], v[190:191], v[8:9]
	v_mul_f64 v[8:9], v[192:193], v[8:9]
	s_delay_alu instid0(VALU_DEP_4) | instskip(NEXT) | instid1(VALU_DEP_4)
	v_fma_f64 v[198:199], v[34:35], v[2:3], -v[198:199]
	v_fma_f64 v[202:203], v[36:37], v[2:3], v[4:5]
	ds_load_b128 v[2:5], v1 offset:1248
	scratch_load_b128 v[34:37], off, off offset:592
	v_fma_f64 v[200:201], v[192:193], v[6:7], v[200:201]
	v_fma_f64 v[206:207], v[190:191], v[6:7], -v[8:9]
	scratch_load_b128 v[190:193], off, off offset:608
	ds_load_b128 v[6:9], v1 offset:1264
	s_waitcnt vmcnt(9) lgkmcnt(1)
	v_mul_f64 v[204:205], v[2:3], v[12:13]
	v_mul_f64 v[12:13], v[4:5], v[12:13]
	s_waitcnt vmcnt(8) lgkmcnt(0)
	v_mul_f64 v[208:209], v[6:7], v[16:17]
	v_mul_f64 v[16:17], v[8:9], v[16:17]
	v_add_f64 v[198:199], v[198:199], 0
	v_add_f64 v[202:203], v[202:203], 0
	v_fma_f64 v[204:205], v[4:5], v[10:11], v[204:205]
	v_fma_f64 v[210:211], v[2:3], v[10:11], -v[12:13]
	ds_load_b128 v[2:5], v1 offset:1280
	scratch_load_b128 v[10:13], off, off offset:624
	v_add_f64 v[198:199], v[198:199], v[206:207]
	v_add_f64 v[200:201], v[202:203], v[200:201]
	v_fma_f64 v[206:207], v[8:9], v[14:15], v[208:209]
	v_fma_f64 v[208:209], v[6:7], v[14:15], -v[16:17]
	scratch_load_b128 v[14:17], off, off offset:640
	ds_load_b128 v[6:9], v1 offset:1296
	s_waitcnt vmcnt(9) lgkmcnt(1)
	v_mul_f64 v[202:203], v[2:3], v[20:21]
	v_mul_f64 v[20:21], v[4:5], v[20:21]
	v_add_f64 v[198:199], v[198:199], v[210:211]
	v_add_f64 v[200:201], v[200:201], v[204:205]
	s_waitcnt vmcnt(8) lgkmcnt(0)
	v_mul_f64 v[204:205], v[6:7], v[24:25]
	v_mul_f64 v[24:25], v[8:9], v[24:25]
	v_fma_f64 v[202:203], v[4:5], v[18:19], v[202:203]
	v_fma_f64 v[210:211], v[2:3], v[18:19], -v[20:21]
	ds_load_b128 v[2:5], v1 offset:1312
	scratch_load_b128 v[18:21], off, off offset:656
	v_add_f64 v[198:199], v[198:199], v[208:209]
	v_add_f64 v[200:201], v[200:201], v[206:207]
	v_fma_f64 v[204:205], v[8:9], v[22:23], v[204:205]
	v_fma_f64 v[208:209], v[6:7], v[22:23], -v[24:25]
	ds_load_b128 v[6:9], v1 offset:1328
	s_waitcnt vmcnt(8) lgkmcnt(1)
	v_mul_f64 v[206:207], v[2:3], v[28:29]
	v_mul_f64 v[28:29], v[4:5], v[28:29]
	scratch_load_b128 v[22:25], off, off offset:672
	v_add_f64 v[198:199], v[198:199], v[210:211]
	v_add_f64 v[200:201], v[200:201], v[202:203]
	s_waitcnt vmcnt(8) lgkmcnt(0)
	v_mul_f64 v[202:203], v[6:7], v[32:33]
	v_mul_f64 v[32:33], v[8:9], v[32:33]
	v_fma_f64 v[206:207], v[4:5], v[26:27], v[206:207]
	v_fma_f64 v[210:211], v[2:3], v[26:27], -v[28:29]
	ds_load_b128 v[2:5], v1 offset:1344
	scratch_load_b128 v[26:29], off, off offset:688
	v_add_f64 v[198:199], v[198:199], v[208:209]
	v_add_f64 v[200:201], v[200:201], v[204:205]
	v_fma_f64 v[202:203], v[8:9], v[30:31], v[202:203]
	v_fma_f64 v[208:209], v[6:7], v[30:31], -v[32:33]
	ds_load_b128 v[6:9], v1 offset:1360
	s_waitcnt vmcnt(8) lgkmcnt(1)
	v_mul_f64 v[204:205], v[2:3], v[40:41]
	v_mul_f64 v[40:41], v[4:5], v[40:41]
	scratch_load_b128 v[30:33], off, off offset:704
	v_add_f64 v[198:199], v[198:199], v[210:211]
	v_add_f64 v[200:201], v[200:201], v[206:207]
	s_waitcnt vmcnt(8) lgkmcnt(0)
	v_mul_f64 v[206:207], v[6:7], v[196:197]
	v_mul_f64 v[196:197], v[8:9], v[196:197]
	v_fma_f64 v[204:205], v[4:5], v[38:39], v[204:205]
	v_fma_f64 v[210:211], v[2:3], v[38:39], -v[40:41]
	scratch_load_b128 v[38:41], off, off offset:720
	ds_load_b128 v[2:5], v1 offset:1376
	v_add_f64 v[198:199], v[198:199], v[208:209]
	v_add_f64 v[200:201], v[200:201], v[202:203]
	v_fma_f64 v[206:207], v[8:9], v[194:195], v[206:207]
	v_fma_f64 v[208:209], v[6:7], v[194:195], -v[196:197]
	ds_load_b128 v[6:9], v1 offset:1392
	scratch_load_b128 v[194:197], off, off offset:736
	s_waitcnt vmcnt(9) lgkmcnt(1)
	v_mul_f64 v[202:203], v[2:3], v[36:37]
	v_mul_f64 v[36:37], v[4:5], v[36:37]
	v_add_f64 v[198:199], v[198:199], v[210:211]
	v_add_f64 v[200:201], v[200:201], v[204:205]
	s_waitcnt vmcnt(8) lgkmcnt(0)
	v_mul_f64 v[204:205], v[6:7], v[192:193]
	v_mul_f64 v[192:193], v[8:9], v[192:193]
	v_fma_f64 v[202:203], v[4:5], v[34:35], v[202:203]
	v_fma_f64 v[210:211], v[2:3], v[34:35], -v[36:37]
	scratch_load_b128 v[34:37], off, off offset:752
	ds_load_b128 v[2:5], v1 offset:1408
	v_add_f64 v[198:199], v[198:199], v[208:209]
	v_add_f64 v[200:201], v[200:201], v[206:207]
	v_fma_f64 v[204:205], v[8:9], v[190:191], v[204:205]
	v_fma_f64 v[208:209], v[6:7], v[190:191], -v[192:193]
	ds_load_b128 v[6:9], v1 offset:1424
	s_waitcnt vmcnt(8) lgkmcnt(1)
	v_mul_f64 v[206:207], v[2:3], v[12:13]
	v_mul_f64 v[12:13], v[4:5], v[12:13]
	scratch_load_b128 v[190:193], off, off offset:768
	v_add_f64 v[198:199], v[198:199], v[210:211]
	v_add_f64 v[200:201], v[200:201], v[202:203]
	s_waitcnt vmcnt(8) lgkmcnt(0)
	v_mul_f64 v[202:203], v[6:7], v[16:17]
	v_mul_f64 v[16:17], v[8:9], v[16:17]
	v_fma_f64 v[206:207], v[4:5], v[10:11], v[206:207]
	v_fma_f64 v[10:11], v[2:3], v[10:11], -v[12:13]
	ds_load_b128 v[2:5], v1 offset:1440
	v_add_f64 v[12:13], v[198:199], v[208:209]
	v_add_f64 v[198:199], v[200:201], v[204:205]
	v_fma_f64 v[202:203], v[8:9], v[14:15], v[202:203]
	v_fma_f64 v[14:15], v[6:7], v[14:15], -v[16:17]
	ds_load_b128 v[6:9], v1 offset:1456
	s_waitcnt vmcnt(7) lgkmcnt(1)
	v_mul_f64 v[200:201], v[2:3], v[20:21]
	v_mul_f64 v[20:21], v[4:5], v[20:21]
	v_add_f64 v[10:11], v[12:13], v[10:11]
	v_add_f64 v[12:13], v[198:199], v[206:207]
	s_delay_alu instid0(VALU_DEP_4) | instskip(NEXT) | instid1(VALU_DEP_4)
	v_fma_f64 v[198:199], v[4:5], v[18:19], v[200:201]
	v_fma_f64 v[18:19], v[2:3], v[18:19], -v[20:21]
	ds_load_b128 v[2:5], v1 offset:1472
	v_add_f64 v[14:15], v[10:11], v[14:15]
	v_add_f64 v[20:21], v[12:13], v[202:203]
	scratch_load_b128 v[10:13], off, off offset:416
	s_waitcnt vmcnt(7) lgkmcnt(1)
	v_mul_f64 v[16:17], v[6:7], v[24:25]
	v_mul_f64 v[24:25], v[8:9], v[24:25]
	v_add_f64 v[14:15], v[14:15], v[18:19]
	v_add_f64 v[18:19], v[20:21], v[198:199]
	s_delay_alu instid0(VALU_DEP_4) | instskip(NEXT) | instid1(VALU_DEP_4)
	v_fma_f64 v[16:17], v[8:9], v[22:23], v[16:17]
	v_fma_f64 v[22:23], v[6:7], v[22:23], -v[24:25]
	ds_load_b128 v[6:9], v1 offset:1488
	s_waitcnt vmcnt(6) lgkmcnt(1)
	v_mul_f64 v[200:201], v[2:3], v[28:29]
	v_mul_f64 v[28:29], v[4:5], v[28:29]
	s_waitcnt vmcnt(5) lgkmcnt(0)
	v_mul_f64 v[20:21], v[6:7], v[32:33]
	v_mul_f64 v[24:25], v[8:9], v[32:33]
	v_add_f64 v[16:17], v[18:19], v[16:17]
	v_add_f64 v[14:15], v[14:15], v[22:23]
	v_fma_f64 v[32:33], v[4:5], v[26:27], v[200:201]
	v_fma_f64 v[26:27], v[2:3], v[26:27], -v[28:29]
	ds_load_b128 v[2:5], v1 offset:1504
	v_fma_f64 v[20:21], v[8:9], v[30:31], v[20:21]
	v_fma_f64 v[24:25], v[6:7], v[30:31], -v[24:25]
	ds_load_b128 v[6:9], v1 offset:1520
	s_waitcnt vmcnt(4) lgkmcnt(1)
	v_mul_f64 v[18:19], v[2:3], v[40:41]
	v_mul_f64 v[22:23], v[4:5], v[40:41]
	v_add_f64 v[16:17], v[16:17], v[32:33]
	v_add_f64 v[14:15], v[14:15], v[26:27]
	s_waitcnt vmcnt(3) lgkmcnt(0)
	v_mul_f64 v[26:27], v[6:7], v[196:197]
	v_mul_f64 v[28:29], v[8:9], v[196:197]
	v_fma_f64 v[18:19], v[4:5], v[38:39], v[18:19]
	v_fma_f64 v[22:23], v[2:3], v[38:39], -v[22:23]
	ds_load_b128 v[2:5], v1 offset:1536
	v_add_f64 v[16:17], v[16:17], v[20:21]
	v_add_f64 v[14:15], v[14:15], v[24:25]
	v_fma_f64 v[26:27], v[8:9], v[194:195], v[26:27]
	v_fma_f64 v[28:29], v[6:7], v[194:195], -v[28:29]
	ds_load_b128 v[6:9], v1 offset:1552
	s_waitcnt vmcnt(2) lgkmcnt(1)
	v_mul_f64 v[20:21], v[2:3], v[36:37]
	v_mul_f64 v[24:25], v[4:5], v[36:37]
	v_add_f64 v[16:17], v[16:17], v[18:19]
	v_add_f64 v[14:15], v[14:15], v[22:23]
	s_waitcnt vmcnt(1) lgkmcnt(0)
	v_mul_f64 v[18:19], v[6:7], v[192:193]
	v_mul_f64 v[22:23], v[8:9], v[192:193]
	v_fma_f64 v[4:5], v[4:5], v[34:35], v[20:21]
	v_fma_f64 v[1:2], v[2:3], v[34:35], -v[24:25]
	v_add_f64 v[16:17], v[16:17], v[26:27]
	v_add_f64 v[14:15], v[14:15], v[28:29]
	v_fma_f64 v[8:9], v[8:9], v[190:191], v[18:19]
	v_fma_f64 v[6:7], v[6:7], v[190:191], -v[22:23]
	s_delay_alu instid0(VALU_DEP_4) | instskip(NEXT) | instid1(VALU_DEP_4)
	v_add_f64 v[3:4], v[16:17], v[4:5]
	v_add_f64 v[1:2], v[14:15], v[1:2]
	s_delay_alu instid0(VALU_DEP_2) | instskip(NEXT) | instid1(VALU_DEP_2)
	v_add_f64 v[3:4], v[3:4], v[8:9]
	v_add_f64 v[1:2], v[1:2], v[6:7]
	s_waitcnt vmcnt(0)
	s_delay_alu instid0(VALU_DEP_2) | instskip(NEXT) | instid1(VALU_DEP_2)
	v_add_f64 v[3:4], v[12:13], -v[3:4]
	v_add_f64 v[1:2], v[10:11], -v[1:2]
	scratch_store_b128 off, v[1:4], off offset:416
	v_cmpx_lt_u32_e32 25, v140
	s_cbranch_execz .LBB48_257
; %bb.256:
	scratch_load_b128 v[1:4], v164, off
	v_mov_b32_e32 v5, 0
	s_delay_alu instid0(VALU_DEP_1)
	v_mov_b32_e32 v6, v5
	v_mov_b32_e32 v7, v5
	v_mov_b32_e32 v8, v5
	scratch_store_b128 off, v[5:8], off offset:400
	s_waitcnt vmcnt(0)
	ds_store_b128 v189, v[1:4]
.LBB48_257:
	s_or_b32 exec_lo, exec_lo, s2
	s_waitcnt lgkmcnt(0)
	s_waitcnt_vscnt null, 0x0
	s_barrier
	buffer_gl0_inv
	s_clause 0x7
	scratch_load_b128 v[2:5], off, off offset:416
	scratch_load_b128 v[6:9], off, off offset:432
	;; [unrolled: 1-line block ×8, first 2 shown]
	v_mov_b32_e32 v1, 0
	s_clause 0x1
	scratch_load_b128 v[38:41], off, off offset:544
	scratch_load_b128 v[194:197], off, off offset:560
	s_mov_b32 s2, exec_lo
	ds_load_b128 v[34:37], v1 offset:1200
	ds_load_b128 v[190:193], v1 offset:1216
	s_waitcnt vmcnt(9) lgkmcnt(1)
	v_mul_f64 v[198:199], v[36:37], v[4:5]
	v_mul_f64 v[4:5], v[34:35], v[4:5]
	s_waitcnt vmcnt(8) lgkmcnt(0)
	v_mul_f64 v[200:201], v[190:191], v[8:9]
	v_mul_f64 v[8:9], v[192:193], v[8:9]
	s_delay_alu instid0(VALU_DEP_4) | instskip(NEXT) | instid1(VALU_DEP_4)
	v_fma_f64 v[198:199], v[34:35], v[2:3], -v[198:199]
	v_fma_f64 v[202:203], v[36:37], v[2:3], v[4:5]
	ds_load_b128 v[2:5], v1 offset:1232
	scratch_load_b128 v[34:37], off, off offset:576
	v_fma_f64 v[200:201], v[192:193], v[6:7], v[200:201]
	v_fma_f64 v[206:207], v[190:191], v[6:7], -v[8:9]
	scratch_load_b128 v[190:193], off, off offset:592
	ds_load_b128 v[6:9], v1 offset:1248
	s_waitcnt vmcnt(9) lgkmcnt(1)
	v_mul_f64 v[204:205], v[2:3], v[12:13]
	v_mul_f64 v[12:13], v[4:5], v[12:13]
	s_waitcnt vmcnt(8) lgkmcnt(0)
	v_mul_f64 v[208:209], v[6:7], v[16:17]
	v_mul_f64 v[16:17], v[8:9], v[16:17]
	v_add_f64 v[198:199], v[198:199], 0
	v_add_f64 v[202:203], v[202:203], 0
	v_fma_f64 v[204:205], v[4:5], v[10:11], v[204:205]
	v_fma_f64 v[210:211], v[2:3], v[10:11], -v[12:13]
	ds_load_b128 v[2:5], v1 offset:1264
	scratch_load_b128 v[10:13], off, off offset:608
	v_add_f64 v[198:199], v[198:199], v[206:207]
	v_add_f64 v[200:201], v[202:203], v[200:201]
	v_fma_f64 v[206:207], v[8:9], v[14:15], v[208:209]
	v_fma_f64 v[208:209], v[6:7], v[14:15], -v[16:17]
	scratch_load_b128 v[14:17], off, off offset:624
	ds_load_b128 v[6:9], v1 offset:1280
	s_waitcnt vmcnt(9) lgkmcnt(1)
	v_mul_f64 v[202:203], v[2:3], v[20:21]
	v_mul_f64 v[20:21], v[4:5], v[20:21]
	v_add_f64 v[198:199], v[198:199], v[210:211]
	v_add_f64 v[200:201], v[200:201], v[204:205]
	s_waitcnt vmcnt(8) lgkmcnt(0)
	v_mul_f64 v[204:205], v[6:7], v[24:25]
	v_mul_f64 v[24:25], v[8:9], v[24:25]
	v_fma_f64 v[202:203], v[4:5], v[18:19], v[202:203]
	v_fma_f64 v[210:211], v[2:3], v[18:19], -v[20:21]
	ds_load_b128 v[2:5], v1 offset:1296
	scratch_load_b128 v[18:21], off, off offset:640
	v_add_f64 v[198:199], v[198:199], v[208:209]
	v_add_f64 v[200:201], v[200:201], v[206:207]
	v_fma_f64 v[204:205], v[8:9], v[22:23], v[204:205]
	v_fma_f64 v[208:209], v[6:7], v[22:23], -v[24:25]
	scratch_load_b128 v[22:25], off, off offset:656
	ds_load_b128 v[6:9], v1 offset:1312
	s_waitcnt vmcnt(9) lgkmcnt(1)
	v_mul_f64 v[206:207], v[2:3], v[28:29]
	v_mul_f64 v[28:29], v[4:5], v[28:29]
	v_add_f64 v[198:199], v[198:199], v[210:211]
	v_add_f64 v[200:201], v[200:201], v[202:203]
	s_waitcnt vmcnt(8) lgkmcnt(0)
	v_mul_f64 v[202:203], v[6:7], v[32:33]
	v_mul_f64 v[32:33], v[8:9], v[32:33]
	v_fma_f64 v[206:207], v[4:5], v[26:27], v[206:207]
	v_fma_f64 v[210:211], v[2:3], v[26:27], -v[28:29]
	ds_load_b128 v[2:5], v1 offset:1328
	scratch_load_b128 v[26:29], off, off offset:672
	v_add_f64 v[198:199], v[198:199], v[208:209]
	v_add_f64 v[200:201], v[200:201], v[204:205]
	v_fma_f64 v[202:203], v[8:9], v[30:31], v[202:203]
	v_fma_f64 v[208:209], v[6:7], v[30:31], -v[32:33]
	ds_load_b128 v[6:9], v1 offset:1344
	s_waitcnt vmcnt(8) lgkmcnt(1)
	v_mul_f64 v[204:205], v[2:3], v[40:41]
	v_mul_f64 v[40:41], v[4:5], v[40:41]
	scratch_load_b128 v[30:33], off, off offset:688
	v_add_f64 v[198:199], v[198:199], v[210:211]
	v_add_f64 v[200:201], v[200:201], v[206:207]
	s_waitcnt vmcnt(8) lgkmcnt(0)
	v_mul_f64 v[206:207], v[6:7], v[196:197]
	v_mul_f64 v[196:197], v[8:9], v[196:197]
	v_fma_f64 v[204:205], v[4:5], v[38:39], v[204:205]
	v_fma_f64 v[210:211], v[2:3], v[38:39], -v[40:41]
	scratch_load_b128 v[38:41], off, off offset:704
	ds_load_b128 v[2:5], v1 offset:1360
	v_add_f64 v[198:199], v[198:199], v[208:209]
	v_add_f64 v[200:201], v[200:201], v[202:203]
	v_fma_f64 v[206:207], v[8:9], v[194:195], v[206:207]
	v_fma_f64 v[208:209], v[6:7], v[194:195], -v[196:197]
	ds_load_b128 v[6:9], v1 offset:1376
	scratch_load_b128 v[194:197], off, off offset:720
	s_waitcnt vmcnt(9) lgkmcnt(1)
	v_mul_f64 v[202:203], v[2:3], v[36:37]
	v_mul_f64 v[36:37], v[4:5], v[36:37]
	v_add_f64 v[198:199], v[198:199], v[210:211]
	v_add_f64 v[200:201], v[200:201], v[204:205]
	s_waitcnt vmcnt(8) lgkmcnt(0)
	v_mul_f64 v[204:205], v[6:7], v[192:193]
	v_mul_f64 v[192:193], v[8:9], v[192:193]
	v_fma_f64 v[202:203], v[4:5], v[34:35], v[202:203]
	v_fma_f64 v[210:211], v[2:3], v[34:35], -v[36:37]
	scratch_load_b128 v[34:37], off, off offset:736
	ds_load_b128 v[2:5], v1 offset:1392
	v_add_f64 v[198:199], v[198:199], v[208:209]
	v_add_f64 v[200:201], v[200:201], v[206:207]
	v_fma_f64 v[204:205], v[8:9], v[190:191], v[204:205]
	v_fma_f64 v[208:209], v[6:7], v[190:191], -v[192:193]
	ds_load_b128 v[6:9], v1 offset:1408
	s_waitcnt vmcnt(8) lgkmcnt(1)
	v_mul_f64 v[206:207], v[2:3], v[12:13]
	v_mul_f64 v[12:13], v[4:5], v[12:13]
	scratch_load_b128 v[190:193], off, off offset:752
	v_add_f64 v[198:199], v[198:199], v[210:211]
	v_add_f64 v[200:201], v[200:201], v[202:203]
	s_waitcnt vmcnt(8) lgkmcnt(0)
	v_mul_f64 v[202:203], v[6:7], v[16:17]
	v_mul_f64 v[16:17], v[8:9], v[16:17]
	v_fma_f64 v[206:207], v[4:5], v[10:11], v[206:207]
	v_fma_f64 v[210:211], v[2:3], v[10:11], -v[12:13]
	scratch_load_b128 v[10:13], off, off offset:768
	ds_load_b128 v[2:5], v1 offset:1424
	v_add_f64 v[198:199], v[198:199], v[208:209]
	v_add_f64 v[200:201], v[200:201], v[204:205]
	v_fma_f64 v[202:203], v[8:9], v[14:15], v[202:203]
	v_fma_f64 v[14:15], v[6:7], v[14:15], -v[16:17]
	ds_load_b128 v[6:9], v1 offset:1440
	s_waitcnt vmcnt(8) lgkmcnt(1)
	v_mul_f64 v[204:205], v[2:3], v[20:21]
	v_mul_f64 v[20:21], v[4:5], v[20:21]
	v_add_f64 v[16:17], v[198:199], v[210:211]
	v_add_f64 v[198:199], v[200:201], v[206:207]
	s_waitcnt vmcnt(7) lgkmcnt(0)
	v_mul_f64 v[200:201], v[6:7], v[24:25]
	v_mul_f64 v[24:25], v[8:9], v[24:25]
	v_fma_f64 v[204:205], v[4:5], v[18:19], v[204:205]
	v_fma_f64 v[18:19], v[2:3], v[18:19], -v[20:21]
	ds_load_b128 v[2:5], v1 offset:1456
	v_add_f64 v[14:15], v[16:17], v[14:15]
	v_add_f64 v[16:17], v[198:199], v[202:203]
	v_fma_f64 v[198:199], v[8:9], v[22:23], v[200:201]
	v_fma_f64 v[22:23], v[6:7], v[22:23], -v[24:25]
	ds_load_b128 v[6:9], v1 offset:1472
	s_waitcnt vmcnt(5) lgkmcnt(0)
	v_mul_f64 v[200:201], v[6:7], v[32:33]
	v_mul_f64 v[32:33], v[8:9], v[32:33]
	v_add_f64 v[18:19], v[14:15], v[18:19]
	v_add_f64 v[24:25], v[16:17], v[204:205]
	scratch_load_b128 v[14:17], off, off offset:400
	v_mul_f64 v[20:21], v[2:3], v[28:29]
	v_mul_f64 v[28:29], v[4:5], v[28:29]
	v_add_f64 v[18:19], v[18:19], v[22:23]
	v_add_f64 v[22:23], v[24:25], v[198:199]
	s_delay_alu instid0(VALU_DEP_4) | instskip(NEXT) | instid1(VALU_DEP_4)
	v_fma_f64 v[20:21], v[4:5], v[26:27], v[20:21]
	v_fma_f64 v[26:27], v[2:3], v[26:27], -v[28:29]
	ds_load_b128 v[2:5], v1 offset:1488
	s_waitcnt vmcnt(5) lgkmcnt(0)
	v_mul_f64 v[24:25], v[2:3], v[40:41]
	v_mul_f64 v[28:29], v[4:5], v[40:41]
	v_fma_f64 v[40:41], v[8:9], v[30:31], v[200:201]
	v_fma_f64 v[30:31], v[6:7], v[30:31], -v[32:33]
	ds_load_b128 v[6:9], v1 offset:1504
	v_add_f64 v[20:21], v[22:23], v[20:21]
	v_add_f64 v[18:19], v[18:19], v[26:27]
	v_fma_f64 v[24:25], v[4:5], v[38:39], v[24:25]
	v_fma_f64 v[28:29], v[2:3], v[38:39], -v[28:29]
	ds_load_b128 v[2:5], v1 offset:1520
	s_waitcnt vmcnt(4) lgkmcnt(1)
	v_mul_f64 v[22:23], v[6:7], v[196:197]
	v_mul_f64 v[26:27], v[8:9], v[196:197]
	v_add_f64 v[20:21], v[20:21], v[40:41]
	v_add_f64 v[18:19], v[18:19], v[30:31]
	s_waitcnt vmcnt(3) lgkmcnt(0)
	v_mul_f64 v[30:31], v[2:3], v[36:37]
	v_mul_f64 v[32:33], v[4:5], v[36:37]
	v_fma_f64 v[22:23], v[8:9], v[194:195], v[22:23]
	v_fma_f64 v[26:27], v[6:7], v[194:195], -v[26:27]
	ds_load_b128 v[6:9], v1 offset:1536
	v_add_f64 v[20:21], v[20:21], v[24:25]
	v_add_f64 v[18:19], v[18:19], v[28:29]
	v_fma_f64 v[30:31], v[4:5], v[34:35], v[30:31]
	v_fma_f64 v[32:33], v[2:3], v[34:35], -v[32:33]
	ds_load_b128 v[2:5], v1 offset:1552
	s_waitcnt vmcnt(2) lgkmcnt(1)
	v_mul_f64 v[24:25], v[6:7], v[192:193]
	v_mul_f64 v[28:29], v[8:9], v[192:193]
	v_add_f64 v[20:21], v[20:21], v[22:23]
	v_add_f64 v[18:19], v[18:19], v[26:27]
	s_waitcnt vmcnt(1) lgkmcnt(0)
	v_mul_f64 v[22:23], v[2:3], v[12:13]
	v_mul_f64 v[12:13], v[4:5], v[12:13]
	v_fma_f64 v[8:9], v[8:9], v[190:191], v[24:25]
	v_fma_f64 v[6:7], v[6:7], v[190:191], -v[28:29]
	v_add_f64 v[20:21], v[20:21], v[30:31]
	v_add_f64 v[18:19], v[18:19], v[32:33]
	v_fma_f64 v[4:5], v[4:5], v[10:11], v[22:23]
	v_fma_f64 v[2:3], v[2:3], v[10:11], -v[12:13]
	s_delay_alu instid0(VALU_DEP_4) | instskip(NEXT) | instid1(VALU_DEP_4)
	v_add_f64 v[8:9], v[20:21], v[8:9]
	v_add_f64 v[6:7], v[18:19], v[6:7]
	s_delay_alu instid0(VALU_DEP_2) | instskip(NEXT) | instid1(VALU_DEP_2)
	v_add_f64 v[4:5], v[8:9], v[4:5]
	v_add_f64 v[2:3], v[6:7], v[2:3]
	s_waitcnt vmcnt(0)
	s_delay_alu instid0(VALU_DEP_2) | instskip(NEXT) | instid1(VALU_DEP_2)
	v_add_f64 v[4:5], v[16:17], -v[4:5]
	v_add_f64 v[2:3], v[14:15], -v[2:3]
	scratch_store_b128 off, v[2:5], off offset:400
	v_cmpx_lt_u32_e32 24, v140
	s_cbranch_execz .LBB48_259
; %bb.258:
	scratch_load_b128 v[5:8], v165, off
	v_mov_b32_e32 v2, v1
	v_mov_b32_e32 v3, v1
	;; [unrolled: 1-line block ×3, first 2 shown]
	scratch_store_b128 off, v[1:4], off offset:384
	s_waitcnt vmcnt(0)
	ds_store_b128 v189, v[5:8]
.LBB48_259:
	s_or_b32 exec_lo, exec_lo, s2
	s_waitcnt lgkmcnt(0)
	s_waitcnt_vscnt null, 0x0
	s_barrier
	buffer_gl0_inv
	s_clause 0x7
	scratch_load_b128 v[2:5], off, off offset:400
	scratch_load_b128 v[6:9], off, off offset:416
	;; [unrolled: 1-line block ×8, first 2 shown]
	ds_load_b128 v[34:37], v1 offset:1184
	ds_load_b128 v[190:193], v1 offset:1200
	s_clause 0x1
	scratch_load_b128 v[38:41], off, off offset:528
	scratch_load_b128 v[194:197], off, off offset:544
	s_mov_b32 s2, exec_lo
	s_waitcnt vmcnt(9) lgkmcnt(1)
	v_mul_f64 v[198:199], v[36:37], v[4:5]
	v_mul_f64 v[4:5], v[34:35], v[4:5]
	s_waitcnt vmcnt(8) lgkmcnt(0)
	v_mul_f64 v[200:201], v[190:191], v[8:9]
	v_mul_f64 v[8:9], v[192:193], v[8:9]
	s_delay_alu instid0(VALU_DEP_4) | instskip(NEXT) | instid1(VALU_DEP_4)
	v_fma_f64 v[198:199], v[34:35], v[2:3], -v[198:199]
	v_fma_f64 v[202:203], v[36:37], v[2:3], v[4:5]
	ds_load_b128 v[2:5], v1 offset:1216
	scratch_load_b128 v[34:37], off, off offset:560
	v_fma_f64 v[200:201], v[192:193], v[6:7], v[200:201]
	v_fma_f64 v[206:207], v[190:191], v[6:7], -v[8:9]
	scratch_load_b128 v[190:193], off, off offset:576
	ds_load_b128 v[6:9], v1 offset:1232
	s_waitcnt vmcnt(9) lgkmcnt(1)
	v_mul_f64 v[204:205], v[2:3], v[12:13]
	v_mul_f64 v[12:13], v[4:5], v[12:13]
	s_waitcnt vmcnt(8) lgkmcnt(0)
	v_mul_f64 v[208:209], v[6:7], v[16:17]
	v_mul_f64 v[16:17], v[8:9], v[16:17]
	v_add_f64 v[198:199], v[198:199], 0
	v_add_f64 v[202:203], v[202:203], 0
	v_fma_f64 v[204:205], v[4:5], v[10:11], v[204:205]
	v_fma_f64 v[210:211], v[2:3], v[10:11], -v[12:13]
	ds_load_b128 v[2:5], v1 offset:1248
	scratch_load_b128 v[10:13], off, off offset:592
	v_add_f64 v[198:199], v[198:199], v[206:207]
	v_add_f64 v[200:201], v[202:203], v[200:201]
	v_fma_f64 v[206:207], v[8:9], v[14:15], v[208:209]
	v_fma_f64 v[208:209], v[6:7], v[14:15], -v[16:17]
	scratch_load_b128 v[14:17], off, off offset:608
	ds_load_b128 v[6:9], v1 offset:1264
	s_waitcnt vmcnt(9) lgkmcnt(1)
	v_mul_f64 v[202:203], v[2:3], v[20:21]
	v_mul_f64 v[20:21], v[4:5], v[20:21]
	v_add_f64 v[198:199], v[198:199], v[210:211]
	v_add_f64 v[200:201], v[200:201], v[204:205]
	s_waitcnt vmcnt(8) lgkmcnt(0)
	v_mul_f64 v[204:205], v[6:7], v[24:25]
	v_mul_f64 v[24:25], v[8:9], v[24:25]
	v_fma_f64 v[202:203], v[4:5], v[18:19], v[202:203]
	v_fma_f64 v[210:211], v[2:3], v[18:19], -v[20:21]
	ds_load_b128 v[2:5], v1 offset:1280
	scratch_load_b128 v[18:21], off, off offset:624
	v_add_f64 v[198:199], v[198:199], v[208:209]
	v_add_f64 v[200:201], v[200:201], v[206:207]
	v_fma_f64 v[204:205], v[8:9], v[22:23], v[204:205]
	v_fma_f64 v[208:209], v[6:7], v[22:23], -v[24:25]
	scratch_load_b128 v[22:25], off, off offset:640
	ds_load_b128 v[6:9], v1 offset:1296
	s_waitcnt vmcnt(9) lgkmcnt(1)
	v_mul_f64 v[206:207], v[2:3], v[28:29]
	v_mul_f64 v[28:29], v[4:5], v[28:29]
	v_add_f64 v[198:199], v[198:199], v[210:211]
	v_add_f64 v[200:201], v[200:201], v[202:203]
	s_waitcnt vmcnt(8) lgkmcnt(0)
	v_mul_f64 v[202:203], v[6:7], v[32:33]
	v_mul_f64 v[32:33], v[8:9], v[32:33]
	v_fma_f64 v[206:207], v[4:5], v[26:27], v[206:207]
	v_fma_f64 v[210:211], v[2:3], v[26:27], -v[28:29]
	ds_load_b128 v[2:5], v1 offset:1312
	scratch_load_b128 v[26:29], off, off offset:656
	v_add_f64 v[198:199], v[198:199], v[208:209]
	v_add_f64 v[200:201], v[200:201], v[204:205]
	v_fma_f64 v[202:203], v[8:9], v[30:31], v[202:203]
	v_fma_f64 v[208:209], v[6:7], v[30:31], -v[32:33]
	ds_load_b128 v[6:9], v1 offset:1328
	s_waitcnt vmcnt(8) lgkmcnt(1)
	v_mul_f64 v[204:205], v[2:3], v[40:41]
	v_mul_f64 v[40:41], v[4:5], v[40:41]
	scratch_load_b128 v[30:33], off, off offset:672
	v_add_f64 v[198:199], v[198:199], v[210:211]
	v_add_f64 v[200:201], v[200:201], v[206:207]
	s_waitcnt vmcnt(8) lgkmcnt(0)
	v_mul_f64 v[206:207], v[6:7], v[196:197]
	v_mul_f64 v[196:197], v[8:9], v[196:197]
	v_fma_f64 v[204:205], v[4:5], v[38:39], v[204:205]
	v_fma_f64 v[210:211], v[2:3], v[38:39], -v[40:41]
	ds_load_b128 v[2:5], v1 offset:1344
	scratch_load_b128 v[38:41], off, off offset:688
	v_add_f64 v[198:199], v[198:199], v[208:209]
	v_add_f64 v[200:201], v[200:201], v[202:203]
	v_fma_f64 v[206:207], v[8:9], v[194:195], v[206:207]
	v_fma_f64 v[208:209], v[6:7], v[194:195], -v[196:197]
	ds_load_b128 v[6:9], v1 offset:1360
	scratch_load_b128 v[194:197], off, off offset:704
	s_waitcnt vmcnt(9) lgkmcnt(1)
	v_mul_f64 v[202:203], v[2:3], v[36:37]
	v_mul_f64 v[36:37], v[4:5], v[36:37]
	v_add_f64 v[198:199], v[198:199], v[210:211]
	v_add_f64 v[200:201], v[200:201], v[204:205]
	s_waitcnt vmcnt(8) lgkmcnt(0)
	v_mul_f64 v[204:205], v[6:7], v[192:193]
	v_mul_f64 v[192:193], v[8:9], v[192:193]
	v_fma_f64 v[202:203], v[4:5], v[34:35], v[202:203]
	v_fma_f64 v[210:211], v[2:3], v[34:35], -v[36:37]
	scratch_load_b128 v[34:37], off, off offset:720
	ds_load_b128 v[2:5], v1 offset:1376
	v_add_f64 v[198:199], v[198:199], v[208:209]
	v_add_f64 v[200:201], v[200:201], v[206:207]
	v_fma_f64 v[204:205], v[8:9], v[190:191], v[204:205]
	v_fma_f64 v[208:209], v[6:7], v[190:191], -v[192:193]
	ds_load_b128 v[6:9], v1 offset:1392
	s_waitcnt vmcnt(8) lgkmcnt(1)
	v_mul_f64 v[206:207], v[2:3], v[12:13]
	v_mul_f64 v[12:13], v[4:5], v[12:13]
	scratch_load_b128 v[190:193], off, off offset:736
	v_add_f64 v[198:199], v[198:199], v[210:211]
	v_add_f64 v[200:201], v[200:201], v[202:203]
	s_waitcnt vmcnt(8) lgkmcnt(0)
	v_mul_f64 v[202:203], v[6:7], v[16:17]
	v_mul_f64 v[16:17], v[8:9], v[16:17]
	v_fma_f64 v[206:207], v[4:5], v[10:11], v[206:207]
	v_fma_f64 v[210:211], v[2:3], v[10:11], -v[12:13]
	scratch_load_b128 v[10:13], off, off offset:752
	ds_load_b128 v[2:5], v1 offset:1408
	v_add_f64 v[198:199], v[198:199], v[208:209]
	v_add_f64 v[200:201], v[200:201], v[204:205]
	v_fma_f64 v[202:203], v[8:9], v[14:15], v[202:203]
	v_fma_f64 v[208:209], v[6:7], v[14:15], -v[16:17]
	ds_load_b128 v[6:9], v1 offset:1424
	s_waitcnt vmcnt(8) lgkmcnt(1)
	v_mul_f64 v[204:205], v[2:3], v[20:21]
	v_mul_f64 v[20:21], v[4:5], v[20:21]
	scratch_load_b128 v[14:17], off, off offset:768
	v_add_f64 v[198:199], v[198:199], v[210:211]
	v_add_f64 v[200:201], v[200:201], v[206:207]
	s_waitcnt vmcnt(8) lgkmcnt(0)
	v_mul_f64 v[206:207], v[6:7], v[24:25]
	v_mul_f64 v[24:25], v[8:9], v[24:25]
	v_fma_f64 v[204:205], v[4:5], v[18:19], v[204:205]
	v_fma_f64 v[18:19], v[2:3], v[18:19], -v[20:21]
	ds_load_b128 v[2:5], v1 offset:1440
	v_add_f64 v[20:21], v[198:199], v[208:209]
	v_add_f64 v[198:199], v[200:201], v[202:203]
	v_fma_f64 v[202:203], v[8:9], v[22:23], v[206:207]
	v_fma_f64 v[22:23], v[6:7], v[22:23], -v[24:25]
	ds_load_b128 v[6:9], v1 offset:1456
	s_waitcnt vmcnt(7) lgkmcnt(1)
	v_mul_f64 v[200:201], v[2:3], v[28:29]
	v_mul_f64 v[28:29], v[4:5], v[28:29]
	v_add_f64 v[18:19], v[20:21], v[18:19]
	v_add_f64 v[20:21], v[198:199], v[204:205]
	s_delay_alu instid0(VALU_DEP_4) | instskip(NEXT) | instid1(VALU_DEP_4)
	v_fma_f64 v[198:199], v[4:5], v[26:27], v[200:201]
	v_fma_f64 v[26:27], v[2:3], v[26:27], -v[28:29]
	ds_load_b128 v[2:5], v1 offset:1472
	v_add_f64 v[22:23], v[18:19], v[22:23]
	v_add_f64 v[28:29], v[20:21], v[202:203]
	scratch_load_b128 v[18:21], off, off offset:384
	s_waitcnt vmcnt(7) lgkmcnt(1)
	v_mul_f64 v[24:25], v[6:7], v[32:33]
	v_mul_f64 v[32:33], v[8:9], v[32:33]
	v_add_f64 v[22:23], v[22:23], v[26:27]
	v_add_f64 v[26:27], v[28:29], v[198:199]
	s_delay_alu instid0(VALU_DEP_4) | instskip(NEXT) | instid1(VALU_DEP_4)
	v_fma_f64 v[24:25], v[8:9], v[30:31], v[24:25]
	v_fma_f64 v[30:31], v[6:7], v[30:31], -v[32:33]
	ds_load_b128 v[6:9], v1 offset:1488
	s_waitcnt vmcnt(6) lgkmcnt(1)
	v_mul_f64 v[200:201], v[2:3], v[40:41]
	v_mul_f64 v[40:41], v[4:5], v[40:41]
	s_waitcnt vmcnt(5) lgkmcnt(0)
	v_mul_f64 v[28:29], v[6:7], v[196:197]
	v_mul_f64 v[32:33], v[8:9], v[196:197]
	v_add_f64 v[24:25], v[26:27], v[24:25]
	v_add_f64 v[22:23], v[22:23], v[30:31]
	v_fma_f64 v[196:197], v[4:5], v[38:39], v[200:201]
	v_fma_f64 v[38:39], v[2:3], v[38:39], -v[40:41]
	ds_load_b128 v[2:5], v1 offset:1504
	v_fma_f64 v[28:29], v[8:9], v[194:195], v[28:29]
	v_fma_f64 v[32:33], v[6:7], v[194:195], -v[32:33]
	ds_load_b128 v[6:9], v1 offset:1520
	s_waitcnt vmcnt(4) lgkmcnt(1)
	v_mul_f64 v[26:27], v[2:3], v[36:37]
	v_mul_f64 v[30:31], v[4:5], v[36:37]
	v_add_f64 v[24:25], v[24:25], v[196:197]
	v_add_f64 v[22:23], v[22:23], v[38:39]
	s_waitcnt vmcnt(3) lgkmcnt(0)
	v_mul_f64 v[36:37], v[6:7], v[192:193]
	v_mul_f64 v[38:39], v[8:9], v[192:193]
	v_fma_f64 v[26:27], v[4:5], v[34:35], v[26:27]
	v_fma_f64 v[30:31], v[2:3], v[34:35], -v[30:31]
	ds_load_b128 v[2:5], v1 offset:1536
	v_add_f64 v[24:25], v[24:25], v[28:29]
	v_add_f64 v[22:23], v[22:23], v[32:33]
	v_fma_f64 v[32:33], v[8:9], v[190:191], v[36:37]
	v_fma_f64 v[34:35], v[6:7], v[190:191], -v[38:39]
	ds_load_b128 v[6:9], v1 offset:1552
	s_waitcnt vmcnt(2) lgkmcnt(1)
	v_mul_f64 v[28:29], v[2:3], v[12:13]
	v_mul_f64 v[12:13], v[4:5], v[12:13]
	v_add_f64 v[24:25], v[24:25], v[26:27]
	v_add_f64 v[22:23], v[22:23], v[30:31]
	s_waitcnt vmcnt(1) lgkmcnt(0)
	v_mul_f64 v[26:27], v[6:7], v[16:17]
	v_mul_f64 v[16:17], v[8:9], v[16:17]
	v_fma_f64 v[4:5], v[4:5], v[10:11], v[28:29]
	v_fma_f64 v[1:2], v[2:3], v[10:11], -v[12:13]
	v_add_f64 v[12:13], v[24:25], v[32:33]
	v_add_f64 v[10:11], v[22:23], v[34:35]
	v_fma_f64 v[8:9], v[8:9], v[14:15], v[26:27]
	v_fma_f64 v[6:7], v[6:7], v[14:15], -v[16:17]
	s_delay_alu instid0(VALU_DEP_4) | instskip(NEXT) | instid1(VALU_DEP_4)
	v_add_f64 v[3:4], v[12:13], v[4:5]
	v_add_f64 v[1:2], v[10:11], v[1:2]
	s_delay_alu instid0(VALU_DEP_2) | instskip(NEXT) | instid1(VALU_DEP_2)
	v_add_f64 v[3:4], v[3:4], v[8:9]
	v_add_f64 v[1:2], v[1:2], v[6:7]
	s_waitcnt vmcnt(0)
	s_delay_alu instid0(VALU_DEP_2) | instskip(NEXT) | instid1(VALU_DEP_2)
	v_add_f64 v[3:4], v[20:21], -v[3:4]
	v_add_f64 v[1:2], v[18:19], -v[1:2]
	scratch_store_b128 off, v[1:4], off offset:384
	v_cmpx_lt_u32_e32 23, v140
	s_cbranch_execz .LBB48_261
; %bb.260:
	scratch_load_b128 v[1:4], v166, off
	v_mov_b32_e32 v5, 0
	s_delay_alu instid0(VALU_DEP_1)
	v_mov_b32_e32 v6, v5
	v_mov_b32_e32 v7, v5
	;; [unrolled: 1-line block ×3, first 2 shown]
	scratch_store_b128 off, v[5:8], off offset:368
	s_waitcnt vmcnt(0)
	ds_store_b128 v189, v[1:4]
.LBB48_261:
	s_or_b32 exec_lo, exec_lo, s2
	s_waitcnt lgkmcnt(0)
	s_waitcnt_vscnt null, 0x0
	s_barrier
	buffer_gl0_inv
	s_clause 0x7
	scratch_load_b128 v[2:5], off, off offset:384
	scratch_load_b128 v[6:9], off, off offset:400
	;; [unrolled: 1-line block ×8, first 2 shown]
	v_mov_b32_e32 v1, 0
	s_clause 0x1
	scratch_load_b128 v[38:41], off, off offset:512
	scratch_load_b128 v[194:197], off, off offset:528
	s_mov_b32 s2, exec_lo
	ds_load_b128 v[34:37], v1 offset:1168
	ds_load_b128 v[190:193], v1 offset:1184
	s_waitcnt vmcnt(9) lgkmcnt(1)
	v_mul_f64 v[198:199], v[36:37], v[4:5]
	v_mul_f64 v[4:5], v[34:35], v[4:5]
	s_waitcnt vmcnt(8) lgkmcnt(0)
	v_mul_f64 v[200:201], v[190:191], v[8:9]
	v_mul_f64 v[8:9], v[192:193], v[8:9]
	s_delay_alu instid0(VALU_DEP_4) | instskip(NEXT) | instid1(VALU_DEP_4)
	v_fma_f64 v[198:199], v[34:35], v[2:3], -v[198:199]
	v_fma_f64 v[202:203], v[36:37], v[2:3], v[4:5]
	ds_load_b128 v[2:5], v1 offset:1200
	scratch_load_b128 v[34:37], off, off offset:544
	v_fma_f64 v[200:201], v[192:193], v[6:7], v[200:201]
	v_fma_f64 v[206:207], v[190:191], v[6:7], -v[8:9]
	scratch_load_b128 v[190:193], off, off offset:560
	ds_load_b128 v[6:9], v1 offset:1216
	s_waitcnt vmcnt(9) lgkmcnt(1)
	v_mul_f64 v[204:205], v[2:3], v[12:13]
	v_mul_f64 v[12:13], v[4:5], v[12:13]
	s_waitcnt vmcnt(8) lgkmcnt(0)
	v_mul_f64 v[208:209], v[6:7], v[16:17]
	v_mul_f64 v[16:17], v[8:9], v[16:17]
	v_add_f64 v[198:199], v[198:199], 0
	v_add_f64 v[202:203], v[202:203], 0
	v_fma_f64 v[204:205], v[4:5], v[10:11], v[204:205]
	v_fma_f64 v[210:211], v[2:3], v[10:11], -v[12:13]
	ds_load_b128 v[2:5], v1 offset:1232
	scratch_load_b128 v[10:13], off, off offset:576
	v_add_f64 v[198:199], v[198:199], v[206:207]
	v_add_f64 v[200:201], v[202:203], v[200:201]
	v_fma_f64 v[206:207], v[8:9], v[14:15], v[208:209]
	v_fma_f64 v[208:209], v[6:7], v[14:15], -v[16:17]
	scratch_load_b128 v[14:17], off, off offset:592
	ds_load_b128 v[6:9], v1 offset:1248
	s_waitcnt vmcnt(9) lgkmcnt(1)
	v_mul_f64 v[202:203], v[2:3], v[20:21]
	v_mul_f64 v[20:21], v[4:5], v[20:21]
	v_add_f64 v[198:199], v[198:199], v[210:211]
	v_add_f64 v[200:201], v[200:201], v[204:205]
	s_waitcnt vmcnt(8) lgkmcnt(0)
	v_mul_f64 v[204:205], v[6:7], v[24:25]
	v_mul_f64 v[24:25], v[8:9], v[24:25]
	v_fma_f64 v[202:203], v[4:5], v[18:19], v[202:203]
	v_fma_f64 v[210:211], v[2:3], v[18:19], -v[20:21]
	ds_load_b128 v[2:5], v1 offset:1264
	scratch_load_b128 v[18:21], off, off offset:608
	v_add_f64 v[198:199], v[198:199], v[208:209]
	v_add_f64 v[200:201], v[200:201], v[206:207]
	v_fma_f64 v[204:205], v[8:9], v[22:23], v[204:205]
	v_fma_f64 v[208:209], v[6:7], v[22:23], -v[24:25]
	scratch_load_b128 v[22:25], off, off offset:624
	ds_load_b128 v[6:9], v1 offset:1280
	s_waitcnt vmcnt(9) lgkmcnt(1)
	v_mul_f64 v[206:207], v[2:3], v[28:29]
	v_mul_f64 v[28:29], v[4:5], v[28:29]
	v_add_f64 v[198:199], v[198:199], v[210:211]
	v_add_f64 v[200:201], v[200:201], v[202:203]
	s_waitcnt vmcnt(8) lgkmcnt(0)
	v_mul_f64 v[202:203], v[6:7], v[32:33]
	v_mul_f64 v[32:33], v[8:9], v[32:33]
	;; [unrolled: 18-line block ×3, first 2 shown]
	v_fma_f64 v[204:205], v[4:5], v[38:39], v[204:205]
	v_fma_f64 v[210:211], v[2:3], v[38:39], -v[40:41]
	ds_load_b128 v[2:5], v1 offset:1328
	scratch_load_b128 v[38:41], off, off offset:672
	v_add_f64 v[198:199], v[198:199], v[208:209]
	v_add_f64 v[200:201], v[200:201], v[202:203]
	v_fma_f64 v[206:207], v[8:9], v[194:195], v[206:207]
	v_fma_f64 v[208:209], v[6:7], v[194:195], -v[196:197]
	ds_load_b128 v[6:9], v1 offset:1344
	scratch_load_b128 v[194:197], off, off offset:688
	s_waitcnt vmcnt(9) lgkmcnt(1)
	v_mul_f64 v[202:203], v[2:3], v[36:37]
	v_mul_f64 v[36:37], v[4:5], v[36:37]
	v_add_f64 v[198:199], v[198:199], v[210:211]
	v_add_f64 v[200:201], v[200:201], v[204:205]
	s_waitcnt vmcnt(8) lgkmcnt(0)
	v_mul_f64 v[204:205], v[6:7], v[192:193]
	v_mul_f64 v[192:193], v[8:9], v[192:193]
	v_fma_f64 v[202:203], v[4:5], v[34:35], v[202:203]
	v_fma_f64 v[210:211], v[2:3], v[34:35], -v[36:37]
	scratch_load_b128 v[34:37], off, off offset:704
	ds_load_b128 v[2:5], v1 offset:1360
	v_add_f64 v[198:199], v[198:199], v[208:209]
	v_add_f64 v[200:201], v[200:201], v[206:207]
	v_fma_f64 v[204:205], v[8:9], v[190:191], v[204:205]
	v_fma_f64 v[208:209], v[6:7], v[190:191], -v[192:193]
	ds_load_b128 v[6:9], v1 offset:1376
	s_waitcnt vmcnt(8) lgkmcnt(1)
	v_mul_f64 v[206:207], v[2:3], v[12:13]
	v_mul_f64 v[12:13], v[4:5], v[12:13]
	scratch_load_b128 v[190:193], off, off offset:720
	v_add_f64 v[198:199], v[198:199], v[210:211]
	v_add_f64 v[200:201], v[200:201], v[202:203]
	s_waitcnt vmcnt(8) lgkmcnt(0)
	v_mul_f64 v[202:203], v[6:7], v[16:17]
	v_mul_f64 v[16:17], v[8:9], v[16:17]
	v_fma_f64 v[206:207], v[4:5], v[10:11], v[206:207]
	v_fma_f64 v[210:211], v[2:3], v[10:11], -v[12:13]
	scratch_load_b128 v[10:13], off, off offset:736
	ds_load_b128 v[2:5], v1 offset:1392
	v_add_f64 v[198:199], v[198:199], v[208:209]
	v_add_f64 v[200:201], v[200:201], v[204:205]
	v_fma_f64 v[202:203], v[8:9], v[14:15], v[202:203]
	v_fma_f64 v[208:209], v[6:7], v[14:15], -v[16:17]
	ds_load_b128 v[6:9], v1 offset:1408
	s_waitcnt vmcnt(8) lgkmcnt(1)
	v_mul_f64 v[204:205], v[2:3], v[20:21]
	v_mul_f64 v[20:21], v[4:5], v[20:21]
	scratch_load_b128 v[14:17], off, off offset:752
	v_add_f64 v[198:199], v[198:199], v[210:211]
	v_add_f64 v[200:201], v[200:201], v[206:207]
	s_waitcnt vmcnt(8) lgkmcnt(0)
	v_mul_f64 v[206:207], v[6:7], v[24:25]
	v_mul_f64 v[24:25], v[8:9], v[24:25]
	v_fma_f64 v[204:205], v[4:5], v[18:19], v[204:205]
	v_fma_f64 v[210:211], v[2:3], v[18:19], -v[20:21]
	scratch_load_b128 v[18:21], off, off offset:768
	ds_load_b128 v[2:5], v1 offset:1424
	v_add_f64 v[198:199], v[198:199], v[208:209]
	v_add_f64 v[200:201], v[200:201], v[202:203]
	v_fma_f64 v[206:207], v[8:9], v[22:23], v[206:207]
	v_fma_f64 v[22:23], v[6:7], v[22:23], -v[24:25]
	ds_load_b128 v[6:9], v1 offset:1440
	s_waitcnt vmcnt(8) lgkmcnt(1)
	v_mul_f64 v[202:203], v[2:3], v[28:29]
	v_mul_f64 v[28:29], v[4:5], v[28:29]
	v_add_f64 v[24:25], v[198:199], v[210:211]
	v_add_f64 v[198:199], v[200:201], v[204:205]
	s_waitcnt vmcnt(7) lgkmcnt(0)
	v_mul_f64 v[200:201], v[6:7], v[32:33]
	v_mul_f64 v[32:33], v[8:9], v[32:33]
	v_fma_f64 v[202:203], v[4:5], v[26:27], v[202:203]
	v_fma_f64 v[26:27], v[2:3], v[26:27], -v[28:29]
	ds_load_b128 v[2:5], v1 offset:1456
	v_add_f64 v[22:23], v[24:25], v[22:23]
	v_add_f64 v[24:25], v[198:199], v[206:207]
	v_fma_f64 v[198:199], v[8:9], v[30:31], v[200:201]
	v_fma_f64 v[30:31], v[6:7], v[30:31], -v[32:33]
	ds_load_b128 v[6:9], v1 offset:1472
	s_waitcnt vmcnt(5) lgkmcnt(0)
	v_mul_f64 v[200:201], v[6:7], v[196:197]
	v_mul_f64 v[196:197], v[8:9], v[196:197]
	v_add_f64 v[26:27], v[22:23], v[26:27]
	v_add_f64 v[32:33], v[24:25], v[202:203]
	scratch_load_b128 v[22:25], off, off offset:368
	v_mul_f64 v[28:29], v[2:3], v[40:41]
	v_mul_f64 v[40:41], v[4:5], v[40:41]
	v_add_f64 v[26:27], v[26:27], v[30:31]
	v_add_f64 v[30:31], v[32:33], v[198:199]
	s_delay_alu instid0(VALU_DEP_4) | instskip(NEXT) | instid1(VALU_DEP_4)
	v_fma_f64 v[28:29], v[4:5], v[38:39], v[28:29]
	v_fma_f64 v[38:39], v[2:3], v[38:39], -v[40:41]
	ds_load_b128 v[2:5], v1 offset:1488
	v_fma_f64 v[40:41], v[8:9], v[194:195], v[200:201]
	v_fma_f64 v[194:195], v[6:7], v[194:195], -v[196:197]
	ds_load_b128 v[6:9], v1 offset:1504
	s_waitcnt vmcnt(5) lgkmcnt(1)
	v_mul_f64 v[32:33], v[2:3], v[36:37]
	v_mul_f64 v[36:37], v[4:5], v[36:37]
	v_add_f64 v[28:29], v[30:31], v[28:29]
	v_add_f64 v[26:27], v[26:27], v[38:39]
	s_waitcnt vmcnt(4) lgkmcnt(0)
	v_mul_f64 v[30:31], v[6:7], v[192:193]
	v_mul_f64 v[38:39], v[8:9], v[192:193]
	v_fma_f64 v[32:33], v[4:5], v[34:35], v[32:33]
	v_fma_f64 v[34:35], v[2:3], v[34:35], -v[36:37]
	ds_load_b128 v[2:5], v1 offset:1520
	v_add_f64 v[28:29], v[28:29], v[40:41]
	v_add_f64 v[26:27], v[26:27], v[194:195]
	v_fma_f64 v[30:31], v[8:9], v[190:191], v[30:31]
	v_fma_f64 v[38:39], v[6:7], v[190:191], -v[38:39]
	ds_load_b128 v[6:9], v1 offset:1536
	s_waitcnt vmcnt(3) lgkmcnt(1)
	v_mul_f64 v[36:37], v[2:3], v[12:13]
	v_mul_f64 v[12:13], v[4:5], v[12:13]
	v_add_f64 v[28:29], v[28:29], v[32:33]
	v_add_f64 v[26:27], v[26:27], v[34:35]
	s_waitcnt vmcnt(2) lgkmcnt(0)
	v_mul_f64 v[32:33], v[6:7], v[16:17]
	v_mul_f64 v[16:17], v[8:9], v[16:17]
	v_fma_f64 v[34:35], v[4:5], v[10:11], v[36:37]
	v_fma_f64 v[10:11], v[2:3], v[10:11], -v[12:13]
	ds_load_b128 v[2:5], v1 offset:1552
	v_add_f64 v[12:13], v[26:27], v[38:39]
	v_add_f64 v[26:27], v[28:29], v[30:31]
	s_waitcnt vmcnt(1) lgkmcnt(0)
	v_mul_f64 v[28:29], v[2:3], v[20:21]
	v_mul_f64 v[20:21], v[4:5], v[20:21]
	v_fma_f64 v[8:9], v[8:9], v[14:15], v[32:33]
	v_fma_f64 v[6:7], v[6:7], v[14:15], -v[16:17]
	v_add_f64 v[10:11], v[12:13], v[10:11]
	v_add_f64 v[12:13], v[26:27], v[34:35]
	v_fma_f64 v[4:5], v[4:5], v[18:19], v[28:29]
	v_fma_f64 v[2:3], v[2:3], v[18:19], -v[20:21]
	s_delay_alu instid0(VALU_DEP_4) | instskip(NEXT) | instid1(VALU_DEP_4)
	v_add_f64 v[6:7], v[10:11], v[6:7]
	v_add_f64 v[8:9], v[12:13], v[8:9]
	s_delay_alu instid0(VALU_DEP_2) | instskip(NEXT) | instid1(VALU_DEP_2)
	v_add_f64 v[2:3], v[6:7], v[2:3]
	v_add_f64 v[4:5], v[8:9], v[4:5]
	s_waitcnt vmcnt(0)
	s_delay_alu instid0(VALU_DEP_2) | instskip(NEXT) | instid1(VALU_DEP_2)
	v_add_f64 v[2:3], v[22:23], -v[2:3]
	v_add_f64 v[4:5], v[24:25], -v[4:5]
	scratch_store_b128 off, v[2:5], off offset:368
	v_cmpx_lt_u32_e32 22, v140
	s_cbranch_execz .LBB48_263
; %bb.262:
	scratch_load_b128 v[5:8], v167, off
	v_mov_b32_e32 v2, v1
	v_mov_b32_e32 v3, v1
	;; [unrolled: 1-line block ×3, first 2 shown]
	scratch_store_b128 off, v[1:4], off offset:352
	s_waitcnt vmcnt(0)
	ds_store_b128 v189, v[5:8]
.LBB48_263:
	s_or_b32 exec_lo, exec_lo, s2
	s_waitcnt lgkmcnt(0)
	s_waitcnt_vscnt null, 0x0
	s_barrier
	buffer_gl0_inv
	s_clause 0x7
	scratch_load_b128 v[2:5], off, off offset:368
	scratch_load_b128 v[6:9], off, off offset:384
	scratch_load_b128 v[10:13], off, off offset:400
	scratch_load_b128 v[14:17], off, off offset:416
	scratch_load_b128 v[18:21], off, off offset:432
	scratch_load_b128 v[22:25], off, off offset:448
	scratch_load_b128 v[26:29], off, off offset:464
	scratch_load_b128 v[30:33], off, off offset:480
	ds_load_b128 v[38:41], v1 offset:1152
	ds_load_b128 v[190:193], v1 offset:1168
	s_clause 0x1
	scratch_load_b128 v[34:37], off, off offset:496
	scratch_load_b128 v[194:197], off, off offset:512
	s_mov_b32 s2, exec_lo
	s_waitcnt vmcnt(9) lgkmcnt(1)
	v_mul_f64 v[198:199], v[40:41], v[4:5]
	v_mul_f64 v[4:5], v[38:39], v[4:5]
	s_waitcnt vmcnt(8) lgkmcnt(0)
	v_mul_f64 v[200:201], v[190:191], v[8:9]
	v_mul_f64 v[8:9], v[192:193], v[8:9]
	s_delay_alu instid0(VALU_DEP_4) | instskip(NEXT) | instid1(VALU_DEP_4)
	v_fma_f64 v[198:199], v[38:39], v[2:3], -v[198:199]
	v_fma_f64 v[202:203], v[40:41], v[2:3], v[4:5]
	ds_load_b128 v[2:5], v1 offset:1184
	scratch_load_b128 v[38:41], off, off offset:528
	v_fma_f64 v[200:201], v[192:193], v[6:7], v[200:201]
	v_fma_f64 v[206:207], v[190:191], v[6:7], -v[8:9]
	scratch_load_b128 v[190:193], off, off offset:544
	ds_load_b128 v[6:9], v1 offset:1200
	s_waitcnt vmcnt(9) lgkmcnt(1)
	v_mul_f64 v[204:205], v[2:3], v[12:13]
	v_mul_f64 v[12:13], v[4:5], v[12:13]
	s_waitcnt vmcnt(8) lgkmcnt(0)
	v_mul_f64 v[208:209], v[6:7], v[16:17]
	v_mul_f64 v[16:17], v[8:9], v[16:17]
	v_add_f64 v[198:199], v[198:199], 0
	v_add_f64 v[202:203], v[202:203], 0
	v_fma_f64 v[204:205], v[4:5], v[10:11], v[204:205]
	v_fma_f64 v[210:211], v[2:3], v[10:11], -v[12:13]
	ds_load_b128 v[2:5], v1 offset:1216
	scratch_load_b128 v[10:13], off, off offset:560
	v_add_f64 v[198:199], v[198:199], v[206:207]
	v_add_f64 v[200:201], v[202:203], v[200:201]
	v_fma_f64 v[206:207], v[8:9], v[14:15], v[208:209]
	v_fma_f64 v[208:209], v[6:7], v[14:15], -v[16:17]
	scratch_load_b128 v[14:17], off, off offset:576
	ds_load_b128 v[6:9], v1 offset:1232
	s_waitcnt vmcnt(9) lgkmcnt(1)
	v_mul_f64 v[202:203], v[2:3], v[20:21]
	v_mul_f64 v[20:21], v[4:5], v[20:21]
	v_add_f64 v[198:199], v[198:199], v[210:211]
	v_add_f64 v[200:201], v[200:201], v[204:205]
	s_waitcnt vmcnt(8) lgkmcnt(0)
	v_mul_f64 v[204:205], v[6:7], v[24:25]
	v_mul_f64 v[24:25], v[8:9], v[24:25]
	v_fma_f64 v[202:203], v[4:5], v[18:19], v[202:203]
	v_fma_f64 v[210:211], v[2:3], v[18:19], -v[20:21]
	ds_load_b128 v[2:5], v1 offset:1248
	scratch_load_b128 v[18:21], off, off offset:592
	v_add_f64 v[198:199], v[198:199], v[208:209]
	v_add_f64 v[200:201], v[200:201], v[206:207]
	v_fma_f64 v[204:205], v[8:9], v[22:23], v[204:205]
	v_fma_f64 v[208:209], v[6:7], v[22:23], -v[24:25]
	scratch_load_b128 v[22:25], off, off offset:608
	ds_load_b128 v[6:9], v1 offset:1264
	s_waitcnt vmcnt(9) lgkmcnt(1)
	v_mul_f64 v[206:207], v[2:3], v[28:29]
	v_mul_f64 v[28:29], v[4:5], v[28:29]
	v_add_f64 v[198:199], v[198:199], v[210:211]
	v_add_f64 v[200:201], v[200:201], v[202:203]
	s_waitcnt vmcnt(8) lgkmcnt(0)
	v_mul_f64 v[202:203], v[6:7], v[32:33]
	v_mul_f64 v[32:33], v[8:9], v[32:33]
	v_fma_f64 v[206:207], v[4:5], v[26:27], v[206:207]
	v_fma_f64 v[210:211], v[2:3], v[26:27], -v[28:29]
	ds_load_b128 v[2:5], v1 offset:1280
	scratch_load_b128 v[26:29], off, off offset:624
	v_add_f64 v[198:199], v[198:199], v[208:209]
	v_add_f64 v[200:201], v[200:201], v[204:205]
	v_fma_f64 v[202:203], v[8:9], v[30:31], v[202:203]
	v_fma_f64 v[208:209], v[6:7], v[30:31], -v[32:33]
	scratch_load_b128 v[30:33], off, off offset:640
	ds_load_b128 v[6:9], v1 offset:1296
	s_waitcnt vmcnt(9) lgkmcnt(1)
	v_mul_f64 v[204:205], v[2:3], v[36:37]
	v_mul_f64 v[36:37], v[4:5], v[36:37]
	v_add_f64 v[198:199], v[198:199], v[210:211]
	v_add_f64 v[200:201], v[200:201], v[206:207]
	s_waitcnt vmcnt(8) lgkmcnt(0)
	v_mul_f64 v[206:207], v[6:7], v[196:197]
	v_mul_f64 v[196:197], v[8:9], v[196:197]
	v_fma_f64 v[204:205], v[4:5], v[34:35], v[204:205]
	v_fma_f64 v[210:211], v[2:3], v[34:35], -v[36:37]
	ds_load_b128 v[2:5], v1 offset:1312
	scratch_load_b128 v[34:37], off, off offset:656
	v_add_f64 v[198:199], v[198:199], v[208:209]
	v_add_f64 v[200:201], v[200:201], v[202:203]
	v_fma_f64 v[206:207], v[8:9], v[194:195], v[206:207]
	v_fma_f64 v[208:209], v[6:7], v[194:195], -v[196:197]
	ds_load_b128 v[6:9], v1 offset:1328
	scratch_load_b128 v[194:197], off, off offset:672
	s_waitcnt vmcnt(9) lgkmcnt(1)
	v_mul_f64 v[202:203], v[2:3], v[40:41]
	v_mul_f64 v[40:41], v[4:5], v[40:41]
	v_add_f64 v[198:199], v[198:199], v[210:211]
	v_add_f64 v[200:201], v[200:201], v[204:205]
	s_waitcnt vmcnt(8) lgkmcnt(0)
	v_mul_f64 v[204:205], v[6:7], v[192:193]
	v_mul_f64 v[192:193], v[8:9], v[192:193]
	v_fma_f64 v[202:203], v[4:5], v[38:39], v[202:203]
	v_fma_f64 v[210:211], v[2:3], v[38:39], -v[40:41]
	ds_load_b128 v[2:5], v1 offset:1344
	scratch_load_b128 v[38:41], off, off offset:688
	v_add_f64 v[198:199], v[198:199], v[208:209]
	v_add_f64 v[200:201], v[200:201], v[206:207]
	v_fma_f64 v[204:205], v[8:9], v[190:191], v[204:205]
	v_fma_f64 v[208:209], v[6:7], v[190:191], -v[192:193]
	ds_load_b128 v[6:9], v1 offset:1360
	s_waitcnt vmcnt(8) lgkmcnt(1)
	v_mul_f64 v[206:207], v[2:3], v[12:13]
	v_mul_f64 v[12:13], v[4:5], v[12:13]
	scratch_load_b128 v[190:193], off, off offset:704
	v_add_f64 v[198:199], v[198:199], v[210:211]
	v_add_f64 v[200:201], v[200:201], v[202:203]
	s_waitcnt vmcnt(8) lgkmcnt(0)
	v_mul_f64 v[202:203], v[6:7], v[16:17]
	v_mul_f64 v[16:17], v[8:9], v[16:17]
	v_fma_f64 v[206:207], v[4:5], v[10:11], v[206:207]
	v_fma_f64 v[210:211], v[2:3], v[10:11], -v[12:13]
	scratch_load_b128 v[10:13], off, off offset:720
	ds_load_b128 v[2:5], v1 offset:1376
	v_add_f64 v[198:199], v[198:199], v[208:209]
	v_add_f64 v[200:201], v[200:201], v[204:205]
	v_fma_f64 v[202:203], v[8:9], v[14:15], v[202:203]
	v_fma_f64 v[208:209], v[6:7], v[14:15], -v[16:17]
	ds_load_b128 v[6:9], v1 offset:1392
	s_waitcnt vmcnt(8) lgkmcnt(1)
	v_mul_f64 v[204:205], v[2:3], v[20:21]
	v_mul_f64 v[20:21], v[4:5], v[20:21]
	scratch_load_b128 v[14:17], off, off offset:736
	v_add_f64 v[198:199], v[198:199], v[210:211]
	v_add_f64 v[200:201], v[200:201], v[206:207]
	s_waitcnt vmcnt(8) lgkmcnt(0)
	v_mul_f64 v[206:207], v[6:7], v[24:25]
	v_mul_f64 v[24:25], v[8:9], v[24:25]
	v_fma_f64 v[204:205], v[4:5], v[18:19], v[204:205]
	v_fma_f64 v[210:211], v[2:3], v[18:19], -v[20:21]
	scratch_load_b128 v[18:21], off, off offset:752
	ds_load_b128 v[2:5], v1 offset:1408
	v_add_f64 v[198:199], v[198:199], v[208:209]
	v_add_f64 v[200:201], v[200:201], v[202:203]
	v_fma_f64 v[206:207], v[8:9], v[22:23], v[206:207]
	v_fma_f64 v[208:209], v[6:7], v[22:23], -v[24:25]
	ds_load_b128 v[6:9], v1 offset:1424
	s_waitcnt vmcnt(8) lgkmcnt(1)
	v_mul_f64 v[202:203], v[2:3], v[28:29]
	v_mul_f64 v[28:29], v[4:5], v[28:29]
	scratch_load_b128 v[22:25], off, off offset:768
	v_add_f64 v[198:199], v[198:199], v[210:211]
	v_add_f64 v[200:201], v[200:201], v[204:205]
	s_waitcnt vmcnt(8) lgkmcnt(0)
	v_mul_f64 v[204:205], v[6:7], v[32:33]
	v_mul_f64 v[32:33], v[8:9], v[32:33]
	v_fma_f64 v[202:203], v[4:5], v[26:27], v[202:203]
	v_fma_f64 v[26:27], v[2:3], v[26:27], -v[28:29]
	ds_load_b128 v[2:5], v1 offset:1440
	v_add_f64 v[28:29], v[198:199], v[208:209]
	v_add_f64 v[198:199], v[200:201], v[206:207]
	v_fma_f64 v[204:205], v[8:9], v[30:31], v[204:205]
	v_fma_f64 v[30:31], v[6:7], v[30:31], -v[32:33]
	ds_load_b128 v[6:9], v1 offset:1456
	s_waitcnt vmcnt(7) lgkmcnt(1)
	v_mul_f64 v[200:201], v[2:3], v[36:37]
	v_mul_f64 v[36:37], v[4:5], v[36:37]
	v_add_f64 v[26:27], v[28:29], v[26:27]
	v_add_f64 v[28:29], v[198:199], v[202:203]
	s_delay_alu instid0(VALU_DEP_4) | instskip(NEXT) | instid1(VALU_DEP_4)
	v_fma_f64 v[198:199], v[4:5], v[34:35], v[200:201]
	v_fma_f64 v[34:35], v[2:3], v[34:35], -v[36:37]
	ds_load_b128 v[2:5], v1 offset:1472
	v_add_f64 v[30:31], v[26:27], v[30:31]
	v_add_f64 v[36:37], v[28:29], v[204:205]
	scratch_load_b128 v[26:29], off, off offset:352
	s_waitcnt vmcnt(7) lgkmcnt(1)
	v_mul_f64 v[32:33], v[6:7], v[196:197]
	v_mul_f64 v[196:197], v[8:9], v[196:197]
	v_add_f64 v[30:31], v[30:31], v[34:35]
	v_add_f64 v[34:35], v[36:37], v[198:199]
	s_delay_alu instid0(VALU_DEP_4) | instskip(NEXT) | instid1(VALU_DEP_4)
	v_fma_f64 v[32:33], v[8:9], v[194:195], v[32:33]
	v_fma_f64 v[194:195], v[6:7], v[194:195], -v[196:197]
	ds_load_b128 v[6:9], v1 offset:1488
	s_waitcnt vmcnt(6) lgkmcnt(1)
	v_mul_f64 v[200:201], v[2:3], v[40:41]
	v_mul_f64 v[40:41], v[4:5], v[40:41]
	s_waitcnt vmcnt(5) lgkmcnt(0)
	v_mul_f64 v[36:37], v[6:7], v[192:193]
	v_mul_f64 v[192:193], v[8:9], v[192:193]
	v_add_f64 v[32:33], v[34:35], v[32:33]
	v_add_f64 v[30:31], v[30:31], v[194:195]
	v_fma_f64 v[196:197], v[4:5], v[38:39], v[200:201]
	v_fma_f64 v[38:39], v[2:3], v[38:39], -v[40:41]
	ds_load_b128 v[2:5], v1 offset:1504
	v_fma_f64 v[36:37], v[8:9], v[190:191], v[36:37]
	v_fma_f64 v[40:41], v[6:7], v[190:191], -v[192:193]
	ds_load_b128 v[6:9], v1 offset:1520
	s_waitcnt vmcnt(4) lgkmcnt(1)
	v_mul_f64 v[34:35], v[2:3], v[12:13]
	v_mul_f64 v[12:13], v[4:5], v[12:13]
	v_add_f64 v[32:33], v[32:33], v[196:197]
	v_add_f64 v[30:31], v[30:31], v[38:39]
	s_waitcnt vmcnt(3) lgkmcnt(0)
	v_mul_f64 v[38:39], v[6:7], v[16:17]
	v_mul_f64 v[16:17], v[8:9], v[16:17]
	v_fma_f64 v[34:35], v[4:5], v[10:11], v[34:35]
	v_fma_f64 v[10:11], v[2:3], v[10:11], -v[12:13]
	ds_load_b128 v[2:5], v1 offset:1536
	v_add_f64 v[12:13], v[30:31], v[40:41]
	v_add_f64 v[30:31], v[32:33], v[36:37]
	v_fma_f64 v[36:37], v[8:9], v[14:15], v[38:39]
	v_fma_f64 v[14:15], v[6:7], v[14:15], -v[16:17]
	ds_load_b128 v[6:9], v1 offset:1552
	s_waitcnt vmcnt(2) lgkmcnt(1)
	v_mul_f64 v[32:33], v[2:3], v[20:21]
	v_mul_f64 v[20:21], v[4:5], v[20:21]
	s_waitcnt vmcnt(1) lgkmcnt(0)
	v_mul_f64 v[16:17], v[6:7], v[24:25]
	v_mul_f64 v[24:25], v[8:9], v[24:25]
	v_add_f64 v[10:11], v[12:13], v[10:11]
	v_add_f64 v[12:13], v[30:31], v[34:35]
	v_fma_f64 v[4:5], v[4:5], v[18:19], v[32:33]
	v_fma_f64 v[1:2], v[2:3], v[18:19], -v[20:21]
	v_fma_f64 v[8:9], v[8:9], v[22:23], v[16:17]
	v_fma_f64 v[6:7], v[6:7], v[22:23], -v[24:25]
	v_add_f64 v[10:11], v[10:11], v[14:15]
	v_add_f64 v[12:13], v[12:13], v[36:37]
	s_delay_alu instid0(VALU_DEP_2) | instskip(NEXT) | instid1(VALU_DEP_2)
	v_add_f64 v[1:2], v[10:11], v[1:2]
	v_add_f64 v[3:4], v[12:13], v[4:5]
	s_delay_alu instid0(VALU_DEP_2) | instskip(NEXT) | instid1(VALU_DEP_2)
	v_add_f64 v[1:2], v[1:2], v[6:7]
	v_add_f64 v[3:4], v[3:4], v[8:9]
	s_waitcnt vmcnt(0)
	s_delay_alu instid0(VALU_DEP_2) | instskip(NEXT) | instid1(VALU_DEP_2)
	v_add_f64 v[1:2], v[26:27], -v[1:2]
	v_add_f64 v[3:4], v[28:29], -v[3:4]
	scratch_store_b128 off, v[1:4], off offset:352
	v_cmpx_lt_u32_e32 21, v140
	s_cbranch_execz .LBB48_265
; %bb.264:
	scratch_load_b128 v[1:4], v168, off
	v_mov_b32_e32 v5, 0
	s_delay_alu instid0(VALU_DEP_1)
	v_mov_b32_e32 v6, v5
	v_mov_b32_e32 v7, v5
	;; [unrolled: 1-line block ×3, first 2 shown]
	scratch_store_b128 off, v[5:8], off offset:336
	s_waitcnt vmcnt(0)
	ds_store_b128 v189, v[1:4]
.LBB48_265:
	s_or_b32 exec_lo, exec_lo, s2
	s_waitcnt lgkmcnt(0)
	s_waitcnt_vscnt null, 0x0
	s_barrier
	buffer_gl0_inv
	s_clause 0x7
	scratch_load_b128 v[2:5], off, off offset:352
	scratch_load_b128 v[6:9], off, off offset:368
	;; [unrolled: 1-line block ×8, first 2 shown]
	v_mov_b32_e32 v1, 0
	s_clause 0x1
	scratch_load_b128 v[34:37], off, off offset:480
	scratch_load_b128 v[194:197], off, off offset:496
	s_mov_b32 s2, exec_lo
	ds_load_b128 v[38:41], v1 offset:1136
	ds_load_b128 v[190:193], v1 offset:1152
	s_waitcnt vmcnt(9) lgkmcnt(1)
	v_mul_f64 v[198:199], v[40:41], v[4:5]
	v_mul_f64 v[4:5], v[38:39], v[4:5]
	s_waitcnt vmcnt(8) lgkmcnt(0)
	v_mul_f64 v[200:201], v[190:191], v[8:9]
	v_mul_f64 v[8:9], v[192:193], v[8:9]
	s_delay_alu instid0(VALU_DEP_4) | instskip(NEXT) | instid1(VALU_DEP_4)
	v_fma_f64 v[198:199], v[38:39], v[2:3], -v[198:199]
	v_fma_f64 v[202:203], v[40:41], v[2:3], v[4:5]
	ds_load_b128 v[2:5], v1 offset:1168
	scratch_load_b128 v[38:41], off, off offset:512
	v_fma_f64 v[200:201], v[192:193], v[6:7], v[200:201]
	v_fma_f64 v[206:207], v[190:191], v[6:7], -v[8:9]
	scratch_load_b128 v[190:193], off, off offset:528
	ds_load_b128 v[6:9], v1 offset:1184
	s_waitcnt vmcnt(9) lgkmcnt(1)
	v_mul_f64 v[204:205], v[2:3], v[12:13]
	v_mul_f64 v[12:13], v[4:5], v[12:13]
	s_waitcnt vmcnt(8) lgkmcnt(0)
	v_mul_f64 v[208:209], v[6:7], v[16:17]
	v_mul_f64 v[16:17], v[8:9], v[16:17]
	v_add_f64 v[198:199], v[198:199], 0
	v_add_f64 v[202:203], v[202:203], 0
	v_fma_f64 v[204:205], v[4:5], v[10:11], v[204:205]
	v_fma_f64 v[210:211], v[2:3], v[10:11], -v[12:13]
	ds_load_b128 v[2:5], v1 offset:1200
	scratch_load_b128 v[10:13], off, off offset:544
	v_add_f64 v[198:199], v[198:199], v[206:207]
	v_add_f64 v[200:201], v[202:203], v[200:201]
	v_fma_f64 v[206:207], v[8:9], v[14:15], v[208:209]
	v_fma_f64 v[208:209], v[6:7], v[14:15], -v[16:17]
	scratch_load_b128 v[14:17], off, off offset:560
	ds_load_b128 v[6:9], v1 offset:1216
	s_waitcnt vmcnt(9) lgkmcnt(1)
	v_mul_f64 v[202:203], v[2:3], v[20:21]
	v_mul_f64 v[20:21], v[4:5], v[20:21]
	v_add_f64 v[198:199], v[198:199], v[210:211]
	v_add_f64 v[200:201], v[200:201], v[204:205]
	s_waitcnt vmcnt(8) lgkmcnt(0)
	v_mul_f64 v[204:205], v[6:7], v[24:25]
	v_mul_f64 v[24:25], v[8:9], v[24:25]
	v_fma_f64 v[202:203], v[4:5], v[18:19], v[202:203]
	v_fma_f64 v[210:211], v[2:3], v[18:19], -v[20:21]
	ds_load_b128 v[2:5], v1 offset:1232
	scratch_load_b128 v[18:21], off, off offset:576
	v_add_f64 v[198:199], v[198:199], v[208:209]
	v_add_f64 v[200:201], v[200:201], v[206:207]
	v_fma_f64 v[204:205], v[8:9], v[22:23], v[204:205]
	v_fma_f64 v[208:209], v[6:7], v[22:23], -v[24:25]
	scratch_load_b128 v[22:25], off, off offset:592
	ds_load_b128 v[6:9], v1 offset:1248
	s_waitcnt vmcnt(9) lgkmcnt(1)
	v_mul_f64 v[206:207], v[2:3], v[28:29]
	v_mul_f64 v[28:29], v[4:5], v[28:29]
	v_add_f64 v[198:199], v[198:199], v[210:211]
	v_add_f64 v[200:201], v[200:201], v[202:203]
	s_waitcnt vmcnt(8) lgkmcnt(0)
	v_mul_f64 v[202:203], v[6:7], v[32:33]
	v_mul_f64 v[32:33], v[8:9], v[32:33]
	;; [unrolled: 18-line block ×4, first 2 shown]
	v_fma_f64 v[202:203], v[4:5], v[38:39], v[202:203]
	v_fma_f64 v[210:211], v[2:3], v[38:39], -v[40:41]
	ds_load_b128 v[2:5], v1 offset:1328
	scratch_load_b128 v[38:41], off, off offset:672
	v_add_f64 v[198:199], v[198:199], v[208:209]
	v_add_f64 v[200:201], v[200:201], v[206:207]
	v_fma_f64 v[204:205], v[8:9], v[190:191], v[204:205]
	v_fma_f64 v[208:209], v[6:7], v[190:191], -v[192:193]
	ds_load_b128 v[6:9], v1 offset:1344
	s_waitcnt vmcnt(8) lgkmcnt(1)
	v_mul_f64 v[206:207], v[2:3], v[12:13]
	v_mul_f64 v[12:13], v[4:5], v[12:13]
	scratch_load_b128 v[190:193], off, off offset:688
	v_add_f64 v[198:199], v[198:199], v[210:211]
	v_add_f64 v[200:201], v[200:201], v[202:203]
	s_waitcnt vmcnt(8) lgkmcnt(0)
	v_mul_f64 v[202:203], v[6:7], v[16:17]
	v_mul_f64 v[16:17], v[8:9], v[16:17]
	v_fma_f64 v[206:207], v[4:5], v[10:11], v[206:207]
	v_fma_f64 v[210:211], v[2:3], v[10:11], -v[12:13]
	scratch_load_b128 v[10:13], off, off offset:704
	ds_load_b128 v[2:5], v1 offset:1360
	v_add_f64 v[198:199], v[198:199], v[208:209]
	v_add_f64 v[200:201], v[200:201], v[204:205]
	v_fma_f64 v[202:203], v[8:9], v[14:15], v[202:203]
	v_fma_f64 v[208:209], v[6:7], v[14:15], -v[16:17]
	ds_load_b128 v[6:9], v1 offset:1376
	s_waitcnt vmcnt(8) lgkmcnt(1)
	v_mul_f64 v[204:205], v[2:3], v[20:21]
	v_mul_f64 v[20:21], v[4:5], v[20:21]
	scratch_load_b128 v[14:17], off, off offset:720
	v_add_f64 v[198:199], v[198:199], v[210:211]
	v_add_f64 v[200:201], v[200:201], v[206:207]
	s_waitcnt vmcnt(8) lgkmcnt(0)
	v_mul_f64 v[206:207], v[6:7], v[24:25]
	v_mul_f64 v[24:25], v[8:9], v[24:25]
	v_fma_f64 v[204:205], v[4:5], v[18:19], v[204:205]
	v_fma_f64 v[210:211], v[2:3], v[18:19], -v[20:21]
	scratch_load_b128 v[18:21], off, off offset:736
	ds_load_b128 v[2:5], v1 offset:1392
	v_add_f64 v[198:199], v[198:199], v[208:209]
	v_add_f64 v[200:201], v[200:201], v[202:203]
	v_fma_f64 v[206:207], v[8:9], v[22:23], v[206:207]
	v_fma_f64 v[208:209], v[6:7], v[22:23], -v[24:25]
	ds_load_b128 v[6:9], v1 offset:1408
	s_waitcnt vmcnt(8) lgkmcnt(1)
	v_mul_f64 v[202:203], v[2:3], v[28:29]
	v_mul_f64 v[28:29], v[4:5], v[28:29]
	scratch_load_b128 v[22:25], off, off offset:752
	v_add_f64 v[198:199], v[198:199], v[210:211]
	v_add_f64 v[200:201], v[200:201], v[204:205]
	s_waitcnt vmcnt(8) lgkmcnt(0)
	v_mul_f64 v[204:205], v[6:7], v[32:33]
	v_mul_f64 v[32:33], v[8:9], v[32:33]
	v_fma_f64 v[202:203], v[4:5], v[26:27], v[202:203]
	v_fma_f64 v[210:211], v[2:3], v[26:27], -v[28:29]
	scratch_load_b128 v[26:29], off, off offset:768
	ds_load_b128 v[2:5], v1 offset:1424
	v_add_f64 v[198:199], v[198:199], v[208:209]
	v_add_f64 v[200:201], v[200:201], v[206:207]
	v_fma_f64 v[204:205], v[8:9], v[30:31], v[204:205]
	v_fma_f64 v[30:31], v[6:7], v[30:31], -v[32:33]
	ds_load_b128 v[6:9], v1 offset:1440
	s_waitcnt vmcnt(8) lgkmcnt(1)
	v_mul_f64 v[206:207], v[2:3], v[36:37]
	v_mul_f64 v[36:37], v[4:5], v[36:37]
	v_add_f64 v[32:33], v[198:199], v[210:211]
	v_add_f64 v[198:199], v[200:201], v[202:203]
	s_waitcnt vmcnt(7) lgkmcnt(0)
	v_mul_f64 v[200:201], v[6:7], v[196:197]
	v_mul_f64 v[196:197], v[8:9], v[196:197]
	v_fma_f64 v[202:203], v[4:5], v[34:35], v[206:207]
	v_fma_f64 v[34:35], v[2:3], v[34:35], -v[36:37]
	ds_load_b128 v[2:5], v1 offset:1456
	v_add_f64 v[30:31], v[32:33], v[30:31]
	v_add_f64 v[32:33], v[198:199], v[204:205]
	v_fma_f64 v[198:199], v[8:9], v[194:195], v[200:201]
	v_fma_f64 v[194:195], v[6:7], v[194:195], -v[196:197]
	ds_load_b128 v[6:9], v1 offset:1472
	s_waitcnt vmcnt(5) lgkmcnt(0)
	v_mul_f64 v[200:201], v[6:7], v[192:193]
	v_mul_f64 v[192:193], v[8:9], v[192:193]
	v_add_f64 v[34:35], v[30:31], v[34:35]
	v_add_f64 v[196:197], v[32:33], v[202:203]
	scratch_load_b128 v[30:33], off, off offset:336
	v_mul_f64 v[36:37], v[2:3], v[40:41]
	v_mul_f64 v[40:41], v[4:5], v[40:41]
	v_add_f64 v[34:35], v[34:35], v[194:195]
	s_delay_alu instid0(VALU_DEP_3) | instskip(NEXT) | instid1(VALU_DEP_3)
	v_fma_f64 v[36:37], v[4:5], v[38:39], v[36:37]
	v_fma_f64 v[38:39], v[2:3], v[38:39], -v[40:41]
	v_add_f64 v[40:41], v[196:197], v[198:199]
	ds_load_b128 v[2:5], v1 offset:1488
	v_fma_f64 v[196:197], v[8:9], v[190:191], v[200:201]
	v_fma_f64 v[190:191], v[6:7], v[190:191], -v[192:193]
	ds_load_b128 v[6:9], v1 offset:1504
	s_waitcnt vmcnt(5) lgkmcnt(1)
	v_mul_f64 v[194:195], v[2:3], v[12:13]
	v_mul_f64 v[12:13], v[4:5], v[12:13]
	v_add_f64 v[34:35], v[34:35], v[38:39]
	v_add_f64 v[36:37], v[40:41], v[36:37]
	s_waitcnt vmcnt(4) lgkmcnt(0)
	v_mul_f64 v[38:39], v[6:7], v[16:17]
	v_mul_f64 v[16:17], v[8:9], v[16:17]
	v_fma_f64 v[40:41], v[4:5], v[10:11], v[194:195]
	v_fma_f64 v[10:11], v[2:3], v[10:11], -v[12:13]
	ds_load_b128 v[2:5], v1 offset:1520
	v_add_f64 v[12:13], v[34:35], v[190:191]
	v_add_f64 v[34:35], v[36:37], v[196:197]
	v_fma_f64 v[38:39], v[8:9], v[14:15], v[38:39]
	v_fma_f64 v[14:15], v[6:7], v[14:15], -v[16:17]
	ds_load_b128 v[6:9], v1 offset:1536
	s_waitcnt vmcnt(3) lgkmcnt(1)
	v_mul_f64 v[36:37], v[2:3], v[20:21]
	v_mul_f64 v[20:21], v[4:5], v[20:21]
	s_waitcnt vmcnt(2) lgkmcnt(0)
	v_mul_f64 v[16:17], v[6:7], v[24:25]
	v_mul_f64 v[24:25], v[8:9], v[24:25]
	v_add_f64 v[10:11], v[12:13], v[10:11]
	v_add_f64 v[12:13], v[34:35], v[40:41]
	v_fma_f64 v[34:35], v[4:5], v[18:19], v[36:37]
	v_fma_f64 v[18:19], v[2:3], v[18:19], -v[20:21]
	ds_load_b128 v[2:5], v1 offset:1552
	v_fma_f64 v[8:9], v[8:9], v[22:23], v[16:17]
	v_fma_f64 v[6:7], v[6:7], v[22:23], -v[24:25]
	s_waitcnt vmcnt(1) lgkmcnt(0)
	v_mul_f64 v[20:21], v[4:5], v[28:29]
	v_add_f64 v[10:11], v[10:11], v[14:15]
	v_add_f64 v[12:13], v[12:13], v[38:39]
	v_mul_f64 v[14:15], v[2:3], v[28:29]
	s_delay_alu instid0(VALU_DEP_4) | instskip(NEXT) | instid1(VALU_DEP_4)
	v_fma_f64 v[2:3], v[2:3], v[26:27], -v[20:21]
	v_add_f64 v[10:11], v[10:11], v[18:19]
	s_delay_alu instid0(VALU_DEP_4) | instskip(NEXT) | instid1(VALU_DEP_4)
	v_add_f64 v[12:13], v[12:13], v[34:35]
	v_fma_f64 v[4:5], v[4:5], v[26:27], v[14:15]
	s_delay_alu instid0(VALU_DEP_3) | instskip(NEXT) | instid1(VALU_DEP_3)
	v_add_f64 v[6:7], v[10:11], v[6:7]
	v_add_f64 v[8:9], v[12:13], v[8:9]
	s_delay_alu instid0(VALU_DEP_2) | instskip(NEXT) | instid1(VALU_DEP_2)
	v_add_f64 v[2:3], v[6:7], v[2:3]
	v_add_f64 v[4:5], v[8:9], v[4:5]
	s_waitcnt vmcnt(0)
	s_delay_alu instid0(VALU_DEP_2) | instskip(NEXT) | instid1(VALU_DEP_2)
	v_add_f64 v[2:3], v[30:31], -v[2:3]
	v_add_f64 v[4:5], v[32:33], -v[4:5]
	scratch_store_b128 off, v[2:5], off offset:336
	v_cmpx_lt_u32_e32 20, v140
	s_cbranch_execz .LBB48_267
; %bb.266:
	scratch_load_b128 v[5:8], v169, off
	v_mov_b32_e32 v2, v1
	v_mov_b32_e32 v3, v1
	;; [unrolled: 1-line block ×3, first 2 shown]
	scratch_store_b128 off, v[1:4], off offset:320
	s_waitcnt vmcnt(0)
	ds_store_b128 v189, v[5:8]
.LBB48_267:
	s_or_b32 exec_lo, exec_lo, s2
	s_waitcnt lgkmcnt(0)
	s_waitcnt_vscnt null, 0x0
	s_barrier
	buffer_gl0_inv
	s_clause 0x7
	scratch_load_b128 v[2:5], off, off offset:336
	scratch_load_b128 v[6:9], off, off offset:352
	;; [unrolled: 1-line block ×8, first 2 shown]
	ds_load_b128 v[38:41], v1 offset:1120
	ds_load_b128 v[190:193], v1 offset:1136
	s_clause 0x1
	scratch_load_b128 v[34:37], off, off offset:464
	scratch_load_b128 v[194:197], off, off offset:480
	s_mov_b32 s2, exec_lo
	s_waitcnt vmcnt(9) lgkmcnt(1)
	v_mul_f64 v[198:199], v[40:41], v[4:5]
	v_mul_f64 v[4:5], v[38:39], v[4:5]
	s_waitcnt vmcnt(8) lgkmcnt(0)
	v_mul_f64 v[200:201], v[190:191], v[8:9]
	v_mul_f64 v[8:9], v[192:193], v[8:9]
	s_delay_alu instid0(VALU_DEP_4) | instskip(NEXT) | instid1(VALU_DEP_4)
	v_fma_f64 v[198:199], v[38:39], v[2:3], -v[198:199]
	v_fma_f64 v[202:203], v[40:41], v[2:3], v[4:5]
	ds_load_b128 v[2:5], v1 offset:1152
	scratch_load_b128 v[38:41], off, off offset:496
	v_fma_f64 v[200:201], v[192:193], v[6:7], v[200:201]
	v_fma_f64 v[206:207], v[190:191], v[6:7], -v[8:9]
	scratch_load_b128 v[190:193], off, off offset:512
	ds_load_b128 v[6:9], v1 offset:1168
	s_waitcnt vmcnt(9) lgkmcnt(1)
	v_mul_f64 v[204:205], v[2:3], v[12:13]
	v_mul_f64 v[12:13], v[4:5], v[12:13]
	s_waitcnt vmcnt(8) lgkmcnt(0)
	v_mul_f64 v[208:209], v[6:7], v[16:17]
	v_mul_f64 v[16:17], v[8:9], v[16:17]
	v_add_f64 v[198:199], v[198:199], 0
	v_add_f64 v[202:203], v[202:203], 0
	v_fma_f64 v[204:205], v[4:5], v[10:11], v[204:205]
	v_fma_f64 v[210:211], v[2:3], v[10:11], -v[12:13]
	ds_load_b128 v[2:5], v1 offset:1184
	scratch_load_b128 v[10:13], off, off offset:528
	v_add_f64 v[198:199], v[198:199], v[206:207]
	v_add_f64 v[200:201], v[202:203], v[200:201]
	v_fma_f64 v[206:207], v[8:9], v[14:15], v[208:209]
	v_fma_f64 v[208:209], v[6:7], v[14:15], -v[16:17]
	scratch_load_b128 v[14:17], off, off offset:544
	ds_load_b128 v[6:9], v1 offset:1200
	s_waitcnt vmcnt(9) lgkmcnt(1)
	v_mul_f64 v[202:203], v[2:3], v[20:21]
	v_mul_f64 v[20:21], v[4:5], v[20:21]
	v_add_f64 v[198:199], v[198:199], v[210:211]
	v_add_f64 v[200:201], v[200:201], v[204:205]
	s_waitcnt vmcnt(8) lgkmcnt(0)
	v_mul_f64 v[204:205], v[6:7], v[24:25]
	v_mul_f64 v[24:25], v[8:9], v[24:25]
	v_fma_f64 v[202:203], v[4:5], v[18:19], v[202:203]
	v_fma_f64 v[210:211], v[2:3], v[18:19], -v[20:21]
	ds_load_b128 v[2:5], v1 offset:1216
	scratch_load_b128 v[18:21], off, off offset:560
	v_add_f64 v[198:199], v[198:199], v[208:209]
	v_add_f64 v[200:201], v[200:201], v[206:207]
	v_fma_f64 v[204:205], v[8:9], v[22:23], v[204:205]
	v_fma_f64 v[208:209], v[6:7], v[22:23], -v[24:25]
	scratch_load_b128 v[22:25], off, off offset:576
	ds_load_b128 v[6:9], v1 offset:1232
	s_waitcnt vmcnt(9) lgkmcnt(1)
	v_mul_f64 v[206:207], v[2:3], v[28:29]
	v_mul_f64 v[28:29], v[4:5], v[28:29]
	v_add_f64 v[198:199], v[198:199], v[210:211]
	v_add_f64 v[200:201], v[200:201], v[202:203]
	s_waitcnt vmcnt(8) lgkmcnt(0)
	v_mul_f64 v[202:203], v[6:7], v[32:33]
	v_mul_f64 v[32:33], v[8:9], v[32:33]
	;; [unrolled: 18-line block ×4, first 2 shown]
	v_fma_f64 v[202:203], v[4:5], v[38:39], v[202:203]
	v_fma_f64 v[210:211], v[2:3], v[38:39], -v[40:41]
	ds_load_b128 v[2:5], v1 offset:1312
	scratch_load_b128 v[38:41], off, off offset:656
	v_add_f64 v[198:199], v[198:199], v[208:209]
	v_add_f64 v[200:201], v[200:201], v[206:207]
	v_fma_f64 v[204:205], v[8:9], v[190:191], v[204:205]
	v_fma_f64 v[208:209], v[6:7], v[190:191], -v[192:193]
	ds_load_b128 v[6:9], v1 offset:1328
	s_waitcnt vmcnt(8) lgkmcnt(1)
	v_mul_f64 v[206:207], v[2:3], v[12:13]
	v_mul_f64 v[12:13], v[4:5], v[12:13]
	scratch_load_b128 v[190:193], off, off offset:672
	v_add_f64 v[198:199], v[198:199], v[210:211]
	v_add_f64 v[200:201], v[200:201], v[202:203]
	s_waitcnt vmcnt(8) lgkmcnt(0)
	v_mul_f64 v[202:203], v[6:7], v[16:17]
	v_mul_f64 v[16:17], v[8:9], v[16:17]
	v_fma_f64 v[206:207], v[4:5], v[10:11], v[206:207]
	v_fma_f64 v[210:211], v[2:3], v[10:11], -v[12:13]
	ds_load_b128 v[2:5], v1 offset:1344
	scratch_load_b128 v[10:13], off, off offset:688
	v_add_f64 v[198:199], v[198:199], v[208:209]
	v_add_f64 v[200:201], v[200:201], v[204:205]
	v_fma_f64 v[202:203], v[8:9], v[14:15], v[202:203]
	v_fma_f64 v[208:209], v[6:7], v[14:15], -v[16:17]
	ds_load_b128 v[6:9], v1 offset:1360
	s_waitcnt vmcnt(8) lgkmcnt(1)
	v_mul_f64 v[204:205], v[2:3], v[20:21]
	v_mul_f64 v[20:21], v[4:5], v[20:21]
	scratch_load_b128 v[14:17], off, off offset:704
	v_add_f64 v[198:199], v[198:199], v[210:211]
	v_add_f64 v[200:201], v[200:201], v[206:207]
	s_waitcnt vmcnt(8) lgkmcnt(0)
	v_mul_f64 v[206:207], v[6:7], v[24:25]
	v_mul_f64 v[24:25], v[8:9], v[24:25]
	v_fma_f64 v[204:205], v[4:5], v[18:19], v[204:205]
	v_fma_f64 v[210:211], v[2:3], v[18:19], -v[20:21]
	scratch_load_b128 v[18:21], off, off offset:720
	ds_load_b128 v[2:5], v1 offset:1376
	v_add_f64 v[198:199], v[198:199], v[208:209]
	v_add_f64 v[200:201], v[200:201], v[202:203]
	v_fma_f64 v[206:207], v[8:9], v[22:23], v[206:207]
	v_fma_f64 v[208:209], v[6:7], v[22:23], -v[24:25]
	ds_load_b128 v[6:9], v1 offset:1392
	s_waitcnt vmcnt(8) lgkmcnt(1)
	v_mul_f64 v[202:203], v[2:3], v[28:29]
	v_mul_f64 v[28:29], v[4:5], v[28:29]
	scratch_load_b128 v[22:25], off, off offset:736
	v_add_f64 v[198:199], v[198:199], v[210:211]
	v_add_f64 v[200:201], v[200:201], v[204:205]
	s_waitcnt vmcnt(8) lgkmcnt(0)
	v_mul_f64 v[204:205], v[6:7], v[32:33]
	v_mul_f64 v[32:33], v[8:9], v[32:33]
	v_fma_f64 v[202:203], v[4:5], v[26:27], v[202:203]
	v_fma_f64 v[210:211], v[2:3], v[26:27], -v[28:29]
	scratch_load_b128 v[26:29], off, off offset:752
	ds_load_b128 v[2:5], v1 offset:1408
	v_add_f64 v[198:199], v[198:199], v[208:209]
	v_add_f64 v[200:201], v[200:201], v[206:207]
	v_fma_f64 v[204:205], v[8:9], v[30:31], v[204:205]
	v_fma_f64 v[208:209], v[6:7], v[30:31], -v[32:33]
	ds_load_b128 v[6:9], v1 offset:1424
	s_waitcnt vmcnt(8) lgkmcnt(1)
	v_mul_f64 v[206:207], v[2:3], v[36:37]
	v_mul_f64 v[36:37], v[4:5], v[36:37]
	scratch_load_b128 v[30:33], off, off offset:768
	v_add_f64 v[198:199], v[198:199], v[210:211]
	v_add_f64 v[200:201], v[200:201], v[202:203]
	s_waitcnt vmcnt(8) lgkmcnt(0)
	v_mul_f64 v[202:203], v[6:7], v[196:197]
	v_mul_f64 v[196:197], v[8:9], v[196:197]
	v_fma_f64 v[206:207], v[4:5], v[34:35], v[206:207]
	v_fma_f64 v[34:35], v[2:3], v[34:35], -v[36:37]
	ds_load_b128 v[2:5], v1 offset:1440
	v_add_f64 v[36:37], v[198:199], v[208:209]
	v_add_f64 v[198:199], v[200:201], v[204:205]
	v_fma_f64 v[202:203], v[8:9], v[194:195], v[202:203]
	v_fma_f64 v[194:195], v[6:7], v[194:195], -v[196:197]
	ds_load_b128 v[6:9], v1 offset:1456
	s_waitcnt vmcnt(7) lgkmcnt(1)
	v_mul_f64 v[200:201], v[2:3], v[40:41]
	v_mul_f64 v[40:41], v[4:5], v[40:41]
	v_add_f64 v[34:35], v[36:37], v[34:35]
	v_add_f64 v[36:37], v[198:199], v[206:207]
	s_delay_alu instid0(VALU_DEP_4) | instskip(NEXT) | instid1(VALU_DEP_4)
	v_fma_f64 v[198:199], v[4:5], v[38:39], v[200:201]
	v_fma_f64 v[38:39], v[2:3], v[38:39], -v[40:41]
	ds_load_b128 v[2:5], v1 offset:1472
	v_add_f64 v[40:41], v[34:35], v[194:195]
	v_add_f64 v[194:195], v[36:37], v[202:203]
	scratch_load_b128 v[34:37], off, off offset:320
	s_waitcnt vmcnt(7) lgkmcnt(1)
	v_mul_f64 v[196:197], v[6:7], v[192:193]
	v_mul_f64 v[192:193], v[8:9], v[192:193]
	v_add_f64 v[38:39], v[40:41], v[38:39]
	v_add_f64 v[40:41], v[194:195], v[198:199]
	s_delay_alu instid0(VALU_DEP_4) | instskip(NEXT) | instid1(VALU_DEP_4)
	v_fma_f64 v[196:197], v[8:9], v[190:191], v[196:197]
	v_fma_f64 v[190:191], v[6:7], v[190:191], -v[192:193]
	ds_load_b128 v[6:9], v1 offset:1488
	s_waitcnt vmcnt(6) lgkmcnt(1)
	v_mul_f64 v[200:201], v[2:3], v[12:13]
	v_mul_f64 v[12:13], v[4:5], v[12:13]
	s_waitcnt vmcnt(5) lgkmcnt(0)
	v_mul_f64 v[192:193], v[6:7], v[16:17]
	v_mul_f64 v[16:17], v[8:9], v[16:17]
	s_delay_alu instid0(VALU_DEP_4) | instskip(NEXT) | instid1(VALU_DEP_4)
	v_fma_f64 v[194:195], v[4:5], v[10:11], v[200:201]
	v_fma_f64 v[10:11], v[2:3], v[10:11], -v[12:13]
	v_add_f64 v[12:13], v[38:39], v[190:191]
	v_add_f64 v[38:39], v[40:41], v[196:197]
	ds_load_b128 v[2:5], v1 offset:1504
	v_fma_f64 v[190:191], v[8:9], v[14:15], v[192:193]
	v_fma_f64 v[14:15], v[6:7], v[14:15], -v[16:17]
	ds_load_b128 v[6:9], v1 offset:1520
	s_waitcnt vmcnt(4) lgkmcnt(1)
	v_mul_f64 v[40:41], v[2:3], v[20:21]
	v_mul_f64 v[20:21], v[4:5], v[20:21]
	v_add_f64 v[10:11], v[12:13], v[10:11]
	v_add_f64 v[12:13], v[38:39], v[194:195]
	s_waitcnt vmcnt(3) lgkmcnt(0)
	v_mul_f64 v[16:17], v[6:7], v[24:25]
	v_mul_f64 v[24:25], v[8:9], v[24:25]
	v_fma_f64 v[38:39], v[4:5], v[18:19], v[40:41]
	v_fma_f64 v[18:19], v[2:3], v[18:19], -v[20:21]
	ds_load_b128 v[2:5], v1 offset:1536
	v_add_f64 v[10:11], v[10:11], v[14:15]
	v_add_f64 v[12:13], v[12:13], v[190:191]
	v_fma_f64 v[16:17], v[8:9], v[22:23], v[16:17]
	v_fma_f64 v[22:23], v[6:7], v[22:23], -v[24:25]
	ds_load_b128 v[6:9], v1 offset:1552
	s_waitcnt vmcnt(2) lgkmcnt(1)
	v_mul_f64 v[14:15], v[2:3], v[28:29]
	v_mul_f64 v[20:21], v[4:5], v[28:29]
	s_waitcnt vmcnt(1) lgkmcnt(0)
	v_mul_f64 v[24:25], v[8:9], v[32:33]
	v_add_f64 v[10:11], v[10:11], v[18:19]
	v_add_f64 v[12:13], v[12:13], v[38:39]
	v_mul_f64 v[18:19], v[6:7], v[32:33]
	v_fma_f64 v[4:5], v[4:5], v[26:27], v[14:15]
	v_fma_f64 v[1:2], v[2:3], v[26:27], -v[20:21]
	v_fma_f64 v[6:7], v[6:7], v[30:31], -v[24:25]
	v_add_f64 v[10:11], v[10:11], v[22:23]
	v_add_f64 v[12:13], v[12:13], v[16:17]
	v_fma_f64 v[8:9], v[8:9], v[30:31], v[18:19]
	s_delay_alu instid0(VALU_DEP_3) | instskip(NEXT) | instid1(VALU_DEP_3)
	v_add_f64 v[1:2], v[10:11], v[1:2]
	v_add_f64 v[3:4], v[12:13], v[4:5]
	s_delay_alu instid0(VALU_DEP_2) | instskip(NEXT) | instid1(VALU_DEP_2)
	v_add_f64 v[1:2], v[1:2], v[6:7]
	v_add_f64 v[3:4], v[3:4], v[8:9]
	s_waitcnt vmcnt(0)
	s_delay_alu instid0(VALU_DEP_2) | instskip(NEXT) | instid1(VALU_DEP_2)
	v_add_f64 v[1:2], v[34:35], -v[1:2]
	v_add_f64 v[3:4], v[36:37], -v[3:4]
	scratch_store_b128 off, v[1:4], off offset:320
	v_cmpx_lt_u32_e32 19, v140
	s_cbranch_execz .LBB48_269
; %bb.268:
	scratch_load_b128 v[1:4], v170, off
	v_mov_b32_e32 v5, 0
	s_delay_alu instid0(VALU_DEP_1)
	v_mov_b32_e32 v6, v5
	v_mov_b32_e32 v7, v5
	;; [unrolled: 1-line block ×3, first 2 shown]
	scratch_store_b128 off, v[5:8], off offset:304
	s_waitcnt vmcnt(0)
	ds_store_b128 v189, v[1:4]
.LBB48_269:
	s_or_b32 exec_lo, exec_lo, s2
	s_waitcnt lgkmcnt(0)
	s_waitcnt_vscnt null, 0x0
	s_barrier
	buffer_gl0_inv
	s_clause 0x7
	scratch_load_b128 v[2:5], off, off offset:320
	scratch_load_b128 v[6:9], off, off offset:336
	;; [unrolled: 1-line block ×8, first 2 shown]
	v_mov_b32_e32 v1, 0
	s_clause 0x1
	scratch_load_b128 v[34:37], off, off offset:448
	scratch_load_b128 v[194:197], off, off offset:464
	s_mov_b32 s2, exec_lo
	ds_load_b128 v[38:41], v1 offset:1104
	ds_load_b128 v[190:193], v1 offset:1120
	s_waitcnt vmcnt(9) lgkmcnt(1)
	v_mul_f64 v[198:199], v[40:41], v[4:5]
	v_mul_f64 v[4:5], v[38:39], v[4:5]
	s_waitcnt vmcnt(8) lgkmcnt(0)
	v_mul_f64 v[200:201], v[190:191], v[8:9]
	v_mul_f64 v[8:9], v[192:193], v[8:9]
	s_delay_alu instid0(VALU_DEP_4) | instskip(NEXT) | instid1(VALU_DEP_4)
	v_fma_f64 v[198:199], v[38:39], v[2:3], -v[198:199]
	v_fma_f64 v[202:203], v[40:41], v[2:3], v[4:5]
	ds_load_b128 v[2:5], v1 offset:1136
	scratch_load_b128 v[38:41], off, off offset:480
	v_fma_f64 v[200:201], v[192:193], v[6:7], v[200:201]
	v_fma_f64 v[206:207], v[190:191], v[6:7], -v[8:9]
	scratch_load_b128 v[190:193], off, off offset:496
	ds_load_b128 v[6:9], v1 offset:1152
	s_waitcnt vmcnt(9) lgkmcnt(1)
	v_mul_f64 v[204:205], v[2:3], v[12:13]
	v_mul_f64 v[12:13], v[4:5], v[12:13]
	s_waitcnt vmcnt(8) lgkmcnt(0)
	v_mul_f64 v[208:209], v[6:7], v[16:17]
	v_mul_f64 v[16:17], v[8:9], v[16:17]
	v_add_f64 v[198:199], v[198:199], 0
	v_add_f64 v[202:203], v[202:203], 0
	v_fma_f64 v[204:205], v[4:5], v[10:11], v[204:205]
	v_fma_f64 v[210:211], v[2:3], v[10:11], -v[12:13]
	ds_load_b128 v[2:5], v1 offset:1168
	scratch_load_b128 v[10:13], off, off offset:512
	v_add_f64 v[198:199], v[198:199], v[206:207]
	v_add_f64 v[200:201], v[202:203], v[200:201]
	v_fma_f64 v[206:207], v[8:9], v[14:15], v[208:209]
	v_fma_f64 v[208:209], v[6:7], v[14:15], -v[16:17]
	scratch_load_b128 v[14:17], off, off offset:528
	ds_load_b128 v[6:9], v1 offset:1184
	s_waitcnt vmcnt(9) lgkmcnt(1)
	v_mul_f64 v[202:203], v[2:3], v[20:21]
	v_mul_f64 v[20:21], v[4:5], v[20:21]
	v_add_f64 v[198:199], v[198:199], v[210:211]
	v_add_f64 v[200:201], v[200:201], v[204:205]
	s_waitcnt vmcnt(8) lgkmcnt(0)
	v_mul_f64 v[204:205], v[6:7], v[24:25]
	v_mul_f64 v[24:25], v[8:9], v[24:25]
	v_fma_f64 v[202:203], v[4:5], v[18:19], v[202:203]
	v_fma_f64 v[210:211], v[2:3], v[18:19], -v[20:21]
	ds_load_b128 v[2:5], v1 offset:1200
	scratch_load_b128 v[18:21], off, off offset:544
	v_add_f64 v[198:199], v[198:199], v[208:209]
	v_add_f64 v[200:201], v[200:201], v[206:207]
	v_fma_f64 v[204:205], v[8:9], v[22:23], v[204:205]
	v_fma_f64 v[208:209], v[6:7], v[22:23], -v[24:25]
	scratch_load_b128 v[22:25], off, off offset:560
	ds_load_b128 v[6:9], v1 offset:1216
	s_waitcnt vmcnt(9) lgkmcnt(1)
	v_mul_f64 v[206:207], v[2:3], v[28:29]
	v_mul_f64 v[28:29], v[4:5], v[28:29]
	v_add_f64 v[198:199], v[198:199], v[210:211]
	v_add_f64 v[200:201], v[200:201], v[202:203]
	s_waitcnt vmcnt(8) lgkmcnt(0)
	v_mul_f64 v[202:203], v[6:7], v[32:33]
	v_mul_f64 v[32:33], v[8:9], v[32:33]
	;; [unrolled: 18-line block ×5, first 2 shown]
	v_fma_f64 v[206:207], v[4:5], v[10:11], v[206:207]
	v_fma_f64 v[210:211], v[2:3], v[10:11], -v[12:13]
	ds_load_b128 v[2:5], v1 offset:1328
	scratch_load_b128 v[10:13], off, off offset:672
	v_add_f64 v[198:199], v[198:199], v[208:209]
	v_add_f64 v[200:201], v[200:201], v[204:205]
	v_fma_f64 v[202:203], v[8:9], v[14:15], v[202:203]
	v_fma_f64 v[208:209], v[6:7], v[14:15], -v[16:17]
	ds_load_b128 v[6:9], v1 offset:1344
	s_waitcnt vmcnt(8) lgkmcnt(1)
	v_mul_f64 v[204:205], v[2:3], v[20:21]
	v_mul_f64 v[20:21], v[4:5], v[20:21]
	scratch_load_b128 v[14:17], off, off offset:688
	v_add_f64 v[198:199], v[198:199], v[210:211]
	v_add_f64 v[200:201], v[200:201], v[206:207]
	s_waitcnt vmcnt(8) lgkmcnt(0)
	v_mul_f64 v[206:207], v[6:7], v[24:25]
	v_mul_f64 v[24:25], v[8:9], v[24:25]
	v_fma_f64 v[204:205], v[4:5], v[18:19], v[204:205]
	v_fma_f64 v[210:211], v[2:3], v[18:19], -v[20:21]
	scratch_load_b128 v[18:21], off, off offset:704
	ds_load_b128 v[2:5], v1 offset:1360
	v_add_f64 v[198:199], v[198:199], v[208:209]
	v_add_f64 v[200:201], v[200:201], v[202:203]
	v_fma_f64 v[206:207], v[8:9], v[22:23], v[206:207]
	v_fma_f64 v[208:209], v[6:7], v[22:23], -v[24:25]
	ds_load_b128 v[6:9], v1 offset:1376
	s_waitcnt vmcnt(8) lgkmcnt(1)
	v_mul_f64 v[202:203], v[2:3], v[28:29]
	v_mul_f64 v[28:29], v[4:5], v[28:29]
	scratch_load_b128 v[22:25], off, off offset:720
	v_add_f64 v[198:199], v[198:199], v[210:211]
	v_add_f64 v[200:201], v[200:201], v[204:205]
	s_waitcnt vmcnt(8) lgkmcnt(0)
	v_mul_f64 v[204:205], v[6:7], v[32:33]
	v_mul_f64 v[32:33], v[8:9], v[32:33]
	v_fma_f64 v[202:203], v[4:5], v[26:27], v[202:203]
	v_fma_f64 v[210:211], v[2:3], v[26:27], -v[28:29]
	scratch_load_b128 v[26:29], off, off offset:736
	ds_load_b128 v[2:5], v1 offset:1392
	;; [unrolled: 18-line block ×3, first 2 shown]
	v_add_f64 v[198:199], v[198:199], v[208:209]
	v_add_f64 v[200:201], v[200:201], v[204:205]
	v_fma_f64 v[202:203], v[8:9], v[194:195], v[202:203]
	v_fma_f64 v[194:195], v[6:7], v[194:195], -v[196:197]
	ds_load_b128 v[6:9], v1 offset:1440
	s_waitcnt vmcnt(8) lgkmcnt(1)
	v_mul_f64 v[204:205], v[2:3], v[40:41]
	v_mul_f64 v[40:41], v[4:5], v[40:41]
	v_add_f64 v[196:197], v[198:199], v[210:211]
	v_add_f64 v[198:199], v[200:201], v[206:207]
	s_waitcnt vmcnt(7) lgkmcnt(0)
	v_mul_f64 v[200:201], v[6:7], v[192:193]
	v_mul_f64 v[192:193], v[8:9], v[192:193]
	v_fma_f64 v[204:205], v[4:5], v[38:39], v[204:205]
	v_fma_f64 v[38:39], v[2:3], v[38:39], -v[40:41]
	ds_load_b128 v[2:5], v1 offset:1456
	v_add_f64 v[40:41], v[196:197], v[194:195]
	v_add_f64 v[194:195], v[198:199], v[202:203]
	v_fma_f64 v[198:199], v[8:9], v[190:191], v[200:201]
	v_fma_f64 v[190:191], v[6:7], v[190:191], -v[192:193]
	ds_load_b128 v[6:9], v1 offset:1472
	s_waitcnt vmcnt(5) lgkmcnt(0)
	v_mul_f64 v[200:201], v[6:7], v[16:17]
	v_mul_f64 v[16:17], v[8:9], v[16:17]
	v_add_f64 v[192:193], v[40:41], v[38:39]
	v_add_f64 v[194:195], v[194:195], v[204:205]
	scratch_load_b128 v[38:41], off, off offset:304
	v_mul_f64 v[196:197], v[2:3], v[12:13]
	v_mul_f64 v[12:13], v[4:5], v[12:13]
	s_delay_alu instid0(VALU_DEP_2) | instskip(NEXT) | instid1(VALU_DEP_2)
	v_fma_f64 v[196:197], v[4:5], v[10:11], v[196:197]
	v_fma_f64 v[10:11], v[2:3], v[10:11], -v[12:13]
	v_add_f64 v[12:13], v[192:193], v[190:191]
	v_add_f64 v[190:191], v[194:195], v[198:199]
	ds_load_b128 v[2:5], v1 offset:1488
	v_fma_f64 v[194:195], v[8:9], v[14:15], v[200:201]
	v_fma_f64 v[14:15], v[6:7], v[14:15], -v[16:17]
	ds_load_b128 v[6:9], v1 offset:1504
	s_waitcnt vmcnt(5) lgkmcnt(1)
	v_mul_f64 v[192:193], v[2:3], v[20:21]
	v_mul_f64 v[20:21], v[4:5], v[20:21]
	s_waitcnt vmcnt(4) lgkmcnt(0)
	v_mul_f64 v[16:17], v[6:7], v[24:25]
	v_mul_f64 v[24:25], v[8:9], v[24:25]
	v_add_f64 v[10:11], v[12:13], v[10:11]
	v_add_f64 v[12:13], v[190:191], v[196:197]
	v_fma_f64 v[190:191], v[4:5], v[18:19], v[192:193]
	v_fma_f64 v[18:19], v[2:3], v[18:19], -v[20:21]
	ds_load_b128 v[2:5], v1 offset:1520
	v_fma_f64 v[16:17], v[8:9], v[22:23], v[16:17]
	v_fma_f64 v[22:23], v[6:7], v[22:23], -v[24:25]
	ds_load_b128 v[6:9], v1 offset:1536
	v_add_f64 v[10:11], v[10:11], v[14:15]
	v_add_f64 v[12:13], v[12:13], v[194:195]
	s_waitcnt vmcnt(3) lgkmcnt(1)
	v_mul_f64 v[14:15], v[2:3], v[28:29]
	v_mul_f64 v[20:21], v[4:5], v[28:29]
	s_waitcnt vmcnt(2) lgkmcnt(0)
	v_mul_f64 v[24:25], v[8:9], v[32:33]
	v_add_f64 v[10:11], v[10:11], v[18:19]
	v_add_f64 v[12:13], v[12:13], v[190:191]
	v_mul_f64 v[18:19], v[6:7], v[32:33]
	v_fma_f64 v[14:15], v[4:5], v[26:27], v[14:15]
	v_fma_f64 v[20:21], v[2:3], v[26:27], -v[20:21]
	ds_load_b128 v[2:5], v1 offset:1552
	v_fma_f64 v[6:7], v[6:7], v[30:31], -v[24:25]
	v_add_f64 v[10:11], v[10:11], v[22:23]
	v_add_f64 v[12:13], v[12:13], v[16:17]
	s_waitcnt vmcnt(1) lgkmcnt(0)
	v_mul_f64 v[16:17], v[2:3], v[36:37]
	v_mul_f64 v[22:23], v[4:5], v[36:37]
	v_fma_f64 v[8:9], v[8:9], v[30:31], v[18:19]
	v_add_f64 v[10:11], v[10:11], v[20:21]
	v_add_f64 v[12:13], v[12:13], v[14:15]
	v_fma_f64 v[4:5], v[4:5], v[34:35], v[16:17]
	v_fma_f64 v[2:3], v[2:3], v[34:35], -v[22:23]
	s_delay_alu instid0(VALU_DEP_4) | instskip(NEXT) | instid1(VALU_DEP_4)
	v_add_f64 v[6:7], v[10:11], v[6:7]
	v_add_f64 v[8:9], v[12:13], v[8:9]
	s_delay_alu instid0(VALU_DEP_2) | instskip(NEXT) | instid1(VALU_DEP_2)
	v_add_f64 v[2:3], v[6:7], v[2:3]
	v_add_f64 v[4:5], v[8:9], v[4:5]
	s_waitcnt vmcnt(0)
	s_delay_alu instid0(VALU_DEP_2) | instskip(NEXT) | instid1(VALU_DEP_2)
	v_add_f64 v[2:3], v[38:39], -v[2:3]
	v_add_f64 v[4:5], v[40:41], -v[4:5]
	scratch_store_b128 off, v[2:5], off offset:304
	v_cmpx_lt_u32_e32 18, v140
	s_cbranch_execz .LBB48_271
; %bb.270:
	scratch_load_b128 v[5:8], v171, off
	v_mov_b32_e32 v2, v1
	v_mov_b32_e32 v3, v1
	;; [unrolled: 1-line block ×3, first 2 shown]
	scratch_store_b128 off, v[1:4], off offset:288
	s_waitcnt vmcnt(0)
	ds_store_b128 v189, v[5:8]
.LBB48_271:
	s_or_b32 exec_lo, exec_lo, s2
	s_waitcnt lgkmcnt(0)
	s_waitcnt_vscnt null, 0x0
	s_barrier
	buffer_gl0_inv
	s_clause 0x7
	scratch_load_b128 v[2:5], off, off offset:304
	scratch_load_b128 v[6:9], off, off offset:320
	scratch_load_b128 v[10:13], off, off offset:336
	scratch_load_b128 v[14:17], off, off offset:352
	scratch_load_b128 v[18:21], off, off offset:368
	scratch_load_b128 v[22:25], off, off offset:384
	scratch_load_b128 v[26:29], off, off offset:400
	scratch_load_b128 v[30:33], off, off offset:416
	ds_load_b128 v[38:41], v1 offset:1088
	ds_load_b128 v[190:193], v1 offset:1104
	s_clause 0x1
	scratch_load_b128 v[34:37], off, off offset:432
	scratch_load_b128 v[194:197], off, off offset:448
	s_mov_b32 s2, exec_lo
	s_waitcnt vmcnt(9) lgkmcnt(1)
	v_mul_f64 v[198:199], v[40:41], v[4:5]
	v_mul_f64 v[4:5], v[38:39], v[4:5]
	s_waitcnt vmcnt(8) lgkmcnt(0)
	v_mul_f64 v[200:201], v[190:191], v[8:9]
	v_mul_f64 v[8:9], v[192:193], v[8:9]
	s_delay_alu instid0(VALU_DEP_4) | instskip(NEXT) | instid1(VALU_DEP_4)
	v_fma_f64 v[198:199], v[38:39], v[2:3], -v[198:199]
	v_fma_f64 v[202:203], v[40:41], v[2:3], v[4:5]
	ds_load_b128 v[2:5], v1 offset:1120
	scratch_load_b128 v[38:41], off, off offset:464
	v_fma_f64 v[200:201], v[192:193], v[6:7], v[200:201]
	v_fma_f64 v[206:207], v[190:191], v[6:7], -v[8:9]
	scratch_load_b128 v[190:193], off, off offset:480
	ds_load_b128 v[6:9], v1 offset:1136
	s_waitcnt vmcnt(9) lgkmcnt(1)
	v_mul_f64 v[204:205], v[2:3], v[12:13]
	v_mul_f64 v[12:13], v[4:5], v[12:13]
	s_waitcnt vmcnt(8) lgkmcnt(0)
	v_mul_f64 v[208:209], v[6:7], v[16:17]
	v_mul_f64 v[16:17], v[8:9], v[16:17]
	v_add_f64 v[198:199], v[198:199], 0
	v_add_f64 v[202:203], v[202:203], 0
	v_fma_f64 v[204:205], v[4:5], v[10:11], v[204:205]
	v_fma_f64 v[210:211], v[2:3], v[10:11], -v[12:13]
	scratch_load_b128 v[10:13], off, off offset:496
	ds_load_b128 v[2:5], v1 offset:1152
	v_add_f64 v[198:199], v[198:199], v[206:207]
	v_add_f64 v[200:201], v[202:203], v[200:201]
	v_fma_f64 v[206:207], v[8:9], v[14:15], v[208:209]
	v_fma_f64 v[208:209], v[6:7], v[14:15], -v[16:17]
	ds_load_b128 v[6:9], v1 offset:1168
	scratch_load_b128 v[14:17], off, off offset:512
	s_waitcnt vmcnt(9) lgkmcnt(1)
	v_mul_f64 v[202:203], v[2:3], v[20:21]
	v_mul_f64 v[20:21], v[4:5], v[20:21]
	v_add_f64 v[198:199], v[198:199], v[210:211]
	v_add_f64 v[200:201], v[200:201], v[204:205]
	s_waitcnt vmcnt(8) lgkmcnt(0)
	v_mul_f64 v[204:205], v[6:7], v[24:25]
	v_mul_f64 v[24:25], v[8:9], v[24:25]
	v_fma_f64 v[202:203], v[4:5], v[18:19], v[202:203]
	v_fma_f64 v[210:211], v[2:3], v[18:19], -v[20:21]
	ds_load_b128 v[2:5], v1 offset:1184
	scratch_load_b128 v[18:21], off, off offset:528
	v_add_f64 v[198:199], v[198:199], v[208:209]
	v_add_f64 v[200:201], v[200:201], v[206:207]
	v_fma_f64 v[204:205], v[8:9], v[22:23], v[204:205]
	v_fma_f64 v[208:209], v[6:7], v[22:23], -v[24:25]
	scratch_load_b128 v[22:25], off, off offset:544
	ds_load_b128 v[6:9], v1 offset:1200
	s_waitcnt vmcnt(9) lgkmcnt(1)
	v_mul_f64 v[206:207], v[2:3], v[28:29]
	v_mul_f64 v[28:29], v[4:5], v[28:29]
	v_add_f64 v[198:199], v[198:199], v[210:211]
	v_add_f64 v[200:201], v[200:201], v[202:203]
	s_waitcnt vmcnt(8) lgkmcnt(0)
	v_mul_f64 v[202:203], v[6:7], v[32:33]
	v_mul_f64 v[32:33], v[8:9], v[32:33]
	v_fma_f64 v[206:207], v[4:5], v[26:27], v[206:207]
	v_fma_f64 v[210:211], v[2:3], v[26:27], -v[28:29]
	ds_load_b128 v[2:5], v1 offset:1216
	scratch_load_b128 v[26:29], off, off offset:560
	v_add_f64 v[198:199], v[198:199], v[208:209]
	v_add_f64 v[200:201], v[200:201], v[204:205]
	v_fma_f64 v[202:203], v[8:9], v[30:31], v[202:203]
	v_fma_f64 v[208:209], v[6:7], v[30:31], -v[32:33]
	scratch_load_b128 v[30:33], off, off offset:576
	ds_load_b128 v[6:9], v1 offset:1232
	;; [unrolled: 18-line block ×3, first 2 shown]
	s_waitcnt vmcnt(9) lgkmcnt(1)
	v_mul_f64 v[202:203], v[2:3], v[40:41]
	v_mul_f64 v[40:41], v[4:5], v[40:41]
	v_add_f64 v[198:199], v[198:199], v[210:211]
	v_add_f64 v[200:201], v[200:201], v[204:205]
	s_waitcnt vmcnt(8) lgkmcnt(0)
	v_mul_f64 v[204:205], v[6:7], v[192:193]
	v_mul_f64 v[192:193], v[8:9], v[192:193]
	v_fma_f64 v[202:203], v[4:5], v[38:39], v[202:203]
	v_fma_f64 v[210:211], v[2:3], v[38:39], -v[40:41]
	ds_load_b128 v[2:5], v1 offset:1280
	scratch_load_b128 v[38:41], off, off offset:624
	v_add_f64 v[198:199], v[198:199], v[208:209]
	v_add_f64 v[200:201], v[200:201], v[206:207]
	v_fma_f64 v[204:205], v[8:9], v[190:191], v[204:205]
	v_fma_f64 v[208:209], v[6:7], v[190:191], -v[192:193]
	ds_load_b128 v[6:9], v1 offset:1296
	s_waitcnt vmcnt(8) lgkmcnt(1)
	v_mul_f64 v[206:207], v[2:3], v[12:13]
	v_mul_f64 v[12:13], v[4:5], v[12:13]
	scratch_load_b128 v[190:193], off, off offset:640
	v_add_f64 v[198:199], v[198:199], v[210:211]
	v_add_f64 v[200:201], v[200:201], v[202:203]
	s_waitcnt vmcnt(8) lgkmcnt(0)
	v_mul_f64 v[202:203], v[6:7], v[16:17]
	v_mul_f64 v[16:17], v[8:9], v[16:17]
	v_fma_f64 v[206:207], v[4:5], v[10:11], v[206:207]
	v_fma_f64 v[210:211], v[2:3], v[10:11], -v[12:13]
	scratch_load_b128 v[10:13], off, off offset:656
	ds_load_b128 v[2:5], v1 offset:1312
	v_add_f64 v[198:199], v[198:199], v[208:209]
	v_add_f64 v[200:201], v[200:201], v[204:205]
	v_fma_f64 v[202:203], v[8:9], v[14:15], v[202:203]
	v_fma_f64 v[208:209], v[6:7], v[14:15], -v[16:17]
	ds_load_b128 v[6:9], v1 offset:1328
	s_waitcnt vmcnt(8) lgkmcnt(1)
	v_mul_f64 v[204:205], v[2:3], v[20:21]
	v_mul_f64 v[20:21], v[4:5], v[20:21]
	scratch_load_b128 v[14:17], off, off offset:672
	v_add_f64 v[198:199], v[198:199], v[210:211]
	v_add_f64 v[200:201], v[200:201], v[206:207]
	s_waitcnt vmcnt(8) lgkmcnt(0)
	v_mul_f64 v[206:207], v[6:7], v[24:25]
	v_mul_f64 v[24:25], v[8:9], v[24:25]
	v_fma_f64 v[204:205], v[4:5], v[18:19], v[204:205]
	v_fma_f64 v[210:211], v[2:3], v[18:19], -v[20:21]
	scratch_load_b128 v[18:21], off, off offset:688
	ds_load_b128 v[2:5], v1 offset:1344
	;; [unrolled: 18-line block ×4, first 2 shown]
	v_add_f64 v[198:199], v[198:199], v[208:209]
	v_add_f64 v[200:201], v[200:201], v[204:205]
	v_fma_f64 v[202:203], v[8:9], v[194:195], v[202:203]
	v_fma_f64 v[208:209], v[6:7], v[194:195], -v[196:197]
	ds_load_b128 v[6:9], v1 offset:1424
	s_waitcnt vmcnt(8) lgkmcnt(1)
	v_mul_f64 v[204:205], v[2:3], v[40:41]
	v_mul_f64 v[40:41], v[4:5], v[40:41]
	scratch_load_b128 v[194:197], off, off offset:768
	v_add_f64 v[198:199], v[198:199], v[210:211]
	v_add_f64 v[200:201], v[200:201], v[206:207]
	v_fma_f64 v[204:205], v[4:5], v[38:39], v[204:205]
	v_fma_f64 v[38:39], v[2:3], v[38:39], -v[40:41]
	ds_load_b128 v[2:5], v1 offset:1440
	v_add_f64 v[40:41], v[198:199], v[208:209]
	v_add_f64 v[198:199], v[200:201], v[202:203]
	s_waitcnt vmcnt(7) lgkmcnt(0)
	v_mul_f64 v[200:201], v[2:3], v[12:13]
	v_mul_f64 v[12:13], v[4:5], v[12:13]
	s_delay_alu instid0(VALU_DEP_4) | instskip(NEXT) | instid1(VALU_DEP_4)
	v_add_f64 v[38:39], v[40:41], v[38:39]
	v_add_f64 v[40:41], v[198:199], v[204:205]
	s_delay_alu instid0(VALU_DEP_4) | instskip(NEXT) | instid1(VALU_DEP_4)
	v_fma_f64 v[198:199], v[4:5], v[10:11], v[200:201]
	v_fma_f64 v[200:201], v[2:3], v[10:11], -v[12:13]
	scratch_load_b128 v[10:13], off, off offset:288
	v_mul_f64 v[206:207], v[6:7], v[192:193]
	v_mul_f64 v[192:193], v[8:9], v[192:193]
	ds_load_b128 v[2:5], v1 offset:1472
	v_fma_f64 v[202:203], v[8:9], v[190:191], v[206:207]
	v_fma_f64 v[190:191], v[6:7], v[190:191], -v[192:193]
	ds_load_b128 v[6:9], v1 offset:1456
	s_waitcnt vmcnt(7) lgkmcnt(0)
	v_mul_f64 v[192:193], v[6:7], v[16:17]
	v_mul_f64 v[16:17], v[8:9], v[16:17]
	v_add_f64 v[40:41], v[40:41], v[202:203]
	v_add_f64 v[38:39], v[38:39], v[190:191]
	s_waitcnt vmcnt(6)
	v_mul_f64 v[190:191], v[2:3], v[20:21]
	v_mul_f64 v[20:21], v[4:5], v[20:21]
	v_fma_f64 v[192:193], v[8:9], v[14:15], v[192:193]
	v_fma_f64 v[14:15], v[6:7], v[14:15], -v[16:17]
	ds_load_b128 v[6:9], v1 offset:1488
	v_add_f64 v[16:17], v[38:39], v[200:201]
	v_add_f64 v[38:39], v[40:41], v[198:199]
	v_fma_f64 v[190:191], v[4:5], v[18:19], v[190:191]
	v_fma_f64 v[18:19], v[2:3], v[18:19], -v[20:21]
	ds_load_b128 v[2:5], v1 offset:1504
	s_waitcnt vmcnt(5) lgkmcnt(1)
	v_mul_f64 v[40:41], v[6:7], v[24:25]
	v_mul_f64 v[24:25], v[8:9], v[24:25]
	s_waitcnt vmcnt(4) lgkmcnt(0)
	v_mul_f64 v[20:21], v[2:3], v[28:29]
	v_mul_f64 v[28:29], v[4:5], v[28:29]
	v_add_f64 v[14:15], v[16:17], v[14:15]
	v_add_f64 v[16:17], v[38:39], v[192:193]
	v_fma_f64 v[38:39], v[8:9], v[22:23], v[40:41]
	v_fma_f64 v[22:23], v[6:7], v[22:23], -v[24:25]
	ds_load_b128 v[6:9], v1 offset:1520
	v_fma_f64 v[20:21], v[4:5], v[26:27], v[20:21]
	v_fma_f64 v[26:27], v[2:3], v[26:27], -v[28:29]
	ds_load_b128 v[2:5], v1 offset:1536
	s_waitcnt vmcnt(3) lgkmcnt(1)
	v_mul_f64 v[24:25], v[8:9], v[32:33]
	v_add_f64 v[14:15], v[14:15], v[18:19]
	v_add_f64 v[16:17], v[16:17], v[190:191]
	v_mul_f64 v[18:19], v[6:7], v[32:33]
	s_waitcnt vmcnt(2) lgkmcnt(0)
	v_mul_f64 v[28:29], v[4:5], v[36:37]
	v_fma_f64 v[24:25], v[6:7], v[30:31], -v[24:25]
	v_add_f64 v[14:15], v[14:15], v[22:23]
	v_add_f64 v[16:17], v[16:17], v[38:39]
	v_mul_f64 v[22:23], v[2:3], v[36:37]
	v_fma_f64 v[18:19], v[8:9], v[30:31], v[18:19]
	ds_load_b128 v[6:9], v1 offset:1552
	v_fma_f64 v[1:2], v[2:3], v[34:35], -v[28:29]
	v_add_f64 v[14:15], v[14:15], v[26:27]
	v_add_f64 v[16:17], v[16:17], v[20:21]
	s_waitcnt vmcnt(1) lgkmcnt(0)
	v_mul_f64 v[20:21], v[6:7], v[196:197]
	v_mul_f64 v[26:27], v[8:9], v[196:197]
	v_fma_f64 v[4:5], v[4:5], v[34:35], v[22:23]
	v_add_f64 v[14:15], v[14:15], v[24:25]
	v_add_f64 v[16:17], v[16:17], v[18:19]
	v_fma_f64 v[8:9], v[8:9], v[194:195], v[20:21]
	v_fma_f64 v[6:7], v[6:7], v[194:195], -v[26:27]
	s_delay_alu instid0(VALU_DEP_4) | instskip(NEXT) | instid1(VALU_DEP_4)
	v_add_f64 v[1:2], v[14:15], v[1:2]
	v_add_f64 v[3:4], v[16:17], v[4:5]
	s_delay_alu instid0(VALU_DEP_2) | instskip(NEXT) | instid1(VALU_DEP_2)
	v_add_f64 v[1:2], v[1:2], v[6:7]
	v_add_f64 v[3:4], v[3:4], v[8:9]
	s_waitcnt vmcnt(0)
	s_delay_alu instid0(VALU_DEP_2) | instskip(NEXT) | instid1(VALU_DEP_2)
	v_add_f64 v[1:2], v[10:11], -v[1:2]
	v_add_f64 v[3:4], v[12:13], -v[3:4]
	scratch_store_b128 off, v[1:4], off offset:288
	v_cmpx_lt_u32_e32 17, v140
	s_cbranch_execz .LBB48_273
; %bb.272:
	scratch_load_b128 v[1:4], v172, off
	v_mov_b32_e32 v5, 0
	s_delay_alu instid0(VALU_DEP_1)
	v_mov_b32_e32 v6, v5
	v_mov_b32_e32 v7, v5
	;; [unrolled: 1-line block ×3, first 2 shown]
	scratch_store_b128 off, v[5:8], off offset:272
	s_waitcnt vmcnt(0)
	ds_store_b128 v189, v[1:4]
.LBB48_273:
	s_or_b32 exec_lo, exec_lo, s2
	s_waitcnt lgkmcnt(0)
	s_waitcnt_vscnt null, 0x0
	s_barrier
	buffer_gl0_inv
	s_clause 0x7
	scratch_load_b128 v[2:5], off, off offset:288
	scratch_load_b128 v[6:9], off, off offset:304
	;; [unrolled: 1-line block ×8, first 2 shown]
	v_mov_b32_e32 v1, 0
	s_clause 0x1
	scratch_load_b128 v[34:37], off, off offset:416
	scratch_load_b128 v[194:197], off, off offset:432
	s_mov_b32 s2, exec_lo
	ds_load_b128 v[38:41], v1 offset:1072
	ds_load_b128 v[190:193], v1 offset:1088
	s_waitcnt vmcnt(9) lgkmcnt(1)
	v_mul_f64 v[198:199], v[40:41], v[4:5]
	v_mul_f64 v[4:5], v[38:39], v[4:5]
	s_waitcnt vmcnt(8) lgkmcnt(0)
	v_mul_f64 v[200:201], v[190:191], v[8:9]
	v_mul_f64 v[8:9], v[192:193], v[8:9]
	s_delay_alu instid0(VALU_DEP_4) | instskip(NEXT) | instid1(VALU_DEP_4)
	v_fma_f64 v[198:199], v[38:39], v[2:3], -v[198:199]
	v_fma_f64 v[202:203], v[40:41], v[2:3], v[4:5]
	ds_load_b128 v[2:5], v1 offset:1104
	scratch_load_b128 v[38:41], off, off offset:448
	v_fma_f64 v[200:201], v[192:193], v[6:7], v[200:201]
	v_fma_f64 v[206:207], v[190:191], v[6:7], -v[8:9]
	scratch_load_b128 v[190:193], off, off offset:464
	ds_load_b128 v[6:9], v1 offset:1120
	s_waitcnt vmcnt(9) lgkmcnt(1)
	v_mul_f64 v[204:205], v[2:3], v[12:13]
	v_mul_f64 v[12:13], v[4:5], v[12:13]
	s_waitcnt vmcnt(8) lgkmcnt(0)
	v_mul_f64 v[208:209], v[6:7], v[16:17]
	v_mul_f64 v[16:17], v[8:9], v[16:17]
	v_add_f64 v[198:199], v[198:199], 0
	v_add_f64 v[202:203], v[202:203], 0
	v_fma_f64 v[204:205], v[4:5], v[10:11], v[204:205]
	v_fma_f64 v[210:211], v[2:3], v[10:11], -v[12:13]
	ds_load_b128 v[2:5], v1 offset:1136
	scratch_load_b128 v[10:13], off, off offset:480
	v_add_f64 v[198:199], v[198:199], v[206:207]
	v_add_f64 v[200:201], v[202:203], v[200:201]
	v_fma_f64 v[206:207], v[8:9], v[14:15], v[208:209]
	v_fma_f64 v[208:209], v[6:7], v[14:15], -v[16:17]
	scratch_load_b128 v[14:17], off, off offset:496
	ds_load_b128 v[6:9], v1 offset:1152
	s_waitcnt vmcnt(9) lgkmcnt(1)
	v_mul_f64 v[202:203], v[2:3], v[20:21]
	v_mul_f64 v[20:21], v[4:5], v[20:21]
	v_add_f64 v[198:199], v[198:199], v[210:211]
	v_add_f64 v[200:201], v[200:201], v[204:205]
	s_waitcnt vmcnt(8) lgkmcnt(0)
	v_mul_f64 v[204:205], v[6:7], v[24:25]
	v_mul_f64 v[24:25], v[8:9], v[24:25]
	v_fma_f64 v[202:203], v[4:5], v[18:19], v[202:203]
	v_fma_f64 v[210:211], v[2:3], v[18:19], -v[20:21]
	ds_load_b128 v[2:5], v1 offset:1168
	scratch_load_b128 v[18:21], off, off offset:512
	v_add_f64 v[198:199], v[198:199], v[208:209]
	v_add_f64 v[200:201], v[200:201], v[206:207]
	v_fma_f64 v[204:205], v[8:9], v[22:23], v[204:205]
	v_fma_f64 v[208:209], v[6:7], v[22:23], -v[24:25]
	scratch_load_b128 v[22:25], off, off offset:528
	ds_load_b128 v[6:9], v1 offset:1184
	s_waitcnt vmcnt(9) lgkmcnt(1)
	v_mul_f64 v[206:207], v[2:3], v[28:29]
	v_mul_f64 v[28:29], v[4:5], v[28:29]
	v_add_f64 v[198:199], v[198:199], v[210:211]
	v_add_f64 v[200:201], v[200:201], v[202:203]
	s_waitcnt vmcnt(8) lgkmcnt(0)
	v_mul_f64 v[202:203], v[6:7], v[32:33]
	v_mul_f64 v[32:33], v[8:9], v[32:33]
	v_fma_f64 v[206:207], v[4:5], v[26:27], v[206:207]
	v_fma_f64 v[210:211], v[2:3], v[26:27], -v[28:29]
	ds_load_b128 v[2:5], v1 offset:1200
	scratch_load_b128 v[26:29], off, off offset:544
	v_add_f64 v[198:199], v[198:199], v[208:209]
	v_add_f64 v[200:201], v[200:201], v[204:205]
	v_fma_f64 v[202:203], v[8:9], v[30:31], v[202:203]
	v_fma_f64 v[208:209], v[6:7], v[30:31], -v[32:33]
	scratch_load_b128 v[30:33], off, off offset:560
	ds_load_b128 v[6:9], v1 offset:1216
	s_waitcnt vmcnt(9) lgkmcnt(1)
	v_mul_f64 v[204:205], v[2:3], v[36:37]
	v_mul_f64 v[36:37], v[4:5], v[36:37]
	v_add_f64 v[198:199], v[198:199], v[210:211]
	v_add_f64 v[200:201], v[200:201], v[206:207]
	s_waitcnt vmcnt(8) lgkmcnt(0)
	v_mul_f64 v[206:207], v[6:7], v[196:197]
	v_mul_f64 v[196:197], v[8:9], v[196:197]
	v_fma_f64 v[204:205], v[4:5], v[34:35], v[204:205]
	v_fma_f64 v[210:211], v[2:3], v[34:35], -v[36:37]
	ds_load_b128 v[2:5], v1 offset:1232
	scratch_load_b128 v[34:37], off, off offset:576
	v_add_f64 v[198:199], v[198:199], v[208:209]
	v_add_f64 v[200:201], v[200:201], v[202:203]
	v_fma_f64 v[206:207], v[8:9], v[194:195], v[206:207]
	v_fma_f64 v[208:209], v[6:7], v[194:195], -v[196:197]
	scratch_load_b128 v[194:197], off, off offset:592
	ds_load_b128 v[6:9], v1 offset:1248
	s_waitcnt vmcnt(9) lgkmcnt(1)
	v_mul_f64 v[202:203], v[2:3], v[40:41]
	v_mul_f64 v[40:41], v[4:5], v[40:41]
	v_add_f64 v[198:199], v[198:199], v[210:211]
	v_add_f64 v[200:201], v[200:201], v[204:205]
	s_waitcnt vmcnt(8) lgkmcnt(0)
	v_mul_f64 v[204:205], v[6:7], v[192:193]
	v_mul_f64 v[192:193], v[8:9], v[192:193]
	v_fma_f64 v[202:203], v[4:5], v[38:39], v[202:203]
	v_fma_f64 v[210:211], v[2:3], v[38:39], -v[40:41]
	ds_load_b128 v[2:5], v1 offset:1264
	scratch_load_b128 v[38:41], off, off offset:608
	v_add_f64 v[198:199], v[198:199], v[208:209]
	v_add_f64 v[200:201], v[200:201], v[206:207]
	v_fma_f64 v[204:205], v[8:9], v[190:191], v[204:205]
	v_fma_f64 v[208:209], v[6:7], v[190:191], -v[192:193]
	scratch_load_b128 v[190:193], off, off offset:624
	ds_load_b128 v[6:9], v1 offset:1280
	s_waitcnt vmcnt(9) lgkmcnt(1)
	v_mul_f64 v[206:207], v[2:3], v[12:13]
	v_mul_f64 v[12:13], v[4:5], v[12:13]
	v_add_f64 v[198:199], v[198:199], v[210:211]
	v_add_f64 v[200:201], v[200:201], v[202:203]
	s_waitcnt vmcnt(8) lgkmcnt(0)
	v_mul_f64 v[202:203], v[6:7], v[16:17]
	v_mul_f64 v[16:17], v[8:9], v[16:17]
	v_fma_f64 v[206:207], v[4:5], v[10:11], v[206:207]
	v_fma_f64 v[210:211], v[2:3], v[10:11], -v[12:13]
	ds_load_b128 v[2:5], v1 offset:1296
	scratch_load_b128 v[10:13], off, off offset:640
	v_add_f64 v[198:199], v[198:199], v[208:209]
	v_add_f64 v[200:201], v[200:201], v[204:205]
	v_fma_f64 v[202:203], v[8:9], v[14:15], v[202:203]
	v_fma_f64 v[208:209], v[6:7], v[14:15], -v[16:17]
	scratch_load_b128 v[14:17], off, off offset:656
	ds_load_b128 v[6:9], v1 offset:1312
	s_waitcnt vmcnt(9) lgkmcnt(1)
	v_mul_f64 v[204:205], v[2:3], v[20:21]
	v_mul_f64 v[20:21], v[4:5], v[20:21]
	v_add_f64 v[198:199], v[198:199], v[210:211]
	v_add_f64 v[200:201], v[200:201], v[206:207]
	s_waitcnt vmcnt(8) lgkmcnt(0)
	v_mul_f64 v[206:207], v[6:7], v[24:25]
	v_mul_f64 v[24:25], v[8:9], v[24:25]
	v_fma_f64 v[204:205], v[4:5], v[18:19], v[204:205]
	v_fma_f64 v[210:211], v[2:3], v[18:19], -v[20:21]
	ds_load_b128 v[2:5], v1 offset:1328
	scratch_load_b128 v[18:21], off, off offset:672
	v_add_f64 v[198:199], v[198:199], v[208:209]
	v_add_f64 v[200:201], v[200:201], v[202:203]
	v_fma_f64 v[206:207], v[8:9], v[22:23], v[206:207]
	v_fma_f64 v[208:209], v[6:7], v[22:23], -v[24:25]
	ds_load_b128 v[6:9], v1 offset:1344
	s_waitcnt vmcnt(8) lgkmcnt(1)
	v_mul_f64 v[202:203], v[2:3], v[28:29]
	v_mul_f64 v[28:29], v[4:5], v[28:29]
	scratch_load_b128 v[22:25], off, off offset:688
	v_add_f64 v[198:199], v[198:199], v[210:211]
	v_add_f64 v[200:201], v[200:201], v[204:205]
	s_waitcnt vmcnt(8) lgkmcnt(0)
	v_mul_f64 v[204:205], v[6:7], v[32:33]
	v_mul_f64 v[32:33], v[8:9], v[32:33]
	v_fma_f64 v[202:203], v[4:5], v[26:27], v[202:203]
	v_fma_f64 v[210:211], v[2:3], v[26:27], -v[28:29]
	scratch_load_b128 v[26:29], off, off offset:704
	ds_load_b128 v[2:5], v1 offset:1360
	v_add_f64 v[198:199], v[198:199], v[208:209]
	v_add_f64 v[200:201], v[200:201], v[206:207]
	v_fma_f64 v[204:205], v[8:9], v[30:31], v[204:205]
	v_fma_f64 v[208:209], v[6:7], v[30:31], -v[32:33]
	ds_load_b128 v[6:9], v1 offset:1376
	s_waitcnt vmcnt(8) lgkmcnt(1)
	v_mul_f64 v[206:207], v[2:3], v[36:37]
	v_mul_f64 v[36:37], v[4:5], v[36:37]
	scratch_load_b128 v[30:33], off, off offset:720
	v_add_f64 v[198:199], v[198:199], v[210:211]
	v_add_f64 v[200:201], v[200:201], v[202:203]
	s_waitcnt vmcnt(8) lgkmcnt(0)
	v_mul_f64 v[202:203], v[6:7], v[196:197]
	v_mul_f64 v[196:197], v[8:9], v[196:197]
	v_fma_f64 v[206:207], v[4:5], v[34:35], v[206:207]
	v_fma_f64 v[210:211], v[2:3], v[34:35], -v[36:37]
	scratch_load_b128 v[34:37], off, off offset:736
	ds_load_b128 v[2:5], v1 offset:1392
	;; [unrolled: 18-line block ×3, first 2 shown]
	v_add_f64 v[198:199], v[198:199], v[208:209]
	v_add_f64 v[200:201], v[200:201], v[202:203]
	v_fma_f64 v[206:207], v[8:9], v[190:191], v[206:207]
	v_fma_f64 v[190:191], v[6:7], v[190:191], -v[192:193]
	ds_load_b128 v[6:9], v1 offset:1440
	s_waitcnt vmcnt(8) lgkmcnt(1)
	v_mul_f64 v[202:203], v[2:3], v[12:13]
	v_mul_f64 v[12:13], v[4:5], v[12:13]
	v_add_f64 v[192:193], v[198:199], v[210:211]
	v_add_f64 v[198:199], v[200:201], v[204:205]
	s_waitcnt vmcnt(7) lgkmcnt(0)
	v_mul_f64 v[200:201], v[6:7], v[16:17]
	v_mul_f64 v[16:17], v[8:9], v[16:17]
	v_fma_f64 v[202:203], v[4:5], v[10:11], v[202:203]
	v_fma_f64 v[10:11], v[2:3], v[10:11], -v[12:13]
	ds_load_b128 v[2:5], v1 offset:1456
	v_add_f64 v[12:13], v[192:193], v[190:191]
	v_add_f64 v[190:191], v[198:199], v[206:207]
	v_fma_f64 v[198:199], v[8:9], v[14:15], v[200:201]
	v_fma_f64 v[14:15], v[6:7], v[14:15], -v[16:17]
	ds_load_b128 v[6:9], v1 offset:1472
	s_waitcnt vmcnt(5) lgkmcnt(0)
	v_mul_f64 v[200:201], v[6:7], v[24:25]
	v_mul_f64 v[24:25], v[8:9], v[24:25]
	v_add_f64 v[16:17], v[12:13], v[10:11]
	v_add_f64 v[190:191], v[190:191], v[202:203]
	scratch_load_b128 v[10:13], off, off offset:272
	v_mul_f64 v[192:193], v[2:3], v[20:21]
	v_mul_f64 v[20:21], v[4:5], v[20:21]
	v_add_f64 v[14:15], v[16:17], v[14:15]
	v_add_f64 v[16:17], v[190:191], v[198:199]
	v_fma_f64 v[190:191], v[8:9], v[22:23], v[200:201]
	v_fma_f64 v[192:193], v[4:5], v[18:19], v[192:193]
	v_fma_f64 v[18:19], v[2:3], v[18:19], -v[20:21]
	ds_load_b128 v[2:5], v1 offset:1488
	v_fma_f64 v[22:23], v[6:7], v[22:23], -v[24:25]
	ds_load_b128 v[6:9], v1 offset:1504
	s_waitcnt vmcnt(5) lgkmcnt(1)
	v_mul_f64 v[20:21], v[2:3], v[28:29]
	v_mul_f64 v[28:29], v[4:5], v[28:29]
	s_waitcnt vmcnt(4) lgkmcnt(0)
	v_mul_f64 v[24:25], v[8:9], v[32:33]
	v_add_f64 v[16:17], v[16:17], v[192:193]
	v_add_f64 v[14:15], v[14:15], v[18:19]
	v_mul_f64 v[18:19], v[6:7], v[32:33]
	v_fma_f64 v[20:21], v[4:5], v[26:27], v[20:21]
	v_fma_f64 v[26:27], v[2:3], v[26:27], -v[28:29]
	ds_load_b128 v[2:5], v1 offset:1520
	v_fma_f64 v[24:25], v[6:7], v[30:31], -v[24:25]
	v_add_f64 v[16:17], v[16:17], v[190:191]
	v_add_f64 v[14:15], v[14:15], v[22:23]
	v_fma_f64 v[18:19], v[8:9], v[30:31], v[18:19]
	ds_load_b128 v[6:9], v1 offset:1536
	s_waitcnt vmcnt(3) lgkmcnt(1)
	v_mul_f64 v[22:23], v[2:3], v[36:37]
	v_mul_f64 v[28:29], v[4:5], v[36:37]
	v_add_f64 v[16:17], v[16:17], v[20:21]
	v_add_f64 v[14:15], v[14:15], v[26:27]
	s_waitcnt vmcnt(2) lgkmcnt(0)
	v_mul_f64 v[20:21], v[6:7], v[196:197]
	v_mul_f64 v[26:27], v[8:9], v[196:197]
	v_fma_f64 v[22:23], v[4:5], v[34:35], v[22:23]
	v_fma_f64 v[28:29], v[2:3], v[34:35], -v[28:29]
	ds_load_b128 v[2:5], v1 offset:1552
	v_add_f64 v[16:17], v[16:17], v[18:19]
	v_add_f64 v[14:15], v[14:15], v[24:25]
	s_waitcnt vmcnt(1) lgkmcnt(0)
	v_mul_f64 v[18:19], v[2:3], v[40:41]
	v_mul_f64 v[24:25], v[4:5], v[40:41]
	v_fma_f64 v[8:9], v[8:9], v[194:195], v[20:21]
	v_fma_f64 v[6:7], v[6:7], v[194:195], -v[26:27]
	v_add_f64 v[16:17], v[16:17], v[22:23]
	v_add_f64 v[14:15], v[14:15], v[28:29]
	v_fma_f64 v[4:5], v[4:5], v[38:39], v[18:19]
	v_fma_f64 v[2:3], v[2:3], v[38:39], -v[24:25]
	s_delay_alu instid0(VALU_DEP_4) | instskip(NEXT) | instid1(VALU_DEP_4)
	v_add_f64 v[8:9], v[16:17], v[8:9]
	v_add_f64 v[6:7], v[14:15], v[6:7]
	s_delay_alu instid0(VALU_DEP_2) | instskip(NEXT) | instid1(VALU_DEP_2)
	v_add_f64 v[4:5], v[8:9], v[4:5]
	v_add_f64 v[2:3], v[6:7], v[2:3]
	s_waitcnt vmcnt(0)
	s_delay_alu instid0(VALU_DEP_2) | instskip(NEXT) | instid1(VALU_DEP_2)
	v_add_f64 v[4:5], v[12:13], -v[4:5]
	v_add_f64 v[2:3], v[10:11], -v[2:3]
	scratch_store_b128 off, v[2:5], off offset:272
	v_cmpx_lt_u32_e32 16, v140
	s_cbranch_execz .LBB48_275
; %bb.274:
	scratch_load_b128 v[5:8], v173, off
	v_mov_b32_e32 v2, v1
	v_mov_b32_e32 v3, v1
	;; [unrolled: 1-line block ×3, first 2 shown]
	scratch_store_b128 off, v[1:4], off offset:256
	s_waitcnt vmcnt(0)
	ds_store_b128 v189, v[5:8]
.LBB48_275:
	s_or_b32 exec_lo, exec_lo, s2
	s_waitcnt lgkmcnt(0)
	s_waitcnt_vscnt null, 0x0
	s_barrier
	buffer_gl0_inv
	s_clause 0x7
	scratch_load_b128 v[2:5], off, off offset:272
	scratch_load_b128 v[6:9], off, off offset:288
	;; [unrolled: 1-line block ×8, first 2 shown]
	ds_load_b128 v[38:41], v1 offset:1056
	ds_load_b128 v[190:193], v1 offset:1072
	s_clause 0x1
	scratch_load_b128 v[34:37], off, off offset:400
	scratch_load_b128 v[194:197], off, off offset:416
	s_mov_b32 s2, exec_lo
	s_waitcnt vmcnt(9) lgkmcnt(1)
	v_mul_f64 v[198:199], v[40:41], v[4:5]
	v_mul_f64 v[4:5], v[38:39], v[4:5]
	s_waitcnt vmcnt(8) lgkmcnt(0)
	v_mul_f64 v[200:201], v[190:191], v[8:9]
	v_mul_f64 v[8:9], v[192:193], v[8:9]
	s_delay_alu instid0(VALU_DEP_4) | instskip(NEXT) | instid1(VALU_DEP_4)
	v_fma_f64 v[198:199], v[38:39], v[2:3], -v[198:199]
	v_fma_f64 v[202:203], v[40:41], v[2:3], v[4:5]
	ds_load_b128 v[2:5], v1 offset:1088
	scratch_load_b128 v[38:41], off, off offset:432
	v_fma_f64 v[200:201], v[192:193], v[6:7], v[200:201]
	v_fma_f64 v[206:207], v[190:191], v[6:7], -v[8:9]
	scratch_load_b128 v[190:193], off, off offset:448
	ds_load_b128 v[6:9], v1 offset:1104
	s_waitcnt vmcnt(9) lgkmcnt(1)
	v_mul_f64 v[204:205], v[2:3], v[12:13]
	v_mul_f64 v[12:13], v[4:5], v[12:13]
	s_waitcnt vmcnt(8) lgkmcnt(0)
	v_mul_f64 v[208:209], v[6:7], v[16:17]
	v_mul_f64 v[16:17], v[8:9], v[16:17]
	v_add_f64 v[198:199], v[198:199], 0
	v_add_f64 v[202:203], v[202:203], 0
	v_fma_f64 v[204:205], v[4:5], v[10:11], v[204:205]
	v_fma_f64 v[210:211], v[2:3], v[10:11], -v[12:13]
	ds_load_b128 v[2:5], v1 offset:1120
	scratch_load_b128 v[10:13], off, off offset:464
	v_add_f64 v[198:199], v[198:199], v[206:207]
	v_add_f64 v[200:201], v[202:203], v[200:201]
	v_fma_f64 v[206:207], v[8:9], v[14:15], v[208:209]
	v_fma_f64 v[208:209], v[6:7], v[14:15], -v[16:17]
	scratch_load_b128 v[14:17], off, off offset:480
	ds_load_b128 v[6:9], v1 offset:1136
	s_waitcnt vmcnt(9) lgkmcnt(1)
	v_mul_f64 v[202:203], v[2:3], v[20:21]
	v_mul_f64 v[20:21], v[4:5], v[20:21]
	v_add_f64 v[198:199], v[198:199], v[210:211]
	v_add_f64 v[200:201], v[200:201], v[204:205]
	s_waitcnt vmcnt(8) lgkmcnt(0)
	v_mul_f64 v[204:205], v[6:7], v[24:25]
	v_mul_f64 v[24:25], v[8:9], v[24:25]
	v_fma_f64 v[202:203], v[4:5], v[18:19], v[202:203]
	v_fma_f64 v[210:211], v[2:3], v[18:19], -v[20:21]
	ds_load_b128 v[2:5], v1 offset:1152
	scratch_load_b128 v[18:21], off, off offset:496
	v_add_f64 v[198:199], v[198:199], v[208:209]
	v_add_f64 v[200:201], v[200:201], v[206:207]
	v_fma_f64 v[204:205], v[8:9], v[22:23], v[204:205]
	v_fma_f64 v[208:209], v[6:7], v[22:23], -v[24:25]
	scratch_load_b128 v[22:25], off, off offset:512
	ds_load_b128 v[6:9], v1 offset:1168
	s_waitcnt vmcnt(9) lgkmcnt(1)
	v_mul_f64 v[206:207], v[2:3], v[28:29]
	v_mul_f64 v[28:29], v[4:5], v[28:29]
	v_add_f64 v[198:199], v[198:199], v[210:211]
	v_add_f64 v[200:201], v[200:201], v[202:203]
	s_waitcnt vmcnt(8) lgkmcnt(0)
	v_mul_f64 v[202:203], v[6:7], v[32:33]
	v_mul_f64 v[32:33], v[8:9], v[32:33]
	v_fma_f64 v[206:207], v[4:5], v[26:27], v[206:207]
	v_fma_f64 v[210:211], v[2:3], v[26:27], -v[28:29]
	ds_load_b128 v[2:5], v1 offset:1184
	scratch_load_b128 v[26:29], off, off offset:528
	v_add_f64 v[198:199], v[198:199], v[208:209]
	v_add_f64 v[200:201], v[200:201], v[204:205]
	v_fma_f64 v[202:203], v[8:9], v[30:31], v[202:203]
	v_fma_f64 v[208:209], v[6:7], v[30:31], -v[32:33]
	scratch_load_b128 v[30:33], off, off offset:544
	ds_load_b128 v[6:9], v1 offset:1200
	s_waitcnt vmcnt(9) lgkmcnt(1)
	v_mul_f64 v[204:205], v[2:3], v[36:37]
	v_mul_f64 v[36:37], v[4:5], v[36:37]
	v_add_f64 v[198:199], v[198:199], v[210:211]
	v_add_f64 v[200:201], v[200:201], v[206:207]
	s_waitcnt vmcnt(8) lgkmcnt(0)
	v_mul_f64 v[206:207], v[6:7], v[196:197]
	v_mul_f64 v[196:197], v[8:9], v[196:197]
	v_fma_f64 v[204:205], v[4:5], v[34:35], v[204:205]
	v_fma_f64 v[210:211], v[2:3], v[34:35], -v[36:37]
	ds_load_b128 v[2:5], v1 offset:1216
	scratch_load_b128 v[34:37], off, off offset:560
	v_add_f64 v[198:199], v[198:199], v[208:209]
	v_add_f64 v[200:201], v[200:201], v[202:203]
	v_fma_f64 v[206:207], v[8:9], v[194:195], v[206:207]
	v_fma_f64 v[208:209], v[6:7], v[194:195], -v[196:197]
	scratch_load_b128 v[194:197], off, off offset:576
	ds_load_b128 v[6:9], v1 offset:1232
	s_waitcnt vmcnt(9) lgkmcnt(1)
	v_mul_f64 v[202:203], v[2:3], v[40:41]
	v_mul_f64 v[40:41], v[4:5], v[40:41]
	v_add_f64 v[198:199], v[198:199], v[210:211]
	v_add_f64 v[200:201], v[200:201], v[204:205]
	s_waitcnt vmcnt(8) lgkmcnt(0)
	v_mul_f64 v[204:205], v[6:7], v[192:193]
	v_mul_f64 v[192:193], v[8:9], v[192:193]
	v_fma_f64 v[202:203], v[4:5], v[38:39], v[202:203]
	v_fma_f64 v[210:211], v[2:3], v[38:39], -v[40:41]
	ds_load_b128 v[2:5], v1 offset:1248
	scratch_load_b128 v[38:41], off, off offset:592
	v_add_f64 v[198:199], v[198:199], v[208:209]
	v_add_f64 v[200:201], v[200:201], v[206:207]
	v_fma_f64 v[204:205], v[8:9], v[190:191], v[204:205]
	v_fma_f64 v[208:209], v[6:7], v[190:191], -v[192:193]
	scratch_load_b128 v[190:193], off, off offset:608
	ds_load_b128 v[6:9], v1 offset:1264
	s_waitcnt vmcnt(9) lgkmcnt(1)
	v_mul_f64 v[206:207], v[2:3], v[12:13]
	v_mul_f64 v[12:13], v[4:5], v[12:13]
	v_add_f64 v[198:199], v[198:199], v[210:211]
	v_add_f64 v[200:201], v[200:201], v[202:203]
	s_waitcnt vmcnt(8) lgkmcnt(0)
	v_mul_f64 v[202:203], v[6:7], v[16:17]
	v_mul_f64 v[16:17], v[8:9], v[16:17]
	v_fma_f64 v[206:207], v[4:5], v[10:11], v[206:207]
	v_fma_f64 v[210:211], v[2:3], v[10:11], -v[12:13]
	ds_load_b128 v[2:5], v1 offset:1280
	scratch_load_b128 v[10:13], off, off offset:624
	v_add_f64 v[198:199], v[198:199], v[208:209]
	v_add_f64 v[200:201], v[200:201], v[204:205]
	v_fma_f64 v[202:203], v[8:9], v[14:15], v[202:203]
	v_fma_f64 v[208:209], v[6:7], v[14:15], -v[16:17]
	scratch_load_b128 v[14:17], off, off offset:640
	ds_load_b128 v[6:9], v1 offset:1296
	s_waitcnt vmcnt(9) lgkmcnt(1)
	v_mul_f64 v[204:205], v[2:3], v[20:21]
	v_mul_f64 v[20:21], v[4:5], v[20:21]
	v_add_f64 v[198:199], v[198:199], v[210:211]
	v_add_f64 v[200:201], v[200:201], v[206:207]
	s_waitcnt vmcnt(8) lgkmcnt(0)
	v_mul_f64 v[206:207], v[6:7], v[24:25]
	v_mul_f64 v[24:25], v[8:9], v[24:25]
	v_fma_f64 v[204:205], v[4:5], v[18:19], v[204:205]
	v_fma_f64 v[210:211], v[2:3], v[18:19], -v[20:21]
	ds_load_b128 v[2:5], v1 offset:1312
	scratch_load_b128 v[18:21], off, off offset:656
	v_add_f64 v[198:199], v[198:199], v[208:209]
	v_add_f64 v[200:201], v[200:201], v[202:203]
	v_fma_f64 v[206:207], v[8:9], v[22:23], v[206:207]
	v_fma_f64 v[208:209], v[6:7], v[22:23], -v[24:25]
	ds_load_b128 v[6:9], v1 offset:1328
	s_waitcnt vmcnt(8) lgkmcnt(1)
	v_mul_f64 v[202:203], v[2:3], v[28:29]
	v_mul_f64 v[28:29], v[4:5], v[28:29]
	scratch_load_b128 v[22:25], off, off offset:672
	v_add_f64 v[198:199], v[198:199], v[210:211]
	v_add_f64 v[200:201], v[200:201], v[204:205]
	s_waitcnt vmcnt(8) lgkmcnt(0)
	v_mul_f64 v[204:205], v[6:7], v[32:33]
	v_mul_f64 v[32:33], v[8:9], v[32:33]
	v_fma_f64 v[202:203], v[4:5], v[26:27], v[202:203]
	v_fma_f64 v[210:211], v[2:3], v[26:27], -v[28:29]
	ds_load_b128 v[2:5], v1 offset:1344
	scratch_load_b128 v[26:29], off, off offset:688
	v_add_f64 v[198:199], v[198:199], v[208:209]
	v_add_f64 v[200:201], v[200:201], v[206:207]
	v_fma_f64 v[204:205], v[8:9], v[30:31], v[204:205]
	v_fma_f64 v[208:209], v[6:7], v[30:31], -v[32:33]
	ds_load_b128 v[6:9], v1 offset:1360
	s_waitcnt vmcnt(8) lgkmcnt(1)
	v_mul_f64 v[206:207], v[2:3], v[36:37]
	v_mul_f64 v[36:37], v[4:5], v[36:37]
	scratch_load_b128 v[30:33], off, off offset:704
	v_add_f64 v[198:199], v[198:199], v[210:211]
	v_add_f64 v[200:201], v[200:201], v[202:203]
	s_waitcnt vmcnt(8) lgkmcnt(0)
	v_mul_f64 v[202:203], v[6:7], v[196:197]
	v_mul_f64 v[196:197], v[8:9], v[196:197]
	v_fma_f64 v[206:207], v[4:5], v[34:35], v[206:207]
	v_fma_f64 v[210:211], v[2:3], v[34:35], -v[36:37]
	scratch_load_b128 v[34:37], off, off offset:720
	ds_load_b128 v[2:5], v1 offset:1376
	v_add_f64 v[198:199], v[198:199], v[208:209]
	v_add_f64 v[200:201], v[200:201], v[204:205]
	v_fma_f64 v[202:203], v[8:9], v[194:195], v[202:203]
	v_fma_f64 v[208:209], v[6:7], v[194:195], -v[196:197]
	ds_load_b128 v[6:9], v1 offset:1392
	s_waitcnt vmcnt(8) lgkmcnt(1)
	v_mul_f64 v[204:205], v[2:3], v[40:41]
	v_mul_f64 v[40:41], v[4:5], v[40:41]
	scratch_load_b128 v[194:197], off, off offset:736
	v_add_f64 v[198:199], v[198:199], v[210:211]
	v_add_f64 v[200:201], v[200:201], v[206:207]
	s_waitcnt vmcnt(8) lgkmcnt(0)
	v_mul_f64 v[206:207], v[6:7], v[192:193]
	v_mul_f64 v[192:193], v[8:9], v[192:193]
	v_fma_f64 v[204:205], v[4:5], v[38:39], v[204:205]
	v_fma_f64 v[210:211], v[2:3], v[38:39], -v[40:41]
	scratch_load_b128 v[38:41], off, off offset:752
	ds_load_b128 v[2:5], v1 offset:1408
	v_add_f64 v[198:199], v[198:199], v[208:209]
	v_add_f64 v[200:201], v[200:201], v[202:203]
	v_fma_f64 v[206:207], v[8:9], v[190:191], v[206:207]
	v_fma_f64 v[208:209], v[6:7], v[190:191], -v[192:193]
	ds_load_b128 v[6:9], v1 offset:1424
	s_waitcnt vmcnt(8) lgkmcnt(1)
	v_mul_f64 v[202:203], v[2:3], v[12:13]
	v_mul_f64 v[12:13], v[4:5], v[12:13]
	scratch_load_b128 v[190:193], off, off offset:768
	v_add_f64 v[198:199], v[198:199], v[210:211]
	v_add_f64 v[200:201], v[200:201], v[204:205]
	s_waitcnt vmcnt(8) lgkmcnt(0)
	v_mul_f64 v[204:205], v[6:7], v[16:17]
	v_mul_f64 v[16:17], v[8:9], v[16:17]
	v_fma_f64 v[202:203], v[4:5], v[10:11], v[202:203]
	v_fma_f64 v[10:11], v[2:3], v[10:11], -v[12:13]
	ds_load_b128 v[2:5], v1 offset:1440
	v_add_f64 v[12:13], v[198:199], v[208:209]
	v_add_f64 v[198:199], v[200:201], v[206:207]
	v_fma_f64 v[204:205], v[8:9], v[14:15], v[204:205]
	v_fma_f64 v[14:15], v[6:7], v[14:15], -v[16:17]
	ds_load_b128 v[6:9], v1 offset:1456
	s_waitcnt vmcnt(7) lgkmcnt(1)
	v_mul_f64 v[200:201], v[2:3], v[20:21]
	v_mul_f64 v[20:21], v[4:5], v[20:21]
	v_add_f64 v[10:11], v[12:13], v[10:11]
	v_add_f64 v[12:13], v[198:199], v[202:203]
	s_delay_alu instid0(VALU_DEP_4) | instskip(NEXT) | instid1(VALU_DEP_4)
	v_fma_f64 v[198:199], v[4:5], v[18:19], v[200:201]
	v_fma_f64 v[18:19], v[2:3], v[18:19], -v[20:21]
	ds_load_b128 v[2:5], v1 offset:1472
	v_add_f64 v[14:15], v[10:11], v[14:15]
	v_add_f64 v[20:21], v[12:13], v[204:205]
	scratch_load_b128 v[10:13], off, off offset:256
	s_waitcnt vmcnt(7) lgkmcnt(1)
	v_mul_f64 v[16:17], v[6:7], v[24:25]
	v_mul_f64 v[24:25], v[8:9], v[24:25]
	v_add_f64 v[14:15], v[14:15], v[18:19]
	v_add_f64 v[18:19], v[20:21], v[198:199]
	s_delay_alu instid0(VALU_DEP_4) | instskip(NEXT) | instid1(VALU_DEP_4)
	v_fma_f64 v[16:17], v[8:9], v[22:23], v[16:17]
	v_fma_f64 v[22:23], v[6:7], v[22:23], -v[24:25]
	ds_load_b128 v[6:9], v1 offset:1488
	s_waitcnt vmcnt(6) lgkmcnt(1)
	v_mul_f64 v[200:201], v[2:3], v[28:29]
	v_mul_f64 v[28:29], v[4:5], v[28:29]
	s_waitcnt vmcnt(5) lgkmcnt(0)
	v_mul_f64 v[20:21], v[6:7], v[32:33]
	v_mul_f64 v[24:25], v[8:9], v[32:33]
	v_add_f64 v[16:17], v[18:19], v[16:17]
	v_add_f64 v[14:15], v[14:15], v[22:23]
	v_fma_f64 v[32:33], v[4:5], v[26:27], v[200:201]
	v_fma_f64 v[26:27], v[2:3], v[26:27], -v[28:29]
	ds_load_b128 v[2:5], v1 offset:1504
	v_fma_f64 v[20:21], v[8:9], v[30:31], v[20:21]
	v_fma_f64 v[24:25], v[6:7], v[30:31], -v[24:25]
	ds_load_b128 v[6:9], v1 offset:1520
	s_waitcnt vmcnt(4) lgkmcnt(1)
	v_mul_f64 v[18:19], v[2:3], v[36:37]
	v_mul_f64 v[22:23], v[4:5], v[36:37]
	v_add_f64 v[16:17], v[16:17], v[32:33]
	v_add_f64 v[14:15], v[14:15], v[26:27]
	s_waitcnt vmcnt(3) lgkmcnt(0)
	v_mul_f64 v[26:27], v[6:7], v[196:197]
	v_mul_f64 v[28:29], v[8:9], v[196:197]
	v_fma_f64 v[18:19], v[4:5], v[34:35], v[18:19]
	v_fma_f64 v[22:23], v[2:3], v[34:35], -v[22:23]
	ds_load_b128 v[2:5], v1 offset:1536
	v_add_f64 v[16:17], v[16:17], v[20:21]
	v_add_f64 v[14:15], v[14:15], v[24:25]
	v_fma_f64 v[26:27], v[8:9], v[194:195], v[26:27]
	v_fma_f64 v[28:29], v[6:7], v[194:195], -v[28:29]
	ds_load_b128 v[6:9], v1 offset:1552
	s_waitcnt vmcnt(2) lgkmcnt(1)
	v_mul_f64 v[20:21], v[2:3], v[40:41]
	v_mul_f64 v[24:25], v[4:5], v[40:41]
	v_add_f64 v[16:17], v[16:17], v[18:19]
	v_add_f64 v[14:15], v[14:15], v[22:23]
	s_waitcnt vmcnt(1) lgkmcnt(0)
	v_mul_f64 v[18:19], v[6:7], v[192:193]
	v_mul_f64 v[22:23], v[8:9], v[192:193]
	v_fma_f64 v[4:5], v[4:5], v[38:39], v[20:21]
	v_fma_f64 v[1:2], v[2:3], v[38:39], -v[24:25]
	v_add_f64 v[16:17], v[16:17], v[26:27]
	v_add_f64 v[14:15], v[14:15], v[28:29]
	v_fma_f64 v[8:9], v[8:9], v[190:191], v[18:19]
	v_fma_f64 v[6:7], v[6:7], v[190:191], -v[22:23]
	s_delay_alu instid0(VALU_DEP_4) | instskip(NEXT) | instid1(VALU_DEP_4)
	v_add_f64 v[3:4], v[16:17], v[4:5]
	v_add_f64 v[1:2], v[14:15], v[1:2]
	s_delay_alu instid0(VALU_DEP_2) | instskip(NEXT) | instid1(VALU_DEP_2)
	v_add_f64 v[3:4], v[3:4], v[8:9]
	v_add_f64 v[1:2], v[1:2], v[6:7]
	s_waitcnt vmcnt(0)
	s_delay_alu instid0(VALU_DEP_2) | instskip(NEXT) | instid1(VALU_DEP_2)
	v_add_f64 v[3:4], v[12:13], -v[3:4]
	v_add_f64 v[1:2], v[10:11], -v[1:2]
	scratch_store_b128 off, v[1:4], off offset:256
	v_cmpx_lt_u32_e32 15, v140
	s_cbranch_execz .LBB48_277
; %bb.276:
	scratch_load_b128 v[1:4], v174, off
	v_mov_b32_e32 v5, 0
	s_delay_alu instid0(VALU_DEP_1)
	v_mov_b32_e32 v6, v5
	v_mov_b32_e32 v7, v5
	;; [unrolled: 1-line block ×3, first 2 shown]
	scratch_store_b128 off, v[5:8], off offset:240
	s_waitcnt vmcnt(0)
	ds_store_b128 v189, v[1:4]
.LBB48_277:
	s_or_b32 exec_lo, exec_lo, s2
	s_waitcnt lgkmcnt(0)
	s_waitcnt_vscnt null, 0x0
	s_barrier
	buffer_gl0_inv
	s_clause 0x7
	scratch_load_b128 v[2:5], off, off offset:256
	scratch_load_b128 v[6:9], off, off offset:272
	;; [unrolled: 1-line block ×8, first 2 shown]
	v_mov_b32_e32 v1, 0
	s_clause 0x1
	scratch_load_b128 v[34:37], off, off offset:384
	scratch_load_b128 v[194:197], off, off offset:400
	s_mov_b32 s2, exec_lo
	ds_load_b128 v[38:41], v1 offset:1040
	ds_load_b128 v[190:193], v1 offset:1056
	s_waitcnt vmcnt(9) lgkmcnt(1)
	v_mul_f64 v[198:199], v[40:41], v[4:5]
	v_mul_f64 v[4:5], v[38:39], v[4:5]
	s_waitcnt vmcnt(8) lgkmcnt(0)
	v_mul_f64 v[200:201], v[190:191], v[8:9]
	v_mul_f64 v[8:9], v[192:193], v[8:9]
	s_delay_alu instid0(VALU_DEP_4) | instskip(NEXT) | instid1(VALU_DEP_4)
	v_fma_f64 v[198:199], v[38:39], v[2:3], -v[198:199]
	v_fma_f64 v[202:203], v[40:41], v[2:3], v[4:5]
	ds_load_b128 v[2:5], v1 offset:1072
	scratch_load_b128 v[38:41], off, off offset:416
	v_fma_f64 v[200:201], v[192:193], v[6:7], v[200:201]
	v_fma_f64 v[206:207], v[190:191], v[6:7], -v[8:9]
	scratch_load_b128 v[190:193], off, off offset:432
	ds_load_b128 v[6:9], v1 offset:1088
	s_waitcnt vmcnt(9) lgkmcnt(1)
	v_mul_f64 v[204:205], v[2:3], v[12:13]
	v_mul_f64 v[12:13], v[4:5], v[12:13]
	s_waitcnt vmcnt(8) lgkmcnt(0)
	v_mul_f64 v[208:209], v[6:7], v[16:17]
	v_mul_f64 v[16:17], v[8:9], v[16:17]
	v_add_f64 v[198:199], v[198:199], 0
	v_add_f64 v[202:203], v[202:203], 0
	v_fma_f64 v[204:205], v[4:5], v[10:11], v[204:205]
	v_fma_f64 v[210:211], v[2:3], v[10:11], -v[12:13]
	ds_load_b128 v[2:5], v1 offset:1104
	scratch_load_b128 v[10:13], off, off offset:448
	v_add_f64 v[198:199], v[198:199], v[206:207]
	v_add_f64 v[200:201], v[202:203], v[200:201]
	v_fma_f64 v[206:207], v[8:9], v[14:15], v[208:209]
	v_fma_f64 v[208:209], v[6:7], v[14:15], -v[16:17]
	scratch_load_b128 v[14:17], off, off offset:464
	ds_load_b128 v[6:9], v1 offset:1120
	s_waitcnt vmcnt(9) lgkmcnt(1)
	v_mul_f64 v[202:203], v[2:3], v[20:21]
	v_mul_f64 v[20:21], v[4:5], v[20:21]
	v_add_f64 v[198:199], v[198:199], v[210:211]
	v_add_f64 v[200:201], v[200:201], v[204:205]
	s_waitcnt vmcnt(8) lgkmcnt(0)
	v_mul_f64 v[204:205], v[6:7], v[24:25]
	v_mul_f64 v[24:25], v[8:9], v[24:25]
	v_fma_f64 v[202:203], v[4:5], v[18:19], v[202:203]
	v_fma_f64 v[210:211], v[2:3], v[18:19], -v[20:21]
	ds_load_b128 v[2:5], v1 offset:1136
	scratch_load_b128 v[18:21], off, off offset:480
	v_add_f64 v[198:199], v[198:199], v[208:209]
	v_add_f64 v[200:201], v[200:201], v[206:207]
	v_fma_f64 v[204:205], v[8:9], v[22:23], v[204:205]
	v_fma_f64 v[208:209], v[6:7], v[22:23], -v[24:25]
	scratch_load_b128 v[22:25], off, off offset:496
	ds_load_b128 v[6:9], v1 offset:1152
	s_waitcnt vmcnt(9) lgkmcnt(1)
	v_mul_f64 v[206:207], v[2:3], v[28:29]
	v_mul_f64 v[28:29], v[4:5], v[28:29]
	v_add_f64 v[198:199], v[198:199], v[210:211]
	v_add_f64 v[200:201], v[200:201], v[202:203]
	s_waitcnt vmcnt(8) lgkmcnt(0)
	v_mul_f64 v[202:203], v[6:7], v[32:33]
	v_mul_f64 v[32:33], v[8:9], v[32:33]
	;; [unrolled: 18-line block ×7, first 2 shown]
	v_fma_f64 v[202:203], v[4:5], v[26:27], v[202:203]
	v_fma_f64 v[210:211], v[2:3], v[26:27], -v[28:29]
	ds_load_b128 v[2:5], v1 offset:1328
	scratch_load_b128 v[26:29], off, off offset:672
	v_add_f64 v[198:199], v[198:199], v[208:209]
	v_add_f64 v[200:201], v[200:201], v[206:207]
	v_fma_f64 v[204:205], v[8:9], v[30:31], v[204:205]
	v_fma_f64 v[208:209], v[6:7], v[30:31], -v[32:33]
	ds_load_b128 v[6:9], v1 offset:1344
	s_waitcnt vmcnt(8) lgkmcnt(1)
	v_mul_f64 v[206:207], v[2:3], v[36:37]
	v_mul_f64 v[36:37], v[4:5], v[36:37]
	scratch_load_b128 v[30:33], off, off offset:688
	v_add_f64 v[198:199], v[198:199], v[210:211]
	v_add_f64 v[200:201], v[200:201], v[202:203]
	s_waitcnt vmcnt(8) lgkmcnt(0)
	v_mul_f64 v[202:203], v[6:7], v[196:197]
	v_mul_f64 v[196:197], v[8:9], v[196:197]
	v_fma_f64 v[206:207], v[4:5], v[34:35], v[206:207]
	v_fma_f64 v[210:211], v[2:3], v[34:35], -v[36:37]
	scratch_load_b128 v[34:37], off, off offset:704
	ds_load_b128 v[2:5], v1 offset:1360
	v_add_f64 v[198:199], v[198:199], v[208:209]
	v_add_f64 v[200:201], v[200:201], v[204:205]
	v_fma_f64 v[202:203], v[8:9], v[194:195], v[202:203]
	v_fma_f64 v[208:209], v[6:7], v[194:195], -v[196:197]
	ds_load_b128 v[6:9], v1 offset:1376
	s_waitcnt vmcnt(8) lgkmcnt(1)
	v_mul_f64 v[204:205], v[2:3], v[40:41]
	v_mul_f64 v[40:41], v[4:5], v[40:41]
	scratch_load_b128 v[194:197], off, off offset:720
	v_add_f64 v[198:199], v[198:199], v[210:211]
	v_add_f64 v[200:201], v[200:201], v[206:207]
	s_waitcnt vmcnt(8) lgkmcnt(0)
	v_mul_f64 v[206:207], v[6:7], v[192:193]
	v_mul_f64 v[192:193], v[8:9], v[192:193]
	v_fma_f64 v[204:205], v[4:5], v[38:39], v[204:205]
	v_fma_f64 v[210:211], v[2:3], v[38:39], -v[40:41]
	scratch_load_b128 v[38:41], off, off offset:736
	ds_load_b128 v[2:5], v1 offset:1392
	;; [unrolled: 18-line block ×3, first 2 shown]
	v_add_f64 v[198:199], v[198:199], v[208:209]
	v_add_f64 v[200:201], v[200:201], v[206:207]
	v_fma_f64 v[204:205], v[8:9], v[14:15], v[204:205]
	v_fma_f64 v[14:15], v[6:7], v[14:15], -v[16:17]
	ds_load_b128 v[6:9], v1 offset:1440
	s_waitcnt vmcnt(8) lgkmcnt(1)
	v_mul_f64 v[206:207], v[2:3], v[20:21]
	v_mul_f64 v[20:21], v[4:5], v[20:21]
	v_add_f64 v[16:17], v[198:199], v[210:211]
	v_add_f64 v[198:199], v[200:201], v[202:203]
	s_waitcnt vmcnt(7) lgkmcnt(0)
	v_mul_f64 v[200:201], v[6:7], v[24:25]
	v_mul_f64 v[24:25], v[8:9], v[24:25]
	v_fma_f64 v[202:203], v[4:5], v[18:19], v[206:207]
	v_fma_f64 v[18:19], v[2:3], v[18:19], -v[20:21]
	ds_load_b128 v[2:5], v1 offset:1456
	v_add_f64 v[14:15], v[16:17], v[14:15]
	v_add_f64 v[16:17], v[198:199], v[204:205]
	v_fma_f64 v[198:199], v[8:9], v[22:23], v[200:201]
	v_fma_f64 v[22:23], v[6:7], v[22:23], -v[24:25]
	ds_load_b128 v[6:9], v1 offset:1472
	s_waitcnt vmcnt(5) lgkmcnt(0)
	v_mul_f64 v[200:201], v[6:7], v[32:33]
	v_mul_f64 v[32:33], v[8:9], v[32:33]
	v_add_f64 v[18:19], v[14:15], v[18:19]
	v_add_f64 v[24:25], v[16:17], v[202:203]
	scratch_load_b128 v[14:17], off, off offset:240
	v_mul_f64 v[20:21], v[2:3], v[28:29]
	v_mul_f64 v[28:29], v[4:5], v[28:29]
	v_add_f64 v[18:19], v[18:19], v[22:23]
	v_add_f64 v[22:23], v[24:25], v[198:199]
	s_delay_alu instid0(VALU_DEP_4) | instskip(NEXT) | instid1(VALU_DEP_4)
	v_fma_f64 v[20:21], v[4:5], v[26:27], v[20:21]
	v_fma_f64 v[26:27], v[2:3], v[26:27], -v[28:29]
	ds_load_b128 v[2:5], v1 offset:1488
	s_waitcnt vmcnt(5) lgkmcnt(0)
	v_mul_f64 v[24:25], v[2:3], v[36:37]
	v_mul_f64 v[28:29], v[4:5], v[36:37]
	v_fma_f64 v[36:37], v[8:9], v[30:31], v[200:201]
	v_fma_f64 v[30:31], v[6:7], v[30:31], -v[32:33]
	ds_load_b128 v[6:9], v1 offset:1504
	v_add_f64 v[20:21], v[22:23], v[20:21]
	v_add_f64 v[18:19], v[18:19], v[26:27]
	v_fma_f64 v[24:25], v[4:5], v[34:35], v[24:25]
	v_fma_f64 v[28:29], v[2:3], v[34:35], -v[28:29]
	ds_load_b128 v[2:5], v1 offset:1520
	s_waitcnt vmcnt(4) lgkmcnt(1)
	v_mul_f64 v[22:23], v[6:7], v[196:197]
	v_mul_f64 v[26:27], v[8:9], v[196:197]
	v_add_f64 v[20:21], v[20:21], v[36:37]
	v_add_f64 v[18:19], v[18:19], v[30:31]
	s_waitcnt vmcnt(3) lgkmcnt(0)
	v_mul_f64 v[30:31], v[2:3], v[40:41]
	v_mul_f64 v[32:33], v[4:5], v[40:41]
	v_fma_f64 v[22:23], v[8:9], v[194:195], v[22:23]
	v_fma_f64 v[26:27], v[6:7], v[194:195], -v[26:27]
	ds_load_b128 v[6:9], v1 offset:1536
	v_add_f64 v[20:21], v[20:21], v[24:25]
	v_add_f64 v[18:19], v[18:19], v[28:29]
	v_fma_f64 v[30:31], v[4:5], v[38:39], v[30:31]
	v_fma_f64 v[32:33], v[2:3], v[38:39], -v[32:33]
	ds_load_b128 v[2:5], v1 offset:1552
	s_waitcnt vmcnt(2) lgkmcnt(1)
	v_mul_f64 v[24:25], v[6:7], v[192:193]
	v_mul_f64 v[28:29], v[8:9], v[192:193]
	v_add_f64 v[20:21], v[20:21], v[22:23]
	v_add_f64 v[18:19], v[18:19], v[26:27]
	s_waitcnt vmcnt(1) lgkmcnt(0)
	v_mul_f64 v[22:23], v[2:3], v[12:13]
	v_mul_f64 v[12:13], v[4:5], v[12:13]
	v_fma_f64 v[8:9], v[8:9], v[190:191], v[24:25]
	v_fma_f64 v[6:7], v[6:7], v[190:191], -v[28:29]
	v_add_f64 v[20:21], v[20:21], v[30:31]
	v_add_f64 v[18:19], v[18:19], v[32:33]
	v_fma_f64 v[4:5], v[4:5], v[10:11], v[22:23]
	v_fma_f64 v[2:3], v[2:3], v[10:11], -v[12:13]
	s_delay_alu instid0(VALU_DEP_4) | instskip(NEXT) | instid1(VALU_DEP_4)
	v_add_f64 v[8:9], v[20:21], v[8:9]
	v_add_f64 v[6:7], v[18:19], v[6:7]
	s_delay_alu instid0(VALU_DEP_2) | instskip(NEXT) | instid1(VALU_DEP_2)
	v_add_f64 v[4:5], v[8:9], v[4:5]
	v_add_f64 v[2:3], v[6:7], v[2:3]
	s_waitcnt vmcnt(0)
	s_delay_alu instid0(VALU_DEP_2) | instskip(NEXT) | instid1(VALU_DEP_2)
	v_add_f64 v[4:5], v[16:17], -v[4:5]
	v_add_f64 v[2:3], v[14:15], -v[2:3]
	scratch_store_b128 off, v[2:5], off offset:240
	v_cmpx_lt_u32_e32 14, v140
	s_cbranch_execz .LBB48_279
; %bb.278:
	scratch_load_b128 v[5:8], v175, off
	v_mov_b32_e32 v2, v1
	v_mov_b32_e32 v3, v1
	;; [unrolled: 1-line block ×3, first 2 shown]
	scratch_store_b128 off, v[1:4], off offset:224
	s_waitcnt vmcnt(0)
	ds_store_b128 v189, v[5:8]
.LBB48_279:
	s_or_b32 exec_lo, exec_lo, s2
	s_waitcnt lgkmcnt(0)
	s_waitcnt_vscnt null, 0x0
	s_barrier
	buffer_gl0_inv
	s_clause 0x7
	scratch_load_b128 v[2:5], off, off offset:240
	scratch_load_b128 v[6:9], off, off offset:256
	scratch_load_b128 v[10:13], off, off offset:272
	scratch_load_b128 v[14:17], off, off offset:288
	scratch_load_b128 v[18:21], off, off offset:304
	scratch_load_b128 v[22:25], off, off offset:320
	scratch_load_b128 v[26:29], off, off offset:336
	scratch_load_b128 v[30:33], off, off offset:352
	ds_load_b128 v[38:41], v1 offset:1024
	ds_load_b128 v[190:193], v1 offset:1040
	s_clause 0x1
	scratch_load_b128 v[34:37], off, off offset:368
	scratch_load_b128 v[194:197], off, off offset:384
	s_mov_b32 s2, exec_lo
	s_waitcnt vmcnt(9) lgkmcnt(1)
	v_mul_f64 v[198:199], v[40:41], v[4:5]
	v_mul_f64 v[4:5], v[38:39], v[4:5]
	s_waitcnt vmcnt(8) lgkmcnt(0)
	v_mul_f64 v[200:201], v[190:191], v[8:9]
	v_mul_f64 v[8:9], v[192:193], v[8:9]
	s_delay_alu instid0(VALU_DEP_4) | instskip(NEXT) | instid1(VALU_DEP_4)
	v_fma_f64 v[198:199], v[38:39], v[2:3], -v[198:199]
	v_fma_f64 v[202:203], v[40:41], v[2:3], v[4:5]
	ds_load_b128 v[2:5], v1 offset:1056
	scratch_load_b128 v[38:41], off, off offset:400
	v_fma_f64 v[200:201], v[192:193], v[6:7], v[200:201]
	v_fma_f64 v[206:207], v[190:191], v[6:7], -v[8:9]
	scratch_load_b128 v[190:193], off, off offset:416
	ds_load_b128 v[6:9], v1 offset:1072
	s_waitcnt vmcnt(9) lgkmcnt(1)
	v_mul_f64 v[204:205], v[2:3], v[12:13]
	v_mul_f64 v[12:13], v[4:5], v[12:13]
	s_waitcnt vmcnt(8) lgkmcnt(0)
	v_mul_f64 v[208:209], v[6:7], v[16:17]
	v_mul_f64 v[16:17], v[8:9], v[16:17]
	v_add_f64 v[198:199], v[198:199], 0
	v_add_f64 v[202:203], v[202:203], 0
	v_fma_f64 v[204:205], v[4:5], v[10:11], v[204:205]
	v_fma_f64 v[210:211], v[2:3], v[10:11], -v[12:13]
	ds_load_b128 v[2:5], v1 offset:1088
	scratch_load_b128 v[10:13], off, off offset:432
	v_add_f64 v[198:199], v[198:199], v[206:207]
	v_add_f64 v[200:201], v[202:203], v[200:201]
	v_fma_f64 v[206:207], v[8:9], v[14:15], v[208:209]
	v_fma_f64 v[208:209], v[6:7], v[14:15], -v[16:17]
	scratch_load_b128 v[14:17], off, off offset:448
	ds_load_b128 v[6:9], v1 offset:1104
	s_waitcnt vmcnt(9) lgkmcnt(1)
	v_mul_f64 v[202:203], v[2:3], v[20:21]
	v_mul_f64 v[20:21], v[4:5], v[20:21]
	v_add_f64 v[198:199], v[198:199], v[210:211]
	v_add_f64 v[200:201], v[200:201], v[204:205]
	s_waitcnt vmcnt(8) lgkmcnt(0)
	v_mul_f64 v[204:205], v[6:7], v[24:25]
	v_mul_f64 v[24:25], v[8:9], v[24:25]
	v_fma_f64 v[202:203], v[4:5], v[18:19], v[202:203]
	v_fma_f64 v[210:211], v[2:3], v[18:19], -v[20:21]
	ds_load_b128 v[2:5], v1 offset:1120
	scratch_load_b128 v[18:21], off, off offset:464
	v_add_f64 v[198:199], v[198:199], v[208:209]
	v_add_f64 v[200:201], v[200:201], v[206:207]
	v_fma_f64 v[204:205], v[8:9], v[22:23], v[204:205]
	v_fma_f64 v[208:209], v[6:7], v[22:23], -v[24:25]
	scratch_load_b128 v[22:25], off, off offset:480
	ds_load_b128 v[6:9], v1 offset:1136
	s_waitcnt vmcnt(9) lgkmcnt(1)
	v_mul_f64 v[206:207], v[2:3], v[28:29]
	v_mul_f64 v[28:29], v[4:5], v[28:29]
	v_add_f64 v[198:199], v[198:199], v[210:211]
	v_add_f64 v[200:201], v[200:201], v[202:203]
	s_waitcnt vmcnt(8) lgkmcnt(0)
	v_mul_f64 v[202:203], v[6:7], v[32:33]
	v_mul_f64 v[32:33], v[8:9], v[32:33]
	v_fma_f64 v[206:207], v[4:5], v[26:27], v[206:207]
	v_fma_f64 v[210:211], v[2:3], v[26:27], -v[28:29]
	ds_load_b128 v[2:5], v1 offset:1152
	scratch_load_b128 v[26:29], off, off offset:496
	v_add_f64 v[198:199], v[198:199], v[208:209]
	v_add_f64 v[200:201], v[200:201], v[204:205]
	v_fma_f64 v[202:203], v[8:9], v[30:31], v[202:203]
	v_fma_f64 v[208:209], v[6:7], v[30:31], -v[32:33]
	scratch_load_b128 v[30:33], off, off offset:512
	ds_load_b128 v[6:9], v1 offset:1168
	s_waitcnt vmcnt(9) lgkmcnt(1)
	v_mul_f64 v[204:205], v[2:3], v[36:37]
	v_mul_f64 v[36:37], v[4:5], v[36:37]
	v_add_f64 v[198:199], v[198:199], v[210:211]
	v_add_f64 v[200:201], v[200:201], v[206:207]
	s_waitcnt vmcnt(8) lgkmcnt(0)
	v_mul_f64 v[206:207], v[6:7], v[196:197]
	v_mul_f64 v[196:197], v[8:9], v[196:197]
	v_fma_f64 v[204:205], v[4:5], v[34:35], v[204:205]
	v_fma_f64 v[210:211], v[2:3], v[34:35], -v[36:37]
	ds_load_b128 v[2:5], v1 offset:1184
	scratch_load_b128 v[34:37], off, off offset:528
	v_add_f64 v[198:199], v[198:199], v[208:209]
	v_add_f64 v[200:201], v[200:201], v[202:203]
	v_fma_f64 v[206:207], v[8:9], v[194:195], v[206:207]
	v_fma_f64 v[208:209], v[6:7], v[194:195], -v[196:197]
	scratch_load_b128 v[194:197], off, off offset:544
	ds_load_b128 v[6:9], v1 offset:1200
	s_waitcnt vmcnt(9) lgkmcnt(1)
	v_mul_f64 v[202:203], v[2:3], v[40:41]
	v_mul_f64 v[40:41], v[4:5], v[40:41]
	v_add_f64 v[198:199], v[198:199], v[210:211]
	v_add_f64 v[200:201], v[200:201], v[204:205]
	s_waitcnt vmcnt(8) lgkmcnt(0)
	v_mul_f64 v[204:205], v[6:7], v[192:193]
	v_mul_f64 v[192:193], v[8:9], v[192:193]
	v_fma_f64 v[202:203], v[4:5], v[38:39], v[202:203]
	v_fma_f64 v[210:211], v[2:3], v[38:39], -v[40:41]
	ds_load_b128 v[2:5], v1 offset:1216
	scratch_load_b128 v[38:41], off, off offset:560
	v_add_f64 v[198:199], v[198:199], v[208:209]
	v_add_f64 v[200:201], v[200:201], v[206:207]
	v_fma_f64 v[204:205], v[8:9], v[190:191], v[204:205]
	v_fma_f64 v[208:209], v[6:7], v[190:191], -v[192:193]
	scratch_load_b128 v[190:193], off, off offset:576
	ds_load_b128 v[6:9], v1 offset:1232
	s_waitcnt vmcnt(9) lgkmcnt(1)
	v_mul_f64 v[206:207], v[2:3], v[12:13]
	v_mul_f64 v[12:13], v[4:5], v[12:13]
	v_add_f64 v[198:199], v[198:199], v[210:211]
	v_add_f64 v[200:201], v[200:201], v[202:203]
	s_waitcnt vmcnt(8) lgkmcnt(0)
	v_mul_f64 v[202:203], v[6:7], v[16:17]
	v_mul_f64 v[16:17], v[8:9], v[16:17]
	v_fma_f64 v[206:207], v[4:5], v[10:11], v[206:207]
	v_fma_f64 v[210:211], v[2:3], v[10:11], -v[12:13]
	ds_load_b128 v[2:5], v1 offset:1248
	scratch_load_b128 v[10:13], off, off offset:592
	v_add_f64 v[198:199], v[198:199], v[208:209]
	v_add_f64 v[200:201], v[200:201], v[204:205]
	v_fma_f64 v[202:203], v[8:9], v[14:15], v[202:203]
	v_fma_f64 v[208:209], v[6:7], v[14:15], -v[16:17]
	scratch_load_b128 v[14:17], off, off offset:608
	ds_load_b128 v[6:9], v1 offset:1264
	s_waitcnt vmcnt(9) lgkmcnt(1)
	v_mul_f64 v[204:205], v[2:3], v[20:21]
	v_mul_f64 v[20:21], v[4:5], v[20:21]
	v_add_f64 v[198:199], v[198:199], v[210:211]
	v_add_f64 v[200:201], v[200:201], v[206:207]
	s_waitcnt vmcnt(8) lgkmcnt(0)
	v_mul_f64 v[206:207], v[6:7], v[24:25]
	v_mul_f64 v[24:25], v[8:9], v[24:25]
	v_fma_f64 v[204:205], v[4:5], v[18:19], v[204:205]
	v_fma_f64 v[210:211], v[2:3], v[18:19], -v[20:21]
	ds_load_b128 v[2:5], v1 offset:1280
	scratch_load_b128 v[18:21], off, off offset:624
	v_add_f64 v[198:199], v[198:199], v[208:209]
	v_add_f64 v[200:201], v[200:201], v[202:203]
	v_fma_f64 v[206:207], v[8:9], v[22:23], v[206:207]
	v_fma_f64 v[208:209], v[6:7], v[22:23], -v[24:25]
	scratch_load_b128 v[22:25], off, off offset:640
	ds_load_b128 v[6:9], v1 offset:1296
	s_waitcnt vmcnt(9) lgkmcnt(1)
	v_mul_f64 v[202:203], v[2:3], v[28:29]
	v_mul_f64 v[28:29], v[4:5], v[28:29]
	v_add_f64 v[198:199], v[198:199], v[210:211]
	v_add_f64 v[200:201], v[200:201], v[204:205]
	s_waitcnt vmcnt(8) lgkmcnt(0)
	v_mul_f64 v[204:205], v[6:7], v[32:33]
	v_mul_f64 v[32:33], v[8:9], v[32:33]
	v_fma_f64 v[202:203], v[4:5], v[26:27], v[202:203]
	v_fma_f64 v[210:211], v[2:3], v[26:27], -v[28:29]
	ds_load_b128 v[2:5], v1 offset:1312
	scratch_load_b128 v[26:29], off, off offset:656
	v_add_f64 v[198:199], v[198:199], v[208:209]
	v_add_f64 v[200:201], v[200:201], v[206:207]
	v_fma_f64 v[204:205], v[8:9], v[30:31], v[204:205]
	v_fma_f64 v[208:209], v[6:7], v[30:31], -v[32:33]
	ds_load_b128 v[6:9], v1 offset:1328
	s_waitcnt vmcnt(8) lgkmcnt(1)
	v_mul_f64 v[206:207], v[2:3], v[36:37]
	v_mul_f64 v[36:37], v[4:5], v[36:37]
	scratch_load_b128 v[30:33], off, off offset:672
	v_add_f64 v[198:199], v[198:199], v[210:211]
	v_add_f64 v[200:201], v[200:201], v[202:203]
	s_waitcnt vmcnt(8) lgkmcnt(0)
	v_mul_f64 v[202:203], v[6:7], v[196:197]
	v_mul_f64 v[196:197], v[8:9], v[196:197]
	v_fma_f64 v[206:207], v[4:5], v[34:35], v[206:207]
	v_fma_f64 v[210:211], v[2:3], v[34:35], -v[36:37]
	ds_load_b128 v[2:5], v1 offset:1344
	scratch_load_b128 v[34:37], off, off offset:688
	v_add_f64 v[198:199], v[198:199], v[208:209]
	v_add_f64 v[200:201], v[200:201], v[204:205]
	v_fma_f64 v[202:203], v[8:9], v[194:195], v[202:203]
	v_fma_f64 v[208:209], v[6:7], v[194:195], -v[196:197]
	ds_load_b128 v[6:9], v1 offset:1360
	s_waitcnt vmcnt(8) lgkmcnt(1)
	v_mul_f64 v[204:205], v[2:3], v[40:41]
	v_mul_f64 v[40:41], v[4:5], v[40:41]
	scratch_load_b128 v[194:197], off, off offset:704
	v_add_f64 v[198:199], v[198:199], v[210:211]
	v_add_f64 v[200:201], v[200:201], v[206:207]
	s_waitcnt vmcnt(8) lgkmcnt(0)
	v_mul_f64 v[206:207], v[6:7], v[192:193]
	v_mul_f64 v[192:193], v[8:9], v[192:193]
	v_fma_f64 v[204:205], v[4:5], v[38:39], v[204:205]
	v_fma_f64 v[210:211], v[2:3], v[38:39], -v[40:41]
	scratch_load_b128 v[38:41], off, off offset:720
	ds_load_b128 v[2:5], v1 offset:1376
	v_add_f64 v[198:199], v[198:199], v[208:209]
	v_add_f64 v[200:201], v[200:201], v[202:203]
	v_fma_f64 v[206:207], v[8:9], v[190:191], v[206:207]
	v_fma_f64 v[208:209], v[6:7], v[190:191], -v[192:193]
	ds_load_b128 v[6:9], v1 offset:1392
	s_waitcnt vmcnt(8) lgkmcnt(1)
	v_mul_f64 v[202:203], v[2:3], v[12:13]
	v_mul_f64 v[12:13], v[4:5], v[12:13]
	scratch_load_b128 v[190:193], off, off offset:736
	v_add_f64 v[198:199], v[198:199], v[210:211]
	v_add_f64 v[200:201], v[200:201], v[204:205]
	s_waitcnt vmcnt(8) lgkmcnt(0)
	v_mul_f64 v[204:205], v[6:7], v[16:17]
	v_mul_f64 v[16:17], v[8:9], v[16:17]
	v_fma_f64 v[202:203], v[4:5], v[10:11], v[202:203]
	v_fma_f64 v[210:211], v[2:3], v[10:11], -v[12:13]
	scratch_load_b128 v[10:13], off, off offset:752
	ds_load_b128 v[2:5], v1 offset:1408
	v_add_f64 v[198:199], v[198:199], v[208:209]
	v_add_f64 v[200:201], v[200:201], v[206:207]
	v_fma_f64 v[204:205], v[8:9], v[14:15], v[204:205]
	v_fma_f64 v[208:209], v[6:7], v[14:15], -v[16:17]
	ds_load_b128 v[6:9], v1 offset:1424
	s_waitcnt vmcnt(8) lgkmcnt(1)
	v_mul_f64 v[206:207], v[2:3], v[20:21]
	v_mul_f64 v[20:21], v[4:5], v[20:21]
	scratch_load_b128 v[14:17], off, off offset:768
	v_add_f64 v[198:199], v[198:199], v[210:211]
	v_add_f64 v[200:201], v[200:201], v[202:203]
	s_waitcnt vmcnt(8) lgkmcnt(0)
	v_mul_f64 v[202:203], v[6:7], v[24:25]
	v_mul_f64 v[24:25], v[8:9], v[24:25]
	v_fma_f64 v[206:207], v[4:5], v[18:19], v[206:207]
	v_fma_f64 v[18:19], v[2:3], v[18:19], -v[20:21]
	ds_load_b128 v[2:5], v1 offset:1440
	v_add_f64 v[20:21], v[198:199], v[208:209]
	v_add_f64 v[198:199], v[200:201], v[204:205]
	v_fma_f64 v[202:203], v[8:9], v[22:23], v[202:203]
	v_fma_f64 v[22:23], v[6:7], v[22:23], -v[24:25]
	ds_load_b128 v[6:9], v1 offset:1456
	s_waitcnt vmcnt(7) lgkmcnt(1)
	v_mul_f64 v[200:201], v[2:3], v[28:29]
	v_mul_f64 v[28:29], v[4:5], v[28:29]
	v_add_f64 v[18:19], v[20:21], v[18:19]
	v_add_f64 v[20:21], v[198:199], v[206:207]
	s_delay_alu instid0(VALU_DEP_4) | instskip(NEXT) | instid1(VALU_DEP_4)
	v_fma_f64 v[198:199], v[4:5], v[26:27], v[200:201]
	v_fma_f64 v[26:27], v[2:3], v[26:27], -v[28:29]
	ds_load_b128 v[2:5], v1 offset:1472
	v_add_f64 v[22:23], v[18:19], v[22:23]
	v_add_f64 v[28:29], v[20:21], v[202:203]
	scratch_load_b128 v[18:21], off, off offset:224
	s_waitcnt vmcnt(7) lgkmcnt(1)
	v_mul_f64 v[24:25], v[6:7], v[32:33]
	v_mul_f64 v[32:33], v[8:9], v[32:33]
	v_add_f64 v[22:23], v[22:23], v[26:27]
	v_add_f64 v[26:27], v[28:29], v[198:199]
	s_delay_alu instid0(VALU_DEP_4) | instskip(NEXT) | instid1(VALU_DEP_4)
	v_fma_f64 v[24:25], v[8:9], v[30:31], v[24:25]
	v_fma_f64 v[30:31], v[6:7], v[30:31], -v[32:33]
	ds_load_b128 v[6:9], v1 offset:1488
	s_waitcnt vmcnt(6) lgkmcnt(1)
	v_mul_f64 v[200:201], v[2:3], v[36:37]
	v_mul_f64 v[36:37], v[4:5], v[36:37]
	s_waitcnt vmcnt(5) lgkmcnt(0)
	v_mul_f64 v[28:29], v[6:7], v[196:197]
	v_mul_f64 v[32:33], v[8:9], v[196:197]
	v_add_f64 v[24:25], v[26:27], v[24:25]
	v_add_f64 v[22:23], v[22:23], v[30:31]
	v_fma_f64 v[196:197], v[4:5], v[34:35], v[200:201]
	v_fma_f64 v[34:35], v[2:3], v[34:35], -v[36:37]
	ds_load_b128 v[2:5], v1 offset:1504
	v_fma_f64 v[28:29], v[8:9], v[194:195], v[28:29]
	v_fma_f64 v[32:33], v[6:7], v[194:195], -v[32:33]
	ds_load_b128 v[6:9], v1 offset:1520
	s_waitcnt vmcnt(4) lgkmcnt(1)
	v_mul_f64 v[26:27], v[2:3], v[40:41]
	v_mul_f64 v[30:31], v[4:5], v[40:41]
	v_add_f64 v[24:25], v[24:25], v[196:197]
	v_add_f64 v[22:23], v[22:23], v[34:35]
	s_waitcnt vmcnt(3) lgkmcnt(0)
	v_mul_f64 v[34:35], v[6:7], v[192:193]
	v_mul_f64 v[36:37], v[8:9], v[192:193]
	v_fma_f64 v[26:27], v[4:5], v[38:39], v[26:27]
	v_fma_f64 v[30:31], v[2:3], v[38:39], -v[30:31]
	ds_load_b128 v[2:5], v1 offset:1536
	v_add_f64 v[24:25], v[24:25], v[28:29]
	v_add_f64 v[22:23], v[22:23], v[32:33]
	v_fma_f64 v[32:33], v[8:9], v[190:191], v[34:35]
	v_fma_f64 v[34:35], v[6:7], v[190:191], -v[36:37]
	ds_load_b128 v[6:9], v1 offset:1552
	s_waitcnt vmcnt(2) lgkmcnt(1)
	v_mul_f64 v[28:29], v[2:3], v[12:13]
	v_mul_f64 v[12:13], v[4:5], v[12:13]
	v_add_f64 v[24:25], v[24:25], v[26:27]
	v_add_f64 v[22:23], v[22:23], v[30:31]
	s_waitcnt vmcnt(1) lgkmcnt(0)
	v_mul_f64 v[26:27], v[6:7], v[16:17]
	v_mul_f64 v[16:17], v[8:9], v[16:17]
	v_fma_f64 v[4:5], v[4:5], v[10:11], v[28:29]
	v_fma_f64 v[1:2], v[2:3], v[10:11], -v[12:13]
	v_add_f64 v[12:13], v[24:25], v[32:33]
	v_add_f64 v[10:11], v[22:23], v[34:35]
	v_fma_f64 v[8:9], v[8:9], v[14:15], v[26:27]
	v_fma_f64 v[6:7], v[6:7], v[14:15], -v[16:17]
	s_delay_alu instid0(VALU_DEP_4) | instskip(NEXT) | instid1(VALU_DEP_4)
	v_add_f64 v[3:4], v[12:13], v[4:5]
	v_add_f64 v[1:2], v[10:11], v[1:2]
	s_delay_alu instid0(VALU_DEP_2) | instskip(NEXT) | instid1(VALU_DEP_2)
	v_add_f64 v[3:4], v[3:4], v[8:9]
	v_add_f64 v[1:2], v[1:2], v[6:7]
	s_waitcnt vmcnt(0)
	s_delay_alu instid0(VALU_DEP_2) | instskip(NEXT) | instid1(VALU_DEP_2)
	v_add_f64 v[3:4], v[20:21], -v[3:4]
	v_add_f64 v[1:2], v[18:19], -v[1:2]
	scratch_store_b128 off, v[1:4], off offset:224
	v_cmpx_lt_u32_e32 13, v140
	s_cbranch_execz .LBB48_281
; %bb.280:
	scratch_load_b128 v[1:4], v176, off
	v_mov_b32_e32 v5, 0
	s_delay_alu instid0(VALU_DEP_1)
	v_mov_b32_e32 v6, v5
	v_mov_b32_e32 v7, v5
	;; [unrolled: 1-line block ×3, first 2 shown]
	scratch_store_b128 off, v[5:8], off offset:208
	s_waitcnt vmcnt(0)
	ds_store_b128 v189, v[1:4]
.LBB48_281:
	s_or_b32 exec_lo, exec_lo, s2
	s_waitcnt lgkmcnt(0)
	s_waitcnt_vscnt null, 0x0
	s_barrier
	buffer_gl0_inv
	s_clause 0x7
	scratch_load_b128 v[2:5], off, off offset:224
	scratch_load_b128 v[6:9], off, off offset:240
	;; [unrolled: 1-line block ×8, first 2 shown]
	v_mov_b32_e32 v1, 0
	s_clause 0x1
	scratch_load_b128 v[34:37], off, off offset:352
	scratch_load_b128 v[194:197], off, off offset:368
	s_mov_b32 s2, exec_lo
	ds_load_b128 v[38:41], v1 offset:1008
	ds_load_b128 v[190:193], v1 offset:1024
	s_waitcnt vmcnt(9) lgkmcnt(1)
	v_mul_f64 v[198:199], v[40:41], v[4:5]
	v_mul_f64 v[4:5], v[38:39], v[4:5]
	s_waitcnt vmcnt(8) lgkmcnt(0)
	v_mul_f64 v[200:201], v[190:191], v[8:9]
	v_mul_f64 v[8:9], v[192:193], v[8:9]
	s_delay_alu instid0(VALU_DEP_4) | instskip(NEXT) | instid1(VALU_DEP_4)
	v_fma_f64 v[198:199], v[38:39], v[2:3], -v[198:199]
	v_fma_f64 v[202:203], v[40:41], v[2:3], v[4:5]
	ds_load_b128 v[2:5], v1 offset:1040
	scratch_load_b128 v[38:41], off, off offset:384
	v_fma_f64 v[200:201], v[192:193], v[6:7], v[200:201]
	v_fma_f64 v[206:207], v[190:191], v[6:7], -v[8:9]
	scratch_load_b128 v[190:193], off, off offset:400
	ds_load_b128 v[6:9], v1 offset:1056
	s_waitcnt vmcnt(9) lgkmcnt(1)
	v_mul_f64 v[204:205], v[2:3], v[12:13]
	v_mul_f64 v[12:13], v[4:5], v[12:13]
	s_waitcnt vmcnt(8) lgkmcnt(0)
	v_mul_f64 v[208:209], v[6:7], v[16:17]
	v_mul_f64 v[16:17], v[8:9], v[16:17]
	v_add_f64 v[198:199], v[198:199], 0
	v_add_f64 v[202:203], v[202:203], 0
	v_fma_f64 v[204:205], v[4:5], v[10:11], v[204:205]
	v_fma_f64 v[210:211], v[2:3], v[10:11], -v[12:13]
	ds_load_b128 v[2:5], v1 offset:1072
	scratch_load_b128 v[10:13], off, off offset:416
	v_add_f64 v[198:199], v[198:199], v[206:207]
	v_add_f64 v[200:201], v[202:203], v[200:201]
	v_fma_f64 v[206:207], v[8:9], v[14:15], v[208:209]
	v_fma_f64 v[208:209], v[6:7], v[14:15], -v[16:17]
	scratch_load_b128 v[14:17], off, off offset:432
	ds_load_b128 v[6:9], v1 offset:1088
	s_waitcnt vmcnt(9) lgkmcnt(1)
	v_mul_f64 v[202:203], v[2:3], v[20:21]
	v_mul_f64 v[20:21], v[4:5], v[20:21]
	v_add_f64 v[198:199], v[198:199], v[210:211]
	v_add_f64 v[200:201], v[200:201], v[204:205]
	s_waitcnt vmcnt(8) lgkmcnt(0)
	v_mul_f64 v[204:205], v[6:7], v[24:25]
	v_mul_f64 v[24:25], v[8:9], v[24:25]
	v_fma_f64 v[202:203], v[4:5], v[18:19], v[202:203]
	v_fma_f64 v[210:211], v[2:3], v[18:19], -v[20:21]
	ds_load_b128 v[2:5], v1 offset:1104
	scratch_load_b128 v[18:21], off, off offset:448
	v_add_f64 v[198:199], v[198:199], v[208:209]
	v_add_f64 v[200:201], v[200:201], v[206:207]
	v_fma_f64 v[204:205], v[8:9], v[22:23], v[204:205]
	v_fma_f64 v[208:209], v[6:7], v[22:23], -v[24:25]
	scratch_load_b128 v[22:25], off, off offset:464
	ds_load_b128 v[6:9], v1 offset:1120
	s_waitcnt vmcnt(9) lgkmcnt(1)
	v_mul_f64 v[206:207], v[2:3], v[28:29]
	v_mul_f64 v[28:29], v[4:5], v[28:29]
	v_add_f64 v[198:199], v[198:199], v[210:211]
	v_add_f64 v[200:201], v[200:201], v[202:203]
	s_waitcnt vmcnt(8) lgkmcnt(0)
	v_mul_f64 v[202:203], v[6:7], v[32:33]
	v_mul_f64 v[32:33], v[8:9], v[32:33]
	;; [unrolled: 18-line block ×8, first 2 shown]
	v_fma_f64 v[206:207], v[4:5], v[34:35], v[206:207]
	v_fma_f64 v[210:211], v[2:3], v[34:35], -v[36:37]
	ds_load_b128 v[2:5], v1 offset:1328
	scratch_load_b128 v[34:37], off, off offset:672
	v_add_f64 v[198:199], v[198:199], v[208:209]
	v_add_f64 v[200:201], v[200:201], v[204:205]
	v_fma_f64 v[202:203], v[8:9], v[194:195], v[202:203]
	v_fma_f64 v[208:209], v[6:7], v[194:195], -v[196:197]
	ds_load_b128 v[6:9], v1 offset:1344
	s_waitcnt vmcnt(8) lgkmcnt(1)
	v_mul_f64 v[204:205], v[2:3], v[40:41]
	v_mul_f64 v[40:41], v[4:5], v[40:41]
	scratch_load_b128 v[194:197], off, off offset:688
	v_add_f64 v[198:199], v[198:199], v[210:211]
	v_add_f64 v[200:201], v[200:201], v[206:207]
	s_waitcnt vmcnt(8) lgkmcnt(0)
	v_mul_f64 v[206:207], v[6:7], v[192:193]
	v_mul_f64 v[192:193], v[8:9], v[192:193]
	v_fma_f64 v[204:205], v[4:5], v[38:39], v[204:205]
	v_fma_f64 v[210:211], v[2:3], v[38:39], -v[40:41]
	scratch_load_b128 v[38:41], off, off offset:704
	ds_load_b128 v[2:5], v1 offset:1360
	v_add_f64 v[198:199], v[198:199], v[208:209]
	v_add_f64 v[200:201], v[200:201], v[202:203]
	v_fma_f64 v[206:207], v[8:9], v[190:191], v[206:207]
	v_fma_f64 v[208:209], v[6:7], v[190:191], -v[192:193]
	ds_load_b128 v[6:9], v1 offset:1376
	s_waitcnt vmcnt(8) lgkmcnt(1)
	v_mul_f64 v[202:203], v[2:3], v[12:13]
	v_mul_f64 v[12:13], v[4:5], v[12:13]
	scratch_load_b128 v[190:193], off, off offset:720
	v_add_f64 v[198:199], v[198:199], v[210:211]
	v_add_f64 v[200:201], v[200:201], v[204:205]
	s_waitcnt vmcnt(8) lgkmcnt(0)
	v_mul_f64 v[204:205], v[6:7], v[16:17]
	v_mul_f64 v[16:17], v[8:9], v[16:17]
	v_fma_f64 v[202:203], v[4:5], v[10:11], v[202:203]
	v_fma_f64 v[210:211], v[2:3], v[10:11], -v[12:13]
	scratch_load_b128 v[10:13], off, off offset:736
	ds_load_b128 v[2:5], v1 offset:1392
	;; [unrolled: 18-line block ×3, first 2 shown]
	v_add_f64 v[198:199], v[198:199], v[208:209]
	v_add_f64 v[200:201], v[200:201], v[204:205]
	v_fma_f64 v[202:203], v[8:9], v[22:23], v[202:203]
	v_fma_f64 v[22:23], v[6:7], v[22:23], -v[24:25]
	ds_load_b128 v[6:9], v1 offset:1440
	s_waitcnt vmcnt(8) lgkmcnt(1)
	v_mul_f64 v[204:205], v[2:3], v[28:29]
	v_mul_f64 v[28:29], v[4:5], v[28:29]
	v_add_f64 v[24:25], v[198:199], v[210:211]
	v_add_f64 v[198:199], v[200:201], v[206:207]
	s_waitcnt vmcnt(7) lgkmcnt(0)
	v_mul_f64 v[200:201], v[6:7], v[32:33]
	v_mul_f64 v[32:33], v[8:9], v[32:33]
	v_fma_f64 v[204:205], v[4:5], v[26:27], v[204:205]
	v_fma_f64 v[26:27], v[2:3], v[26:27], -v[28:29]
	ds_load_b128 v[2:5], v1 offset:1456
	v_add_f64 v[22:23], v[24:25], v[22:23]
	v_add_f64 v[24:25], v[198:199], v[202:203]
	v_fma_f64 v[198:199], v[8:9], v[30:31], v[200:201]
	v_fma_f64 v[30:31], v[6:7], v[30:31], -v[32:33]
	ds_load_b128 v[6:9], v1 offset:1472
	s_waitcnt vmcnt(5) lgkmcnt(0)
	v_mul_f64 v[200:201], v[6:7], v[196:197]
	v_mul_f64 v[196:197], v[8:9], v[196:197]
	v_add_f64 v[26:27], v[22:23], v[26:27]
	v_add_f64 v[32:33], v[24:25], v[204:205]
	scratch_load_b128 v[22:25], off, off offset:208
	v_mul_f64 v[28:29], v[2:3], v[36:37]
	v_mul_f64 v[36:37], v[4:5], v[36:37]
	v_add_f64 v[26:27], v[26:27], v[30:31]
	v_add_f64 v[30:31], v[32:33], v[198:199]
	s_delay_alu instid0(VALU_DEP_4) | instskip(NEXT) | instid1(VALU_DEP_4)
	v_fma_f64 v[28:29], v[4:5], v[34:35], v[28:29]
	v_fma_f64 v[34:35], v[2:3], v[34:35], -v[36:37]
	ds_load_b128 v[2:5], v1 offset:1488
	s_waitcnt vmcnt(5) lgkmcnt(0)
	v_mul_f64 v[32:33], v[2:3], v[40:41]
	v_mul_f64 v[36:37], v[4:5], v[40:41]
	v_fma_f64 v[40:41], v[8:9], v[194:195], v[200:201]
	v_fma_f64 v[194:195], v[6:7], v[194:195], -v[196:197]
	ds_load_b128 v[6:9], v1 offset:1504
	v_add_f64 v[28:29], v[30:31], v[28:29]
	v_add_f64 v[26:27], v[26:27], v[34:35]
	v_fma_f64 v[32:33], v[4:5], v[38:39], v[32:33]
	v_fma_f64 v[36:37], v[2:3], v[38:39], -v[36:37]
	ds_load_b128 v[2:5], v1 offset:1520
	s_waitcnt vmcnt(4) lgkmcnt(1)
	v_mul_f64 v[30:31], v[6:7], v[192:193]
	v_mul_f64 v[34:35], v[8:9], v[192:193]
	v_add_f64 v[28:29], v[28:29], v[40:41]
	v_add_f64 v[26:27], v[26:27], v[194:195]
	s_waitcnt vmcnt(3) lgkmcnt(0)
	v_mul_f64 v[38:39], v[2:3], v[12:13]
	v_mul_f64 v[12:13], v[4:5], v[12:13]
	v_fma_f64 v[30:31], v[8:9], v[190:191], v[30:31]
	v_fma_f64 v[34:35], v[6:7], v[190:191], -v[34:35]
	ds_load_b128 v[6:9], v1 offset:1536
	v_add_f64 v[28:29], v[28:29], v[32:33]
	v_add_f64 v[26:27], v[26:27], v[36:37]
	v_fma_f64 v[36:37], v[4:5], v[10:11], v[38:39]
	v_fma_f64 v[10:11], v[2:3], v[10:11], -v[12:13]
	ds_load_b128 v[2:5], v1 offset:1552
	s_waitcnt vmcnt(2) lgkmcnt(1)
	v_mul_f64 v[32:33], v[6:7], v[16:17]
	v_mul_f64 v[16:17], v[8:9], v[16:17]
	v_add_f64 v[12:13], v[26:27], v[34:35]
	v_add_f64 v[26:27], v[28:29], v[30:31]
	s_waitcnt vmcnt(1) lgkmcnt(0)
	v_mul_f64 v[28:29], v[2:3], v[20:21]
	v_mul_f64 v[20:21], v[4:5], v[20:21]
	v_fma_f64 v[8:9], v[8:9], v[14:15], v[32:33]
	v_fma_f64 v[6:7], v[6:7], v[14:15], -v[16:17]
	v_add_f64 v[10:11], v[12:13], v[10:11]
	v_add_f64 v[12:13], v[26:27], v[36:37]
	v_fma_f64 v[4:5], v[4:5], v[18:19], v[28:29]
	v_fma_f64 v[2:3], v[2:3], v[18:19], -v[20:21]
	s_delay_alu instid0(VALU_DEP_4) | instskip(NEXT) | instid1(VALU_DEP_4)
	v_add_f64 v[6:7], v[10:11], v[6:7]
	v_add_f64 v[8:9], v[12:13], v[8:9]
	s_delay_alu instid0(VALU_DEP_2) | instskip(NEXT) | instid1(VALU_DEP_2)
	v_add_f64 v[2:3], v[6:7], v[2:3]
	v_add_f64 v[4:5], v[8:9], v[4:5]
	s_waitcnt vmcnt(0)
	s_delay_alu instid0(VALU_DEP_2) | instskip(NEXT) | instid1(VALU_DEP_2)
	v_add_f64 v[2:3], v[22:23], -v[2:3]
	v_add_f64 v[4:5], v[24:25], -v[4:5]
	scratch_store_b128 off, v[2:5], off offset:208
	v_cmpx_lt_u32_e32 12, v140
	s_cbranch_execz .LBB48_283
; %bb.282:
	scratch_load_b128 v[5:8], v177, off
	v_mov_b32_e32 v2, v1
	v_mov_b32_e32 v3, v1
	;; [unrolled: 1-line block ×3, first 2 shown]
	scratch_store_b128 off, v[1:4], off offset:192
	s_waitcnt vmcnt(0)
	ds_store_b128 v189, v[5:8]
.LBB48_283:
	s_or_b32 exec_lo, exec_lo, s2
	s_waitcnt lgkmcnt(0)
	s_waitcnt_vscnt null, 0x0
	s_barrier
	buffer_gl0_inv
	s_clause 0x7
	scratch_load_b128 v[2:5], off, off offset:208
	scratch_load_b128 v[6:9], off, off offset:224
	;; [unrolled: 1-line block ×8, first 2 shown]
	ds_load_b128 v[38:41], v1 offset:992
	ds_load_b128 v[190:193], v1 offset:1008
	s_clause 0x1
	scratch_load_b128 v[34:37], off, off offset:336
	scratch_load_b128 v[194:197], off, off offset:352
	s_mov_b32 s2, exec_lo
	s_waitcnt vmcnt(9) lgkmcnt(1)
	v_mul_f64 v[198:199], v[40:41], v[4:5]
	v_mul_f64 v[4:5], v[38:39], v[4:5]
	s_waitcnt vmcnt(8) lgkmcnt(0)
	v_mul_f64 v[200:201], v[190:191], v[8:9]
	v_mul_f64 v[8:9], v[192:193], v[8:9]
	s_delay_alu instid0(VALU_DEP_4) | instskip(NEXT) | instid1(VALU_DEP_4)
	v_fma_f64 v[198:199], v[38:39], v[2:3], -v[198:199]
	v_fma_f64 v[202:203], v[40:41], v[2:3], v[4:5]
	ds_load_b128 v[2:5], v1 offset:1024
	scratch_load_b128 v[38:41], off, off offset:368
	v_fma_f64 v[200:201], v[192:193], v[6:7], v[200:201]
	v_fma_f64 v[206:207], v[190:191], v[6:7], -v[8:9]
	scratch_load_b128 v[190:193], off, off offset:384
	ds_load_b128 v[6:9], v1 offset:1040
	s_waitcnt vmcnt(9) lgkmcnt(1)
	v_mul_f64 v[204:205], v[2:3], v[12:13]
	v_mul_f64 v[12:13], v[4:5], v[12:13]
	s_waitcnt vmcnt(8) lgkmcnt(0)
	v_mul_f64 v[208:209], v[6:7], v[16:17]
	v_mul_f64 v[16:17], v[8:9], v[16:17]
	v_add_f64 v[198:199], v[198:199], 0
	v_add_f64 v[202:203], v[202:203], 0
	v_fma_f64 v[204:205], v[4:5], v[10:11], v[204:205]
	v_fma_f64 v[210:211], v[2:3], v[10:11], -v[12:13]
	ds_load_b128 v[2:5], v1 offset:1056
	scratch_load_b128 v[10:13], off, off offset:400
	v_add_f64 v[198:199], v[198:199], v[206:207]
	v_add_f64 v[200:201], v[202:203], v[200:201]
	v_fma_f64 v[206:207], v[8:9], v[14:15], v[208:209]
	v_fma_f64 v[208:209], v[6:7], v[14:15], -v[16:17]
	scratch_load_b128 v[14:17], off, off offset:416
	ds_load_b128 v[6:9], v1 offset:1072
	s_waitcnt vmcnt(9) lgkmcnt(1)
	v_mul_f64 v[202:203], v[2:3], v[20:21]
	v_mul_f64 v[20:21], v[4:5], v[20:21]
	v_add_f64 v[198:199], v[198:199], v[210:211]
	v_add_f64 v[200:201], v[200:201], v[204:205]
	s_waitcnt vmcnt(8) lgkmcnt(0)
	v_mul_f64 v[204:205], v[6:7], v[24:25]
	v_mul_f64 v[24:25], v[8:9], v[24:25]
	v_fma_f64 v[202:203], v[4:5], v[18:19], v[202:203]
	v_fma_f64 v[210:211], v[2:3], v[18:19], -v[20:21]
	ds_load_b128 v[2:5], v1 offset:1088
	scratch_load_b128 v[18:21], off, off offset:432
	v_add_f64 v[198:199], v[198:199], v[208:209]
	v_add_f64 v[200:201], v[200:201], v[206:207]
	v_fma_f64 v[204:205], v[8:9], v[22:23], v[204:205]
	v_fma_f64 v[208:209], v[6:7], v[22:23], -v[24:25]
	scratch_load_b128 v[22:25], off, off offset:448
	ds_load_b128 v[6:9], v1 offset:1104
	s_waitcnt vmcnt(9) lgkmcnt(1)
	v_mul_f64 v[206:207], v[2:3], v[28:29]
	v_mul_f64 v[28:29], v[4:5], v[28:29]
	v_add_f64 v[198:199], v[198:199], v[210:211]
	v_add_f64 v[200:201], v[200:201], v[202:203]
	s_waitcnt vmcnt(8) lgkmcnt(0)
	v_mul_f64 v[202:203], v[6:7], v[32:33]
	v_mul_f64 v[32:33], v[8:9], v[32:33]
	;; [unrolled: 18-line block ×8, first 2 shown]
	v_fma_f64 v[206:207], v[4:5], v[34:35], v[206:207]
	v_fma_f64 v[210:211], v[2:3], v[34:35], -v[36:37]
	ds_load_b128 v[2:5], v1 offset:1312
	scratch_load_b128 v[34:37], off, off offset:656
	v_add_f64 v[198:199], v[198:199], v[208:209]
	v_add_f64 v[200:201], v[200:201], v[204:205]
	v_fma_f64 v[202:203], v[8:9], v[194:195], v[202:203]
	v_fma_f64 v[208:209], v[6:7], v[194:195], -v[196:197]
	ds_load_b128 v[6:9], v1 offset:1328
	s_waitcnt vmcnt(8) lgkmcnt(1)
	v_mul_f64 v[204:205], v[2:3], v[40:41]
	v_mul_f64 v[40:41], v[4:5], v[40:41]
	scratch_load_b128 v[194:197], off, off offset:672
	v_add_f64 v[198:199], v[198:199], v[210:211]
	v_add_f64 v[200:201], v[200:201], v[206:207]
	s_waitcnt vmcnt(8) lgkmcnt(0)
	v_mul_f64 v[206:207], v[6:7], v[192:193]
	v_mul_f64 v[192:193], v[8:9], v[192:193]
	v_fma_f64 v[204:205], v[4:5], v[38:39], v[204:205]
	v_fma_f64 v[210:211], v[2:3], v[38:39], -v[40:41]
	ds_load_b128 v[2:5], v1 offset:1344
	scratch_load_b128 v[38:41], off, off offset:688
	v_add_f64 v[198:199], v[198:199], v[208:209]
	v_add_f64 v[200:201], v[200:201], v[202:203]
	v_fma_f64 v[206:207], v[8:9], v[190:191], v[206:207]
	v_fma_f64 v[208:209], v[6:7], v[190:191], -v[192:193]
	ds_load_b128 v[6:9], v1 offset:1360
	s_waitcnt vmcnt(8) lgkmcnt(1)
	v_mul_f64 v[202:203], v[2:3], v[12:13]
	v_mul_f64 v[12:13], v[4:5], v[12:13]
	scratch_load_b128 v[190:193], off, off offset:704
	v_add_f64 v[198:199], v[198:199], v[210:211]
	v_add_f64 v[200:201], v[200:201], v[204:205]
	s_waitcnt vmcnt(8) lgkmcnt(0)
	v_mul_f64 v[204:205], v[6:7], v[16:17]
	v_mul_f64 v[16:17], v[8:9], v[16:17]
	v_fma_f64 v[202:203], v[4:5], v[10:11], v[202:203]
	v_fma_f64 v[210:211], v[2:3], v[10:11], -v[12:13]
	scratch_load_b128 v[10:13], off, off offset:720
	ds_load_b128 v[2:5], v1 offset:1376
	v_add_f64 v[198:199], v[198:199], v[208:209]
	v_add_f64 v[200:201], v[200:201], v[206:207]
	v_fma_f64 v[204:205], v[8:9], v[14:15], v[204:205]
	v_fma_f64 v[208:209], v[6:7], v[14:15], -v[16:17]
	ds_load_b128 v[6:9], v1 offset:1392
	s_waitcnt vmcnt(8) lgkmcnt(1)
	v_mul_f64 v[206:207], v[2:3], v[20:21]
	v_mul_f64 v[20:21], v[4:5], v[20:21]
	scratch_load_b128 v[14:17], off, off offset:736
	v_add_f64 v[198:199], v[198:199], v[210:211]
	v_add_f64 v[200:201], v[200:201], v[202:203]
	s_waitcnt vmcnt(8) lgkmcnt(0)
	v_mul_f64 v[202:203], v[6:7], v[24:25]
	v_mul_f64 v[24:25], v[8:9], v[24:25]
	v_fma_f64 v[206:207], v[4:5], v[18:19], v[206:207]
	v_fma_f64 v[210:211], v[2:3], v[18:19], -v[20:21]
	scratch_load_b128 v[18:21], off, off offset:752
	ds_load_b128 v[2:5], v1 offset:1408
	v_add_f64 v[198:199], v[198:199], v[208:209]
	v_add_f64 v[200:201], v[200:201], v[204:205]
	v_fma_f64 v[202:203], v[8:9], v[22:23], v[202:203]
	v_fma_f64 v[208:209], v[6:7], v[22:23], -v[24:25]
	ds_load_b128 v[6:9], v1 offset:1424
	s_waitcnt vmcnt(8) lgkmcnt(1)
	v_mul_f64 v[204:205], v[2:3], v[28:29]
	v_mul_f64 v[28:29], v[4:5], v[28:29]
	scratch_load_b128 v[22:25], off, off offset:768
	v_add_f64 v[198:199], v[198:199], v[210:211]
	v_add_f64 v[200:201], v[200:201], v[206:207]
	s_waitcnt vmcnt(8) lgkmcnt(0)
	v_mul_f64 v[206:207], v[6:7], v[32:33]
	v_mul_f64 v[32:33], v[8:9], v[32:33]
	v_fma_f64 v[204:205], v[4:5], v[26:27], v[204:205]
	v_fma_f64 v[26:27], v[2:3], v[26:27], -v[28:29]
	ds_load_b128 v[2:5], v1 offset:1440
	v_add_f64 v[28:29], v[198:199], v[208:209]
	v_add_f64 v[198:199], v[200:201], v[202:203]
	v_fma_f64 v[202:203], v[8:9], v[30:31], v[206:207]
	v_fma_f64 v[30:31], v[6:7], v[30:31], -v[32:33]
	ds_load_b128 v[6:9], v1 offset:1456
	s_waitcnt vmcnt(7) lgkmcnt(1)
	v_mul_f64 v[200:201], v[2:3], v[36:37]
	v_mul_f64 v[36:37], v[4:5], v[36:37]
	v_add_f64 v[26:27], v[28:29], v[26:27]
	v_add_f64 v[28:29], v[198:199], v[204:205]
	s_delay_alu instid0(VALU_DEP_4) | instskip(NEXT) | instid1(VALU_DEP_4)
	v_fma_f64 v[198:199], v[4:5], v[34:35], v[200:201]
	v_fma_f64 v[34:35], v[2:3], v[34:35], -v[36:37]
	ds_load_b128 v[2:5], v1 offset:1472
	v_add_f64 v[30:31], v[26:27], v[30:31]
	v_add_f64 v[36:37], v[28:29], v[202:203]
	scratch_load_b128 v[26:29], off, off offset:192
	s_waitcnt vmcnt(7) lgkmcnt(1)
	v_mul_f64 v[32:33], v[6:7], v[196:197]
	v_mul_f64 v[196:197], v[8:9], v[196:197]
	v_add_f64 v[30:31], v[30:31], v[34:35]
	v_add_f64 v[34:35], v[36:37], v[198:199]
	s_delay_alu instid0(VALU_DEP_4) | instskip(NEXT) | instid1(VALU_DEP_4)
	v_fma_f64 v[32:33], v[8:9], v[194:195], v[32:33]
	v_fma_f64 v[194:195], v[6:7], v[194:195], -v[196:197]
	ds_load_b128 v[6:9], v1 offset:1488
	s_waitcnt vmcnt(6) lgkmcnt(1)
	v_mul_f64 v[200:201], v[2:3], v[40:41]
	v_mul_f64 v[40:41], v[4:5], v[40:41]
	s_waitcnt vmcnt(5) lgkmcnt(0)
	v_mul_f64 v[36:37], v[6:7], v[192:193]
	v_mul_f64 v[192:193], v[8:9], v[192:193]
	v_add_f64 v[32:33], v[34:35], v[32:33]
	v_add_f64 v[30:31], v[30:31], v[194:195]
	v_fma_f64 v[196:197], v[4:5], v[38:39], v[200:201]
	v_fma_f64 v[38:39], v[2:3], v[38:39], -v[40:41]
	ds_load_b128 v[2:5], v1 offset:1504
	v_fma_f64 v[36:37], v[8:9], v[190:191], v[36:37]
	v_fma_f64 v[40:41], v[6:7], v[190:191], -v[192:193]
	ds_load_b128 v[6:9], v1 offset:1520
	s_waitcnt vmcnt(4) lgkmcnt(1)
	v_mul_f64 v[34:35], v[2:3], v[12:13]
	v_mul_f64 v[12:13], v[4:5], v[12:13]
	v_add_f64 v[32:33], v[32:33], v[196:197]
	v_add_f64 v[30:31], v[30:31], v[38:39]
	s_waitcnt vmcnt(3) lgkmcnt(0)
	v_mul_f64 v[38:39], v[6:7], v[16:17]
	v_mul_f64 v[16:17], v[8:9], v[16:17]
	v_fma_f64 v[34:35], v[4:5], v[10:11], v[34:35]
	v_fma_f64 v[10:11], v[2:3], v[10:11], -v[12:13]
	ds_load_b128 v[2:5], v1 offset:1536
	v_add_f64 v[12:13], v[30:31], v[40:41]
	v_add_f64 v[30:31], v[32:33], v[36:37]
	v_fma_f64 v[36:37], v[8:9], v[14:15], v[38:39]
	v_fma_f64 v[14:15], v[6:7], v[14:15], -v[16:17]
	ds_load_b128 v[6:9], v1 offset:1552
	s_waitcnt vmcnt(2) lgkmcnt(1)
	v_mul_f64 v[32:33], v[2:3], v[20:21]
	v_mul_f64 v[20:21], v[4:5], v[20:21]
	s_waitcnt vmcnt(1) lgkmcnt(0)
	v_mul_f64 v[16:17], v[6:7], v[24:25]
	v_mul_f64 v[24:25], v[8:9], v[24:25]
	v_add_f64 v[10:11], v[12:13], v[10:11]
	v_add_f64 v[12:13], v[30:31], v[34:35]
	v_fma_f64 v[4:5], v[4:5], v[18:19], v[32:33]
	v_fma_f64 v[1:2], v[2:3], v[18:19], -v[20:21]
	v_fma_f64 v[8:9], v[8:9], v[22:23], v[16:17]
	v_fma_f64 v[6:7], v[6:7], v[22:23], -v[24:25]
	v_add_f64 v[10:11], v[10:11], v[14:15]
	v_add_f64 v[12:13], v[12:13], v[36:37]
	s_delay_alu instid0(VALU_DEP_2) | instskip(NEXT) | instid1(VALU_DEP_2)
	v_add_f64 v[1:2], v[10:11], v[1:2]
	v_add_f64 v[3:4], v[12:13], v[4:5]
	s_delay_alu instid0(VALU_DEP_2) | instskip(NEXT) | instid1(VALU_DEP_2)
	v_add_f64 v[1:2], v[1:2], v[6:7]
	v_add_f64 v[3:4], v[3:4], v[8:9]
	s_waitcnt vmcnt(0)
	s_delay_alu instid0(VALU_DEP_2) | instskip(NEXT) | instid1(VALU_DEP_2)
	v_add_f64 v[1:2], v[26:27], -v[1:2]
	v_add_f64 v[3:4], v[28:29], -v[3:4]
	scratch_store_b128 off, v[1:4], off offset:192
	v_cmpx_lt_u32_e32 11, v140
	s_cbranch_execz .LBB48_285
; %bb.284:
	scratch_load_b128 v[1:4], v178, off
	v_mov_b32_e32 v5, 0
	s_delay_alu instid0(VALU_DEP_1)
	v_mov_b32_e32 v6, v5
	v_mov_b32_e32 v7, v5
	;; [unrolled: 1-line block ×3, first 2 shown]
	scratch_store_b128 off, v[5:8], off offset:176
	s_waitcnt vmcnt(0)
	ds_store_b128 v189, v[1:4]
.LBB48_285:
	s_or_b32 exec_lo, exec_lo, s2
	s_waitcnt lgkmcnt(0)
	s_waitcnt_vscnt null, 0x0
	s_barrier
	buffer_gl0_inv
	s_clause 0x7
	scratch_load_b128 v[2:5], off, off offset:192
	scratch_load_b128 v[6:9], off, off offset:208
	;; [unrolled: 1-line block ×8, first 2 shown]
	v_mov_b32_e32 v1, 0
	s_clause 0x1
	scratch_load_b128 v[34:37], off, off offset:320
	scratch_load_b128 v[194:197], off, off offset:336
	s_mov_b32 s2, exec_lo
	ds_load_b128 v[38:41], v1 offset:976
	ds_load_b128 v[190:193], v1 offset:992
	s_waitcnt vmcnt(9) lgkmcnt(1)
	v_mul_f64 v[198:199], v[40:41], v[4:5]
	v_mul_f64 v[4:5], v[38:39], v[4:5]
	s_waitcnt vmcnt(8) lgkmcnt(0)
	v_mul_f64 v[200:201], v[190:191], v[8:9]
	v_mul_f64 v[8:9], v[192:193], v[8:9]
	s_delay_alu instid0(VALU_DEP_4) | instskip(NEXT) | instid1(VALU_DEP_4)
	v_fma_f64 v[198:199], v[38:39], v[2:3], -v[198:199]
	v_fma_f64 v[202:203], v[40:41], v[2:3], v[4:5]
	ds_load_b128 v[2:5], v1 offset:1008
	scratch_load_b128 v[38:41], off, off offset:352
	v_fma_f64 v[200:201], v[192:193], v[6:7], v[200:201]
	v_fma_f64 v[206:207], v[190:191], v[6:7], -v[8:9]
	scratch_load_b128 v[190:193], off, off offset:368
	ds_load_b128 v[6:9], v1 offset:1024
	s_waitcnt vmcnt(9) lgkmcnt(1)
	v_mul_f64 v[204:205], v[2:3], v[12:13]
	v_mul_f64 v[12:13], v[4:5], v[12:13]
	s_waitcnt vmcnt(8) lgkmcnt(0)
	v_mul_f64 v[208:209], v[6:7], v[16:17]
	v_mul_f64 v[16:17], v[8:9], v[16:17]
	v_add_f64 v[198:199], v[198:199], 0
	v_add_f64 v[202:203], v[202:203], 0
	v_fma_f64 v[204:205], v[4:5], v[10:11], v[204:205]
	v_fma_f64 v[210:211], v[2:3], v[10:11], -v[12:13]
	ds_load_b128 v[2:5], v1 offset:1040
	scratch_load_b128 v[10:13], off, off offset:384
	v_add_f64 v[198:199], v[198:199], v[206:207]
	v_add_f64 v[200:201], v[202:203], v[200:201]
	v_fma_f64 v[206:207], v[8:9], v[14:15], v[208:209]
	v_fma_f64 v[208:209], v[6:7], v[14:15], -v[16:17]
	scratch_load_b128 v[14:17], off, off offset:400
	ds_load_b128 v[6:9], v1 offset:1056
	s_waitcnt vmcnt(9) lgkmcnt(1)
	v_mul_f64 v[202:203], v[2:3], v[20:21]
	v_mul_f64 v[20:21], v[4:5], v[20:21]
	v_add_f64 v[198:199], v[198:199], v[210:211]
	v_add_f64 v[200:201], v[200:201], v[204:205]
	s_waitcnt vmcnt(8) lgkmcnt(0)
	v_mul_f64 v[204:205], v[6:7], v[24:25]
	v_mul_f64 v[24:25], v[8:9], v[24:25]
	v_fma_f64 v[202:203], v[4:5], v[18:19], v[202:203]
	v_fma_f64 v[210:211], v[2:3], v[18:19], -v[20:21]
	ds_load_b128 v[2:5], v1 offset:1072
	scratch_load_b128 v[18:21], off, off offset:416
	v_add_f64 v[198:199], v[198:199], v[208:209]
	v_add_f64 v[200:201], v[200:201], v[206:207]
	v_fma_f64 v[204:205], v[8:9], v[22:23], v[204:205]
	v_fma_f64 v[208:209], v[6:7], v[22:23], -v[24:25]
	scratch_load_b128 v[22:25], off, off offset:432
	ds_load_b128 v[6:9], v1 offset:1088
	s_waitcnt vmcnt(9) lgkmcnt(1)
	v_mul_f64 v[206:207], v[2:3], v[28:29]
	v_mul_f64 v[28:29], v[4:5], v[28:29]
	v_add_f64 v[198:199], v[198:199], v[210:211]
	v_add_f64 v[200:201], v[200:201], v[202:203]
	s_waitcnt vmcnt(8) lgkmcnt(0)
	v_mul_f64 v[202:203], v[6:7], v[32:33]
	v_mul_f64 v[32:33], v[8:9], v[32:33]
	;; [unrolled: 18-line block ×9, first 2 shown]
	v_fma_f64 v[204:205], v[4:5], v[38:39], v[204:205]
	v_fma_f64 v[210:211], v[2:3], v[38:39], -v[40:41]
	ds_load_b128 v[2:5], v1 offset:1328
	scratch_load_b128 v[38:41], off, off offset:672
	v_add_f64 v[198:199], v[198:199], v[208:209]
	v_add_f64 v[200:201], v[200:201], v[202:203]
	v_fma_f64 v[206:207], v[8:9], v[190:191], v[206:207]
	v_fma_f64 v[208:209], v[6:7], v[190:191], -v[192:193]
	ds_load_b128 v[6:9], v1 offset:1344
	s_waitcnt vmcnt(8) lgkmcnt(1)
	v_mul_f64 v[202:203], v[2:3], v[12:13]
	v_mul_f64 v[12:13], v[4:5], v[12:13]
	scratch_load_b128 v[190:193], off, off offset:688
	v_add_f64 v[198:199], v[198:199], v[210:211]
	v_add_f64 v[200:201], v[200:201], v[204:205]
	s_waitcnt vmcnt(8) lgkmcnt(0)
	v_mul_f64 v[204:205], v[6:7], v[16:17]
	v_mul_f64 v[16:17], v[8:9], v[16:17]
	v_fma_f64 v[202:203], v[4:5], v[10:11], v[202:203]
	v_fma_f64 v[210:211], v[2:3], v[10:11], -v[12:13]
	scratch_load_b128 v[10:13], off, off offset:704
	ds_load_b128 v[2:5], v1 offset:1360
	v_add_f64 v[198:199], v[198:199], v[208:209]
	v_add_f64 v[200:201], v[200:201], v[206:207]
	v_fma_f64 v[204:205], v[8:9], v[14:15], v[204:205]
	v_fma_f64 v[208:209], v[6:7], v[14:15], -v[16:17]
	ds_load_b128 v[6:9], v1 offset:1376
	s_waitcnt vmcnt(8) lgkmcnt(1)
	v_mul_f64 v[206:207], v[2:3], v[20:21]
	v_mul_f64 v[20:21], v[4:5], v[20:21]
	scratch_load_b128 v[14:17], off, off offset:720
	v_add_f64 v[198:199], v[198:199], v[210:211]
	v_add_f64 v[200:201], v[200:201], v[202:203]
	s_waitcnt vmcnt(8) lgkmcnt(0)
	v_mul_f64 v[202:203], v[6:7], v[24:25]
	v_mul_f64 v[24:25], v[8:9], v[24:25]
	v_fma_f64 v[206:207], v[4:5], v[18:19], v[206:207]
	v_fma_f64 v[210:211], v[2:3], v[18:19], -v[20:21]
	scratch_load_b128 v[18:21], off, off offset:736
	ds_load_b128 v[2:5], v1 offset:1392
	;; [unrolled: 18-line block ×3, first 2 shown]
	v_add_f64 v[198:199], v[198:199], v[208:209]
	v_add_f64 v[200:201], v[200:201], v[202:203]
	v_fma_f64 v[206:207], v[8:9], v[30:31], v[206:207]
	v_fma_f64 v[30:31], v[6:7], v[30:31], -v[32:33]
	ds_load_b128 v[6:9], v1 offset:1440
	s_waitcnt vmcnt(8) lgkmcnt(1)
	v_mul_f64 v[202:203], v[2:3], v[36:37]
	v_mul_f64 v[36:37], v[4:5], v[36:37]
	v_add_f64 v[32:33], v[198:199], v[210:211]
	v_add_f64 v[198:199], v[200:201], v[204:205]
	s_waitcnt vmcnt(7) lgkmcnt(0)
	v_mul_f64 v[200:201], v[6:7], v[196:197]
	v_mul_f64 v[196:197], v[8:9], v[196:197]
	v_fma_f64 v[202:203], v[4:5], v[34:35], v[202:203]
	v_fma_f64 v[34:35], v[2:3], v[34:35], -v[36:37]
	ds_load_b128 v[2:5], v1 offset:1456
	v_add_f64 v[30:31], v[32:33], v[30:31]
	v_add_f64 v[32:33], v[198:199], v[206:207]
	v_fma_f64 v[198:199], v[8:9], v[194:195], v[200:201]
	v_fma_f64 v[194:195], v[6:7], v[194:195], -v[196:197]
	ds_load_b128 v[6:9], v1 offset:1472
	s_waitcnt vmcnt(5) lgkmcnt(0)
	v_mul_f64 v[200:201], v[6:7], v[192:193]
	v_mul_f64 v[192:193], v[8:9], v[192:193]
	v_add_f64 v[34:35], v[30:31], v[34:35]
	v_add_f64 v[196:197], v[32:33], v[202:203]
	scratch_load_b128 v[30:33], off, off offset:176
	v_mul_f64 v[36:37], v[2:3], v[40:41]
	v_mul_f64 v[40:41], v[4:5], v[40:41]
	v_add_f64 v[34:35], v[34:35], v[194:195]
	s_delay_alu instid0(VALU_DEP_3) | instskip(NEXT) | instid1(VALU_DEP_3)
	v_fma_f64 v[36:37], v[4:5], v[38:39], v[36:37]
	v_fma_f64 v[38:39], v[2:3], v[38:39], -v[40:41]
	v_add_f64 v[40:41], v[196:197], v[198:199]
	ds_load_b128 v[2:5], v1 offset:1488
	v_fma_f64 v[196:197], v[8:9], v[190:191], v[200:201]
	v_fma_f64 v[190:191], v[6:7], v[190:191], -v[192:193]
	ds_load_b128 v[6:9], v1 offset:1504
	s_waitcnt vmcnt(5) lgkmcnt(1)
	v_mul_f64 v[194:195], v[2:3], v[12:13]
	v_mul_f64 v[12:13], v[4:5], v[12:13]
	v_add_f64 v[34:35], v[34:35], v[38:39]
	v_add_f64 v[36:37], v[40:41], v[36:37]
	s_waitcnt vmcnt(4) lgkmcnt(0)
	v_mul_f64 v[38:39], v[6:7], v[16:17]
	v_mul_f64 v[16:17], v[8:9], v[16:17]
	v_fma_f64 v[40:41], v[4:5], v[10:11], v[194:195]
	v_fma_f64 v[10:11], v[2:3], v[10:11], -v[12:13]
	ds_load_b128 v[2:5], v1 offset:1520
	v_add_f64 v[12:13], v[34:35], v[190:191]
	v_add_f64 v[34:35], v[36:37], v[196:197]
	v_fma_f64 v[38:39], v[8:9], v[14:15], v[38:39]
	v_fma_f64 v[14:15], v[6:7], v[14:15], -v[16:17]
	ds_load_b128 v[6:9], v1 offset:1536
	s_waitcnt vmcnt(3) lgkmcnt(1)
	v_mul_f64 v[36:37], v[2:3], v[20:21]
	v_mul_f64 v[20:21], v[4:5], v[20:21]
	s_waitcnt vmcnt(2) lgkmcnt(0)
	v_mul_f64 v[16:17], v[6:7], v[24:25]
	v_mul_f64 v[24:25], v[8:9], v[24:25]
	v_add_f64 v[10:11], v[12:13], v[10:11]
	v_add_f64 v[12:13], v[34:35], v[40:41]
	v_fma_f64 v[34:35], v[4:5], v[18:19], v[36:37]
	v_fma_f64 v[18:19], v[2:3], v[18:19], -v[20:21]
	ds_load_b128 v[2:5], v1 offset:1552
	v_fma_f64 v[8:9], v[8:9], v[22:23], v[16:17]
	v_fma_f64 v[6:7], v[6:7], v[22:23], -v[24:25]
	s_waitcnt vmcnt(1) lgkmcnt(0)
	v_mul_f64 v[20:21], v[4:5], v[28:29]
	v_add_f64 v[10:11], v[10:11], v[14:15]
	v_add_f64 v[12:13], v[12:13], v[38:39]
	v_mul_f64 v[14:15], v[2:3], v[28:29]
	s_delay_alu instid0(VALU_DEP_4) | instskip(NEXT) | instid1(VALU_DEP_4)
	v_fma_f64 v[2:3], v[2:3], v[26:27], -v[20:21]
	v_add_f64 v[10:11], v[10:11], v[18:19]
	s_delay_alu instid0(VALU_DEP_4) | instskip(NEXT) | instid1(VALU_DEP_4)
	v_add_f64 v[12:13], v[12:13], v[34:35]
	v_fma_f64 v[4:5], v[4:5], v[26:27], v[14:15]
	s_delay_alu instid0(VALU_DEP_3) | instskip(NEXT) | instid1(VALU_DEP_3)
	v_add_f64 v[6:7], v[10:11], v[6:7]
	v_add_f64 v[8:9], v[12:13], v[8:9]
	s_delay_alu instid0(VALU_DEP_2) | instskip(NEXT) | instid1(VALU_DEP_2)
	v_add_f64 v[2:3], v[6:7], v[2:3]
	v_add_f64 v[4:5], v[8:9], v[4:5]
	s_waitcnt vmcnt(0)
	s_delay_alu instid0(VALU_DEP_2) | instskip(NEXT) | instid1(VALU_DEP_2)
	v_add_f64 v[2:3], v[30:31], -v[2:3]
	v_add_f64 v[4:5], v[32:33], -v[4:5]
	scratch_store_b128 off, v[2:5], off offset:176
	v_cmpx_lt_u32_e32 10, v140
	s_cbranch_execz .LBB48_287
; %bb.286:
	scratch_load_b128 v[5:8], v179, off
	v_mov_b32_e32 v2, v1
	v_mov_b32_e32 v3, v1
	;; [unrolled: 1-line block ×3, first 2 shown]
	scratch_store_b128 off, v[1:4], off offset:160
	s_waitcnt vmcnt(0)
	ds_store_b128 v189, v[5:8]
.LBB48_287:
	s_or_b32 exec_lo, exec_lo, s2
	s_waitcnt lgkmcnt(0)
	s_waitcnt_vscnt null, 0x0
	s_barrier
	buffer_gl0_inv
	s_clause 0x7
	scratch_load_b128 v[2:5], off, off offset:176
	scratch_load_b128 v[6:9], off, off offset:192
	scratch_load_b128 v[10:13], off, off offset:208
	scratch_load_b128 v[14:17], off, off offset:224
	scratch_load_b128 v[18:21], off, off offset:240
	scratch_load_b128 v[22:25], off, off offset:256
	scratch_load_b128 v[26:29], off, off offset:272
	scratch_load_b128 v[30:33], off, off offset:288
	ds_load_b128 v[38:41], v1 offset:960
	ds_load_b128 v[190:193], v1 offset:976
	s_clause 0x1
	scratch_load_b128 v[34:37], off, off offset:304
	scratch_load_b128 v[194:197], off, off offset:320
	s_mov_b32 s2, exec_lo
	s_waitcnt vmcnt(9) lgkmcnt(1)
	v_mul_f64 v[198:199], v[40:41], v[4:5]
	v_mul_f64 v[4:5], v[38:39], v[4:5]
	s_waitcnt vmcnt(8) lgkmcnt(0)
	v_mul_f64 v[200:201], v[190:191], v[8:9]
	v_mul_f64 v[8:9], v[192:193], v[8:9]
	s_delay_alu instid0(VALU_DEP_4) | instskip(NEXT) | instid1(VALU_DEP_4)
	v_fma_f64 v[198:199], v[38:39], v[2:3], -v[198:199]
	v_fma_f64 v[202:203], v[40:41], v[2:3], v[4:5]
	ds_load_b128 v[2:5], v1 offset:992
	scratch_load_b128 v[38:41], off, off offset:336
	v_fma_f64 v[200:201], v[192:193], v[6:7], v[200:201]
	v_fma_f64 v[206:207], v[190:191], v[6:7], -v[8:9]
	scratch_load_b128 v[190:193], off, off offset:352
	ds_load_b128 v[6:9], v1 offset:1008
	s_waitcnt vmcnt(9) lgkmcnt(1)
	v_mul_f64 v[204:205], v[2:3], v[12:13]
	v_mul_f64 v[12:13], v[4:5], v[12:13]
	s_waitcnt vmcnt(8) lgkmcnt(0)
	v_mul_f64 v[208:209], v[6:7], v[16:17]
	v_mul_f64 v[16:17], v[8:9], v[16:17]
	v_add_f64 v[198:199], v[198:199], 0
	v_add_f64 v[202:203], v[202:203], 0
	v_fma_f64 v[204:205], v[4:5], v[10:11], v[204:205]
	v_fma_f64 v[210:211], v[2:3], v[10:11], -v[12:13]
	ds_load_b128 v[2:5], v1 offset:1024
	scratch_load_b128 v[10:13], off, off offset:368
	v_add_f64 v[198:199], v[198:199], v[206:207]
	v_add_f64 v[200:201], v[202:203], v[200:201]
	v_fma_f64 v[206:207], v[8:9], v[14:15], v[208:209]
	v_fma_f64 v[208:209], v[6:7], v[14:15], -v[16:17]
	scratch_load_b128 v[14:17], off, off offset:384
	ds_load_b128 v[6:9], v1 offset:1040
	s_waitcnt vmcnt(9) lgkmcnt(1)
	v_mul_f64 v[202:203], v[2:3], v[20:21]
	v_mul_f64 v[20:21], v[4:5], v[20:21]
	v_add_f64 v[198:199], v[198:199], v[210:211]
	v_add_f64 v[200:201], v[200:201], v[204:205]
	s_waitcnt vmcnt(8) lgkmcnt(0)
	v_mul_f64 v[204:205], v[6:7], v[24:25]
	v_mul_f64 v[24:25], v[8:9], v[24:25]
	v_fma_f64 v[202:203], v[4:5], v[18:19], v[202:203]
	v_fma_f64 v[210:211], v[2:3], v[18:19], -v[20:21]
	ds_load_b128 v[2:5], v1 offset:1056
	scratch_load_b128 v[18:21], off, off offset:400
	v_add_f64 v[198:199], v[198:199], v[208:209]
	v_add_f64 v[200:201], v[200:201], v[206:207]
	v_fma_f64 v[204:205], v[8:9], v[22:23], v[204:205]
	v_fma_f64 v[208:209], v[6:7], v[22:23], -v[24:25]
	scratch_load_b128 v[22:25], off, off offset:416
	ds_load_b128 v[6:9], v1 offset:1072
	s_waitcnt vmcnt(9) lgkmcnt(1)
	v_mul_f64 v[206:207], v[2:3], v[28:29]
	v_mul_f64 v[28:29], v[4:5], v[28:29]
	v_add_f64 v[198:199], v[198:199], v[210:211]
	v_add_f64 v[200:201], v[200:201], v[202:203]
	s_waitcnt vmcnt(8) lgkmcnt(0)
	v_mul_f64 v[202:203], v[6:7], v[32:33]
	v_mul_f64 v[32:33], v[8:9], v[32:33]
	;; [unrolled: 18-line block ×9, first 2 shown]
	v_fma_f64 v[204:205], v[4:5], v[38:39], v[204:205]
	v_fma_f64 v[210:211], v[2:3], v[38:39], -v[40:41]
	ds_load_b128 v[2:5], v1 offset:1312
	scratch_load_b128 v[38:41], off, off offset:656
	v_add_f64 v[198:199], v[198:199], v[208:209]
	v_add_f64 v[200:201], v[200:201], v[202:203]
	v_fma_f64 v[206:207], v[8:9], v[190:191], v[206:207]
	v_fma_f64 v[208:209], v[6:7], v[190:191], -v[192:193]
	ds_load_b128 v[6:9], v1 offset:1328
	s_waitcnt vmcnt(8) lgkmcnt(1)
	v_mul_f64 v[202:203], v[2:3], v[12:13]
	v_mul_f64 v[12:13], v[4:5], v[12:13]
	scratch_load_b128 v[190:193], off, off offset:672
	v_add_f64 v[198:199], v[198:199], v[210:211]
	v_add_f64 v[200:201], v[200:201], v[204:205]
	s_waitcnt vmcnt(8) lgkmcnt(0)
	v_mul_f64 v[204:205], v[6:7], v[16:17]
	v_mul_f64 v[16:17], v[8:9], v[16:17]
	v_fma_f64 v[202:203], v[4:5], v[10:11], v[202:203]
	v_fma_f64 v[210:211], v[2:3], v[10:11], -v[12:13]
	ds_load_b128 v[2:5], v1 offset:1344
	scratch_load_b128 v[10:13], off, off offset:688
	v_add_f64 v[198:199], v[198:199], v[208:209]
	v_add_f64 v[200:201], v[200:201], v[206:207]
	v_fma_f64 v[204:205], v[8:9], v[14:15], v[204:205]
	v_fma_f64 v[208:209], v[6:7], v[14:15], -v[16:17]
	ds_load_b128 v[6:9], v1 offset:1360
	s_waitcnt vmcnt(8) lgkmcnt(1)
	v_mul_f64 v[206:207], v[2:3], v[20:21]
	v_mul_f64 v[20:21], v[4:5], v[20:21]
	scratch_load_b128 v[14:17], off, off offset:704
	v_add_f64 v[198:199], v[198:199], v[210:211]
	v_add_f64 v[200:201], v[200:201], v[202:203]
	s_waitcnt vmcnt(8) lgkmcnt(0)
	v_mul_f64 v[202:203], v[6:7], v[24:25]
	v_mul_f64 v[24:25], v[8:9], v[24:25]
	v_fma_f64 v[206:207], v[4:5], v[18:19], v[206:207]
	v_fma_f64 v[210:211], v[2:3], v[18:19], -v[20:21]
	scratch_load_b128 v[18:21], off, off offset:720
	ds_load_b128 v[2:5], v1 offset:1376
	v_add_f64 v[198:199], v[198:199], v[208:209]
	v_add_f64 v[200:201], v[200:201], v[204:205]
	v_fma_f64 v[202:203], v[8:9], v[22:23], v[202:203]
	v_fma_f64 v[208:209], v[6:7], v[22:23], -v[24:25]
	ds_load_b128 v[6:9], v1 offset:1392
	s_waitcnt vmcnt(8) lgkmcnt(1)
	v_mul_f64 v[204:205], v[2:3], v[28:29]
	v_mul_f64 v[28:29], v[4:5], v[28:29]
	scratch_load_b128 v[22:25], off, off offset:736
	v_add_f64 v[198:199], v[198:199], v[210:211]
	v_add_f64 v[200:201], v[200:201], v[206:207]
	s_waitcnt vmcnt(8) lgkmcnt(0)
	v_mul_f64 v[206:207], v[6:7], v[32:33]
	v_mul_f64 v[32:33], v[8:9], v[32:33]
	v_fma_f64 v[204:205], v[4:5], v[26:27], v[204:205]
	v_fma_f64 v[210:211], v[2:3], v[26:27], -v[28:29]
	scratch_load_b128 v[26:29], off, off offset:752
	ds_load_b128 v[2:5], v1 offset:1408
	v_add_f64 v[198:199], v[198:199], v[208:209]
	v_add_f64 v[200:201], v[200:201], v[202:203]
	v_fma_f64 v[206:207], v[8:9], v[30:31], v[206:207]
	v_fma_f64 v[208:209], v[6:7], v[30:31], -v[32:33]
	ds_load_b128 v[6:9], v1 offset:1424
	s_waitcnt vmcnt(8) lgkmcnt(1)
	v_mul_f64 v[202:203], v[2:3], v[36:37]
	v_mul_f64 v[36:37], v[4:5], v[36:37]
	scratch_load_b128 v[30:33], off, off offset:768
	v_add_f64 v[198:199], v[198:199], v[210:211]
	v_add_f64 v[200:201], v[200:201], v[204:205]
	s_waitcnt vmcnt(8) lgkmcnt(0)
	v_mul_f64 v[204:205], v[6:7], v[196:197]
	v_mul_f64 v[196:197], v[8:9], v[196:197]
	v_fma_f64 v[202:203], v[4:5], v[34:35], v[202:203]
	v_fma_f64 v[34:35], v[2:3], v[34:35], -v[36:37]
	ds_load_b128 v[2:5], v1 offset:1440
	v_add_f64 v[36:37], v[198:199], v[208:209]
	v_add_f64 v[198:199], v[200:201], v[206:207]
	v_fma_f64 v[204:205], v[8:9], v[194:195], v[204:205]
	v_fma_f64 v[194:195], v[6:7], v[194:195], -v[196:197]
	ds_load_b128 v[6:9], v1 offset:1456
	s_waitcnt vmcnt(7) lgkmcnt(1)
	v_mul_f64 v[200:201], v[2:3], v[40:41]
	v_mul_f64 v[40:41], v[4:5], v[40:41]
	v_add_f64 v[34:35], v[36:37], v[34:35]
	v_add_f64 v[36:37], v[198:199], v[202:203]
	s_delay_alu instid0(VALU_DEP_4) | instskip(NEXT) | instid1(VALU_DEP_4)
	v_fma_f64 v[198:199], v[4:5], v[38:39], v[200:201]
	v_fma_f64 v[38:39], v[2:3], v[38:39], -v[40:41]
	ds_load_b128 v[2:5], v1 offset:1472
	v_add_f64 v[40:41], v[34:35], v[194:195]
	v_add_f64 v[194:195], v[36:37], v[204:205]
	scratch_load_b128 v[34:37], off, off offset:160
	s_waitcnt vmcnt(7) lgkmcnt(1)
	v_mul_f64 v[196:197], v[6:7], v[192:193]
	v_mul_f64 v[192:193], v[8:9], v[192:193]
	v_add_f64 v[38:39], v[40:41], v[38:39]
	v_add_f64 v[40:41], v[194:195], v[198:199]
	s_delay_alu instid0(VALU_DEP_4) | instskip(NEXT) | instid1(VALU_DEP_4)
	v_fma_f64 v[196:197], v[8:9], v[190:191], v[196:197]
	v_fma_f64 v[190:191], v[6:7], v[190:191], -v[192:193]
	ds_load_b128 v[6:9], v1 offset:1488
	s_waitcnt vmcnt(6) lgkmcnt(1)
	v_mul_f64 v[200:201], v[2:3], v[12:13]
	v_mul_f64 v[12:13], v[4:5], v[12:13]
	s_waitcnt vmcnt(5) lgkmcnt(0)
	v_mul_f64 v[192:193], v[6:7], v[16:17]
	v_mul_f64 v[16:17], v[8:9], v[16:17]
	s_delay_alu instid0(VALU_DEP_4) | instskip(NEXT) | instid1(VALU_DEP_4)
	v_fma_f64 v[194:195], v[4:5], v[10:11], v[200:201]
	v_fma_f64 v[10:11], v[2:3], v[10:11], -v[12:13]
	v_add_f64 v[12:13], v[38:39], v[190:191]
	v_add_f64 v[38:39], v[40:41], v[196:197]
	ds_load_b128 v[2:5], v1 offset:1504
	v_fma_f64 v[190:191], v[8:9], v[14:15], v[192:193]
	v_fma_f64 v[14:15], v[6:7], v[14:15], -v[16:17]
	ds_load_b128 v[6:9], v1 offset:1520
	s_waitcnt vmcnt(4) lgkmcnt(1)
	v_mul_f64 v[40:41], v[2:3], v[20:21]
	v_mul_f64 v[20:21], v[4:5], v[20:21]
	v_add_f64 v[10:11], v[12:13], v[10:11]
	v_add_f64 v[12:13], v[38:39], v[194:195]
	s_waitcnt vmcnt(3) lgkmcnt(0)
	v_mul_f64 v[16:17], v[6:7], v[24:25]
	v_mul_f64 v[24:25], v[8:9], v[24:25]
	v_fma_f64 v[38:39], v[4:5], v[18:19], v[40:41]
	v_fma_f64 v[18:19], v[2:3], v[18:19], -v[20:21]
	ds_load_b128 v[2:5], v1 offset:1536
	v_add_f64 v[10:11], v[10:11], v[14:15]
	v_add_f64 v[12:13], v[12:13], v[190:191]
	v_fma_f64 v[16:17], v[8:9], v[22:23], v[16:17]
	v_fma_f64 v[22:23], v[6:7], v[22:23], -v[24:25]
	ds_load_b128 v[6:9], v1 offset:1552
	s_waitcnt vmcnt(2) lgkmcnt(1)
	v_mul_f64 v[14:15], v[2:3], v[28:29]
	v_mul_f64 v[20:21], v[4:5], v[28:29]
	s_waitcnt vmcnt(1) lgkmcnt(0)
	v_mul_f64 v[24:25], v[8:9], v[32:33]
	v_add_f64 v[10:11], v[10:11], v[18:19]
	v_add_f64 v[12:13], v[12:13], v[38:39]
	v_mul_f64 v[18:19], v[6:7], v[32:33]
	v_fma_f64 v[4:5], v[4:5], v[26:27], v[14:15]
	v_fma_f64 v[1:2], v[2:3], v[26:27], -v[20:21]
	v_fma_f64 v[6:7], v[6:7], v[30:31], -v[24:25]
	v_add_f64 v[10:11], v[10:11], v[22:23]
	v_add_f64 v[12:13], v[12:13], v[16:17]
	v_fma_f64 v[8:9], v[8:9], v[30:31], v[18:19]
	s_delay_alu instid0(VALU_DEP_3) | instskip(NEXT) | instid1(VALU_DEP_3)
	v_add_f64 v[1:2], v[10:11], v[1:2]
	v_add_f64 v[3:4], v[12:13], v[4:5]
	s_delay_alu instid0(VALU_DEP_2) | instskip(NEXT) | instid1(VALU_DEP_2)
	v_add_f64 v[1:2], v[1:2], v[6:7]
	v_add_f64 v[3:4], v[3:4], v[8:9]
	s_waitcnt vmcnt(0)
	s_delay_alu instid0(VALU_DEP_2) | instskip(NEXT) | instid1(VALU_DEP_2)
	v_add_f64 v[1:2], v[34:35], -v[1:2]
	v_add_f64 v[3:4], v[36:37], -v[3:4]
	scratch_store_b128 off, v[1:4], off offset:160
	v_cmpx_lt_u32_e32 9, v140
	s_cbranch_execz .LBB48_289
; %bb.288:
	scratch_load_b128 v[1:4], v180, off
	v_mov_b32_e32 v5, 0
	s_delay_alu instid0(VALU_DEP_1)
	v_mov_b32_e32 v6, v5
	v_mov_b32_e32 v7, v5
	;; [unrolled: 1-line block ×3, first 2 shown]
	scratch_store_b128 off, v[5:8], off offset:144
	s_waitcnt vmcnt(0)
	ds_store_b128 v189, v[1:4]
.LBB48_289:
	s_or_b32 exec_lo, exec_lo, s2
	s_waitcnt lgkmcnt(0)
	s_waitcnt_vscnt null, 0x0
	s_barrier
	buffer_gl0_inv
	s_clause 0x7
	scratch_load_b128 v[2:5], off, off offset:160
	scratch_load_b128 v[6:9], off, off offset:176
	;; [unrolled: 1-line block ×8, first 2 shown]
	v_mov_b32_e32 v1, 0
	s_clause 0x1
	scratch_load_b128 v[34:37], off, off offset:288
	scratch_load_b128 v[194:197], off, off offset:304
	s_mov_b32 s2, exec_lo
	ds_load_b128 v[38:41], v1 offset:944
	ds_load_b128 v[190:193], v1 offset:960
	s_waitcnt vmcnt(9) lgkmcnt(1)
	v_mul_f64 v[198:199], v[40:41], v[4:5]
	v_mul_f64 v[4:5], v[38:39], v[4:5]
	s_waitcnt vmcnt(8) lgkmcnt(0)
	v_mul_f64 v[200:201], v[190:191], v[8:9]
	v_mul_f64 v[8:9], v[192:193], v[8:9]
	s_delay_alu instid0(VALU_DEP_4) | instskip(NEXT) | instid1(VALU_DEP_4)
	v_fma_f64 v[198:199], v[38:39], v[2:3], -v[198:199]
	v_fma_f64 v[202:203], v[40:41], v[2:3], v[4:5]
	ds_load_b128 v[2:5], v1 offset:976
	scratch_load_b128 v[38:41], off, off offset:320
	v_fma_f64 v[200:201], v[192:193], v[6:7], v[200:201]
	v_fma_f64 v[206:207], v[190:191], v[6:7], -v[8:9]
	scratch_load_b128 v[190:193], off, off offset:336
	ds_load_b128 v[6:9], v1 offset:992
	s_waitcnt vmcnt(9) lgkmcnt(1)
	v_mul_f64 v[204:205], v[2:3], v[12:13]
	v_mul_f64 v[12:13], v[4:5], v[12:13]
	s_waitcnt vmcnt(8) lgkmcnt(0)
	v_mul_f64 v[208:209], v[6:7], v[16:17]
	v_mul_f64 v[16:17], v[8:9], v[16:17]
	v_add_f64 v[198:199], v[198:199], 0
	v_add_f64 v[202:203], v[202:203], 0
	v_fma_f64 v[204:205], v[4:5], v[10:11], v[204:205]
	v_fma_f64 v[210:211], v[2:3], v[10:11], -v[12:13]
	ds_load_b128 v[2:5], v1 offset:1008
	scratch_load_b128 v[10:13], off, off offset:352
	v_add_f64 v[198:199], v[198:199], v[206:207]
	v_add_f64 v[200:201], v[202:203], v[200:201]
	v_fma_f64 v[206:207], v[8:9], v[14:15], v[208:209]
	v_fma_f64 v[208:209], v[6:7], v[14:15], -v[16:17]
	scratch_load_b128 v[14:17], off, off offset:368
	ds_load_b128 v[6:9], v1 offset:1024
	s_waitcnt vmcnt(9) lgkmcnt(1)
	v_mul_f64 v[202:203], v[2:3], v[20:21]
	v_mul_f64 v[20:21], v[4:5], v[20:21]
	v_add_f64 v[198:199], v[198:199], v[210:211]
	v_add_f64 v[200:201], v[200:201], v[204:205]
	s_waitcnt vmcnt(8) lgkmcnt(0)
	v_mul_f64 v[204:205], v[6:7], v[24:25]
	v_mul_f64 v[24:25], v[8:9], v[24:25]
	v_fma_f64 v[202:203], v[4:5], v[18:19], v[202:203]
	v_fma_f64 v[210:211], v[2:3], v[18:19], -v[20:21]
	ds_load_b128 v[2:5], v1 offset:1040
	scratch_load_b128 v[18:21], off, off offset:384
	v_add_f64 v[198:199], v[198:199], v[208:209]
	v_add_f64 v[200:201], v[200:201], v[206:207]
	v_fma_f64 v[204:205], v[8:9], v[22:23], v[204:205]
	v_fma_f64 v[208:209], v[6:7], v[22:23], -v[24:25]
	scratch_load_b128 v[22:25], off, off offset:400
	ds_load_b128 v[6:9], v1 offset:1056
	s_waitcnt vmcnt(9) lgkmcnt(1)
	v_mul_f64 v[206:207], v[2:3], v[28:29]
	v_mul_f64 v[28:29], v[4:5], v[28:29]
	v_add_f64 v[198:199], v[198:199], v[210:211]
	v_add_f64 v[200:201], v[200:201], v[202:203]
	s_waitcnt vmcnt(8) lgkmcnt(0)
	v_mul_f64 v[202:203], v[6:7], v[32:33]
	v_mul_f64 v[32:33], v[8:9], v[32:33]
	;; [unrolled: 18-line block ×10, first 2 shown]
	v_fma_f64 v[202:203], v[4:5], v[10:11], v[202:203]
	v_fma_f64 v[210:211], v[2:3], v[10:11], -v[12:13]
	ds_load_b128 v[2:5], v1 offset:1328
	scratch_load_b128 v[10:13], off, off offset:672
	v_add_f64 v[198:199], v[198:199], v[208:209]
	v_add_f64 v[200:201], v[200:201], v[206:207]
	v_fma_f64 v[204:205], v[8:9], v[14:15], v[204:205]
	v_fma_f64 v[208:209], v[6:7], v[14:15], -v[16:17]
	ds_load_b128 v[6:9], v1 offset:1344
	s_waitcnt vmcnt(8) lgkmcnt(1)
	v_mul_f64 v[206:207], v[2:3], v[20:21]
	v_mul_f64 v[20:21], v[4:5], v[20:21]
	scratch_load_b128 v[14:17], off, off offset:688
	v_add_f64 v[198:199], v[198:199], v[210:211]
	v_add_f64 v[200:201], v[200:201], v[202:203]
	s_waitcnt vmcnt(8) lgkmcnt(0)
	v_mul_f64 v[202:203], v[6:7], v[24:25]
	v_mul_f64 v[24:25], v[8:9], v[24:25]
	v_fma_f64 v[206:207], v[4:5], v[18:19], v[206:207]
	v_fma_f64 v[210:211], v[2:3], v[18:19], -v[20:21]
	scratch_load_b128 v[18:21], off, off offset:704
	ds_load_b128 v[2:5], v1 offset:1360
	v_add_f64 v[198:199], v[198:199], v[208:209]
	v_add_f64 v[200:201], v[200:201], v[204:205]
	v_fma_f64 v[202:203], v[8:9], v[22:23], v[202:203]
	v_fma_f64 v[208:209], v[6:7], v[22:23], -v[24:25]
	ds_load_b128 v[6:9], v1 offset:1376
	s_waitcnt vmcnt(8) lgkmcnt(1)
	v_mul_f64 v[204:205], v[2:3], v[28:29]
	v_mul_f64 v[28:29], v[4:5], v[28:29]
	scratch_load_b128 v[22:25], off, off offset:720
	v_add_f64 v[198:199], v[198:199], v[210:211]
	v_add_f64 v[200:201], v[200:201], v[206:207]
	s_waitcnt vmcnt(8) lgkmcnt(0)
	v_mul_f64 v[206:207], v[6:7], v[32:33]
	v_mul_f64 v[32:33], v[8:9], v[32:33]
	v_fma_f64 v[204:205], v[4:5], v[26:27], v[204:205]
	v_fma_f64 v[210:211], v[2:3], v[26:27], -v[28:29]
	scratch_load_b128 v[26:29], off, off offset:736
	ds_load_b128 v[2:5], v1 offset:1392
	;; [unrolled: 18-line block ×3, first 2 shown]
	v_add_f64 v[198:199], v[198:199], v[208:209]
	v_add_f64 v[200:201], v[200:201], v[206:207]
	v_fma_f64 v[204:205], v[8:9], v[194:195], v[204:205]
	v_fma_f64 v[194:195], v[6:7], v[194:195], -v[196:197]
	ds_load_b128 v[6:9], v1 offset:1440
	s_waitcnt vmcnt(8) lgkmcnt(1)
	v_mul_f64 v[206:207], v[2:3], v[40:41]
	v_mul_f64 v[40:41], v[4:5], v[40:41]
	v_add_f64 v[196:197], v[198:199], v[210:211]
	v_add_f64 v[198:199], v[200:201], v[202:203]
	s_waitcnt vmcnt(7) lgkmcnt(0)
	v_mul_f64 v[200:201], v[6:7], v[192:193]
	v_mul_f64 v[192:193], v[8:9], v[192:193]
	v_fma_f64 v[202:203], v[4:5], v[38:39], v[206:207]
	v_fma_f64 v[38:39], v[2:3], v[38:39], -v[40:41]
	ds_load_b128 v[2:5], v1 offset:1456
	v_add_f64 v[40:41], v[196:197], v[194:195]
	v_add_f64 v[194:195], v[198:199], v[204:205]
	v_fma_f64 v[198:199], v[8:9], v[190:191], v[200:201]
	v_fma_f64 v[190:191], v[6:7], v[190:191], -v[192:193]
	ds_load_b128 v[6:9], v1 offset:1472
	s_waitcnt vmcnt(5) lgkmcnt(0)
	v_mul_f64 v[200:201], v[6:7], v[16:17]
	v_mul_f64 v[16:17], v[8:9], v[16:17]
	v_add_f64 v[192:193], v[40:41], v[38:39]
	v_add_f64 v[194:195], v[194:195], v[202:203]
	scratch_load_b128 v[38:41], off, off offset:144
	v_mul_f64 v[196:197], v[2:3], v[12:13]
	v_mul_f64 v[12:13], v[4:5], v[12:13]
	s_delay_alu instid0(VALU_DEP_2) | instskip(NEXT) | instid1(VALU_DEP_2)
	v_fma_f64 v[196:197], v[4:5], v[10:11], v[196:197]
	v_fma_f64 v[10:11], v[2:3], v[10:11], -v[12:13]
	v_add_f64 v[12:13], v[192:193], v[190:191]
	v_add_f64 v[190:191], v[194:195], v[198:199]
	ds_load_b128 v[2:5], v1 offset:1488
	v_fma_f64 v[194:195], v[8:9], v[14:15], v[200:201]
	v_fma_f64 v[14:15], v[6:7], v[14:15], -v[16:17]
	ds_load_b128 v[6:9], v1 offset:1504
	s_waitcnt vmcnt(5) lgkmcnt(1)
	v_mul_f64 v[192:193], v[2:3], v[20:21]
	v_mul_f64 v[20:21], v[4:5], v[20:21]
	s_waitcnt vmcnt(4) lgkmcnt(0)
	v_mul_f64 v[16:17], v[6:7], v[24:25]
	v_mul_f64 v[24:25], v[8:9], v[24:25]
	v_add_f64 v[10:11], v[12:13], v[10:11]
	v_add_f64 v[12:13], v[190:191], v[196:197]
	v_fma_f64 v[190:191], v[4:5], v[18:19], v[192:193]
	v_fma_f64 v[18:19], v[2:3], v[18:19], -v[20:21]
	ds_load_b128 v[2:5], v1 offset:1520
	v_fma_f64 v[16:17], v[8:9], v[22:23], v[16:17]
	v_fma_f64 v[22:23], v[6:7], v[22:23], -v[24:25]
	ds_load_b128 v[6:9], v1 offset:1536
	v_add_f64 v[10:11], v[10:11], v[14:15]
	v_add_f64 v[12:13], v[12:13], v[194:195]
	s_waitcnt vmcnt(3) lgkmcnt(1)
	v_mul_f64 v[14:15], v[2:3], v[28:29]
	v_mul_f64 v[20:21], v[4:5], v[28:29]
	s_waitcnt vmcnt(2) lgkmcnt(0)
	v_mul_f64 v[24:25], v[8:9], v[32:33]
	v_add_f64 v[10:11], v[10:11], v[18:19]
	v_add_f64 v[12:13], v[12:13], v[190:191]
	v_mul_f64 v[18:19], v[6:7], v[32:33]
	v_fma_f64 v[14:15], v[4:5], v[26:27], v[14:15]
	v_fma_f64 v[20:21], v[2:3], v[26:27], -v[20:21]
	ds_load_b128 v[2:5], v1 offset:1552
	v_fma_f64 v[6:7], v[6:7], v[30:31], -v[24:25]
	v_add_f64 v[10:11], v[10:11], v[22:23]
	v_add_f64 v[12:13], v[12:13], v[16:17]
	s_waitcnt vmcnt(1) lgkmcnt(0)
	v_mul_f64 v[16:17], v[2:3], v[36:37]
	v_mul_f64 v[22:23], v[4:5], v[36:37]
	v_fma_f64 v[8:9], v[8:9], v[30:31], v[18:19]
	v_add_f64 v[10:11], v[10:11], v[20:21]
	v_add_f64 v[12:13], v[12:13], v[14:15]
	v_fma_f64 v[4:5], v[4:5], v[34:35], v[16:17]
	v_fma_f64 v[2:3], v[2:3], v[34:35], -v[22:23]
	s_delay_alu instid0(VALU_DEP_4) | instskip(NEXT) | instid1(VALU_DEP_4)
	v_add_f64 v[6:7], v[10:11], v[6:7]
	v_add_f64 v[8:9], v[12:13], v[8:9]
	s_delay_alu instid0(VALU_DEP_2) | instskip(NEXT) | instid1(VALU_DEP_2)
	v_add_f64 v[2:3], v[6:7], v[2:3]
	v_add_f64 v[4:5], v[8:9], v[4:5]
	s_waitcnt vmcnt(0)
	s_delay_alu instid0(VALU_DEP_2) | instskip(NEXT) | instid1(VALU_DEP_2)
	v_add_f64 v[2:3], v[38:39], -v[2:3]
	v_add_f64 v[4:5], v[40:41], -v[4:5]
	scratch_store_b128 off, v[2:5], off offset:144
	v_cmpx_lt_u32_e32 8, v140
	s_cbranch_execz .LBB48_291
; %bb.290:
	scratch_load_b128 v[5:8], v181, off
	v_mov_b32_e32 v2, v1
	v_mov_b32_e32 v3, v1
	;; [unrolled: 1-line block ×3, first 2 shown]
	scratch_store_b128 off, v[1:4], off offset:128
	s_waitcnt vmcnt(0)
	ds_store_b128 v189, v[5:8]
.LBB48_291:
	s_or_b32 exec_lo, exec_lo, s2
	s_waitcnt lgkmcnt(0)
	s_waitcnt_vscnt null, 0x0
	s_barrier
	buffer_gl0_inv
	s_clause 0x7
	scratch_load_b128 v[2:5], off, off offset:144
	scratch_load_b128 v[6:9], off, off offset:160
	;; [unrolled: 1-line block ×8, first 2 shown]
	ds_load_b128 v[38:41], v1 offset:928
	ds_load_b128 v[190:193], v1 offset:944
	s_clause 0x1
	scratch_load_b128 v[34:37], off, off offset:272
	scratch_load_b128 v[194:197], off, off offset:288
	s_mov_b32 s2, exec_lo
	s_waitcnt vmcnt(9) lgkmcnt(1)
	v_mul_f64 v[198:199], v[40:41], v[4:5]
	v_mul_f64 v[4:5], v[38:39], v[4:5]
	s_waitcnt vmcnt(8) lgkmcnt(0)
	v_mul_f64 v[200:201], v[190:191], v[8:9]
	v_mul_f64 v[8:9], v[192:193], v[8:9]
	s_delay_alu instid0(VALU_DEP_4) | instskip(NEXT) | instid1(VALU_DEP_4)
	v_fma_f64 v[198:199], v[38:39], v[2:3], -v[198:199]
	v_fma_f64 v[202:203], v[40:41], v[2:3], v[4:5]
	ds_load_b128 v[2:5], v1 offset:960
	scratch_load_b128 v[38:41], off, off offset:304
	v_fma_f64 v[200:201], v[192:193], v[6:7], v[200:201]
	v_fma_f64 v[206:207], v[190:191], v[6:7], -v[8:9]
	scratch_load_b128 v[190:193], off, off offset:320
	ds_load_b128 v[6:9], v1 offset:976
	s_waitcnt vmcnt(9) lgkmcnt(1)
	v_mul_f64 v[204:205], v[2:3], v[12:13]
	v_mul_f64 v[12:13], v[4:5], v[12:13]
	s_waitcnt vmcnt(8) lgkmcnt(0)
	v_mul_f64 v[208:209], v[6:7], v[16:17]
	v_mul_f64 v[16:17], v[8:9], v[16:17]
	v_add_f64 v[198:199], v[198:199], 0
	v_add_f64 v[202:203], v[202:203], 0
	v_fma_f64 v[204:205], v[4:5], v[10:11], v[204:205]
	v_fma_f64 v[210:211], v[2:3], v[10:11], -v[12:13]
	ds_load_b128 v[2:5], v1 offset:992
	scratch_load_b128 v[10:13], off, off offset:336
	v_add_f64 v[198:199], v[198:199], v[206:207]
	v_add_f64 v[200:201], v[202:203], v[200:201]
	v_fma_f64 v[206:207], v[8:9], v[14:15], v[208:209]
	v_fma_f64 v[208:209], v[6:7], v[14:15], -v[16:17]
	scratch_load_b128 v[14:17], off, off offset:352
	ds_load_b128 v[6:9], v1 offset:1008
	s_waitcnt vmcnt(9) lgkmcnt(1)
	v_mul_f64 v[202:203], v[2:3], v[20:21]
	v_mul_f64 v[20:21], v[4:5], v[20:21]
	v_add_f64 v[198:199], v[198:199], v[210:211]
	v_add_f64 v[200:201], v[200:201], v[204:205]
	s_waitcnt vmcnt(8) lgkmcnt(0)
	v_mul_f64 v[204:205], v[6:7], v[24:25]
	v_mul_f64 v[24:25], v[8:9], v[24:25]
	v_fma_f64 v[202:203], v[4:5], v[18:19], v[202:203]
	v_fma_f64 v[210:211], v[2:3], v[18:19], -v[20:21]
	ds_load_b128 v[2:5], v1 offset:1024
	scratch_load_b128 v[18:21], off, off offset:368
	v_add_f64 v[198:199], v[198:199], v[208:209]
	v_add_f64 v[200:201], v[200:201], v[206:207]
	v_fma_f64 v[204:205], v[8:9], v[22:23], v[204:205]
	v_fma_f64 v[208:209], v[6:7], v[22:23], -v[24:25]
	scratch_load_b128 v[22:25], off, off offset:384
	ds_load_b128 v[6:9], v1 offset:1040
	s_waitcnt vmcnt(9) lgkmcnt(1)
	v_mul_f64 v[206:207], v[2:3], v[28:29]
	v_mul_f64 v[28:29], v[4:5], v[28:29]
	v_add_f64 v[198:199], v[198:199], v[210:211]
	v_add_f64 v[200:201], v[200:201], v[202:203]
	s_waitcnt vmcnt(8) lgkmcnt(0)
	v_mul_f64 v[202:203], v[6:7], v[32:33]
	v_mul_f64 v[32:33], v[8:9], v[32:33]
	;; [unrolled: 18-line block ×5, first 2 shown]
	v_fma_f64 v[206:207], v[4:5], v[10:11], v[206:207]
	v_fma_f64 v[210:211], v[2:3], v[10:11], -v[12:13]
	scratch_load_b128 v[10:13], off, off offset:496
	ds_load_b128 v[2:5], v1 offset:1152
	v_add_f64 v[198:199], v[198:199], v[208:209]
	v_add_f64 v[200:201], v[200:201], v[204:205]
	v_fma_f64 v[202:203], v[8:9], v[14:15], v[202:203]
	v_fma_f64 v[208:209], v[6:7], v[14:15], -v[16:17]
	ds_load_b128 v[6:9], v1 offset:1168
	s_waitcnt vmcnt(8) lgkmcnt(1)
	v_mul_f64 v[204:205], v[2:3], v[20:21]
	v_mul_f64 v[20:21], v[4:5], v[20:21]
	scratch_load_b128 v[14:17], off, off offset:512
	v_add_f64 v[198:199], v[198:199], v[210:211]
	v_add_f64 v[200:201], v[200:201], v[206:207]
	s_waitcnt vmcnt(8) lgkmcnt(0)
	v_mul_f64 v[206:207], v[6:7], v[24:25]
	v_mul_f64 v[24:25], v[8:9], v[24:25]
	v_fma_f64 v[204:205], v[4:5], v[18:19], v[204:205]
	v_fma_f64 v[210:211], v[2:3], v[18:19], -v[20:21]
	ds_load_b128 v[2:5], v1 offset:1184
	scratch_load_b128 v[18:21], off, off offset:528
	v_add_f64 v[198:199], v[198:199], v[208:209]
	v_add_f64 v[200:201], v[200:201], v[202:203]
	v_fma_f64 v[206:207], v[8:9], v[22:23], v[206:207]
	v_fma_f64 v[208:209], v[6:7], v[22:23], -v[24:25]
	scratch_load_b128 v[22:25], off, off offset:544
	ds_load_b128 v[6:9], v1 offset:1200
	s_waitcnt vmcnt(9) lgkmcnt(1)
	v_mul_f64 v[202:203], v[2:3], v[28:29]
	v_mul_f64 v[28:29], v[4:5], v[28:29]
	v_add_f64 v[198:199], v[198:199], v[210:211]
	v_add_f64 v[200:201], v[200:201], v[204:205]
	s_waitcnt vmcnt(8) lgkmcnt(0)
	v_mul_f64 v[204:205], v[6:7], v[32:33]
	v_mul_f64 v[32:33], v[8:9], v[32:33]
	v_fma_f64 v[202:203], v[4:5], v[26:27], v[202:203]
	v_fma_f64 v[210:211], v[2:3], v[26:27], -v[28:29]
	ds_load_b128 v[2:5], v1 offset:1216
	scratch_load_b128 v[26:29], off, off offset:560
	v_add_f64 v[198:199], v[198:199], v[208:209]
	v_add_f64 v[200:201], v[200:201], v[206:207]
	v_fma_f64 v[204:205], v[8:9], v[30:31], v[204:205]
	v_fma_f64 v[208:209], v[6:7], v[30:31], -v[32:33]
	scratch_load_b128 v[30:33], off, off offset:576
	ds_load_b128 v[6:9], v1 offset:1232
	s_waitcnt vmcnt(9) lgkmcnt(1)
	v_mul_f64 v[206:207], v[2:3], v[36:37]
	v_mul_f64 v[36:37], v[4:5], v[36:37]
	v_add_f64 v[198:199], v[198:199], v[210:211]
	v_add_f64 v[200:201], v[200:201], v[202:203]
	s_waitcnt vmcnt(8) lgkmcnt(0)
	v_mul_f64 v[202:203], v[6:7], v[196:197]
	v_mul_f64 v[196:197], v[8:9], v[196:197]
	v_fma_f64 v[206:207], v[4:5], v[34:35], v[206:207]
	v_fma_f64 v[210:211], v[2:3], v[34:35], -v[36:37]
	ds_load_b128 v[2:5], v1 offset:1248
	scratch_load_b128 v[34:37], off, off offset:592
	v_add_f64 v[198:199], v[198:199], v[208:209]
	v_add_f64 v[200:201], v[200:201], v[204:205]
	v_fma_f64 v[202:203], v[8:9], v[194:195], v[202:203]
	v_fma_f64 v[208:209], v[6:7], v[194:195], -v[196:197]
	scratch_load_b128 v[194:197], off, off offset:608
	ds_load_b128 v[6:9], v1 offset:1264
	s_waitcnt vmcnt(9) lgkmcnt(1)
	v_mul_f64 v[204:205], v[2:3], v[40:41]
	v_mul_f64 v[40:41], v[4:5], v[40:41]
	v_add_f64 v[198:199], v[198:199], v[210:211]
	v_add_f64 v[200:201], v[200:201], v[206:207]
	s_waitcnt vmcnt(8) lgkmcnt(0)
	v_mul_f64 v[206:207], v[6:7], v[192:193]
	v_mul_f64 v[192:193], v[8:9], v[192:193]
	v_fma_f64 v[204:205], v[4:5], v[38:39], v[204:205]
	v_fma_f64 v[210:211], v[2:3], v[38:39], -v[40:41]
	ds_load_b128 v[2:5], v1 offset:1280
	scratch_load_b128 v[38:41], off, off offset:624
	v_add_f64 v[198:199], v[198:199], v[208:209]
	v_add_f64 v[200:201], v[200:201], v[202:203]
	v_fma_f64 v[206:207], v[8:9], v[190:191], v[206:207]
	v_fma_f64 v[208:209], v[6:7], v[190:191], -v[192:193]
	ds_load_b128 v[6:9], v1 offset:1296
	s_waitcnt vmcnt(8) lgkmcnt(1)
	v_mul_f64 v[202:203], v[2:3], v[12:13]
	v_mul_f64 v[12:13], v[4:5], v[12:13]
	scratch_load_b128 v[190:193], off, off offset:640
	v_add_f64 v[198:199], v[198:199], v[210:211]
	v_add_f64 v[200:201], v[200:201], v[204:205]
	s_waitcnt vmcnt(8) lgkmcnt(0)
	v_mul_f64 v[204:205], v[6:7], v[16:17]
	v_mul_f64 v[16:17], v[8:9], v[16:17]
	v_fma_f64 v[202:203], v[4:5], v[10:11], v[202:203]
	v_fma_f64 v[210:211], v[2:3], v[10:11], -v[12:13]
	scratch_load_b128 v[10:13], off, off offset:656
	ds_load_b128 v[2:5], v1 offset:1312
	v_add_f64 v[198:199], v[198:199], v[208:209]
	v_add_f64 v[200:201], v[200:201], v[206:207]
	v_fma_f64 v[204:205], v[8:9], v[14:15], v[204:205]
	v_fma_f64 v[208:209], v[6:7], v[14:15], -v[16:17]
	ds_load_b128 v[6:9], v1 offset:1328
	s_waitcnt vmcnt(8) lgkmcnt(1)
	v_mul_f64 v[206:207], v[2:3], v[20:21]
	v_mul_f64 v[20:21], v[4:5], v[20:21]
	scratch_load_b128 v[14:17], off, off offset:672
	v_add_f64 v[198:199], v[198:199], v[210:211]
	v_add_f64 v[200:201], v[200:201], v[202:203]
	s_waitcnt vmcnt(8) lgkmcnt(0)
	v_mul_f64 v[202:203], v[6:7], v[24:25]
	v_mul_f64 v[24:25], v[8:9], v[24:25]
	v_fma_f64 v[206:207], v[4:5], v[18:19], v[206:207]
	v_fma_f64 v[210:211], v[2:3], v[18:19], -v[20:21]
	scratch_load_b128 v[18:21], off, off offset:688
	ds_load_b128 v[2:5], v1 offset:1344
	;; [unrolled: 18-line block ×4, first 2 shown]
	v_add_f64 v[198:199], v[198:199], v[208:209]
	v_add_f64 v[200:201], v[200:201], v[206:207]
	v_fma_f64 v[204:205], v[8:9], v[194:195], v[204:205]
	v_fma_f64 v[208:209], v[6:7], v[194:195], -v[196:197]
	ds_load_b128 v[6:9], v1 offset:1424
	s_waitcnt vmcnt(8) lgkmcnt(1)
	v_mul_f64 v[206:207], v[2:3], v[40:41]
	v_mul_f64 v[40:41], v[4:5], v[40:41]
	scratch_load_b128 v[194:197], off, off offset:768
	v_add_f64 v[198:199], v[198:199], v[210:211]
	v_add_f64 v[200:201], v[200:201], v[202:203]
	v_fma_f64 v[206:207], v[4:5], v[38:39], v[206:207]
	v_fma_f64 v[38:39], v[2:3], v[38:39], -v[40:41]
	ds_load_b128 v[2:5], v1 offset:1440
	v_add_f64 v[40:41], v[198:199], v[208:209]
	v_add_f64 v[198:199], v[200:201], v[204:205]
	s_waitcnt vmcnt(7) lgkmcnt(0)
	v_mul_f64 v[200:201], v[2:3], v[12:13]
	v_mul_f64 v[12:13], v[4:5], v[12:13]
	s_delay_alu instid0(VALU_DEP_4) | instskip(NEXT) | instid1(VALU_DEP_4)
	v_add_f64 v[38:39], v[40:41], v[38:39]
	v_add_f64 v[40:41], v[198:199], v[206:207]
	s_delay_alu instid0(VALU_DEP_4) | instskip(NEXT) | instid1(VALU_DEP_4)
	v_fma_f64 v[198:199], v[4:5], v[10:11], v[200:201]
	v_fma_f64 v[200:201], v[2:3], v[10:11], -v[12:13]
	scratch_load_b128 v[10:13], off, off offset:128
	v_mul_f64 v[202:203], v[6:7], v[192:193]
	v_mul_f64 v[192:193], v[8:9], v[192:193]
	ds_load_b128 v[2:5], v1 offset:1472
	v_fma_f64 v[202:203], v[8:9], v[190:191], v[202:203]
	v_fma_f64 v[190:191], v[6:7], v[190:191], -v[192:193]
	ds_load_b128 v[6:9], v1 offset:1456
	s_waitcnt vmcnt(7) lgkmcnt(0)
	v_mul_f64 v[192:193], v[6:7], v[16:17]
	v_mul_f64 v[16:17], v[8:9], v[16:17]
	v_add_f64 v[40:41], v[40:41], v[202:203]
	v_add_f64 v[38:39], v[38:39], v[190:191]
	s_waitcnt vmcnt(6)
	v_mul_f64 v[190:191], v[2:3], v[20:21]
	v_mul_f64 v[20:21], v[4:5], v[20:21]
	v_fma_f64 v[192:193], v[8:9], v[14:15], v[192:193]
	v_fma_f64 v[14:15], v[6:7], v[14:15], -v[16:17]
	ds_load_b128 v[6:9], v1 offset:1488
	v_add_f64 v[16:17], v[38:39], v[200:201]
	v_add_f64 v[38:39], v[40:41], v[198:199]
	v_fma_f64 v[190:191], v[4:5], v[18:19], v[190:191]
	v_fma_f64 v[18:19], v[2:3], v[18:19], -v[20:21]
	ds_load_b128 v[2:5], v1 offset:1504
	s_waitcnt vmcnt(5) lgkmcnt(1)
	v_mul_f64 v[40:41], v[6:7], v[24:25]
	v_mul_f64 v[24:25], v[8:9], v[24:25]
	s_waitcnt vmcnt(4) lgkmcnt(0)
	v_mul_f64 v[20:21], v[2:3], v[28:29]
	v_mul_f64 v[28:29], v[4:5], v[28:29]
	v_add_f64 v[14:15], v[16:17], v[14:15]
	v_add_f64 v[16:17], v[38:39], v[192:193]
	v_fma_f64 v[38:39], v[8:9], v[22:23], v[40:41]
	v_fma_f64 v[22:23], v[6:7], v[22:23], -v[24:25]
	ds_load_b128 v[6:9], v1 offset:1520
	v_fma_f64 v[20:21], v[4:5], v[26:27], v[20:21]
	v_fma_f64 v[26:27], v[2:3], v[26:27], -v[28:29]
	ds_load_b128 v[2:5], v1 offset:1536
	s_waitcnt vmcnt(3) lgkmcnt(1)
	v_mul_f64 v[24:25], v[8:9], v[32:33]
	v_add_f64 v[14:15], v[14:15], v[18:19]
	v_add_f64 v[16:17], v[16:17], v[190:191]
	v_mul_f64 v[18:19], v[6:7], v[32:33]
	s_waitcnt vmcnt(2) lgkmcnt(0)
	v_mul_f64 v[28:29], v[4:5], v[36:37]
	v_fma_f64 v[24:25], v[6:7], v[30:31], -v[24:25]
	v_add_f64 v[14:15], v[14:15], v[22:23]
	v_add_f64 v[16:17], v[16:17], v[38:39]
	v_mul_f64 v[22:23], v[2:3], v[36:37]
	v_fma_f64 v[18:19], v[8:9], v[30:31], v[18:19]
	ds_load_b128 v[6:9], v1 offset:1552
	v_fma_f64 v[1:2], v[2:3], v[34:35], -v[28:29]
	v_add_f64 v[14:15], v[14:15], v[26:27]
	v_add_f64 v[16:17], v[16:17], v[20:21]
	s_waitcnt vmcnt(1) lgkmcnt(0)
	v_mul_f64 v[20:21], v[6:7], v[196:197]
	v_mul_f64 v[26:27], v[8:9], v[196:197]
	v_fma_f64 v[4:5], v[4:5], v[34:35], v[22:23]
	v_add_f64 v[14:15], v[14:15], v[24:25]
	v_add_f64 v[16:17], v[16:17], v[18:19]
	v_fma_f64 v[8:9], v[8:9], v[194:195], v[20:21]
	v_fma_f64 v[6:7], v[6:7], v[194:195], -v[26:27]
	s_delay_alu instid0(VALU_DEP_4) | instskip(NEXT) | instid1(VALU_DEP_4)
	v_add_f64 v[1:2], v[14:15], v[1:2]
	v_add_f64 v[3:4], v[16:17], v[4:5]
	s_delay_alu instid0(VALU_DEP_2) | instskip(NEXT) | instid1(VALU_DEP_2)
	v_add_f64 v[1:2], v[1:2], v[6:7]
	v_add_f64 v[3:4], v[3:4], v[8:9]
	s_waitcnt vmcnt(0)
	s_delay_alu instid0(VALU_DEP_2) | instskip(NEXT) | instid1(VALU_DEP_2)
	v_add_f64 v[1:2], v[10:11], -v[1:2]
	v_add_f64 v[3:4], v[12:13], -v[3:4]
	scratch_store_b128 off, v[1:4], off offset:128
	v_cmpx_lt_u32_e32 7, v140
	s_cbranch_execz .LBB48_293
; %bb.292:
	scratch_load_b128 v[1:4], v182, off
	v_mov_b32_e32 v5, 0
	s_delay_alu instid0(VALU_DEP_1)
	v_mov_b32_e32 v6, v5
	v_mov_b32_e32 v7, v5
	;; [unrolled: 1-line block ×3, first 2 shown]
	scratch_store_b128 off, v[5:8], off offset:112
	s_waitcnt vmcnt(0)
	ds_store_b128 v189, v[1:4]
.LBB48_293:
	s_or_b32 exec_lo, exec_lo, s2
	s_waitcnt lgkmcnt(0)
	s_waitcnt_vscnt null, 0x0
	s_barrier
	buffer_gl0_inv
	s_clause 0x7
	scratch_load_b128 v[2:5], off, off offset:128
	scratch_load_b128 v[6:9], off, off offset:144
	;; [unrolled: 1-line block ×8, first 2 shown]
	v_mov_b32_e32 v1, 0
	s_clause 0x1
	scratch_load_b128 v[34:37], off, off offset:256
	scratch_load_b128 v[194:197], off, off offset:272
	s_mov_b32 s2, exec_lo
	ds_load_b128 v[38:41], v1 offset:912
	ds_load_b128 v[190:193], v1 offset:928
	s_waitcnt vmcnt(9) lgkmcnt(1)
	v_mul_f64 v[198:199], v[40:41], v[4:5]
	v_mul_f64 v[4:5], v[38:39], v[4:5]
	s_waitcnt vmcnt(8) lgkmcnt(0)
	v_mul_f64 v[200:201], v[190:191], v[8:9]
	v_mul_f64 v[8:9], v[192:193], v[8:9]
	s_delay_alu instid0(VALU_DEP_4) | instskip(NEXT) | instid1(VALU_DEP_4)
	v_fma_f64 v[198:199], v[38:39], v[2:3], -v[198:199]
	v_fma_f64 v[202:203], v[40:41], v[2:3], v[4:5]
	ds_load_b128 v[2:5], v1 offset:944
	scratch_load_b128 v[38:41], off, off offset:288
	v_fma_f64 v[200:201], v[192:193], v[6:7], v[200:201]
	v_fma_f64 v[206:207], v[190:191], v[6:7], -v[8:9]
	scratch_load_b128 v[190:193], off, off offset:304
	ds_load_b128 v[6:9], v1 offset:960
	s_waitcnt vmcnt(9) lgkmcnt(1)
	v_mul_f64 v[204:205], v[2:3], v[12:13]
	v_mul_f64 v[12:13], v[4:5], v[12:13]
	s_waitcnt vmcnt(8) lgkmcnt(0)
	v_mul_f64 v[208:209], v[6:7], v[16:17]
	v_mul_f64 v[16:17], v[8:9], v[16:17]
	v_add_f64 v[198:199], v[198:199], 0
	v_add_f64 v[202:203], v[202:203], 0
	v_fma_f64 v[204:205], v[4:5], v[10:11], v[204:205]
	v_fma_f64 v[210:211], v[2:3], v[10:11], -v[12:13]
	ds_load_b128 v[2:5], v1 offset:976
	scratch_load_b128 v[10:13], off, off offset:320
	v_add_f64 v[198:199], v[198:199], v[206:207]
	v_add_f64 v[200:201], v[202:203], v[200:201]
	v_fma_f64 v[206:207], v[8:9], v[14:15], v[208:209]
	v_fma_f64 v[208:209], v[6:7], v[14:15], -v[16:17]
	scratch_load_b128 v[14:17], off, off offset:336
	ds_load_b128 v[6:9], v1 offset:992
	s_waitcnt vmcnt(9) lgkmcnt(1)
	v_mul_f64 v[202:203], v[2:3], v[20:21]
	v_mul_f64 v[20:21], v[4:5], v[20:21]
	v_add_f64 v[198:199], v[198:199], v[210:211]
	v_add_f64 v[200:201], v[200:201], v[204:205]
	s_waitcnt vmcnt(8) lgkmcnt(0)
	v_mul_f64 v[204:205], v[6:7], v[24:25]
	v_mul_f64 v[24:25], v[8:9], v[24:25]
	v_fma_f64 v[202:203], v[4:5], v[18:19], v[202:203]
	v_fma_f64 v[210:211], v[2:3], v[18:19], -v[20:21]
	ds_load_b128 v[2:5], v1 offset:1008
	scratch_load_b128 v[18:21], off, off offset:352
	v_add_f64 v[198:199], v[198:199], v[208:209]
	v_add_f64 v[200:201], v[200:201], v[206:207]
	v_fma_f64 v[204:205], v[8:9], v[22:23], v[204:205]
	v_fma_f64 v[208:209], v[6:7], v[22:23], -v[24:25]
	scratch_load_b128 v[22:25], off, off offset:368
	ds_load_b128 v[6:9], v1 offset:1024
	s_waitcnt vmcnt(9) lgkmcnt(1)
	v_mul_f64 v[206:207], v[2:3], v[28:29]
	v_mul_f64 v[28:29], v[4:5], v[28:29]
	v_add_f64 v[198:199], v[198:199], v[210:211]
	v_add_f64 v[200:201], v[200:201], v[202:203]
	s_waitcnt vmcnt(8) lgkmcnt(0)
	v_mul_f64 v[202:203], v[6:7], v[32:33]
	v_mul_f64 v[32:33], v[8:9], v[32:33]
	;; [unrolled: 18-line block ×11, first 2 shown]
	v_fma_f64 v[206:207], v[4:5], v[18:19], v[206:207]
	v_fma_f64 v[210:211], v[2:3], v[18:19], -v[20:21]
	ds_load_b128 v[2:5], v1 offset:1328
	scratch_load_b128 v[18:21], off, off offset:672
	v_add_f64 v[198:199], v[198:199], v[208:209]
	v_add_f64 v[200:201], v[200:201], v[204:205]
	v_fma_f64 v[202:203], v[8:9], v[22:23], v[202:203]
	v_fma_f64 v[208:209], v[6:7], v[22:23], -v[24:25]
	ds_load_b128 v[6:9], v1 offset:1344
	s_waitcnt vmcnt(8) lgkmcnt(1)
	v_mul_f64 v[204:205], v[2:3], v[28:29]
	v_mul_f64 v[28:29], v[4:5], v[28:29]
	scratch_load_b128 v[22:25], off, off offset:688
	v_add_f64 v[198:199], v[198:199], v[210:211]
	v_add_f64 v[200:201], v[200:201], v[206:207]
	s_waitcnt vmcnt(8) lgkmcnt(0)
	v_mul_f64 v[206:207], v[6:7], v[32:33]
	v_mul_f64 v[32:33], v[8:9], v[32:33]
	v_fma_f64 v[204:205], v[4:5], v[26:27], v[204:205]
	v_fma_f64 v[210:211], v[2:3], v[26:27], -v[28:29]
	scratch_load_b128 v[26:29], off, off offset:704
	ds_load_b128 v[2:5], v1 offset:1360
	v_add_f64 v[198:199], v[198:199], v[208:209]
	v_add_f64 v[200:201], v[200:201], v[202:203]
	v_fma_f64 v[206:207], v[8:9], v[30:31], v[206:207]
	v_fma_f64 v[208:209], v[6:7], v[30:31], -v[32:33]
	ds_load_b128 v[6:9], v1 offset:1376
	s_waitcnt vmcnt(8) lgkmcnt(1)
	v_mul_f64 v[202:203], v[2:3], v[36:37]
	v_mul_f64 v[36:37], v[4:5], v[36:37]
	scratch_load_b128 v[30:33], off, off offset:720
	v_add_f64 v[198:199], v[198:199], v[210:211]
	v_add_f64 v[200:201], v[200:201], v[204:205]
	s_waitcnt vmcnt(8) lgkmcnt(0)
	v_mul_f64 v[204:205], v[6:7], v[196:197]
	v_mul_f64 v[196:197], v[8:9], v[196:197]
	v_fma_f64 v[202:203], v[4:5], v[34:35], v[202:203]
	v_fma_f64 v[210:211], v[2:3], v[34:35], -v[36:37]
	scratch_load_b128 v[34:37], off, off offset:736
	ds_load_b128 v[2:5], v1 offset:1392
	;; [unrolled: 18-line block ×3, first 2 shown]
	v_add_f64 v[198:199], v[198:199], v[208:209]
	v_add_f64 v[200:201], v[200:201], v[204:205]
	v_fma_f64 v[202:203], v[8:9], v[190:191], v[202:203]
	v_fma_f64 v[190:191], v[6:7], v[190:191], -v[192:193]
	ds_load_b128 v[6:9], v1 offset:1440
	s_waitcnt vmcnt(8) lgkmcnt(1)
	v_mul_f64 v[204:205], v[2:3], v[12:13]
	v_mul_f64 v[12:13], v[4:5], v[12:13]
	v_add_f64 v[192:193], v[198:199], v[210:211]
	v_add_f64 v[198:199], v[200:201], v[206:207]
	s_waitcnt vmcnt(7) lgkmcnt(0)
	v_mul_f64 v[200:201], v[6:7], v[16:17]
	v_mul_f64 v[16:17], v[8:9], v[16:17]
	v_fma_f64 v[204:205], v[4:5], v[10:11], v[204:205]
	v_fma_f64 v[10:11], v[2:3], v[10:11], -v[12:13]
	ds_load_b128 v[2:5], v1 offset:1456
	v_add_f64 v[12:13], v[192:193], v[190:191]
	v_add_f64 v[190:191], v[198:199], v[202:203]
	v_fma_f64 v[198:199], v[8:9], v[14:15], v[200:201]
	v_fma_f64 v[14:15], v[6:7], v[14:15], -v[16:17]
	ds_load_b128 v[6:9], v1 offset:1472
	s_waitcnt vmcnt(5) lgkmcnt(0)
	v_mul_f64 v[200:201], v[6:7], v[24:25]
	v_mul_f64 v[24:25], v[8:9], v[24:25]
	v_add_f64 v[16:17], v[12:13], v[10:11]
	v_add_f64 v[190:191], v[190:191], v[204:205]
	scratch_load_b128 v[10:13], off, off offset:112
	v_mul_f64 v[192:193], v[2:3], v[20:21]
	v_mul_f64 v[20:21], v[4:5], v[20:21]
	v_add_f64 v[14:15], v[16:17], v[14:15]
	v_add_f64 v[16:17], v[190:191], v[198:199]
	v_fma_f64 v[190:191], v[8:9], v[22:23], v[200:201]
	v_fma_f64 v[192:193], v[4:5], v[18:19], v[192:193]
	v_fma_f64 v[18:19], v[2:3], v[18:19], -v[20:21]
	ds_load_b128 v[2:5], v1 offset:1488
	v_fma_f64 v[22:23], v[6:7], v[22:23], -v[24:25]
	ds_load_b128 v[6:9], v1 offset:1504
	s_waitcnt vmcnt(5) lgkmcnt(1)
	v_mul_f64 v[20:21], v[2:3], v[28:29]
	v_mul_f64 v[28:29], v[4:5], v[28:29]
	s_waitcnt vmcnt(4) lgkmcnt(0)
	v_mul_f64 v[24:25], v[8:9], v[32:33]
	v_add_f64 v[16:17], v[16:17], v[192:193]
	v_add_f64 v[14:15], v[14:15], v[18:19]
	v_mul_f64 v[18:19], v[6:7], v[32:33]
	v_fma_f64 v[20:21], v[4:5], v[26:27], v[20:21]
	v_fma_f64 v[26:27], v[2:3], v[26:27], -v[28:29]
	ds_load_b128 v[2:5], v1 offset:1520
	v_fma_f64 v[24:25], v[6:7], v[30:31], -v[24:25]
	v_add_f64 v[16:17], v[16:17], v[190:191]
	v_add_f64 v[14:15], v[14:15], v[22:23]
	v_fma_f64 v[18:19], v[8:9], v[30:31], v[18:19]
	ds_load_b128 v[6:9], v1 offset:1536
	s_waitcnt vmcnt(3) lgkmcnt(1)
	v_mul_f64 v[22:23], v[2:3], v[36:37]
	v_mul_f64 v[28:29], v[4:5], v[36:37]
	v_add_f64 v[16:17], v[16:17], v[20:21]
	v_add_f64 v[14:15], v[14:15], v[26:27]
	s_waitcnt vmcnt(2) lgkmcnt(0)
	v_mul_f64 v[20:21], v[6:7], v[196:197]
	v_mul_f64 v[26:27], v[8:9], v[196:197]
	v_fma_f64 v[22:23], v[4:5], v[34:35], v[22:23]
	v_fma_f64 v[28:29], v[2:3], v[34:35], -v[28:29]
	ds_load_b128 v[2:5], v1 offset:1552
	v_add_f64 v[16:17], v[16:17], v[18:19]
	v_add_f64 v[14:15], v[14:15], v[24:25]
	s_waitcnt vmcnt(1) lgkmcnt(0)
	v_mul_f64 v[18:19], v[2:3], v[40:41]
	v_mul_f64 v[24:25], v[4:5], v[40:41]
	v_fma_f64 v[8:9], v[8:9], v[194:195], v[20:21]
	v_fma_f64 v[6:7], v[6:7], v[194:195], -v[26:27]
	v_add_f64 v[16:17], v[16:17], v[22:23]
	v_add_f64 v[14:15], v[14:15], v[28:29]
	v_fma_f64 v[4:5], v[4:5], v[38:39], v[18:19]
	v_fma_f64 v[2:3], v[2:3], v[38:39], -v[24:25]
	s_delay_alu instid0(VALU_DEP_4) | instskip(NEXT) | instid1(VALU_DEP_4)
	v_add_f64 v[8:9], v[16:17], v[8:9]
	v_add_f64 v[6:7], v[14:15], v[6:7]
	s_delay_alu instid0(VALU_DEP_2) | instskip(NEXT) | instid1(VALU_DEP_2)
	v_add_f64 v[4:5], v[8:9], v[4:5]
	v_add_f64 v[2:3], v[6:7], v[2:3]
	s_waitcnt vmcnt(0)
	s_delay_alu instid0(VALU_DEP_2) | instskip(NEXT) | instid1(VALU_DEP_2)
	v_add_f64 v[4:5], v[12:13], -v[4:5]
	v_add_f64 v[2:3], v[10:11], -v[2:3]
	scratch_store_b128 off, v[2:5], off offset:112
	v_cmpx_lt_u32_e32 6, v140
	s_cbranch_execz .LBB48_295
; %bb.294:
	scratch_load_b128 v[5:8], v183, off
	v_mov_b32_e32 v2, v1
	v_mov_b32_e32 v3, v1
	;; [unrolled: 1-line block ×3, first 2 shown]
	scratch_store_b128 off, v[1:4], off offset:96
	s_waitcnt vmcnt(0)
	ds_store_b128 v189, v[5:8]
.LBB48_295:
	s_or_b32 exec_lo, exec_lo, s2
	s_waitcnt lgkmcnt(0)
	s_waitcnt_vscnt null, 0x0
	s_barrier
	buffer_gl0_inv
	s_clause 0x7
	scratch_load_b128 v[2:5], off, off offset:112
	scratch_load_b128 v[6:9], off, off offset:128
	;; [unrolled: 1-line block ×8, first 2 shown]
	ds_load_b128 v[38:41], v1 offset:896
	ds_load_b128 v[190:193], v1 offset:912
	s_clause 0x1
	scratch_load_b128 v[34:37], off, off offset:240
	scratch_load_b128 v[194:197], off, off offset:256
	s_mov_b32 s2, exec_lo
	s_waitcnt vmcnt(9) lgkmcnt(1)
	v_mul_f64 v[198:199], v[40:41], v[4:5]
	v_mul_f64 v[4:5], v[38:39], v[4:5]
	s_waitcnt vmcnt(8) lgkmcnt(0)
	v_mul_f64 v[200:201], v[190:191], v[8:9]
	v_mul_f64 v[8:9], v[192:193], v[8:9]
	s_delay_alu instid0(VALU_DEP_4) | instskip(NEXT) | instid1(VALU_DEP_4)
	v_fma_f64 v[198:199], v[38:39], v[2:3], -v[198:199]
	v_fma_f64 v[202:203], v[40:41], v[2:3], v[4:5]
	ds_load_b128 v[2:5], v1 offset:928
	scratch_load_b128 v[38:41], off, off offset:272
	v_fma_f64 v[200:201], v[192:193], v[6:7], v[200:201]
	v_fma_f64 v[206:207], v[190:191], v[6:7], -v[8:9]
	scratch_load_b128 v[190:193], off, off offset:288
	ds_load_b128 v[6:9], v1 offset:944
	s_waitcnt vmcnt(9) lgkmcnt(1)
	v_mul_f64 v[204:205], v[2:3], v[12:13]
	v_mul_f64 v[12:13], v[4:5], v[12:13]
	s_waitcnt vmcnt(8) lgkmcnt(0)
	v_mul_f64 v[208:209], v[6:7], v[16:17]
	v_mul_f64 v[16:17], v[8:9], v[16:17]
	v_add_f64 v[198:199], v[198:199], 0
	v_add_f64 v[202:203], v[202:203], 0
	v_fma_f64 v[204:205], v[4:5], v[10:11], v[204:205]
	v_fma_f64 v[210:211], v[2:3], v[10:11], -v[12:13]
	ds_load_b128 v[2:5], v1 offset:960
	scratch_load_b128 v[10:13], off, off offset:304
	v_add_f64 v[198:199], v[198:199], v[206:207]
	v_add_f64 v[200:201], v[202:203], v[200:201]
	v_fma_f64 v[206:207], v[8:9], v[14:15], v[208:209]
	v_fma_f64 v[208:209], v[6:7], v[14:15], -v[16:17]
	scratch_load_b128 v[14:17], off, off offset:320
	ds_load_b128 v[6:9], v1 offset:976
	s_waitcnt vmcnt(9) lgkmcnt(1)
	v_mul_f64 v[202:203], v[2:3], v[20:21]
	v_mul_f64 v[20:21], v[4:5], v[20:21]
	v_add_f64 v[198:199], v[198:199], v[210:211]
	v_add_f64 v[200:201], v[200:201], v[204:205]
	s_waitcnt vmcnt(8) lgkmcnt(0)
	v_mul_f64 v[204:205], v[6:7], v[24:25]
	v_mul_f64 v[24:25], v[8:9], v[24:25]
	v_fma_f64 v[202:203], v[4:5], v[18:19], v[202:203]
	v_fma_f64 v[210:211], v[2:3], v[18:19], -v[20:21]
	ds_load_b128 v[2:5], v1 offset:992
	scratch_load_b128 v[18:21], off, off offset:336
	v_add_f64 v[198:199], v[198:199], v[208:209]
	v_add_f64 v[200:201], v[200:201], v[206:207]
	v_fma_f64 v[204:205], v[8:9], v[22:23], v[204:205]
	v_fma_f64 v[208:209], v[6:7], v[22:23], -v[24:25]
	scratch_load_b128 v[22:25], off, off offset:352
	ds_load_b128 v[6:9], v1 offset:1008
	s_waitcnt vmcnt(9) lgkmcnt(1)
	v_mul_f64 v[206:207], v[2:3], v[28:29]
	v_mul_f64 v[28:29], v[4:5], v[28:29]
	v_add_f64 v[198:199], v[198:199], v[210:211]
	v_add_f64 v[200:201], v[200:201], v[202:203]
	s_waitcnt vmcnt(8) lgkmcnt(0)
	v_mul_f64 v[202:203], v[6:7], v[32:33]
	v_mul_f64 v[32:33], v[8:9], v[32:33]
	;; [unrolled: 18-line block ×11, first 2 shown]
	v_fma_f64 v[206:207], v[4:5], v[18:19], v[206:207]
	v_fma_f64 v[210:211], v[2:3], v[18:19], -v[20:21]
	ds_load_b128 v[2:5], v1 offset:1312
	scratch_load_b128 v[18:21], off, off offset:656
	v_add_f64 v[198:199], v[198:199], v[208:209]
	v_add_f64 v[200:201], v[200:201], v[204:205]
	v_fma_f64 v[202:203], v[8:9], v[22:23], v[202:203]
	v_fma_f64 v[208:209], v[6:7], v[22:23], -v[24:25]
	ds_load_b128 v[6:9], v1 offset:1328
	s_waitcnt vmcnt(8) lgkmcnt(1)
	v_mul_f64 v[204:205], v[2:3], v[28:29]
	v_mul_f64 v[28:29], v[4:5], v[28:29]
	scratch_load_b128 v[22:25], off, off offset:672
	v_add_f64 v[198:199], v[198:199], v[210:211]
	v_add_f64 v[200:201], v[200:201], v[206:207]
	s_waitcnt vmcnt(8) lgkmcnt(0)
	v_mul_f64 v[206:207], v[6:7], v[32:33]
	v_mul_f64 v[32:33], v[8:9], v[32:33]
	v_fma_f64 v[204:205], v[4:5], v[26:27], v[204:205]
	v_fma_f64 v[210:211], v[2:3], v[26:27], -v[28:29]
	ds_load_b128 v[2:5], v1 offset:1344
	scratch_load_b128 v[26:29], off, off offset:688
	v_add_f64 v[198:199], v[198:199], v[208:209]
	v_add_f64 v[200:201], v[200:201], v[202:203]
	v_fma_f64 v[206:207], v[8:9], v[30:31], v[206:207]
	v_fma_f64 v[208:209], v[6:7], v[30:31], -v[32:33]
	ds_load_b128 v[6:9], v1 offset:1360
	s_waitcnt vmcnt(8) lgkmcnt(1)
	v_mul_f64 v[202:203], v[2:3], v[36:37]
	v_mul_f64 v[36:37], v[4:5], v[36:37]
	scratch_load_b128 v[30:33], off, off offset:704
	v_add_f64 v[198:199], v[198:199], v[210:211]
	v_add_f64 v[200:201], v[200:201], v[204:205]
	s_waitcnt vmcnt(8) lgkmcnt(0)
	v_mul_f64 v[204:205], v[6:7], v[196:197]
	v_mul_f64 v[196:197], v[8:9], v[196:197]
	v_fma_f64 v[202:203], v[4:5], v[34:35], v[202:203]
	v_fma_f64 v[210:211], v[2:3], v[34:35], -v[36:37]
	scratch_load_b128 v[34:37], off, off offset:720
	ds_load_b128 v[2:5], v1 offset:1376
	v_add_f64 v[198:199], v[198:199], v[208:209]
	v_add_f64 v[200:201], v[200:201], v[206:207]
	v_fma_f64 v[204:205], v[8:9], v[194:195], v[204:205]
	v_fma_f64 v[208:209], v[6:7], v[194:195], -v[196:197]
	ds_load_b128 v[6:9], v1 offset:1392
	s_waitcnt vmcnt(8) lgkmcnt(1)
	v_mul_f64 v[206:207], v[2:3], v[40:41]
	v_mul_f64 v[40:41], v[4:5], v[40:41]
	scratch_load_b128 v[194:197], off, off offset:736
	v_add_f64 v[198:199], v[198:199], v[210:211]
	v_add_f64 v[200:201], v[200:201], v[202:203]
	s_waitcnt vmcnt(8) lgkmcnt(0)
	v_mul_f64 v[202:203], v[6:7], v[192:193]
	v_mul_f64 v[192:193], v[8:9], v[192:193]
	v_fma_f64 v[206:207], v[4:5], v[38:39], v[206:207]
	v_fma_f64 v[210:211], v[2:3], v[38:39], -v[40:41]
	scratch_load_b128 v[38:41], off, off offset:752
	ds_load_b128 v[2:5], v1 offset:1408
	v_add_f64 v[198:199], v[198:199], v[208:209]
	v_add_f64 v[200:201], v[200:201], v[204:205]
	v_fma_f64 v[202:203], v[8:9], v[190:191], v[202:203]
	v_fma_f64 v[208:209], v[6:7], v[190:191], -v[192:193]
	ds_load_b128 v[6:9], v1 offset:1424
	s_waitcnt vmcnt(8) lgkmcnt(1)
	v_mul_f64 v[204:205], v[2:3], v[12:13]
	v_mul_f64 v[12:13], v[4:5], v[12:13]
	scratch_load_b128 v[190:193], off, off offset:768
	v_add_f64 v[198:199], v[198:199], v[210:211]
	v_add_f64 v[200:201], v[200:201], v[206:207]
	s_waitcnt vmcnt(8) lgkmcnt(0)
	v_mul_f64 v[206:207], v[6:7], v[16:17]
	v_mul_f64 v[16:17], v[8:9], v[16:17]
	v_fma_f64 v[204:205], v[4:5], v[10:11], v[204:205]
	v_fma_f64 v[10:11], v[2:3], v[10:11], -v[12:13]
	ds_load_b128 v[2:5], v1 offset:1440
	v_add_f64 v[12:13], v[198:199], v[208:209]
	v_add_f64 v[198:199], v[200:201], v[202:203]
	v_fma_f64 v[202:203], v[8:9], v[14:15], v[206:207]
	v_fma_f64 v[14:15], v[6:7], v[14:15], -v[16:17]
	ds_load_b128 v[6:9], v1 offset:1456
	s_waitcnt vmcnt(7) lgkmcnt(1)
	v_mul_f64 v[200:201], v[2:3], v[20:21]
	v_mul_f64 v[20:21], v[4:5], v[20:21]
	v_add_f64 v[10:11], v[12:13], v[10:11]
	v_add_f64 v[12:13], v[198:199], v[204:205]
	s_delay_alu instid0(VALU_DEP_4) | instskip(NEXT) | instid1(VALU_DEP_4)
	v_fma_f64 v[198:199], v[4:5], v[18:19], v[200:201]
	v_fma_f64 v[18:19], v[2:3], v[18:19], -v[20:21]
	ds_load_b128 v[2:5], v1 offset:1472
	v_add_f64 v[14:15], v[10:11], v[14:15]
	v_add_f64 v[20:21], v[12:13], v[202:203]
	scratch_load_b128 v[10:13], off, off offset:96
	s_waitcnt vmcnt(7) lgkmcnt(1)
	v_mul_f64 v[16:17], v[6:7], v[24:25]
	v_mul_f64 v[24:25], v[8:9], v[24:25]
	v_add_f64 v[14:15], v[14:15], v[18:19]
	v_add_f64 v[18:19], v[20:21], v[198:199]
	s_delay_alu instid0(VALU_DEP_4) | instskip(NEXT) | instid1(VALU_DEP_4)
	v_fma_f64 v[16:17], v[8:9], v[22:23], v[16:17]
	v_fma_f64 v[22:23], v[6:7], v[22:23], -v[24:25]
	ds_load_b128 v[6:9], v1 offset:1488
	s_waitcnt vmcnt(6) lgkmcnt(1)
	v_mul_f64 v[200:201], v[2:3], v[28:29]
	v_mul_f64 v[28:29], v[4:5], v[28:29]
	s_waitcnt vmcnt(5) lgkmcnt(0)
	v_mul_f64 v[20:21], v[6:7], v[32:33]
	v_mul_f64 v[24:25], v[8:9], v[32:33]
	v_add_f64 v[16:17], v[18:19], v[16:17]
	v_add_f64 v[14:15], v[14:15], v[22:23]
	v_fma_f64 v[32:33], v[4:5], v[26:27], v[200:201]
	v_fma_f64 v[26:27], v[2:3], v[26:27], -v[28:29]
	ds_load_b128 v[2:5], v1 offset:1504
	v_fma_f64 v[20:21], v[8:9], v[30:31], v[20:21]
	v_fma_f64 v[24:25], v[6:7], v[30:31], -v[24:25]
	ds_load_b128 v[6:9], v1 offset:1520
	s_waitcnt vmcnt(4) lgkmcnt(1)
	v_mul_f64 v[18:19], v[2:3], v[36:37]
	v_mul_f64 v[22:23], v[4:5], v[36:37]
	v_add_f64 v[16:17], v[16:17], v[32:33]
	v_add_f64 v[14:15], v[14:15], v[26:27]
	s_waitcnt vmcnt(3) lgkmcnt(0)
	v_mul_f64 v[26:27], v[6:7], v[196:197]
	v_mul_f64 v[28:29], v[8:9], v[196:197]
	v_fma_f64 v[18:19], v[4:5], v[34:35], v[18:19]
	v_fma_f64 v[22:23], v[2:3], v[34:35], -v[22:23]
	ds_load_b128 v[2:5], v1 offset:1536
	v_add_f64 v[16:17], v[16:17], v[20:21]
	v_add_f64 v[14:15], v[14:15], v[24:25]
	v_fma_f64 v[26:27], v[8:9], v[194:195], v[26:27]
	v_fma_f64 v[28:29], v[6:7], v[194:195], -v[28:29]
	ds_load_b128 v[6:9], v1 offset:1552
	s_waitcnt vmcnt(2) lgkmcnt(1)
	v_mul_f64 v[20:21], v[2:3], v[40:41]
	v_mul_f64 v[24:25], v[4:5], v[40:41]
	v_add_f64 v[16:17], v[16:17], v[18:19]
	v_add_f64 v[14:15], v[14:15], v[22:23]
	s_waitcnt vmcnt(1) lgkmcnt(0)
	v_mul_f64 v[18:19], v[6:7], v[192:193]
	v_mul_f64 v[22:23], v[8:9], v[192:193]
	v_fma_f64 v[4:5], v[4:5], v[38:39], v[20:21]
	v_fma_f64 v[1:2], v[2:3], v[38:39], -v[24:25]
	v_add_f64 v[16:17], v[16:17], v[26:27]
	v_add_f64 v[14:15], v[14:15], v[28:29]
	v_fma_f64 v[8:9], v[8:9], v[190:191], v[18:19]
	v_fma_f64 v[6:7], v[6:7], v[190:191], -v[22:23]
	s_delay_alu instid0(VALU_DEP_4) | instskip(NEXT) | instid1(VALU_DEP_4)
	v_add_f64 v[3:4], v[16:17], v[4:5]
	v_add_f64 v[1:2], v[14:15], v[1:2]
	s_delay_alu instid0(VALU_DEP_2) | instskip(NEXT) | instid1(VALU_DEP_2)
	v_add_f64 v[3:4], v[3:4], v[8:9]
	v_add_f64 v[1:2], v[1:2], v[6:7]
	s_waitcnt vmcnt(0)
	s_delay_alu instid0(VALU_DEP_2) | instskip(NEXT) | instid1(VALU_DEP_2)
	v_add_f64 v[3:4], v[12:13], -v[3:4]
	v_add_f64 v[1:2], v[10:11], -v[1:2]
	scratch_store_b128 off, v[1:4], off offset:96
	v_cmpx_lt_u32_e32 5, v140
	s_cbranch_execz .LBB48_297
; %bb.296:
	scratch_load_b128 v[1:4], v184, off
	v_mov_b32_e32 v5, 0
	s_delay_alu instid0(VALU_DEP_1)
	v_mov_b32_e32 v6, v5
	v_mov_b32_e32 v7, v5
	;; [unrolled: 1-line block ×3, first 2 shown]
	scratch_store_b128 off, v[5:8], off offset:80
	s_waitcnt vmcnt(0)
	ds_store_b128 v189, v[1:4]
.LBB48_297:
	s_or_b32 exec_lo, exec_lo, s2
	s_waitcnt lgkmcnt(0)
	s_waitcnt_vscnt null, 0x0
	s_barrier
	buffer_gl0_inv
	s_clause 0x7
	scratch_load_b128 v[2:5], off, off offset:96
	scratch_load_b128 v[6:9], off, off offset:112
	;; [unrolled: 1-line block ×8, first 2 shown]
	v_mov_b32_e32 v1, 0
	s_clause 0x1
	scratch_load_b128 v[34:37], off, off offset:224
	scratch_load_b128 v[194:197], off, off offset:240
	s_mov_b32 s2, exec_lo
	ds_load_b128 v[38:41], v1 offset:880
	ds_load_b128 v[190:193], v1 offset:896
	s_waitcnt vmcnt(9) lgkmcnt(1)
	v_mul_f64 v[198:199], v[40:41], v[4:5]
	v_mul_f64 v[4:5], v[38:39], v[4:5]
	s_waitcnt vmcnt(8) lgkmcnt(0)
	v_mul_f64 v[200:201], v[190:191], v[8:9]
	v_mul_f64 v[8:9], v[192:193], v[8:9]
	s_delay_alu instid0(VALU_DEP_4) | instskip(NEXT) | instid1(VALU_DEP_4)
	v_fma_f64 v[198:199], v[38:39], v[2:3], -v[198:199]
	v_fma_f64 v[202:203], v[40:41], v[2:3], v[4:5]
	ds_load_b128 v[2:5], v1 offset:912
	scratch_load_b128 v[38:41], off, off offset:256
	v_fma_f64 v[200:201], v[192:193], v[6:7], v[200:201]
	v_fma_f64 v[206:207], v[190:191], v[6:7], -v[8:9]
	scratch_load_b128 v[190:193], off, off offset:272
	ds_load_b128 v[6:9], v1 offset:928
	s_waitcnt vmcnt(9) lgkmcnt(1)
	v_mul_f64 v[204:205], v[2:3], v[12:13]
	v_mul_f64 v[12:13], v[4:5], v[12:13]
	s_waitcnt vmcnt(8) lgkmcnt(0)
	v_mul_f64 v[208:209], v[6:7], v[16:17]
	v_mul_f64 v[16:17], v[8:9], v[16:17]
	v_add_f64 v[198:199], v[198:199], 0
	v_add_f64 v[202:203], v[202:203], 0
	v_fma_f64 v[204:205], v[4:5], v[10:11], v[204:205]
	v_fma_f64 v[210:211], v[2:3], v[10:11], -v[12:13]
	ds_load_b128 v[2:5], v1 offset:944
	scratch_load_b128 v[10:13], off, off offset:288
	v_add_f64 v[198:199], v[198:199], v[206:207]
	v_add_f64 v[200:201], v[202:203], v[200:201]
	v_fma_f64 v[206:207], v[8:9], v[14:15], v[208:209]
	v_fma_f64 v[208:209], v[6:7], v[14:15], -v[16:17]
	scratch_load_b128 v[14:17], off, off offset:304
	ds_load_b128 v[6:9], v1 offset:960
	s_waitcnt vmcnt(9) lgkmcnt(1)
	v_mul_f64 v[202:203], v[2:3], v[20:21]
	v_mul_f64 v[20:21], v[4:5], v[20:21]
	v_add_f64 v[198:199], v[198:199], v[210:211]
	v_add_f64 v[200:201], v[200:201], v[204:205]
	s_waitcnt vmcnt(8) lgkmcnt(0)
	v_mul_f64 v[204:205], v[6:7], v[24:25]
	v_mul_f64 v[24:25], v[8:9], v[24:25]
	v_fma_f64 v[202:203], v[4:5], v[18:19], v[202:203]
	v_fma_f64 v[210:211], v[2:3], v[18:19], -v[20:21]
	ds_load_b128 v[2:5], v1 offset:976
	scratch_load_b128 v[18:21], off, off offset:320
	v_add_f64 v[198:199], v[198:199], v[208:209]
	v_add_f64 v[200:201], v[200:201], v[206:207]
	v_fma_f64 v[204:205], v[8:9], v[22:23], v[204:205]
	v_fma_f64 v[208:209], v[6:7], v[22:23], -v[24:25]
	scratch_load_b128 v[22:25], off, off offset:336
	ds_load_b128 v[6:9], v1 offset:992
	s_waitcnt vmcnt(9) lgkmcnt(1)
	v_mul_f64 v[206:207], v[2:3], v[28:29]
	v_mul_f64 v[28:29], v[4:5], v[28:29]
	v_add_f64 v[198:199], v[198:199], v[210:211]
	v_add_f64 v[200:201], v[200:201], v[202:203]
	s_waitcnt vmcnt(8) lgkmcnt(0)
	v_mul_f64 v[202:203], v[6:7], v[32:33]
	v_mul_f64 v[32:33], v[8:9], v[32:33]
	;; [unrolled: 18-line block ×12, first 2 shown]
	v_fma_f64 v[204:205], v[4:5], v[26:27], v[204:205]
	v_fma_f64 v[210:211], v[2:3], v[26:27], -v[28:29]
	ds_load_b128 v[2:5], v1 offset:1328
	scratch_load_b128 v[26:29], off, off offset:672
	v_add_f64 v[198:199], v[198:199], v[208:209]
	v_add_f64 v[200:201], v[200:201], v[202:203]
	v_fma_f64 v[206:207], v[8:9], v[30:31], v[206:207]
	v_fma_f64 v[208:209], v[6:7], v[30:31], -v[32:33]
	ds_load_b128 v[6:9], v1 offset:1344
	s_waitcnt vmcnt(8) lgkmcnt(1)
	v_mul_f64 v[202:203], v[2:3], v[36:37]
	v_mul_f64 v[36:37], v[4:5], v[36:37]
	scratch_load_b128 v[30:33], off, off offset:688
	v_add_f64 v[198:199], v[198:199], v[210:211]
	v_add_f64 v[200:201], v[200:201], v[204:205]
	s_waitcnt vmcnt(8) lgkmcnt(0)
	v_mul_f64 v[204:205], v[6:7], v[196:197]
	v_mul_f64 v[196:197], v[8:9], v[196:197]
	v_fma_f64 v[202:203], v[4:5], v[34:35], v[202:203]
	v_fma_f64 v[210:211], v[2:3], v[34:35], -v[36:37]
	scratch_load_b128 v[34:37], off, off offset:704
	ds_load_b128 v[2:5], v1 offset:1360
	v_add_f64 v[198:199], v[198:199], v[208:209]
	v_add_f64 v[200:201], v[200:201], v[206:207]
	v_fma_f64 v[204:205], v[8:9], v[194:195], v[204:205]
	v_fma_f64 v[208:209], v[6:7], v[194:195], -v[196:197]
	ds_load_b128 v[6:9], v1 offset:1376
	s_waitcnt vmcnt(8) lgkmcnt(1)
	v_mul_f64 v[206:207], v[2:3], v[40:41]
	v_mul_f64 v[40:41], v[4:5], v[40:41]
	scratch_load_b128 v[194:197], off, off offset:720
	v_add_f64 v[198:199], v[198:199], v[210:211]
	v_add_f64 v[200:201], v[200:201], v[202:203]
	s_waitcnt vmcnt(8) lgkmcnt(0)
	v_mul_f64 v[202:203], v[6:7], v[192:193]
	v_mul_f64 v[192:193], v[8:9], v[192:193]
	v_fma_f64 v[206:207], v[4:5], v[38:39], v[206:207]
	v_fma_f64 v[210:211], v[2:3], v[38:39], -v[40:41]
	scratch_load_b128 v[38:41], off, off offset:736
	ds_load_b128 v[2:5], v1 offset:1392
	;; [unrolled: 18-line block ×3, first 2 shown]
	v_add_f64 v[198:199], v[198:199], v[208:209]
	v_add_f64 v[200:201], v[200:201], v[202:203]
	v_fma_f64 v[206:207], v[8:9], v[14:15], v[206:207]
	v_fma_f64 v[14:15], v[6:7], v[14:15], -v[16:17]
	ds_load_b128 v[6:9], v1 offset:1440
	s_waitcnt vmcnt(8) lgkmcnt(1)
	v_mul_f64 v[202:203], v[2:3], v[20:21]
	v_mul_f64 v[20:21], v[4:5], v[20:21]
	v_add_f64 v[16:17], v[198:199], v[210:211]
	v_add_f64 v[198:199], v[200:201], v[204:205]
	s_waitcnt vmcnt(7) lgkmcnt(0)
	v_mul_f64 v[200:201], v[6:7], v[24:25]
	v_mul_f64 v[24:25], v[8:9], v[24:25]
	v_fma_f64 v[202:203], v[4:5], v[18:19], v[202:203]
	v_fma_f64 v[18:19], v[2:3], v[18:19], -v[20:21]
	ds_load_b128 v[2:5], v1 offset:1456
	v_add_f64 v[14:15], v[16:17], v[14:15]
	v_add_f64 v[16:17], v[198:199], v[206:207]
	v_fma_f64 v[198:199], v[8:9], v[22:23], v[200:201]
	v_fma_f64 v[22:23], v[6:7], v[22:23], -v[24:25]
	ds_load_b128 v[6:9], v1 offset:1472
	s_waitcnt vmcnt(5) lgkmcnt(0)
	v_mul_f64 v[200:201], v[6:7], v[32:33]
	v_mul_f64 v[32:33], v[8:9], v[32:33]
	v_add_f64 v[18:19], v[14:15], v[18:19]
	v_add_f64 v[24:25], v[16:17], v[202:203]
	scratch_load_b128 v[14:17], off, off offset:80
	v_mul_f64 v[20:21], v[2:3], v[28:29]
	v_mul_f64 v[28:29], v[4:5], v[28:29]
	v_add_f64 v[18:19], v[18:19], v[22:23]
	v_add_f64 v[22:23], v[24:25], v[198:199]
	s_delay_alu instid0(VALU_DEP_4) | instskip(NEXT) | instid1(VALU_DEP_4)
	v_fma_f64 v[20:21], v[4:5], v[26:27], v[20:21]
	v_fma_f64 v[26:27], v[2:3], v[26:27], -v[28:29]
	ds_load_b128 v[2:5], v1 offset:1488
	s_waitcnt vmcnt(5) lgkmcnt(0)
	v_mul_f64 v[24:25], v[2:3], v[36:37]
	v_mul_f64 v[28:29], v[4:5], v[36:37]
	v_fma_f64 v[36:37], v[8:9], v[30:31], v[200:201]
	v_fma_f64 v[30:31], v[6:7], v[30:31], -v[32:33]
	ds_load_b128 v[6:9], v1 offset:1504
	v_add_f64 v[20:21], v[22:23], v[20:21]
	v_add_f64 v[18:19], v[18:19], v[26:27]
	v_fma_f64 v[24:25], v[4:5], v[34:35], v[24:25]
	v_fma_f64 v[28:29], v[2:3], v[34:35], -v[28:29]
	ds_load_b128 v[2:5], v1 offset:1520
	s_waitcnt vmcnt(4) lgkmcnt(1)
	v_mul_f64 v[22:23], v[6:7], v[196:197]
	v_mul_f64 v[26:27], v[8:9], v[196:197]
	v_add_f64 v[20:21], v[20:21], v[36:37]
	v_add_f64 v[18:19], v[18:19], v[30:31]
	s_waitcnt vmcnt(3) lgkmcnt(0)
	v_mul_f64 v[30:31], v[2:3], v[40:41]
	v_mul_f64 v[32:33], v[4:5], v[40:41]
	v_fma_f64 v[22:23], v[8:9], v[194:195], v[22:23]
	v_fma_f64 v[26:27], v[6:7], v[194:195], -v[26:27]
	ds_load_b128 v[6:9], v1 offset:1536
	v_add_f64 v[20:21], v[20:21], v[24:25]
	v_add_f64 v[18:19], v[18:19], v[28:29]
	v_fma_f64 v[30:31], v[4:5], v[38:39], v[30:31]
	v_fma_f64 v[32:33], v[2:3], v[38:39], -v[32:33]
	ds_load_b128 v[2:5], v1 offset:1552
	s_waitcnt vmcnt(2) lgkmcnt(1)
	v_mul_f64 v[24:25], v[6:7], v[192:193]
	v_mul_f64 v[28:29], v[8:9], v[192:193]
	v_add_f64 v[20:21], v[20:21], v[22:23]
	v_add_f64 v[18:19], v[18:19], v[26:27]
	s_waitcnt vmcnt(1) lgkmcnt(0)
	v_mul_f64 v[22:23], v[2:3], v[12:13]
	v_mul_f64 v[12:13], v[4:5], v[12:13]
	v_fma_f64 v[8:9], v[8:9], v[190:191], v[24:25]
	v_fma_f64 v[6:7], v[6:7], v[190:191], -v[28:29]
	v_add_f64 v[20:21], v[20:21], v[30:31]
	v_add_f64 v[18:19], v[18:19], v[32:33]
	v_fma_f64 v[4:5], v[4:5], v[10:11], v[22:23]
	v_fma_f64 v[2:3], v[2:3], v[10:11], -v[12:13]
	s_delay_alu instid0(VALU_DEP_4) | instskip(NEXT) | instid1(VALU_DEP_4)
	v_add_f64 v[8:9], v[20:21], v[8:9]
	v_add_f64 v[6:7], v[18:19], v[6:7]
	s_delay_alu instid0(VALU_DEP_2) | instskip(NEXT) | instid1(VALU_DEP_2)
	v_add_f64 v[4:5], v[8:9], v[4:5]
	v_add_f64 v[2:3], v[6:7], v[2:3]
	s_waitcnt vmcnt(0)
	s_delay_alu instid0(VALU_DEP_2) | instskip(NEXT) | instid1(VALU_DEP_2)
	v_add_f64 v[4:5], v[16:17], -v[4:5]
	v_add_f64 v[2:3], v[14:15], -v[2:3]
	scratch_store_b128 off, v[2:5], off offset:80
	v_cmpx_lt_u32_e32 4, v140
	s_cbranch_execz .LBB48_299
; %bb.298:
	scratch_load_b128 v[5:8], v185, off
	v_mov_b32_e32 v2, v1
	v_mov_b32_e32 v3, v1
	;; [unrolled: 1-line block ×3, first 2 shown]
	scratch_store_b128 off, v[1:4], off offset:64
	s_waitcnt vmcnt(0)
	ds_store_b128 v189, v[5:8]
.LBB48_299:
	s_or_b32 exec_lo, exec_lo, s2
	s_waitcnt lgkmcnt(0)
	s_waitcnt_vscnt null, 0x0
	s_barrier
	buffer_gl0_inv
	s_clause 0x7
	scratch_load_b128 v[2:5], off, off offset:80
	scratch_load_b128 v[6:9], off, off offset:96
	;; [unrolled: 1-line block ×8, first 2 shown]
	ds_load_b128 v[38:41], v1 offset:864
	ds_load_b128 v[190:193], v1 offset:880
	s_clause 0x1
	scratch_load_b128 v[34:37], off, off offset:208
	scratch_load_b128 v[194:197], off, off offset:224
	s_mov_b32 s2, exec_lo
	s_waitcnt vmcnt(9) lgkmcnt(1)
	v_mul_f64 v[198:199], v[40:41], v[4:5]
	v_mul_f64 v[4:5], v[38:39], v[4:5]
	s_waitcnt vmcnt(8) lgkmcnt(0)
	v_mul_f64 v[200:201], v[190:191], v[8:9]
	v_mul_f64 v[8:9], v[192:193], v[8:9]
	s_delay_alu instid0(VALU_DEP_4) | instskip(NEXT) | instid1(VALU_DEP_4)
	v_fma_f64 v[198:199], v[38:39], v[2:3], -v[198:199]
	v_fma_f64 v[202:203], v[40:41], v[2:3], v[4:5]
	ds_load_b128 v[2:5], v1 offset:896
	scratch_load_b128 v[38:41], off, off offset:240
	v_fma_f64 v[200:201], v[192:193], v[6:7], v[200:201]
	v_fma_f64 v[206:207], v[190:191], v[6:7], -v[8:9]
	scratch_load_b128 v[190:193], off, off offset:256
	ds_load_b128 v[6:9], v1 offset:912
	s_waitcnt vmcnt(9) lgkmcnt(1)
	v_mul_f64 v[204:205], v[2:3], v[12:13]
	v_mul_f64 v[12:13], v[4:5], v[12:13]
	s_waitcnt vmcnt(8) lgkmcnt(0)
	v_mul_f64 v[208:209], v[6:7], v[16:17]
	v_mul_f64 v[16:17], v[8:9], v[16:17]
	v_add_f64 v[198:199], v[198:199], 0
	v_add_f64 v[202:203], v[202:203], 0
	v_fma_f64 v[204:205], v[4:5], v[10:11], v[204:205]
	v_fma_f64 v[210:211], v[2:3], v[10:11], -v[12:13]
	ds_load_b128 v[2:5], v1 offset:928
	scratch_load_b128 v[10:13], off, off offset:272
	v_add_f64 v[198:199], v[198:199], v[206:207]
	v_add_f64 v[200:201], v[202:203], v[200:201]
	v_fma_f64 v[206:207], v[8:9], v[14:15], v[208:209]
	v_fma_f64 v[208:209], v[6:7], v[14:15], -v[16:17]
	scratch_load_b128 v[14:17], off, off offset:288
	ds_load_b128 v[6:9], v1 offset:944
	s_waitcnt vmcnt(9) lgkmcnt(1)
	v_mul_f64 v[202:203], v[2:3], v[20:21]
	v_mul_f64 v[20:21], v[4:5], v[20:21]
	v_add_f64 v[198:199], v[198:199], v[210:211]
	v_add_f64 v[200:201], v[200:201], v[204:205]
	s_waitcnt vmcnt(8) lgkmcnt(0)
	v_mul_f64 v[204:205], v[6:7], v[24:25]
	v_mul_f64 v[24:25], v[8:9], v[24:25]
	v_fma_f64 v[202:203], v[4:5], v[18:19], v[202:203]
	v_fma_f64 v[210:211], v[2:3], v[18:19], -v[20:21]
	ds_load_b128 v[2:5], v1 offset:960
	scratch_load_b128 v[18:21], off, off offset:304
	v_add_f64 v[198:199], v[198:199], v[208:209]
	v_add_f64 v[200:201], v[200:201], v[206:207]
	v_fma_f64 v[204:205], v[8:9], v[22:23], v[204:205]
	v_fma_f64 v[208:209], v[6:7], v[22:23], -v[24:25]
	scratch_load_b128 v[22:25], off, off offset:320
	ds_load_b128 v[6:9], v1 offset:976
	s_waitcnt vmcnt(9) lgkmcnt(1)
	v_mul_f64 v[206:207], v[2:3], v[28:29]
	v_mul_f64 v[28:29], v[4:5], v[28:29]
	v_add_f64 v[198:199], v[198:199], v[210:211]
	v_add_f64 v[200:201], v[200:201], v[202:203]
	s_waitcnt vmcnt(8) lgkmcnt(0)
	v_mul_f64 v[202:203], v[6:7], v[32:33]
	v_mul_f64 v[32:33], v[8:9], v[32:33]
	;; [unrolled: 18-line block ×12, first 2 shown]
	v_fma_f64 v[204:205], v[4:5], v[26:27], v[204:205]
	v_fma_f64 v[210:211], v[2:3], v[26:27], -v[28:29]
	ds_load_b128 v[2:5], v1 offset:1312
	scratch_load_b128 v[26:29], off, off offset:656
	v_add_f64 v[198:199], v[198:199], v[208:209]
	v_add_f64 v[200:201], v[200:201], v[202:203]
	v_fma_f64 v[206:207], v[8:9], v[30:31], v[206:207]
	v_fma_f64 v[208:209], v[6:7], v[30:31], -v[32:33]
	ds_load_b128 v[6:9], v1 offset:1328
	s_waitcnt vmcnt(8) lgkmcnt(1)
	v_mul_f64 v[202:203], v[2:3], v[36:37]
	v_mul_f64 v[36:37], v[4:5], v[36:37]
	scratch_load_b128 v[30:33], off, off offset:672
	v_add_f64 v[198:199], v[198:199], v[210:211]
	v_add_f64 v[200:201], v[200:201], v[204:205]
	s_waitcnt vmcnt(8) lgkmcnt(0)
	v_mul_f64 v[204:205], v[6:7], v[196:197]
	v_mul_f64 v[196:197], v[8:9], v[196:197]
	v_fma_f64 v[202:203], v[4:5], v[34:35], v[202:203]
	v_fma_f64 v[210:211], v[2:3], v[34:35], -v[36:37]
	ds_load_b128 v[2:5], v1 offset:1344
	scratch_load_b128 v[34:37], off, off offset:688
	v_add_f64 v[198:199], v[198:199], v[208:209]
	v_add_f64 v[200:201], v[200:201], v[206:207]
	v_fma_f64 v[204:205], v[8:9], v[194:195], v[204:205]
	v_fma_f64 v[208:209], v[6:7], v[194:195], -v[196:197]
	ds_load_b128 v[6:9], v1 offset:1360
	s_waitcnt vmcnt(8) lgkmcnt(1)
	v_mul_f64 v[206:207], v[2:3], v[40:41]
	v_mul_f64 v[40:41], v[4:5], v[40:41]
	scratch_load_b128 v[194:197], off, off offset:704
	v_add_f64 v[198:199], v[198:199], v[210:211]
	v_add_f64 v[200:201], v[200:201], v[202:203]
	s_waitcnt vmcnt(8) lgkmcnt(0)
	v_mul_f64 v[202:203], v[6:7], v[192:193]
	v_mul_f64 v[192:193], v[8:9], v[192:193]
	v_fma_f64 v[206:207], v[4:5], v[38:39], v[206:207]
	v_fma_f64 v[210:211], v[2:3], v[38:39], -v[40:41]
	scratch_load_b128 v[38:41], off, off offset:720
	ds_load_b128 v[2:5], v1 offset:1376
	v_add_f64 v[198:199], v[198:199], v[208:209]
	v_add_f64 v[200:201], v[200:201], v[204:205]
	v_fma_f64 v[202:203], v[8:9], v[190:191], v[202:203]
	v_fma_f64 v[208:209], v[6:7], v[190:191], -v[192:193]
	ds_load_b128 v[6:9], v1 offset:1392
	s_waitcnt vmcnt(8) lgkmcnt(1)
	v_mul_f64 v[204:205], v[2:3], v[12:13]
	v_mul_f64 v[12:13], v[4:5], v[12:13]
	scratch_load_b128 v[190:193], off, off offset:736
	v_add_f64 v[198:199], v[198:199], v[210:211]
	v_add_f64 v[200:201], v[200:201], v[206:207]
	s_waitcnt vmcnt(8) lgkmcnt(0)
	v_mul_f64 v[206:207], v[6:7], v[16:17]
	v_mul_f64 v[16:17], v[8:9], v[16:17]
	v_fma_f64 v[204:205], v[4:5], v[10:11], v[204:205]
	v_fma_f64 v[210:211], v[2:3], v[10:11], -v[12:13]
	scratch_load_b128 v[10:13], off, off offset:752
	ds_load_b128 v[2:5], v1 offset:1408
	v_add_f64 v[198:199], v[198:199], v[208:209]
	v_add_f64 v[200:201], v[200:201], v[202:203]
	v_fma_f64 v[206:207], v[8:9], v[14:15], v[206:207]
	v_fma_f64 v[208:209], v[6:7], v[14:15], -v[16:17]
	ds_load_b128 v[6:9], v1 offset:1424
	s_waitcnt vmcnt(8) lgkmcnt(1)
	v_mul_f64 v[202:203], v[2:3], v[20:21]
	v_mul_f64 v[20:21], v[4:5], v[20:21]
	scratch_load_b128 v[14:17], off, off offset:768
	v_add_f64 v[198:199], v[198:199], v[210:211]
	v_add_f64 v[200:201], v[200:201], v[204:205]
	s_waitcnt vmcnt(8) lgkmcnt(0)
	v_mul_f64 v[204:205], v[6:7], v[24:25]
	v_mul_f64 v[24:25], v[8:9], v[24:25]
	v_fma_f64 v[202:203], v[4:5], v[18:19], v[202:203]
	v_fma_f64 v[18:19], v[2:3], v[18:19], -v[20:21]
	ds_load_b128 v[2:5], v1 offset:1440
	v_add_f64 v[20:21], v[198:199], v[208:209]
	v_add_f64 v[198:199], v[200:201], v[206:207]
	v_fma_f64 v[204:205], v[8:9], v[22:23], v[204:205]
	v_fma_f64 v[22:23], v[6:7], v[22:23], -v[24:25]
	ds_load_b128 v[6:9], v1 offset:1456
	s_waitcnt vmcnt(7) lgkmcnt(1)
	v_mul_f64 v[200:201], v[2:3], v[28:29]
	v_mul_f64 v[28:29], v[4:5], v[28:29]
	v_add_f64 v[18:19], v[20:21], v[18:19]
	v_add_f64 v[20:21], v[198:199], v[202:203]
	s_delay_alu instid0(VALU_DEP_4) | instskip(NEXT) | instid1(VALU_DEP_4)
	v_fma_f64 v[198:199], v[4:5], v[26:27], v[200:201]
	v_fma_f64 v[26:27], v[2:3], v[26:27], -v[28:29]
	ds_load_b128 v[2:5], v1 offset:1472
	v_add_f64 v[22:23], v[18:19], v[22:23]
	v_add_f64 v[28:29], v[20:21], v[204:205]
	scratch_load_b128 v[18:21], off, off offset:64
	s_waitcnt vmcnt(7) lgkmcnt(1)
	v_mul_f64 v[24:25], v[6:7], v[32:33]
	v_mul_f64 v[32:33], v[8:9], v[32:33]
	v_add_f64 v[22:23], v[22:23], v[26:27]
	v_add_f64 v[26:27], v[28:29], v[198:199]
	s_delay_alu instid0(VALU_DEP_4) | instskip(NEXT) | instid1(VALU_DEP_4)
	v_fma_f64 v[24:25], v[8:9], v[30:31], v[24:25]
	v_fma_f64 v[30:31], v[6:7], v[30:31], -v[32:33]
	ds_load_b128 v[6:9], v1 offset:1488
	s_waitcnt vmcnt(6) lgkmcnt(1)
	v_mul_f64 v[200:201], v[2:3], v[36:37]
	v_mul_f64 v[36:37], v[4:5], v[36:37]
	s_waitcnt vmcnt(5) lgkmcnt(0)
	v_mul_f64 v[28:29], v[6:7], v[196:197]
	v_mul_f64 v[32:33], v[8:9], v[196:197]
	v_add_f64 v[24:25], v[26:27], v[24:25]
	v_add_f64 v[22:23], v[22:23], v[30:31]
	v_fma_f64 v[196:197], v[4:5], v[34:35], v[200:201]
	v_fma_f64 v[34:35], v[2:3], v[34:35], -v[36:37]
	ds_load_b128 v[2:5], v1 offset:1504
	v_fma_f64 v[28:29], v[8:9], v[194:195], v[28:29]
	v_fma_f64 v[32:33], v[6:7], v[194:195], -v[32:33]
	ds_load_b128 v[6:9], v1 offset:1520
	s_waitcnt vmcnt(4) lgkmcnt(1)
	v_mul_f64 v[26:27], v[2:3], v[40:41]
	v_mul_f64 v[30:31], v[4:5], v[40:41]
	v_add_f64 v[24:25], v[24:25], v[196:197]
	v_add_f64 v[22:23], v[22:23], v[34:35]
	s_waitcnt vmcnt(3) lgkmcnt(0)
	v_mul_f64 v[34:35], v[6:7], v[192:193]
	v_mul_f64 v[36:37], v[8:9], v[192:193]
	v_fma_f64 v[26:27], v[4:5], v[38:39], v[26:27]
	v_fma_f64 v[30:31], v[2:3], v[38:39], -v[30:31]
	ds_load_b128 v[2:5], v1 offset:1536
	v_add_f64 v[24:25], v[24:25], v[28:29]
	v_add_f64 v[22:23], v[22:23], v[32:33]
	v_fma_f64 v[32:33], v[8:9], v[190:191], v[34:35]
	v_fma_f64 v[34:35], v[6:7], v[190:191], -v[36:37]
	ds_load_b128 v[6:9], v1 offset:1552
	s_waitcnt vmcnt(2) lgkmcnt(1)
	v_mul_f64 v[28:29], v[2:3], v[12:13]
	v_mul_f64 v[12:13], v[4:5], v[12:13]
	v_add_f64 v[24:25], v[24:25], v[26:27]
	v_add_f64 v[22:23], v[22:23], v[30:31]
	s_waitcnt vmcnt(1) lgkmcnt(0)
	v_mul_f64 v[26:27], v[6:7], v[16:17]
	v_mul_f64 v[16:17], v[8:9], v[16:17]
	v_fma_f64 v[4:5], v[4:5], v[10:11], v[28:29]
	v_fma_f64 v[1:2], v[2:3], v[10:11], -v[12:13]
	v_add_f64 v[12:13], v[24:25], v[32:33]
	v_add_f64 v[10:11], v[22:23], v[34:35]
	v_fma_f64 v[8:9], v[8:9], v[14:15], v[26:27]
	v_fma_f64 v[6:7], v[6:7], v[14:15], -v[16:17]
	s_delay_alu instid0(VALU_DEP_4) | instskip(NEXT) | instid1(VALU_DEP_4)
	v_add_f64 v[3:4], v[12:13], v[4:5]
	v_add_f64 v[1:2], v[10:11], v[1:2]
	s_delay_alu instid0(VALU_DEP_2) | instskip(NEXT) | instid1(VALU_DEP_2)
	v_add_f64 v[3:4], v[3:4], v[8:9]
	v_add_f64 v[1:2], v[1:2], v[6:7]
	s_waitcnt vmcnt(0)
	s_delay_alu instid0(VALU_DEP_2) | instskip(NEXT) | instid1(VALU_DEP_2)
	v_add_f64 v[3:4], v[20:21], -v[3:4]
	v_add_f64 v[1:2], v[18:19], -v[1:2]
	scratch_store_b128 off, v[1:4], off offset:64
	v_cmpx_lt_u32_e32 3, v140
	s_cbranch_execz .LBB48_301
; %bb.300:
	scratch_load_b128 v[1:4], v186, off
	v_mov_b32_e32 v5, 0
	s_delay_alu instid0(VALU_DEP_1)
	v_mov_b32_e32 v6, v5
	v_mov_b32_e32 v7, v5
	;; [unrolled: 1-line block ×3, first 2 shown]
	scratch_store_b128 off, v[5:8], off offset:48
	s_waitcnt vmcnt(0)
	ds_store_b128 v189, v[1:4]
.LBB48_301:
	s_or_b32 exec_lo, exec_lo, s2
	s_waitcnt lgkmcnt(0)
	s_waitcnt_vscnt null, 0x0
	s_barrier
	buffer_gl0_inv
	s_clause 0x7
	scratch_load_b128 v[2:5], off, off offset:64
	scratch_load_b128 v[6:9], off, off offset:80
	;; [unrolled: 1-line block ×8, first 2 shown]
	v_mov_b32_e32 v1, 0
	s_clause 0x1
	scratch_load_b128 v[34:37], off, off offset:192
	scratch_load_b128 v[194:197], off, off offset:208
	s_mov_b32 s2, exec_lo
	ds_load_b128 v[38:41], v1 offset:848
	ds_load_b128 v[190:193], v1 offset:864
	s_waitcnt vmcnt(9) lgkmcnt(1)
	v_mul_f64 v[198:199], v[40:41], v[4:5]
	v_mul_f64 v[4:5], v[38:39], v[4:5]
	s_waitcnt vmcnt(8) lgkmcnt(0)
	v_mul_f64 v[200:201], v[190:191], v[8:9]
	v_mul_f64 v[8:9], v[192:193], v[8:9]
	s_delay_alu instid0(VALU_DEP_4) | instskip(NEXT) | instid1(VALU_DEP_4)
	v_fma_f64 v[198:199], v[38:39], v[2:3], -v[198:199]
	v_fma_f64 v[202:203], v[40:41], v[2:3], v[4:5]
	ds_load_b128 v[2:5], v1 offset:880
	scratch_load_b128 v[38:41], off, off offset:224
	v_fma_f64 v[200:201], v[192:193], v[6:7], v[200:201]
	v_fma_f64 v[206:207], v[190:191], v[6:7], -v[8:9]
	scratch_load_b128 v[190:193], off, off offset:240
	ds_load_b128 v[6:9], v1 offset:896
	s_waitcnt vmcnt(9) lgkmcnt(1)
	v_mul_f64 v[204:205], v[2:3], v[12:13]
	v_mul_f64 v[12:13], v[4:5], v[12:13]
	s_waitcnt vmcnt(8) lgkmcnt(0)
	v_mul_f64 v[208:209], v[6:7], v[16:17]
	v_mul_f64 v[16:17], v[8:9], v[16:17]
	v_add_f64 v[198:199], v[198:199], 0
	v_add_f64 v[202:203], v[202:203], 0
	v_fma_f64 v[204:205], v[4:5], v[10:11], v[204:205]
	v_fma_f64 v[210:211], v[2:3], v[10:11], -v[12:13]
	ds_load_b128 v[2:5], v1 offset:912
	scratch_load_b128 v[10:13], off, off offset:256
	v_add_f64 v[198:199], v[198:199], v[206:207]
	v_add_f64 v[200:201], v[202:203], v[200:201]
	v_fma_f64 v[206:207], v[8:9], v[14:15], v[208:209]
	v_fma_f64 v[208:209], v[6:7], v[14:15], -v[16:17]
	scratch_load_b128 v[14:17], off, off offset:272
	ds_load_b128 v[6:9], v1 offset:928
	s_waitcnt vmcnt(9) lgkmcnt(1)
	v_mul_f64 v[202:203], v[2:3], v[20:21]
	v_mul_f64 v[20:21], v[4:5], v[20:21]
	v_add_f64 v[198:199], v[198:199], v[210:211]
	v_add_f64 v[200:201], v[200:201], v[204:205]
	s_waitcnt vmcnt(8) lgkmcnt(0)
	v_mul_f64 v[204:205], v[6:7], v[24:25]
	v_mul_f64 v[24:25], v[8:9], v[24:25]
	v_fma_f64 v[202:203], v[4:5], v[18:19], v[202:203]
	v_fma_f64 v[210:211], v[2:3], v[18:19], -v[20:21]
	ds_load_b128 v[2:5], v1 offset:944
	scratch_load_b128 v[18:21], off, off offset:288
	v_add_f64 v[198:199], v[198:199], v[208:209]
	v_add_f64 v[200:201], v[200:201], v[206:207]
	v_fma_f64 v[204:205], v[8:9], v[22:23], v[204:205]
	v_fma_f64 v[208:209], v[6:7], v[22:23], -v[24:25]
	scratch_load_b128 v[22:25], off, off offset:304
	ds_load_b128 v[6:9], v1 offset:960
	s_waitcnt vmcnt(9) lgkmcnt(1)
	v_mul_f64 v[206:207], v[2:3], v[28:29]
	v_mul_f64 v[28:29], v[4:5], v[28:29]
	v_add_f64 v[198:199], v[198:199], v[210:211]
	v_add_f64 v[200:201], v[200:201], v[202:203]
	s_waitcnt vmcnt(8) lgkmcnt(0)
	v_mul_f64 v[202:203], v[6:7], v[32:33]
	v_mul_f64 v[32:33], v[8:9], v[32:33]
	;; [unrolled: 18-line block ×13, first 2 shown]
	v_fma_f64 v[202:203], v[4:5], v[34:35], v[202:203]
	v_fma_f64 v[210:211], v[2:3], v[34:35], -v[36:37]
	ds_load_b128 v[2:5], v1 offset:1328
	scratch_load_b128 v[34:37], off, off offset:672
	v_add_f64 v[198:199], v[198:199], v[208:209]
	v_add_f64 v[200:201], v[200:201], v[206:207]
	v_fma_f64 v[204:205], v[8:9], v[194:195], v[204:205]
	v_fma_f64 v[208:209], v[6:7], v[194:195], -v[196:197]
	ds_load_b128 v[6:9], v1 offset:1344
	s_waitcnt vmcnt(8) lgkmcnt(1)
	v_mul_f64 v[206:207], v[2:3], v[40:41]
	v_mul_f64 v[40:41], v[4:5], v[40:41]
	scratch_load_b128 v[194:197], off, off offset:688
	v_add_f64 v[198:199], v[198:199], v[210:211]
	v_add_f64 v[200:201], v[200:201], v[202:203]
	s_waitcnt vmcnt(8) lgkmcnt(0)
	v_mul_f64 v[202:203], v[6:7], v[192:193]
	v_mul_f64 v[192:193], v[8:9], v[192:193]
	v_fma_f64 v[206:207], v[4:5], v[38:39], v[206:207]
	v_fma_f64 v[210:211], v[2:3], v[38:39], -v[40:41]
	scratch_load_b128 v[38:41], off, off offset:704
	ds_load_b128 v[2:5], v1 offset:1360
	v_add_f64 v[198:199], v[198:199], v[208:209]
	v_add_f64 v[200:201], v[200:201], v[204:205]
	v_fma_f64 v[202:203], v[8:9], v[190:191], v[202:203]
	v_fma_f64 v[208:209], v[6:7], v[190:191], -v[192:193]
	ds_load_b128 v[6:9], v1 offset:1376
	s_waitcnt vmcnt(8) lgkmcnt(1)
	v_mul_f64 v[204:205], v[2:3], v[12:13]
	v_mul_f64 v[12:13], v[4:5], v[12:13]
	scratch_load_b128 v[190:193], off, off offset:720
	v_add_f64 v[198:199], v[198:199], v[210:211]
	v_add_f64 v[200:201], v[200:201], v[206:207]
	s_waitcnt vmcnt(8) lgkmcnt(0)
	v_mul_f64 v[206:207], v[6:7], v[16:17]
	v_mul_f64 v[16:17], v[8:9], v[16:17]
	v_fma_f64 v[204:205], v[4:5], v[10:11], v[204:205]
	v_fma_f64 v[210:211], v[2:3], v[10:11], -v[12:13]
	scratch_load_b128 v[10:13], off, off offset:736
	ds_load_b128 v[2:5], v1 offset:1392
	;; [unrolled: 18-line block ×3, first 2 shown]
	v_add_f64 v[198:199], v[198:199], v[208:209]
	v_add_f64 v[200:201], v[200:201], v[206:207]
	v_fma_f64 v[204:205], v[8:9], v[22:23], v[204:205]
	v_fma_f64 v[22:23], v[6:7], v[22:23], -v[24:25]
	ds_load_b128 v[6:9], v1 offset:1440
	s_waitcnt vmcnt(8) lgkmcnt(1)
	v_mul_f64 v[206:207], v[2:3], v[28:29]
	v_mul_f64 v[28:29], v[4:5], v[28:29]
	v_add_f64 v[24:25], v[198:199], v[210:211]
	v_add_f64 v[198:199], v[200:201], v[202:203]
	s_waitcnt vmcnt(7) lgkmcnt(0)
	v_mul_f64 v[200:201], v[6:7], v[32:33]
	v_mul_f64 v[32:33], v[8:9], v[32:33]
	v_fma_f64 v[202:203], v[4:5], v[26:27], v[206:207]
	v_fma_f64 v[26:27], v[2:3], v[26:27], -v[28:29]
	ds_load_b128 v[2:5], v1 offset:1456
	v_add_f64 v[22:23], v[24:25], v[22:23]
	v_add_f64 v[24:25], v[198:199], v[204:205]
	v_fma_f64 v[198:199], v[8:9], v[30:31], v[200:201]
	v_fma_f64 v[30:31], v[6:7], v[30:31], -v[32:33]
	ds_load_b128 v[6:9], v1 offset:1472
	s_waitcnt vmcnt(5) lgkmcnt(0)
	v_mul_f64 v[200:201], v[6:7], v[196:197]
	v_mul_f64 v[196:197], v[8:9], v[196:197]
	v_add_f64 v[26:27], v[22:23], v[26:27]
	v_add_f64 v[32:33], v[24:25], v[202:203]
	scratch_load_b128 v[22:25], off, off offset:48
	v_mul_f64 v[28:29], v[2:3], v[36:37]
	v_mul_f64 v[36:37], v[4:5], v[36:37]
	v_add_f64 v[26:27], v[26:27], v[30:31]
	v_add_f64 v[30:31], v[32:33], v[198:199]
	s_delay_alu instid0(VALU_DEP_4) | instskip(NEXT) | instid1(VALU_DEP_4)
	v_fma_f64 v[28:29], v[4:5], v[34:35], v[28:29]
	v_fma_f64 v[34:35], v[2:3], v[34:35], -v[36:37]
	ds_load_b128 v[2:5], v1 offset:1488
	s_waitcnt vmcnt(5) lgkmcnt(0)
	v_mul_f64 v[32:33], v[2:3], v[40:41]
	v_mul_f64 v[36:37], v[4:5], v[40:41]
	v_fma_f64 v[40:41], v[8:9], v[194:195], v[200:201]
	v_fma_f64 v[194:195], v[6:7], v[194:195], -v[196:197]
	ds_load_b128 v[6:9], v1 offset:1504
	v_add_f64 v[28:29], v[30:31], v[28:29]
	v_add_f64 v[26:27], v[26:27], v[34:35]
	v_fma_f64 v[32:33], v[4:5], v[38:39], v[32:33]
	v_fma_f64 v[36:37], v[2:3], v[38:39], -v[36:37]
	ds_load_b128 v[2:5], v1 offset:1520
	s_waitcnt vmcnt(4) lgkmcnt(1)
	v_mul_f64 v[30:31], v[6:7], v[192:193]
	v_mul_f64 v[34:35], v[8:9], v[192:193]
	v_add_f64 v[28:29], v[28:29], v[40:41]
	v_add_f64 v[26:27], v[26:27], v[194:195]
	s_waitcnt vmcnt(3) lgkmcnt(0)
	v_mul_f64 v[38:39], v[2:3], v[12:13]
	v_mul_f64 v[12:13], v[4:5], v[12:13]
	v_fma_f64 v[30:31], v[8:9], v[190:191], v[30:31]
	v_fma_f64 v[34:35], v[6:7], v[190:191], -v[34:35]
	ds_load_b128 v[6:9], v1 offset:1536
	v_add_f64 v[28:29], v[28:29], v[32:33]
	v_add_f64 v[26:27], v[26:27], v[36:37]
	v_fma_f64 v[36:37], v[4:5], v[10:11], v[38:39]
	v_fma_f64 v[10:11], v[2:3], v[10:11], -v[12:13]
	ds_load_b128 v[2:5], v1 offset:1552
	s_waitcnt vmcnt(2) lgkmcnt(1)
	v_mul_f64 v[32:33], v[6:7], v[16:17]
	v_mul_f64 v[16:17], v[8:9], v[16:17]
	v_add_f64 v[12:13], v[26:27], v[34:35]
	v_add_f64 v[26:27], v[28:29], v[30:31]
	s_waitcnt vmcnt(1) lgkmcnt(0)
	v_mul_f64 v[28:29], v[2:3], v[20:21]
	v_mul_f64 v[20:21], v[4:5], v[20:21]
	v_fma_f64 v[8:9], v[8:9], v[14:15], v[32:33]
	v_fma_f64 v[6:7], v[6:7], v[14:15], -v[16:17]
	v_add_f64 v[10:11], v[12:13], v[10:11]
	v_add_f64 v[12:13], v[26:27], v[36:37]
	v_fma_f64 v[4:5], v[4:5], v[18:19], v[28:29]
	v_fma_f64 v[2:3], v[2:3], v[18:19], -v[20:21]
	s_delay_alu instid0(VALU_DEP_4) | instskip(NEXT) | instid1(VALU_DEP_4)
	v_add_f64 v[6:7], v[10:11], v[6:7]
	v_add_f64 v[8:9], v[12:13], v[8:9]
	s_delay_alu instid0(VALU_DEP_2) | instskip(NEXT) | instid1(VALU_DEP_2)
	v_add_f64 v[2:3], v[6:7], v[2:3]
	v_add_f64 v[4:5], v[8:9], v[4:5]
	s_waitcnt vmcnt(0)
	s_delay_alu instid0(VALU_DEP_2) | instskip(NEXT) | instid1(VALU_DEP_2)
	v_add_f64 v[2:3], v[22:23], -v[2:3]
	v_add_f64 v[4:5], v[24:25], -v[4:5]
	scratch_store_b128 off, v[2:5], off offset:48
	v_cmpx_lt_u32_e32 2, v140
	s_cbranch_execz .LBB48_303
; %bb.302:
	scratch_load_b128 v[5:8], v187, off
	v_mov_b32_e32 v2, v1
	v_mov_b32_e32 v3, v1
	v_mov_b32_e32 v4, v1
	scratch_store_b128 off, v[1:4], off offset:32
	s_waitcnt vmcnt(0)
	ds_store_b128 v189, v[5:8]
.LBB48_303:
	s_or_b32 exec_lo, exec_lo, s2
	s_waitcnt lgkmcnt(0)
	s_waitcnt_vscnt null, 0x0
	s_barrier
	buffer_gl0_inv
	s_clause 0x7
	scratch_load_b128 v[2:5], off, off offset:48
	scratch_load_b128 v[6:9], off, off offset:64
	;; [unrolled: 1-line block ×8, first 2 shown]
	ds_load_b128 v[38:41], v1 offset:832
	ds_load_b128 v[190:193], v1 offset:848
	s_clause 0x1
	scratch_load_b128 v[34:37], off, off offset:176
	scratch_load_b128 v[194:197], off, off offset:192
	s_mov_b32 s2, exec_lo
	s_waitcnt vmcnt(9) lgkmcnt(1)
	v_mul_f64 v[198:199], v[40:41], v[4:5]
	v_mul_f64 v[4:5], v[38:39], v[4:5]
	s_waitcnt vmcnt(8) lgkmcnt(0)
	v_mul_f64 v[200:201], v[190:191], v[8:9]
	v_mul_f64 v[8:9], v[192:193], v[8:9]
	s_delay_alu instid0(VALU_DEP_4) | instskip(NEXT) | instid1(VALU_DEP_4)
	v_fma_f64 v[198:199], v[38:39], v[2:3], -v[198:199]
	v_fma_f64 v[202:203], v[40:41], v[2:3], v[4:5]
	ds_load_b128 v[2:5], v1 offset:864
	scratch_load_b128 v[38:41], off, off offset:208
	v_fma_f64 v[200:201], v[192:193], v[6:7], v[200:201]
	v_fma_f64 v[206:207], v[190:191], v[6:7], -v[8:9]
	scratch_load_b128 v[190:193], off, off offset:224
	ds_load_b128 v[6:9], v1 offset:880
	s_waitcnt vmcnt(9) lgkmcnt(1)
	v_mul_f64 v[204:205], v[2:3], v[12:13]
	v_mul_f64 v[12:13], v[4:5], v[12:13]
	s_waitcnt vmcnt(8) lgkmcnt(0)
	v_mul_f64 v[208:209], v[6:7], v[16:17]
	v_mul_f64 v[16:17], v[8:9], v[16:17]
	v_add_f64 v[198:199], v[198:199], 0
	v_add_f64 v[202:203], v[202:203], 0
	v_fma_f64 v[204:205], v[4:5], v[10:11], v[204:205]
	v_fma_f64 v[210:211], v[2:3], v[10:11], -v[12:13]
	ds_load_b128 v[2:5], v1 offset:896
	scratch_load_b128 v[10:13], off, off offset:240
	v_add_f64 v[198:199], v[198:199], v[206:207]
	v_add_f64 v[200:201], v[202:203], v[200:201]
	v_fma_f64 v[206:207], v[8:9], v[14:15], v[208:209]
	v_fma_f64 v[208:209], v[6:7], v[14:15], -v[16:17]
	scratch_load_b128 v[14:17], off, off offset:256
	ds_load_b128 v[6:9], v1 offset:912
	s_waitcnt vmcnt(9) lgkmcnt(1)
	v_mul_f64 v[202:203], v[2:3], v[20:21]
	v_mul_f64 v[20:21], v[4:5], v[20:21]
	v_add_f64 v[198:199], v[198:199], v[210:211]
	v_add_f64 v[200:201], v[200:201], v[204:205]
	s_waitcnt vmcnt(8) lgkmcnt(0)
	v_mul_f64 v[204:205], v[6:7], v[24:25]
	v_mul_f64 v[24:25], v[8:9], v[24:25]
	v_fma_f64 v[202:203], v[4:5], v[18:19], v[202:203]
	v_fma_f64 v[210:211], v[2:3], v[18:19], -v[20:21]
	ds_load_b128 v[2:5], v1 offset:928
	scratch_load_b128 v[18:21], off, off offset:272
	v_add_f64 v[198:199], v[198:199], v[208:209]
	v_add_f64 v[200:201], v[200:201], v[206:207]
	v_fma_f64 v[204:205], v[8:9], v[22:23], v[204:205]
	v_fma_f64 v[208:209], v[6:7], v[22:23], -v[24:25]
	scratch_load_b128 v[22:25], off, off offset:288
	ds_load_b128 v[6:9], v1 offset:944
	s_waitcnt vmcnt(9) lgkmcnt(1)
	v_mul_f64 v[206:207], v[2:3], v[28:29]
	v_mul_f64 v[28:29], v[4:5], v[28:29]
	v_add_f64 v[198:199], v[198:199], v[210:211]
	v_add_f64 v[200:201], v[200:201], v[202:203]
	s_waitcnt vmcnt(8) lgkmcnt(0)
	v_mul_f64 v[202:203], v[6:7], v[32:33]
	v_mul_f64 v[32:33], v[8:9], v[32:33]
	v_fma_f64 v[206:207], v[4:5], v[26:27], v[206:207]
	v_fma_f64 v[210:211], v[2:3], v[26:27], -v[28:29]
	ds_load_b128 v[2:5], v1 offset:960
	scratch_load_b128 v[26:29], off, off offset:304
	v_add_f64 v[198:199], v[198:199], v[208:209]
	v_add_f64 v[200:201], v[200:201], v[204:205]
	v_fma_f64 v[202:203], v[8:9], v[30:31], v[202:203]
	v_fma_f64 v[208:209], v[6:7], v[30:31], -v[32:33]
	scratch_load_b128 v[30:33], off, off offset:320
	ds_load_b128 v[6:9], v1 offset:976
	s_waitcnt vmcnt(9) lgkmcnt(1)
	v_mul_f64 v[204:205], v[2:3], v[36:37]
	v_mul_f64 v[36:37], v[4:5], v[36:37]
	v_add_f64 v[198:199], v[198:199], v[210:211]
	v_add_f64 v[200:201], v[200:201], v[206:207]
	s_waitcnt vmcnt(8) lgkmcnt(0)
	v_mul_f64 v[206:207], v[6:7], v[196:197]
	v_mul_f64 v[196:197], v[8:9], v[196:197]
	v_fma_f64 v[204:205], v[4:5], v[34:35], v[204:205]
	v_fma_f64 v[210:211], v[2:3], v[34:35], -v[36:37]
	ds_load_b128 v[2:5], v1 offset:992
	scratch_load_b128 v[34:37], off, off offset:336
	v_add_f64 v[198:199], v[198:199], v[208:209]
	v_add_f64 v[200:201], v[200:201], v[202:203]
	v_fma_f64 v[206:207], v[8:9], v[194:195], v[206:207]
	v_fma_f64 v[208:209], v[6:7], v[194:195], -v[196:197]
	scratch_load_b128 v[194:197], off, off offset:352
	ds_load_b128 v[6:9], v1 offset:1008
	s_waitcnt vmcnt(9) lgkmcnt(1)
	v_mul_f64 v[202:203], v[2:3], v[40:41]
	v_mul_f64 v[40:41], v[4:5], v[40:41]
	v_add_f64 v[198:199], v[198:199], v[210:211]
	v_add_f64 v[200:201], v[200:201], v[204:205]
	s_waitcnt vmcnt(8) lgkmcnt(0)
	v_mul_f64 v[204:205], v[6:7], v[192:193]
	v_mul_f64 v[192:193], v[8:9], v[192:193]
	v_fma_f64 v[202:203], v[4:5], v[38:39], v[202:203]
	v_fma_f64 v[210:211], v[2:3], v[38:39], -v[40:41]
	ds_load_b128 v[2:5], v1 offset:1024
	scratch_load_b128 v[38:41], off, off offset:368
	v_add_f64 v[198:199], v[198:199], v[208:209]
	v_add_f64 v[200:201], v[200:201], v[206:207]
	v_fma_f64 v[204:205], v[8:9], v[190:191], v[204:205]
	v_fma_f64 v[208:209], v[6:7], v[190:191], -v[192:193]
	scratch_load_b128 v[190:193], off, off offset:384
	ds_load_b128 v[6:9], v1 offset:1040
	s_waitcnt vmcnt(9) lgkmcnt(1)
	v_mul_f64 v[206:207], v[2:3], v[12:13]
	v_mul_f64 v[12:13], v[4:5], v[12:13]
	v_add_f64 v[198:199], v[198:199], v[210:211]
	v_add_f64 v[200:201], v[200:201], v[202:203]
	s_waitcnt vmcnt(8) lgkmcnt(0)
	v_mul_f64 v[202:203], v[6:7], v[16:17]
	v_mul_f64 v[16:17], v[8:9], v[16:17]
	v_fma_f64 v[206:207], v[4:5], v[10:11], v[206:207]
	v_fma_f64 v[210:211], v[2:3], v[10:11], -v[12:13]
	ds_load_b128 v[2:5], v1 offset:1056
	scratch_load_b128 v[10:13], off, off offset:400
	v_add_f64 v[198:199], v[198:199], v[208:209]
	v_add_f64 v[200:201], v[200:201], v[204:205]
	v_fma_f64 v[202:203], v[8:9], v[14:15], v[202:203]
	v_fma_f64 v[208:209], v[6:7], v[14:15], -v[16:17]
	scratch_load_b128 v[14:17], off, off offset:416
	ds_load_b128 v[6:9], v1 offset:1072
	s_waitcnt vmcnt(9) lgkmcnt(1)
	v_mul_f64 v[204:205], v[2:3], v[20:21]
	v_mul_f64 v[20:21], v[4:5], v[20:21]
	v_add_f64 v[198:199], v[198:199], v[210:211]
	v_add_f64 v[200:201], v[200:201], v[206:207]
	s_waitcnt vmcnt(8) lgkmcnt(0)
	v_mul_f64 v[206:207], v[6:7], v[24:25]
	v_mul_f64 v[24:25], v[8:9], v[24:25]
	v_fma_f64 v[204:205], v[4:5], v[18:19], v[204:205]
	v_fma_f64 v[210:211], v[2:3], v[18:19], -v[20:21]
	ds_load_b128 v[2:5], v1 offset:1088
	scratch_load_b128 v[18:21], off, off offset:432
	v_add_f64 v[198:199], v[198:199], v[208:209]
	v_add_f64 v[200:201], v[200:201], v[202:203]
	v_fma_f64 v[206:207], v[8:9], v[22:23], v[206:207]
	v_fma_f64 v[208:209], v[6:7], v[22:23], -v[24:25]
	scratch_load_b128 v[22:25], off, off offset:448
	ds_load_b128 v[6:9], v1 offset:1104
	s_waitcnt vmcnt(9) lgkmcnt(1)
	v_mul_f64 v[202:203], v[2:3], v[28:29]
	v_mul_f64 v[28:29], v[4:5], v[28:29]
	v_add_f64 v[198:199], v[198:199], v[210:211]
	v_add_f64 v[200:201], v[200:201], v[204:205]
	s_waitcnt vmcnt(8) lgkmcnt(0)
	v_mul_f64 v[204:205], v[6:7], v[32:33]
	v_mul_f64 v[32:33], v[8:9], v[32:33]
	v_fma_f64 v[202:203], v[4:5], v[26:27], v[202:203]
	v_fma_f64 v[210:211], v[2:3], v[26:27], -v[28:29]
	ds_load_b128 v[2:5], v1 offset:1120
	scratch_load_b128 v[26:29], off, off offset:464
	v_add_f64 v[198:199], v[198:199], v[208:209]
	v_add_f64 v[200:201], v[200:201], v[206:207]
	v_fma_f64 v[204:205], v[8:9], v[30:31], v[204:205]
	v_fma_f64 v[208:209], v[6:7], v[30:31], -v[32:33]
	scratch_load_b128 v[30:33], off, off offset:480
	ds_load_b128 v[6:9], v1 offset:1136
	s_waitcnt vmcnt(9) lgkmcnt(1)
	v_mul_f64 v[206:207], v[2:3], v[36:37]
	v_mul_f64 v[36:37], v[4:5], v[36:37]
	v_add_f64 v[198:199], v[198:199], v[210:211]
	v_add_f64 v[200:201], v[200:201], v[202:203]
	s_waitcnt vmcnt(8) lgkmcnt(0)
	v_mul_f64 v[202:203], v[6:7], v[196:197]
	v_mul_f64 v[196:197], v[8:9], v[196:197]
	v_fma_f64 v[206:207], v[4:5], v[34:35], v[206:207]
	v_fma_f64 v[210:211], v[2:3], v[34:35], -v[36:37]
	ds_load_b128 v[2:5], v1 offset:1152
	scratch_load_b128 v[34:37], off, off offset:496
	v_add_f64 v[198:199], v[198:199], v[208:209]
	v_add_f64 v[200:201], v[200:201], v[204:205]
	v_fma_f64 v[202:203], v[8:9], v[194:195], v[202:203]
	v_fma_f64 v[208:209], v[6:7], v[194:195], -v[196:197]
	scratch_load_b128 v[194:197], off, off offset:512
	ds_load_b128 v[6:9], v1 offset:1168
	s_waitcnt vmcnt(9) lgkmcnt(1)
	v_mul_f64 v[204:205], v[2:3], v[40:41]
	v_mul_f64 v[40:41], v[4:5], v[40:41]
	v_add_f64 v[198:199], v[198:199], v[210:211]
	v_add_f64 v[200:201], v[200:201], v[206:207]
	s_waitcnt vmcnt(8) lgkmcnt(0)
	v_mul_f64 v[206:207], v[6:7], v[192:193]
	v_mul_f64 v[192:193], v[8:9], v[192:193]
	v_fma_f64 v[204:205], v[4:5], v[38:39], v[204:205]
	v_fma_f64 v[210:211], v[2:3], v[38:39], -v[40:41]
	ds_load_b128 v[2:5], v1 offset:1184
	scratch_load_b128 v[38:41], off, off offset:528
	v_add_f64 v[198:199], v[198:199], v[208:209]
	v_add_f64 v[200:201], v[200:201], v[202:203]
	v_fma_f64 v[206:207], v[8:9], v[190:191], v[206:207]
	v_fma_f64 v[208:209], v[6:7], v[190:191], -v[192:193]
	scratch_load_b128 v[190:193], off, off offset:544
	ds_load_b128 v[6:9], v1 offset:1200
	s_waitcnt vmcnt(9) lgkmcnt(1)
	v_mul_f64 v[202:203], v[2:3], v[12:13]
	v_mul_f64 v[12:13], v[4:5], v[12:13]
	v_add_f64 v[198:199], v[198:199], v[210:211]
	v_add_f64 v[200:201], v[200:201], v[204:205]
	s_waitcnt vmcnt(8) lgkmcnt(0)
	v_mul_f64 v[204:205], v[6:7], v[16:17]
	v_mul_f64 v[16:17], v[8:9], v[16:17]
	v_fma_f64 v[202:203], v[4:5], v[10:11], v[202:203]
	v_fma_f64 v[210:211], v[2:3], v[10:11], -v[12:13]
	ds_load_b128 v[2:5], v1 offset:1216
	scratch_load_b128 v[10:13], off, off offset:560
	v_add_f64 v[198:199], v[198:199], v[208:209]
	v_add_f64 v[200:201], v[200:201], v[206:207]
	v_fma_f64 v[204:205], v[8:9], v[14:15], v[204:205]
	v_fma_f64 v[208:209], v[6:7], v[14:15], -v[16:17]
	scratch_load_b128 v[14:17], off, off offset:576
	ds_load_b128 v[6:9], v1 offset:1232
	s_waitcnt vmcnt(9) lgkmcnt(1)
	v_mul_f64 v[206:207], v[2:3], v[20:21]
	v_mul_f64 v[20:21], v[4:5], v[20:21]
	v_add_f64 v[198:199], v[198:199], v[210:211]
	v_add_f64 v[200:201], v[200:201], v[202:203]
	s_waitcnt vmcnt(8) lgkmcnt(0)
	v_mul_f64 v[202:203], v[6:7], v[24:25]
	v_mul_f64 v[24:25], v[8:9], v[24:25]
	v_fma_f64 v[206:207], v[4:5], v[18:19], v[206:207]
	v_fma_f64 v[210:211], v[2:3], v[18:19], -v[20:21]
	ds_load_b128 v[2:5], v1 offset:1248
	scratch_load_b128 v[18:21], off, off offset:592
	v_add_f64 v[198:199], v[198:199], v[208:209]
	v_add_f64 v[200:201], v[200:201], v[204:205]
	v_fma_f64 v[202:203], v[8:9], v[22:23], v[202:203]
	v_fma_f64 v[208:209], v[6:7], v[22:23], -v[24:25]
	scratch_load_b128 v[22:25], off, off offset:608
	ds_load_b128 v[6:9], v1 offset:1264
	s_waitcnt vmcnt(9) lgkmcnt(1)
	v_mul_f64 v[204:205], v[2:3], v[28:29]
	v_mul_f64 v[28:29], v[4:5], v[28:29]
	v_add_f64 v[198:199], v[198:199], v[210:211]
	v_add_f64 v[200:201], v[200:201], v[206:207]
	s_waitcnt vmcnt(8) lgkmcnt(0)
	v_mul_f64 v[206:207], v[6:7], v[32:33]
	v_mul_f64 v[32:33], v[8:9], v[32:33]
	v_fma_f64 v[204:205], v[4:5], v[26:27], v[204:205]
	v_fma_f64 v[210:211], v[2:3], v[26:27], -v[28:29]
	ds_load_b128 v[2:5], v1 offset:1280
	scratch_load_b128 v[26:29], off, off offset:624
	v_add_f64 v[198:199], v[198:199], v[208:209]
	v_add_f64 v[200:201], v[200:201], v[202:203]
	v_fma_f64 v[206:207], v[8:9], v[30:31], v[206:207]
	v_fma_f64 v[208:209], v[6:7], v[30:31], -v[32:33]
	scratch_load_b128 v[30:33], off, off offset:640
	ds_load_b128 v[6:9], v1 offset:1296
	s_waitcnt vmcnt(9) lgkmcnt(1)
	v_mul_f64 v[202:203], v[2:3], v[36:37]
	v_mul_f64 v[36:37], v[4:5], v[36:37]
	v_add_f64 v[198:199], v[198:199], v[210:211]
	v_add_f64 v[200:201], v[200:201], v[204:205]
	s_waitcnt vmcnt(8) lgkmcnt(0)
	v_mul_f64 v[204:205], v[6:7], v[196:197]
	v_mul_f64 v[196:197], v[8:9], v[196:197]
	v_fma_f64 v[202:203], v[4:5], v[34:35], v[202:203]
	v_fma_f64 v[210:211], v[2:3], v[34:35], -v[36:37]
	ds_load_b128 v[2:5], v1 offset:1312
	scratch_load_b128 v[34:37], off, off offset:656
	v_add_f64 v[198:199], v[198:199], v[208:209]
	v_add_f64 v[200:201], v[200:201], v[206:207]
	v_fma_f64 v[204:205], v[8:9], v[194:195], v[204:205]
	v_fma_f64 v[208:209], v[6:7], v[194:195], -v[196:197]
	ds_load_b128 v[6:9], v1 offset:1328
	s_waitcnt vmcnt(8) lgkmcnt(1)
	v_mul_f64 v[206:207], v[2:3], v[40:41]
	v_mul_f64 v[40:41], v[4:5], v[40:41]
	scratch_load_b128 v[194:197], off, off offset:672
	v_add_f64 v[198:199], v[198:199], v[210:211]
	v_add_f64 v[200:201], v[200:201], v[202:203]
	s_waitcnt vmcnt(8) lgkmcnt(0)
	v_mul_f64 v[202:203], v[6:7], v[192:193]
	v_mul_f64 v[192:193], v[8:9], v[192:193]
	v_fma_f64 v[206:207], v[4:5], v[38:39], v[206:207]
	v_fma_f64 v[210:211], v[2:3], v[38:39], -v[40:41]
	ds_load_b128 v[2:5], v1 offset:1344
	scratch_load_b128 v[38:41], off, off offset:688
	v_add_f64 v[198:199], v[198:199], v[208:209]
	v_add_f64 v[200:201], v[200:201], v[204:205]
	v_fma_f64 v[202:203], v[8:9], v[190:191], v[202:203]
	v_fma_f64 v[208:209], v[6:7], v[190:191], -v[192:193]
	ds_load_b128 v[6:9], v1 offset:1360
	s_waitcnt vmcnt(8) lgkmcnt(1)
	v_mul_f64 v[204:205], v[2:3], v[12:13]
	v_mul_f64 v[12:13], v[4:5], v[12:13]
	scratch_load_b128 v[190:193], off, off offset:704
	v_add_f64 v[198:199], v[198:199], v[210:211]
	v_add_f64 v[200:201], v[200:201], v[206:207]
	s_waitcnt vmcnt(8) lgkmcnt(0)
	v_mul_f64 v[206:207], v[6:7], v[16:17]
	v_mul_f64 v[16:17], v[8:9], v[16:17]
	v_fma_f64 v[204:205], v[4:5], v[10:11], v[204:205]
	v_fma_f64 v[210:211], v[2:3], v[10:11], -v[12:13]
	scratch_load_b128 v[10:13], off, off offset:720
	ds_load_b128 v[2:5], v1 offset:1376
	v_add_f64 v[198:199], v[198:199], v[208:209]
	v_add_f64 v[200:201], v[200:201], v[202:203]
	v_fma_f64 v[206:207], v[8:9], v[14:15], v[206:207]
	v_fma_f64 v[208:209], v[6:7], v[14:15], -v[16:17]
	ds_load_b128 v[6:9], v1 offset:1392
	s_waitcnt vmcnt(8) lgkmcnt(1)
	v_mul_f64 v[202:203], v[2:3], v[20:21]
	v_mul_f64 v[20:21], v[4:5], v[20:21]
	scratch_load_b128 v[14:17], off, off offset:736
	v_add_f64 v[198:199], v[198:199], v[210:211]
	v_add_f64 v[200:201], v[200:201], v[204:205]
	s_waitcnt vmcnt(8) lgkmcnt(0)
	v_mul_f64 v[204:205], v[6:7], v[24:25]
	v_mul_f64 v[24:25], v[8:9], v[24:25]
	v_fma_f64 v[202:203], v[4:5], v[18:19], v[202:203]
	v_fma_f64 v[210:211], v[2:3], v[18:19], -v[20:21]
	scratch_load_b128 v[18:21], off, off offset:752
	ds_load_b128 v[2:5], v1 offset:1408
	v_add_f64 v[198:199], v[198:199], v[208:209]
	v_add_f64 v[200:201], v[200:201], v[206:207]
	v_fma_f64 v[204:205], v[8:9], v[22:23], v[204:205]
	v_fma_f64 v[208:209], v[6:7], v[22:23], -v[24:25]
	ds_load_b128 v[6:9], v1 offset:1424
	s_waitcnt vmcnt(8) lgkmcnt(1)
	v_mul_f64 v[206:207], v[2:3], v[28:29]
	v_mul_f64 v[28:29], v[4:5], v[28:29]
	scratch_load_b128 v[22:25], off, off offset:768
	v_add_f64 v[198:199], v[198:199], v[210:211]
	v_add_f64 v[200:201], v[200:201], v[202:203]
	s_waitcnt vmcnt(8) lgkmcnt(0)
	v_mul_f64 v[202:203], v[6:7], v[32:33]
	v_mul_f64 v[32:33], v[8:9], v[32:33]
	v_fma_f64 v[206:207], v[4:5], v[26:27], v[206:207]
	v_fma_f64 v[26:27], v[2:3], v[26:27], -v[28:29]
	ds_load_b128 v[2:5], v1 offset:1440
	v_add_f64 v[28:29], v[198:199], v[208:209]
	v_add_f64 v[198:199], v[200:201], v[204:205]
	v_fma_f64 v[202:203], v[8:9], v[30:31], v[202:203]
	v_fma_f64 v[30:31], v[6:7], v[30:31], -v[32:33]
	ds_load_b128 v[6:9], v1 offset:1456
	s_waitcnt vmcnt(7) lgkmcnt(1)
	v_mul_f64 v[200:201], v[2:3], v[36:37]
	v_mul_f64 v[36:37], v[4:5], v[36:37]
	v_add_f64 v[26:27], v[28:29], v[26:27]
	v_add_f64 v[28:29], v[198:199], v[206:207]
	s_delay_alu instid0(VALU_DEP_4) | instskip(NEXT) | instid1(VALU_DEP_4)
	v_fma_f64 v[198:199], v[4:5], v[34:35], v[200:201]
	v_fma_f64 v[34:35], v[2:3], v[34:35], -v[36:37]
	ds_load_b128 v[2:5], v1 offset:1472
	v_add_f64 v[30:31], v[26:27], v[30:31]
	v_add_f64 v[36:37], v[28:29], v[202:203]
	scratch_load_b128 v[26:29], off, off offset:32
	s_waitcnt vmcnt(7) lgkmcnt(1)
	v_mul_f64 v[32:33], v[6:7], v[196:197]
	v_mul_f64 v[196:197], v[8:9], v[196:197]
	v_add_f64 v[30:31], v[30:31], v[34:35]
	v_add_f64 v[34:35], v[36:37], v[198:199]
	s_delay_alu instid0(VALU_DEP_4) | instskip(NEXT) | instid1(VALU_DEP_4)
	v_fma_f64 v[32:33], v[8:9], v[194:195], v[32:33]
	v_fma_f64 v[194:195], v[6:7], v[194:195], -v[196:197]
	ds_load_b128 v[6:9], v1 offset:1488
	s_waitcnt vmcnt(6) lgkmcnt(1)
	v_mul_f64 v[200:201], v[2:3], v[40:41]
	v_mul_f64 v[40:41], v[4:5], v[40:41]
	s_waitcnt vmcnt(5) lgkmcnt(0)
	v_mul_f64 v[36:37], v[6:7], v[192:193]
	v_mul_f64 v[192:193], v[8:9], v[192:193]
	v_add_f64 v[32:33], v[34:35], v[32:33]
	v_add_f64 v[30:31], v[30:31], v[194:195]
	v_fma_f64 v[196:197], v[4:5], v[38:39], v[200:201]
	v_fma_f64 v[38:39], v[2:3], v[38:39], -v[40:41]
	ds_load_b128 v[2:5], v1 offset:1504
	v_fma_f64 v[36:37], v[8:9], v[190:191], v[36:37]
	v_fma_f64 v[40:41], v[6:7], v[190:191], -v[192:193]
	ds_load_b128 v[6:9], v1 offset:1520
	s_waitcnt vmcnt(4) lgkmcnt(1)
	v_mul_f64 v[34:35], v[2:3], v[12:13]
	v_mul_f64 v[12:13], v[4:5], v[12:13]
	v_add_f64 v[32:33], v[32:33], v[196:197]
	v_add_f64 v[30:31], v[30:31], v[38:39]
	s_waitcnt vmcnt(3) lgkmcnt(0)
	v_mul_f64 v[38:39], v[6:7], v[16:17]
	v_mul_f64 v[16:17], v[8:9], v[16:17]
	v_fma_f64 v[34:35], v[4:5], v[10:11], v[34:35]
	v_fma_f64 v[10:11], v[2:3], v[10:11], -v[12:13]
	ds_load_b128 v[2:5], v1 offset:1536
	v_add_f64 v[12:13], v[30:31], v[40:41]
	v_add_f64 v[30:31], v[32:33], v[36:37]
	v_fma_f64 v[36:37], v[8:9], v[14:15], v[38:39]
	v_fma_f64 v[14:15], v[6:7], v[14:15], -v[16:17]
	ds_load_b128 v[6:9], v1 offset:1552
	s_waitcnt vmcnt(2) lgkmcnt(1)
	v_mul_f64 v[32:33], v[2:3], v[20:21]
	v_mul_f64 v[20:21], v[4:5], v[20:21]
	s_waitcnt vmcnt(1) lgkmcnt(0)
	v_mul_f64 v[16:17], v[6:7], v[24:25]
	v_mul_f64 v[24:25], v[8:9], v[24:25]
	v_add_f64 v[10:11], v[12:13], v[10:11]
	v_add_f64 v[12:13], v[30:31], v[34:35]
	v_fma_f64 v[4:5], v[4:5], v[18:19], v[32:33]
	v_fma_f64 v[1:2], v[2:3], v[18:19], -v[20:21]
	v_fma_f64 v[8:9], v[8:9], v[22:23], v[16:17]
	v_fma_f64 v[6:7], v[6:7], v[22:23], -v[24:25]
	v_add_f64 v[10:11], v[10:11], v[14:15]
	v_add_f64 v[12:13], v[12:13], v[36:37]
	s_delay_alu instid0(VALU_DEP_2) | instskip(NEXT) | instid1(VALU_DEP_2)
	v_add_f64 v[1:2], v[10:11], v[1:2]
	v_add_f64 v[3:4], v[12:13], v[4:5]
	s_delay_alu instid0(VALU_DEP_2) | instskip(NEXT) | instid1(VALU_DEP_2)
	v_add_f64 v[1:2], v[1:2], v[6:7]
	v_add_f64 v[3:4], v[3:4], v[8:9]
	s_waitcnt vmcnt(0)
	s_delay_alu instid0(VALU_DEP_2) | instskip(NEXT) | instid1(VALU_DEP_2)
	v_add_f64 v[1:2], v[26:27], -v[1:2]
	v_add_f64 v[3:4], v[28:29], -v[3:4]
	scratch_store_b128 off, v[1:4], off offset:32
	v_cmpx_lt_u32_e32 1, v140
	s_cbranch_execz .LBB48_305
; %bb.304:
	scratch_load_b128 v[1:4], v188, off
	v_mov_b32_e32 v5, 0
	s_delay_alu instid0(VALU_DEP_1)
	v_mov_b32_e32 v6, v5
	v_mov_b32_e32 v7, v5
	;; [unrolled: 1-line block ×3, first 2 shown]
	scratch_store_b128 off, v[5:8], off offset:16
	s_waitcnt vmcnt(0)
	ds_store_b128 v189, v[1:4]
.LBB48_305:
	s_or_b32 exec_lo, exec_lo, s2
	s_waitcnt lgkmcnt(0)
	s_waitcnt_vscnt null, 0x0
	s_barrier
	buffer_gl0_inv
	s_clause 0x7
	scratch_load_b128 v[2:5], off, off offset:32
	scratch_load_b128 v[6:9], off, off offset:48
	;; [unrolled: 1-line block ×8, first 2 shown]
	v_mov_b32_e32 v1, 0
	s_clause 0x1
	scratch_load_b128 v[34:37], off, off offset:160
	scratch_load_b128 v[194:197], off, off offset:176
	s_mov_b32 s2, exec_lo
	ds_load_b128 v[38:41], v1 offset:816
	ds_load_b128 v[190:193], v1 offset:832
	s_waitcnt vmcnt(9) lgkmcnt(1)
	v_mul_f64 v[198:199], v[40:41], v[4:5]
	v_mul_f64 v[4:5], v[38:39], v[4:5]
	s_waitcnt vmcnt(8) lgkmcnt(0)
	v_mul_f64 v[200:201], v[190:191], v[8:9]
	v_mul_f64 v[8:9], v[192:193], v[8:9]
	s_delay_alu instid0(VALU_DEP_4) | instskip(NEXT) | instid1(VALU_DEP_4)
	v_fma_f64 v[198:199], v[38:39], v[2:3], -v[198:199]
	v_fma_f64 v[202:203], v[40:41], v[2:3], v[4:5]
	ds_load_b128 v[2:5], v1 offset:848
	scratch_load_b128 v[38:41], off, off offset:192
	v_fma_f64 v[200:201], v[192:193], v[6:7], v[200:201]
	v_fma_f64 v[206:207], v[190:191], v[6:7], -v[8:9]
	scratch_load_b128 v[190:193], off, off offset:208
	ds_load_b128 v[6:9], v1 offset:864
	s_waitcnt vmcnt(9) lgkmcnt(1)
	v_mul_f64 v[204:205], v[2:3], v[12:13]
	v_mul_f64 v[12:13], v[4:5], v[12:13]
	s_waitcnt vmcnt(8) lgkmcnt(0)
	v_mul_f64 v[208:209], v[6:7], v[16:17]
	v_mul_f64 v[16:17], v[8:9], v[16:17]
	v_add_f64 v[198:199], v[198:199], 0
	v_add_f64 v[202:203], v[202:203], 0
	v_fma_f64 v[204:205], v[4:5], v[10:11], v[204:205]
	v_fma_f64 v[210:211], v[2:3], v[10:11], -v[12:13]
	ds_load_b128 v[2:5], v1 offset:880
	scratch_load_b128 v[10:13], off, off offset:224
	v_add_f64 v[198:199], v[198:199], v[206:207]
	v_add_f64 v[200:201], v[202:203], v[200:201]
	v_fma_f64 v[206:207], v[8:9], v[14:15], v[208:209]
	v_fma_f64 v[208:209], v[6:7], v[14:15], -v[16:17]
	scratch_load_b128 v[14:17], off, off offset:240
	ds_load_b128 v[6:9], v1 offset:896
	s_waitcnt vmcnt(9) lgkmcnt(1)
	v_mul_f64 v[202:203], v[2:3], v[20:21]
	v_mul_f64 v[20:21], v[4:5], v[20:21]
	v_add_f64 v[198:199], v[198:199], v[210:211]
	v_add_f64 v[200:201], v[200:201], v[204:205]
	s_waitcnt vmcnt(8) lgkmcnt(0)
	v_mul_f64 v[204:205], v[6:7], v[24:25]
	v_mul_f64 v[24:25], v[8:9], v[24:25]
	v_fma_f64 v[202:203], v[4:5], v[18:19], v[202:203]
	v_fma_f64 v[210:211], v[2:3], v[18:19], -v[20:21]
	ds_load_b128 v[2:5], v1 offset:912
	scratch_load_b128 v[18:21], off, off offset:256
	v_add_f64 v[198:199], v[198:199], v[208:209]
	v_add_f64 v[200:201], v[200:201], v[206:207]
	v_fma_f64 v[204:205], v[8:9], v[22:23], v[204:205]
	v_fma_f64 v[208:209], v[6:7], v[22:23], -v[24:25]
	scratch_load_b128 v[22:25], off, off offset:272
	ds_load_b128 v[6:9], v1 offset:928
	s_waitcnt vmcnt(9) lgkmcnt(1)
	v_mul_f64 v[206:207], v[2:3], v[28:29]
	v_mul_f64 v[28:29], v[4:5], v[28:29]
	v_add_f64 v[198:199], v[198:199], v[210:211]
	v_add_f64 v[200:201], v[200:201], v[202:203]
	s_waitcnt vmcnt(8) lgkmcnt(0)
	v_mul_f64 v[202:203], v[6:7], v[32:33]
	v_mul_f64 v[32:33], v[8:9], v[32:33]
	;; [unrolled: 18-line block ×14, first 2 shown]
	v_fma_f64 v[206:207], v[4:5], v[38:39], v[206:207]
	v_fma_f64 v[210:211], v[2:3], v[38:39], -v[40:41]
	ds_load_b128 v[2:5], v1 offset:1328
	scratch_load_b128 v[38:41], off, off offset:672
	v_add_f64 v[198:199], v[198:199], v[208:209]
	v_add_f64 v[200:201], v[200:201], v[204:205]
	v_fma_f64 v[202:203], v[8:9], v[190:191], v[202:203]
	v_fma_f64 v[208:209], v[6:7], v[190:191], -v[192:193]
	ds_load_b128 v[6:9], v1 offset:1344
	s_waitcnt vmcnt(8) lgkmcnt(1)
	v_mul_f64 v[204:205], v[2:3], v[12:13]
	v_mul_f64 v[12:13], v[4:5], v[12:13]
	scratch_load_b128 v[190:193], off, off offset:688
	v_add_f64 v[198:199], v[198:199], v[210:211]
	v_add_f64 v[200:201], v[200:201], v[206:207]
	s_waitcnt vmcnt(8) lgkmcnt(0)
	v_mul_f64 v[206:207], v[6:7], v[16:17]
	v_mul_f64 v[16:17], v[8:9], v[16:17]
	v_fma_f64 v[204:205], v[4:5], v[10:11], v[204:205]
	v_fma_f64 v[210:211], v[2:3], v[10:11], -v[12:13]
	scratch_load_b128 v[10:13], off, off offset:704
	ds_load_b128 v[2:5], v1 offset:1360
	v_add_f64 v[198:199], v[198:199], v[208:209]
	v_add_f64 v[200:201], v[200:201], v[202:203]
	v_fma_f64 v[206:207], v[8:9], v[14:15], v[206:207]
	v_fma_f64 v[208:209], v[6:7], v[14:15], -v[16:17]
	ds_load_b128 v[6:9], v1 offset:1376
	s_waitcnt vmcnt(8) lgkmcnt(1)
	v_mul_f64 v[202:203], v[2:3], v[20:21]
	v_mul_f64 v[20:21], v[4:5], v[20:21]
	scratch_load_b128 v[14:17], off, off offset:720
	v_add_f64 v[198:199], v[198:199], v[210:211]
	v_add_f64 v[200:201], v[200:201], v[204:205]
	s_waitcnt vmcnt(8) lgkmcnt(0)
	v_mul_f64 v[204:205], v[6:7], v[24:25]
	v_mul_f64 v[24:25], v[8:9], v[24:25]
	v_fma_f64 v[202:203], v[4:5], v[18:19], v[202:203]
	v_fma_f64 v[210:211], v[2:3], v[18:19], -v[20:21]
	scratch_load_b128 v[18:21], off, off offset:736
	ds_load_b128 v[2:5], v1 offset:1392
	;; [unrolled: 18-line block ×3, first 2 shown]
	v_add_f64 v[198:199], v[198:199], v[208:209]
	v_add_f64 v[200:201], v[200:201], v[204:205]
	v_fma_f64 v[202:203], v[8:9], v[30:31], v[202:203]
	v_fma_f64 v[30:31], v[6:7], v[30:31], -v[32:33]
	ds_load_b128 v[6:9], v1 offset:1440
	s_waitcnt vmcnt(8) lgkmcnt(1)
	v_mul_f64 v[204:205], v[2:3], v[36:37]
	v_mul_f64 v[36:37], v[4:5], v[36:37]
	v_add_f64 v[32:33], v[198:199], v[210:211]
	v_add_f64 v[198:199], v[200:201], v[206:207]
	s_waitcnt vmcnt(7) lgkmcnt(0)
	v_mul_f64 v[200:201], v[6:7], v[196:197]
	v_mul_f64 v[196:197], v[8:9], v[196:197]
	v_fma_f64 v[204:205], v[4:5], v[34:35], v[204:205]
	v_fma_f64 v[34:35], v[2:3], v[34:35], -v[36:37]
	ds_load_b128 v[2:5], v1 offset:1456
	v_add_f64 v[30:31], v[32:33], v[30:31]
	v_add_f64 v[32:33], v[198:199], v[202:203]
	v_fma_f64 v[198:199], v[8:9], v[194:195], v[200:201]
	v_fma_f64 v[194:195], v[6:7], v[194:195], -v[196:197]
	ds_load_b128 v[6:9], v1 offset:1472
	s_waitcnt vmcnt(5) lgkmcnt(0)
	v_mul_f64 v[200:201], v[6:7], v[192:193]
	v_mul_f64 v[192:193], v[8:9], v[192:193]
	v_add_f64 v[34:35], v[30:31], v[34:35]
	v_add_f64 v[196:197], v[32:33], v[204:205]
	scratch_load_b128 v[30:33], off, off offset:16
	v_mul_f64 v[36:37], v[2:3], v[40:41]
	v_mul_f64 v[40:41], v[4:5], v[40:41]
	v_add_f64 v[34:35], v[34:35], v[194:195]
	s_delay_alu instid0(VALU_DEP_3) | instskip(NEXT) | instid1(VALU_DEP_3)
	v_fma_f64 v[36:37], v[4:5], v[38:39], v[36:37]
	v_fma_f64 v[38:39], v[2:3], v[38:39], -v[40:41]
	v_add_f64 v[40:41], v[196:197], v[198:199]
	ds_load_b128 v[2:5], v1 offset:1488
	v_fma_f64 v[196:197], v[8:9], v[190:191], v[200:201]
	v_fma_f64 v[190:191], v[6:7], v[190:191], -v[192:193]
	ds_load_b128 v[6:9], v1 offset:1504
	s_waitcnt vmcnt(5) lgkmcnt(1)
	v_mul_f64 v[194:195], v[2:3], v[12:13]
	v_mul_f64 v[12:13], v[4:5], v[12:13]
	v_add_f64 v[34:35], v[34:35], v[38:39]
	v_add_f64 v[36:37], v[40:41], v[36:37]
	s_waitcnt vmcnt(4) lgkmcnt(0)
	v_mul_f64 v[38:39], v[6:7], v[16:17]
	v_mul_f64 v[16:17], v[8:9], v[16:17]
	v_fma_f64 v[40:41], v[4:5], v[10:11], v[194:195]
	v_fma_f64 v[10:11], v[2:3], v[10:11], -v[12:13]
	ds_load_b128 v[2:5], v1 offset:1520
	v_add_f64 v[12:13], v[34:35], v[190:191]
	v_add_f64 v[34:35], v[36:37], v[196:197]
	v_fma_f64 v[38:39], v[8:9], v[14:15], v[38:39]
	v_fma_f64 v[14:15], v[6:7], v[14:15], -v[16:17]
	ds_load_b128 v[6:9], v1 offset:1536
	s_waitcnt vmcnt(3) lgkmcnt(1)
	v_mul_f64 v[36:37], v[2:3], v[20:21]
	v_mul_f64 v[20:21], v[4:5], v[20:21]
	s_waitcnt vmcnt(2) lgkmcnt(0)
	v_mul_f64 v[16:17], v[6:7], v[24:25]
	v_mul_f64 v[24:25], v[8:9], v[24:25]
	v_add_f64 v[10:11], v[12:13], v[10:11]
	v_add_f64 v[12:13], v[34:35], v[40:41]
	v_fma_f64 v[34:35], v[4:5], v[18:19], v[36:37]
	v_fma_f64 v[18:19], v[2:3], v[18:19], -v[20:21]
	ds_load_b128 v[2:5], v1 offset:1552
	v_fma_f64 v[8:9], v[8:9], v[22:23], v[16:17]
	v_fma_f64 v[6:7], v[6:7], v[22:23], -v[24:25]
	s_waitcnt vmcnt(1) lgkmcnt(0)
	v_mul_f64 v[20:21], v[4:5], v[28:29]
	v_add_f64 v[10:11], v[10:11], v[14:15]
	v_add_f64 v[12:13], v[12:13], v[38:39]
	v_mul_f64 v[14:15], v[2:3], v[28:29]
	s_delay_alu instid0(VALU_DEP_4) | instskip(NEXT) | instid1(VALU_DEP_4)
	v_fma_f64 v[2:3], v[2:3], v[26:27], -v[20:21]
	v_add_f64 v[10:11], v[10:11], v[18:19]
	s_delay_alu instid0(VALU_DEP_4) | instskip(NEXT) | instid1(VALU_DEP_4)
	v_add_f64 v[12:13], v[12:13], v[34:35]
	v_fma_f64 v[4:5], v[4:5], v[26:27], v[14:15]
	s_delay_alu instid0(VALU_DEP_3) | instskip(NEXT) | instid1(VALU_DEP_3)
	v_add_f64 v[6:7], v[10:11], v[6:7]
	v_add_f64 v[8:9], v[12:13], v[8:9]
	s_delay_alu instid0(VALU_DEP_2) | instskip(NEXT) | instid1(VALU_DEP_2)
	v_add_f64 v[2:3], v[6:7], v[2:3]
	v_add_f64 v[4:5], v[8:9], v[4:5]
	s_waitcnt vmcnt(0)
	s_delay_alu instid0(VALU_DEP_2) | instskip(NEXT) | instid1(VALU_DEP_2)
	v_add_f64 v[2:3], v[30:31], -v[2:3]
	v_add_f64 v[4:5], v[32:33], -v[4:5]
	scratch_store_b128 off, v[2:5], off offset:16
	v_cmpx_ne_u32_e32 0, v140
	s_cbranch_execz .LBB48_307
; %bb.306:
	scratch_load_b128 v[5:8], off, off
	v_mov_b32_e32 v2, v1
	v_mov_b32_e32 v3, v1
	;; [unrolled: 1-line block ×3, first 2 shown]
	scratch_store_b128 off, v[1:4], off
	s_waitcnt vmcnt(0)
	ds_store_b128 v189, v[5:8]
.LBB48_307:
	s_or_b32 exec_lo, exec_lo, s2
	s_waitcnt lgkmcnt(0)
	s_waitcnt_vscnt null, 0x0
	s_barrier
	buffer_gl0_inv
	s_clause 0x7
	scratch_load_b128 v[2:5], off, off offset:16
	scratch_load_b128 v[6:9], off, off offset:32
	;; [unrolled: 1-line block ×8, first 2 shown]
	ds_load_b128 v[38:41], v1 offset:800
	ds_load_b128 v[189:192], v1 offset:816
	s_clause 0x1
	scratch_load_b128 v[34:37], off, off offset:144
	scratch_load_b128 v[193:196], off, off offset:160
	s_and_b32 vcc_lo, exec_lo, s20
	s_waitcnt vmcnt(9) lgkmcnt(1)
	v_mul_f64 v[197:198], v[40:41], v[4:5]
	v_mul_f64 v[4:5], v[38:39], v[4:5]
	s_waitcnt vmcnt(8) lgkmcnt(0)
	v_mul_f64 v[199:200], v[189:190], v[8:9]
	v_mul_f64 v[8:9], v[191:192], v[8:9]
	s_delay_alu instid0(VALU_DEP_4) | instskip(NEXT) | instid1(VALU_DEP_4)
	v_fma_f64 v[197:198], v[38:39], v[2:3], -v[197:198]
	v_fma_f64 v[201:202], v[40:41], v[2:3], v[4:5]
	ds_load_b128 v[2:5], v1 offset:832
	scratch_load_b128 v[38:41], off, off offset:176
	v_fma_f64 v[199:200], v[191:192], v[6:7], v[199:200]
	v_fma_f64 v[205:206], v[189:190], v[6:7], -v[8:9]
	scratch_load_b128 v[189:192], off, off offset:192
	ds_load_b128 v[6:9], v1 offset:848
	s_waitcnt vmcnt(9) lgkmcnt(1)
	v_mul_f64 v[203:204], v[2:3], v[12:13]
	v_mul_f64 v[12:13], v[4:5], v[12:13]
	s_waitcnt vmcnt(8) lgkmcnt(0)
	v_mul_f64 v[207:208], v[6:7], v[16:17]
	v_mul_f64 v[16:17], v[8:9], v[16:17]
	v_add_f64 v[197:198], v[197:198], 0
	v_add_f64 v[201:202], v[201:202], 0
	v_fma_f64 v[203:204], v[4:5], v[10:11], v[203:204]
	v_fma_f64 v[209:210], v[2:3], v[10:11], -v[12:13]
	ds_load_b128 v[2:5], v1 offset:864
	scratch_load_b128 v[10:13], off, off offset:208
	v_add_f64 v[197:198], v[197:198], v[205:206]
	v_add_f64 v[199:200], v[201:202], v[199:200]
	v_fma_f64 v[205:206], v[8:9], v[14:15], v[207:208]
	v_fma_f64 v[207:208], v[6:7], v[14:15], -v[16:17]
	scratch_load_b128 v[14:17], off, off offset:224
	ds_load_b128 v[6:9], v1 offset:880
	s_waitcnt vmcnt(9) lgkmcnt(1)
	v_mul_f64 v[201:202], v[2:3], v[20:21]
	v_mul_f64 v[20:21], v[4:5], v[20:21]
	v_add_f64 v[197:198], v[197:198], v[209:210]
	v_add_f64 v[199:200], v[199:200], v[203:204]
	s_waitcnt vmcnt(8) lgkmcnt(0)
	v_mul_f64 v[203:204], v[6:7], v[24:25]
	v_mul_f64 v[24:25], v[8:9], v[24:25]
	v_fma_f64 v[201:202], v[4:5], v[18:19], v[201:202]
	v_fma_f64 v[209:210], v[2:3], v[18:19], -v[20:21]
	ds_load_b128 v[2:5], v1 offset:896
	scratch_load_b128 v[18:21], off, off offset:240
	v_add_f64 v[197:198], v[197:198], v[207:208]
	v_add_f64 v[199:200], v[199:200], v[205:206]
	v_fma_f64 v[203:204], v[8:9], v[22:23], v[203:204]
	v_fma_f64 v[207:208], v[6:7], v[22:23], -v[24:25]
	scratch_load_b128 v[22:25], off, off offset:256
	ds_load_b128 v[6:9], v1 offset:912
	s_waitcnt vmcnt(9) lgkmcnt(1)
	v_mul_f64 v[205:206], v[2:3], v[28:29]
	v_mul_f64 v[28:29], v[4:5], v[28:29]
	v_add_f64 v[197:198], v[197:198], v[209:210]
	v_add_f64 v[199:200], v[199:200], v[201:202]
	s_waitcnt vmcnt(8) lgkmcnt(0)
	v_mul_f64 v[201:202], v[6:7], v[32:33]
	v_mul_f64 v[32:33], v[8:9], v[32:33]
	;; [unrolled: 18-line block ×14, first 2 shown]
	v_fma_f64 v[205:206], v[4:5], v[38:39], v[205:206]
	v_fma_f64 v[209:210], v[2:3], v[38:39], -v[40:41]
	ds_load_b128 v[2:5], v1 offset:1312
	scratch_load_b128 v[38:41], off, off offset:656
	v_add_f64 v[197:198], v[197:198], v[207:208]
	v_add_f64 v[199:200], v[199:200], v[203:204]
	v_fma_f64 v[201:202], v[8:9], v[189:190], v[201:202]
	v_fma_f64 v[207:208], v[6:7], v[189:190], -v[191:192]
	ds_load_b128 v[6:9], v1 offset:1328
	s_waitcnt vmcnt(8) lgkmcnt(1)
	v_mul_f64 v[203:204], v[2:3], v[12:13]
	v_mul_f64 v[12:13], v[4:5], v[12:13]
	scratch_load_b128 v[189:192], off, off offset:672
	v_add_f64 v[197:198], v[197:198], v[209:210]
	v_add_f64 v[199:200], v[199:200], v[205:206]
	s_waitcnt vmcnt(8) lgkmcnt(0)
	v_mul_f64 v[205:206], v[6:7], v[16:17]
	v_mul_f64 v[16:17], v[8:9], v[16:17]
	v_fma_f64 v[203:204], v[4:5], v[10:11], v[203:204]
	v_fma_f64 v[209:210], v[2:3], v[10:11], -v[12:13]
	ds_load_b128 v[2:5], v1 offset:1344
	scratch_load_b128 v[10:13], off, off offset:688
	v_add_f64 v[197:198], v[197:198], v[207:208]
	v_add_f64 v[199:200], v[199:200], v[201:202]
	v_fma_f64 v[205:206], v[8:9], v[14:15], v[205:206]
	v_fma_f64 v[207:208], v[6:7], v[14:15], -v[16:17]
	ds_load_b128 v[6:9], v1 offset:1360
	s_waitcnt vmcnt(8) lgkmcnt(1)
	v_mul_f64 v[201:202], v[2:3], v[20:21]
	v_mul_f64 v[20:21], v[4:5], v[20:21]
	scratch_load_b128 v[14:17], off, off offset:704
	v_add_f64 v[197:198], v[197:198], v[209:210]
	v_add_f64 v[199:200], v[199:200], v[203:204]
	s_waitcnt vmcnt(8) lgkmcnt(0)
	v_mul_f64 v[203:204], v[6:7], v[24:25]
	v_mul_f64 v[24:25], v[8:9], v[24:25]
	v_fma_f64 v[201:202], v[4:5], v[18:19], v[201:202]
	v_fma_f64 v[209:210], v[2:3], v[18:19], -v[20:21]
	scratch_load_b128 v[18:21], off, off offset:720
	ds_load_b128 v[2:5], v1 offset:1376
	v_add_f64 v[197:198], v[197:198], v[207:208]
	v_add_f64 v[199:200], v[199:200], v[205:206]
	v_fma_f64 v[203:204], v[8:9], v[22:23], v[203:204]
	v_fma_f64 v[207:208], v[6:7], v[22:23], -v[24:25]
	ds_load_b128 v[6:9], v1 offset:1392
	s_waitcnt vmcnt(8) lgkmcnt(1)
	v_mul_f64 v[205:206], v[2:3], v[28:29]
	v_mul_f64 v[28:29], v[4:5], v[28:29]
	scratch_load_b128 v[22:25], off, off offset:736
	v_add_f64 v[197:198], v[197:198], v[209:210]
	v_add_f64 v[199:200], v[199:200], v[201:202]
	s_waitcnt vmcnt(8) lgkmcnt(0)
	v_mul_f64 v[201:202], v[6:7], v[32:33]
	v_mul_f64 v[32:33], v[8:9], v[32:33]
	v_fma_f64 v[205:206], v[4:5], v[26:27], v[205:206]
	v_fma_f64 v[209:210], v[2:3], v[26:27], -v[28:29]
	scratch_load_b128 v[26:29], off, off offset:752
	ds_load_b128 v[2:5], v1 offset:1408
	v_add_f64 v[197:198], v[197:198], v[207:208]
	v_add_f64 v[199:200], v[199:200], v[203:204]
	v_fma_f64 v[201:202], v[8:9], v[30:31], v[201:202]
	v_fma_f64 v[207:208], v[6:7], v[30:31], -v[32:33]
	ds_load_b128 v[6:9], v1 offset:1424
	s_waitcnt vmcnt(8) lgkmcnt(1)
	v_mul_f64 v[203:204], v[2:3], v[36:37]
	v_mul_f64 v[36:37], v[4:5], v[36:37]
	scratch_load_b128 v[30:33], off, off offset:768
	v_add_f64 v[197:198], v[197:198], v[209:210]
	v_add_f64 v[199:200], v[199:200], v[205:206]
	s_waitcnt vmcnt(8) lgkmcnt(0)
	v_mul_f64 v[205:206], v[6:7], v[195:196]
	v_mul_f64 v[195:196], v[8:9], v[195:196]
	v_fma_f64 v[203:204], v[4:5], v[34:35], v[203:204]
	v_fma_f64 v[34:35], v[2:3], v[34:35], -v[36:37]
	ds_load_b128 v[2:5], v1 offset:1440
	v_add_f64 v[36:37], v[197:198], v[207:208]
	v_add_f64 v[197:198], v[199:200], v[201:202]
	v_fma_f64 v[201:202], v[8:9], v[193:194], v[205:206]
	v_fma_f64 v[193:194], v[6:7], v[193:194], -v[195:196]
	ds_load_b128 v[6:9], v1 offset:1456
	s_waitcnt vmcnt(7) lgkmcnt(1)
	v_mul_f64 v[199:200], v[2:3], v[40:41]
	v_mul_f64 v[40:41], v[4:5], v[40:41]
	v_add_f64 v[34:35], v[36:37], v[34:35]
	v_add_f64 v[36:37], v[197:198], v[203:204]
	s_delay_alu instid0(VALU_DEP_4) | instskip(NEXT) | instid1(VALU_DEP_4)
	v_fma_f64 v[197:198], v[4:5], v[38:39], v[199:200]
	v_fma_f64 v[38:39], v[2:3], v[38:39], -v[40:41]
	ds_load_b128 v[2:5], v1 offset:1472
	v_add_f64 v[40:41], v[34:35], v[193:194]
	v_add_f64 v[193:194], v[36:37], v[201:202]
	scratch_load_b128 v[34:37], off, off
	s_waitcnt vmcnt(7) lgkmcnt(1)
	v_mul_f64 v[195:196], v[6:7], v[191:192]
	v_mul_f64 v[191:192], v[8:9], v[191:192]
	v_add_f64 v[38:39], v[40:41], v[38:39]
	v_add_f64 v[40:41], v[193:194], v[197:198]
	s_delay_alu instid0(VALU_DEP_4) | instskip(NEXT) | instid1(VALU_DEP_4)
	v_fma_f64 v[195:196], v[8:9], v[189:190], v[195:196]
	v_fma_f64 v[189:190], v[6:7], v[189:190], -v[191:192]
	ds_load_b128 v[6:9], v1 offset:1488
	s_waitcnt vmcnt(6) lgkmcnt(1)
	v_mul_f64 v[199:200], v[2:3], v[12:13]
	v_mul_f64 v[12:13], v[4:5], v[12:13]
	s_waitcnt vmcnt(5) lgkmcnt(0)
	v_mul_f64 v[191:192], v[6:7], v[16:17]
	v_mul_f64 v[16:17], v[8:9], v[16:17]
	s_delay_alu instid0(VALU_DEP_4) | instskip(NEXT) | instid1(VALU_DEP_4)
	v_fma_f64 v[193:194], v[4:5], v[10:11], v[199:200]
	v_fma_f64 v[10:11], v[2:3], v[10:11], -v[12:13]
	v_add_f64 v[12:13], v[38:39], v[189:190]
	v_add_f64 v[38:39], v[40:41], v[195:196]
	ds_load_b128 v[2:5], v1 offset:1504
	v_fma_f64 v[189:190], v[8:9], v[14:15], v[191:192]
	v_fma_f64 v[14:15], v[6:7], v[14:15], -v[16:17]
	ds_load_b128 v[6:9], v1 offset:1520
	s_waitcnt vmcnt(4) lgkmcnt(1)
	v_mul_f64 v[40:41], v[2:3], v[20:21]
	v_mul_f64 v[20:21], v[4:5], v[20:21]
	v_add_f64 v[10:11], v[12:13], v[10:11]
	v_add_f64 v[12:13], v[38:39], v[193:194]
	s_waitcnt vmcnt(3) lgkmcnt(0)
	v_mul_f64 v[16:17], v[6:7], v[24:25]
	v_mul_f64 v[24:25], v[8:9], v[24:25]
	v_fma_f64 v[38:39], v[4:5], v[18:19], v[40:41]
	v_fma_f64 v[18:19], v[2:3], v[18:19], -v[20:21]
	ds_load_b128 v[2:5], v1 offset:1536
	v_add_f64 v[10:11], v[10:11], v[14:15]
	v_add_f64 v[12:13], v[12:13], v[189:190]
	v_fma_f64 v[16:17], v[8:9], v[22:23], v[16:17]
	v_fma_f64 v[22:23], v[6:7], v[22:23], -v[24:25]
	ds_load_b128 v[6:9], v1 offset:1552
	s_waitcnt vmcnt(2) lgkmcnt(1)
	v_mul_f64 v[14:15], v[2:3], v[28:29]
	v_mul_f64 v[20:21], v[4:5], v[28:29]
	s_waitcnt vmcnt(1) lgkmcnt(0)
	v_mul_f64 v[24:25], v[8:9], v[32:33]
	v_add_f64 v[10:11], v[10:11], v[18:19]
	v_add_f64 v[12:13], v[12:13], v[38:39]
	v_mul_f64 v[18:19], v[6:7], v[32:33]
	v_fma_f64 v[4:5], v[4:5], v[26:27], v[14:15]
	v_fma_f64 v[1:2], v[2:3], v[26:27], -v[20:21]
	v_fma_f64 v[6:7], v[6:7], v[30:31], -v[24:25]
	v_add_f64 v[10:11], v[10:11], v[22:23]
	v_add_f64 v[12:13], v[12:13], v[16:17]
	v_fma_f64 v[8:9], v[8:9], v[30:31], v[18:19]
	s_delay_alu instid0(VALU_DEP_3) | instskip(NEXT) | instid1(VALU_DEP_3)
	v_add_f64 v[1:2], v[10:11], v[1:2]
	v_add_f64 v[3:4], v[12:13], v[4:5]
	s_delay_alu instid0(VALU_DEP_2) | instskip(NEXT) | instid1(VALU_DEP_2)
	v_add_f64 v[1:2], v[1:2], v[6:7]
	v_add_f64 v[3:4], v[3:4], v[8:9]
	s_waitcnt vmcnt(0)
	s_delay_alu instid0(VALU_DEP_2) | instskip(NEXT) | instid1(VALU_DEP_2)
	v_add_f64 v[1:2], v[34:35], -v[1:2]
	v_add_f64 v[3:4], v[36:37], -v[3:4]
	scratch_store_b128 off, v[1:4], off
	s_cbranch_vccz .LBB48_405
; %bb.308:
	v_dual_mov_b32 v1, s16 :: v_dual_mov_b32 v2, s17
	s_load_b64 s[0:1], s[0:1], 0x4
	flat_load_b32 v1, v[1:2] offset:188
	v_bfe_u32 v2, v0, 10, 10
	v_bfe_u32 v0, v0, 20, 10
	s_waitcnt lgkmcnt(0)
	s_lshr_b32 s0, s0, 16
	s_delay_alu instid0(VALU_DEP_2) | instskip(SKIP_1) | instid1(SALU_CYCLE_1)
	v_mul_u32_u24_e32 v2, s1, v2
	s_mul_i32 s0, s0, s1
	v_mul_u32_u24_e32 v3, s0, v140
	s_mov_b32 s0, exec_lo
	s_delay_alu instid0(VALU_DEP_1) | instskip(NEXT) | instid1(VALU_DEP_1)
	v_add3_u32 v0, v3, v2, v0
	v_lshl_add_u32 v0, v0, 4, 0x628
	s_waitcnt vmcnt(0)
	v_cmpx_ne_u32_e32 48, v1
	s_cbranch_execz .LBB48_310
; %bb.309:
	v_lshl_add_u32 v9, v1, 4, 0
	s_clause 0x1
	scratch_load_b128 v[1:4], v143, off
	scratch_load_b128 v[5:8], v9, off offset:-16
	s_waitcnt vmcnt(1)
	ds_store_2addr_b64 v0, v[1:2], v[3:4] offset1:1
	s_waitcnt vmcnt(0)
	s_clause 0x1
	scratch_store_b128 v143, v[5:8], off
	scratch_store_b128 v9, v[1:4], off offset:-16
.LBB48_310:
	s_or_b32 exec_lo, exec_lo, s0
	v_dual_mov_b32 v1, s16 :: v_dual_mov_b32 v2, s17
	s_mov_b32 s0, exec_lo
	flat_load_b32 v1, v[1:2] offset:184
	s_waitcnt vmcnt(0) lgkmcnt(0)
	v_cmpx_ne_u32_e32 47, v1
	s_cbranch_execz .LBB48_312
; %bb.311:
	v_lshl_add_u32 v9, v1, 4, 0
	s_clause 0x1
	scratch_load_b128 v[1:4], v144, off
	scratch_load_b128 v[5:8], v9, off offset:-16
	s_waitcnt vmcnt(1)
	ds_store_2addr_b64 v0, v[1:2], v[3:4] offset1:1
	s_waitcnt vmcnt(0)
	s_clause 0x1
	scratch_store_b128 v144, v[5:8], off
	scratch_store_b128 v9, v[1:4], off offset:-16
.LBB48_312:
	s_or_b32 exec_lo, exec_lo, s0
	v_dual_mov_b32 v1, s16 :: v_dual_mov_b32 v2, s17
	s_mov_b32 s0, exec_lo
	flat_load_b32 v1, v[1:2] offset:180
	s_waitcnt vmcnt(0) lgkmcnt(0)
	;; [unrolled: 19-line block ×46, first 2 shown]
	v_cmpx_ne_u32_e32 2, v1
	s_cbranch_execz .LBB48_402
; %bb.401:
	v_lshl_add_u32 v9, v1, 4, 0
	s_clause 0x1
	scratch_load_b128 v[1:4], v188, off
	scratch_load_b128 v[5:8], v9, off offset:-16
	s_waitcnt vmcnt(1)
	ds_store_2addr_b64 v0, v[1:2], v[3:4] offset1:1
	s_waitcnt vmcnt(0)
	s_clause 0x1
	scratch_store_b128 v188, v[5:8], off
	scratch_store_b128 v9, v[1:4], off offset:-16
.LBB48_402:
	s_or_b32 exec_lo, exec_lo, s0
	v_dual_mov_b32 v1, s16 :: v_dual_mov_b32 v2, s17
	s_mov_b32 s0, exec_lo
	flat_load_b32 v1, v[1:2]
	s_waitcnt vmcnt(0) lgkmcnt(0)
	v_cmpx_ne_u32_e32 1, v1
	s_cbranch_execz .LBB48_404
; %bb.403:
	v_lshl_add_u32 v9, v1, 4, 0
	scratch_load_b128 v[1:4], off, off
	scratch_load_b128 v[5:8], v9, off offset:-16
	s_waitcnt vmcnt(1)
	ds_store_2addr_b64 v0, v[1:2], v[3:4] offset1:1
	s_waitcnt vmcnt(0)
	scratch_store_b128 off, v[5:8], off
	scratch_store_b128 v9, v[1:4], off offset:-16
.LBB48_404:
	s_or_b32 exec_lo, exec_lo, s0
.LBB48_405:
	scratch_load_b128 v[0:3], off, off
	s_clause 0x13
	scratch_load_b128 v[4:7], v188, off
	scratch_load_b128 v[8:11], v187, off
	;; [unrolled: 1-line block ×20, first 2 shown]
	s_waitcnt vmcnt(20)
	global_store_b128 v[42:43], v[0:3], off
	s_clause 0x1
	scratch_load_b128 v[0:3], v168, off
	scratch_load_b128 v[40:43], v167, off
	s_waitcnt vmcnt(21)
	global_store_b128 v[44:45], v[4:7], off
	s_clause 0x1
	scratch_load_b128 v[4:7], v166, off
	scratch_load_b128 v[165:168], v165, off
	;; [unrolled: 5-line block ×14, first 2 shown]
	s_waitcnt vmcnt(34)
	global_store_b128 v[70:71], v[175:178], off
	s_waitcnt vmcnt(33)
	global_store_b128 v[72:73], v[195:198], off
	;; [unrolled: 2-line block ×35, first 2 shown]
	s_endpgm
	.section	.rodata,"a",@progbits
	.p2align	6, 0x0
	.amdhsa_kernel _ZN9rocsolver6v33100L18getri_kernel_smallILi49E19rocblas_complex_numIdEPS3_EEvT1_iilPiilS6_bb
		.amdhsa_group_segment_fixed_size 2600
		.amdhsa_private_segment_fixed_size 800
		.amdhsa_kernarg_size 60
		.amdhsa_user_sgpr_count 15
		.amdhsa_user_sgpr_dispatch_ptr 1
		.amdhsa_user_sgpr_queue_ptr 0
		.amdhsa_user_sgpr_kernarg_segment_ptr 1
		.amdhsa_user_sgpr_dispatch_id 0
		.amdhsa_user_sgpr_private_segment_size 0
		.amdhsa_wavefront_size32 1
		.amdhsa_uses_dynamic_stack 0
		.amdhsa_enable_private_segment 1
		.amdhsa_system_sgpr_workgroup_id_x 1
		.amdhsa_system_sgpr_workgroup_id_y 0
		.amdhsa_system_sgpr_workgroup_id_z 0
		.amdhsa_system_sgpr_workgroup_info 0
		.amdhsa_system_vgpr_workitem_id 2
		.amdhsa_next_free_vgpr 249
		.amdhsa_next_free_sgpr 55
		.amdhsa_reserve_vcc 1
		.amdhsa_float_round_mode_32 0
		.amdhsa_float_round_mode_16_64 0
		.amdhsa_float_denorm_mode_32 3
		.amdhsa_float_denorm_mode_16_64 3
		.amdhsa_dx10_clamp 1
		.amdhsa_ieee_mode 1
		.amdhsa_fp16_overflow 0
		.amdhsa_workgroup_processor_mode 1
		.amdhsa_memory_ordered 1
		.amdhsa_forward_progress 0
		.amdhsa_shared_vgpr_count 0
		.amdhsa_exception_fp_ieee_invalid_op 0
		.amdhsa_exception_fp_denorm_src 0
		.amdhsa_exception_fp_ieee_div_zero 0
		.amdhsa_exception_fp_ieee_overflow 0
		.amdhsa_exception_fp_ieee_underflow 0
		.amdhsa_exception_fp_ieee_inexact 0
		.amdhsa_exception_int_div_zero 0
	.end_amdhsa_kernel
	.section	.text._ZN9rocsolver6v33100L18getri_kernel_smallILi49E19rocblas_complex_numIdEPS3_EEvT1_iilPiilS6_bb,"axG",@progbits,_ZN9rocsolver6v33100L18getri_kernel_smallILi49E19rocblas_complex_numIdEPS3_EEvT1_iilPiilS6_bb,comdat
.Lfunc_end48:
	.size	_ZN9rocsolver6v33100L18getri_kernel_smallILi49E19rocblas_complex_numIdEPS3_EEvT1_iilPiilS6_bb, .Lfunc_end48-_ZN9rocsolver6v33100L18getri_kernel_smallILi49E19rocblas_complex_numIdEPS3_EEvT1_iilPiilS6_bb
                                        ; -- End function
	.section	.AMDGPU.csdata,"",@progbits
; Kernel info:
; codeLenInByte = 110520
; NumSgprs: 57
; NumVgprs: 249
; ScratchSize: 800
; MemoryBound: 0
; FloatMode: 240
; IeeeMode: 1
; LDSByteSize: 2600 bytes/workgroup (compile time only)
; SGPRBlocks: 7
; VGPRBlocks: 31
; NumSGPRsForWavesPerEU: 57
; NumVGPRsForWavesPerEU: 249
; Occupancy: 5
; WaveLimiterHint : 1
; COMPUTE_PGM_RSRC2:SCRATCH_EN: 1
; COMPUTE_PGM_RSRC2:USER_SGPR: 15
; COMPUTE_PGM_RSRC2:TRAP_HANDLER: 0
; COMPUTE_PGM_RSRC2:TGID_X_EN: 1
; COMPUTE_PGM_RSRC2:TGID_Y_EN: 0
; COMPUTE_PGM_RSRC2:TGID_Z_EN: 0
; COMPUTE_PGM_RSRC2:TIDIG_COMP_CNT: 2
	.section	.text._ZN9rocsolver6v33100L18getri_kernel_smallILi50E19rocblas_complex_numIdEPS3_EEvT1_iilPiilS6_bb,"axG",@progbits,_ZN9rocsolver6v33100L18getri_kernel_smallILi50E19rocblas_complex_numIdEPS3_EEvT1_iilPiilS6_bb,comdat
	.globl	_ZN9rocsolver6v33100L18getri_kernel_smallILi50E19rocblas_complex_numIdEPS3_EEvT1_iilPiilS6_bb ; -- Begin function _ZN9rocsolver6v33100L18getri_kernel_smallILi50E19rocblas_complex_numIdEPS3_EEvT1_iilPiilS6_bb
	.p2align	8
	.type	_ZN9rocsolver6v33100L18getri_kernel_smallILi50E19rocblas_complex_numIdEPS3_EEvT1_iilPiilS6_bb,@function
_ZN9rocsolver6v33100L18getri_kernel_smallILi50E19rocblas_complex_numIdEPS3_EEvT1_iilPiilS6_bb: ; @_ZN9rocsolver6v33100L18getri_kernel_smallILi50E19rocblas_complex_numIdEPS3_EEvT1_iilPiilS6_bb
; %bb.0:
	v_and_b32_e32 v142, 0x3ff, v0
	s_mov_b32 s4, exec_lo
	s_delay_alu instid0(VALU_DEP_1)
	v_cmpx_gt_u32_e32 50, v142
	s_cbranch_execz .LBB49_214
; %bb.1:
	s_mov_b32 s18, s15
	s_clause 0x2
	s_load_b32 s21, s[2:3], 0x38
	s_load_b128 s[12:15], s[2:3], 0x10
	s_load_b128 s[4:7], s[2:3], 0x28
                                        ; implicit-def: $sgpr16_sgpr17
	s_waitcnt lgkmcnt(0)
	s_bitcmp1_b32 s21, 8
	s_cselect_b32 s20, -1, 0
	s_bfe_u32 s8, s21, 0x10008
	s_ashr_i32 s19, s18, 31
	s_cmp_eq_u32 s8, 0
	s_cbranch_scc1 .LBB49_3
; %bb.2:
	s_load_b32 s8, s[2:3], 0x20
	s_mul_i32 s5, s18, s5
	s_mul_hi_u32 s9, s18, s4
	s_mul_i32 s10, s19, s4
	s_add_i32 s5, s9, s5
	s_mul_i32 s4, s18, s4
	s_add_i32 s5, s5, s10
	s_delay_alu instid0(SALU_CYCLE_1)
	s_lshl_b64 s[4:5], s[4:5], 2
	s_waitcnt lgkmcnt(0)
	s_ashr_i32 s9, s8, 31
	s_add_u32 s10, s14, s4
	s_addc_u32 s11, s15, s5
	s_lshl_b64 s[4:5], s[8:9], 2
	s_delay_alu instid0(SALU_CYCLE_1)
	s_add_u32 s16, s10, s4
	s_addc_u32 s17, s11, s5
.LBB49_3:
	s_load_b128 s[8:11], s[2:3], 0x0
	s_mul_i32 s2, s18, s13
	s_mul_hi_u32 s3, s18, s12
	s_mul_i32 s4, s19, s12
	s_add_i32 s3, s3, s2
	s_mul_i32 s2, s18, s12
	s_add_i32 s3, s3, s4
	v_lshlrev_b32_e32 v13, 4, v142
	s_lshl_b64 s[2:3], s[2:3], 4
	s_movk_i32 s12, 0xd0
	s_movk_i32 s13, 0xe0
	;; [unrolled: 1-line block ×11, first 2 shown]
	s_waitcnt lgkmcnt(0)
	v_add3_u32 v5, s11, s11, v142
	s_ashr_i32 s5, s10, 31
	s_mov_b32 s4, s10
	s_add_u32 s8, s8, s2
	s_addc_u32 s9, s9, s3
	v_add_nc_u32_e32 v7, s11, v5
	s_lshl_b64 s[2:3], s[4:5], 4
	v_ashrrev_i32_e32 v6, 31, v5
	s_add_u32 s2, s8, s2
	s_addc_u32 s3, s9, s3
	v_add_nc_u32_e32 v9, s11, v7
	v_add_co_u32 v42, s8, s2, v13
	v_ashrrev_i32_e32 v8, 31, v7
	s_mov_b32 s4, s11
	s_delay_alu instid0(VALU_DEP_3) | instskip(SKIP_3) | instid1(VALU_DEP_3)
	v_add_nc_u32_e32 v14, s11, v9
	s_ashr_i32 s5, s11, 31
	v_add_co_ci_u32_e64 v43, null, s3, 0, s8
	v_lshlrev_b64 v[5:6], 4, v[5:6]
	v_add_nc_u32_e32 v22, s11, v14
	s_lshl_b64 s[4:5], s[4:5], 4
	v_ashrrev_i32_e32 v10, 31, v9
	v_add_co_u32 v46, vcc_lo, v42, s4
	s_delay_alu instid0(VALU_DEP_3) | instskip(SKIP_3) | instid1(VALU_DEP_4)
	v_add_nc_u32_e32 v24, s11, v22
	v_lshlrev_b64 v[16:17], 4, v[7:8]
	v_ashrrev_i32_e32 v15, 31, v14
	v_add_co_ci_u32_e32 v47, vcc_lo, s5, v43, vcc_lo
	v_add_nc_u32_e32 v30, s11, v24
	v_add_co_u32 v44, vcc_lo, s2, v5
	v_lshlrev_b64 v[18:19], 4, v[9:10]
	v_add_co_ci_u32_e32 v45, vcc_lo, s3, v6, vcc_lo
	s_delay_alu instid0(VALU_DEP_4) | instskip(SKIP_3) | instid1(VALU_DEP_4)
	v_add_nc_u32_e32 v32, s11, v30
	v_add_co_u32 v52, vcc_lo, s2, v16
	v_lshlrev_b64 v[25:26], 4, v[14:15]
	v_add_co_ci_u32_e32 v53, vcc_lo, s3, v17, vcc_lo
	v_add_nc_u32_e32 v38, s11, v32
	v_add_co_u32 v48, vcc_lo, s2, v18
	v_ashrrev_i32_e32 v23, 31, v22
	v_add_co_ci_u32_e32 v49, vcc_lo, s3, v19, vcc_lo
	s_delay_alu instid0(VALU_DEP_4) | instskip(SKIP_3) | instid1(VALU_DEP_4)
	v_add_nc_u32_e32 v40, s11, v38
	v_add_co_u32 v50, vcc_lo, s2, v25
	v_ashrrev_i32_e32 v25, 31, v24
	v_lshlrev_b64 v[22:23], 4, v[22:23]
	v_add_nc_u32_e32 v64, s11, v40
	v_add_co_ci_u32_e32 v51, vcc_lo, s3, v26, vcc_lo
	s_delay_alu instid0(VALU_DEP_4)
	v_lshlrev_b64 v[33:34], 4, v[24:25]
	v_ashrrev_i32_e32 v31, 31, v30
	v_add_co_u32 v54, vcc_lo, s2, v22
	v_add_nc_u32_e32 v68, s11, v64
	v_add_co_ci_u32_e32 v55, vcc_lo, s3, v23, vcc_lo
	v_add_co_u32 v56, vcc_lo, s2, v33
	v_ashrrev_i32_e32 v33, 31, v32
	v_lshlrev_b64 v[30:31], 4, v[30:31]
	v_add_nc_u32_e32 v70, s11, v68
	v_ashrrev_i32_e32 v39, 31, v38
	v_ashrrev_i32_e32 v41, 31, v40
	v_lshlrev_b64 v[60:61], 4, v[32:33]
	v_add_co_ci_u32_e32 v57, vcc_lo, s3, v34, vcc_lo
	v_add_nc_u32_e32 v72, s11, v70
	v_add_co_u32 v58, vcc_lo, s2, v30
	v_lshlrev_b64 v[38:39], 4, v[38:39]
	v_ashrrev_i32_e32 v65, 31, v64
	v_add_co_ci_u32_e32 v59, vcc_lo, s3, v31, vcc_lo
	v_add_co_u32 v60, vcc_lo, s2, v60
	v_lshlrev_b64 v[66:67], 4, v[40:41]
	v_add_nc_u32_e32 v74, s11, v72
	v_add_co_ci_u32_e32 v61, vcc_lo, s3, v61, vcc_lo
	v_add_co_u32 v62, vcc_lo, s2, v38
	v_lshlrev_b64 v[77:78], 4, v[64:65]
	v_ashrrev_i32_e32 v69, 31, v68
	global_load_b128 v[1:4], v13, s[2:3]
	v_add_co_ci_u32_e32 v63, vcc_lo, s3, v39, vcc_lo
	s_clause 0x1
	global_load_b128 v[5:8], v[46:47], off
	global_load_b128 v[9:12], v[44:45], off
	v_add_nc_u32_e32 v76, s11, v74
	v_add_co_u32 v64, vcc_lo, s2, v66
	s_clause 0x1
	global_load_b128 v[14:17], v[52:53], off
	global_load_b128 v[18:21], v[48:49], off
	v_ashrrev_i32_e32 v71, 31, v70
	s_clause 0x1
	global_load_b128 v[22:25], v[50:51], off
	global_load_b128 v[26:29], v[54:55], off
	v_add_co_ci_u32_e32 v65, vcc_lo, s3, v67, vcc_lo
	s_clause 0x1
	global_load_b128 v[30:33], v[56:57], off
	global_load_b128 v[34:37], v[58:59], off
	v_add_co_u32 v66, vcc_lo, s2, v77
	v_lshlrev_b64 v[68:69], 4, v[68:69]
	s_clause 0x1
	global_load_b128 v[38:41], v[60:61], off
	global_load_b128 v[118:121], v[62:63], off
	v_add_co_ci_u32_e32 v67, vcc_lo, s3, v78, vcc_lo
	v_add_nc_u32_e32 v78, s11, v76
	v_lshlrev_b64 v[70:71], 4, v[70:71]
	v_ashrrev_i32_e32 v73, 31, v72
	v_add_co_u32 v68, vcc_lo, s2, v68
	s_delay_alu instid0(VALU_DEP_4)
	v_add_nc_u32_e32 v80, s11, v78
	v_ashrrev_i32_e32 v75, 31, v74
	v_add_co_ci_u32_e32 v69, vcc_lo, s3, v69, vcc_lo
	s_clause 0x1
	global_load_b128 v[122:125], v[64:65], off
	global_load_b128 v[126:129], v[66:67], off
	v_add_co_u32 v70, vcc_lo, s2, v70
	v_lshlrev_b64 v[72:73], 4, v[72:73]
	v_ashrrev_i32_e32 v77, 31, v76
	v_add_co_ci_u32_e32 v71, vcc_lo, s3, v71, vcc_lo
	v_add_nc_u32_e32 v82, s11, v80
	v_lshlrev_b64 v[74:75], 4, v[74:75]
	v_ashrrev_i32_e32 v79, 31, v78
	s_clause 0x1
	global_load_b128 v[130:133], v[68:69], off
	global_load_b128 v[134:137], v[70:71], off
	v_add_co_u32 v72, vcc_lo, s2, v72
	v_lshlrev_b64 v[76:77], 4, v[76:77]
	v_ashrrev_i32_e32 v81, 31, v80
	v_add_nc_u32_e32 v84, s11, v82
	v_add_co_ci_u32_e32 v73, vcc_lo, s3, v73, vcc_lo
	v_add_co_u32 v74, vcc_lo, s2, v74
	v_lshlrev_b64 v[78:79], 4, v[78:79]
	v_ashrrev_i32_e32 v83, 31, v82
	v_add_co_ci_u32_e32 v75, vcc_lo, s3, v75, vcc_lo
	v_add_co_u32 v76, vcc_lo, s2, v76
	v_lshlrev_b64 v[80:81], 4, v[80:81]
	v_ashrrev_i32_e32 v85, 31, v84
	v_add_co_ci_u32_e32 v77, vcc_lo, s3, v77, vcc_lo
	v_add_co_u32 v78, vcc_lo, s2, v78
	v_lshlrev_b64 v[82:83], 4, v[82:83]
	v_add_co_ci_u32_e32 v79, vcc_lo, s3, v79, vcc_lo
	v_add_nc_u32_e32 v86, s11, v84
	s_clause 0x1
	global_load_b128 v[138:141], v[72:73], off
	global_load_b128 v[143:146], v[74:75], off
	v_add_co_u32 v80, vcc_lo, s2, v80
	v_lshlrev_b64 v[84:85], 4, v[84:85]
	v_add_co_ci_u32_e32 v81, vcc_lo, s3, v81, vcc_lo
	v_add_co_u32 v82, vcc_lo, s2, v82
	v_add_co_ci_u32_e32 v83, vcc_lo, s3, v83, vcc_lo
	s_delay_alu instid0(VALU_DEP_4)
	v_add_co_u32 v84, vcc_lo, s2, v84
	v_add_co_ci_u32_e32 v85, vcc_lo, s3, v85, vcc_lo
	s_clause 0x4
	global_load_b128 v[147:150], v[76:77], off
	global_load_b128 v[151:154], v[78:79], off
	;; [unrolled: 1-line block ×5, first 2 shown]
	v_add_nc_u32_e32 v88, s11, v86
	v_ashrrev_i32_e32 v87, 31, v86
	s_movk_i32 s4, 0x70
	s_movk_i32 s5, 0x80
	;; [unrolled: 1-line block ×3, first 2 shown]
	v_add_nc_u32_e32 v90, s11, v88
	v_ashrrev_i32_e32 v89, 31, v88
	v_lshlrev_b64 v[86:87], 4, v[86:87]
	s_movk_i32 s9, 0xa0
	s_movk_i32 s10, 0xb0
	v_add_nc_u32_e32 v92, s11, v90
	v_ashrrev_i32_e32 v91, 31, v90
	v_lshlrev_b64 v[88:89], 4, v[88:89]
	v_add_co_u32 v86, vcc_lo, s2, v86
	s_delay_alu instid0(VALU_DEP_4) | instskip(NEXT) | instid1(VALU_DEP_4)
	v_add_nc_u32_e32 v94, s11, v92
	v_lshlrev_b64 v[90:91], 4, v[90:91]
	v_ashrrev_i32_e32 v93, 31, v92
	v_add_co_ci_u32_e32 v87, vcc_lo, s3, v87, vcc_lo
	s_delay_alu instid0(VALU_DEP_4) | instskip(SKIP_2) | instid1(VALU_DEP_3)
	v_add_nc_u32_e32 v96, s11, v94
	v_add_co_u32 v88, vcc_lo, s2, v88
	v_add_co_ci_u32_e32 v89, vcc_lo, s3, v89, vcc_lo
	v_add_nc_u32_e32 v98, s11, v96
	v_lshlrev_b64 v[190:191], 4, v[92:93]
	v_ashrrev_i32_e32 v95, 31, v94
	v_add_co_u32 v92, vcc_lo, s2, v90
	s_delay_alu instid0(VALU_DEP_4) | instskip(SKIP_3) | instid1(VALU_DEP_4)
	v_add_nc_u32_e32 v100, s11, v98
	v_add_co_ci_u32_e32 v93, vcc_lo, s3, v91, vcc_lo
	v_ashrrev_i32_e32 v97, 31, v96
	v_lshlrev_b64 v[194:195], 4, v[94:95]
	v_add_nc_u32_e32 v102, s11, v100
	v_add_co_u32 v94, vcc_lo, s2, v190
	v_add_co_ci_u32_e32 v95, vcc_lo, s3, v191, vcc_lo
	s_delay_alu instid0(VALU_DEP_3)
	v_add_nc_u32_e32 v104, s11, v102
	v_lshlrev_b64 v[190:191], 4, v[96:97]
	v_ashrrev_i32_e32 v99, 31, v98
	v_ashrrev_i32_e32 v101, 31, v100
	;; [unrolled: 1-line block ×3, first 2 shown]
	v_add_nc_u32_e32 v106, s11, v104
	v_ashrrev_i32_e32 v105, 31, v104
	v_lshlrev_b64 v[200:201], 4, v[98:99]
	s_clause 0x2
	global_load_b128 v[167:170], v[86:87], off
	global_load_b128 v[171:174], v[88:89], off
	;; [unrolled: 1-line block ×3, first 2 shown]
	v_add_nc_u32_e32 v108, s11, v106
	v_ashrrev_i32_e32 v107, 31, v106
	s_movk_i32 s29, 0x180
	s_movk_i32 s30, 0x190
	s_movk_i32 s31, 0x1a0
	v_add_nc_u32_e32 v110, s11, v108
	v_ashrrev_i32_e32 v109, 31, v108
	s_movk_i32 s33, 0x1b0
	s_movk_i32 s34, 0x1c0
	s_movk_i32 s35, 0x1d0
	;; [unrolled: 5-line block ×7, first 2 shown]
	v_add_nc_u32_e32 v183, s11, v181
	v_lshlrev_b64 v[179:180], 4, v[179:180]
	v_ashrrev_i32_e32 v182, 31, v181
	s_movk_i32 s51, 0x2d0
	s_movk_i32 s52, 0x2e0
	v_add_nc_u32_e32 v185, s11, v183
	v_ashrrev_i32_e32 v184, 31, v183
	v_lshlrev_b64 v[181:182], 4, v[181:182]
	s_movk_i32 s53, 0x2f0
	s_movk_i32 s54, 0x300
	v_add_nc_u32_e32 v187, s11, v185
	v_ashrrev_i32_e32 v186, 31, v185
	s_movk_i32 s55, 0x310
	s_bitcmp0_b32 s21, 0
	s_delay_alu instid0(VALU_DEP_2) | instskip(SKIP_1) | instid1(VALU_DEP_2)
	v_add_nc_u32_e32 v189, s11, v187
	v_ashrrev_i32_e32 v188, 31, v187
	v_add_nc_u32_e32 v220, s11, v189
	s_delay_alu instid0(VALU_DEP_1) | instskip(SKIP_1) | instid1(VALU_DEP_2)
	v_add_nc_u32_e32 v228, s11, v220
	v_ashrrev_i32_e32 v221, 31, v220
	v_add_nc_u32_e32 v230, s11, v228
	v_ashrrev_i32_e32 v229, 31, v228
	s_delay_alu instid0(VALU_DEP_2) | instskip(SKIP_1) | instid1(VALU_DEP_2)
	v_add_nc_u32_e32 v232, s11, v230
	v_ashrrev_i32_e32 v231, 31, v230
	v_add_nc_u32_e32 v234, s11, v232
	v_ashrrev_i32_e32 v233, 31, v232
	s_delay_alu instid0(VALU_DEP_2) | instskip(SKIP_2) | instid1(VALU_DEP_2)
	v_add_nc_u32_e32 v192, s11, v234
	v_ashrrev_i32_e32 v235, 31, v234
	s_movk_i32 s11, 0xc0
	v_ashrrev_i32_e32 v193, 31, v192
	s_delay_alu instid0(VALU_DEP_1) | instskip(NEXT) | instid1(VALU_DEP_1)
	v_lshlrev_b64 v[90:91], 4, v[192:193]
	v_add_co_u32 v90, vcc_lo, s2, v90
	s_delay_alu instid0(VALU_DEP_2)
	v_add_co_ci_u32_e32 v91, vcc_lo, s3, v91, vcc_lo
	v_add_co_u32 v96, vcc_lo, s2, v194
	v_add_co_ci_u32_e32 v97, vcc_lo, s3, v195, vcc_lo
	v_add_co_u32 v98, vcc_lo, s2, v190
	v_add_co_ci_u32_e32 v99, vcc_lo, s3, v191, vcc_lo
	v_lshlrev_b64 v[190:191], 4, v[100:101]
	v_add_co_u32 v100, vcc_lo, s2, v200
	v_add_co_ci_u32_e32 v101, vcc_lo, s3, v201, vcc_lo
	v_lshlrev_b64 v[200:201], 4, v[102:103]
	s_delay_alu instid0(VALU_DEP_4) | instskip(SKIP_2) | instid1(VALU_DEP_4)
	v_add_co_u32 v102, vcc_lo, s2, v190
	v_add_co_ci_u32_e32 v103, vcc_lo, s3, v191, vcc_lo
	v_lshlrev_b64 v[190:191], 4, v[104:105]
	v_add_co_u32 v104, vcc_lo, s2, v200
	v_add_co_ci_u32_e32 v105, vcc_lo, s3, v201, vcc_lo
	v_lshlrev_b64 v[200:201], 4, v[106:107]
	s_delay_alu instid0(VALU_DEP_4) | instskip(SKIP_2) | instid1(VALU_DEP_4)
	;; [unrolled: 7-line block ×3, first 2 shown]
	v_add_co_u32 v110, vcc_lo, s2, v190
	v_add_co_ci_u32_e32 v111, vcc_lo, s3, v191, vcc_lo
	v_lshlrev_b64 v[190:191], 4, v[112:113]
	v_add_co_u32 v112, vcc_lo, s2, v200
	v_add_co_ci_u32_e32 v113, vcc_lo, s3, v201, vcc_lo
	v_lshlrev_b64 v[200:201], 4, v[114:115]
	s_delay_alu instid0(VALU_DEP_4)
	v_add_co_u32 v114, vcc_lo, s2, v190
	v_add_co_ci_u32_e32 v115, vcc_lo, s3, v191, vcc_lo
	v_lshlrev_b64 v[190:191], 4, v[116:117]
	global_load_b128 v[192:195], v[90:91], off
	v_add_co_u32 v116, vcc_lo, s2, v200
	v_add_co_ci_u32_e32 v117, vcc_lo, s3, v201, vcc_lo
	s_waitcnt vmcnt(25)
	scratch_store_b128 off, v[1:4], off
	s_clause 0x1
	global_load_b128 v[1:4], v[94:95], off
	global_load_b128 v[196:199], v[96:97], off
	s_waitcnt vmcnt(26)
	scratch_store_b128 off, v[5:8], off offset:16
	s_waitcnt vmcnt(25)
	scratch_store_b128 off, v[9:12], off offset:32
	s_clause 0x1
	global_load_b128 v[5:8], v[98:99], off
	global_load_b128 v[9:12], v[100:101], off
	s_waitcnt vmcnt(26)
	scratch_store_b128 off, v[14:17], off offset:48
	s_waitcnt vmcnt(25)
	scratch_store_b128 off, v[18:21], off offset:64
	;; [unrolled: 7-line block ×5, first 2 shown]
	v_add_co_u32 v118, vcc_lo, s2, v190
	v_add_co_ci_u32_e32 v119, vcc_lo, s3, v191, vcc_lo
	v_add_co_u32 v120, vcc_lo, s2, v179
	v_add_co_ci_u32_e32 v121, vcc_lo, s3, v180, vcc_lo
	v_lshlrev_b64 v[179:180], 4, v[183:184]
	s_clause 0x1
	global_load_b128 v[38:41], v[114:115], off
	global_load_b128 v[200:203], v[116:117], off
	s_waitcnt vmcnt(26)
	scratch_store_b128 off, v[122:125], off offset:176
	s_waitcnt vmcnt(25)
	scratch_store_b128 off, v[126:129], off offset:192
	v_add_co_u32 v122, vcc_lo, s2, v181
	v_lshlrev_b64 v[126:127], 4, v[185:186]
	v_ashrrev_i32_e32 v190, 31, v189
	v_add_co_ci_u32_e32 v123, vcc_lo, s3, v182, vcc_lo
	v_add_co_u32 v124, vcc_lo, s2, v179
	v_lshlrev_b64 v[128:129], 4, v[187:188]
	v_add_co_ci_u32_e32 v125, vcc_lo, s3, v180, vcc_lo
	s_clause 0x1
	global_load_b128 v[204:207], v[118:119], off
	global_load_b128 v[208:211], v[120:121], off
	s_waitcnt vmcnt(26)
	scratch_store_b128 off, v[130:133], off offset:208
	s_waitcnt vmcnt(25)
	scratch_store_b128 off, v[134:137], off offset:224
	v_add_co_u32 v126, vcc_lo, s2, v126
	v_lshlrev_b64 v[130:131], 4, v[189:190]
	v_add_co_ci_u32_e32 v127, vcc_lo, s3, v127, vcc_lo
	v_add_co_u32 v128, vcc_lo, s2, v128
	v_lshlrev_b64 v[132:133], 4, v[220:221]
	v_add_co_ci_u32_e32 v129, vcc_lo, s3, v129, vcc_lo
	;; [unrolled: 3-line block ×4, first 2 shown]
	s_clause 0x1
	global_load_b128 v[212:215], v[122:123], off
	global_load_b128 v[216:219], v[124:125], off
	s_waitcnt vmcnt(26)
	scratch_store_b128 off, v[138:141], off offset:240
	s_waitcnt vmcnt(25)
	scratch_store_b128 off, v[143:146], off offset:256
	v_add_co_u32 v134, vcc_lo, s2, v134
	v_lshlrev_b64 v[138:139], 4, v[232:233]
	v_add_co_ci_u32_e32 v135, vcc_lo, s3, v135, vcc_lo
	v_add_co_u32 v136, vcc_lo, s2, v136
	v_lshlrev_b64 v[140:141], 4, v[234:235]
	v_add_co_ci_u32_e32 v137, vcc_lo, s3, v137, vcc_lo
	v_add_co_u32 v138, vcc_lo, s2, v138
	v_add_co_ci_u32_e32 v139, vcc_lo, s3, v139, vcc_lo
	s_clause 0x1
	global_load_b128 v[220:223], v[126:127], off
	global_load_b128 v[224:227], v[128:129], off
	s_waitcnt vmcnt(26)
	scratch_store_b128 off, v[147:150], off offset:272
	s_waitcnt vmcnt(25)
	scratch_store_b128 off, v[151:154], off offset:288
	v_add_co_u32 v140, vcc_lo, s2, v140
	s_clause 0x1
	global_load_b128 v[148:151], v[130:131], off
	global_load_b128 v[228:231], v[132:133], off
	s_waitcnt vmcnt(26)
	scratch_store_b128 off, v[155:158], off offset:304
	s_waitcnt vmcnt(25)
	scratch_store_b128 off, v[159:162], off offset:320
	s_clause 0x1
	global_load_b128 v[232:235], v[134:135], off
	global_load_b128 v[236:239], v[136:137], off
	v_add_co_ci_u32_e32 v141, vcc_lo, s3, v141, vcc_lo
	global_load_b128 v[240:243], v[138:139], off
	s_movk_i32 s2, 0x50
	s_movk_i32 s3, 0x60
	global_load_b128 v[244:247], v[140:141], off
	s_waitcnt vmcnt(28)
	scratch_store_b128 off, v[163:166], off offset:336
	v_add_nc_u32_e64 v191, 0, 16
	v_add_nc_u32_e64 v190, 0, 32
	;; [unrolled: 1-line block ×33, first 2 shown]
	s_mov_b32 s3, -1
	s_waitcnt vmcnt(27)
	scratch_store_b128 off, v[167:170], off offset:352
	s_waitcnt vmcnt(26)
	scratch_store_b128 off, v[171:174], off offset:368
	;; [unrolled: 2-line block ×3, first 2 shown]
	v_add_nc_u32_e64 v178, s13, 0
	v_add_nc_u32_e64 v177, s14, 0
	;; [unrolled: 1-line block ×12, first 2 shown]
	s_waitcnt vmcnt(23)
	scratch_store_b128 off, v[1:4], off offset:400
	s_waitcnt vmcnt(22)
	scratch_store_b128 off, v[196:199], off offset:416
	;; [unrolled: 2-line block ×23, first 2 shown]
	v_add_nc_u32_e64 v151, s52, 0
	v_add_nc_u32_e64 v150, s53, 0
	;; [unrolled: 1-line block ×4, first 2 shown]
	s_waitcnt vmcnt(0)
	s_clause 0x1
	scratch_store_b128 off, v[244:247], off offset:768
	scratch_store_b128 off, v[192:195], off offset:784
	s_cbranch_scc1 .LBB49_212
; %bb.4:
	v_cmp_eq_u32_e64 s2, 0, v142
	s_delay_alu instid0(VALU_DEP_1)
	s_and_saveexec_b32 s3, s2
	s_cbranch_execz .LBB49_6
; %bb.5:
	v_mov_b32_e32 v1, 0
	ds_store_b32 v1, v1 offset:1600
.LBB49_6:
	s_or_b32 exec_lo, exec_lo, s3
	s_waitcnt lgkmcnt(0)
	s_waitcnt_vscnt null, 0x0
	s_barrier
	buffer_gl0_inv
	scratch_load_b128 v[1:4], v13, off
	s_waitcnt vmcnt(0)
	v_cmp_eq_f64_e32 vcc_lo, 0, v[1:2]
	v_cmp_eq_f64_e64 s3, 0, v[3:4]
	s_delay_alu instid0(VALU_DEP_1) | instskip(NEXT) | instid1(SALU_CYCLE_1)
	s_and_b32 s3, vcc_lo, s3
	s_and_saveexec_b32 s4, s3
	s_cbranch_execz .LBB49_10
; %bb.7:
	v_mov_b32_e32 v1, 0
	s_mov_b32 s5, 0
	ds_load_b32 v2, v1 offset:1600
	s_waitcnt lgkmcnt(0)
	v_readfirstlane_b32 s3, v2
	v_add_nc_u32_e32 v2, 1, v142
	s_delay_alu instid0(VALU_DEP_2) | instskip(NEXT) | instid1(VALU_DEP_1)
	s_cmp_eq_u32 s3, 0
	v_cmp_gt_i32_e32 vcc_lo, s3, v2
	s_cselect_b32 s8, -1, 0
	s_delay_alu instid0(SALU_CYCLE_1) | instskip(NEXT) | instid1(SALU_CYCLE_1)
	s_or_b32 s8, s8, vcc_lo
	s_and_b32 exec_lo, exec_lo, s8
	s_cbranch_execz .LBB49_10
; %bb.8:
	v_mov_b32_e32 v3, s3
.LBB49_9:                               ; =>This Inner Loop Header: Depth=1
	ds_cmpstore_rtn_b32 v3, v1, v2, v3 offset:1600
	s_waitcnt lgkmcnt(0)
	v_cmp_ne_u32_e32 vcc_lo, 0, v3
	v_cmp_le_i32_e64 s3, v3, v2
	s_delay_alu instid0(VALU_DEP_1) | instskip(NEXT) | instid1(SALU_CYCLE_1)
	s_and_b32 s3, vcc_lo, s3
	s_and_b32 s3, exec_lo, s3
	s_delay_alu instid0(SALU_CYCLE_1) | instskip(NEXT) | instid1(SALU_CYCLE_1)
	s_or_b32 s5, s3, s5
	s_and_not1_b32 exec_lo, exec_lo, s5
	s_cbranch_execnz .LBB49_9
.LBB49_10:
	s_or_b32 exec_lo, exec_lo, s4
	v_mov_b32_e32 v1, 0
	s_barrier
	buffer_gl0_inv
	ds_load_b32 v2, v1 offset:1600
	s_and_saveexec_b32 s3, s2
	s_cbranch_execz .LBB49_12
; %bb.11:
	s_lshl_b64 s[4:5], s[18:19], 2
	s_delay_alu instid0(SALU_CYCLE_1)
	s_add_u32 s4, s6, s4
	s_addc_u32 s5, s7, s5
	s_waitcnt lgkmcnt(0)
	global_store_b32 v1, v2, s[4:5]
.LBB49_12:
	s_or_b32 exec_lo, exec_lo, s3
	s_waitcnt lgkmcnt(0)
	v_cmp_ne_u32_e32 vcc_lo, 0, v2
	s_mov_b32 s3, 0
	s_cbranch_vccnz .LBB49_212
; %bb.13:
	v_add_nc_u32_e32 v14, 0, v13
                                        ; implicit-def: $vgpr9_vgpr10
	scratch_load_b128 v[1:4], v14, off
	s_waitcnt vmcnt(0)
	v_mov_b32_e32 v5, v1
	v_cmp_gt_f64_e32 vcc_lo, 0, v[1:2]
	v_xor_b32_e32 v6, 0x80000000, v2
	v_xor_b32_e32 v7, 0x80000000, v4
	s_delay_alu instid0(VALU_DEP_2) | instskip(SKIP_1) | instid1(VALU_DEP_3)
	v_cndmask_b32_e32 v6, v2, v6, vcc_lo
	v_cmp_gt_f64_e32 vcc_lo, 0, v[3:4]
	v_dual_cndmask_b32 v8, v4, v7 :: v_dual_mov_b32 v7, v3
	s_delay_alu instid0(VALU_DEP_1) | instskip(SKIP_1) | instid1(SALU_CYCLE_1)
	v_cmp_ngt_f64_e32 vcc_lo, v[5:6], v[7:8]
                                        ; implicit-def: $vgpr5_vgpr6
	s_and_saveexec_b32 s3, vcc_lo
	s_xor_b32 s3, exec_lo, s3
	s_cbranch_execz .LBB49_15
; %bb.14:
	v_div_scale_f64 v[5:6], null, v[3:4], v[3:4], v[1:2]
	v_div_scale_f64 v[11:12], vcc_lo, v[1:2], v[3:4], v[1:2]
	s_delay_alu instid0(VALU_DEP_2) | instskip(SKIP_2) | instid1(VALU_DEP_1)
	v_rcp_f64_e32 v[7:8], v[5:6]
	s_waitcnt_depctr 0xfff
	v_fma_f64 v[9:10], -v[5:6], v[7:8], 1.0
	v_fma_f64 v[7:8], v[7:8], v[9:10], v[7:8]
	s_delay_alu instid0(VALU_DEP_1) | instskip(NEXT) | instid1(VALU_DEP_1)
	v_fma_f64 v[9:10], -v[5:6], v[7:8], 1.0
	v_fma_f64 v[7:8], v[7:8], v[9:10], v[7:8]
	s_delay_alu instid0(VALU_DEP_1) | instskip(NEXT) | instid1(VALU_DEP_1)
	v_mul_f64 v[9:10], v[11:12], v[7:8]
	v_fma_f64 v[5:6], -v[5:6], v[9:10], v[11:12]
	s_delay_alu instid0(VALU_DEP_1) | instskip(NEXT) | instid1(VALU_DEP_1)
	v_div_fmas_f64 v[5:6], v[5:6], v[7:8], v[9:10]
	v_div_fixup_f64 v[5:6], v[5:6], v[3:4], v[1:2]
	s_delay_alu instid0(VALU_DEP_1) | instskip(NEXT) | instid1(VALU_DEP_1)
	v_fma_f64 v[1:2], v[1:2], v[5:6], v[3:4]
	v_div_scale_f64 v[3:4], null, v[1:2], v[1:2], 1.0
	v_div_scale_f64 v[11:12], vcc_lo, 1.0, v[1:2], 1.0
	s_delay_alu instid0(VALU_DEP_2) | instskip(SKIP_2) | instid1(VALU_DEP_1)
	v_rcp_f64_e32 v[7:8], v[3:4]
	s_waitcnt_depctr 0xfff
	v_fma_f64 v[9:10], -v[3:4], v[7:8], 1.0
	v_fma_f64 v[7:8], v[7:8], v[9:10], v[7:8]
	s_delay_alu instid0(VALU_DEP_1) | instskip(NEXT) | instid1(VALU_DEP_1)
	v_fma_f64 v[9:10], -v[3:4], v[7:8], 1.0
	v_fma_f64 v[7:8], v[7:8], v[9:10], v[7:8]
	s_delay_alu instid0(VALU_DEP_1) | instskip(NEXT) | instid1(VALU_DEP_1)
	v_mul_f64 v[9:10], v[11:12], v[7:8]
	v_fma_f64 v[3:4], -v[3:4], v[9:10], v[11:12]
	s_delay_alu instid0(VALU_DEP_1) | instskip(NEXT) | instid1(VALU_DEP_1)
	v_div_fmas_f64 v[3:4], v[3:4], v[7:8], v[9:10]
	v_div_fixup_f64 v[7:8], v[3:4], v[1:2], 1.0
                                        ; implicit-def: $vgpr1_vgpr2
	s_delay_alu instid0(VALU_DEP_1) | instskip(SKIP_1) | instid1(VALU_DEP_2)
	v_mul_f64 v[5:6], v[5:6], v[7:8]
	v_xor_b32_e32 v8, 0x80000000, v8
	v_xor_b32_e32 v10, 0x80000000, v6
	s_delay_alu instid0(VALU_DEP_3)
	v_mov_b32_e32 v9, v5
.LBB49_15:
	s_and_not1_saveexec_b32 s3, s3
	s_cbranch_execz .LBB49_17
; %bb.16:
	v_div_scale_f64 v[5:6], null, v[1:2], v[1:2], v[3:4]
	v_div_scale_f64 v[11:12], vcc_lo, v[3:4], v[1:2], v[3:4]
	s_delay_alu instid0(VALU_DEP_2) | instskip(SKIP_2) | instid1(VALU_DEP_1)
	v_rcp_f64_e32 v[7:8], v[5:6]
	s_waitcnt_depctr 0xfff
	v_fma_f64 v[9:10], -v[5:6], v[7:8], 1.0
	v_fma_f64 v[7:8], v[7:8], v[9:10], v[7:8]
	s_delay_alu instid0(VALU_DEP_1) | instskip(NEXT) | instid1(VALU_DEP_1)
	v_fma_f64 v[9:10], -v[5:6], v[7:8], 1.0
	v_fma_f64 v[7:8], v[7:8], v[9:10], v[7:8]
	s_delay_alu instid0(VALU_DEP_1) | instskip(NEXT) | instid1(VALU_DEP_1)
	v_mul_f64 v[9:10], v[11:12], v[7:8]
	v_fma_f64 v[5:6], -v[5:6], v[9:10], v[11:12]
	s_delay_alu instid0(VALU_DEP_1) | instskip(NEXT) | instid1(VALU_DEP_1)
	v_div_fmas_f64 v[5:6], v[5:6], v[7:8], v[9:10]
	v_div_fixup_f64 v[7:8], v[5:6], v[1:2], v[3:4]
	s_delay_alu instid0(VALU_DEP_1) | instskip(NEXT) | instid1(VALU_DEP_1)
	v_fma_f64 v[1:2], v[3:4], v[7:8], v[1:2]
	v_div_scale_f64 v[3:4], null, v[1:2], v[1:2], 1.0
	s_delay_alu instid0(VALU_DEP_1) | instskip(SKIP_2) | instid1(VALU_DEP_1)
	v_rcp_f64_e32 v[5:6], v[3:4]
	s_waitcnt_depctr 0xfff
	v_fma_f64 v[9:10], -v[3:4], v[5:6], 1.0
	v_fma_f64 v[5:6], v[5:6], v[9:10], v[5:6]
	s_delay_alu instid0(VALU_DEP_1) | instskip(NEXT) | instid1(VALU_DEP_1)
	v_fma_f64 v[9:10], -v[3:4], v[5:6], 1.0
	v_fma_f64 v[5:6], v[5:6], v[9:10], v[5:6]
	v_div_scale_f64 v[9:10], vcc_lo, 1.0, v[1:2], 1.0
	s_delay_alu instid0(VALU_DEP_1) | instskip(NEXT) | instid1(VALU_DEP_1)
	v_mul_f64 v[11:12], v[9:10], v[5:6]
	v_fma_f64 v[3:4], -v[3:4], v[11:12], v[9:10]
	s_delay_alu instid0(VALU_DEP_1) | instskip(NEXT) | instid1(VALU_DEP_1)
	v_div_fmas_f64 v[3:4], v[3:4], v[5:6], v[11:12]
	v_div_fixup_f64 v[5:6], v[3:4], v[1:2], 1.0
	s_delay_alu instid0(VALU_DEP_1)
	v_mul_f64 v[7:8], v[7:8], -v[5:6]
	v_xor_b32_e32 v10, 0x80000000, v6
	v_mov_b32_e32 v9, v5
.LBB49_17:
	s_or_b32 exec_lo, exec_lo, s3
	scratch_store_b128 v14, v[5:8], off
	scratch_load_b128 v[1:4], v191, off
	v_xor_b32_e32 v12, 0x80000000, v8
	v_mov_b32_e32 v11, v7
	v_add_nc_u32_e32 v5, 0x320, v13
	ds_store_b128 v13, v[9:12]
	s_waitcnt vmcnt(0)
	ds_store_b128 v13, v[1:4] offset:800
	s_waitcnt lgkmcnt(0)
	s_waitcnt_vscnt null, 0x0
	s_barrier
	buffer_gl0_inv
	s_and_saveexec_b32 s3, s2
	s_cbranch_execz .LBB49_19
; %bb.18:
	scratch_load_b128 v[1:4], v14, off
	ds_load_b128 v[6:9], v5
	v_mov_b32_e32 v10, 0
	ds_load_b128 v[15:18], v10 offset:16
	s_waitcnt vmcnt(0) lgkmcnt(1)
	v_mul_f64 v[10:11], v[6:7], v[3:4]
	v_mul_f64 v[3:4], v[8:9], v[3:4]
	s_delay_alu instid0(VALU_DEP_2) | instskip(NEXT) | instid1(VALU_DEP_2)
	v_fma_f64 v[8:9], v[8:9], v[1:2], v[10:11]
	v_fma_f64 v[1:2], v[6:7], v[1:2], -v[3:4]
	s_delay_alu instid0(VALU_DEP_2) | instskip(NEXT) | instid1(VALU_DEP_2)
	v_add_f64 v[3:4], v[8:9], 0
	v_add_f64 v[1:2], v[1:2], 0
	s_waitcnt lgkmcnt(0)
	s_delay_alu instid0(VALU_DEP_2) | instskip(NEXT) | instid1(VALU_DEP_2)
	v_mul_f64 v[6:7], v[3:4], v[17:18]
	v_mul_f64 v[8:9], v[1:2], v[17:18]
	s_delay_alu instid0(VALU_DEP_2) | instskip(NEXT) | instid1(VALU_DEP_2)
	v_fma_f64 v[1:2], v[1:2], v[15:16], -v[6:7]
	v_fma_f64 v[3:4], v[3:4], v[15:16], v[8:9]
	scratch_store_b128 off, v[1:4], off offset:16
.LBB49_19:
	s_or_b32 exec_lo, exec_lo, s3
	s_waitcnt_vscnt null, 0x0
	s_barrier
	buffer_gl0_inv
	scratch_load_b128 v[1:4], v190, off
	s_mov_b32 s3, exec_lo
	s_waitcnt vmcnt(0)
	ds_store_b128 v5, v[1:4]
	s_waitcnt lgkmcnt(0)
	s_barrier
	buffer_gl0_inv
	v_cmpx_gt_u32_e32 2, v142
	s_cbranch_execz .LBB49_23
; %bb.20:
	scratch_load_b128 v[1:4], v14, off
	ds_load_b128 v[6:9], v5
	s_waitcnt vmcnt(0) lgkmcnt(0)
	v_mul_f64 v[10:11], v[8:9], v[3:4]
	v_mul_f64 v[3:4], v[6:7], v[3:4]
	s_delay_alu instid0(VALU_DEP_2) | instskip(NEXT) | instid1(VALU_DEP_2)
	v_fma_f64 v[6:7], v[6:7], v[1:2], -v[10:11]
	v_fma_f64 v[3:4], v[8:9], v[1:2], v[3:4]
	s_delay_alu instid0(VALU_DEP_2) | instskip(NEXT) | instid1(VALU_DEP_2)
	v_add_f64 v[1:2], v[6:7], 0
	v_add_f64 v[3:4], v[3:4], 0
	s_and_saveexec_b32 s4, s2
	s_cbranch_execz .LBB49_22
; %bb.21:
	scratch_load_b128 v[6:9], off, off offset:16
	v_mov_b32_e32 v10, 0
	ds_load_b128 v[15:18], v10 offset:816
	s_waitcnt vmcnt(0) lgkmcnt(0)
	v_mul_f64 v[10:11], v[15:16], v[8:9]
	v_mul_f64 v[8:9], v[17:18], v[8:9]
	s_delay_alu instid0(VALU_DEP_2) | instskip(NEXT) | instid1(VALU_DEP_2)
	v_fma_f64 v[10:11], v[17:18], v[6:7], v[10:11]
	v_fma_f64 v[6:7], v[15:16], v[6:7], -v[8:9]
	s_delay_alu instid0(VALU_DEP_2) | instskip(NEXT) | instid1(VALU_DEP_2)
	v_add_f64 v[3:4], v[3:4], v[10:11]
	v_add_f64 v[1:2], v[1:2], v[6:7]
.LBB49_22:
	s_or_b32 exec_lo, exec_lo, s4
	v_mov_b32_e32 v6, 0
	ds_load_b128 v[6:9], v6 offset:32
	s_waitcnt lgkmcnt(0)
	v_mul_f64 v[10:11], v[3:4], v[8:9]
	v_mul_f64 v[8:9], v[1:2], v[8:9]
	s_delay_alu instid0(VALU_DEP_2) | instskip(NEXT) | instid1(VALU_DEP_2)
	v_fma_f64 v[1:2], v[1:2], v[6:7], -v[10:11]
	v_fma_f64 v[3:4], v[3:4], v[6:7], v[8:9]
	scratch_store_b128 off, v[1:4], off offset:32
.LBB49_23:
	s_or_b32 exec_lo, exec_lo, s3
	s_waitcnt_vscnt null, 0x0
	s_barrier
	buffer_gl0_inv
	scratch_load_b128 v[1:4], v189, off
	v_add_nc_u32_e32 v6, -1, v142
	s_mov_b32 s2, exec_lo
	s_waitcnt vmcnt(0)
	ds_store_b128 v5, v[1:4]
	s_waitcnt lgkmcnt(0)
	s_barrier
	buffer_gl0_inv
	v_cmpx_gt_u32_e32 3, v142
	s_cbranch_execz .LBB49_27
; %bb.24:
	v_dual_mov_b32 v1, 0 :: v_dual_add_nc_u32 v8, 0x320, v13
	v_dual_mov_b32 v2, 0 :: v_dual_add_nc_u32 v7, -1, v142
	v_or_b32_e32 v9, 8, v14
	s_mov_b32 s3, 0
	s_delay_alu instid0(VALU_DEP_2)
	v_dual_mov_b32 v4, v2 :: v_dual_mov_b32 v3, v1
	.p2align	6
.LBB49_25:                              ; =>This Inner Loop Header: Depth=1
	scratch_load_b128 v[15:18], v9, off offset:-8
	ds_load_b128 v[19:22], v8
	v_add_nc_u32_e32 v7, 1, v7
	v_add_nc_u32_e32 v8, 16, v8
	;; [unrolled: 1-line block ×3, first 2 shown]
	s_delay_alu instid0(VALU_DEP_3) | instskip(SKIP_4) | instid1(VALU_DEP_2)
	v_cmp_lt_u32_e32 vcc_lo, 1, v7
	s_or_b32 s3, vcc_lo, s3
	s_waitcnt vmcnt(0) lgkmcnt(0)
	v_mul_f64 v[10:11], v[21:22], v[17:18]
	v_mul_f64 v[17:18], v[19:20], v[17:18]
	v_fma_f64 v[10:11], v[19:20], v[15:16], -v[10:11]
	s_delay_alu instid0(VALU_DEP_2) | instskip(NEXT) | instid1(VALU_DEP_2)
	v_fma_f64 v[15:16], v[21:22], v[15:16], v[17:18]
	v_add_f64 v[3:4], v[3:4], v[10:11]
	s_delay_alu instid0(VALU_DEP_2)
	v_add_f64 v[1:2], v[1:2], v[15:16]
	s_and_not1_b32 exec_lo, exec_lo, s3
	s_cbranch_execnz .LBB49_25
; %bb.26:
	s_or_b32 exec_lo, exec_lo, s3
	v_mov_b32_e32 v7, 0
	ds_load_b128 v[7:10], v7 offset:48
	s_waitcnt lgkmcnt(0)
	v_mul_f64 v[11:12], v[1:2], v[9:10]
	v_mul_f64 v[15:16], v[3:4], v[9:10]
	s_delay_alu instid0(VALU_DEP_2) | instskip(NEXT) | instid1(VALU_DEP_2)
	v_fma_f64 v[9:10], v[3:4], v[7:8], -v[11:12]
	v_fma_f64 v[11:12], v[1:2], v[7:8], v[15:16]
	scratch_store_b128 off, v[9:12], off offset:48
.LBB49_27:
	s_or_b32 exec_lo, exec_lo, s2
	s_waitcnt_vscnt null, 0x0
	s_barrier
	buffer_gl0_inv
	scratch_load_b128 v[1:4], v188, off
	s_mov_b32 s2, exec_lo
	s_waitcnt vmcnt(0)
	ds_store_b128 v5, v[1:4]
	s_waitcnt lgkmcnt(0)
	s_barrier
	buffer_gl0_inv
	v_cmpx_gt_u32_e32 4, v142
	s_cbranch_execz .LBB49_31
; %bb.28:
	v_dual_mov_b32 v1, 0 :: v_dual_add_nc_u32 v8, 0x320, v13
	v_dual_mov_b32 v2, 0 :: v_dual_add_nc_u32 v7, -1, v142
	v_or_b32_e32 v9, 8, v14
	s_mov_b32 s3, 0
	s_delay_alu instid0(VALU_DEP_2)
	v_dual_mov_b32 v4, v2 :: v_dual_mov_b32 v3, v1
	.p2align	6
.LBB49_29:                              ; =>This Inner Loop Header: Depth=1
	scratch_load_b128 v[15:18], v9, off offset:-8
	ds_load_b128 v[19:22], v8
	v_add_nc_u32_e32 v7, 1, v7
	v_add_nc_u32_e32 v8, 16, v8
	;; [unrolled: 1-line block ×3, first 2 shown]
	s_delay_alu instid0(VALU_DEP_3) | instskip(SKIP_4) | instid1(VALU_DEP_2)
	v_cmp_lt_u32_e32 vcc_lo, 2, v7
	s_or_b32 s3, vcc_lo, s3
	s_waitcnt vmcnt(0) lgkmcnt(0)
	v_mul_f64 v[10:11], v[21:22], v[17:18]
	v_mul_f64 v[17:18], v[19:20], v[17:18]
	v_fma_f64 v[10:11], v[19:20], v[15:16], -v[10:11]
	s_delay_alu instid0(VALU_DEP_2) | instskip(NEXT) | instid1(VALU_DEP_2)
	v_fma_f64 v[15:16], v[21:22], v[15:16], v[17:18]
	v_add_f64 v[3:4], v[3:4], v[10:11]
	s_delay_alu instid0(VALU_DEP_2)
	v_add_f64 v[1:2], v[1:2], v[15:16]
	s_and_not1_b32 exec_lo, exec_lo, s3
	s_cbranch_execnz .LBB49_29
; %bb.30:
	s_or_b32 exec_lo, exec_lo, s3
	v_mov_b32_e32 v7, 0
	ds_load_b128 v[7:10], v7 offset:64
	s_waitcnt lgkmcnt(0)
	v_mul_f64 v[11:12], v[1:2], v[9:10]
	v_mul_f64 v[15:16], v[3:4], v[9:10]
	s_delay_alu instid0(VALU_DEP_2) | instskip(NEXT) | instid1(VALU_DEP_2)
	v_fma_f64 v[9:10], v[3:4], v[7:8], -v[11:12]
	v_fma_f64 v[11:12], v[1:2], v[7:8], v[15:16]
	scratch_store_b128 off, v[9:12], off offset:64
.LBB49_31:
	s_or_b32 exec_lo, exec_lo, s2
	s_waitcnt_vscnt null, 0x0
	s_barrier
	buffer_gl0_inv
	scratch_load_b128 v[1:4], v187, off
	s_mov_b32 s2, exec_lo
	s_waitcnt vmcnt(0)
	ds_store_b128 v5, v[1:4]
	s_waitcnt lgkmcnt(0)
	s_barrier
	buffer_gl0_inv
	v_cmpx_gt_u32_e32 5, v142
	s_cbranch_execz .LBB49_35
; %bb.32:
	v_dual_mov_b32 v1, 0 :: v_dual_add_nc_u32 v8, 0x320, v13
	v_dual_mov_b32 v2, 0 :: v_dual_add_nc_u32 v7, -1, v142
	v_or_b32_e32 v9, 8, v14
	s_mov_b32 s3, 0
	s_delay_alu instid0(VALU_DEP_2)
	v_dual_mov_b32 v4, v2 :: v_dual_mov_b32 v3, v1
	.p2align	6
.LBB49_33:                              ; =>This Inner Loop Header: Depth=1
	scratch_load_b128 v[15:18], v9, off offset:-8
	ds_load_b128 v[19:22], v8
	v_add_nc_u32_e32 v7, 1, v7
	v_add_nc_u32_e32 v8, 16, v8
	v_add_nc_u32_e32 v9, 16, v9
	s_delay_alu instid0(VALU_DEP_3) | instskip(SKIP_4) | instid1(VALU_DEP_2)
	v_cmp_lt_u32_e32 vcc_lo, 3, v7
	s_or_b32 s3, vcc_lo, s3
	s_waitcnt vmcnt(0) lgkmcnt(0)
	v_mul_f64 v[10:11], v[21:22], v[17:18]
	v_mul_f64 v[17:18], v[19:20], v[17:18]
	v_fma_f64 v[10:11], v[19:20], v[15:16], -v[10:11]
	s_delay_alu instid0(VALU_DEP_2) | instskip(NEXT) | instid1(VALU_DEP_2)
	v_fma_f64 v[15:16], v[21:22], v[15:16], v[17:18]
	v_add_f64 v[3:4], v[3:4], v[10:11]
	s_delay_alu instid0(VALU_DEP_2)
	v_add_f64 v[1:2], v[1:2], v[15:16]
	s_and_not1_b32 exec_lo, exec_lo, s3
	s_cbranch_execnz .LBB49_33
; %bb.34:
	s_or_b32 exec_lo, exec_lo, s3
	v_mov_b32_e32 v7, 0
	ds_load_b128 v[7:10], v7 offset:80
	s_waitcnt lgkmcnt(0)
	v_mul_f64 v[11:12], v[1:2], v[9:10]
	v_mul_f64 v[15:16], v[3:4], v[9:10]
	s_delay_alu instid0(VALU_DEP_2) | instskip(NEXT) | instid1(VALU_DEP_2)
	v_fma_f64 v[9:10], v[3:4], v[7:8], -v[11:12]
	v_fma_f64 v[11:12], v[1:2], v[7:8], v[15:16]
	scratch_store_b128 off, v[9:12], off offset:80
.LBB49_35:
	s_or_b32 exec_lo, exec_lo, s2
	s_waitcnt_vscnt null, 0x0
	s_barrier
	buffer_gl0_inv
	scratch_load_b128 v[1:4], v186, off
	s_mov_b32 s2, exec_lo
	s_waitcnt vmcnt(0)
	ds_store_b128 v5, v[1:4]
	s_waitcnt lgkmcnt(0)
	s_barrier
	buffer_gl0_inv
	v_cmpx_gt_u32_e32 6, v142
	s_cbranch_execz .LBB49_39
; %bb.36:
	v_dual_mov_b32 v1, 0 :: v_dual_add_nc_u32 v8, 0x320, v13
	v_dual_mov_b32 v2, 0 :: v_dual_add_nc_u32 v7, -1, v142
	v_or_b32_e32 v9, 8, v14
	s_mov_b32 s3, 0
	s_delay_alu instid0(VALU_DEP_2)
	v_dual_mov_b32 v4, v2 :: v_dual_mov_b32 v3, v1
	.p2align	6
.LBB49_37:                              ; =>This Inner Loop Header: Depth=1
	scratch_load_b128 v[15:18], v9, off offset:-8
	ds_load_b128 v[19:22], v8
	v_add_nc_u32_e32 v7, 1, v7
	v_add_nc_u32_e32 v8, 16, v8
	;; [unrolled: 1-line block ×3, first 2 shown]
	s_delay_alu instid0(VALU_DEP_3) | instskip(SKIP_4) | instid1(VALU_DEP_2)
	v_cmp_lt_u32_e32 vcc_lo, 4, v7
	s_or_b32 s3, vcc_lo, s3
	s_waitcnt vmcnt(0) lgkmcnt(0)
	v_mul_f64 v[10:11], v[21:22], v[17:18]
	v_mul_f64 v[17:18], v[19:20], v[17:18]
	v_fma_f64 v[10:11], v[19:20], v[15:16], -v[10:11]
	s_delay_alu instid0(VALU_DEP_2) | instskip(NEXT) | instid1(VALU_DEP_2)
	v_fma_f64 v[15:16], v[21:22], v[15:16], v[17:18]
	v_add_f64 v[3:4], v[3:4], v[10:11]
	s_delay_alu instid0(VALU_DEP_2)
	v_add_f64 v[1:2], v[1:2], v[15:16]
	s_and_not1_b32 exec_lo, exec_lo, s3
	s_cbranch_execnz .LBB49_37
; %bb.38:
	s_or_b32 exec_lo, exec_lo, s3
	v_mov_b32_e32 v7, 0
	ds_load_b128 v[7:10], v7 offset:96
	s_waitcnt lgkmcnt(0)
	v_mul_f64 v[11:12], v[1:2], v[9:10]
	v_mul_f64 v[15:16], v[3:4], v[9:10]
	s_delay_alu instid0(VALU_DEP_2) | instskip(NEXT) | instid1(VALU_DEP_2)
	v_fma_f64 v[9:10], v[3:4], v[7:8], -v[11:12]
	v_fma_f64 v[11:12], v[1:2], v[7:8], v[15:16]
	scratch_store_b128 off, v[9:12], off offset:96
.LBB49_39:
	s_or_b32 exec_lo, exec_lo, s2
	s_waitcnt_vscnt null, 0x0
	s_barrier
	buffer_gl0_inv
	scratch_load_b128 v[1:4], v185, off
	s_mov_b32 s2, exec_lo
	s_waitcnt vmcnt(0)
	ds_store_b128 v5, v[1:4]
	s_waitcnt lgkmcnt(0)
	s_barrier
	buffer_gl0_inv
	v_cmpx_gt_u32_e32 7, v142
	s_cbranch_execz .LBB49_43
; %bb.40:
	v_dual_mov_b32 v1, 0 :: v_dual_add_nc_u32 v8, 0x320, v13
	v_dual_mov_b32 v2, 0 :: v_dual_add_nc_u32 v7, -1, v142
	v_or_b32_e32 v9, 8, v14
	s_mov_b32 s3, 0
	s_delay_alu instid0(VALU_DEP_2)
	v_dual_mov_b32 v4, v2 :: v_dual_mov_b32 v3, v1
	.p2align	6
.LBB49_41:                              ; =>This Inner Loop Header: Depth=1
	scratch_load_b128 v[15:18], v9, off offset:-8
	ds_load_b128 v[19:22], v8
	v_add_nc_u32_e32 v7, 1, v7
	v_add_nc_u32_e32 v8, 16, v8
	;; [unrolled: 1-line block ×3, first 2 shown]
	s_delay_alu instid0(VALU_DEP_3) | instskip(SKIP_4) | instid1(VALU_DEP_2)
	v_cmp_lt_u32_e32 vcc_lo, 5, v7
	s_or_b32 s3, vcc_lo, s3
	s_waitcnt vmcnt(0) lgkmcnt(0)
	v_mul_f64 v[10:11], v[21:22], v[17:18]
	v_mul_f64 v[17:18], v[19:20], v[17:18]
	v_fma_f64 v[10:11], v[19:20], v[15:16], -v[10:11]
	s_delay_alu instid0(VALU_DEP_2) | instskip(NEXT) | instid1(VALU_DEP_2)
	v_fma_f64 v[15:16], v[21:22], v[15:16], v[17:18]
	v_add_f64 v[3:4], v[3:4], v[10:11]
	s_delay_alu instid0(VALU_DEP_2)
	v_add_f64 v[1:2], v[1:2], v[15:16]
	s_and_not1_b32 exec_lo, exec_lo, s3
	s_cbranch_execnz .LBB49_41
; %bb.42:
	s_or_b32 exec_lo, exec_lo, s3
	v_mov_b32_e32 v7, 0
	ds_load_b128 v[7:10], v7 offset:112
	s_waitcnt lgkmcnt(0)
	v_mul_f64 v[11:12], v[1:2], v[9:10]
	v_mul_f64 v[15:16], v[3:4], v[9:10]
	s_delay_alu instid0(VALU_DEP_2) | instskip(NEXT) | instid1(VALU_DEP_2)
	v_fma_f64 v[9:10], v[3:4], v[7:8], -v[11:12]
	v_fma_f64 v[11:12], v[1:2], v[7:8], v[15:16]
	scratch_store_b128 off, v[9:12], off offset:112
.LBB49_43:
	s_or_b32 exec_lo, exec_lo, s2
	s_waitcnt_vscnt null, 0x0
	s_barrier
	buffer_gl0_inv
	scratch_load_b128 v[1:4], v184, off
	s_mov_b32 s2, exec_lo
	s_waitcnt vmcnt(0)
	ds_store_b128 v5, v[1:4]
	s_waitcnt lgkmcnt(0)
	s_barrier
	buffer_gl0_inv
	v_cmpx_gt_u32_e32 8, v142
	s_cbranch_execz .LBB49_47
; %bb.44:
	v_dual_mov_b32 v1, 0 :: v_dual_add_nc_u32 v8, 0x320, v13
	v_dual_mov_b32 v2, 0 :: v_dual_add_nc_u32 v7, -1, v142
	v_or_b32_e32 v9, 8, v14
	s_mov_b32 s3, 0
	s_delay_alu instid0(VALU_DEP_2)
	v_dual_mov_b32 v4, v2 :: v_dual_mov_b32 v3, v1
	.p2align	6
.LBB49_45:                              ; =>This Inner Loop Header: Depth=1
	scratch_load_b128 v[15:18], v9, off offset:-8
	ds_load_b128 v[19:22], v8
	v_add_nc_u32_e32 v7, 1, v7
	v_add_nc_u32_e32 v8, 16, v8
	v_add_nc_u32_e32 v9, 16, v9
	s_delay_alu instid0(VALU_DEP_3) | instskip(SKIP_4) | instid1(VALU_DEP_2)
	v_cmp_lt_u32_e32 vcc_lo, 6, v7
	s_or_b32 s3, vcc_lo, s3
	s_waitcnt vmcnt(0) lgkmcnt(0)
	v_mul_f64 v[10:11], v[21:22], v[17:18]
	v_mul_f64 v[17:18], v[19:20], v[17:18]
	v_fma_f64 v[10:11], v[19:20], v[15:16], -v[10:11]
	s_delay_alu instid0(VALU_DEP_2) | instskip(NEXT) | instid1(VALU_DEP_2)
	v_fma_f64 v[15:16], v[21:22], v[15:16], v[17:18]
	v_add_f64 v[3:4], v[3:4], v[10:11]
	s_delay_alu instid0(VALU_DEP_2)
	v_add_f64 v[1:2], v[1:2], v[15:16]
	s_and_not1_b32 exec_lo, exec_lo, s3
	s_cbranch_execnz .LBB49_45
; %bb.46:
	s_or_b32 exec_lo, exec_lo, s3
	v_mov_b32_e32 v7, 0
	ds_load_b128 v[7:10], v7 offset:128
	s_waitcnt lgkmcnt(0)
	v_mul_f64 v[11:12], v[1:2], v[9:10]
	v_mul_f64 v[15:16], v[3:4], v[9:10]
	s_delay_alu instid0(VALU_DEP_2) | instskip(NEXT) | instid1(VALU_DEP_2)
	v_fma_f64 v[9:10], v[3:4], v[7:8], -v[11:12]
	v_fma_f64 v[11:12], v[1:2], v[7:8], v[15:16]
	scratch_store_b128 off, v[9:12], off offset:128
.LBB49_47:
	s_or_b32 exec_lo, exec_lo, s2
	s_waitcnt_vscnt null, 0x0
	s_barrier
	buffer_gl0_inv
	scratch_load_b128 v[1:4], v183, off
	s_mov_b32 s2, exec_lo
	s_waitcnt vmcnt(0)
	ds_store_b128 v5, v[1:4]
	s_waitcnt lgkmcnt(0)
	s_barrier
	buffer_gl0_inv
	v_cmpx_gt_u32_e32 9, v142
	s_cbranch_execz .LBB49_51
; %bb.48:
	v_dual_mov_b32 v1, 0 :: v_dual_add_nc_u32 v8, 0x320, v13
	v_dual_mov_b32 v2, 0 :: v_dual_add_nc_u32 v7, -1, v142
	v_or_b32_e32 v9, 8, v14
	s_mov_b32 s3, 0
	s_delay_alu instid0(VALU_DEP_2)
	v_dual_mov_b32 v4, v2 :: v_dual_mov_b32 v3, v1
	.p2align	6
.LBB49_49:                              ; =>This Inner Loop Header: Depth=1
	scratch_load_b128 v[15:18], v9, off offset:-8
	ds_load_b128 v[19:22], v8
	v_add_nc_u32_e32 v7, 1, v7
	v_add_nc_u32_e32 v8, 16, v8
	;; [unrolled: 1-line block ×3, first 2 shown]
	s_delay_alu instid0(VALU_DEP_3) | instskip(SKIP_4) | instid1(VALU_DEP_2)
	v_cmp_lt_u32_e32 vcc_lo, 7, v7
	s_or_b32 s3, vcc_lo, s3
	s_waitcnt vmcnt(0) lgkmcnt(0)
	v_mul_f64 v[10:11], v[21:22], v[17:18]
	v_mul_f64 v[17:18], v[19:20], v[17:18]
	v_fma_f64 v[10:11], v[19:20], v[15:16], -v[10:11]
	s_delay_alu instid0(VALU_DEP_2) | instskip(NEXT) | instid1(VALU_DEP_2)
	v_fma_f64 v[15:16], v[21:22], v[15:16], v[17:18]
	v_add_f64 v[3:4], v[3:4], v[10:11]
	s_delay_alu instid0(VALU_DEP_2)
	v_add_f64 v[1:2], v[1:2], v[15:16]
	s_and_not1_b32 exec_lo, exec_lo, s3
	s_cbranch_execnz .LBB49_49
; %bb.50:
	s_or_b32 exec_lo, exec_lo, s3
	v_mov_b32_e32 v7, 0
	ds_load_b128 v[7:10], v7 offset:144
	s_waitcnt lgkmcnt(0)
	v_mul_f64 v[11:12], v[1:2], v[9:10]
	v_mul_f64 v[15:16], v[3:4], v[9:10]
	s_delay_alu instid0(VALU_DEP_2) | instskip(NEXT) | instid1(VALU_DEP_2)
	v_fma_f64 v[9:10], v[3:4], v[7:8], -v[11:12]
	v_fma_f64 v[11:12], v[1:2], v[7:8], v[15:16]
	scratch_store_b128 off, v[9:12], off offset:144
.LBB49_51:
	s_or_b32 exec_lo, exec_lo, s2
	s_waitcnt_vscnt null, 0x0
	s_barrier
	buffer_gl0_inv
	scratch_load_b128 v[1:4], v182, off
	s_mov_b32 s2, exec_lo
	s_waitcnt vmcnt(0)
	ds_store_b128 v5, v[1:4]
	s_waitcnt lgkmcnt(0)
	s_barrier
	buffer_gl0_inv
	v_cmpx_gt_u32_e32 10, v142
	s_cbranch_execz .LBB49_55
; %bb.52:
	v_dual_mov_b32 v1, 0 :: v_dual_add_nc_u32 v8, 0x320, v13
	v_dual_mov_b32 v2, 0 :: v_dual_add_nc_u32 v7, -1, v142
	v_or_b32_e32 v9, 8, v14
	s_mov_b32 s3, 0
	s_delay_alu instid0(VALU_DEP_2)
	v_dual_mov_b32 v4, v2 :: v_dual_mov_b32 v3, v1
	.p2align	6
.LBB49_53:                              ; =>This Inner Loop Header: Depth=1
	scratch_load_b128 v[15:18], v9, off offset:-8
	ds_load_b128 v[19:22], v8
	v_add_nc_u32_e32 v7, 1, v7
	v_add_nc_u32_e32 v8, 16, v8
	;; [unrolled: 1-line block ×3, first 2 shown]
	s_delay_alu instid0(VALU_DEP_3) | instskip(SKIP_4) | instid1(VALU_DEP_2)
	v_cmp_lt_u32_e32 vcc_lo, 8, v7
	s_or_b32 s3, vcc_lo, s3
	s_waitcnt vmcnt(0) lgkmcnt(0)
	v_mul_f64 v[10:11], v[21:22], v[17:18]
	v_mul_f64 v[17:18], v[19:20], v[17:18]
	v_fma_f64 v[10:11], v[19:20], v[15:16], -v[10:11]
	s_delay_alu instid0(VALU_DEP_2) | instskip(NEXT) | instid1(VALU_DEP_2)
	v_fma_f64 v[15:16], v[21:22], v[15:16], v[17:18]
	v_add_f64 v[3:4], v[3:4], v[10:11]
	s_delay_alu instid0(VALU_DEP_2)
	v_add_f64 v[1:2], v[1:2], v[15:16]
	s_and_not1_b32 exec_lo, exec_lo, s3
	s_cbranch_execnz .LBB49_53
; %bb.54:
	s_or_b32 exec_lo, exec_lo, s3
	v_mov_b32_e32 v7, 0
	ds_load_b128 v[7:10], v7 offset:160
	s_waitcnt lgkmcnt(0)
	v_mul_f64 v[11:12], v[1:2], v[9:10]
	v_mul_f64 v[15:16], v[3:4], v[9:10]
	s_delay_alu instid0(VALU_DEP_2) | instskip(NEXT) | instid1(VALU_DEP_2)
	v_fma_f64 v[9:10], v[3:4], v[7:8], -v[11:12]
	v_fma_f64 v[11:12], v[1:2], v[7:8], v[15:16]
	scratch_store_b128 off, v[9:12], off offset:160
.LBB49_55:
	s_or_b32 exec_lo, exec_lo, s2
	s_waitcnt_vscnt null, 0x0
	s_barrier
	buffer_gl0_inv
	scratch_load_b128 v[1:4], v181, off
	s_mov_b32 s2, exec_lo
	s_waitcnt vmcnt(0)
	ds_store_b128 v5, v[1:4]
	s_waitcnt lgkmcnt(0)
	s_barrier
	buffer_gl0_inv
	v_cmpx_gt_u32_e32 11, v142
	s_cbranch_execz .LBB49_59
; %bb.56:
	v_dual_mov_b32 v1, 0 :: v_dual_add_nc_u32 v8, 0x320, v13
	v_dual_mov_b32 v2, 0 :: v_dual_add_nc_u32 v7, -1, v142
	v_or_b32_e32 v9, 8, v14
	s_mov_b32 s3, 0
	s_delay_alu instid0(VALU_DEP_2)
	v_dual_mov_b32 v4, v2 :: v_dual_mov_b32 v3, v1
	.p2align	6
.LBB49_57:                              ; =>This Inner Loop Header: Depth=1
	scratch_load_b128 v[15:18], v9, off offset:-8
	ds_load_b128 v[19:22], v8
	v_add_nc_u32_e32 v7, 1, v7
	v_add_nc_u32_e32 v8, 16, v8
	;; [unrolled: 1-line block ×3, first 2 shown]
	s_delay_alu instid0(VALU_DEP_3) | instskip(SKIP_4) | instid1(VALU_DEP_2)
	v_cmp_lt_u32_e32 vcc_lo, 9, v7
	s_or_b32 s3, vcc_lo, s3
	s_waitcnt vmcnt(0) lgkmcnt(0)
	v_mul_f64 v[10:11], v[21:22], v[17:18]
	v_mul_f64 v[17:18], v[19:20], v[17:18]
	v_fma_f64 v[10:11], v[19:20], v[15:16], -v[10:11]
	s_delay_alu instid0(VALU_DEP_2) | instskip(NEXT) | instid1(VALU_DEP_2)
	v_fma_f64 v[15:16], v[21:22], v[15:16], v[17:18]
	v_add_f64 v[3:4], v[3:4], v[10:11]
	s_delay_alu instid0(VALU_DEP_2)
	v_add_f64 v[1:2], v[1:2], v[15:16]
	s_and_not1_b32 exec_lo, exec_lo, s3
	s_cbranch_execnz .LBB49_57
; %bb.58:
	s_or_b32 exec_lo, exec_lo, s3
	v_mov_b32_e32 v7, 0
	ds_load_b128 v[7:10], v7 offset:176
	s_waitcnt lgkmcnt(0)
	v_mul_f64 v[11:12], v[1:2], v[9:10]
	v_mul_f64 v[15:16], v[3:4], v[9:10]
	s_delay_alu instid0(VALU_DEP_2) | instskip(NEXT) | instid1(VALU_DEP_2)
	v_fma_f64 v[9:10], v[3:4], v[7:8], -v[11:12]
	v_fma_f64 v[11:12], v[1:2], v[7:8], v[15:16]
	scratch_store_b128 off, v[9:12], off offset:176
.LBB49_59:
	s_or_b32 exec_lo, exec_lo, s2
	s_waitcnt_vscnt null, 0x0
	s_barrier
	buffer_gl0_inv
	scratch_load_b128 v[1:4], v180, off
	s_mov_b32 s2, exec_lo
	s_waitcnt vmcnt(0)
	ds_store_b128 v5, v[1:4]
	s_waitcnt lgkmcnt(0)
	s_barrier
	buffer_gl0_inv
	v_cmpx_gt_u32_e32 12, v142
	s_cbranch_execz .LBB49_63
; %bb.60:
	v_dual_mov_b32 v1, 0 :: v_dual_add_nc_u32 v8, 0x320, v13
	v_dual_mov_b32 v2, 0 :: v_dual_add_nc_u32 v7, -1, v142
	v_or_b32_e32 v9, 8, v14
	s_mov_b32 s3, 0
	s_delay_alu instid0(VALU_DEP_2)
	v_dual_mov_b32 v4, v2 :: v_dual_mov_b32 v3, v1
	.p2align	6
.LBB49_61:                              ; =>This Inner Loop Header: Depth=1
	scratch_load_b128 v[15:18], v9, off offset:-8
	ds_load_b128 v[19:22], v8
	v_add_nc_u32_e32 v7, 1, v7
	v_add_nc_u32_e32 v8, 16, v8
	;; [unrolled: 1-line block ×3, first 2 shown]
	s_delay_alu instid0(VALU_DEP_3) | instskip(SKIP_4) | instid1(VALU_DEP_2)
	v_cmp_lt_u32_e32 vcc_lo, 10, v7
	s_or_b32 s3, vcc_lo, s3
	s_waitcnt vmcnt(0) lgkmcnt(0)
	v_mul_f64 v[10:11], v[21:22], v[17:18]
	v_mul_f64 v[17:18], v[19:20], v[17:18]
	v_fma_f64 v[10:11], v[19:20], v[15:16], -v[10:11]
	s_delay_alu instid0(VALU_DEP_2) | instskip(NEXT) | instid1(VALU_DEP_2)
	v_fma_f64 v[15:16], v[21:22], v[15:16], v[17:18]
	v_add_f64 v[3:4], v[3:4], v[10:11]
	s_delay_alu instid0(VALU_DEP_2)
	v_add_f64 v[1:2], v[1:2], v[15:16]
	s_and_not1_b32 exec_lo, exec_lo, s3
	s_cbranch_execnz .LBB49_61
; %bb.62:
	s_or_b32 exec_lo, exec_lo, s3
	v_mov_b32_e32 v7, 0
	ds_load_b128 v[7:10], v7 offset:192
	s_waitcnt lgkmcnt(0)
	v_mul_f64 v[11:12], v[1:2], v[9:10]
	v_mul_f64 v[15:16], v[3:4], v[9:10]
	s_delay_alu instid0(VALU_DEP_2) | instskip(NEXT) | instid1(VALU_DEP_2)
	v_fma_f64 v[9:10], v[3:4], v[7:8], -v[11:12]
	v_fma_f64 v[11:12], v[1:2], v[7:8], v[15:16]
	scratch_store_b128 off, v[9:12], off offset:192
.LBB49_63:
	s_or_b32 exec_lo, exec_lo, s2
	s_waitcnt_vscnt null, 0x0
	s_barrier
	buffer_gl0_inv
	scratch_load_b128 v[1:4], v179, off
	s_mov_b32 s2, exec_lo
	s_waitcnt vmcnt(0)
	ds_store_b128 v5, v[1:4]
	s_waitcnt lgkmcnt(0)
	s_barrier
	buffer_gl0_inv
	v_cmpx_gt_u32_e32 13, v142
	s_cbranch_execz .LBB49_67
; %bb.64:
	v_dual_mov_b32 v1, 0 :: v_dual_add_nc_u32 v8, 0x320, v13
	v_dual_mov_b32 v2, 0 :: v_dual_add_nc_u32 v7, -1, v142
	v_or_b32_e32 v9, 8, v14
	s_mov_b32 s3, 0
	s_delay_alu instid0(VALU_DEP_2)
	v_dual_mov_b32 v4, v2 :: v_dual_mov_b32 v3, v1
	.p2align	6
.LBB49_65:                              ; =>This Inner Loop Header: Depth=1
	scratch_load_b128 v[15:18], v9, off offset:-8
	ds_load_b128 v[19:22], v8
	v_add_nc_u32_e32 v7, 1, v7
	v_add_nc_u32_e32 v8, 16, v8
	;; [unrolled: 1-line block ×3, first 2 shown]
	s_delay_alu instid0(VALU_DEP_3) | instskip(SKIP_4) | instid1(VALU_DEP_2)
	v_cmp_lt_u32_e32 vcc_lo, 11, v7
	s_or_b32 s3, vcc_lo, s3
	s_waitcnt vmcnt(0) lgkmcnt(0)
	v_mul_f64 v[10:11], v[21:22], v[17:18]
	v_mul_f64 v[17:18], v[19:20], v[17:18]
	v_fma_f64 v[10:11], v[19:20], v[15:16], -v[10:11]
	s_delay_alu instid0(VALU_DEP_2) | instskip(NEXT) | instid1(VALU_DEP_2)
	v_fma_f64 v[15:16], v[21:22], v[15:16], v[17:18]
	v_add_f64 v[3:4], v[3:4], v[10:11]
	s_delay_alu instid0(VALU_DEP_2)
	v_add_f64 v[1:2], v[1:2], v[15:16]
	s_and_not1_b32 exec_lo, exec_lo, s3
	s_cbranch_execnz .LBB49_65
; %bb.66:
	s_or_b32 exec_lo, exec_lo, s3
	v_mov_b32_e32 v7, 0
	ds_load_b128 v[7:10], v7 offset:208
	s_waitcnt lgkmcnt(0)
	v_mul_f64 v[11:12], v[1:2], v[9:10]
	v_mul_f64 v[15:16], v[3:4], v[9:10]
	s_delay_alu instid0(VALU_DEP_2) | instskip(NEXT) | instid1(VALU_DEP_2)
	v_fma_f64 v[9:10], v[3:4], v[7:8], -v[11:12]
	v_fma_f64 v[11:12], v[1:2], v[7:8], v[15:16]
	scratch_store_b128 off, v[9:12], off offset:208
.LBB49_67:
	s_or_b32 exec_lo, exec_lo, s2
	s_waitcnt_vscnt null, 0x0
	s_barrier
	buffer_gl0_inv
	scratch_load_b128 v[1:4], v178, off
	s_mov_b32 s2, exec_lo
	s_waitcnt vmcnt(0)
	ds_store_b128 v5, v[1:4]
	s_waitcnt lgkmcnt(0)
	s_barrier
	buffer_gl0_inv
	v_cmpx_gt_u32_e32 14, v142
	s_cbranch_execz .LBB49_71
; %bb.68:
	v_dual_mov_b32 v1, 0 :: v_dual_add_nc_u32 v8, 0x320, v13
	v_dual_mov_b32 v2, 0 :: v_dual_add_nc_u32 v7, -1, v142
	v_or_b32_e32 v9, 8, v14
	s_mov_b32 s3, 0
	s_delay_alu instid0(VALU_DEP_2)
	v_dual_mov_b32 v4, v2 :: v_dual_mov_b32 v3, v1
	.p2align	6
.LBB49_69:                              ; =>This Inner Loop Header: Depth=1
	scratch_load_b128 v[15:18], v9, off offset:-8
	ds_load_b128 v[19:22], v8
	v_add_nc_u32_e32 v7, 1, v7
	v_add_nc_u32_e32 v8, 16, v8
	;; [unrolled: 1-line block ×3, first 2 shown]
	s_delay_alu instid0(VALU_DEP_3) | instskip(SKIP_4) | instid1(VALU_DEP_2)
	v_cmp_lt_u32_e32 vcc_lo, 12, v7
	s_or_b32 s3, vcc_lo, s3
	s_waitcnt vmcnt(0) lgkmcnt(0)
	v_mul_f64 v[10:11], v[21:22], v[17:18]
	v_mul_f64 v[17:18], v[19:20], v[17:18]
	v_fma_f64 v[10:11], v[19:20], v[15:16], -v[10:11]
	s_delay_alu instid0(VALU_DEP_2) | instskip(NEXT) | instid1(VALU_DEP_2)
	v_fma_f64 v[15:16], v[21:22], v[15:16], v[17:18]
	v_add_f64 v[3:4], v[3:4], v[10:11]
	s_delay_alu instid0(VALU_DEP_2)
	v_add_f64 v[1:2], v[1:2], v[15:16]
	s_and_not1_b32 exec_lo, exec_lo, s3
	s_cbranch_execnz .LBB49_69
; %bb.70:
	s_or_b32 exec_lo, exec_lo, s3
	v_mov_b32_e32 v7, 0
	ds_load_b128 v[7:10], v7 offset:224
	s_waitcnt lgkmcnt(0)
	v_mul_f64 v[11:12], v[1:2], v[9:10]
	v_mul_f64 v[15:16], v[3:4], v[9:10]
	s_delay_alu instid0(VALU_DEP_2) | instskip(NEXT) | instid1(VALU_DEP_2)
	v_fma_f64 v[9:10], v[3:4], v[7:8], -v[11:12]
	v_fma_f64 v[11:12], v[1:2], v[7:8], v[15:16]
	scratch_store_b128 off, v[9:12], off offset:224
.LBB49_71:
	s_or_b32 exec_lo, exec_lo, s2
	s_waitcnt_vscnt null, 0x0
	s_barrier
	buffer_gl0_inv
	scratch_load_b128 v[1:4], v177, off
	s_mov_b32 s2, exec_lo
	s_waitcnt vmcnt(0)
	ds_store_b128 v5, v[1:4]
	s_waitcnt lgkmcnt(0)
	s_barrier
	buffer_gl0_inv
	v_cmpx_gt_u32_e32 15, v142
	s_cbranch_execz .LBB49_75
; %bb.72:
	v_dual_mov_b32 v1, 0 :: v_dual_add_nc_u32 v8, 0x320, v13
	v_dual_mov_b32 v2, 0 :: v_dual_add_nc_u32 v7, -1, v142
	v_or_b32_e32 v9, 8, v14
	s_mov_b32 s3, 0
	s_delay_alu instid0(VALU_DEP_2)
	v_dual_mov_b32 v4, v2 :: v_dual_mov_b32 v3, v1
	.p2align	6
.LBB49_73:                              ; =>This Inner Loop Header: Depth=1
	scratch_load_b128 v[15:18], v9, off offset:-8
	ds_load_b128 v[19:22], v8
	v_add_nc_u32_e32 v7, 1, v7
	v_add_nc_u32_e32 v8, 16, v8
	;; [unrolled: 1-line block ×3, first 2 shown]
	s_delay_alu instid0(VALU_DEP_3) | instskip(SKIP_4) | instid1(VALU_DEP_2)
	v_cmp_lt_u32_e32 vcc_lo, 13, v7
	s_or_b32 s3, vcc_lo, s3
	s_waitcnt vmcnt(0) lgkmcnt(0)
	v_mul_f64 v[10:11], v[21:22], v[17:18]
	v_mul_f64 v[17:18], v[19:20], v[17:18]
	v_fma_f64 v[10:11], v[19:20], v[15:16], -v[10:11]
	s_delay_alu instid0(VALU_DEP_2) | instskip(NEXT) | instid1(VALU_DEP_2)
	v_fma_f64 v[15:16], v[21:22], v[15:16], v[17:18]
	v_add_f64 v[3:4], v[3:4], v[10:11]
	s_delay_alu instid0(VALU_DEP_2)
	v_add_f64 v[1:2], v[1:2], v[15:16]
	s_and_not1_b32 exec_lo, exec_lo, s3
	s_cbranch_execnz .LBB49_73
; %bb.74:
	s_or_b32 exec_lo, exec_lo, s3
	v_mov_b32_e32 v7, 0
	ds_load_b128 v[7:10], v7 offset:240
	s_waitcnt lgkmcnt(0)
	v_mul_f64 v[11:12], v[1:2], v[9:10]
	v_mul_f64 v[15:16], v[3:4], v[9:10]
	s_delay_alu instid0(VALU_DEP_2) | instskip(NEXT) | instid1(VALU_DEP_2)
	v_fma_f64 v[9:10], v[3:4], v[7:8], -v[11:12]
	v_fma_f64 v[11:12], v[1:2], v[7:8], v[15:16]
	scratch_store_b128 off, v[9:12], off offset:240
.LBB49_75:
	s_or_b32 exec_lo, exec_lo, s2
	s_waitcnt_vscnt null, 0x0
	s_barrier
	buffer_gl0_inv
	scratch_load_b128 v[1:4], v176, off
	s_mov_b32 s2, exec_lo
	s_waitcnt vmcnt(0)
	ds_store_b128 v5, v[1:4]
	s_waitcnt lgkmcnt(0)
	s_barrier
	buffer_gl0_inv
	v_cmpx_gt_u32_e32 16, v142
	s_cbranch_execz .LBB49_79
; %bb.76:
	v_dual_mov_b32 v1, 0 :: v_dual_add_nc_u32 v8, 0x320, v13
	v_dual_mov_b32 v2, 0 :: v_dual_add_nc_u32 v7, -1, v142
	v_or_b32_e32 v9, 8, v14
	s_mov_b32 s3, 0
	s_delay_alu instid0(VALU_DEP_2)
	v_dual_mov_b32 v4, v2 :: v_dual_mov_b32 v3, v1
	.p2align	6
.LBB49_77:                              ; =>This Inner Loop Header: Depth=1
	scratch_load_b128 v[15:18], v9, off offset:-8
	ds_load_b128 v[19:22], v8
	v_add_nc_u32_e32 v7, 1, v7
	v_add_nc_u32_e32 v8, 16, v8
	;; [unrolled: 1-line block ×3, first 2 shown]
	s_delay_alu instid0(VALU_DEP_3) | instskip(SKIP_4) | instid1(VALU_DEP_2)
	v_cmp_lt_u32_e32 vcc_lo, 14, v7
	s_or_b32 s3, vcc_lo, s3
	s_waitcnt vmcnt(0) lgkmcnt(0)
	v_mul_f64 v[10:11], v[21:22], v[17:18]
	v_mul_f64 v[17:18], v[19:20], v[17:18]
	v_fma_f64 v[10:11], v[19:20], v[15:16], -v[10:11]
	s_delay_alu instid0(VALU_DEP_2) | instskip(NEXT) | instid1(VALU_DEP_2)
	v_fma_f64 v[15:16], v[21:22], v[15:16], v[17:18]
	v_add_f64 v[3:4], v[3:4], v[10:11]
	s_delay_alu instid0(VALU_DEP_2)
	v_add_f64 v[1:2], v[1:2], v[15:16]
	s_and_not1_b32 exec_lo, exec_lo, s3
	s_cbranch_execnz .LBB49_77
; %bb.78:
	s_or_b32 exec_lo, exec_lo, s3
	v_mov_b32_e32 v7, 0
	ds_load_b128 v[7:10], v7 offset:256
	s_waitcnt lgkmcnt(0)
	v_mul_f64 v[11:12], v[1:2], v[9:10]
	v_mul_f64 v[15:16], v[3:4], v[9:10]
	s_delay_alu instid0(VALU_DEP_2) | instskip(NEXT) | instid1(VALU_DEP_2)
	v_fma_f64 v[9:10], v[3:4], v[7:8], -v[11:12]
	v_fma_f64 v[11:12], v[1:2], v[7:8], v[15:16]
	scratch_store_b128 off, v[9:12], off offset:256
.LBB49_79:
	s_or_b32 exec_lo, exec_lo, s2
	s_waitcnt_vscnt null, 0x0
	s_barrier
	buffer_gl0_inv
	scratch_load_b128 v[1:4], v175, off
	s_mov_b32 s2, exec_lo
	s_waitcnt vmcnt(0)
	ds_store_b128 v5, v[1:4]
	s_waitcnt lgkmcnt(0)
	s_barrier
	buffer_gl0_inv
	v_cmpx_gt_u32_e32 17, v142
	s_cbranch_execz .LBB49_83
; %bb.80:
	v_dual_mov_b32 v1, 0 :: v_dual_add_nc_u32 v8, 0x320, v13
	v_dual_mov_b32 v2, 0 :: v_dual_add_nc_u32 v7, -1, v142
	v_or_b32_e32 v9, 8, v14
	s_mov_b32 s3, 0
	s_delay_alu instid0(VALU_DEP_2)
	v_dual_mov_b32 v4, v2 :: v_dual_mov_b32 v3, v1
	.p2align	6
.LBB49_81:                              ; =>This Inner Loop Header: Depth=1
	scratch_load_b128 v[15:18], v9, off offset:-8
	ds_load_b128 v[19:22], v8
	v_add_nc_u32_e32 v7, 1, v7
	v_add_nc_u32_e32 v8, 16, v8
	;; [unrolled: 1-line block ×3, first 2 shown]
	s_delay_alu instid0(VALU_DEP_3) | instskip(SKIP_4) | instid1(VALU_DEP_2)
	v_cmp_lt_u32_e32 vcc_lo, 15, v7
	s_or_b32 s3, vcc_lo, s3
	s_waitcnt vmcnt(0) lgkmcnt(0)
	v_mul_f64 v[10:11], v[21:22], v[17:18]
	v_mul_f64 v[17:18], v[19:20], v[17:18]
	v_fma_f64 v[10:11], v[19:20], v[15:16], -v[10:11]
	s_delay_alu instid0(VALU_DEP_2) | instskip(NEXT) | instid1(VALU_DEP_2)
	v_fma_f64 v[15:16], v[21:22], v[15:16], v[17:18]
	v_add_f64 v[3:4], v[3:4], v[10:11]
	s_delay_alu instid0(VALU_DEP_2)
	v_add_f64 v[1:2], v[1:2], v[15:16]
	s_and_not1_b32 exec_lo, exec_lo, s3
	s_cbranch_execnz .LBB49_81
; %bb.82:
	s_or_b32 exec_lo, exec_lo, s3
	v_mov_b32_e32 v7, 0
	ds_load_b128 v[7:10], v7 offset:272
	s_waitcnt lgkmcnt(0)
	v_mul_f64 v[11:12], v[1:2], v[9:10]
	v_mul_f64 v[15:16], v[3:4], v[9:10]
	s_delay_alu instid0(VALU_DEP_2) | instskip(NEXT) | instid1(VALU_DEP_2)
	v_fma_f64 v[9:10], v[3:4], v[7:8], -v[11:12]
	v_fma_f64 v[11:12], v[1:2], v[7:8], v[15:16]
	scratch_store_b128 off, v[9:12], off offset:272
.LBB49_83:
	s_or_b32 exec_lo, exec_lo, s2
	s_waitcnt_vscnt null, 0x0
	s_barrier
	buffer_gl0_inv
	scratch_load_b128 v[1:4], v173, off
	s_mov_b32 s2, exec_lo
	s_waitcnt vmcnt(0)
	ds_store_b128 v5, v[1:4]
	s_waitcnt lgkmcnt(0)
	s_barrier
	buffer_gl0_inv
	v_cmpx_gt_u32_e32 18, v142
	s_cbranch_execz .LBB49_87
; %bb.84:
	v_dual_mov_b32 v1, 0 :: v_dual_add_nc_u32 v8, 0x320, v13
	v_dual_mov_b32 v2, 0 :: v_dual_add_nc_u32 v7, -1, v142
	v_or_b32_e32 v9, 8, v14
	s_mov_b32 s3, 0
	s_delay_alu instid0(VALU_DEP_2)
	v_dual_mov_b32 v4, v2 :: v_dual_mov_b32 v3, v1
	.p2align	6
.LBB49_85:                              ; =>This Inner Loop Header: Depth=1
	scratch_load_b128 v[15:18], v9, off offset:-8
	ds_load_b128 v[19:22], v8
	v_add_nc_u32_e32 v7, 1, v7
	v_add_nc_u32_e32 v8, 16, v8
	;; [unrolled: 1-line block ×3, first 2 shown]
	s_delay_alu instid0(VALU_DEP_3) | instskip(SKIP_4) | instid1(VALU_DEP_2)
	v_cmp_lt_u32_e32 vcc_lo, 16, v7
	s_or_b32 s3, vcc_lo, s3
	s_waitcnt vmcnt(0) lgkmcnt(0)
	v_mul_f64 v[10:11], v[21:22], v[17:18]
	v_mul_f64 v[17:18], v[19:20], v[17:18]
	v_fma_f64 v[10:11], v[19:20], v[15:16], -v[10:11]
	s_delay_alu instid0(VALU_DEP_2) | instskip(NEXT) | instid1(VALU_DEP_2)
	v_fma_f64 v[15:16], v[21:22], v[15:16], v[17:18]
	v_add_f64 v[3:4], v[3:4], v[10:11]
	s_delay_alu instid0(VALU_DEP_2)
	v_add_f64 v[1:2], v[1:2], v[15:16]
	s_and_not1_b32 exec_lo, exec_lo, s3
	s_cbranch_execnz .LBB49_85
; %bb.86:
	s_or_b32 exec_lo, exec_lo, s3
	v_mov_b32_e32 v7, 0
	ds_load_b128 v[7:10], v7 offset:288
	s_waitcnt lgkmcnt(0)
	v_mul_f64 v[11:12], v[1:2], v[9:10]
	v_mul_f64 v[15:16], v[3:4], v[9:10]
	s_delay_alu instid0(VALU_DEP_2) | instskip(NEXT) | instid1(VALU_DEP_2)
	v_fma_f64 v[9:10], v[3:4], v[7:8], -v[11:12]
	v_fma_f64 v[11:12], v[1:2], v[7:8], v[15:16]
	scratch_store_b128 off, v[9:12], off offset:288
.LBB49_87:
	s_or_b32 exec_lo, exec_lo, s2
	s_waitcnt_vscnt null, 0x0
	s_barrier
	buffer_gl0_inv
	scratch_load_b128 v[1:4], v174, off
	s_mov_b32 s2, exec_lo
	s_waitcnt vmcnt(0)
	ds_store_b128 v5, v[1:4]
	s_waitcnt lgkmcnt(0)
	s_barrier
	buffer_gl0_inv
	v_cmpx_gt_u32_e32 19, v142
	s_cbranch_execz .LBB49_91
; %bb.88:
	v_dual_mov_b32 v1, 0 :: v_dual_add_nc_u32 v8, 0x320, v13
	v_dual_mov_b32 v2, 0 :: v_dual_add_nc_u32 v7, -1, v142
	v_or_b32_e32 v9, 8, v14
	s_mov_b32 s3, 0
	s_delay_alu instid0(VALU_DEP_2)
	v_dual_mov_b32 v4, v2 :: v_dual_mov_b32 v3, v1
	.p2align	6
.LBB49_89:                              ; =>This Inner Loop Header: Depth=1
	scratch_load_b128 v[15:18], v9, off offset:-8
	ds_load_b128 v[19:22], v8
	v_add_nc_u32_e32 v7, 1, v7
	v_add_nc_u32_e32 v8, 16, v8
	;; [unrolled: 1-line block ×3, first 2 shown]
	s_delay_alu instid0(VALU_DEP_3) | instskip(SKIP_4) | instid1(VALU_DEP_2)
	v_cmp_lt_u32_e32 vcc_lo, 17, v7
	s_or_b32 s3, vcc_lo, s3
	s_waitcnt vmcnt(0) lgkmcnt(0)
	v_mul_f64 v[10:11], v[21:22], v[17:18]
	v_mul_f64 v[17:18], v[19:20], v[17:18]
	v_fma_f64 v[10:11], v[19:20], v[15:16], -v[10:11]
	s_delay_alu instid0(VALU_DEP_2) | instskip(NEXT) | instid1(VALU_DEP_2)
	v_fma_f64 v[15:16], v[21:22], v[15:16], v[17:18]
	v_add_f64 v[3:4], v[3:4], v[10:11]
	s_delay_alu instid0(VALU_DEP_2)
	v_add_f64 v[1:2], v[1:2], v[15:16]
	s_and_not1_b32 exec_lo, exec_lo, s3
	s_cbranch_execnz .LBB49_89
; %bb.90:
	s_or_b32 exec_lo, exec_lo, s3
	v_mov_b32_e32 v7, 0
	ds_load_b128 v[7:10], v7 offset:304
	s_waitcnt lgkmcnt(0)
	v_mul_f64 v[11:12], v[1:2], v[9:10]
	v_mul_f64 v[15:16], v[3:4], v[9:10]
	s_delay_alu instid0(VALU_DEP_2) | instskip(NEXT) | instid1(VALU_DEP_2)
	v_fma_f64 v[9:10], v[3:4], v[7:8], -v[11:12]
	v_fma_f64 v[11:12], v[1:2], v[7:8], v[15:16]
	scratch_store_b128 off, v[9:12], off offset:304
.LBB49_91:
	s_or_b32 exec_lo, exec_lo, s2
	s_waitcnt_vscnt null, 0x0
	s_barrier
	buffer_gl0_inv
	scratch_load_b128 v[1:4], v172, off
	s_mov_b32 s2, exec_lo
	s_waitcnt vmcnt(0)
	ds_store_b128 v5, v[1:4]
	s_waitcnt lgkmcnt(0)
	s_barrier
	buffer_gl0_inv
	v_cmpx_gt_u32_e32 20, v142
	s_cbranch_execz .LBB49_95
; %bb.92:
	v_dual_mov_b32 v1, 0 :: v_dual_add_nc_u32 v8, 0x320, v13
	v_dual_mov_b32 v2, 0 :: v_dual_add_nc_u32 v7, -1, v142
	v_or_b32_e32 v9, 8, v14
	s_mov_b32 s3, 0
	s_delay_alu instid0(VALU_DEP_2)
	v_dual_mov_b32 v4, v2 :: v_dual_mov_b32 v3, v1
	.p2align	6
.LBB49_93:                              ; =>This Inner Loop Header: Depth=1
	scratch_load_b128 v[15:18], v9, off offset:-8
	ds_load_b128 v[19:22], v8
	v_add_nc_u32_e32 v7, 1, v7
	v_add_nc_u32_e32 v8, 16, v8
	;; [unrolled: 1-line block ×3, first 2 shown]
	s_delay_alu instid0(VALU_DEP_3) | instskip(SKIP_4) | instid1(VALU_DEP_2)
	v_cmp_lt_u32_e32 vcc_lo, 18, v7
	s_or_b32 s3, vcc_lo, s3
	s_waitcnt vmcnt(0) lgkmcnt(0)
	v_mul_f64 v[10:11], v[21:22], v[17:18]
	v_mul_f64 v[17:18], v[19:20], v[17:18]
	v_fma_f64 v[10:11], v[19:20], v[15:16], -v[10:11]
	s_delay_alu instid0(VALU_DEP_2) | instskip(NEXT) | instid1(VALU_DEP_2)
	v_fma_f64 v[15:16], v[21:22], v[15:16], v[17:18]
	v_add_f64 v[3:4], v[3:4], v[10:11]
	s_delay_alu instid0(VALU_DEP_2)
	v_add_f64 v[1:2], v[1:2], v[15:16]
	s_and_not1_b32 exec_lo, exec_lo, s3
	s_cbranch_execnz .LBB49_93
; %bb.94:
	s_or_b32 exec_lo, exec_lo, s3
	v_mov_b32_e32 v7, 0
	ds_load_b128 v[7:10], v7 offset:320
	s_waitcnt lgkmcnt(0)
	v_mul_f64 v[11:12], v[1:2], v[9:10]
	v_mul_f64 v[15:16], v[3:4], v[9:10]
	s_delay_alu instid0(VALU_DEP_2) | instskip(NEXT) | instid1(VALU_DEP_2)
	v_fma_f64 v[9:10], v[3:4], v[7:8], -v[11:12]
	v_fma_f64 v[11:12], v[1:2], v[7:8], v[15:16]
	scratch_store_b128 off, v[9:12], off offset:320
.LBB49_95:
	s_or_b32 exec_lo, exec_lo, s2
	s_waitcnt_vscnt null, 0x0
	s_barrier
	buffer_gl0_inv
	scratch_load_b128 v[1:4], v171, off
	s_mov_b32 s2, exec_lo
	s_waitcnt vmcnt(0)
	ds_store_b128 v5, v[1:4]
	s_waitcnt lgkmcnt(0)
	s_barrier
	buffer_gl0_inv
	v_cmpx_gt_u32_e32 21, v142
	s_cbranch_execz .LBB49_99
; %bb.96:
	v_dual_mov_b32 v1, 0 :: v_dual_add_nc_u32 v8, 0x320, v13
	v_dual_mov_b32 v2, 0 :: v_dual_add_nc_u32 v7, -1, v142
	v_or_b32_e32 v9, 8, v14
	s_mov_b32 s3, 0
	s_delay_alu instid0(VALU_DEP_2)
	v_dual_mov_b32 v4, v2 :: v_dual_mov_b32 v3, v1
	.p2align	6
.LBB49_97:                              ; =>This Inner Loop Header: Depth=1
	scratch_load_b128 v[15:18], v9, off offset:-8
	ds_load_b128 v[19:22], v8
	v_add_nc_u32_e32 v7, 1, v7
	v_add_nc_u32_e32 v8, 16, v8
	;; [unrolled: 1-line block ×3, first 2 shown]
	s_delay_alu instid0(VALU_DEP_3) | instskip(SKIP_4) | instid1(VALU_DEP_2)
	v_cmp_lt_u32_e32 vcc_lo, 19, v7
	s_or_b32 s3, vcc_lo, s3
	s_waitcnt vmcnt(0) lgkmcnt(0)
	v_mul_f64 v[10:11], v[21:22], v[17:18]
	v_mul_f64 v[17:18], v[19:20], v[17:18]
	v_fma_f64 v[10:11], v[19:20], v[15:16], -v[10:11]
	s_delay_alu instid0(VALU_DEP_2) | instskip(NEXT) | instid1(VALU_DEP_2)
	v_fma_f64 v[15:16], v[21:22], v[15:16], v[17:18]
	v_add_f64 v[3:4], v[3:4], v[10:11]
	s_delay_alu instid0(VALU_DEP_2)
	v_add_f64 v[1:2], v[1:2], v[15:16]
	s_and_not1_b32 exec_lo, exec_lo, s3
	s_cbranch_execnz .LBB49_97
; %bb.98:
	s_or_b32 exec_lo, exec_lo, s3
	v_mov_b32_e32 v7, 0
	ds_load_b128 v[7:10], v7 offset:336
	s_waitcnt lgkmcnt(0)
	v_mul_f64 v[11:12], v[1:2], v[9:10]
	v_mul_f64 v[15:16], v[3:4], v[9:10]
	s_delay_alu instid0(VALU_DEP_2) | instskip(NEXT) | instid1(VALU_DEP_2)
	v_fma_f64 v[9:10], v[3:4], v[7:8], -v[11:12]
	v_fma_f64 v[11:12], v[1:2], v[7:8], v[15:16]
	scratch_store_b128 off, v[9:12], off offset:336
.LBB49_99:
	s_or_b32 exec_lo, exec_lo, s2
	s_waitcnt_vscnt null, 0x0
	s_barrier
	buffer_gl0_inv
	scratch_load_b128 v[1:4], v169, off
	s_mov_b32 s2, exec_lo
	s_waitcnt vmcnt(0)
	ds_store_b128 v5, v[1:4]
	s_waitcnt lgkmcnt(0)
	s_barrier
	buffer_gl0_inv
	v_cmpx_gt_u32_e32 22, v142
	s_cbranch_execz .LBB49_103
; %bb.100:
	v_dual_mov_b32 v1, 0 :: v_dual_add_nc_u32 v8, 0x320, v13
	v_dual_mov_b32 v2, 0 :: v_dual_add_nc_u32 v7, -1, v142
	v_or_b32_e32 v9, 8, v14
	s_mov_b32 s3, 0
	s_delay_alu instid0(VALU_DEP_2)
	v_dual_mov_b32 v4, v2 :: v_dual_mov_b32 v3, v1
	.p2align	6
.LBB49_101:                             ; =>This Inner Loop Header: Depth=1
	scratch_load_b128 v[15:18], v9, off offset:-8
	ds_load_b128 v[19:22], v8
	v_add_nc_u32_e32 v7, 1, v7
	v_add_nc_u32_e32 v8, 16, v8
	;; [unrolled: 1-line block ×3, first 2 shown]
	s_delay_alu instid0(VALU_DEP_3) | instskip(SKIP_4) | instid1(VALU_DEP_2)
	v_cmp_lt_u32_e32 vcc_lo, 20, v7
	s_or_b32 s3, vcc_lo, s3
	s_waitcnt vmcnt(0) lgkmcnt(0)
	v_mul_f64 v[10:11], v[21:22], v[17:18]
	v_mul_f64 v[17:18], v[19:20], v[17:18]
	v_fma_f64 v[10:11], v[19:20], v[15:16], -v[10:11]
	s_delay_alu instid0(VALU_DEP_2) | instskip(NEXT) | instid1(VALU_DEP_2)
	v_fma_f64 v[15:16], v[21:22], v[15:16], v[17:18]
	v_add_f64 v[3:4], v[3:4], v[10:11]
	s_delay_alu instid0(VALU_DEP_2)
	v_add_f64 v[1:2], v[1:2], v[15:16]
	s_and_not1_b32 exec_lo, exec_lo, s3
	s_cbranch_execnz .LBB49_101
; %bb.102:
	s_or_b32 exec_lo, exec_lo, s3
	v_mov_b32_e32 v7, 0
	ds_load_b128 v[7:10], v7 offset:352
	s_waitcnt lgkmcnt(0)
	v_mul_f64 v[11:12], v[1:2], v[9:10]
	v_mul_f64 v[15:16], v[3:4], v[9:10]
	s_delay_alu instid0(VALU_DEP_2) | instskip(NEXT) | instid1(VALU_DEP_2)
	v_fma_f64 v[9:10], v[3:4], v[7:8], -v[11:12]
	v_fma_f64 v[11:12], v[1:2], v[7:8], v[15:16]
	scratch_store_b128 off, v[9:12], off offset:352
.LBB49_103:
	s_or_b32 exec_lo, exec_lo, s2
	s_waitcnt_vscnt null, 0x0
	s_barrier
	buffer_gl0_inv
	scratch_load_b128 v[1:4], v170, off
	s_mov_b32 s2, exec_lo
	s_waitcnt vmcnt(0)
	ds_store_b128 v5, v[1:4]
	s_waitcnt lgkmcnt(0)
	s_barrier
	buffer_gl0_inv
	v_cmpx_gt_u32_e32 23, v142
	s_cbranch_execz .LBB49_107
; %bb.104:
	v_dual_mov_b32 v1, 0 :: v_dual_add_nc_u32 v8, 0x320, v13
	v_dual_mov_b32 v2, 0 :: v_dual_add_nc_u32 v7, -1, v142
	v_or_b32_e32 v9, 8, v14
	s_mov_b32 s3, 0
	s_delay_alu instid0(VALU_DEP_2)
	v_dual_mov_b32 v4, v2 :: v_dual_mov_b32 v3, v1
	.p2align	6
.LBB49_105:                             ; =>This Inner Loop Header: Depth=1
	scratch_load_b128 v[15:18], v9, off offset:-8
	ds_load_b128 v[19:22], v8
	v_add_nc_u32_e32 v7, 1, v7
	v_add_nc_u32_e32 v8, 16, v8
	;; [unrolled: 1-line block ×3, first 2 shown]
	s_delay_alu instid0(VALU_DEP_3) | instskip(SKIP_4) | instid1(VALU_DEP_2)
	v_cmp_lt_u32_e32 vcc_lo, 21, v7
	s_or_b32 s3, vcc_lo, s3
	s_waitcnt vmcnt(0) lgkmcnt(0)
	v_mul_f64 v[10:11], v[21:22], v[17:18]
	v_mul_f64 v[17:18], v[19:20], v[17:18]
	v_fma_f64 v[10:11], v[19:20], v[15:16], -v[10:11]
	s_delay_alu instid0(VALU_DEP_2) | instskip(NEXT) | instid1(VALU_DEP_2)
	v_fma_f64 v[15:16], v[21:22], v[15:16], v[17:18]
	v_add_f64 v[3:4], v[3:4], v[10:11]
	s_delay_alu instid0(VALU_DEP_2)
	v_add_f64 v[1:2], v[1:2], v[15:16]
	s_and_not1_b32 exec_lo, exec_lo, s3
	s_cbranch_execnz .LBB49_105
; %bb.106:
	s_or_b32 exec_lo, exec_lo, s3
	v_mov_b32_e32 v7, 0
	ds_load_b128 v[7:10], v7 offset:368
	s_waitcnt lgkmcnt(0)
	v_mul_f64 v[11:12], v[1:2], v[9:10]
	v_mul_f64 v[15:16], v[3:4], v[9:10]
	s_delay_alu instid0(VALU_DEP_2) | instskip(NEXT) | instid1(VALU_DEP_2)
	v_fma_f64 v[9:10], v[3:4], v[7:8], -v[11:12]
	v_fma_f64 v[11:12], v[1:2], v[7:8], v[15:16]
	scratch_store_b128 off, v[9:12], off offset:368
.LBB49_107:
	s_or_b32 exec_lo, exec_lo, s2
	s_waitcnt_vscnt null, 0x0
	s_barrier
	buffer_gl0_inv
	scratch_load_b128 v[1:4], v168, off
	s_mov_b32 s2, exec_lo
	s_waitcnt vmcnt(0)
	ds_store_b128 v5, v[1:4]
	s_waitcnt lgkmcnt(0)
	s_barrier
	buffer_gl0_inv
	v_cmpx_gt_u32_e32 24, v142
	s_cbranch_execz .LBB49_111
; %bb.108:
	v_dual_mov_b32 v1, 0 :: v_dual_add_nc_u32 v8, 0x320, v13
	v_dual_mov_b32 v2, 0 :: v_dual_add_nc_u32 v7, -1, v142
	v_or_b32_e32 v9, 8, v14
	s_mov_b32 s3, 0
	s_delay_alu instid0(VALU_DEP_2)
	v_dual_mov_b32 v4, v2 :: v_dual_mov_b32 v3, v1
	.p2align	6
.LBB49_109:                             ; =>This Inner Loop Header: Depth=1
	scratch_load_b128 v[15:18], v9, off offset:-8
	ds_load_b128 v[19:22], v8
	v_add_nc_u32_e32 v7, 1, v7
	v_add_nc_u32_e32 v8, 16, v8
	;; [unrolled: 1-line block ×3, first 2 shown]
	s_delay_alu instid0(VALU_DEP_3) | instskip(SKIP_4) | instid1(VALU_DEP_2)
	v_cmp_lt_u32_e32 vcc_lo, 22, v7
	s_or_b32 s3, vcc_lo, s3
	s_waitcnt vmcnt(0) lgkmcnt(0)
	v_mul_f64 v[10:11], v[21:22], v[17:18]
	v_mul_f64 v[17:18], v[19:20], v[17:18]
	v_fma_f64 v[10:11], v[19:20], v[15:16], -v[10:11]
	s_delay_alu instid0(VALU_DEP_2) | instskip(NEXT) | instid1(VALU_DEP_2)
	v_fma_f64 v[15:16], v[21:22], v[15:16], v[17:18]
	v_add_f64 v[3:4], v[3:4], v[10:11]
	s_delay_alu instid0(VALU_DEP_2)
	v_add_f64 v[1:2], v[1:2], v[15:16]
	s_and_not1_b32 exec_lo, exec_lo, s3
	s_cbranch_execnz .LBB49_109
; %bb.110:
	s_or_b32 exec_lo, exec_lo, s3
	v_mov_b32_e32 v7, 0
	ds_load_b128 v[7:10], v7 offset:384
	s_waitcnt lgkmcnt(0)
	v_mul_f64 v[11:12], v[1:2], v[9:10]
	v_mul_f64 v[15:16], v[3:4], v[9:10]
	s_delay_alu instid0(VALU_DEP_2) | instskip(NEXT) | instid1(VALU_DEP_2)
	v_fma_f64 v[9:10], v[3:4], v[7:8], -v[11:12]
	v_fma_f64 v[11:12], v[1:2], v[7:8], v[15:16]
	scratch_store_b128 off, v[9:12], off offset:384
.LBB49_111:
	s_or_b32 exec_lo, exec_lo, s2
	s_waitcnt_vscnt null, 0x0
	s_barrier
	buffer_gl0_inv
	scratch_load_b128 v[1:4], v167, off
	s_mov_b32 s2, exec_lo
	s_waitcnt vmcnt(0)
	ds_store_b128 v5, v[1:4]
	s_waitcnt lgkmcnt(0)
	s_barrier
	buffer_gl0_inv
	v_cmpx_gt_u32_e32 25, v142
	s_cbranch_execz .LBB49_115
; %bb.112:
	v_dual_mov_b32 v1, 0 :: v_dual_add_nc_u32 v8, 0x320, v13
	v_dual_mov_b32 v2, 0 :: v_dual_add_nc_u32 v7, -1, v142
	v_or_b32_e32 v9, 8, v14
	s_mov_b32 s3, 0
	s_delay_alu instid0(VALU_DEP_2)
	v_dual_mov_b32 v4, v2 :: v_dual_mov_b32 v3, v1
	.p2align	6
.LBB49_113:                             ; =>This Inner Loop Header: Depth=1
	scratch_load_b128 v[15:18], v9, off offset:-8
	ds_load_b128 v[19:22], v8
	v_add_nc_u32_e32 v7, 1, v7
	v_add_nc_u32_e32 v8, 16, v8
	v_add_nc_u32_e32 v9, 16, v9
	s_delay_alu instid0(VALU_DEP_3) | instskip(SKIP_4) | instid1(VALU_DEP_2)
	v_cmp_lt_u32_e32 vcc_lo, 23, v7
	s_or_b32 s3, vcc_lo, s3
	s_waitcnt vmcnt(0) lgkmcnt(0)
	v_mul_f64 v[10:11], v[21:22], v[17:18]
	v_mul_f64 v[17:18], v[19:20], v[17:18]
	v_fma_f64 v[10:11], v[19:20], v[15:16], -v[10:11]
	s_delay_alu instid0(VALU_DEP_2) | instskip(NEXT) | instid1(VALU_DEP_2)
	v_fma_f64 v[15:16], v[21:22], v[15:16], v[17:18]
	v_add_f64 v[3:4], v[3:4], v[10:11]
	s_delay_alu instid0(VALU_DEP_2)
	v_add_f64 v[1:2], v[1:2], v[15:16]
	s_and_not1_b32 exec_lo, exec_lo, s3
	s_cbranch_execnz .LBB49_113
; %bb.114:
	s_or_b32 exec_lo, exec_lo, s3
	v_mov_b32_e32 v7, 0
	ds_load_b128 v[7:10], v7 offset:400
	s_waitcnt lgkmcnt(0)
	v_mul_f64 v[11:12], v[1:2], v[9:10]
	v_mul_f64 v[15:16], v[3:4], v[9:10]
	s_delay_alu instid0(VALU_DEP_2) | instskip(NEXT) | instid1(VALU_DEP_2)
	v_fma_f64 v[9:10], v[3:4], v[7:8], -v[11:12]
	v_fma_f64 v[11:12], v[1:2], v[7:8], v[15:16]
	scratch_store_b128 off, v[9:12], off offset:400
.LBB49_115:
	s_or_b32 exec_lo, exec_lo, s2
	s_waitcnt_vscnt null, 0x0
	s_barrier
	buffer_gl0_inv
	scratch_load_b128 v[1:4], v165, off
	s_mov_b32 s2, exec_lo
	s_waitcnt vmcnt(0)
	ds_store_b128 v5, v[1:4]
	s_waitcnt lgkmcnt(0)
	s_barrier
	buffer_gl0_inv
	v_cmpx_gt_u32_e32 26, v142
	s_cbranch_execz .LBB49_119
; %bb.116:
	v_dual_mov_b32 v1, 0 :: v_dual_add_nc_u32 v8, 0x320, v13
	v_dual_mov_b32 v2, 0 :: v_dual_add_nc_u32 v7, -1, v142
	v_or_b32_e32 v9, 8, v14
	s_mov_b32 s3, 0
	s_delay_alu instid0(VALU_DEP_2)
	v_dual_mov_b32 v4, v2 :: v_dual_mov_b32 v3, v1
	.p2align	6
.LBB49_117:                             ; =>This Inner Loop Header: Depth=1
	scratch_load_b128 v[15:18], v9, off offset:-8
	ds_load_b128 v[19:22], v8
	v_add_nc_u32_e32 v7, 1, v7
	v_add_nc_u32_e32 v8, 16, v8
	;; [unrolled: 1-line block ×3, first 2 shown]
	s_delay_alu instid0(VALU_DEP_3) | instskip(SKIP_4) | instid1(VALU_DEP_2)
	v_cmp_lt_u32_e32 vcc_lo, 24, v7
	s_or_b32 s3, vcc_lo, s3
	s_waitcnt vmcnt(0) lgkmcnt(0)
	v_mul_f64 v[10:11], v[21:22], v[17:18]
	v_mul_f64 v[17:18], v[19:20], v[17:18]
	v_fma_f64 v[10:11], v[19:20], v[15:16], -v[10:11]
	s_delay_alu instid0(VALU_DEP_2) | instskip(NEXT) | instid1(VALU_DEP_2)
	v_fma_f64 v[15:16], v[21:22], v[15:16], v[17:18]
	v_add_f64 v[3:4], v[3:4], v[10:11]
	s_delay_alu instid0(VALU_DEP_2)
	v_add_f64 v[1:2], v[1:2], v[15:16]
	s_and_not1_b32 exec_lo, exec_lo, s3
	s_cbranch_execnz .LBB49_117
; %bb.118:
	s_or_b32 exec_lo, exec_lo, s3
	v_mov_b32_e32 v7, 0
	ds_load_b128 v[7:10], v7 offset:416
	s_waitcnt lgkmcnt(0)
	v_mul_f64 v[11:12], v[1:2], v[9:10]
	v_mul_f64 v[15:16], v[3:4], v[9:10]
	s_delay_alu instid0(VALU_DEP_2) | instskip(NEXT) | instid1(VALU_DEP_2)
	v_fma_f64 v[9:10], v[3:4], v[7:8], -v[11:12]
	v_fma_f64 v[11:12], v[1:2], v[7:8], v[15:16]
	scratch_store_b128 off, v[9:12], off offset:416
.LBB49_119:
	s_or_b32 exec_lo, exec_lo, s2
	s_waitcnt_vscnt null, 0x0
	s_barrier
	buffer_gl0_inv
	scratch_load_b128 v[1:4], v166, off
	s_mov_b32 s2, exec_lo
	s_waitcnt vmcnt(0)
	ds_store_b128 v5, v[1:4]
	s_waitcnt lgkmcnt(0)
	s_barrier
	buffer_gl0_inv
	v_cmpx_gt_u32_e32 27, v142
	s_cbranch_execz .LBB49_123
; %bb.120:
	v_dual_mov_b32 v1, 0 :: v_dual_add_nc_u32 v8, 0x320, v13
	v_dual_mov_b32 v2, 0 :: v_dual_add_nc_u32 v7, -1, v142
	v_or_b32_e32 v9, 8, v14
	s_mov_b32 s3, 0
	s_delay_alu instid0(VALU_DEP_2)
	v_dual_mov_b32 v4, v2 :: v_dual_mov_b32 v3, v1
	.p2align	6
.LBB49_121:                             ; =>This Inner Loop Header: Depth=1
	scratch_load_b128 v[15:18], v9, off offset:-8
	ds_load_b128 v[19:22], v8
	v_add_nc_u32_e32 v7, 1, v7
	v_add_nc_u32_e32 v8, 16, v8
	;; [unrolled: 1-line block ×3, first 2 shown]
	s_delay_alu instid0(VALU_DEP_3) | instskip(SKIP_4) | instid1(VALU_DEP_2)
	v_cmp_lt_u32_e32 vcc_lo, 25, v7
	s_or_b32 s3, vcc_lo, s3
	s_waitcnt vmcnt(0) lgkmcnt(0)
	v_mul_f64 v[10:11], v[21:22], v[17:18]
	v_mul_f64 v[17:18], v[19:20], v[17:18]
	v_fma_f64 v[10:11], v[19:20], v[15:16], -v[10:11]
	s_delay_alu instid0(VALU_DEP_2) | instskip(NEXT) | instid1(VALU_DEP_2)
	v_fma_f64 v[15:16], v[21:22], v[15:16], v[17:18]
	v_add_f64 v[3:4], v[3:4], v[10:11]
	s_delay_alu instid0(VALU_DEP_2)
	v_add_f64 v[1:2], v[1:2], v[15:16]
	s_and_not1_b32 exec_lo, exec_lo, s3
	s_cbranch_execnz .LBB49_121
; %bb.122:
	s_or_b32 exec_lo, exec_lo, s3
	v_mov_b32_e32 v7, 0
	ds_load_b128 v[7:10], v7 offset:432
	s_waitcnt lgkmcnt(0)
	v_mul_f64 v[11:12], v[1:2], v[9:10]
	v_mul_f64 v[15:16], v[3:4], v[9:10]
	s_delay_alu instid0(VALU_DEP_2) | instskip(NEXT) | instid1(VALU_DEP_2)
	v_fma_f64 v[9:10], v[3:4], v[7:8], -v[11:12]
	v_fma_f64 v[11:12], v[1:2], v[7:8], v[15:16]
	scratch_store_b128 off, v[9:12], off offset:432
.LBB49_123:
	s_or_b32 exec_lo, exec_lo, s2
	s_waitcnt_vscnt null, 0x0
	s_barrier
	buffer_gl0_inv
	scratch_load_b128 v[1:4], v164, off
	s_mov_b32 s2, exec_lo
	s_waitcnt vmcnt(0)
	ds_store_b128 v5, v[1:4]
	s_waitcnt lgkmcnt(0)
	s_barrier
	buffer_gl0_inv
	v_cmpx_gt_u32_e32 28, v142
	s_cbranch_execz .LBB49_127
; %bb.124:
	v_dual_mov_b32 v1, 0 :: v_dual_add_nc_u32 v8, 0x320, v13
	v_dual_mov_b32 v2, 0 :: v_dual_add_nc_u32 v7, -1, v142
	v_or_b32_e32 v9, 8, v14
	s_mov_b32 s3, 0
	s_delay_alu instid0(VALU_DEP_2)
	v_dual_mov_b32 v4, v2 :: v_dual_mov_b32 v3, v1
	.p2align	6
.LBB49_125:                             ; =>This Inner Loop Header: Depth=1
	scratch_load_b128 v[15:18], v9, off offset:-8
	ds_load_b128 v[19:22], v8
	v_add_nc_u32_e32 v7, 1, v7
	v_add_nc_u32_e32 v8, 16, v8
	;; [unrolled: 1-line block ×3, first 2 shown]
	s_delay_alu instid0(VALU_DEP_3) | instskip(SKIP_4) | instid1(VALU_DEP_2)
	v_cmp_lt_u32_e32 vcc_lo, 26, v7
	s_or_b32 s3, vcc_lo, s3
	s_waitcnt vmcnt(0) lgkmcnt(0)
	v_mul_f64 v[10:11], v[21:22], v[17:18]
	v_mul_f64 v[17:18], v[19:20], v[17:18]
	v_fma_f64 v[10:11], v[19:20], v[15:16], -v[10:11]
	s_delay_alu instid0(VALU_DEP_2) | instskip(NEXT) | instid1(VALU_DEP_2)
	v_fma_f64 v[15:16], v[21:22], v[15:16], v[17:18]
	v_add_f64 v[3:4], v[3:4], v[10:11]
	s_delay_alu instid0(VALU_DEP_2)
	v_add_f64 v[1:2], v[1:2], v[15:16]
	s_and_not1_b32 exec_lo, exec_lo, s3
	s_cbranch_execnz .LBB49_125
; %bb.126:
	s_or_b32 exec_lo, exec_lo, s3
	v_mov_b32_e32 v7, 0
	ds_load_b128 v[7:10], v7 offset:448
	s_waitcnt lgkmcnt(0)
	v_mul_f64 v[11:12], v[1:2], v[9:10]
	v_mul_f64 v[15:16], v[3:4], v[9:10]
	s_delay_alu instid0(VALU_DEP_2) | instskip(NEXT) | instid1(VALU_DEP_2)
	v_fma_f64 v[9:10], v[3:4], v[7:8], -v[11:12]
	v_fma_f64 v[11:12], v[1:2], v[7:8], v[15:16]
	scratch_store_b128 off, v[9:12], off offset:448
.LBB49_127:
	s_or_b32 exec_lo, exec_lo, s2
	s_waitcnt_vscnt null, 0x0
	s_barrier
	buffer_gl0_inv
	scratch_load_b128 v[1:4], v163, off
	s_mov_b32 s2, exec_lo
	s_waitcnt vmcnt(0)
	ds_store_b128 v5, v[1:4]
	s_waitcnt lgkmcnt(0)
	s_barrier
	buffer_gl0_inv
	v_cmpx_gt_u32_e32 29, v142
	s_cbranch_execz .LBB49_131
; %bb.128:
	v_dual_mov_b32 v1, 0 :: v_dual_add_nc_u32 v8, 0x320, v13
	v_dual_mov_b32 v2, 0 :: v_dual_add_nc_u32 v7, -1, v142
	v_or_b32_e32 v9, 8, v14
	s_mov_b32 s3, 0
	s_delay_alu instid0(VALU_DEP_2)
	v_dual_mov_b32 v4, v2 :: v_dual_mov_b32 v3, v1
	.p2align	6
.LBB49_129:                             ; =>This Inner Loop Header: Depth=1
	scratch_load_b128 v[15:18], v9, off offset:-8
	ds_load_b128 v[19:22], v8
	v_add_nc_u32_e32 v7, 1, v7
	v_add_nc_u32_e32 v8, 16, v8
	;; [unrolled: 1-line block ×3, first 2 shown]
	s_delay_alu instid0(VALU_DEP_3) | instskip(SKIP_4) | instid1(VALU_DEP_2)
	v_cmp_lt_u32_e32 vcc_lo, 27, v7
	s_or_b32 s3, vcc_lo, s3
	s_waitcnt vmcnt(0) lgkmcnt(0)
	v_mul_f64 v[10:11], v[21:22], v[17:18]
	v_mul_f64 v[17:18], v[19:20], v[17:18]
	v_fma_f64 v[10:11], v[19:20], v[15:16], -v[10:11]
	s_delay_alu instid0(VALU_DEP_2) | instskip(NEXT) | instid1(VALU_DEP_2)
	v_fma_f64 v[15:16], v[21:22], v[15:16], v[17:18]
	v_add_f64 v[3:4], v[3:4], v[10:11]
	s_delay_alu instid0(VALU_DEP_2)
	v_add_f64 v[1:2], v[1:2], v[15:16]
	s_and_not1_b32 exec_lo, exec_lo, s3
	s_cbranch_execnz .LBB49_129
; %bb.130:
	s_or_b32 exec_lo, exec_lo, s3
	v_mov_b32_e32 v7, 0
	ds_load_b128 v[7:10], v7 offset:464
	s_waitcnt lgkmcnt(0)
	v_mul_f64 v[11:12], v[1:2], v[9:10]
	v_mul_f64 v[15:16], v[3:4], v[9:10]
	s_delay_alu instid0(VALU_DEP_2) | instskip(NEXT) | instid1(VALU_DEP_2)
	v_fma_f64 v[9:10], v[3:4], v[7:8], -v[11:12]
	v_fma_f64 v[11:12], v[1:2], v[7:8], v[15:16]
	scratch_store_b128 off, v[9:12], off offset:464
.LBB49_131:
	s_or_b32 exec_lo, exec_lo, s2
	s_waitcnt_vscnt null, 0x0
	s_barrier
	buffer_gl0_inv
	scratch_load_b128 v[1:4], v161, off
	s_mov_b32 s2, exec_lo
	s_waitcnt vmcnt(0)
	ds_store_b128 v5, v[1:4]
	s_waitcnt lgkmcnt(0)
	s_barrier
	buffer_gl0_inv
	v_cmpx_gt_u32_e32 30, v142
	s_cbranch_execz .LBB49_135
; %bb.132:
	v_dual_mov_b32 v1, 0 :: v_dual_add_nc_u32 v8, 0x320, v13
	v_dual_mov_b32 v2, 0 :: v_dual_add_nc_u32 v7, -1, v142
	v_or_b32_e32 v9, 8, v14
	s_mov_b32 s3, 0
	s_delay_alu instid0(VALU_DEP_2)
	v_dual_mov_b32 v4, v2 :: v_dual_mov_b32 v3, v1
	.p2align	6
.LBB49_133:                             ; =>This Inner Loop Header: Depth=1
	scratch_load_b128 v[15:18], v9, off offset:-8
	ds_load_b128 v[19:22], v8
	v_add_nc_u32_e32 v7, 1, v7
	v_add_nc_u32_e32 v8, 16, v8
	;; [unrolled: 1-line block ×3, first 2 shown]
	s_delay_alu instid0(VALU_DEP_3) | instskip(SKIP_4) | instid1(VALU_DEP_2)
	v_cmp_lt_u32_e32 vcc_lo, 28, v7
	s_or_b32 s3, vcc_lo, s3
	s_waitcnt vmcnt(0) lgkmcnt(0)
	v_mul_f64 v[10:11], v[21:22], v[17:18]
	v_mul_f64 v[17:18], v[19:20], v[17:18]
	v_fma_f64 v[10:11], v[19:20], v[15:16], -v[10:11]
	s_delay_alu instid0(VALU_DEP_2) | instskip(NEXT) | instid1(VALU_DEP_2)
	v_fma_f64 v[15:16], v[21:22], v[15:16], v[17:18]
	v_add_f64 v[3:4], v[3:4], v[10:11]
	s_delay_alu instid0(VALU_DEP_2)
	v_add_f64 v[1:2], v[1:2], v[15:16]
	s_and_not1_b32 exec_lo, exec_lo, s3
	s_cbranch_execnz .LBB49_133
; %bb.134:
	s_or_b32 exec_lo, exec_lo, s3
	v_mov_b32_e32 v7, 0
	ds_load_b128 v[7:10], v7 offset:480
	s_waitcnt lgkmcnt(0)
	v_mul_f64 v[11:12], v[1:2], v[9:10]
	v_mul_f64 v[15:16], v[3:4], v[9:10]
	s_delay_alu instid0(VALU_DEP_2) | instskip(NEXT) | instid1(VALU_DEP_2)
	v_fma_f64 v[9:10], v[3:4], v[7:8], -v[11:12]
	v_fma_f64 v[11:12], v[1:2], v[7:8], v[15:16]
	scratch_store_b128 off, v[9:12], off offset:480
.LBB49_135:
	s_or_b32 exec_lo, exec_lo, s2
	s_waitcnt_vscnt null, 0x0
	s_barrier
	buffer_gl0_inv
	scratch_load_b128 v[1:4], v162, off
	s_mov_b32 s2, exec_lo
	s_waitcnt vmcnt(0)
	ds_store_b128 v5, v[1:4]
	s_waitcnt lgkmcnt(0)
	s_barrier
	buffer_gl0_inv
	v_cmpx_gt_u32_e32 31, v142
	s_cbranch_execz .LBB49_139
; %bb.136:
	v_dual_mov_b32 v1, 0 :: v_dual_add_nc_u32 v8, 0x320, v13
	v_dual_mov_b32 v2, 0 :: v_dual_add_nc_u32 v7, -1, v142
	v_or_b32_e32 v9, 8, v14
	s_mov_b32 s3, 0
	s_delay_alu instid0(VALU_DEP_2)
	v_dual_mov_b32 v4, v2 :: v_dual_mov_b32 v3, v1
	.p2align	6
.LBB49_137:                             ; =>This Inner Loop Header: Depth=1
	scratch_load_b128 v[15:18], v9, off offset:-8
	ds_load_b128 v[19:22], v8
	v_add_nc_u32_e32 v7, 1, v7
	v_add_nc_u32_e32 v8, 16, v8
	;; [unrolled: 1-line block ×3, first 2 shown]
	s_delay_alu instid0(VALU_DEP_3) | instskip(SKIP_4) | instid1(VALU_DEP_2)
	v_cmp_lt_u32_e32 vcc_lo, 29, v7
	s_or_b32 s3, vcc_lo, s3
	s_waitcnt vmcnt(0) lgkmcnt(0)
	v_mul_f64 v[10:11], v[21:22], v[17:18]
	v_mul_f64 v[17:18], v[19:20], v[17:18]
	v_fma_f64 v[10:11], v[19:20], v[15:16], -v[10:11]
	s_delay_alu instid0(VALU_DEP_2) | instskip(NEXT) | instid1(VALU_DEP_2)
	v_fma_f64 v[15:16], v[21:22], v[15:16], v[17:18]
	v_add_f64 v[3:4], v[3:4], v[10:11]
	s_delay_alu instid0(VALU_DEP_2)
	v_add_f64 v[1:2], v[1:2], v[15:16]
	s_and_not1_b32 exec_lo, exec_lo, s3
	s_cbranch_execnz .LBB49_137
; %bb.138:
	s_or_b32 exec_lo, exec_lo, s3
	v_mov_b32_e32 v7, 0
	ds_load_b128 v[7:10], v7 offset:496
	s_waitcnt lgkmcnt(0)
	v_mul_f64 v[11:12], v[1:2], v[9:10]
	v_mul_f64 v[15:16], v[3:4], v[9:10]
	s_delay_alu instid0(VALU_DEP_2) | instskip(NEXT) | instid1(VALU_DEP_2)
	v_fma_f64 v[9:10], v[3:4], v[7:8], -v[11:12]
	v_fma_f64 v[11:12], v[1:2], v[7:8], v[15:16]
	scratch_store_b128 off, v[9:12], off offset:496
.LBB49_139:
	s_or_b32 exec_lo, exec_lo, s2
	s_waitcnt_vscnt null, 0x0
	s_barrier
	buffer_gl0_inv
	scratch_load_b128 v[1:4], v160, off
	s_mov_b32 s2, exec_lo
	s_waitcnt vmcnt(0)
	ds_store_b128 v5, v[1:4]
	s_waitcnt lgkmcnt(0)
	s_barrier
	buffer_gl0_inv
	v_cmpx_gt_u32_e32 32, v142
	s_cbranch_execz .LBB49_143
; %bb.140:
	v_dual_mov_b32 v1, 0 :: v_dual_add_nc_u32 v8, 0x320, v13
	v_dual_mov_b32 v2, 0 :: v_dual_add_nc_u32 v7, -1, v142
	v_or_b32_e32 v9, 8, v14
	s_mov_b32 s3, 0
	s_delay_alu instid0(VALU_DEP_2)
	v_dual_mov_b32 v4, v2 :: v_dual_mov_b32 v3, v1
	.p2align	6
.LBB49_141:                             ; =>This Inner Loop Header: Depth=1
	scratch_load_b128 v[15:18], v9, off offset:-8
	ds_load_b128 v[19:22], v8
	v_add_nc_u32_e32 v7, 1, v7
	v_add_nc_u32_e32 v8, 16, v8
	;; [unrolled: 1-line block ×3, first 2 shown]
	s_delay_alu instid0(VALU_DEP_3) | instskip(SKIP_4) | instid1(VALU_DEP_2)
	v_cmp_lt_u32_e32 vcc_lo, 30, v7
	s_or_b32 s3, vcc_lo, s3
	s_waitcnt vmcnt(0) lgkmcnt(0)
	v_mul_f64 v[10:11], v[21:22], v[17:18]
	v_mul_f64 v[17:18], v[19:20], v[17:18]
	v_fma_f64 v[10:11], v[19:20], v[15:16], -v[10:11]
	s_delay_alu instid0(VALU_DEP_2) | instskip(NEXT) | instid1(VALU_DEP_2)
	v_fma_f64 v[15:16], v[21:22], v[15:16], v[17:18]
	v_add_f64 v[3:4], v[3:4], v[10:11]
	s_delay_alu instid0(VALU_DEP_2)
	v_add_f64 v[1:2], v[1:2], v[15:16]
	s_and_not1_b32 exec_lo, exec_lo, s3
	s_cbranch_execnz .LBB49_141
; %bb.142:
	s_or_b32 exec_lo, exec_lo, s3
	v_mov_b32_e32 v7, 0
	ds_load_b128 v[7:10], v7 offset:512
	s_waitcnt lgkmcnt(0)
	v_mul_f64 v[11:12], v[1:2], v[9:10]
	v_mul_f64 v[15:16], v[3:4], v[9:10]
	s_delay_alu instid0(VALU_DEP_2) | instskip(NEXT) | instid1(VALU_DEP_2)
	v_fma_f64 v[9:10], v[3:4], v[7:8], -v[11:12]
	v_fma_f64 v[11:12], v[1:2], v[7:8], v[15:16]
	scratch_store_b128 off, v[9:12], off offset:512
.LBB49_143:
	s_or_b32 exec_lo, exec_lo, s2
	s_waitcnt_vscnt null, 0x0
	s_barrier
	buffer_gl0_inv
	scratch_load_b128 v[1:4], v159, off
	s_mov_b32 s2, exec_lo
	s_waitcnt vmcnt(0)
	ds_store_b128 v5, v[1:4]
	s_waitcnt lgkmcnt(0)
	s_barrier
	buffer_gl0_inv
	v_cmpx_gt_u32_e32 33, v142
	s_cbranch_execz .LBB49_147
; %bb.144:
	v_dual_mov_b32 v1, 0 :: v_dual_add_nc_u32 v8, 0x320, v13
	v_dual_mov_b32 v2, 0 :: v_dual_add_nc_u32 v7, -1, v142
	v_or_b32_e32 v9, 8, v14
	s_mov_b32 s3, 0
	s_delay_alu instid0(VALU_DEP_2)
	v_dual_mov_b32 v4, v2 :: v_dual_mov_b32 v3, v1
	.p2align	6
.LBB49_145:                             ; =>This Inner Loop Header: Depth=1
	scratch_load_b128 v[15:18], v9, off offset:-8
	ds_load_b128 v[19:22], v8
	v_add_nc_u32_e32 v7, 1, v7
	v_add_nc_u32_e32 v8, 16, v8
	;; [unrolled: 1-line block ×3, first 2 shown]
	s_delay_alu instid0(VALU_DEP_3) | instskip(SKIP_4) | instid1(VALU_DEP_2)
	v_cmp_lt_u32_e32 vcc_lo, 31, v7
	s_or_b32 s3, vcc_lo, s3
	s_waitcnt vmcnt(0) lgkmcnt(0)
	v_mul_f64 v[10:11], v[21:22], v[17:18]
	v_mul_f64 v[17:18], v[19:20], v[17:18]
	v_fma_f64 v[10:11], v[19:20], v[15:16], -v[10:11]
	s_delay_alu instid0(VALU_DEP_2) | instskip(NEXT) | instid1(VALU_DEP_2)
	v_fma_f64 v[15:16], v[21:22], v[15:16], v[17:18]
	v_add_f64 v[3:4], v[3:4], v[10:11]
	s_delay_alu instid0(VALU_DEP_2)
	v_add_f64 v[1:2], v[1:2], v[15:16]
	s_and_not1_b32 exec_lo, exec_lo, s3
	s_cbranch_execnz .LBB49_145
; %bb.146:
	s_or_b32 exec_lo, exec_lo, s3
	v_mov_b32_e32 v7, 0
	ds_load_b128 v[7:10], v7 offset:528
	s_waitcnt lgkmcnt(0)
	v_mul_f64 v[11:12], v[1:2], v[9:10]
	v_mul_f64 v[15:16], v[3:4], v[9:10]
	s_delay_alu instid0(VALU_DEP_2) | instskip(NEXT) | instid1(VALU_DEP_2)
	v_fma_f64 v[9:10], v[3:4], v[7:8], -v[11:12]
	v_fma_f64 v[11:12], v[1:2], v[7:8], v[15:16]
	scratch_store_b128 off, v[9:12], off offset:528
.LBB49_147:
	s_or_b32 exec_lo, exec_lo, s2
	s_waitcnt_vscnt null, 0x0
	s_barrier
	buffer_gl0_inv
	scratch_load_b128 v[1:4], v157, off
	s_mov_b32 s2, exec_lo
	s_waitcnt vmcnt(0)
	ds_store_b128 v5, v[1:4]
	s_waitcnt lgkmcnt(0)
	s_barrier
	buffer_gl0_inv
	v_cmpx_gt_u32_e32 34, v142
	s_cbranch_execz .LBB49_151
; %bb.148:
	v_dual_mov_b32 v1, 0 :: v_dual_add_nc_u32 v8, 0x320, v13
	v_dual_mov_b32 v2, 0 :: v_dual_add_nc_u32 v7, -1, v142
	v_or_b32_e32 v9, 8, v14
	s_mov_b32 s3, 0
	s_delay_alu instid0(VALU_DEP_2)
	v_dual_mov_b32 v4, v2 :: v_dual_mov_b32 v3, v1
	.p2align	6
.LBB49_149:                             ; =>This Inner Loop Header: Depth=1
	scratch_load_b128 v[15:18], v9, off offset:-8
	ds_load_b128 v[19:22], v8
	v_add_nc_u32_e32 v7, 1, v7
	v_add_nc_u32_e32 v8, 16, v8
	;; [unrolled: 1-line block ×3, first 2 shown]
	s_delay_alu instid0(VALU_DEP_3) | instskip(SKIP_4) | instid1(VALU_DEP_2)
	v_cmp_lt_u32_e32 vcc_lo, 32, v7
	s_or_b32 s3, vcc_lo, s3
	s_waitcnt vmcnt(0) lgkmcnt(0)
	v_mul_f64 v[10:11], v[21:22], v[17:18]
	v_mul_f64 v[17:18], v[19:20], v[17:18]
	v_fma_f64 v[10:11], v[19:20], v[15:16], -v[10:11]
	s_delay_alu instid0(VALU_DEP_2) | instskip(NEXT) | instid1(VALU_DEP_2)
	v_fma_f64 v[15:16], v[21:22], v[15:16], v[17:18]
	v_add_f64 v[3:4], v[3:4], v[10:11]
	s_delay_alu instid0(VALU_DEP_2)
	v_add_f64 v[1:2], v[1:2], v[15:16]
	s_and_not1_b32 exec_lo, exec_lo, s3
	s_cbranch_execnz .LBB49_149
; %bb.150:
	s_or_b32 exec_lo, exec_lo, s3
	v_mov_b32_e32 v7, 0
	ds_load_b128 v[7:10], v7 offset:544
	s_waitcnt lgkmcnt(0)
	v_mul_f64 v[11:12], v[1:2], v[9:10]
	v_mul_f64 v[15:16], v[3:4], v[9:10]
	s_delay_alu instid0(VALU_DEP_2) | instskip(NEXT) | instid1(VALU_DEP_2)
	v_fma_f64 v[9:10], v[3:4], v[7:8], -v[11:12]
	v_fma_f64 v[11:12], v[1:2], v[7:8], v[15:16]
	scratch_store_b128 off, v[9:12], off offset:544
.LBB49_151:
	s_or_b32 exec_lo, exec_lo, s2
	s_waitcnt_vscnt null, 0x0
	s_barrier
	buffer_gl0_inv
	scratch_load_b128 v[1:4], v158, off
	s_mov_b32 s2, exec_lo
	s_waitcnt vmcnt(0)
	ds_store_b128 v5, v[1:4]
	s_waitcnt lgkmcnt(0)
	s_barrier
	buffer_gl0_inv
	v_cmpx_gt_u32_e32 35, v142
	s_cbranch_execz .LBB49_155
; %bb.152:
	v_dual_mov_b32 v1, 0 :: v_dual_add_nc_u32 v8, 0x320, v13
	v_dual_mov_b32 v2, 0 :: v_dual_add_nc_u32 v7, -1, v142
	v_or_b32_e32 v9, 8, v14
	s_mov_b32 s3, 0
	s_delay_alu instid0(VALU_DEP_2)
	v_dual_mov_b32 v4, v2 :: v_dual_mov_b32 v3, v1
	.p2align	6
.LBB49_153:                             ; =>This Inner Loop Header: Depth=1
	scratch_load_b128 v[15:18], v9, off offset:-8
	ds_load_b128 v[19:22], v8
	v_add_nc_u32_e32 v7, 1, v7
	v_add_nc_u32_e32 v8, 16, v8
	;; [unrolled: 1-line block ×3, first 2 shown]
	s_delay_alu instid0(VALU_DEP_3) | instskip(SKIP_4) | instid1(VALU_DEP_2)
	v_cmp_lt_u32_e32 vcc_lo, 33, v7
	s_or_b32 s3, vcc_lo, s3
	s_waitcnt vmcnt(0) lgkmcnt(0)
	v_mul_f64 v[10:11], v[21:22], v[17:18]
	v_mul_f64 v[17:18], v[19:20], v[17:18]
	v_fma_f64 v[10:11], v[19:20], v[15:16], -v[10:11]
	s_delay_alu instid0(VALU_DEP_2) | instskip(NEXT) | instid1(VALU_DEP_2)
	v_fma_f64 v[15:16], v[21:22], v[15:16], v[17:18]
	v_add_f64 v[3:4], v[3:4], v[10:11]
	s_delay_alu instid0(VALU_DEP_2)
	v_add_f64 v[1:2], v[1:2], v[15:16]
	s_and_not1_b32 exec_lo, exec_lo, s3
	s_cbranch_execnz .LBB49_153
; %bb.154:
	s_or_b32 exec_lo, exec_lo, s3
	v_mov_b32_e32 v7, 0
	ds_load_b128 v[7:10], v7 offset:560
	s_waitcnt lgkmcnt(0)
	v_mul_f64 v[11:12], v[1:2], v[9:10]
	v_mul_f64 v[15:16], v[3:4], v[9:10]
	s_delay_alu instid0(VALU_DEP_2) | instskip(NEXT) | instid1(VALU_DEP_2)
	v_fma_f64 v[9:10], v[3:4], v[7:8], -v[11:12]
	v_fma_f64 v[11:12], v[1:2], v[7:8], v[15:16]
	scratch_store_b128 off, v[9:12], off offset:560
.LBB49_155:
	s_or_b32 exec_lo, exec_lo, s2
	s_waitcnt_vscnt null, 0x0
	s_barrier
	buffer_gl0_inv
	scratch_load_b128 v[1:4], v155, off
	s_mov_b32 s2, exec_lo
	s_waitcnt vmcnt(0)
	ds_store_b128 v5, v[1:4]
	s_waitcnt lgkmcnt(0)
	s_barrier
	buffer_gl0_inv
	v_cmpx_gt_u32_e32 36, v142
	s_cbranch_execz .LBB49_159
; %bb.156:
	v_dual_mov_b32 v1, 0 :: v_dual_add_nc_u32 v8, 0x320, v13
	v_dual_mov_b32 v2, 0 :: v_dual_add_nc_u32 v7, -1, v142
	v_or_b32_e32 v9, 8, v14
	s_mov_b32 s3, 0
	s_delay_alu instid0(VALU_DEP_2)
	v_dual_mov_b32 v4, v2 :: v_dual_mov_b32 v3, v1
	.p2align	6
.LBB49_157:                             ; =>This Inner Loop Header: Depth=1
	scratch_load_b128 v[15:18], v9, off offset:-8
	ds_load_b128 v[19:22], v8
	v_add_nc_u32_e32 v7, 1, v7
	v_add_nc_u32_e32 v8, 16, v8
	;; [unrolled: 1-line block ×3, first 2 shown]
	s_delay_alu instid0(VALU_DEP_3) | instskip(SKIP_4) | instid1(VALU_DEP_2)
	v_cmp_lt_u32_e32 vcc_lo, 34, v7
	s_or_b32 s3, vcc_lo, s3
	s_waitcnt vmcnt(0) lgkmcnt(0)
	v_mul_f64 v[10:11], v[21:22], v[17:18]
	v_mul_f64 v[17:18], v[19:20], v[17:18]
	v_fma_f64 v[10:11], v[19:20], v[15:16], -v[10:11]
	s_delay_alu instid0(VALU_DEP_2) | instskip(NEXT) | instid1(VALU_DEP_2)
	v_fma_f64 v[15:16], v[21:22], v[15:16], v[17:18]
	v_add_f64 v[3:4], v[3:4], v[10:11]
	s_delay_alu instid0(VALU_DEP_2)
	v_add_f64 v[1:2], v[1:2], v[15:16]
	s_and_not1_b32 exec_lo, exec_lo, s3
	s_cbranch_execnz .LBB49_157
; %bb.158:
	s_or_b32 exec_lo, exec_lo, s3
	v_mov_b32_e32 v7, 0
	ds_load_b128 v[7:10], v7 offset:576
	s_waitcnt lgkmcnt(0)
	v_mul_f64 v[11:12], v[1:2], v[9:10]
	v_mul_f64 v[15:16], v[3:4], v[9:10]
	s_delay_alu instid0(VALU_DEP_2) | instskip(NEXT) | instid1(VALU_DEP_2)
	v_fma_f64 v[9:10], v[3:4], v[7:8], -v[11:12]
	v_fma_f64 v[11:12], v[1:2], v[7:8], v[15:16]
	scratch_store_b128 off, v[9:12], off offset:576
.LBB49_159:
	s_or_b32 exec_lo, exec_lo, s2
	s_waitcnt_vscnt null, 0x0
	s_barrier
	buffer_gl0_inv
	scratch_load_b128 v[1:4], v154, off
	s_mov_b32 s2, exec_lo
	s_waitcnt vmcnt(0)
	ds_store_b128 v5, v[1:4]
	s_waitcnt lgkmcnt(0)
	s_barrier
	buffer_gl0_inv
	v_cmpx_gt_u32_e32 37, v142
	s_cbranch_execz .LBB49_163
; %bb.160:
	v_dual_mov_b32 v1, 0 :: v_dual_add_nc_u32 v8, 0x320, v13
	v_dual_mov_b32 v2, 0 :: v_dual_add_nc_u32 v7, -1, v142
	v_or_b32_e32 v9, 8, v14
	s_mov_b32 s3, 0
	s_delay_alu instid0(VALU_DEP_2)
	v_dual_mov_b32 v4, v2 :: v_dual_mov_b32 v3, v1
	.p2align	6
.LBB49_161:                             ; =>This Inner Loop Header: Depth=1
	scratch_load_b128 v[15:18], v9, off offset:-8
	ds_load_b128 v[19:22], v8
	v_add_nc_u32_e32 v7, 1, v7
	v_add_nc_u32_e32 v8, 16, v8
	;; [unrolled: 1-line block ×3, first 2 shown]
	s_delay_alu instid0(VALU_DEP_3) | instskip(SKIP_4) | instid1(VALU_DEP_2)
	v_cmp_lt_u32_e32 vcc_lo, 35, v7
	s_or_b32 s3, vcc_lo, s3
	s_waitcnt vmcnt(0) lgkmcnt(0)
	v_mul_f64 v[10:11], v[21:22], v[17:18]
	v_mul_f64 v[17:18], v[19:20], v[17:18]
	v_fma_f64 v[10:11], v[19:20], v[15:16], -v[10:11]
	s_delay_alu instid0(VALU_DEP_2) | instskip(NEXT) | instid1(VALU_DEP_2)
	v_fma_f64 v[15:16], v[21:22], v[15:16], v[17:18]
	v_add_f64 v[3:4], v[3:4], v[10:11]
	s_delay_alu instid0(VALU_DEP_2)
	v_add_f64 v[1:2], v[1:2], v[15:16]
	s_and_not1_b32 exec_lo, exec_lo, s3
	s_cbranch_execnz .LBB49_161
; %bb.162:
	s_or_b32 exec_lo, exec_lo, s3
	v_mov_b32_e32 v7, 0
	ds_load_b128 v[7:10], v7 offset:592
	s_waitcnt lgkmcnt(0)
	v_mul_f64 v[11:12], v[1:2], v[9:10]
	v_mul_f64 v[15:16], v[3:4], v[9:10]
	s_delay_alu instid0(VALU_DEP_2) | instskip(NEXT) | instid1(VALU_DEP_2)
	v_fma_f64 v[9:10], v[3:4], v[7:8], -v[11:12]
	v_fma_f64 v[11:12], v[1:2], v[7:8], v[15:16]
	scratch_store_b128 off, v[9:12], off offset:592
.LBB49_163:
	s_or_b32 exec_lo, exec_lo, s2
	s_waitcnt_vscnt null, 0x0
	s_barrier
	buffer_gl0_inv
	scratch_load_b128 v[1:4], v146, off
	s_mov_b32 s2, exec_lo
	s_waitcnt vmcnt(0)
	ds_store_b128 v5, v[1:4]
	s_waitcnt lgkmcnt(0)
	s_barrier
	buffer_gl0_inv
	v_cmpx_gt_u32_e32 38, v142
	s_cbranch_execz .LBB49_167
; %bb.164:
	v_dual_mov_b32 v1, 0 :: v_dual_add_nc_u32 v8, 0x320, v13
	v_dual_mov_b32 v2, 0 :: v_dual_add_nc_u32 v7, -1, v142
	v_or_b32_e32 v9, 8, v14
	s_mov_b32 s3, 0
	s_delay_alu instid0(VALU_DEP_2)
	v_dual_mov_b32 v4, v2 :: v_dual_mov_b32 v3, v1
	.p2align	6
.LBB49_165:                             ; =>This Inner Loop Header: Depth=1
	scratch_load_b128 v[15:18], v9, off offset:-8
	ds_load_b128 v[19:22], v8
	v_add_nc_u32_e32 v7, 1, v7
	v_add_nc_u32_e32 v8, 16, v8
	;; [unrolled: 1-line block ×3, first 2 shown]
	s_delay_alu instid0(VALU_DEP_3) | instskip(SKIP_4) | instid1(VALU_DEP_2)
	v_cmp_lt_u32_e32 vcc_lo, 36, v7
	s_or_b32 s3, vcc_lo, s3
	s_waitcnt vmcnt(0) lgkmcnt(0)
	v_mul_f64 v[10:11], v[21:22], v[17:18]
	v_mul_f64 v[17:18], v[19:20], v[17:18]
	v_fma_f64 v[10:11], v[19:20], v[15:16], -v[10:11]
	s_delay_alu instid0(VALU_DEP_2) | instskip(NEXT) | instid1(VALU_DEP_2)
	v_fma_f64 v[15:16], v[21:22], v[15:16], v[17:18]
	v_add_f64 v[3:4], v[3:4], v[10:11]
	s_delay_alu instid0(VALU_DEP_2)
	v_add_f64 v[1:2], v[1:2], v[15:16]
	s_and_not1_b32 exec_lo, exec_lo, s3
	s_cbranch_execnz .LBB49_165
; %bb.166:
	s_or_b32 exec_lo, exec_lo, s3
	v_mov_b32_e32 v7, 0
	ds_load_b128 v[7:10], v7 offset:608
	s_waitcnt lgkmcnt(0)
	v_mul_f64 v[11:12], v[1:2], v[9:10]
	v_mul_f64 v[15:16], v[3:4], v[9:10]
	s_delay_alu instid0(VALU_DEP_2) | instskip(NEXT) | instid1(VALU_DEP_2)
	v_fma_f64 v[9:10], v[3:4], v[7:8], -v[11:12]
	v_fma_f64 v[11:12], v[1:2], v[7:8], v[15:16]
	scratch_store_b128 off, v[9:12], off offset:608
.LBB49_167:
	s_or_b32 exec_lo, exec_lo, s2
	s_waitcnt_vscnt null, 0x0
	s_barrier
	buffer_gl0_inv
	scratch_load_b128 v[1:4], v147, off
	s_mov_b32 s2, exec_lo
	s_waitcnt vmcnt(0)
	ds_store_b128 v5, v[1:4]
	s_waitcnt lgkmcnt(0)
	s_barrier
	buffer_gl0_inv
	v_cmpx_gt_u32_e32 39, v142
	s_cbranch_execz .LBB49_171
; %bb.168:
	v_dual_mov_b32 v1, 0 :: v_dual_add_nc_u32 v8, 0x320, v13
	v_dual_mov_b32 v2, 0 :: v_dual_add_nc_u32 v7, -1, v142
	v_or_b32_e32 v9, 8, v14
	s_mov_b32 s3, 0
	s_delay_alu instid0(VALU_DEP_2)
	v_dual_mov_b32 v4, v2 :: v_dual_mov_b32 v3, v1
	.p2align	6
.LBB49_169:                             ; =>This Inner Loop Header: Depth=1
	scratch_load_b128 v[15:18], v9, off offset:-8
	ds_load_b128 v[19:22], v8
	v_add_nc_u32_e32 v7, 1, v7
	v_add_nc_u32_e32 v8, 16, v8
	;; [unrolled: 1-line block ×3, first 2 shown]
	s_delay_alu instid0(VALU_DEP_3) | instskip(SKIP_4) | instid1(VALU_DEP_2)
	v_cmp_lt_u32_e32 vcc_lo, 37, v7
	s_or_b32 s3, vcc_lo, s3
	s_waitcnt vmcnt(0) lgkmcnt(0)
	v_mul_f64 v[10:11], v[21:22], v[17:18]
	v_mul_f64 v[17:18], v[19:20], v[17:18]
	v_fma_f64 v[10:11], v[19:20], v[15:16], -v[10:11]
	s_delay_alu instid0(VALU_DEP_2) | instskip(NEXT) | instid1(VALU_DEP_2)
	v_fma_f64 v[15:16], v[21:22], v[15:16], v[17:18]
	v_add_f64 v[3:4], v[3:4], v[10:11]
	s_delay_alu instid0(VALU_DEP_2)
	v_add_f64 v[1:2], v[1:2], v[15:16]
	s_and_not1_b32 exec_lo, exec_lo, s3
	s_cbranch_execnz .LBB49_169
; %bb.170:
	s_or_b32 exec_lo, exec_lo, s3
	v_mov_b32_e32 v7, 0
	ds_load_b128 v[7:10], v7 offset:624
	s_waitcnt lgkmcnt(0)
	v_mul_f64 v[11:12], v[1:2], v[9:10]
	v_mul_f64 v[15:16], v[3:4], v[9:10]
	s_delay_alu instid0(VALU_DEP_2) | instskip(NEXT) | instid1(VALU_DEP_2)
	v_fma_f64 v[9:10], v[3:4], v[7:8], -v[11:12]
	v_fma_f64 v[11:12], v[1:2], v[7:8], v[15:16]
	scratch_store_b128 off, v[9:12], off offset:624
.LBB49_171:
	s_or_b32 exec_lo, exec_lo, s2
	s_waitcnt_vscnt null, 0x0
	s_barrier
	buffer_gl0_inv
	scratch_load_b128 v[1:4], v145, off
	s_mov_b32 s2, exec_lo
	s_waitcnt vmcnt(0)
	ds_store_b128 v5, v[1:4]
	s_waitcnt lgkmcnt(0)
	s_barrier
	buffer_gl0_inv
	v_cmpx_gt_u32_e32 40, v142
	s_cbranch_execz .LBB49_175
; %bb.172:
	v_dual_mov_b32 v1, 0 :: v_dual_add_nc_u32 v8, 0x320, v13
	v_dual_mov_b32 v2, 0 :: v_dual_add_nc_u32 v7, -1, v142
	v_or_b32_e32 v9, 8, v14
	s_mov_b32 s3, 0
	s_delay_alu instid0(VALU_DEP_2)
	v_dual_mov_b32 v4, v2 :: v_dual_mov_b32 v3, v1
	.p2align	6
.LBB49_173:                             ; =>This Inner Loop Header: Depth=1
	scratch_load_b128 v[15:18], v9, off offset:-8
	ds_load_b128 v[19:22], v8
	v_add_nc_u32_e32 v7, 1, v7
	v_add_nc_u32_e32 v8, 16, v8
	;; [unrolled: 1-line block ×3, first 2 shown]
	s_delay_alu instid0(VALU_DEP_3) | instskip(SKIP_4) | instid1(VALU_DEP_2)
	v_cmp_lt_u32_e32 vcc_lo, 38, v7
	s_or_b32 s3, vcc_lo, s3
	s_waitcnt vmcnt(0) lgkmcnt(0)
	v_mul_f64 v[10:11], v[21:22], v[17:18]
	v_mul_f64 v[17:18], v[19:20], v[17:18]
	v_fma_f64 v[10:11], v[19:20], v[15:16], -v[10:11]
	s_delay_alu instid0(VALU_DEP_2) | instskip(NEXT) | instid1(VALU_DEP_2)
	v_fma_f64 v[15:16], v[21:22], v[15:16], v[17:18]
	v_add_f64 v[3:4], v[3:4], v[10:11]
	s_delay_alu instid0(VALU_DEP_2)
	v_add_f64 v[1:2], v[1:2], v[15:16]
	s_and_not1_b32 exec_lo, exec_lo, s3
	s_cbranch_execnz .LBB49_173
; %bb.174:
	s_or_b32 exec_lo, exec_lo, s3
	v_mov_b32_e32 v7, 0
	ds_load_b128 v[7:10], v7 offset:640
	s_waitcnt lgkmcnt(0)
	v_mul_f64 v[11:12], v[1:2], v[9:10]
	v_mul_f64 v[15:16], v[3:4], v[9:10]
	s_delay_alu instid0(VALU_DEP_2) | instskip(NEXT) | instid1(VALU_DEP_2)
	v_fma_f64 v[9:10], v[3:4], v[7:8], -v[11:12]
	v_fma_f64 v[11:12], v[1:2], v[7:8], v[15:16]
	scratch_store_b128 off, v[9:12], off offset:640
.LBB49_175:
	s_or_b32 exec_lo, exec_lo, s2
	s_waitcnt_vscnt null, 0x0
	s_barrier
	buffer_gl0_inv
	scratch_load_b128 v[1:4], v144, off
	s_mov_b32 s2, exec_lo
	s_waitcnt vmcnt(0)
	ds_store_b128 v5, v[1:4]
	s_waitcnt lgkmcnt(0)
	s_barrier
	buffer_gl0_inv
	v_cmpx_gt_u32_e32 41, v142
	s_cbranch_execz .LBB49_179
; %bb.176:
	v_dual_mov_b32 v1, 0 :: v_dual_add_nc_u32 v8, 0x320, v13
	v_dual_mov_b32 v2, 0 :: v_dual_add_nc_u32 v7, -1, v142
	v_or_b32_e32 v9, 8, v14
	s_mov_b32 s3, 0
	s_delay_alu instid0(VALU_DEP_2)
	v_dual_mov_b32 v4, v2 :: v_dual_mov_b32 v3, v1
	.p2align	6
.LBB49_177:                             ; =>This Inner Loop Header: Depth=1
	scratch_load_b128 v[15:18], v9, off offset:-8
	ds_load_b128 v[19:22], v8
	v_add_nc_u32_e32 v7, 1, v7
	v_add_nc_u32_e32 v8, 16, v8
	;; [unrolled: 1-line block ×3, first 2 shown]
	s_delay_alu instid0(VALU_DEP_3) | instskip(SKIP_4) | instid1(VALU_DEP_2)
	v_cmp_lt_u32_e32 vcc_lo, 39, v7
	s_or_b32 s3, vcc_lo, s3
	s_waitcnt vmcnt(0) lgkmcnt(0)
	v_mul_f64 v[10:11], v[21:22], v[17:18]
	v_mul_f64 v[17:18], v[19:20], v[17:18]
	v_fma_f64 v[10:11], v[19:20], v[15:16], -v[10:11]
	s_delay_alu instid0(VALU_DEP_2) | instskip(NEXT) | instid1(VALU_DEP_2)
	v_fma_f64 v[15:16], v[21:22], v[15:16], v[17:18]
	v_add_f64 v[3:4], v[3:4], v[10:11]
	s_delay_alu instid0(VALU_DEP_2)
	v_add_f64 v[1:2], v[1:2], v[15:16]
	s_and_not1_b32 exec_lo, exec_lo, s3
	s_cbranch_execnz .LBB49_177
; %bb.178:
	s_or_b32 exec_lo, exec_lo, s3
	v_mov_b32_e32 v7, 0
	ds_load_b128 v[7:10], v7 offset:656
	s_waitcnt lgkmcnt(0)
	v_mul_f64 v[11:12], v[1:2], v[9:10]
	v_mul_f64 v[15:16], v[3:4], v[9:10]
	s_delay_alu instid0(VALU_DEP_2) | instskip(NEXT) | instid1(VALU_DEP_2)
	v_fma_f64 v[9:10], v[3:4], v[7:8], -v[11:12]
	v_fma_f64 v[11:12], v[1:2], v[7:8], v[15:16]
	scratch_store_b128 off, v[9:12], off offset:656
.LBB49_179:
	s_or_b32 exec_lo, exec_lo, s2
	s_waitcnt_vscnt null, 0x0
	s_barrier
	buffer_gl0_inv
	scratch_load_b128 v[1:4], v143, off
	s_mov_b32 s2, exec_lo
	s_waitcnt vmcnt(0)
	ds_store_b128 v5, v[1:4]
	s_waitcnt lgkmcnt(0)
	s_barrier
	buffer_gl0_inv
	v_cmpx_gt_u32_e32 42, v142
	s_cbranch_execz .LBB49_183
; %bb.180:
	v_dual_mov_b32 v1, 0 :: v_dual_add_nc_u32 v8, 0x320, v13
	v_dual_mov_b32 v2, 0 :: v_dual_add_nc_u32 v7, -1, v142
	v_or_b32_e32 v9, 8, v14
	s_mov_b32 s3, 0
	s_delay_alu instid0(VALU_DEP_2)
	v_dual_mov_b32 v4, v2 :: v_dual_mov_b32 v3, v1
	.p2align	6
.LBB49_181:                             ; =>This Inner Loop Header: Depth=1
	scratch_load_b128 v[15:18], v9, off offset:-8
	ds_load_b128 v[19:22], v8
	v_add_nc_u32_e32 v7, 1, v7
	v_add_nc_u32_e32 v8, 16, v8
	;; [unrolled: 1-line block ×3, first 2 shown]
	s_delay_alu instid0(VALU_DEP_3) | instskip(SKIP_4) | instid1(VALU_DEP_2)
	v_cmp_lt_u32_e32 vcc_lo, 40, v7
	s_or_b32 s3, vcc_lo, s3
	s_waitcnt vmcnt(0) lgkmcnt(0)
	v_mul_f64 v[10:11], v[21:22], v[17:18]
	v_mul_f64 v[17:18], v[19:20], v[17:18]
	v_fma_f64 v[10:11], v[19:20], v[15:16], -v[10:11]
	s_delay_alu instid0(VALU_DEP_2) | instskip(NEXT) | instid1(VALU_DEP_2)
	v_fma_f64 v[15:16], v[21:22], v[15:16], v[17:18]
	v_add_f64 v[3:4], v[3:4], v[10:11]
	s_delay_alu instid0(VALU_DEP_2)
	v_add_f64 v[1:2], v[1:2], v[15:16]
	s_and_not1_b32 exec_lo, exec_lo, s3
	s_cbranch_execnz .LBB49_181
; %bb.182:
	s_or_b32 exec_lo, exec_lo, s3
	v_mov_b32_e32 v7, 0
	ds_load_b128 v[7:10], v7 offset:672
	s_waitcnt lgkmcnt(0)
	v_mul_f64 v[11:12], v[1:2], v[9:10]
	v_mul_f64 v[15:16], v[3:4], v[9:10]
	s_delay_alu instid0(VALU_DEP_2) | instskip(NEXT) | instid1(VALU_DEP_2)
	v_fma_f64 v[9:10], v[3:4], v[7:8], -v[11:12]
	v_fma_f64 v[11:12], v[1:2], v[7:8], v[15:16]
	scratch_store_b128 off, v[9:12], off offset:672
.LBB49_183:
	s_or_b32 exec_lo, exec_lo, s2
	s_waitcnt_vscnt null, 0x0
	s_barrier
	buffer_gl0_inv
	scratch_load_b128 v[1:4], v156, off
	s_mov_b32 s2, exec_lo
	s_waitcnt vmcnt(0)
	ds_store_b128 v5, v[1:4]
	s_waitcnt lgkmcnt(0)
	s_barrier
	buffer_gl0_inv
	v_cmpx_gt_u32_e32 43, v142
	s_cbranch_execz .LBB49_187
; %bb.184:
	v_dual_mov_b32 v1, 0 :: v_dual_add_nc_u32 v8, 0x320, v13
	v_dual_mov_b32 v2, 0 :: v_dual_add_nc_u32 v7, -1, v142
	v_or_b32_e32 v9, 8, v14
	s_mov_b32 s3, 0
	s_delay_alu instid0(VALU_DEP_2)
	v_dual_mov_b32 v4, v2 :: v_dual_mov_b32 v3, v1
	.p2align	6
.LBB49_185:                             ; =>This Inner Loop Header: Depth=1
	scratch_load_b128 v[15:18], v9, off offset:-8
	ds_load_b128 v[19:22], v8
	v_add_nc_u32_e32 v7, 1, v7
	v_add_nc_u32_e32 v8, 16, v8
	;; [unrolled: 1-line block ×3, first 2 shown]
	s_delay_alu instid0(VALU_DEP_3) | instskip(SKIP_4) | instid1(VALU_DEP_2)
	v_cmp_lt_u32_e32 vcc_lo, 41, v7
	s_or_b32 s3, vcc_lo, s3
	s_waitcnt vmcnt(0) lgkmcnt(0)
	v_mul_f64 v[10:11], v[21:22], v[17:18]
	v_mul_f64 v[17:18], v[19:20], v[17:18]
	v_fma_f64 v[10:11], v[19:20], v[15:16], -v[10:11]
	s_delay_alu instid0(VALU_DEP_2) | instskip(NEXT) | instid1(VALU_DEP_2)
	v_fma_f64 v[15:16], v[21:22], v[15:16], v[17:18]
	v_add_f64 v[3:4], v[3:4], v[10:11]
	s_delay_alu instid0(VALU_DEP_2)
	v_add_f64 v[1:2], v[1:2], v[15:16]
	s_and_not1_b32 exec_lo, exec_lo, s3
	s_cbranch_execnz .LBB49_185
; %bb.186:
	s_or_b32 exec_lo, exec_lo, s3
	v_mov_b32_e32 v7, 0
	ds_load_b128 v[7:10], v7 offset:688
	s_waitcnt lgkmcnt(0)
	v_mul_f64 v[11:12], v[1:2], v[9:10]
	v_mul_f64 v[15:16], v[3:4], v[9:10]
	s_delay_alu instid0(VALU_DEP_2) | instskip(NEXT) | instid1(VALU_DEP_2)
	v_fma_f64 v[9:10], v[3:4], v[7:8], -v[11:12]
	v_fma_f64 v[11:12], v[1:2], v[7:8], v[15:16]
	scratch_store_b128 off, v[9:12], off offset:688
.LBB49_187:
	s_or_b32 exec_lo, exec_lo, s2
	s_waitcnt_vscnt null, 0x0
	s_barrier
	buffer_gl0_inv
	scratch_load_b128 v[1:4], v153, off
	s_mov_b32 s2, exec_lo
	s_waitcnt vmcnt(0)
	ds_store_b128 v5, v[1:4]
	s_waitcnt lgkmcnt(0)
	s_barrier
	buffer_gl0_inv
	v_cmpx_gt_u32_e32 44, v142
	s_cbranch_execz .LBB49_191
; %bb.188:
	v_dual_mov_b32 v1, 0 :: v_dual_add_nc_u32 v8, 0x320, v13
	v_dual_mov_b32 v2, 0 :: v_dual_add_nc_u32 v7, -1, v142
	v_or_b32_e32 v9, 8, v14
	s_mov_b32 s3, 0
	s_delay_alu instid0(VALU_DEP_2)
	v_dual_mov_b32 v4, v2 :: v_dual_mov_b32 v3, v1
	.p2align	6
.LBB49_189:                             ; =>This Inner Loop Header: Depth=1
	scratch_load_b128 v[15:18], v9, off offset:-8
	ds_load_b128 v[19:22], v8
	v_add_nc_u32_e32 v7, 1, v7
	v_add_nc_u32_e32 v8, 16, v8
	;; [unrolled: 1-line block ×3, first 2 shown]
	s_delay_alu instid0(VALU_DEP_3) | instskip(SKIP_4) | instid1(VALU_DEP_2)
	v_cmp_lt_u32_e32 vcc_lo, 42, v7
	s_or_b32 s3, vcc_lo, s3
	s_waitcnt vmcnt(0) lgkmcnt(0)
	v_mul_f64 v[10:11], v[21:22], v[17:18]
	v_mul_f64 v[17:18], v[19:20], v[17:18]
	v_fma_f64 v[10:11], v[19:20], v[15:16], -v[10:11]
	s_delay_alu instid0(VALU_DEP_2) | instskip(NEXT) | instid1(VALU_DEP_2)
	v_fma_f64 v[15:16], v[21:22], v[15:16], v[17:18]
	v_add_f64 v[3:4], v[3:4], v[10:11]
	s_delay_alu instid0(VALU_DEP_2)
	v_add_f64 v[1:2], v[1:2], v[15:16]
	s_and_not1_b32 exec_lo, exec_lo, s3
	s_cbranch_execnz .LBB49_189
; %bb.190:
	s_or_b32 exec_lo, exec_lo, s3
	v_mov_b32_e32 v7, 0
	ds_load_b128 v[7:10], v7 offset:704
	s_waitcnt lgkmcnt(0)
	v_mul_f64 v[11:12], v[1:2], v[9:10]
	v_mul_f64 v[15:16], v[3:4], v[9:10]
	s_delay_alu instid0(VALU_DEP_2) | instskip(NEXT) | instid1(VALU_DEP_2)
	v_fma_f64 v[9:10], v[3:4], v[7:8], -v[11:12]
	v_fma_f64 v[11:12], v[1:2], v[7:8], v[15:16]
	scratch_store_b128 off, v[9:12], off offset:704
.LBB49_191:
	s_or_b32 exec_lo, exec_lo, s2
	s_waitcnt_vscnt null, 0x0
	s_barrier
	buffer_gl0_inv
	scratch_load_b128 v[1:4], v152, off
	s_mov_b32 s2, exec_lo
	s_waitcnt vmcnt(0)
	ds_store_b128 v5, v[1:4]
	s_waitcnt lgkmcnt(0)
	s_barrier
	buffer_gl0_inv
	v_cmpx_gt_u32_e32 45, v142
	s_cbranch_execz .LBB49_195
; %bb.192:
	v_dual_mov_b32 v1, 0 :: v_dual_add_nc_u32 v8, 0x320, v13
	v_dual_mov_b32 v2, 0 :: v_dual_add_nc_u32 v7, -1, v142
	v_or_b32_e32 v9, 8, v14
	s_mov_b32 s3, 0
	s_delay_alu instid0(VALU_DEP_2)
	v_dual_mov_b32 v4, v2 :: v_dual_mov_b32 v3, v1
	.p2align	6
.LBB49_193:                             ; =>This Inner Loop Header: Depth=1
	scratch_load_b128 v[15:18], v9, off offset:-8
	ds_load_b128 v[19:22], v8
	v_add_nc_u32_e32 v7, 1, v7
	v_add_nc_u32_e32 v8, 16, v8
	;; [unrolled: 1-line block ×3, first 2 shown]
	s_delay_alu instid0(VALU_DEP_3) | instskip(SKIP_4) | instid1(VALU_DEP_2)
	v_cmp_lt_u32_e32 vcc_lo, 43, v7
	s_or_b32 s3, vcc_lo, s3
	s_waitcnt vmcnt(0) lgkmcnt(0)
	v_mul_f64 v[10:11], v[21:22], v[17:18]
	v_mul_f64 v[17:18], v[19:20], v[17:18]
	v_fma_f64 v[10:11], v[19:20], v[15:16], -v[10:11]
	s_delay_alu instid0(VALU_DEP_2) | instskip(NEXT) | instid1(VALU_DEP_2)
	v_fma_f64 v[15:16], v[21:22], v[15:16], v[17:18]
	v_add_f64 v[3:4], v[3:4], v[10:11]
	s_delay_alu instid0(VALU_DEP_2)
	v_add_f64 v[1:2], v[1:2], v[15:16]
	s_and_not1_b32 exec_lo, exec_lo, s3
	s_cbranch_execnz .LBB49_193
; %bb.194:
	s_or_b32 exec_lo, exec_lo, s3
	v_mov_b32_e32 v7, 0
	ds_load_b128 v[7:10], v7 offset:720
	s_waitcnt lgkmcnt(0)
	v_mul_f64 v[11:12], v[1:2], v[9:10]
	v_mul_f64 v[15:16], v[3:4], v[9:10]
	s_delay_alu instid0(VALU_DEP_2) | instskip(NEXT) | instid1(VALU_DEP_2)
	v_fma_f64 v[9:10], v[3:4], v[7:8], -v[11:12]
	v_fma_f64 v[11:12], v[1:2], v[7:8], v[15:16]
	scratch_store_b128 off, v[9:12], off offset:720
.LBB49_195:
	s_or_b32 exec_lo, exec_lo, s2
	s_waitcnt_vscnt null, 0x0
	s_barrier
	buffer_gl0_inv
	scratch_load_b128 v[1:4], v151, off
	s_mov_b32 s2, exec_lo
	s_waitcnt vmcnt(0)
	ds_store_b128 v5, v[1:4]
	s_waitcnt lgkmcnt(0)
	s_barrier
	buffer_gl0_inv
	v_cmpx_gt_u32_e32 46, v142
	s_cbranch_execz .LBB49_199
; %bb.196:
	v_dual_mov_b32 v1, 0 :: v_dual_add_nc_u32 v8, 0x320, v13
	v_dual_mov_b32 v2, 0 :: v_dual_add_nc_u32 v7, -1, v142
	v_or_b32_e32 v9, 8, v14
	s_mov_b32 s3, 0
	s_delay_alu instid0(VALU_DEP_2)
	v_dual_mov_b32 v4, v2 :: v_dual_mov_b32 v3, v1
	.p2align	6
.LBB49_197:                             ; =>This Inner Loop Header: Depth=1
	scratch_load_b128 v[15:18], v9, off offset:-8
	ds_load_b128 v[19:22], v8
	v_add_nc_u32_e32 v7, 1, v7
	v_add_nc_u32_e32 v8, 16, v8
	;; [unrolled: 1-line block ×3, first 2 shown]
	s_delay_alu instid0(VALU_DEP_3) | instskip(SKIP_4) | instid1(VALU_DEP_2)
	v_cmp_lt_u32_e32 vcc_lo, 44, v7
	s_or_b32 s3, vcc_lo, s3
	s_waitcnt vmcnt(0) lgkmcnt(0)
	v_mul_f64 v[10:11], v[21:22], v[17:18]
	v_mul_f64 v[17:18], v[19:20], v[17:18]
	v_fma_f64 v[10:11], v[19:20], v[15:16], -v[10:11]
	s_delay_alu instid0(VALU_DEP_2) | instskip(NEXT) | instid1(VALU_DEP_2)
	v_fma_f64 v[15:16], v[21:22], v[15:16], v[17:18]
	v_add_f64 v[3:4], v[3:4], v[10:11]
	s_delay_alu instid0(VALU_DEP_2)
	v_add_f64 v[1:2], v[1:2], v[15:16]
	s_and_not1_b32 exec_lo, exec_lo, s3
	s_cbranch_execnz .LBB49_197
; %bb.198:
	s_or_b32 exec_lo, exec_lo, s3
	v_mov_b32_e32 v7, 0
	ds_load_b128 v[7:10], v7 offset:736
	s_waitcnt lgkmcnt(0)
	v_mul_f64 v[11:12], v[1:2], v[9:10]
	v_mul_f64 v[15:16], v[3:4], v[9:10]
	s_delay_alu instid0(VALU_DEP_2) | instskip(NEXT) | instid1(VALU_DEP_2)
	v_fma_f64 v[9:10], v[3:4], v[7:8], -v[11:12]
	v_fma_f64 v[11:12], v[1:2], v[7:8], v[15:16]
	scratch_store_b128 off, v[9:12], off offset:736
.LBB49_199:
	s_or_b32 exec_lo, exec_lo, s2
	s_waitcnt_vscnt null, 0x0
	s_barrier
	buffer_gl0_inv
	scratch_load_b128 v[1:4], v150, off
	s_mov_b32 s2, exec_lo
	s_waitcnt vmcnt(0)
	ds_store_b128 v5, v[1:4]
	s_waitcnt lgkmcnt(0)
	s_barrier
	buffer_gl0_inv
	v_cmpx_gt_u32_e32 47, v142
	s_cbranch_execz .LBB49_203
; %bb.200:
	v_dual_mov_b32 v1, 0 :: v_dual_add_nc_u32 v8, 0x320, v13
	v_dual_mov_b32 v2, 0 :: v_dual_add_nc_u32 v7, -1, v142
	v_or_b32_e32 v9, 8, v14
	s_mov_b32 s3, 0
	s_delay_alu instid0(VALU_DEP_2)
	v_dual_mov_b32 v4, v2 :: v_dual_mov_b32 v3, v1
	.p2align	6
.LBB49_201:                             ; =>This Inner Loop Header: Depth=1
	scratch_load_b128 v[15:18], v9, off offset:-8
	ds_load_b128 v[19:22], v8
	v_add_nc_u32_e32 v7, 1, v7
	v_add_nc_u32_e32 v8, 16, v8
	;; [unrolled: 1-line block ×3, first 2 shown]
	s_delay_alu instid0(VALU_DEP_3) | instskip(SKIP_4) | instid1(VALU_DEP_2)
	v_cmp_lt_u32_e32 vcc_lo, 45, v7
	s_or_b32 s3, vcc_lo, s3
	s_waitcnt vmcnt(0) lgkmcnt(0)
	v_mul_f64 v[10:11], v[21:22], v[17:18]
	v_mul_f64 v[17:18], v[19:20], v[17:18]
	v_fma_f64 v[10:11], v[19:20], v[15:16], -v[10:11]
	s_delay_alu instid0(VALU_DEP_2) | instskip(NEXT) | instid1(VALU_DEP_2)
	v_fma_f64 v[15:16], v[21:22], v[15:16], v[17:18]
	v_add_f64 v[3:4], v[3:4], v[10:11]
	s_delay_alu instid0(VALU_DEP_2)
	v_add_f64 v[1:2], v[1:2], v[15:16]
	s_and_not1_b32 exec_lo, exec_lo, s3
	s_cbranch_execnz .LBB49_201
; %bb.202:
	s_or_b32 exec_lo, exec_lo, s3
	v_mov_b32_e32 v7, 0
	ds_load_b128 v[7:10], v7 offset:752
	s_waitcnt lgkmcnt(0)
	v_mul_f64 v[11:12], v[1:2], v[9:10]
	v_mul_f64 v[15:16], v[3:4], v[9:10]
	s_delay_alu instid0(VALU_DEP_2) | instskip(NEXT) | instid1(VALU_DEP_2)
	v_fma_f64 v[9:10], v[3:4], v[7:8], -v[11:12]
	v_fma_f64 v[11:12], v[1:2], v[7:8], v[15:16]
	scratch_store_b128 off, v[9:12], off offset:752
.LBB49_203:
	s_or_b32 exec_lo, exec_lo, s2
	s_waitcnt_vscnt null, 0x0
	s_barrier
	buffer_gl0_inv
	scratch_load_b128 v[1:4], v149, off
	s_mov_b32 s2, exec_lo
	s_waitcnt vmcnt(0)
	ds_store_b128 v5, v[1:4]
	s_waitcnt lgkmcnt(0)
	s_barrier
	buffer_gl0_inv
	v_cmpx_gt_u32_e32 48, v142
	s_cbranch_execz .LBB49_207
; %bb.204:
	v_dual_mov_b32 v1, 0 :: v_dual_add_nc_u32 v8, 0x320, v13
	v_dual_mov_b32 v2, 0 :: v_dual_add_nc_u32 v7, -1, v142
	v_or_b32_e32 v9, 8, v14
	s_mov_b32 s3, 0
	s_delay_alu instid0(VALU_DEP_2)
	v_dual_mov_b32 v4, v2 :: v_dual_mov_b32 v3, v1
	.p2align	6
.LBB49_205:                             ; =>This Inner Loop Header: Depth=1
	scratch_load_b128 v[10:13], v9, off offset:-8
	ds_load_b128 v[15:18], v8
	v_add_nc_u32_e32 v7, 1, v7
	v_add_nc_u32_e32 v8, 16, v8
	;; [unrolled: 1-line block ×3, first 2 shown]
	s_delay_alu instid0(VALU_DEP_3) | instskip(SKIP_4) | instid1(VALU_DEP_2)
	v_cmp_lt_u32_e32 vcc_lo, 46, v7
	s_or_b32 s3, vcc_lo, s3
	s_waitcnt vmcnt(0) lgkmcnt(0)
	v_mul_f64 v[19:20], v[17:18], v[12:13]
	v_mul_f64 v[12:13], v[15:16], v[12:13]
	v_fma_f64 v[15:16], v[15:16], v[10:11], -v[19:20]
	s_delay_alu instid0(VALU_DEP_2) | instskip(NEXT) | instid1(VALU_DEP_2)
	v_fma_f64 v[10:11], v[17:18], v[10:11], v[12:13]
	v_add_f64 v[3:4], v[3:4], v[15:16]
	s_delay_alu instid0(VALU_DEP_2)
	v_add_f64 v[1:2], v[1:2], v[10:11]
	s_and_not1_b32 exec_lo, exec_lo, s3
	s_cbranch_execnz .LBB49_205
; %bb.206:
	s_or_b32 exec_lo, exec_lo, s3
	v_mov_b32_e32 v7, 0
	ds_load_b128 v[7:10], v7 offset:768
	s_waitcnt lgkmcnt(0)
	v_mul_f64 v[11:12], v[1:2], v[9:10]
	v_mul_f64 v[15:16], v[3:4], v[9:10]
	s_delay_alu instid0(VALU_DEP_2) | instskip(NEXT) | instid1(VALU_DEP_2)
	v_fma_f64 v[9:10], v[3:4], v[7:8], -v[11:12]
	v_fma_f64 v[11:12], v[1:2], v[7:8], v[15:16]
	scratch_store_b128 off, v[9:12], off offset:768
.LBB49_207:
	s_or_b32 exec_lo, exec_lo, s2
	s_waitcnt_vscnt null, 0x0
	s_barrier
	buffer_gl0_inv
	scratch_load_b128 v[1:4], v148, off
	s_mov_b32 s2, exec_lo
	s_waitcnt vmcnt(0)
	ds_store_b128 v5, v[1:4]
	s_waitcnt lgkmcnt(0)
	s_barrier
	buffer_gl0_inv
	v_cmpx_ne_u32_e32 49, v142
	s_cbranch_execz .LBB49_211
; %bb.208:
	v_mov_b32_e32 v1, 0
	v_mov_b32_e32 v2, 0
	v_or_b32_e32 v7, 8, v14
	s_mov_b32 s3, 0
	s_delay_alu instid0(VALU_DEP_2)
	v_dual_mov_b32 v4, v2 :: v_dual_mov_b32 v3, v1
	.p2align	6
.LBB49_209:                             ; =>This Inner Loop Header: Depth=1
	scratch_load_b128 v[8:11], v7, off offset:-8
	ds_load_b128 v[12:15], v5
	v_add_nc_u32_e32 v6, 1, v6
	v_add_nc_u32_e32 v5, 16, v5
	;; [unrolled: 1-line block ×3, first 2 shown]
	s_delay_alu instid0(VALU_DEP_3) | instskip(SKIP_4) | instid1(VALU_DEP_2)
	v_cmp_lt_u32_e32 vcc_lo, 47, v6
	s_or_b32 s3, vcc_lo, s3
	s_waitcnt vmcnt(0) lgkmcnt(0)
	v_mul_f64 v[16:17], v[14:15], v[10:11]
	v_mul_f64 v[10:11], v[12:13], v[10:11]
	v_fma_f64 v[12:13], v[12:13], v[8:9], -v[16:17]
	s_delay_alu instid0(VALU_DEP_2) | instskip(NEXT) | instid1(VALU_DEP_2)
	v_fma_f64 v[8:9], v[14:15], v[8:9], v[10:11]
	v_add_f64 v[3:4], v[3:4], v[12:13]
	s_delay_alu instid0(VALU_DEP_2)
	v_add_f64 v[1:2], v[1:2], v[8:9]
	s_and_not1_b32 exec_lo, exec_lo, s3
	s_cbranch_execnz .LBB49_209
; %bb.210:
	s_or_b32 exec_lo, exec_lo, s3
	v_mov_b32_e32 v5, 0
	ds_load_b128 v[5:8], v5 offset:784
	s_waitcnt lgkmcnt(0)
	v_mul_f64 v[9:10], v[1:2], v[7:8]
	v_mul_f64 v[7:8], v[3:4], v[7:8]
	s_delay_alu instid0(VALU_DEP_2) | instskip(NEXT) | instid1(VALU_DEP_2)
	v_fma_f64 v[3:4], v[3:4], v[5:6], -v[9:10]
	v_fma_f64 v[5:6], v[1:2], v[5:6], v[7:8]
	scratch_store_b128 off, v[3:6], off offset:784
.LBB49_211:
	s_or_b32 exec_lo, exec_lo, s2
	s_mov_b32 s3, -1
	s_waitcnt_vscnt null, 0x0
	s_barrier
	buffer_gl0_inv
.LBB49_212:
	s_and_b32 vcc_lo, exec_lo, s3
	s_cbranch_vccz .LBB49_214
; %bb.213:
	s_lshl_b64 s[2:3], s[18:19], 2
	v_mov_b32_e32 v1, 0
	s_add_u32 s2, s6, s2
	s_addc_u32 s3, s7, s3
	global_load_b32 v1, v1, s[2:3]
	s_waitcnt vmcnt(0)
	v_cmp_ne_u32_e32 vcc_lo, 0, v1
	s_cbranch_vccz .LBB49_215
.LBB49_214:
	s_endpgm
.LBB49_215:
	v_lshl_add_u32 v192, v142, 4, 0x320
	s_mov_b32 s2, exec_lo
	v_cmpx_eq_u32_e32 49, v142
	s_cbranch_execz .LBB49_217
; %bb.216:
	scratch_load_b128 v[1:4], v149, off
	v_mov_b32_e32 v5, 0
	s_delay_alu instid0(VALU_DEP_1)
	v_mov_b32_e32 v6, v5
	v_mov_b32_e32 v7, v5
	;; [unrolled: 1-line block ×3, first 2 shown]
	scratch_store_b128 off, v[5:8], off offset:768
	s_waitcnt vmcnt(0)
	ds_store_b128 v192, v[1:4]
.LBB49_217:
	s_or_b32 exec_lo, exec_lo, s2
	s_waitcnt lgkmcnt(0)
	s_waitcnt_vscnt null, 0x0
	s_barrier
	buffer_gl0_inv
	s_clause 0x1
	scratch_load_b128 v[2:5], off, off offset:784
	scratch_load_b128 v[6:9], off, off offset:768
	v_mov_b32_e32 v1, 0
	s_mov_b32 s2, exec_lo
	ds_load_b128 v[10:13], v1 offset:1584
	s_waitcnt vmcnt(1) lgkmcnt(0)
	v_mul_f64 v[14:15], v[12:13], v[4:5]
	v_mul_f64 v[4:5], v[10:11], v[4:5]
	s_delay_alu instid0(VALU_DEP_2) | instskip(NEXT) | instid1(VALU_DEP_2)
	v_fma_f64 v[10:11], v[10:11], v[2:3], -v[14:15]
	v_fma_f64 v[2:3], v[12:13], v[2:3], v[4:5]
	s_delay_alu instid0(VALU_DEP_2) | instskip(NEXT) | instid1(VALU_DEP_2)
	v_add_f64 v[4:5], v[10:11], 0
	v_add_f64 v[10:11], v[2:3], 0
	s_waitcnt vmcnt(0)
	s_delay_alu instid0(VALU_DEP_2) | instskip(NEXT) | instid1(VALU_DEP_2)
	v_add_f64 v[2:3], v[6:7], -v[4:5]
	v_add_f64 v[4:5], v[8:9], -v[10:11]
	scratch_store_b128 off, v[2:5], off offset:768
	v_cmpx_lt_u32_e32 47, v142
	s_cbranch_execz .LBB49_219
; %bb.218:
	scratch_load_b128 v[5:8], v150, off
	v_mov_b32_e32 v2, v1
	v_mov_b32_e32 v3, v1
	;; [unrolled: 1-line block ×3, first 2 shown]
	scratch_store_b128 off, v[1:4], off offset:752
	s_waitcnt vmcnt(0)
	ds_store_b128 v192, v[5:8]
.LBB49_219:
	s_or_b32 exec_lo, exec_lo, s2
	s_waitcnt lgkmcnt(0)
	s_waitcnt_vscnt null, 0x0
	s_barrier
	buffer_gl0_inv
	s_clause 0x2
	scratch_load_b128 v[2:5], off, off offset:768
	scratch_load_b128 v[6:9], off, off offset:784
	scratch_load_b128 v[10:13], off, off offset:752
	ds_load_b128 v[14:17], v1 offset:1568
	ds_load_b128 v[18:21], v1 offset:1584
	s_mov_b32 s2, exec_lo
	s_waitcnt vmcnt(2) lgkmcnt(1)
	v_mul_f64 v[22:23], v[16:17], v[4:5]
	v_mul_f64 v[4:5], v[14:15], v[4:5]
	s_waitcnt vmcnt(1) lgkmcnt(0)
	v_mul_f64 v[24:25], v[18:19], v[8:9]
	v_mul_f64 v[8:9], v[20:21], v[8:9]
	s_delay_alu instid0(VALU_DEP_4) | instskip(NEXT) | instid1(VALU_DEP_4)
	v_fma_f64 v[14:15], v[14:15], v[2:3], -v[22:23]
	v_fma_f64 v[1:2], v[16:17], v[2:3], v[4:5]
	s_delay_alu instid0(VALU_DEP_4) | instskip(NEXT) | instid1(VALU_DEP_4)
	v_fma_f64 v[3:4], v[20:21], v[6:7], v[24:25]
	v_fma_f64 v[5:6], v[18:19], v[6:7], -v[8:9]
	s_delay_alu instid0(VALU_DEP_4) | instskip(NEXT) | instid1(VALU_DEP_4)
	v_add_f64 v[7:8], v[14:15], 0
	v_add_f64 v[1:2], v[1:2], 0
	s_delay_alu instid0(VALU_DEP_2) | instskip(NEXT) | instid1(VALU_DEP_2)
	v_add_f64 v[5:6], v[7:8], v[5:6]
	v_add_f64 v[3:4], v[1:2], v[3:4]
	s_waitcnt vmcnt(0)
	s_delay_alu instid0(VALU_DEP_2) | instskip(NEXT) | instid1(VALU_DEP_2)
	v_add_f64 v[1:2], v[10:11], -v[5:6]
	v_add_f64 v[3:4], v[12:13], -v[3:4]
	scratch_store_b128 off, v[1:4], off offset:752
	v_cmpx_lt_u32_e32 46, v142
	s_cbranch_execz .LBB49_221
; %bb.220:
	scratch_load_b128 v[1:4], v151, off
	v_mov_b32_e32 v5, 0
	s_delay_alu instid0(VALU_DEP_1)
	v_mov_b32_e32 v6, v5
	v_mov_b32_e32 v7, v5
	;; [unrolled: 1-line block ×3, first 2 shown]
	scratch_store_b128 off, v[5:8], off offset:736
	s_waitcnt vmcnt(0)
	ds_store_b128 v192, v[1:4]
.LBB49_221:
	s_or_b32 exec_lo, exec_lo, s2
	s_waitcnt lgkmcnt(0)
	s_waitcnt_vscnt null, 0x0
	s_barrier
	buffer_gl0_inv
	s_clause 0x3
	scratch_load_b128 v[2:5], off, off offset:752
	scratch_load_b128 v[6:9], off, off offset:768
	scratch_load_b128 v[10:13], off, off offset:784
	scratch_load_b128 v[14:17], off, off offset:736
	v_mov_b32_e32 v1, 0
	ds_load_b128 v[18:21], v1 offset:1552
	ds_load_b128 v[22:25], v1 offset:1568
	s_mov_b32 s2, exec_lo
	s_waitcnt vmcnt(3) lgkmcnt(1)
	v_mul_f64 v[26:27], v[20:21], v[4:5]
	v_mul_f64 v[4:5], v[18:19], v[4:5]
	s_waitcnt vmcnt(2) lgkmcnt(0)
	v_mul_f64 v[28:29], v[22:23], v[8:9]
	v_mul_f64 v[8:9], v[24:25], v[8:9]
	s_delay_alu instid0(VALU_DEP_4) | instskip(NEXT) | instid1(VALU_DEP_4)
	v_fma_f64 v[18:19], v[18:19], v[2:3], -v[26:27]
	v_fma_f64 v[20:21], v[20:21], v[2:3], v[4:5]
	ds_load_b128 v[2:5], v1 offset:1584
	v_fma_f64 v[24:25], v[24:25], v[6:7], v[28:29]
	v_fma_f64 v[6:7], v[22:23], v[6:7], -v[8:9]
	s_waitcnt vmcnt(1) lgkmcnt(0)
	v_mul_f64 v[26:27], v[2:3], v[12:13]
	v_mul_f64 v[12:13], v[4:5], v[12:13]
	v_add_f64 v[8:9], v[18:19], 0
	v_add_f64 v[18:19], v[20:21], 0
	s_delay_alu instid0(VALU_DEP_4) | instskip(NEXT) | instid1(VALU_DEP_4)
	v_fma_f64 v[4:5], v[4:5], v[10:11], v[26:27]
	v_fma_f64 v[2:3], v[2:3], v[10:11], -v[12:13]
	s_delay_alu instid0(VALU_DEP_4) | instskip(NEXT) | instid1(VALU_DEP_4)
	v_add_f64 v[6:7], v[8:9], v[6:7]
	v_add_f64 v[8:9], v[18:19], v[24:25]
	s_delay_alu instid0(VALU_DEP_2) | instskip(NEXT) | instid1(VALU_DEP_2)
	v_add_f64 v[2:3], v[6:7], v[2:3]
	v_add_f64 v[4:5], v[8:9], v[4:5]
	s_waitcnt vmcnt(0)
	s_delay_alu instid0(VALU_DEP_2) | instskip(NEXT) | instid1(VALU_DEP_2)
	v_add_f64 v[2:3], v[14:15], -v[2:3]
	v_add_f64 v[4:5], v[16:17], -v[4:5]
	scratch_store_b128 off, v[2:5], off offset:736
	v_cmpx_lt_u32_e32 45, v142
	s_cbranch_execz .LBB49_223
; %bb.222:
	scratch_load_b128 v[5:8], v152, off
	v_mov_b32_e32 v2, v1
	v_mov_b32_e32 v3, v1
	;; [unrolled: 1-line block ×3, first 2 shown]
	scratch_store_b128 off, v[1:4], off offset:720
	s_waitcnt vmcnt(0)
	ds_store_b128 v192, v[5:8]
.LBB49_223:
	s_or_b32 exec_lo, exec_lo, s2
	s_waitcnt lgkmcnt(0)
	s_waitcnt_vscnt null, 0x0
	s_barrier
	buffer_gl0_inv
	s_clause 0x4
	scratch_load_b128 v[2:5], off, off offset:736
	scratch_load_b128 v[6:9], off, off offset:752
	;; [unrolled: 1-line block ×5, first 2 shown]
	ds_load_b128 v[22:25], v1 offset:1536
	ds_load_b128 v[26:29], v1 offset:1552
	s_mov_b32 s2, exec_lo
	s_waitcnt vmcnt(4) lgkmcnt(1)
	v_mul_f64 v[30:31], v[24:25], v[4:5]
	v_mul_f64 v[4:5], v[22:23], v[4:5]
	s_waitcnt vmcnt(3) lgkmcnt(0)
	v_mul_f64 v[32:33], v[26:27], v[8:9]
	v_mul_f64 v[8:9], v[28:29], v[8:9]
	s_delay_alu instid0(VALU_DEP_4) | instskip(NEXT) | instid1(VALU_DEP_4)
	v_fma_f64 v[30:31], v[22:23], v[2:3], -v[30:31]
	v_fma_f64 v[34:35], v[24:25], v[2:3], v[4:5]
	ds_load_b128 v[2:5], v1 offset:1568
	ds_load_b128 v[22:25], v1 offset:1584
	v_fma_f64 v[28:29], v[28:29], v[6:7], v[32:33]
	v_fma_f64 v[6:7], v[26:27], v[6:7], -v[8:9]
	s_waitcnt vmcnt(2) lgkmcnt(1)
	v_mul_f64 v[36:37], v[2:3], v[12:13]
	v_mul_f64 v[12:13], v[4:5], v[12:13]
	v_add_f64 v[8:9], v[30:31], 0
	v_add_f64 v[26:27], v[34:35], 0
	s_waitcnt vmcnt(1) lgkmcnt(0)
	v_mul_f64 v[30:31], v[22:23], v[16:17]
	v_mul_f64 v[16:17], v[24:25], v[16:17]
	v_fma_f64 v[4:5], v[4:5], v[10:11], v[36:37]
	v_fma_f64 v[1:2], v[2:3], v[10:11], -v[12:13]
	v_add_f64 v[6:7], v[8:9], v[6:7]
	v_add_f64 v[8:9], v[26:27], v[28:29]
	v_fma_f64 v[10:11], v[24:25], v[14:15], v[30:31]
	v_fma_f64 v[12:13], v[22:23], v[14:15], -v[16:17]
	s_delay_alu instid0(VALU_DEP_4) | instskip(NEXT) | instid1(VALU_DEP_4)
	v_add_f64 v[1:2], v[6:7], v[1:2]
	v_add_f64 v[3:4], v[8:9], v[4:5]
	s_delay_alu instid0(VALU_DEP_2) | instskip(NEXT) | instid1(VALU_DEP_2)
	v_add_f64 v[1:2], v[1:2], v[12:13]
	v_add_f64 v[3:4], v[3:4], v[10:11]
	s_waitcnt vmcnt(0)
	s_delay_alu instid0(VALU_DEP_2) | instskip(NEXT) | instid1(VALU_DEP_2)
	v_add_f64 v[1:2], v[18:19], -v[1:2]
	v_add_f64 v[3:4], v[20:21], -v[3:4]
	scratch_store_b128 off, v[1:4], off offset:720
	v_cmpx_lt_u32_e32 44, v142
	s_cbranch_execz .LBB49_225
; %bb.224:
	scratch_load_b128 v[1:4], v153, off
	v_mov_b32_e32 v5, 0
	s_delay_alu instid0(VALU_DEP_1)
	v_mov_b32_e32 v6, v5
	v_mov_b32_e32 v7, v5
	;; [unrolled: 1-line block ×3, first 2 shown]
	scratch_store_b128 off, v[5:8], off offset:704
	s_waitcnt vmcnt(0)
	ds_store_b128 v192, v[1:4]
.LBB49_225:
	s_or_b32 exec_lo, exec_lo, s2
	s_waitcnt lgkmcnt(0)
	s_waitcnt_vscnt null, 0x0
	s_barrier
	buffer_gl0_inv
	s_clause 0x5
	scratch_load_b128 v[2:5], off, off offset:720
	scratch_load_b128 v[6:9], off, off offset:736
	;; [unrolled: 1-line block ×6, first 2 shown]
	v_mov_b32_e32 v1, 0
	ds_load_b128 v[26:29], v1 offset:1520
	ds_load_b128 v[30:33], v1 offset:1536
	s_mov_b32 s2, exec_lo
	s_waitcnt vmcnt(5) lgkmcnt(1)
	v_mul_f64 v[34:35], v[28:29], v[4:5]
	v_mul_f64 v[4:5], v[26:27], v[4:5]
	s_waitcnt vmcnt(4) lgkmcnt(0)
	v_mul_f64 v[36:37], v[30:31], v[8:9]
	v_mul_f64 v[8:9], v[32:33], v[8:9]
	s_delay_alu instid0(VALU_DEP_4) | instskip(NEXT) | instid1(VALU_DEP_4)
	v_fma_f64 v[34:35], v[26:27], v[2:3], -v[34:35]
	v_fma_f64 v[38:39], v[28:29], v[2:3], v[4:5]
	ds_load_b128 v[2:5], v1 offset:1552
	ds_load_b128 v[26:29], v1 offset:1568
	v_fma_f64 v[32:33], v[32:33], v[6:7], v[36:37]
	v_fma_f64 v[6:7], v[30:31], v[6:7], -v[8:9]
	s_waitcnt vmcnt(3) lgkmcnt(1)
	v_mul_f64 v[40:41], v[2:3], v[12:13]
	v_mul_f64 v[12:13], v[4:5], v[12:13]
	v_add_f64 v[8:9], v[34:35], 0
	v_add_f64 v[30:31], v[38:39], 0
	s_waitcnt vmcnt(2) lgkmcnt(0)
	v_mul_f64 v[34:35], v[26:27], v[16:17]
	v_mul_f64 v[16:17], v[28:29], v[16:17]
	v_fma_f64 v[36:37], v[4:5], v[10:11], v[40:41]
	v_fma_f64 v[10:11], v[2:3], v[10:11], -v[12:13]
	ds_load_b128 v[2:5], v1 offset:1584
	v_add_f64 v[6:7], v[8:9], v[6:7]
	v_add_f64 v[8:9], v[30:31], v[32:33]
	v_fma_f64 v[28:29], v[28:29], v[14:15], v[34:35]
	v_fma_f64 v[14:15], v[26:27], v[14:15], -v[16:17]
	s_waitcnt vmcnt(1) lgkmcnt(0)
	v_mul_f64 v[12:13], v[2:3], v[20:21]
	v_mul_f64 v[20:21], v[4:5], v[20:21]
	v_add_f64 v[6:7], v[6:7], v[10:11]
	v_add_f64 v[8:9], v[8:9], v[36:37]
	s_delay_alu instid0(VALU_DEP_4) | instskip(NEXT) | instid1(VALU_DEP_4)
	v_fma_f64 v[4:5], v[4:5], v[18:19], v[12:13]
	v_fma_f64 v[2:3], v[2:3], v[18:19], -v[20:21]
	s_delay_alu instid0(VALU_DEP_4) | instskip(NEXT) | instid1(VALU_DEP_4)
	v_add_f64 v[6:7], v[6:7], v[14:15]
	v_add_f64 v[8:9], v[8:9], v[28:29]
	s_delay_alu instid0(VALU_DEP_2) | instskip(NEXT) | instid1(VALU_DEP_2)
	v_add_f64 v[2:3], v[6:7], v[2:3]
	v_add_f64 v[4:5], v[8:9], v[4:5]
	s_waitcnt vmcnt(0)
	s_delay_alu instid0(VALU_DEP_2) | instskip(NEXT) | instid1(VALU_DEP_2)
	v_add_f64 v[2:3], v[22:23], -v[2:3]
	v_add_f64 v[4:5], v[24:25], -v[4:5]
	scratch_store_b128 off, v[2:5], off offset:704
	v_cmpx_lt_u32_e32 43, v142
	s_cbranch_execz .LBB49_227
; %bb.226:
	scratch_load_b128 v[5:8], v156, off
	v_mov_b32_e32 v2, v1
	v_mov_b32_e32 v3, v1
	;; [unrolled: 1-line block ×3, first 2 shown]
	scratch_store_b128 off, v[1:4], off offset:688
	s_waitcnt vmcnt(0)
	ds_store_b128 v192, v[5:8]
.LBB49_227:
	s_or_b32 exec_lo, exec_lo, s2
	s_waitcnt lgkmcnt(0)
	s_waitcnt_vscnt null, 0x0
	s_barrier
	buffer_gl0_inv
	s_clause 0x5
	scratch_load_b128 v[2:5], off, off offset:704
	scratch_load_b128 v[6:9], off, off offset:720
	;; [unrolled: 1-line block ×6, first 2 shown]
	ds_load_b128 v[26:29], v1 offset:1504
	ds_load_b128 v[34:37], v1 offset:1520
	scratch_load_b128 v[30:33], off, off offset:688
	s_mov_b32 s2, exec_lo
	s_waitcnt vmcnt(6) lgkmcnt(1)
	v_mul_f64 v[38:39], v[28:29], v[4:5]
	v_mul_f64 v[4:5], v[26:27], v[4:5]
	s_waitcnt vmcnt(5) lgkmcnt(0)
	v_mul_f64 v[40:41], v[34:35], v[8:9]
	v_mul_f64 v[8:9], v[36:37], v[8:9]
	s_delay_alu instid0(VALU_DEP_4) | instskip(NEXT) | instid1(VALU_DEP_4)
	v_fma_f64 v[38:39], v[26:27], v[2:3], -v[38:39]
	v_fma_f64 v[193:194], v[28:29], v[2:3], v[4:5]
	ds_load_b128 v[2:5], v1 offset:1536
	ds_load_b128 v[26:29], v1 offset:1552
	v_fma_f64 v[36:37], v[36:37], v[6:7], v[40:41]
	v_fma_f64 v[6:7], v[34:35], v[6:7], -v[8:9]
	s_waitcnt vmcnt(4) lgkmcnt(1)
	v_mul_f64 v[195:196], v[2:3], v[12:13]
	v_mul_f64 v[12:13], v[4:5], v[12:13]
	v_add_f64 v[8:9], v[38:39], 0
	v_add_f64 v[34:35], v[193:194], 0
	s_waitcnt vmcnt(3) lgkmcnt(0)
	v_mul_f64 v[38:39], v[26:27], v[16:17]
	v_mul_f64 v[16:17], v[28:29], v[16:17]
	v_fma_f64 v[40:41], v[4:5], v[10:11], v[195:196]
	v_fma_f64 v[10:11], v[2:3], v[10:11], -v[12:13]
	v_add_f64 v[12:13], v[8:9], v[6:7]
	v_add_f64 v[34:35], v[34:35], v[36:37]
	ds_load_b128 v[2:5], v1 offset:1568
	ds_load_b128 v[6:9], v1 offset:1584
	v_fma_f64 v[28:29], v[28:29], v[14:15], v[38:39]
	v_fma_f64 v[14:15], v[26:27], v[14:15], -v[16:17]
	s_waitcnt vmcnt(2) lgkmcnt(1)
	v_mul_f64 v[36:37], v[2:3], v[20:21]
	v_mul_f64 v[20:21], v[4:5], v[20:21]
	s_waitcnt vmcnt(1) lgkmcnt(0)
	v_mul_f64 v[16:17], v[6:7], v[24:25]
	v_mul_f64 v[24:25], v[8:9], v[24:25]
	v_add_f64 v[10:11], v[12:13], v[10:11]
	v_add_f64 v[12:13], v[34:35], v[40:41]
	v_fma_f64 v[4:5], v[4:5], v[18:19], v[36:37]
	v_fma_f64 v[1:2], v[2:3], v[18:19], -v[20:21]
	v_fma_f64 v[8:9], v[8:9], v[22:23], v[16:17]
	v_fma_f64 v[6:7], v[6:7], v[22:23], -v[24:25]
	v_add_f64 v[10:11], v[10:11], v[14:15]
	v_add_f64 v[12:13], v[12:13], v[28:29]
	s_delay_alu instid0(VALU_DEP_2) | instskip(NEXT) | instid1(VALU_DEP_2)
	v_add_f64 v[1:2], v[10:11], v[1:2]
	v_add_f64 v[3:4], v[12:13], v[4:5]
	s_delay_alu instid0(VALU_DEP_2) | instskip(NEXT) | instid1(VALU_DEP_2)
	v_add_f64 v[1:2], v[1:2], v[6:7]
	v_add_f64 v[3:4], v[3:4], v[8:9]
	s_waitcnt vmcnt(0)
	s_delay_alu instid0(VALU_DEP_2) | instskip(NEXT) | instid1(VALU_DEP_2)
	v_add_f64 v[1:2], v[30:31], -v[1:2]
	v_add_f64 v[3:4], v[32:33], -v[3:4]
	scratch_store_b128 off, v[1:4], off offset:688
	v_cmpx_lt_u32_e32 42, v142
	s_cbranch_execz .LBB49_229
; %bb.228:
	scratch_load_b128 v[1:4], v143, off
	v_mov_b32_e32 v5, 0
	s_delay_alu instid0(VALU_DEP_1)
	v_mov_b32_e32 v6, v5
	v_mov_b32_e32 v7, v5
	;; [unrolled: 1-line block ×3, first 2 shown]
	scratch_store_b128 off, v[5:8], off offset:672
	s_waitcnt vmcnt(0)
	ds_store_b128 v192, v[1:4]
.LBB49_229:
	s_or_b32 exec_lo, exec_lo, s2
	s_waitcnt lgkmcnt(0)
	s_waitcnt_vscnt null, 0x0
	s_barrier
	buffer_gl0_inv
	s_clause 0x6
	scratch_load_b128 v[2:5], off, off offset:688
	scratch_load_b128 v[6:9], off, off offset:704
	;; [unrolled: 1-line block ×7, first 2 shown]
	v_mov_b32_e32 v1, 0
	scratch_load_b128 v[34:37], off, off offset:672
	s_mov_b32 s2, exec_lo
	ds_load_b128 v[30:33], v1 offset:1488
	ds_load_b128 v[38:41], v1 offset:1504
	s_waitcnt vmcnt(7) lgkmcnt(1)
	v_mul_f64 v[193:194], v[32:33], v[4:5]
	v_mul_f64 v[4:5], v[30:31], v[4:5]
	s_waitcnt vmcnt(6) lgkmcnt(0)
	v_mul_f64 v[195:196], v[38:39], v[8:9]
	v_mul_f64 v[8:9], v[40:41], v[8:9]
	s_delay_alu instid0(VALU_DEP_4) | instskip(NEXT) | instid1(VALU_DEP_4)
	v_fma_f64 v[193:194], v[30:31], v[2:3], -v[193:194]
	v_fma_f64 v[197:198], v[32:33], v[2:3], v[4:5]
	ds_load_b128 v[2:5], v1 offset:1520
	ds_load_b128 v[30:33], v1 offset:1536
	v_fma_f64 v[40:41], v[40:41], v[6:7], v[195:196]
	v_fma_f64 v[6:7], v[38:39], v[6:7], -v[8:9]
	s_waitcnt vmcnt(5) lgkmcnt(1)
	v_mul_f64 v[199:200], v[2:3], v[12:13]
	v_mul_f64 v[12:13], v[4:5], v[12:13]
	v_add_f64 v[8:9], v[193:194], 0
	v_add_f64 v[38:39], v[197:198], 0
	s_waitcnt vmcnt(4) lgkmcnt(0)
	v_mul_f64 v[193:194], v[30:31], v[16:17]
	v_mul_f64 v[16:17], v[32:33], v[16:17]
	v_fma_f64 v[195:196], v[4:5], v[10:11], v[199:200]
	v_fma_f64 v[10:11], v[2:3], v[10:11], -v[12:13]
	v_add_f64 v[12:13], v[8:9], v[6:7]
	v_add_f64 v[38:39], v[38:39], v[40:41]
	ds_load_b128 v[2:5], v1 offset:1552
	ds_load_b128 v[6:9], v1 offset:1568
	v_fma_f64 v[32:33], v[32:33], v[14:15], v[193:194]
	v_fma_f64 v[14:15], v[30:31], v[14:15], -v[16:17]
	s_waitcnt vmcnt(3) lgkmcnt(1)
	v_mul_f64 v[40:41], v[2:3], v[20:21]
	v_mul_f64 v[20:21], v[4:5], v[20:21]
	s_waitcnt vmcnt(2) lgkmcnt(0)
	v_mul_f64 v[16:17], v[6:7], v[24:25]
	v_mul_f64 v[24:25], v[8:9], v[24:25]
	v_add_f64 v[10:11], v[12:13], v[10:11]
	v_add_f64 v[12:13], v[38:39], v[195:196]
	v_fma_f64 v[30:31], v[4:5], v[18:19], v[40:41]
	v_fma_f64 v[18:19], v[2:3], v[18:19], -v[20:21]
	ds_load_b128 v[2:5], v1 offset:1584
	v_fma_f64 v[8:9], v[8:9], v[22:23], v[16:17]
	v_fma_f64 v[6:7], v[6:7], v[22:23], -v[24:25]
	v_add_f64 v[10:11], v[10:11], v[14:15]
	v_add_f64 v[12:13], v[12:13], v[32:33]
	s_waitcnt vmcnt(1) lgkmcnt(0)
	v_mul_f64 v[14:15], v[2:3], v[28:29]
	v_mul_f64 v[20:21], v[4:5], v[28:29]
	s_delay_alu instid0(VALU_DEP_4) | instskip(NEXT) | instid1(VALU_DEP_4)
	v_add_f64 v[10:11], v[10:11], v[18:19]
	v_add_f64 v[12:13], v[12:13], v[30:31]
	s_delay_alu instid0(VALU_DEP_4) | instskip(NEXT) | instid1(VALU_DEP_4)
	v_fma_f64 v[4:5], v[4:5], v[26:27], v[14:15]
	v_fma_f64 v[2:3], v[2:3], v[26:27], -v[20:21]
	s_delay_alu instid0(VALU_DEP_4) | instskip(NEXT) | instid1(VALU_DEP_4)
	v_add_f64 v[6:7], v[10:11], v[6:7]
	v_add_f64 v[8:9], v[12:13], v[8:9]
	s_delay_alu instid0(VALU_DEP_2) | instskip(NEXT) | instid1(VALU_DEP_2)
	v_add_f64 v[2:3], v[6:7], v[2:3]
	v_add_f64 v[4:5], v[8:9], v[4:5]
	s_waitcnt vmcnt(0)
	s_delay_alu instid0(VALU_DEP_2) | instskip(NEXT) | instid1(VALU_DEP_2)
	v_add_f64 v[2:3], v[34:35], -v[2:3]
	v_add_f64 v[4:5], v[36:37], -v[4:5]
	scratch_store_b128 off, v[2:5], off offset:672
	v_cmpx_lt_u32_e32 41, v142
	s_cbranch_execz .LBB49_231
; %bb.230:
	scratch_load_b128 v[5:8], v144, off
	v_mov_b32_e32 v2, v1
	v_mov_b32_e32 v3, v1
	;; [unrolled: 1-line block ×3, first 2 shown]
	scratch_store_b128 off, v[1:4], off offset:656
	s_waitcnt vmcnt(0)
	ds_store_b128 v192, v[5:8]
.LBB49_231:
	s_or_b32 exec_lo, exec_lo, s2
	s_waitcnt lgkmcnt(0)
	s_waitcnt_vscnt null, 0x0
	s_barrier
	buffer_gl0_inv
	s_clause 0x7
	scratch_load_b128 v[2:5], off, off offset:672
	scratch_load_b128 v[6:9], off, off offset:688
	;; [unrolled: 1-line block ×8, first 2 shown]
	ds_load_b128 v[34:37], v1 offset:1472
	ds_load_b128 v[38:41], v1 offset:1488
	scratch_load_b128 v[193:196], off, off offset:656
	s_mov_b32 s2, exec_lo
	s_waitcnt vmcnt(8) lgkmcnt(1)
	v_mul_f64 v[197:198], v[36:37], v[4:5]
	v_mul_f64 v[4:5], v[34:35], v[4:5]
	s_waitcnt vmcnt(7) lgkmcnt(0)
	v_mul_f64 v[199:200], v[38:39], v[8:9]
	v_mul_f64 v[8:9], v[40:41], v[8:9]
	s_delay_alu instid0(VALU_DEP_4) | instskip(NEXT) | instid1(VALU_DEP_4)
	v_fma_f64 v[197:198], v[34:35], v[2:3], -v[197:198]
	v_fma_f64 v[201:202], v[36:37], v[2:3], v[4:5]
	ds_load_b128 v[2:5], v1 offset:1504
	ds_load_b128 v[34:37], v1 offset:1520
	v_fma_f64 v[40:41], v[40:41], v[6:7], v[199:200]
	v_fma_f64 v[6:7], v[38:39], v[6:7], -v[8:9]
	s_waitcnt vmcnt(6) lgkmcnt(1)
	v_mul_f64 v[203:204], v[2:3], v[12:13]
	v_mul_f64 v[12:13], v[4:5], v[12:13]
	v_add_f64 v[8:9], v[197:198], 0
	v_add_f64 v[38:39], v[201:202], 0
	s_waitcnt vmcnt(5) lgkmcnt(0)
	v_mul_f64 v[197:198], v[34:35], v[16:17]
	v_mul_f64 v[16:17], v[36:37], v[16:17]
	v_fma_f64 v[199:200], v[4:5], v[10:11], v[203:204]
	v_fma_f64 v[10:11], v[2:3], v[10:11], -v[12:13]
	v_add_f64 v[12:13], v[8:9], v[6:7]
	v_add_f64 v[38:39], v[38:39], v[40:41]
	ds_load_b128 v[2:5], v1 offset:1536
	ds_load_b128 v[6:9], v1 offset:1552
	v_fma_f64 v[36:37], v[36:37], v[14:15], v[197:198]
	v_fma_f64 v[14:15], v[34:35], v[14:15], -v[16:17]
	s_waitcnt vmcnt(4) lgkmcnt(1)
	v_mul_f64 v[40:41], v[2:3], v[20:21]
	v_mul_f64 v[20:21], v[4:5], v[20:21]
	s_waitcnt vmcnt(3) lgkmcnt(0)
	v_mul_f64 v[16:17], v[6:7], v[24:25]
	v_mul_f64 v[24:25], v[8:9], v[24:25]
	v_add_f64 v[10:11], v[12:13], v[10:11]
	v_add_f64 v[12:13], v[38:39], v[199:200]
	v_fma_f64 v[34:35], v[4:5], v[18:19], v[40:41]
	v_fma_f64 v[18:19], v[2:3], v[18:19], -v[20:21]
	v_fma_f64 v[8:9], v[8:9], v[22:23], v[16:17]
	v_fma_f64 v[6:7], v[6:7], v[22:23], -v[24:25]
	v_add_f64 v[14:15], v[10:11], v[14:15]
	v_add_f64 v[20:21], v[12:13], v[36:37]
	ds_load_b128 v[2:5], v1 offset:1568
	ds_load_b128 v[10:13], v1 offset:1584
	s_waitcnt vmcnt(2) lgkmcnt(1)
	v_mul_f64 v[36:37], v[2:3], v[28:29]
	v_mul_f64 v[28:29], v[4:5], v[28:29]
	v_add_f64 v[14:15], v[14:15], v[18:19]
	v_add_f64 v[16:17], v[20:21], v[34:35]
	s_waitcnt vmcnt(1) lgkmcnt(0)
	v_mul_f64 v[18:19], v[10:11], v[32:33]
	v_mul_f64 v[20:21], v[12:13], v[32:33]
	v_fma_f64 v[4:5], v[4:5], v[26:27], v[36:37]
	v_fma_f64 v[1:2], v[2:3], v[26:27], -v[28:29]
	v_add_f64 v[6:7], v[14:15], v[6:7]
	v_add_f64 v[8:9], v[16:17], v[8:9]
	v_fma_f64 v[12:13], v[12:13], v[30:31], v[18:19]
	v_fma_f64 v[10:11], v[10:11], v[30:31], -v[20:21]
	s_delay_alu instid0(VALU_DEP_4) | instskip(NEXT) | instid1(VALU_DEP_4)
	v_add_f64 v[1:2], v[6:7], v[1:2]
	v_add_f64 v[3:4], v[8:9], v[4:5]
	s_delay_alu instid0(VALU_DEP_2) | instskip(NEXT) | instid1(VALU_DEP_2)
	v_add_f64 v[1:2], v[1:2], v[10:11]
	v_add_f64 v[3:4], v[3:4], v[12:13]
	s_waitcnt vmcnt(0)
	s_delay_alu instid0(VALU_DEP_2) | instskip(NEXT) | instid1(VALU_DEP_2)
	v_add_f64 v[1:2], v[193:194], -v[1:2]
	v_add_f64 v[3:4], v[195:196], -v[3:4]
	scratch_store_b128 off, v[1:4], off offset:656
	v_cmpx_lt_u32_e32 40, v142
	s_cbranch_execz .LBB49_233
; %bb.232:
	scratch_load_b128 v[1:4], v145, off
	v_mov_b32_e32 v5, 0
	s_delay_alu instid0(VALU_DEP_1)
	v_mov_b32_e32 v6, v5
	v_mov_b32_e32 v7, v5
	;; [unrolled: 1-line block ×3, first 2 shown]
	scratch_store_b128 off, v[5:8], off offset:640
	s_waitcnt vmcnt(0)
	ds_store_b128 v192, v[1:4]
.LBB49_233:
	s_or_b32 exec_lo, exec_lo, s2
	s_waitcnt lgkmcnt(0)
	s_waitcnt_vscnt null, 0x0
	s_barrier
	buffer_gl0_inv
	s_clause 0x7
	scratch_load_b128 v[2:5], off, off offset:656
	scratch_load_b128 v[6:9], off, off offset:672
	;; [unrolled: 1-line block ×8, first 2 shown]
	v_mov_b32_e32 v1, 0
	s_mov_b32 s2, exec_lo
	ds_load_b128 v[34:37], v1 offset:1456
	s_clause 0x1
	scratch_load_b128 v[38:41], off, off offset:784
	scratch_load_b128 v[193:196], off, off offset:640
	ds_load_b128 v[197:200], v1 offset:1472
	s_waitcnt vmcnt(9) lgkmcnt(1)
	v_mul_f64 v[201:202], v[36:37], v[4:5]
	v_mul_f64 v[4:5], v[34:35], v[4:5]
	s_waitcnt vmcnt(8) lgkmcnt(0)
	v_mul_f64 v[203:204], v[197:198], v[8:9]
	v_mul_f64 v[8:9], v[199:200], v[8:9]
	s_delay_alu instid0(VALU_DEP_4) | instskip(NEXT) | instid1(VALU_DEP_4)
	v_fma_f64 v[201:202], v[34:35], v[2:3], -v[201:202]
	v_fma_f64 v[205:206], v[36:37], v[2:3], v[4:5]
	ds_load_b128 v[2:5], v1 offset:1488
	ds_load_b128 v[34:37], v1 offset:1504
	v_fma_f64 v[199:200], v[199:200], v[6:7], v[203:204]
	v_fma_f64 v[6:7], v[197:198], v[6:7], -v[8:9]
	s_waitcnt vmcnt(7) lgkmcnt(1)
	v_mul_f64 v[207:208], v[2:3], v[12:13]
	v_mul_f64 v[12:13], v[4:5], v[12:13]
	v_add_f64 v[8:9], v[201:202], 0
	v_add_f64 v[197:198], v[205:206], 0
	s_waitcnt vmcnt(6) lgkmcnt(0)
	v_mul_f64 v[201:202], v[34:35], v[16:17]
	v_mul_f64 v[16:17], v[36:37], v[16:17]
	v_fma_f64 v[203:204], v[4:5], v[10:11], v[207:208]
	v_fma_f64 v[10:11], v[2:3], v[10:11], -v[12:13]
	v_add_f64 v[12:13], v[8:9], v[6:7]
	v_add_f64 v[197:198], v[197:198], v[199:200]
	ds_load_b128 v[2:5], v1 offset:1520
	ds_load_b128 v[6:9], v1 offset:1536
	v_fma_f64 v[36:37], v[36:37], v[14:15], v[201:202]
	v_fma_f64 v[14:15], v[34:35], v[14:15], -v[16:17]
	s_waitcnt vmcnt(5) lgkmcnt(1)
	v_mul_f64 v[199:200], v[2:3], v[20:21]
	v_mul_f64 v[20:21], v[4:5], v[20:21]
	s_waitcnt vmcnt(4) lgkmcnt(0)
	v_mul_f64 v[16:17], v[6:7], v[24:25]
	v_mul_f64 v[24:25], v[8:9], v[24:25]
	v_add_f64 v[10:11], v[12:13], v[10:11]
	v_add_f64 v[12:13], v[197:198], v[203:204]
	v_fma_f64 v[34:35], v[4:5], v[18:19], v[199:200]
	v_fma_f64 v[18:19], v[2:3], v[18:19], -v[20:21]
	v_fma_f64 v[8:9], v[8:9], v[22:23], v[16:17]
	v_fma_f64 v[6:7], v[6:7], v[22:23], -v[24:25]
	v_add_f64 v[14:15], v[10:11], v[14:15]
	v_add_f64 v[20:21], v[12:13], v[36:37]
	ds_load_b128 v[2:5], v1 offset:1552
	ds_load_b128 v[10:13], v1 offset:1568
	s_waitcnt vmcnt(3) lgkmcnt(1)
	v_mul_f64 v[36:37], v[2:3], v[28:29]
	v_mul_f64 v[28:29], v[4:5], v[28:29]
	v_add_f64 v[14:15], v[14:15], v[18:19]
	v_add_f64 v[16:17], v[20:21], v[34:35]
	s_waitcnt vmcnt(2) lgkmcnt(0)
	v_mul_f64 v[18:19], v[10:11], v[32:33]
	v_mul_f64 v[20:21], v[12:13], v[32:33]
	v_fma_f64 v[22:23], v[4:5], v[26:27], v[36:37]
	v_fma_f64 v[24:25], v[2:3], v[26:27], -v[28:29]
	ds_load_b128 v[2:5], v1 offset:1584
	v_add_f64 v[6:7], v[14:15], v[6:7]
	v_add_f64 v[8:9], v[16:17], v[8:9]
	v_fma_f64 v[12:13], v[12:13], v[30:31], v[18:19]
	v_fma_f64 v[10:11], v[10:11], v[30:31], -v[20:21]
	s_waitcnt vmcnt(1) lgkmcnt(0)
	v_mul_f64 v[14:15], v[2:3], v[40:41]
	v_mul_f64 v[16:17], v[4:5], v[40:41]
	v_add_f64 v[6:7], v[6:7], v[24:25]
	v_add_f64 v[8:9], v[8:9], v[22:23]
	s_delay_alu instid0(VALU_DEP_4) | instskip(NEXT) | instid1(VALU_DEP_4)
	v_fma_f64 v[4:5], v[4:5], v[38:39], v[14:15]
	v_fma_f64 v[2:3], v[2:3], v[38:39], -v[16:17]
	s_delay_alu instid0(VALU_DEP_4) | instskip(NEXT) | instid1(VALU_DEP_4)
	v_add_f64 v[6:7], v[6:7], v[10:11]
	v_add_f64 v[8:9], v[8:9], v[12:13]
	s_delay_alu instid0(VALU_DEP_2) | instskip(NEXT) | instid1(VALU_DEP_2)
	v_add_f64 v[2:3], v[6:7], v[2:3]
	v_add_f64 v[4:5], v[8:9], v[4:5]
	s_waitcnt vmcnt(0)
	s_delay_alu instid0(VALU_DEP_2) | instskip(NEXT) | instid1(VALU_DEP_2)
	v_add_f64 v[2:3], v[193:194], -v[2:3]
	v_add_f64 v[4:5], v[195:196], -v[4:5]
	scratch_store_b128 off, v[2:5], off offset:640
	v_cmpx_lt_u32_e32 39, v142
	s_cbranch_execz .LBB49_235
; %bb.234:
	scratch_load_b128 v[5:8], v147, off
	v_mov_b32_e32 v2, v1
	v_mov_b32_e32 v3, v1
	;; [unrolled: 1-line block ×3, first 2 shown]
	scratch_store_b128 off, v[1:4], off offset:624
	s_waitcnt vmcnt(0)
	ds_store_b128 v192, v[5:8]
.LBB49_235:
	s_or_b32 exec_lo, exec_lo, s2
	s_waitcnt lgkmcnt(0)
	s_waitcnt_vscnt null, 0x0
	s_barrier
	buffer_gl0_inv
	s_clause 0x8
	scratch_load_b128 v[2:5], off, off offset:640
	scratch_load_b128 v[6:9], off, off offset:656
	;; [unrolled: 1-line block ×9, first 2 shown]
	ds_load_b128 v[38:41], v1 offset:1440
	ds_load_b128 v[193:196], v1 offset:1456
	s_clause 0x1
	scratch_load_b128 v[197:200], off, off offset:624
	scratch_load_b128 v[201:204], off, off offset:784
	s_mov_b32 s2, exec_lo
	s_waitcnt vmcnt(10) lgkmcnt(1)
	v_mul_f64 v[205:206], v[40:41], v[4:5]
	v_mul_f64 v[4:5], v[38:39], v[4:5]
	s_waitcnt vmcnt(9) lgkmcnt(0)
	v_mul_f64 v[207:208], v[193:194], v[8:9]
	v_mul_f64 v[8:9], v[195:196], v[8:9]
	s_delay_alu instid0(VALU_DEP_4) | instskip(NEXT) | instid1(VALU_DEP_4)
	v_fma_f64 v[205:206], v[38:39], v[2:3], -v[205:206]
	v_fma_f64 v[209:210], v[40:41], v[2:3], v[4:5]
	ds_load_b128 v[2:5], v1 offset:1472
	ds_load_b128 v[38:41], v1 offset:1488
	v_fma_f64 v[195:196], v[195:196], v[6:7], v[207:208]
	v_fma_f64 v[6:7], v[193:194], v[6:7], -v[8:9]
	s_waitcnt vmcnt(8) lgkmcnt(1)
	v_mul_f64 v[211:212], v[2:3], v[12:13]
	v_mul_f64 v[12:13], v[4:5], v[12:13]
	v_add_f64 v[8:9], v[205:206], 0
	v_add_f64 v[193:194], v[209:210], 0
	s_waitcnt vmcnt(7) lgkmcnt(0)
	v_mul_f64 v[205:206], v[38:39], v[16:17]
	v_mul_f64 v[16:17], v[40:41], v[16:17]
	v_fma_f64 v[207:208], v[4:5], v[10:11], v[211:212]
	v_fma_f64 v[10:11], v[2:3], v[10:11], -v[12:13]
	v_add_f64 v[12:13], v[8:9], v[6:7]
	v_add_f64 v[193:194], v[193:194], v[195:196]
	ds_load_b128 v[2:5], v1 offset:1504
	ds_load_b128 v[6:9], v1 offset:1520
	v_fma_f64 v[40:41], v[40:41], v[14:15], v[205:206]
	v_fma_f64 v[14:15], v[38:39], v[14:15], -v[16:17]
	s_waitcnt vmcnt(6) lgkmcnt(1)
	v_mul_f64 v[195:196], v[2:3], v[20:21]
	v_mul_f64 v[20:21], v[4:5], v[20:21]
	s_waitcnt vmcnt(5) lgkmcnt(0)
	v_mul_f64 v[16:17], v[6:7], v[24:25]
	v_mul_f64 v[24:25], v[8:9], v[24:25]
	v_add_f64 v[10:11], v[12:13], v[10:11]
	v_add_f64 v[12:13], v[193:194], v[207:208]
	v_fma_f64 v[38:39], v[4:5], v[18:19], v[195:196]
	v_fma_f64 v[18:19], v[2:3], v[18:19], -v[20:21]
	v_fma_f64 v[8:9], v[8:9], v[22:23], v[16:17]
	v_fma_f64 v[6:7], v[6:7], v[22:23], -v[24:25]
	v_add_f64 v[14:15], v[10:11], v[14:15]
	v_add_f64 v[20:21], v[12:13], v[40:41]
	ds_load_b128 v[2:5], v1 offset:1536
	ds_load_b128 v[10:13], v1 offset:1552
	s_waitcnt vmcnt(4) lgkmcnt(1)
	v_mul_f64 v[40:41], v[2:3], v[28:29]
	v_mul_f64 v[28:29], v[4:5], v[28:29]
	v_add_f64 v[14:15], v[14:15], v[18:19]
	v_add_f64 v[16:17], v[20:21], v[38:39]
	s_waitcnt vmcnt(3) lgkmcnt(0)
	v_mul_f64 v[18:19], v[10:11], v[32:33]
	v_mul_f64 v[20:21], v[12:13], v[32:33]
	v_fma_f64 v[22:23], v[4:5], v[26:27], v[40:41]
	v_fma_f64 v[24:25], v[2:3], v[26:27], -v[28:29]
	v_add_f64 v[14:15], v[14:15], v[6:7]
	v_add_f64 v[16:17], v[16:17], v[8:9]
	ds_load_b128 v[2:5], v1 offset:1568
	ds_load_b128 v[6:9], v1 offset:1584
	v_fma_f64 v[12:13], v[12:13], v[30:31], v[18:19]
	v_fma_f64 v[10:11], v[10:11], v[30:31], -v[20:21]
	s_waitcnt vmcnt(2) lgkmcnt(1)
	v_mul_f64 v[26:27], v[2:3], v[36:37]
	v_mul_f64 v[28:29], v[4:5], v[36:37]
	s_waitcnt vmcnt(0) lgkmcnt(0)
	v_mul_f64 v[18:19], v[6:7], v[203:204]
	v_mul_f64 v[20:21], v[8:9], v[203:204]
	v_add_f64 v[14:15], v[14:15], v[24:25]
	v_add_f64 v[16:17], v[16:17], v[22:23]
	v_fma_f64 v[4:5], v[4:5], v[34:35], v[26:27]
	v_fma_f64 v[1:2], v[2:3], v[34:35], -v[28:29]
	v_fma_f64 v[8:9], v[8:9], v[201:202], v[18:19]
	v_fma_f64 v[6:7], v[6:7], v[201:202], -v[20:21]
	v_add_f64 v[10:11], v[14:15], v[10:11]
	v_add_f64 v[12:13], v[16:17], v[12:13]
	s_delay_alu instid0(VALU_DEP_2) | instskip(NEXT) | instid1(VALU_DEP_2)
	v_add_f64 v[1:2], v[10:11], v[1:2]
	v_add_f64 v[3:4], v[12:13], v[4:5]
	s_delay_alu instid0(VALU_DEP_2) | instskip(NEXT) | instid1(VALU_DEP_2)
	;; [unrolled: 3-line block ×3, first 2 shown]
	v_add_f64 v[1:2], v[197:198], -v[1:2]
	v_add_f64 v[3:4], v[199:200], -v[3:4]
	scratch_store_b128 off, v[1:4], off offset:624
	v_cmpx_lt_u32_e32 38, v142
	s_cbranch_execz .LBB49_237
; %bb.236:
	scratch_load_b128 v[1:4], v146, off
	v_mov_b32_e32 v5, 0
	s_delay_alu instid0(VALU_DEP_1)
	v_mov_b32_e32 v6, v5
	v_mov_b32_e32 v7, v5
	;; [unrolled: 1-line block ×3, first 2 shown]
	scratch_store_b128 off, v[5:8], off offset:608
	s_waitcnt vmcnt(0)
	ds_store_b128 v192, v[1:4]
.LBB49_237:
	s_or_b32 exec_lo, exec_lo, s2
	s_waitcnt lgkmcnt(0)
	s_waitcnt_vscnt null, 0x0
	s_barrier
	buffer_gl0_inv
	s_clause 0x7
	scratch_load_b128 v[2:5], off, off offset:624
	scratch_load_b128 v[6:9], off, off offset:640
	;; [unrolled: 1-line block ×8, first 2 shown]
	v_mov_b32_e32 v1, 0
	s_clause 0x1
	scratch_load_b128 v[38:41], off, off offset:752
	scratch_load_b128 v[197:200], off, off offset:768
	s_mov_b32 s2, exec_lo
	ds_load_b128 v[34:37], v1 offset:1424
	ds_load_b128 v[193:196], v1 offset:1440
	s_waitcnt vmcnt(9) lgkmcnt(1)
	v_mul_f64 v[201:202], v[36:37], v[4:5]
	v_mul_f64 v[4:5], v[34:35], v[4:5]
	s_waitcnt vmcnt(8) lgkmcnt(0)
	v_mul_f64 v[203:204], v[193:194], v[8:9]
	v_mul_f64 v[8:9], v[195:196], v[8:9]
	s_delay_alu instid0(VALU_DEP_4) | instskip(NEXT) | instid1(VALU_DEP_4)
	v_fma_f64 v[201:202], v[34:35], v[2:3], -v[201:202]
	v_fma_f64 v[205:206], v[36:37], v[2:3], v[4:5]
	ds_load_b128 v[2:5], v1 offset:1456
	scratch_load_b128 v[34:37], off, off offset:784
	v_fma_f64 v[195:196], v[195:196], v[6:7], v[203:204]
	v_fma_f64 v[193:194], v[193:194], v[6:7], -v[8:9]
	ds_load_b128 v[6:9], v1 offset:1472
	s_waitcnt vmcnt(8) lgkmcnt(1)
	v_mul_f64 v[207:208], v[2:3], v[12:13]
	v_mul_f64 v[12:13], v[4:5], v[12:13]
	v_add_f64 v[201:202], v[201:202], 0
	v_add_f64 v[203:204], v[205:206], 0
	s_waitcnt vmcnt(7) lgkmcnt(0)
	v_mul_f64 v[205:206], v[6:7], v[16:17]
	v_mul_f64 v[16:17], v[8:9], v[16:17]
	v_fma_f64 v[207:208], v[4:5], v[10:11], v[207:208]
	v_fma_f64 v[10:11], v[2:3], v[10:11], -v[12:13]
	ds_load_b128 v[2:5], v1 offset:1488
	v_add_f64 v[12:13], v[201:202], v[193:194]
	v_add_f64 v[193:194], v[203:204], v[195:196]
	v_fma_f64 v[201:202], v[8:9], v[14:15], v[205:206]
	v_fma_f64 v[14:15], v[6:7], v[14:15], -v[16:17]
	ds_load_b128 v[6:9], v1 offset:1504
	s_waitcnt vmcnt(6) lgkmcnt(1)
	v_mul_f64 v[195:196], v[2:3], v[20:21]
	v_mul_f64 v[20:21], v[4:5], v[20:21]
	s_waitcnt vmcnt(5) lgkmcnt(0)
	v_mul_f64 v[203:204], v[6:7], v[24:25]
	v_mul_f64 v[24:25], v[8:9], v[24:25]
	v_add_f64 v[16:17], v[12:13], v[10:11]
	v_add_f64 v[193:194], v[193:194], v[207:208]
	scratch_load_b128 v[10:13], off, off offset:608
	v_fma_f64 v[195:196], v[4:5], v[18:19], v[195:196]
	v_fma_f64 v[18:19], v[2:3], v[18:19], -v[20:21]
	ds_load_b128 v[2:5], v1 offset:1520
	v_add_f64 v[14:15], v[16:17], v[14:15]
	v_add_f64 v[16:17], v[193:194], v[201:202]
	v_fma_f64 v[193:194], v[8:9], v[22:23], v[203:204]
	v_fma_f64 v[22:23], v[6:7], v[22:23], -v[24:25]
	ds_load_b128 v[6:9], v1 offset:1536
	s_waitcnt vmcnt(5) lgkmcnt(1)
	v_mul_f64 v[20:21], v[2:3], v[28:29]
	v_mul_f64 v[28:29], v[4:5], v[28:29]
	s_waitcnt vmcnt(4) lgkmcnt(0)
	v_mul_f64 v[24:25], v[8:9], v[32:33]
	v_add_f64 v[14:15], v[14:15], v[18:19]
	v_add_f64 v[16:17], v[16:17], v[195:196]
	v_mul_f64 v[18:19], v[6:7], v[32:33]
	v_fma_f64 v[20:21], v[4:5], v[26:27], v[20:21]
	v_fma_f64 v[26:27], v[2:3], v[26:27], -v[28:29]
	ds_load_b128 v[2:5], v1 offset:1552
	v_fma_f64 v[24:25], v[6:7], v[30:31], -v[24:25]
	v_add_f64 v[14:15], v[14:15], v[22:23]
	v_add_f64 v[16:17], v[16:17], v[193:194]
	v_fma_f64 v[18:19], v[8:9], v[30:31], v[18:19]
	ds_load_b128 v[6:9], v1 offset:1568
	s_waitcnt vmcnt(3) lgkmcnt(1)
	v_mul_f64 v[22:23], v[2:3], v[40:41]
	v_mul_f64 v[28:29], v[4:5], v[40:41]
	v_add_f64 v[14:15], v[14:15], v[26:27]
	v_add_f64 v[16:17], v[16:17], v[20:21]
	s_waitcnt vmcnt(2) lgkmcnt(0)
	v_mul_f64 v[20:21], v[6:7], v[199:200]
	v_mul_f64 v[26:27], v[8:9], v[199:200]
	v_fma_f64 v[22:23], v[4:5], v[38:39], v[22:23]
	v_fma_f64 v[28:29], v[2:3], v[38:39], -v[28:29]
	ds_load_b128 v[2:5], v1 offset:1584
	v_add_f64 v[14:15], v[14:15], v[24:25]
	v_add_f64 v[16:17], v[16:17], v[18:19]
	v_fma_f64 v[8:9], v[8:9], v[197:198], v[20:21]
	v_fma_f64 v[6:7], v[6:7], v[197:198], -v[26:27]
	s_waitcnt vmcnt(1) lgkmcnt(0)
	v_mul_f64 v[18:19], v[2:3], v[36:37]
	v_mul_f64 v[24:25], v[4:5], v[36:37]
	v_add_f64 v[14:15], v[14:15], v[28:29]
	v_add_f64 v[16:17], v[16:17], v[22:23]
	s_delay_alu instid0(VALU_DEP_4) | instskip(NEXT) | instid1(VALU_DEP_4)
	v_fma_f64 v[4:5], v[4:5], v[34:35], v[18:19]
	v_fma_f64 v[2:3], v[2:3], v[34:35], -v[24:25]
	s_delay_alu instid0(VALU_DEP_4) | instskip(NEXT) | instid1(VALU_DEP_4)
	v_add_f64 v[6:7], v[14:15], v[6:7]
	v_add_f64 v[8:9], v[16:17], v[8:9]
	s_delay_alu instid0(VALU_DEP_2) | instskip(NEXT) | instid1(VALU_DEP_2)
	v_add_f64 v[2:3], v[6:7], v[2:3]
	v_add_f64 v[4:5], v[8:9], v[4:5]
	s_waitcnt vmcnt(0)
	s_delay_alu instid0(VALU_DEP_2) | instskip(NEXT) | instid1(VALU_DEP_2)
	v_add_f64 v[2:3], v[10:11], -v[2:3]
	v_add_f64 v[4:5], v[12:13], -v[4:5]
	scratch_store_b128 off, v[2:5], off offset:608
	v_cmpx_lt_u32_e32 37, v142
	s_cbranch_execz .LBB49_239
; %bb.238:
	scratch_load_b128 v[5:8], v154, off
	v_mov_b32_e32 v2, v1
	v_mov_b32_e32 v3, v1
	;; [unrolled: 1-line block ×3, first 2 shown]
	scratch_store_b128 off, v[1:4], off offset:592
	s_waitcnt vmcnt(0)
	ds_store_b128 v192, v[5:8]
.LBB49_239:
	s_or_b32 exec_lo, exec_lo, s2
	s_waitcnt lgkmcnt(0)
	s_waitcnt_vscnt null, 0x0
	s_barrier
	buffer_gl0_inv
	s_clause 0x7
	scratch_load_b128 v[2:5], off, off offset:608
	scratch_load_b128 v[6:9], off, off offset:624
	;; [unrolled: 1-line block ×8, first 2 shown]
	ds_load_b128 v[34:37], v1 offset:1408
	ds_load_b128 v[193:196], v1 offset:1424
	s_clause 0x1
	scratch_load_b128 v[38:41], off, off offset:736
	scratch_load_b128 v[197:200], off, off offset:752
	s_mov_b32 s2, exec_lo
	s_waitcnt vmcnt(9) lgkmcnt(1)
	v_mul_f64 v[201:202], v[36:37], v[4:5]
	v_mul_f64 v[4:5], v[34:35], v[4:5]
	s_waitcnt vmcnt(8) lgkmcnt(0)
	v_mul_f64 v[203:204], v[193:194], v[8:9]
	v_mul_f64 v[8:9], v[195:196], v[8:9]
	s_delay_alu instid0(VALU_DEP_4) | instskip(NEXT) | instid1(VALU_DEP_4)
	v_fma_f64 v[201:202], v[34:35], v[2:3], -v[201:202]
	v_fma_f64 v[205:206], v[36:37], v[2:3], v[4:5]
	scratch_load_b128 v[34:37], off, off offset:768
	ds_load_b128 v[2:5], v1 offset:1440
	v_fma_f64 v[203:204], v[195:196], v[6:7], v[203:204]
	v_fma_f64 v[209:210], v[193:194], v[6:7], -v[8:9]
	ds_load_b128 v[6:9], v1 offset:1456
	scratch_load_b128 v[193:196], off, off offset:784
	s_waitcnt vmcnt(9) lgkmcnt(1)
	v_mul_f64 v[207:208], v[2:3], v[12:13]
	v_mul_f64 v[12:13], v[4:5], v[12:13]
	s_waitcnt vmcnt(8) lgkmcnt(0)
	v_mul_f64 v[211:212], v[6:7], v[16:17]
	v_mul_f64 v[16:17], v[8:9], v[16:17]
	v_add_f64 v[201:202], v[201:202], 0
	v_add_f64 v[205:206], v[205:206], 0
	v_fma_f64 v[207:208], v[4:5], v[10:11], v[207:208]
	v_fma_f64 v[10:11], v[2:3], v[10:11], -v[12:13]
	ds_load_b128 v[2:5], v1 offset:1472
	v_add_f64 v[12:13], v[201:202], v[209:210]
	v_add_f64 v[201:202], v[205:206], v[203:204]
	v_fma_f64 v[205:206], v[8:9], v[14:15], v[211:212]
	v_fma_f64 v[14:15], v[6:7], v[14:15], -v[16:17]
	ds_load_b128 v[6:9], v1 offset:1488
	s_waitcnt vmcnt(7) lgkmcnt(1)
	v_mul_f64 v[203:204], v[2:3], v[20:21]
	v_mul_f64 v[20:21], v[4:5], v[20:21]
	s_waitcnt vmcnt(6) lgkmcnt(0)
	v_mul_f64 v[16:17], v[6:7], v[24:25]
	v_mul_f64 v[24:25], v[8:9], v[24:25]
	v_add_f64 v[10:11], v[12:13], v[10:11]
	v_add_f64 v[12:13], v[201:202], v[207:208]
	v_fma_f64 v[201:202], v[4:5], v[18:19], v[203:204]
	v_fma_f64 v[18:19], v[2:3], v[18:19], -v[20:21]
	ds_load_b128 v[2:5], v1 offset:1504
	v_fma_f64 v[16:17], v[8:9], v[22:23], v[16:17]
	v_fma_f64 v[22:23], v[6:7], v[22:23], -v[24:25]
	ds_load_b128 v[6:9], v1 offset:1520
	s_waitcnt vmcnt(5) lgkmcnt(1)
	v_mul_f64 v[203:204], v[2:3], v[28:29]
	v_mul_f64 v[28:29], v[4:5], v[28:29]
	v_add_f64 v[14:15], v[10:11], v[14:15]
	v_add_f64 v[20:21], v[12:13], v[205:206]
	scratch_load_b128 v[10:13], off, off offset:592
	s_waitcnt vmcnt(5) lgkmcnt(0)
	v_mul_f64 v[24:25], v[8:9], v[32:33]
	v_add_f64 v[14:15], v[14:15], v[18:19]
	v_add_f64 v[18:19], v[20:21], v[201:202]
	v_mul_f64 v[20:21], v[6:7], v[32:33]
	v_fma_f64 v[32:33], v[4:5], v[26:27], v[203:204]
	v_fma_f64 v[26:27], v[2:3], v[26:27], -v[28:29]
	ds_load_b128 v[2:5], v1 offset:1536
	v_fma_f64 v[24:25], v[6:7], v[30:31], -v[24:25]
	v_add_f64 v[14:15], v[14:15], v[22:23]
	v_add_f64 v[16:17], v[18:19], v[16:17]
	v_fma_f64 v[20:21], v[8:9], v[30:31], v[20:21]
	ds_load_b128 v[6:9], v1 offset:1552
	s_waitcnt vmcnt(4) lgkmcnt(1)
	v_mul_f64 v[18:19], v[2:3], v[40:41]
	v_mul_f64 v[22:23], v[4:5], v[40:41]
	s_waitcnt vmcnt(3) lgkmcnt(0)
	v_mul_f64 v[28:29], v[8:9], v[199:200]
	v_add_f64 v[14:15], v[14:15], v[26:27]
	v_add_f64 v[16:17], v[16:17], v[32:33]
	v_mul_f64 v[26:27], v[6:7], v[199:200]
	v_fma_f64 v[18:19], v[4:5], v[38:39], v[18:19]
	v_fma_f64 v[22:23], v[2:3], v[38:39], -v[22:23]
	ds_load_b128 v[2:5], v1 offset:1568
	v_fma_f64 v[28:29], v[6:7], v[197:198], -v[28:29]
	v_add_f64 v[14:15], v[14:15], v[24:25]
	v_add_f64 v[16:17], v[16:17], v[20:21]
	v_fma_f64 v[26:27], v[8:9], v[197:198], v[26:27]
	ds_load_b128 v[6:9], v1 offset:1584
	s_waitcnt vmcnt(2) lgkmcnt(1)
	v_mul_f64 v[20:21], v[2:3], v[36:37]
	v_mul_f64 v[24:25], v[4:5], v[36:37]
	v_add_f64 v[14:15], v[14:15], v[22:23]
	v_add_f64 v[16:17], v[16:17], v[18:19]
	s_waitcnt vmcnt(1) lgkmcnt(0)
	v_mul_f64 v[18:19], v[6:7], v[195:196]
	v_mul_f64 v[22:23], v[8:9], v[195:196]
	v_fma_f64 v[4:5], v[4:5], v[34:35], v[20:21]
	v_fma_f64 v[1:2], v[2:3], v[34:35], -v[24:25]
	v_add_f64 v[14:15], v[14:15], v[28:29]
	v_add_f64 v[16:17], v[16:17], v[26:27]
	v_fma_f64 v[8:9], v[8:9], v[193:194], v[18:19]
	v_fma_f64 v[6:7], v[6:7], v[193:194], -v[22:23]
	s_delay_alu instid0(VALU_DEP_4) | instskip(NEXT) | instid1(VALU_DEP_4)
	v_add_f64 v[1:2], v[14:15], v[1:2]
	v_add_f64 v[3:4], v[16:17], v[4:5]
	s_delay_alu instid0(VALU_DEP_2) | instskip(NEXT) | instid1(VALU_DEP_2)
	v_add_f64 v[1:2], v[1:2], v[6:7]
	v_add_f64 v[3:4], v[3:4], v[8:9]
	s_waitcnt vmcnt(0)
	s_delay_alu instid0(VALU_DEP_2) | instskip(NEXT) | instid1(VALU_DEP_2)
	v_add_f64 v[1:2], v[10:11], -v[1:2]
	v_add_f64 v[3:4], v[12:13], -v[3:4]
	scratch_store_b128 off, v[1:4], off offset:592
	v_cmpx_lt_u32_e32 36, v142
	s_cbranch_execz .LBB49_241
; %bb.240:
	scratch_load_b128 v[1:4], v155, off
	v_mov_b32_e32 v5, 0
	s_delay_alu instid0(VALU_DEP_1)
	v_mov_b32_e32 v6, v5
	v_mov_b32_e32 v7, v5
	;; [unrolled: 1-line block ×3, first 2 shown]
	scratch_store_b128 off, v[5:8], off offset:576
	s_waitcnt vmcnt(0)
	ds_store_b128 v192, v[1:4]
.LBB49_241:
	s_or_b32 exec_lo, exec_lo, s2
	s_waitcnt lgkmcnt(0)
	s_waitcnt_vscnt null, 0x0
	s_barrier
	buffer_gl0_inv
	s_clause 0x7
	scratch_load_b128 v[2:5], off, off offset:592
	scratch_load_b128 v[6:9], off, off offset:608
	;; [unrolled: 1-line block ×8, first 2 shown]
	v_mov_b32_e32 v1, 0
	s_clause 0x1
	scratch_load_b128 v[38:41], off, off offset:720
	scratch_load_b128 v[197:200], off, off offset:736
	s_mov_b32 s2, exec_lo
	ds_load_b128 v[34:37], v1 offset:1392
	ds_load_b128 v[193:196], v1 offset:1408
	s_waitcnt vmcnt(9) lgkmcnt(1)
	v_mul_f64 v[201:202], v[36:37], v[4:5]
	v_mul_f64 v[4:5], v[34:35], v[4:5]
	s_waitcnt vmcnt(8) lgkmcnt(0)
	v_mul_f64 v[203:204], v[193:194], v[8:9]
	v_mul_f64 v[8:9], v[195:196], v[8:9]
	s_delay_alu instid0(VALU_DEP_4) | instskip(NEXT) | instid1(VALU_DEP_4)
	v_fma_f64 v[201:202], v[34:35], v[2:3], -v[201:202]
	v_fma_f64 v[205:206], v[36:37], v[2:3], v[4:5]
	ds_load_b128 v[2:5], v1 offset:1424
	scratch_load_b128 v[34:37], off, off offset:752
	v_fma_f64 v[203:204], v[195:196], v[6:7], v[203:204]
	v_fma_f64 v[209:210], v[193:194], v[6:7], -v[8:9]
	ds_load_b128 v[6:9], v1 offset:1440
	scratch_load_b128 v[193:196], off, off offset:768
	s_waitcnt vmcnt(9) lgkmcnt(1)
	v_mul_f64 v[207:208], v[2:3], v[12:13]
	v_mul_f64 v[12:13], v[4:5], v[12:13]
	s_waitcnt vmcnt(8) lgkmcnt(0)
	v_mul_f64 v[211:212], v[6:7], v[16:17]
	v_mul_f64 v[16:17], v[8:9], v[16:17]
	v_add_f64 v[201:202], v[201:202], 0
	v_add_f64 v[205:206], v[205:206], 0
	v_fma_f64 v[207:208], v[4:5], v[10:11], v[207:208]
	v_fma_f64 v[213:214], v[2:3], v[10:11], -v[12:13]
	scratch_load_b128 v[10:13], off, off offset:784
	ds_load_b128 v[2:5], v1 offset:1456
	v_add_f64 v[201:202], v[201:202], v[209:210]
	v_add_f64 v[203:204], v[205:206], v[203:204]
	v_fma_f64 v[209:210], v[8:9], v[14:15], v[211:212]
	v_fma_f64 v[14:15], v[6:7], v[14:15], -v[16:17]
	ds_load_b128 v[6:9], v1 offset:1472
	s_waitcnt vmcnt(8) lgkmcnt(1)
	v_mul_f64 v[205:206], v[2:3], v[20:21]
	v_mul_f64 v[20:21], v[4:5], v[20:21]
	v_add_f64 v[16:17], v[201:202], v[213:214]
	v_add_f64 v[201:202], v[203:204], v[207:208]
	s_waitcnt vmcnt(7) lgkmcnt(0)
	v_mul_f64 v[203:204], v[6:7], v[24:25]
	v_mul_f64 v[24:25], v[8:9], v[24:25]
	v_fma_f64 v[205:206], v[4:5], v[18:19], v[205:206]
	v_fma_f64 v[18:19], v[2:3], v[18:19], -v[20:21]
	ds_load_b128 v[2:5], v1 offset:1488
	v_add_f64 v[14:15], v[16:17], v[14:15]
	v_add_f64 v[16:17], v[201:202], v[209:210]
	v_fma_f64 v[201:202], v[8:9], v[22:23], v[203:204]
	v_fma_f64 v[22:23], v[6:7], v[22:23], -v[24:25]
	ds_load_b128 v[6:9], v1 offset:1504
	s_waitcnt vmcnt(6) lgkmcnt(1)
	v_mul_f64 v[20:21], v[2:3], v[28:29]
	v_mul_f64 v[28:29], v[4:5], v[28:29]
	s_waitcnt vmcnt(5) lgkmcnt(0)
	v_mul_f64 v[203:204], v[6:7], v[32:33]
	v_mul_f64 v[32:33], v[8:9], v[32:33]
	v_add_f64 v[18:19], v[14:15], v[18:19]
	v_add_f64 v[24:25], v[16:17], v[205:206]
	scratch_load_b128 v[14:17], off, off offset:576
	v_fma_f64 v[20:21], v[4:5], v[26:27], v[20:21]
	v_fma_f64 v[26:27], v[2:3], v[26:27], -v[28:29]
	ds_load_b128 v[2:5], v1 offset:1520
	s_waitcnt vmcnt(5) lgkmcnt(0)
	v_mul_f64 v[28:29], v[4:5], v[40:41]
	v_add_f64 v[18:19], v[18:19], v[22:23]
	v_add_f64 v[22:23], v[24:25], v[201:202]
	v_mul_f64 v[24:25], v[2:3], v[40:41]
	v_fma_f64 v[40:41], v[8:9], v[30:31], v[203:204]
	v_fma_f64 v[30:31], v[6:7], v[30:31], -v[32:33]
	ds_load_b128 v[6:9], v1 offset:1536
	v_fma_f64 v[28:29], v[2:3], v[38:39], -v[28:29]
	v_add_f64 v[18:19], v[18:19], v[26:27]
	v_add_f64 v[20:21], v[22:23], v[20:21]
	v_fma_f64 v[24:25], v[4:5], v[38:39], v[24:25]
	ds_load_b128 v[2:5], v1 offset:1552
	s_waitcnt vmcnt(4) lgkmcnt(1)
	v_mul_f64 v[22:23], v[6:7], v[199:200]
	v_mul_f64 v[26:27], v[8:9], v[199:200]
	v_add_f64 v[18:19], v[18:19], v[30:31]
	v_add_f64 v[20:21], v[20:21], v[40:41]
	s_delay_alu instid0(VALU_DEP_4) | instskip(NEXT) | instid1(VALU_DEP_4)
	v_fma_f64 v[22:23], v[8:9], v[197:198], v[22:23]
	v_fma_f64 v[26:27], v[6:7], v[197:198], -v[26:27]
	ds_load_b128 v[6:9], v1 offset:1568
	s_waitcnt vmcnt(3) lgkmcnt(1)
	v_mul_f64 v[30:31], v[2:3], v[36:37]
	v_mul_f64 v[32:33], v[4:5], v[36:37]
	v_add_f64 v[18:19], v[18:19], v[28:29]
	v_add_f64 v[20:21], v[20:21], v[24:25]
	s_delay_alu instid0(VALU_DEP_4) | instskip(NEXT) | instid1(VALU_DEP_4)
	v_fma_f64 v[30:31], v[4:5], v[34:35], v[30:31]
	v_fma_f64 v[32:33], v[2:3], v[34:35], -v[32:33]
	ds_load_b128 v[2:5], v1 offset:1584
	s_waitcnt vmcnt(2) lgkmcnt(1)
	v_mul_f64 v[24:25], v[6:7], v[195:196]
	v_mul_f64 v[28:29], v[8:9], v[195:196]
	v_add_f64 v[18:19], v[18:19], v[26:27]
	v_add_f64 v[20:21], v[20:21], v[22:23]
	s_waitcnt vmcnt(1) lgkmcnt(0)
	v_mul_f64 v[22:23], v[2:3], v[12:13]
	v_mul_f64 v[12:13], v[4:5], v[12:13]
	v_fma_f64 v[8:9], v[8:9], v[193:194], v[24:25]
	v_fma_f64 v[6:7], v[6:7], v[193:194], -v[28:29]
	v_add_f64 v[18:19], v[18:19], v[32:33]
	v_add_f64 v[20:21], v[20:21], v[30:31]
	v_fma_f64 v[4:5], v[4:5], v[10:11], v[22:23]
	v_fma_f64 v[2:3], v[2:3], v[10:11], -v[12:13]
	s_delay_alu instid0(VALU_DEP_4) | instskip(NEXT) | instid1(VALU_DEP_4)
	v_add_f64 v[6:7], v[18:19], v[6:7]
	v_add_f64 v[8:9], v[20:21], v[8:9]
	s_delay_alu instid0(VALU_DEP_2) | instskip(NEXT) | instid1(VALU_DEP_2)
	v_add_f64 v[2:3], v[6:7], v[2:3]
	v_add_f64 v[4:5], v[8:9], v[4:5]
	s_waitcnt vmcnt(0)
	s_delay_alu instid0(VALU_DEP_2) | instskip(NEXT) | instid1(VALU_DEP_2)
	v_add_f64 v[2:3], v[14:15], -v[2:3]
	v_add_f64 v[4:5], v[16:17], -v[4:5]
	scratch_store_b128 off, v[2:5], off offset:576
	v_cmpx_lt_u32_e32 35, v142
	s_cbranch_execz .LBB49_243
; %bb.242:
	scratch_load_b128 v[5:8], v158, off
	v_mov_b32_e32 v2, v1
	v_mov_b32_e32 v3, v1
	;; [unrolled: 1-line block ×3, first 2 shown]
	scratch_store_b128 off, v[1:4], off offset:560
	s_waitcnt vmcnt(0)
	ds_store_b128 v192, v[5:8]
.LBB49_243:
	s_or_b32 exec_lo, exec_lo, s2
	s_waitcnt lgkmcnt(0)
	s_waitcnt_vscnt null, 0x0
	s_barrier
	buffer_gl0_inv
	s_clause 0x7
	scratch_load_b128 v[2:5], off, off offset:576
	scratch_load_b128 v[6:9], off, off offset:592
	;; [unrolled: 1-line block ×8, first 2 shown]
	ds_load_b128 v[34:37], v1 offset:1376
	ds_load_b128 v[193:196], v1 offset:1392
	s_clause 0x1
	scratch_load_b128 v[38:41], off, off offset:704
	scratch_load_b128 v[197:200], off, off offset:720
	s_mov_b32 s2, exec_lo
	s_waitcnt vmcnt(9) lgkmcnt(1)
	v_mul_f64 v[201:202], v[36:37], v[4:5]
	v_mul_f64 v[4:5], v[34:35], v[4:5]
	s_waitcnt vmcnt(8) lgkmcnt(0)
	v_mul_f64 v[203:204], v[193:194], v[8:9]
	v_mul_f64 v[8:9], v[195:196], v[8:9]
	s_delay_alu instid0(VALU_DEP_4) | instskip(NEXT) | instid1(VALU_DEP_4)
	v_fma_f64 v[201:202], v[34:35], v[2:3], -v[201:202]
	v_fma_f64 v[205:206], v[36:37], v[2:3], v[4:5]
	scratch_load_b128 v[34:37], off, off offset:736
	ds_load_b128 v[2:5], v1 offset:1408
	v_fma_f64 v[203:204], v[195:196], v[6:7], v[203:204]
	v_fma_f64 v[209:210], v[193:194], v[6:7], -v[8:9]
	ds_load_b128 v[6:9], v1 offset:1424
	scratch_load_b128 v[193:196], off, off offset:752
	s_waitcnt vmcnt(9) lgkmcnt(1)
	v_mul_f64 v[207:208], v[2:3], v[12:13]
	v_mul_f64 v[12:13], v[4:5], v[12:13]
	s_waitcnt vmcnt(8) lgkmcnt(0)
	v_mul_f64 v[211:212], v[6:7], v[16:17]
	v_mul_f64 v[16:17], v[8:9], v[16:17]
	v_add_f64 v[201:202], v[201:202], 0
	v_add_f64 v[205:206], v[205:206], 0
	v_fma_f64 v[207:208], v[4:5], v[10:11], v[207:208]
	v_fma_f64 v[213:214], v[2:3], v[10:11], -v[12:13]
	scratch_load_b128 v[10:13], off, off offset:768
	ds_load_b128 v[2:5], v1 offset:1440
	v_add_f64 v[201:202], v[201:202], v[209:210]
	v_add_f64 v[203:204], v[205:206], v[203:204]
	v_fma_f64 v[209:210], v[8:9], v[14:15], v[211:212]
	v_fma_f64 v[211:212], v[6:7], v[14:15], -v[16:17]
	ds_load_b128 v[6:9], v1 offset:1456
	scratch_load_b128 v[14:17], off, off offset:784
	s_waitcnt vmcnt(9) lgkmcnt(1)
	v_mul_f64 v[205:206], v[2:3], v[20:21]
	v_mul_f64 v[20:21], v[4:5], v[20:21]
	v_add_f64 v[201:202], v[201:202], v[213:214]
	v_add_f64 v[203:204], v[203:204], v[207:208]
	s_waitcnt vmcnt(8) lgkmcnt(0)
	v_mul_f64 v[207:208], v[6:7], v[24:25]
	v_mul_f64 v[24:25], v[8:9], v[24:25]
	v_fma_f64 v[205:206], v[4:5], v[18:19], v[205:206]
	v_fma_f64 v[18:19], v[2:3], v[18:19], -v[20:21]
	ds_load_b128 v[2:5], v1 offset:1472
	v_add_f64 v[20:21], v[201:202], v[211:212]
	v_add_f64 v[201:202], v[203:204], v[209:210]
	v_fma_f64 v[207:208], v[8:9], v[22:23], v[207:208]
	v_fma_f64 v[22:23], v[6:7], v[22:23], -v[24:25]
	ds_load_b128 v[6:9], v1 offset:1488
	s_waitcnt vmcnt(7) lgkmcnt(1)
	v_mul_f64 v[203:204], v[2:3], v[28:29]
	v_mul_f64 v[28:29], v[4:5], v[28:29]
	s_waitcnt vmcnt(6) lgkmcnt(0)
	v_mul_f64 v[24:25], v[6:7], v[32:33]
	v_mul_f64 v[32:33], v[8:9], v[32:33]
	v_add_f64 v[18:19], v[20:21], v[18:19]
	v_add_f64 v[20:21], v[201:202], v[205:206]
	v_fma_f64 v[201:202], v[4:5], v[26:27], v[203:204]
	v_fma_f64 v[26:27], v[2:3], v[26:27], -v[28:29]
	ds_load_b128 v[2:5], v1 offset:1504
	v_fma_f64 v[24:25], v[8:9], v[30:31], v[24:25]
	v_fma_f64 v[30:31], v[6:7], v[30:31], -v[32:33]
	ds_load_b128 v[6:9], v1 offset:1520
	v_add_f64 v[22:23], v[18:19], v[22:23]
	v_add_f64 v[28:29], v[20:21], v[207:208]
	scratch_load_b128 v[18:21], off, off offset:560
	s_waitcnt vmcnt(6) lgkmcnt(1)
	v_mul_f64 v[203:204], v[2:3], v[40:41]
	v_mul_f64 v[40:41], v[4:5], v[40:41]
	s_waitcnt vmcnt(5) lgkmcnt(0)
	v_mul_f64 v[32:33], v[8:9], v[199:200]
	v_add_f64 v[22:23], v[22:23], v[26:27]
	v_add_f64 v[26:27], v[28:29], v[201:202]
	v_mul_f64 v[28:29], v[6:7], v[199:200]
	v_fma_f64 v[199:200], v[4:5], v[38:39], v[203:204]
	v_fma_f64 v[38:39], v[2:3], v[38:39], -v[40:41]
	ds_load_b128 v[2:5], v1 offset:1536
	v_fma_f64 v[32:33], v[6:7], v[197:198], -v[32:33]
	v_add_f64 v[22:23], v[22:23], v[30:31]
	v_add_f64 v[24:25], v[26:27], v[24:25]
	v_fma_f64 v[28:29], v[8:9], v[197:198], v[28:29]
	ds_load_b128 v[6:9], v1 offset:1552
	s_waitcnt vmcnt(4) lgkmcnt(1)
	v_mul_f64 v[26:27], v[2:3], v[36:37]
	v_mul_f64 v[30:31], v[4:5], v[36:37]
	s_waitcnt vmcnt(3) lgkmcnt(0)
	v_mul_f64 v[36:37], v[6:7], v[195:196]
	v_add_f64 v[22:23], v[22:23], v[38:39]
	v_add_f64 v[24:25], v[24:25], v[199:200]
	v_mul_f64 v[38:39], v[8:9], v[195:196]
	v_fma_f64 v[26:27], v[4:5], v[34:35], v[26:27]
	v_fma_f64 v[30:31], v[2:3], v[34:35], -v[30:31]
	ds_load_b128 v[2:5], v1 offset:1568
	v_add_f64 v[22:23], v[22:23], v[32:33]
	v_add_f64 v[24:25], v[24:25], v[28:29]
	v_fma_f64 v[32:33], v[8:9], v[193:194], v[36:37]
	v_fma_f64 v[34:35], v[6:7], v[193:194], -v[38:39]
	ds_load_b128 v[6:9], v1 offset:1584
	s_waitcnt vmcnt(2) lgkmcnt(1)
	v_mul_f64 v[28:29], v[2:3], v[12:13]
	v_mul_f64 v[12:13], v[4:5], v[12:13]
	v_add_f64 v[22:23], v[22:23], v[30:31]
	v_add_f64 v[24:25], v[24:25], v[26:27]
	s_waitcnt vmcnt(1) lgkmcnt(0)
	v_mul_f64 v[26:27], v[6:7], v[16:17]
	v_mul_f64 v[16:17], v[8:9], v[16:17]
	v_fma_f64 v[4:5], v[4:5], v[10:11], v[28:29]
	v_fma_f64 v[1:2], v[2:3], v[10:11], -v[12:13]
	v_add_f64 v[10:11], v[22:23], v[34:35]
	v_add_f64 v[12:13], v[24:25], v[32:33]
	v_fma_f64 v[8:9], v[8:9], v[14:15], v[26:27]
	v_fma_f64 v[6:7], v[6:7], v[14:15], -v[16:17]
	s_delay_alu instid0(VALU_DEP_4) | instskip(NEXT) | instid1(VALU_DEP_4)
	v_add_f64 v[1:2], v[10:11], v[1:2]
	v_add_f64 v[3:4], v[12:13], v[4:5]
	s_delay_alu instid0(VALU_DEP_2) | instskip(NEXT) | instid1(VALU_DEP_2)
	v_add_f64 v[1:2], v[1:2], v[6:7]
	v_add_f64 v[3:4], v[3:4], v[8:9]
	s_waitcnt vmcnt(0)
	s_delay_alu instid0(VALU_DEP_2) | instskip(NEXT) | instid1(VALU_DEP_2)
	v_add_f64 v[1:2], v[18:19], -v[1:2]
	v_add_f64 v[3:4], v[20:21], -v[3:4]
	scratch_store_b128 off, v[1:4], off offset:560
	v_cmpx_lt_u32_e32 34, v142
	s_cbranch_execz .LBB49_245
; %bb.244:
	scratch_load_b128 v[1:4], v157, off
	v_mov_b32_e32 v5, 0
	s_delay_alu instid0(VALU_DEP_1)
	v_mov_b32_e32 v6, v5
	v_mov_b32_e32 v7, v5
	;; [unrolled: 1-line block ×3, first 2 shown]
	scratch_store_b128 off, v[5:8], off offset:544
	s_waitcnt vmcnt(0)
	ds_store_b128 v192, v[1:4]
.LBB49_245:
	s_or_b32 exec_lo, exec_lo, s2
	s_waitcnt lgkmcnt(0)
	s_waitcnt_vscnt null, 0x0
	s_barrier
	buffer_gl0_inv
	s_clause 0x7
	scratch_load_b128 v[2:5], off, off offset:560
	scratch_load_b128 v[6:9], off, off offset:576
	;; [unrolled: 1-line block ×8, first 2 shown]
	v_mov_b32_e32 v1, 0
	s_clause 0x1
	scratch_load_b128 v[38:41], off, off offset:688
	scratch_load_b128 v[197:200], off, off offset:704
	s_mov_b32 s2, exec_lo
	ds_load_b128 v[34:37], v1 offset:1360
	ds_load_b128 v[193:196], v1 offset:1376
	s_waitcnt vmcnt(9) lgkmcnt(1)
	v_mul_f64 v[201:202], v[36:37], v[4:5]
	v_mul_f64 v[4:5], v[34:35], v[4:5]
	s_waitcnt vmcnt(8) lgkmcnt(0)
	v_mul_f64 v[203:204], v[193:194], v[8:9]
	v_mul_f64 v[8:9], v[195:196], v[8:9]
	s_delay_alu instid0(VALU_DEP_4) | instskip(NEXT) | instid1(VALU_DEP_4)
	v_fma_f64 v[201:202], v[34:35], v[2:3], -v[201:202]
	v_fma_f64 v[205:206], v[36:37], v[2:3], v[4:5]
	ds_load_b128 v[2:5], v1 offset:1392
	scratch_load_b128 v[34:37], off, off offset:720
	v_fma_f64 v[203:204], v[195:196], v[6:7], v[203:204]
	v_fma_f64 v[209:210], v[193:194], v[6:7], -v[8:9]
	ds_load_b128 v[6:9], v1 offset:1408
	scratch_load_b128 v[193:196], off, off offset:736
	s_waitcnt vmcnt(9) lgkmcnt(1)
	v_mul_f64 v[207:208], v[2:3], v[12:13]
	v_mul_f64 v[12:13], v[4:5], v[12:13]
	s_waitcnt vmcnt(8) lgkmcnt(0)
	v_mul_f64 v[211:212], v[6:7], v[16:17]
	v_mul_f64 v[16:17], v[8:9], v[16:17]
	v_add_f64 v[201:202], v[201:202], 0
	v_add_f64 v[205:206], v[205:206], 0
	v_fma_f64 v[207:208], v[4:5], v[10:11], v[207:208]
	v_fma_f64 v[213:214], v[2:3], v[10:11], -v[12:13]
	scratch_load_b128 v[10:13], off, off offset:752
	ds_load_b128 v[2:5], v1 offset:1424
	v_add_f64 v[201:202], v[201:202], v[209:210]
	v_add_f64 v[203:204], v[205:206], v[203:204]
	v_fma_f64 v[209:210], v[8:9], v[14:15], v[211:212]
	v_fma_f64 v[211:212], v[6:7], v[14:15], -v[16:17]
	ds_load_b128 v[6:9], v1 offset:1440
	scratch_load_b128 v[14:17], off, off offset:768
	s_waitcnt vmcnt(9) lgkmcnt(1)
	v_mul_f64 v[205:206], v[2:3], v[20:21]
	v_mul_f64 v[20:21], v[4:5], v[20:21]
	v_add_f64 v[201:202], v[201:202], v[213:214]
	v_add_f64 v[203:204], v[203:204], v[207:208]
	s_waitcnt vmcnt(8) lgkmcnt(0)
	v_mul_f64 v[207:208], v[6:7], v[24:25]
	v_mul_f64 v[24:25], v[8:9], v[24:25]
	v_fma_f64 v[205:206], v[4:5], v[18:19], v[205:206]
	v_fma_f64 v[213:214], v[2:3], v[18:19], -v[20:21]
	scratch_load_b128 v[18:21], off, off offset:784
	ds_load_b128 v[2:5], v1 offset:1456
	v_add_f64 v[201:202], v[201:202], v[211:212]
	v_add_f64 v[203:204], v[203:204], v[209:210]
	v_fma_f64 v[207:208], v[8:9], v[22:23], v[207:208]
	v_fma_f64 v[22:23], v[6:7], v[22:23], -v[24:25]
	ds_load_b128 v[6:9], v1 offset:1472
	s_waitcnt vmcnt(8) lgkmcnt(1)
	v_mul_f64 v[209:210], v[2:3], v[28:29]
	v_mul_f64 v[28:29], v[4:5], v[28:29]
	v_add_f64 v[24:25], v[201:202], v[213:214]
	v_add_f64 v[201:202], v[203:204], v[205:206]
	s_waitcnt vmcnt(7) lgkmcnt(0)
	v_mul_f64 v[203:204], v[6:7], v[32:33]
	v_mul_f64 v[32:33], v[8:9], v[32:33]
	v_fma_f64 v[205:206], v[4:5], v[26:27], v[209:210]
	v_fma_f64 v[26:27], v[2:3], v[26:27], -v[28:29]
	ds_load_b128 v[2:5], v1 offset:1488
	v_add_f64 v[22:23], v[24:25], v[22:23]
	v_add_f64 v[24:25], v[201:202], v[207:208]
	v_fma_f64 v[201:202], v[8:9], v[30:31], v[203:204]
	v_fma_f64 v[30:31], v[6:7], v[30:31], -v[32:33]
	ds_load_b128 v[6:9], v1 offset:1504
	s_waitcnt vmcnt(5) lgkmcnt(0)
	v_mul_f64 v[203:204], v[6:7], v[199:200]
	v_mul_f64 v[199:200], v[8:9], v[199:200]
	v_add_f64 v[26:27], v[22:23], v[26:27]
	v_add_f64 v[32:33], v[24:25], v[205:206]
	scratch_load_b128 v[22:25], off, off offset:544
	v_mul_f64 v[28:29], v[2:3], v[40:41]
	v_mul_f64 v[40:41], v[4:5], v[40:41]
	v_add_f64 v[26:27], v[26:27], v[30:31]
	v_add_f64 v[30:31], v[32:33], v[201:202]
	s_delay_alu instid0(VALU_DEP_4) | instskip(NEXT) | instid1(VALU_DEP_4)
	v_fma_f64 v[28:29], v[4:5], v[38:39], v[28:29]
	v_fma_f64 v[38:39], v[2:3], v[38:39], -v[40:41]
	ds_load_b128 v[2:5], v1 offset:1520
	v_fma_f64 v[40:41], v[8:9], v[197:198], v[203:204]
	v_fma_f64 v[197:198], v[6:7], v[197:198], -v[199:200]
	ds_load_b128 v[6:9], v1 offset:1536
	s_waitcnt vmcnt(5) lgkmcnt(1)
	v_mul_f64 v[32:33], v[2:3], v[36:37]
	v_mul_f64 v[36:37], v[4:5], v[36:37]
	v_add_f64 v[28:29], v[30:31], v[28:29]
	v_add_f64 v[26:27], v[26:27], v[38:39]
	s_waitcnt vmcnt(4) lgkmcnt(0)
	v_mul_f64 v[30:31], v[6:7], v[195:196]
	v_mul_f64 v[38:39], v[8:9], v[195:196]
	v_fma_f64 v[32:33], v[4:5], v[34:35], v[32:33]
	v_fma_f64 v[34:35], v[2:3], v[34:35], -v[36:37]
	ds_load_b128 v[2:5], v1 offset:1552
	v_add_f64 v[28:29], v[28:29], v[40:41]
	v_add_f64 v[26:27], v[26:27], v[197:198]
	v_fma_f64 v[30:31], v[8:9], v[193:194], v[30:31]
	v_fma_f64 v[38:39], v[6:7], v[193:194], -v[38:39]
	ds_load_b128 v[6:9], v1 offset:1568
	s_waitcnt vmcnt(3) lgkmcnt(1)
	v_mul_f64 v[36:37], v[2:3], v[12:13]
	v_mul_f64 v[12:13], v[4:5], v[12:13]
	v_add_f64 v[28:29], v[28:29], v[32:33]
	v_add_f64 v[26:27], v[26:27], v[34:35]
	s_waitcnt vmcnt(2) lgkmcnt(0)
	v_mul_f64 v[32:33], v[6:7], v[16:17]
	v_mul_f64 v[16:17], v[8:9], v[16:17]
	v_fma_f64 v[34:35], v[4:5], v[10:11], v[36:37]
	v_fma_f64 v[10:11], v[2:3], v[10:11], -v[12:13]
	ds_load_b128 v[2:5], v1 offset:1584
	v_add_f64 v[12:13], v[26:27], v[38:39]
	v_add_f64 v[26:27], v[28:29], v[30:31]
	s_waitcnt vmcnt(1) lgkmcnt(0)
	v_mul_f64 v[28:29], v[2:3], v[20:21]
	v_mul_f64 v[20:21], v[4:5], v[20:21]
	v_fma_f64 v[8:9], v[8:9], v[14:15], v[32:33]
	v_fma_f64 v[6:7], v[6:7], v[14:15], -v[16:17]
	v_add_f64 v[10:11], v[12:13], v[10:11]
	v_add_f64 v[12:13], v[26:27], v[34:35]
	v_fma_f64 v[4:5], v[4:5], v[18:19], v[28:29]
	v_fma_f64 v[2:3], v[2:3], v[18:19], -v[20:21]
	s_delay_alu instid0(VALU_DEP_4) | instskip(NEXT) | instid1(VALU_DEP_4)
	v_add_f64 v[6:7], v[10:11], v[6:7]
	v_add_f64 v[8:9], v[12:13], v[8:9]
	s_delay_alu instid0(VALU_DEP_2) | instskip(NEXT) | instid1(VALU_DEP_2)
	v_add_f64 v[2:3], v[6:7], v[2:3]
	v_add_f64 v[4:5], v[8:9], v[4:5]
	s_waitcnt vmcnt(0)
	s_delay_alu instid0(VALU_DEP_2) | instskip(NEXT) | instid1(VALU_DEP_2)
	v_add_f64 v[2:3], v[22:23], -v[2:3]
	v_add_f64 v[4:5], v[24:25], -v[4:5]
	scratch_store_b128 off, v[2:5], off offset:544
	v_cmpx_lt_u32_e32 33, v142
	s_cbranch_execz .LBB49_247
; %bb.246:
	scratch_load_b128 v[5:8], v159, off
	v_mov_b32_e32 v2, v1
	v_mov_b32_e32 v3, v1
	;; [unrolled: 1-line block ×3, first 2 shown]
	scratch_store_b128 off, v[1:4], off offset:528
	s_waitcnt vmcnt(0)
	ds_store_b128 v192, v[5:8]
.LBB49_247:
	s_or_b32 exec_lo, exec_lo, s2
	s_waitcnt lgkmcnt(0)
	s_waitcnt_vscnt null, 0x0
	s_barrier
	buffer_gl0_inv
	s_clause 0x7
	scratch_load_b128 v[2:5], off, off offset:544
	scratch_load_b128 v[6:9], off, off offset:560
	;; [unrolled: 1-line block ×8, first 2 shown]
	ds_load_b128 v[34:37], v1 offset:1344
	ds_load_b128 v[193:196], v1 offset:1360
	s_clause 0x1
	scratch_load_b128 v[38:41], off, off offset:672
	scratch_load_b128 v[197:200], off, off offset:688
	s_mov_b32 s2, exec_lo
	s_waitcnt vmcnt(9) lgkmcnt(1)
	v_mul_f64 v[201:202], v[36:37], v[4:5]
	v_mul_f64 v[4:5], v[34:35], v[4:5]
	s_waitcnt vmcnt(8) lgkmcnt(0)
	v_mul_f64 v[203:204], v[193:194], v[8:9]
	v_mul_f64 v[8:9], v[195:196], v[8:9]
	s_delay_alu instid0(VALU_DEP_4) | instskip(NEXT) | instid1(VALU_DEP_4)
	v_fma_f64 v[201:202], v[34:35], v[2:3], -v[201:202]
	v_fma_f64 v[205:206], v[36:37], v[2:3], v[4:5]
	ds_load_b128 v[2:5], v1 offset:1376
	scratch_load_b128 v[34:37], off, off offset:704
	v_fma_f64 v[203:204], v[195:196], v[6:7], v[203:204]
	v_fma_f64 v[209:210], v[193:194], v[6:7], -v[8:9]
	ds_load_b128 v[6:9], v1 offset:1392
	scratch_load_b128 v[193:196], off, off offset:720
	s_waitcnt vmcnt(9) lgkmcnt(1)
	v_mul_f64 v[207:208], v[2:3], v[12:13]
	v_mul_f64 v[12:13], v[4:5], v[12:13]
	s_waitcnt vmcnt(8) lgkmcnt(0)
	v_mul_f64 v[211:212], v[6:7], v[16:17]
	v_mul_f64 v[16:17], v[8:9], v[16:17]
	v_add_f64 v[201:202], v[201:202], 0
	v_add_f64 v[205:206], v[205:206], 0
	v_fma_f64 v[207:208], v[4:5], v[10:11], v[207:208]
	v_fma_f64 v[213:214], v[2:3], v[10:11], -v[12:13]
	scratch_load_b128 v[10:13], off, off offset:736
	ds_load_b128 v[2:5], v1 offset:1408
	v_add_f64 v[201:202], v[201:202], v[209:210]
	v_add_f64 v[203:204], v[205:206], v[203:204]
	v_fma_f64 v[209:210], v[8:9], v[14:15], v[211:212]
	v_fma_f64 v[211:212], v[6:7], v[14:15], -v[16:17]
	ds_load_b128 v[6:9], v1 offset:1424
	scratch_load_b128 v[14:17], off, off offset:752
	s_waitcnt vmcnt(9) lgkmcnt(1)
	v_mul_f64 v[205:206], v[2:3], v[20:21]
	v_mul_f64 v[20:21], v[4:5], v[20:21]
	v_add_f64 v[201:202], v[201:202], v[213:214]
	v_add_f64 v[203:204], v[203:204], v[207:208]
	s_waitcnt vmcnt(8) lgkmcnt(0)
	v_mul_f64 v[207:208], v[6:7], v[24:25]
	v_mul_f64 v[24:25], v[8:9], v[24:25]
	v_fma_f64 v[205:206], v[4:5], v[18:19], v[205:206]
	v_fma_f64 v[213:214], v[2:3], v[18:19], -v[20:21]
	scratch_load_b128 v[18:21], off, off offset:768
	ds_load_b128 v[2:5], v1 offset:1440
	v_add_f64 v[201:202], v[201:202], v[211:212]
	v_add_f64 v[203:204], v[203:204], v[209:210]
	v_fma_f64 v[207:208], v[8:9], v[22:23], v[207:208]
	v_fma_f64 v[211:212], v[6:7], v[22:23], -v[24:25]
	ds_load_b128 v[6:9], v1 offset:1456
	s_waitcnt vmcnt(8) lgkmcnt(1)
	v_mul_f64 v[209:210], v[2:3], v[28:29]
	v_mul_f64 v[28:29], v[4:5], v[28:29]
	scratch_load_b128 v[22:25], off, off offset:784
	v_add_f64 v[201:202], v[201:202], v[213:214]
	v_add_f64 v[203:204], v[203:204], v[205:206]
	s_waitcnt vmcnt(8) lgkmcnt(0)
	v_mul_f64 v[205:206], v[6:7], v[32:33]
	v_mul_f64 v[32:33], v[8:9], v[32:33]
	v_fma_f64 v[209:210], v[4:5], v[26:27], v[209:210]
	v_fma_f64 v[26:27], v[2:3], v[26:27], -v[28:29]
	ds_load_b128 v[2:5], v1 offset:1472
	v_add_f64 v[28:29], v[201:202], v[211:212]
	v_add_f64 v[201:202], v[203:204], v[207:208]
	v_fma_f64 v[205:206], v[8:9], v[30:31], v[205:206]
	v_fma_f64 v[30:31], v[6:7], v[30:31], -v[32:33]
	ds_load_b128 v[6:9], v1 offset:1488
	s_waitcnt vmcnt(7) lgkmcnt(1)
	v_mul_f64 v[203:204], v[2:3], v[40:41]
	v_mul_f64 v[40:41], v[4:5], v[40:41]
	v_add_f64 v[26:27], v[28:29], v[26:27]
	v_add_f64 v[28:29], v[201:202], v[209:210]
	s_delay_alu instid0(VALU_DEP_4) | instskip(NEXT) | instid1(VALU_DEP_4)
	v_fma_f64 v[201:202], v[4:5], v[38:39], v[203:204]
	v_fma_f64 v[38:39], v[2:3], v[38:39], -v[40:41]
	ds_load_b128 v[2:5], v1 offset:1504
	v_add_f64 v[30:31], v[26:27], v[30:31]
	v_add_f64 v[40:41], v[28:29], v[205:206]
	scratch_load_b128 v[26:29], off, off offset:528
	s_waitcnt vmcnt(7) lgkmcnt(1)
	v_mul_f64 v[32:33], v[6:7], v[199:200]
	v_mul_f64 v[199:200], v[8:9], v[199:200]
	v_add_f64 v[30:31], v[30:31], v[38:39]
	v_add_f64 v[38:39], v[40:41], v[201:202]
	s_delay_alu instid0(VALU_DEP_4) | instskip(NEXT) | instid1(VALU_DEP_4)
	v_fma_f64 v[32:33], v[8:9], v[197:198], v[32:33]
	v_fma_f64 v[197:198], v[6:7], v[197:198], -v[199:200]
	ds_load_b128 v[6:9], v1 offset:1520
	s_waitcnt vmcnt(6) lgkmcnt(1)
	v_mul_f64 v[203:204], v[2:3], v[36:37]
	v_mul_f64 v[36:37], v[4:5], v[36:37]
	s_waitcnt vmcnt(5) lgkmcnt(0)
	v_mul_f64 v[40:41], v[6:7], v[195:196]
	v_mul_f64 v[195:196], v[8:9], v[195:196]
	v_add_f64 v[32:33], v[38:39], v[32:33]
	v_add_f64 v[30:31], v[30:31], v[197:198]
	v_fma_f64 v[199:200], v[4:5], v[34:35], v[203:204]
	v_fma_f64 v[34:35], v[2:3], v[34:35], -v[36:37]
	ds_load_b128 v[2:5], v1 offset:1536
	v_fma_f64 v[38:39], v[8:9], v[193:194], v[40:41]
	v_fma_f64 v[40:41], v[6:7], v[193:194], -v[195:196]
	ds_load_b128 v[6:9], v1 offset:1552
	s_waitcnt vmcnt(4) lgkmcnt(1)
	v_mul_f64 v[36:37], v[2:3], v[12:13]
	v_mul_f64 v[12:13], v[4:5], v[12:13]
	v_add_f64 v[32:33], v[32:33], v[199:200]
	v_add_f64 v[30:31], v[30:31], v[34:35]
	s_waitcnt vmcnt(3) lgkmcnt(0)
	v_mul_f64 v[34:35], v[6:7], v[16:17]
	v_mul_f64 v[16:17], v[8:9], v[16:17]
	v_fma_f64 v[36:37], v[4:5], v[10:11], v[36:37]
	v_fma_f64 v[10:11], v[2:3], v[10:11], -v[12:13]
	ds_load_b128 v[2:5], v1 offset:1568
	v_add_f64 v[12:13], v[30:31], v[40:41]
	v_add_f64 v[30:31], v[32:33], v[38:39]
	v_fma_f64 v[34:35], v[8:9], v[14:15], v[34:35]
	v_fma_f64 v[14:15], v[6:7], v[14:15], -v[16:17]
	ds_load_b128 v[6:9], v1 offset:1584
	s_waitcnt vmcnt(2) lgkmcnt(1)
	v_mul_f64 v[32:33], v[2:3], v[20:21]
	v_mul_f64 v[20:21], v[4:5], v[20:21]
	s_waitcnt vmcnt(1) lgkmcnt(0)
	v_mul_f64 v[16:17], v[6:7], v[24:25]
	v_mul_f64 v[24:25], v[8:9], v[24:25]
	v_add_f64 v[10:11], v[12:13], v[10:11]
	v_add_f64 v[12:13], v[30:31], v[36:37]
	v_fma_f64 v[4:5], v[4:5], v[18:19], v[32:33]
	v_fma_f64 v[1:2], v[2:3], v[18:19], -v[20:21]
	v_fma_f64 v[8:9], v[8:9], v[22:23], v[16:17]
	v_fma_f64 v[6:7], v[6:7], v[22:23], -v[24:25]
	v_add_f64 v[10:11], v[10:11], v[14:15]
	v_add_f64 v[12:13], v[12:13], v[34:35]
	s_delay_alu instid0(VALU_DEP_2) | instskip(NEXT) | instid1(VALU_DEP_2)
	v_add_f64 v[1:2], v[10:11], v[1:2]
	v_add_f64 v[3:4], v[12:13], v[4:5]
	s_delay_alu instid0(VALU_DEP_2) | instskip(NEXT) | instid1(VALU_DEP_2)
	v_add_f64 v[1:2], v[1:2], v[6:7]
	v_add_f64 v[3:4], v[3:4], v[8:9]
	s_waitcnt vmcnt(0)
	s_delay_alu instid0(VALU_DEP_2) | instskip(NEXT) | instid1(VALU_DEP_2)
	v_add_f64 v[1:2], v[26:27], -v[1:2]
	v_add_f64 v[3:4], v[28:29], -v[3:4]
	scratch_store_b128 off, v[1:4], off offset:528
	v_cmpx_lt_u32_e32 32, v142
	s_cbranch_execz .LBB49_249
; %bb.248:
	scratch_load_b128 v[1:4], v160, off
	v_mov_b32_e32 v5, 0
	s_delay_alu instid0(VALU_DEP_1)
	v_mov_b32_e32 v6, v5
	v_mov_b32_e32 v7, v5
	;; [unrolled: 1-line block ×3, first 2 shown]
	scratch_store_b128 off, v[5:8], off offset:512
	s_waitcnt vmcnt(0)
	ds_store_b128 v192, v[1:4]
.LBB49_249:
	s_or_b32 exec_lo, exec_lo, s2
	s_waitcnt lgkmcnt(0)
	s_waitcnt_vscnt null, 0x0
	s_barrier
	buffer_gl0_inv
	s_clause 0x7
	scratch_load_b128 v[2:5], off, off offset:528
	scratch_load_b128 v[6:9], off, off offset:544
	;; [unrolled: 1-line block ×8, first 2 shown]
	v_mov_b32_e32 v1, 0
	s_clause 0x1
	scratch_load_b128 v[38:41], off, off offset:656
	scratch_load_b128 v[197:200], off, off offset:672
	s_mov_b32 s2, exec_lo
	ds_load_b128 v[34:37], v1 offset:1328
	ds_load_b128 v[193:196], v1 offset:1344
	s_waitcnt vmcnt(9) lgkmcnt(1)
	v_mul_f64 v[201:202], v[36:37], v[4:5]
	v_mul_f64 v[4:5], v[34:35], v[4:5]
	s_waitcnt vmcnt(8) lgkmcnt(0)
	v_mul_f64 v[203:204], v[193:194], v[8:9]
	v_mul_f64 v[8:9], v[195:196], v[8:9]
	s_delay_alu instid0(VALU_DEP_4) | instskip(NEXT) | instid1(VALU_DEP_4)
	v_fma_f64 v[201:202], v[34:35], v[2:3], -v[201:202]
	v_fma_f64 v[205:206], v[36:37], v[2:3], v[4:5]
	ds_load_b128 v[2:5], v1 offset:1360
	scratch_load_b128 v[34:37], off, off offset:688
	v_fma_f64 v[203:204], v[195:196], v[6:7], v[203:204]
	v_fma_f64 v[209:210], v[193:194], v[6:7], -v[8:9]
	ds_load_b128 v[6:9], v1 offset:1376
	scratch_load_b128 v[193:196], off, off offset:704
	s_waitcnt vmcnt(9) lgkmcnt(1)
	v_mul_f64 v[207:208], v[2:3], v[12:13]
	v_mul_f64 v[12:13], v[4:5], v[12:13]
	s_waitcnt vmcnt(8) lgkmcnt(0)
	v_mul_f64 v[211:212], v[6:7], v[16:17]
	v_mul_f64 v[16:17], v[8:9], v[16:17]
	v_add_f64 v[201:202], v[201:202], 0
	v_add_f64 v[205:206], v[205:206], 0
	v_fma_f64 v[207:208], v[4:5], v[10:11], v[207:208]
	v_fma_f64 v[213:214], v[2:3], v[10:11], -v[12:13]
	scratch_load_b128 v[10:13], off, off offset:720
	ds_load_b128 v[2:5], v1 offset:1392
	v_add_f64 v[201:202], v[201:202], v[209:210]
	v_add_f64 v[203:204], v[205:206], v[203:204]
	v_fma_f64 v[209:210], v[8:9], v[14:15], v[211:212]
	v_fma_f64 v[211:212], v[6:7], v[14:15], -v[16:17]
	ds_load_b128 v[6:9], v1 offset:1408
	scratch_load_b128 v[14:17], off, off offset:736
	s_waitcnt vmcnt(9) lgkmcnt(1)
	v_mul_f64 v[205:206], v[2:3], v[20:21]
	v_mul_f64 v[20:21], v[4:5], v[20:21]
	v_add_f64 v[201:202], v[201:202], v[213:214]
	v_add_f64 v[203:204], v[203:204], v[207:208]
	s_waitcnt vmcnt(8) lgkmcnt(0)
	v_mul_f64 v[207:208], v[6:7], v[24:25]
	v_mul_f64 v[24:25], v[8:9], v[24:25]
	v_fma_f64 v[205:206], v[4:5], v[18:19], v[205:206]
	v_fma_f64 v[213:214], v[2:3], v[18:19], -v[20:21]
	scratch_load_b128 v[18:21], off, off offset:752
	ds_load_b128 v[2:5], v1 offset:1424
	v_add_f64 v[201:202], v[201:202], v[211:212]
	v_add_f64 v[203:204], v[203:204], v[209:210]
	v_fma_f64 v[207:208], v[8:9], v[22:23], v[207:208]
	v_fma_f64 v[211:212], v[6:7], v[22:23], -v[24:25]
	ds_load_b128 v[6:9], v1 offset:1440
	s_waitcnt vmcnt(8) lgkmcnt(1)
	v_mul_f64 v[209:210], v[2:3], v[28:29]
	v_mul_f64 v[28:29], v[4:5], v[28:29]
	scratch_load_b128 v[22:25], off, off offset:768
	v_add_f64 v[201:202], v[201:202], v[213:214]
	v_add_f64 v[203:204], v[203:204], v[205:206]
	s_waitcnt vmcnt(8) lgkmcnt(0)
	v_mul_f64 v[205:206], v[6:7], v[32:33]
	v_mul_f64 v[32:33], v[8:9], v[32:33]
	v_fma_f64 v[209:210], v[4:5], v[26:27], v[209:210]
	v_fma_f64 v[213:214], v[2:3], v[26:27], -v[28:29]
	scratch_load_b128 v[26:29], off, off offset:784
	ds_load_b128 v[2:5], v1 offset:1456
	v_add_f64 v[201:202], v[201:202], v[211:212]
	v_add_f64 v[203:204], v[203:204], v[207:208]
	v_fma_f64 v[205:206], v[8:9], v[30:31], v[205:206]
	v_fma_f64 v[30:31], v[6:7], v[30:31], -v[32:33]
	ds_load_b128 v[6:9], v1 offset:1472
	s_waitcnt vmcnt(8) lgkmcnt(1)
	v_mul_f64 v[207:208], v[2:3], v[40:41]
	v_mul_f64 v[40:41], v[4:5], v[40:41]
	v_add_f64 v[32:33], v[201:202], v[213:214]
	v_add_f64 v[201:202], v[203:204], v[209:210]
	s_waitcnt vmcnt(7) lgkmcnt(0)
	v_mul_f64 v[203:204], v[6:7], v[199:200]
	v_mul_f64 v[199:200], v[8:9], v[199:200]
	v_fma_f64 v[207:208], v[4:5], v[38:39], v[207:208]
	v_fma_f64 v[38:39], v[2:3], v[38:39], -v[40:41]
	ds_load_b128 v[2:5], v1 offset:1488
	v_add_f64 v[30:31], v[32:33], v[30:31]
	v_add_f64 v[32:33], v[201:202], v[205:206]
	v_fma_f64 v[201:202], v[8:9], v[197:198], v[203:204]
	v_fma_f64 v[197:198], v[6:7], v[197:198], -v[199:200]
	ds_load_b128 v[6:9], v1 offset:1504
	s_waitcnt vmcnt(5) lgkmcnt(0)
	v_mul_f64 v[203:204], v[6:7], v[195:196]
	v_mul_f64 v[195:196], v[8:9], v[195:196]
	v_add_f64 v[38:39], v[30:31], v[38:39]
	v_add_f64 v[199:200], v[32:33], v[207:208]
	scratch_load_b128 v[30:33], off, off offset:512
	v_mul_f64 v[40:41], v[2:3], v[36:37]
	v_mul_f64 v[36:37], v[4:5], v[36:37]
	s_delay_alu instid0(VALU_DEP_2) | instskip(NEXT) | instid1(VALU_DEP_2)
	v_fma_f64 v[40:41], v[4:5], v[34:35], v[40:41]
	v_fma_f64 v[34:35], v[2:3], v[34:35], -v[36:37]
	v_add_f64 v[36:37], v[38:39], v[197:198]
	v_add_f64 v[38:39], v[199:200], v[201:202]
	ds_load_b128 v[2:5], v1 offset:1520
	v_fma_f64 v[199:200], v[8:9], v[193:194], v[203:204]
	v_fma_f64 v[193:194], v[6:7], v[193:194], -v[195:196]
	ds_load_b128 v[6:9], v1 offset:1536
	s_waitcnt vmcnt(5) lgkmcnt(1)
	v_mul_f64 v[197:198], v[2:3], v[12:13]
	v_mul_f64 v[12:13], v[4:5], v[12:13]
	v_add_f64 v[34:35], v[36:37], v[34:35]
	v_add_f64 v[36:37], v[38:39], v[40:41]
	s_waitcnt vmcnt(4) lgkmcnt(0)
	v_mul_f64 v[38:39], v[6:7], v[16:17]
	v_mul_f64 v[16:17], v[8:9], v[16:17]
	v_fma_f64 v[40:41], v[4:5], v[10:11], v[197:198]
	v_fma_f64 v[10:11], v[2:3], v[10:11], -v[12:13]
	ds_load_b128 v[2:5], v1 offset:1552
	v_add_f64 v[12:13], v[34:35], v[193:194]
	v_add_f64 v[34:35], v[36:37], v[199:200]
	v_fma_f64 v[38:39], v[8:9], v[14:15], v[38:39]
	v_fma_f64 v[14:15], v[6:7], v[14:15], -v[16:17]
	ds_load_b128 v[6:9], v1 offset:1568
	s_waitcnt vmcnt(3) lgkmcnt(1)
	v_mul_f64 v[36:37], v[2:3], v[20:21]
	v_mul_f64 v[20:21], v[4:5], v[20:21]
	s_waitcnt vmcnt(2) lgkmcnt(0)
	v_mul_f64 v[16:17], v[6:7], v[24:25]
	v_mul_f64 v[24:25], v[8:9], v[24:25]
	v_add_f64 v[10:11], v[12:13], v[10:11]
	v_add_f64 v[12:13], v[34:35], v[40:41]
	v_fma_f64 v[34:35], v[4:5], v[18:19], v[36:37]
	v_fma_f64 v[18:19], v[2:3], v[18:19], -v[20:21]
	ds_load_b128 v[2:5], v1 offset:1584
	v_fma_f64 v[8:9], v[8:9], v[22:23], v[16:17]
	v_fma_f64 v[6:7], v[6:7], v[22:23], -v[24:25]
	s_waitcnt vmcnt(1) lgkmcnt(0)
	v_mul_f64 v[20:21], v[4:5], v[28:29]
	v_add_f64 v[10:11], v[10:11], v[14:15]
	v_add_f64 v[12:13], v[12:13], v[38:39]
	v_mul_f64 v[14:15], v[2:3], v[28:29]
	s_delay_alu instid0(VALU_DEP_4) | instskip(NEXT) | instid1(VALU_DEP_4)
	v_fma_f64 v[2:3], v[2:3], v[26:27], -v[20:21]
	v_add_f64 v[10:11], v[10:11], v[18:19]
	s_delay_alu instid0(VALU_DEP_4) | instskip(NEXT) | instid1(VALU_DEP_4)
	v_add_f64 v[12:13], v[12:13], v[34:35]
	v_fma_f64 v[4:5], v[4:5], v[26:27], v[14:15]
	s_delay_alu instid0(VALU_DEP_3) | instskip(NEXT) | instid1(VALU_DEP_3)
	v_add_f64 v[6:7], v[10:11], v[6:7]
	v_add_f64 v[8:9], v[12:13], v[8:9]
	s_delay_alu instid0(VALU_DEP_2) | instskip(NEXT) | instid1(VALU_DEP_2)
	v_add_f64 v[2:3], v[6:7], v[2:3]
	v_add_f64 v[4:5], v[8:9], v[4:5]
	s_waitcnt vmcnt(0)
	s_delay_alu instid0(VALU_DEP_2) | instskip(NEXT) | instid1(VALU_DEP_2)
	v_add_f64 v[2:3], v[30:31], -v[2:3]
	v_add_f64 v[4:5], v[32:33], -v[4:5]
	scratch_store_b128 off, v[2:5], off offset:512
	v_cmpx_lt_u32_e32 31, v142
	s_cbranch_execz .LBB49_251
; %bb.250:
	scratch_load_b128 v[5:8], v162, off
	v_mov_b32_e32 v2, v1
	v_mov_b32_e32 v3, v1
	;; [unrolled: 1-line block ×3, first 2 shown]
	scratch_store_b128 off, v[1:4], off offset:496
	s_waitcnt vmcnt(0)
	ds_store_b128 v192, v[5:8]
.LBB49_251:
	s_or_b32 exec_lo, exec_lo, s2
	s_waitcnt lgkmcnt(0)
	s_waitcnt_vscnt null, 0x0
	s_barrier
	buffer_gl0_inv
	s_clause 0x7
	scratch_load_b128 v[2:5], off, off offset:512
	scratch_load_b128 v[6:9], off, off offset:528
	;; [unrolled: 1-line block ×8, first 2 shown]
	ds_load_b128 v[34:37], v1 offset:1312
	ds_load_b128 v[193:196], v1 offset:1328
	s_clause 0x1
	scratch_load_b128 v[38:41], off, off offset:640
	scratch_load_b128 v[197:200], off, off offset:656
	s_mov_b32 s2, exec_lo
	s_waitcnt vmcnt(9) lgkmcnt(1)
	v_mul_f64 v[201:202], v[36:37], v[4:5]
	v_mul_f64 v[4:5], v[34:35], v[4:5]
	s_waitcnt vmcnt(8) lgkmcnt(0)
	v_mul_f64 v[203:204], v[193:194], v[8:9]
	v_mul_f64 v[8:9], v[195:196], v[8:9]
	s_delay_alu instid0(VALU_DEP_4) | instskip(NEXT) | instid1(VALU_DEP_4)
	v_fma_f64 v[201:202], v[34:35], v[2:3], -v[201:202]
	v_fma_f64 v[205:206], v[36:37], v[2:3], v[4:5]
	scratch_load_b128 v[34:37], off, off offset:672
	ds_load_b128 v[2:5], v1 offset:1344
	v_fma_f64 v[203:204], v[195:196], v[6:7], v[203:204]
	v_fma_f64 v[209:210], v[193:194], v[6:7], -v[8:9]
	ds_load_b128 v[6:9], v1 offset:1360
	scratch_load_b128 v[193:196], off, off offset:688
	s_waitcnt vmcnt(9) lgkmcnt(1)
	v_mul_f64 v[207:208], v[2:3], v[12:13]
	v_mul_f64 v[12:13], v[4:5], v[12:13]
	s_waitcnt vmcnt(8) lgkmcnt(0)
	v_mul_f64 v[211:212], v[6:7], v[16:17]
	v_mul_f64 v[16:17], v[8:9], v[16:17]
	v_add_f64 v[201:202], v[201:202], 0
	v_add_f64 v[205:206], v[205:206], 0
	v_fma_f64 v[207:208], v[4:5], v[10:11], v[207:208]
	v_fma_f64 v[213:214], v[2:3], v[10:11], -v[12:13]
	scratch_load_b128 v[10:13], off, off offset:704
	ds_load_b128 v[2:5], v1 offset:1376
	v_add_f64 v[201:202], v[201:202], v[209:210]
	v_add_f64 v[203:204], v[205:206], v[203:204]
	v_fma_f64 v[209:210], v[8:9], v[14:15], v[211:212]
	v_fma_f64 v[211:212], v[6:7], v[14:15], -v[16:17]
	ds_load_b128 v[6:9], v1 offset:1392
	scratch_load_b128 v[14:17], off, off offset:720
	s_waitcnt vmcnt(9) lgkmcnt(1)
	v_mul_f64 v[205:206], v[2:3], v[20:21]
	v_mul_f64 v[20:21], v[4:5], v[20:21]
	v_add_f64 v[201:202], v[201:202], v[213:214]
	v_add_f64 v[203:204], v[203:204], v[207:208]
	s_waitcnt vmcnt(8) lgkmcnt(0)
	v_mul_f64 v[207:208], v[6:7], v[24:25]
	v_mul_f64 v[24:25], v[8:9], v[24:25]
	v_fma_f64 v[205:206], v[4:5], v[18:19], v[205:206]
	v_fma_f64 v[213:214], v[2:3], v[18:19], -v[20:21]
	scratch_load_b128 v[18:21], off, off offset:736
	ds_load_b128 v[2:5], v1 offset:1408
	v_add_f64 v[201:202], v[201:202], v[211:212]
	v_add_f64 v[203:204], v[203:204], v[209:210]
	v_fma_f64 v[207:208], v[8:9], v[22:23], v[207:208]
	v_fma_f64 v[211:212], v[6:7], v[22:23], -v[24:25]
	ds_load_b128 v[6:9], v1 offset:1424
	s_waitcnt vmcnt(8) lgkmcnt(1)
	v_mul_f64 v[209:210], v[2:3], v[28:29]
	v_mul_f64 v[28:29], v[4:5], v[28:29]
	scratch_load_b128 v[22:25], off, off offset:752
	v_add_f64 v[201:202], v[201:202], v[213:214]
	v_add_f64 v[203:204], v[203:204], v[205:206]
	s_waitcnt vmcnt(8) lgkmcnt(0)
	v_mul_f64 v[205:206], v[6:7], v[32:33]
	v_mul_f64 v[32:33], v[8:9], v[32:33]
	v_fma_f64 v[209:210], v[4:5], v[26:27], v[209:210]
	v_fma_f64 v[213:214], v[2:3], v[26:27], -v[28:29]
	scratch_load_b128 v[26:29], off, off offset:768
	ds_load_b128 v[2:5], v1 offset:1440
	v_add_f64 v[201:202], v[201:202], v[211:212]
	v_add_f64 v[203:204], v[203:204], v[207:208]
	v_fma_f64 v[205:206], v[8:9], v[30:31], v[205:206]
	v_fma_f64 v[211:212], v[6:7], v[30:31], -v[32:33]
	ds_load_b128 v[6:9], v1 offset:1456
	s_waitcnt vmcnt(8) lgkmcnt(1)
	v_mul_f64 v[207:208], v[2:3], v[40:41]
	v_mul_f64 v[40:41], v[4:5], v[40:41]
	scratch_load_b128 v[30:33], off, off offset:784
	v_add_f64 v[201:202], v[201:202], v[213:214]
	v_add_f64 v[203:204], v[203:204], v[209:210]
	v_fma_f64 v[207:208], v[4:5], v[38:39], v[207:208]
	v_fma_f64 v[38:39], v[2:3], v[38:39], -v[40:41]
	ds_load_b128 v[2:5], v1 offset:1472
	v_add_f64 v[40:41], v[201:202], v[211:212]
	v_add_f64 v[201:202], v[203:204], v[205:206]
	s_waitcnt vmcnt(7) lgkmcnt(0)
	v_mul_f64 v[203:204], v[2:3], v[36:37]
	v_mul_f64 v[36:37], v[4:5], v[36:37]
	s_delay_alu instid0(VALU_DEP_4) | instskip(NEXT) | instid1(VALU_DEP_4)
	v_add_f64 v[38:39], v[40:41], v[38:39]
	v_add_f64 v[40:41], v[201:202], v[207:208]
	s_delay_alu instid0(VALU_DEP_4) | instskip(NEXT) | instid1(VALU_DEP_4)
	v_fma_f64 v[201:202], v[4:5], v[34:35], v[203:204]
	v_fma_f64 v[203:204], v[2:3], v[34:35], -v[36:37]
	scratch_load_b128 v[34:37], off, off offset:496
	v_mul_f64 v[209:210], v[6:7], v[199:200]
	v_mul_f64 v[199:200], v[8:9], v[199:200]
	ds_load_b128 v[2:5], v1 offset:1504
	v_fma_f64 v[205:206], v[8:9], v[197:198], v[209:210]
	v_fma_f64 v[197:198], v[6:7], v[197:198], -v[199:200]
	ds_load_b128 v[6:9], v1 offset:1488
	s_waitcnt vmcnt(7) lgkmcnt(0)
	v_mul_f64 v[199:200], v[6:7], v[195:196]
	v_mul_f64 v[195:196], v[8:9], v[195:196]
	v_add_f64 v[40:41], v[40:41], v[205:206]
	v_add_f64 v[38:39], v[38:39], v[197:198]
	s_waitcnt vmcnt(6)
	v_mul_f64 v[197:198], v[2:3], v[12:13]
	v_mul_f64 v[12:13], v[4:5], v[12:13]
	v_fma_f64 v[199:200], v[8:9], v[193:194], v[199:200]
	v_fma_f64 v[193:194], v[6:7], v[193:194], -v[195:196]
	ds_load_b128 v[6:9], v1 offset:1520
	v_add_f64 v[40:41], v[40:41], v[201:202]
	v_add_f64 v[38:39], v[38:39], v[203:204]
	v_fma_f64 v[197:198], v[4:5], v[10:11], v[197:198]
	v_fma_f64 v[10:11], v[2:3], v[10:11], -v[12:13]
	ds_load_b128 v[2:5], v1 offset:1536
	s_waitcnt vmcnt(5) lgkmcnt(1)
	v_mul_f64 v[195:196], v[6:7], v[16:17]
	v_mul_f64 v[16:17], v[8:9], v[16:17]
	v_add_f64 v[12:13], v[38:39], v[193:194]
	v_add_f64 v[38:39], v[40:41], v[199:200]
	s_waitcnt vmcnt(4) lgkmcnt(0)
	v_mul_f64 v[40:41], v[2:3], v[20:21]
	v_mul_f64 v[20:21], v[4:5], v[20:21]
	v_fma_f64 v[193:194], v[8:9], v[14:15], v[195:196]
	v_fma_f64 v[14:15], v[6:7], v[14:15], -v[16:17]
	ds_load_b128 v[6:9], v1 offset:1552
	v_add_f64 v[10:11], v[12:13], v[10:11]
	v_add_f64 v[12:13], v[38:39], v[197:198]
	v_fma_f64 v[38:39], v[4:5], v[18:19], v[40:41]
	v_fma_f64 v[18:19], v[2:3], v[18:19], -v[20:21]
	ds_load_b128 v[2:5], v1 offset:1568
	s_waitcnt vmcnt(3) lgkmcnt(1)
	v_mul_f64 v[16:17], v[6:7], v[24:25]
	v_mul_f64 v[24:25], v[8:9], v[24:25]
	s_waitcnt vmcnt(2) lgkmcnt(0)
	v_mul_f64 v[20:21], v[4:5], v[28:29]
	v_add_f64 v[10:11], v[10:11], v[14:15]
	v_add_f64 v[12:13], v[12:13], v[193:194]
	v_mul_f64 v[14:15], v[2:3], v[28:29]
	v_fma_f64 v[16:17], v[8:9], v[22:23], v[16:17]
	v_fma_f64 v[22:23], v[6:7], v[22:23], -v[24:25]
	ds_load_b128 v[6:9], v1 offset:1584
	v_fma_f64 v[1:2], v[2:3], v[26:27], -v[20:21]
	s_waitcnt vmcnt(1) lgkmcnt(0)
	v_mul_f64 v[24:25], v[8:9], v[32:33]
	v_add_f64 v[10:11], v[10:11], v[18:19]
	v_add_f64 v[12:13], v[12:13], v[38:39]
	v_mul_f64 v[18:19], v[6:7], v[32:33]
	v_fma_f64 v[4:5], v[4:5], v[26:27], v[14:15]
	v_fma_f64 v[6:7], v[6:7], v[30:31], -v[24:25]
	v_add_f64 v[10:11], v[10:11], v[22:23]
	v_add_f64 v[12:13], v[12:13], v[16:17]
	v_fma_f64 v[8:9], v[8:9], v[30:31], v[18:19]
	s_delay_alu instid0(VALU_DEP_3) | instskip(NEXT) | instid1(VALU_DEP_3)
	v_add_f64 v[1:2], v[10:11], v[1:2]
	v_add_f64 v[3:4], v[12:13], v[4:5]
	s_delay_alu instid0(VALU_DEP_2) | instskip(NEXT) | instid1(VALU_DEP_2)
	v_add_f64 v[1:2], v[1:2], v[6:7]
	v_add_f64 v[3:4], v[3:4], v[8:9]
	s_waitcnt vmcnt(0)
	s_delay_alu instid0(VALU_DEP_2) | instskip(NEXT) | instid1(VALU_DEP_2)
	v_add_f64 v[1:2], v[34:35], -v[1:2]
	v_add_f64 v[3:4], v[36:37], -v[3:4]
	scratch_store_b128 off, v[1:4], off offset:496
	v_cmpx_lt_u32_e32 30, v142
	s_cbranch_execz .LBB49_253
; %bb.252:
	scratch_load_b128 v[1:4], v161, off
	v_mov_b32_e32 v5, 0
	s_delay_alu instid0(VALU_DEP_1)
	v_mov_b32_e32 v6, v5
	v_mov_b32_e32 v7, v5
	;; [unrolled: 1-line block ×3, first 2 shown]
	scratch_store_b128 off, v[5:8], off offset:480
	s_waitcnt vmcnt(0)
	ds_store_b128 v192, v[1:4]
.LBB49_253:
	s_or_b32 exec_lo, exec_lo, s2
	s_waitcnt lgkmcnt(0)
	s_waitcnt_vscnt null, 0x0
	s_barrier
	buffer_gl0_inv
	s_clause 0x7
	scratch_load_b128 v[2:5], off, off offset:496
	scratch_load_b128 v[6:9], off, off offset:512
	;; [unrolled: 1-line block ×8, first 2 shown]
	v_mov_b32_e32 v1, 0
	s_clause 0x1
	scratch_load_b128 v[38:41], off, off offset:624
	scratch_load_b128 v[197:200], off, off offset:640
	s_mov_b32 s2, exec_lo
	ds_load_b128 v[34:37], v1 offset:1296
	ds_load_b128 v[193:196], v1 offset:1312
	s_waitcnt vmcnt(9) lgkmcnt(1)
	v_mul_f64 v[201:202], v[36:37], v[4:5]
	v_mul_f64 v[4:5], v[34:35], v[4:5]
	s_waitcnt vmcnt(8) lgkmcnt(0)
	v_mul_f64 v[203:204], v[193:194], v[8:9]
	v_mul_f64 v[8:9], v[195:196], v[8:9]
	s_delay_alu instid0(VALU_DEP_4) | instskip(NEXT) | instid1(VALU_DEP_4)
	v_fma_f64 v[201:202], v[34:35], v[2:3], -v[201:202]
	v_fma_f64 v[205:206], v[36:37], v[2:3], v[4:5]
	ds_load_b128 v[2:5], v1 offset:1328
	scratch_load_b128 v[34:37], off, off offset:656
	v_fma_f64 v[203:204], v[195:196], v[6:7], v[203:204]
	v_fma_f64 v[209:210], v[193:194], v[6:7], -v[8:9]
	scratch_load_b128 v[193:196], off, off offset:672
	ds_load_b128 v[6:9], v1 offset:1344
	s_waitcnt vmcnt(9) lgkmcnt(1)
	v_mul_f64 v[207:208], v[2:3], v[12:13]
	v_mul_f64 v[12:13], v[4:5], v[12:13]
	s_waitcnt vmcnt(8) lgkmcnt(0)
	v_mul_f64 v[211:212], v[6:7], v[16:17]
	v_mul_f64 v[16:17], v[8:9], v[16:17]
	v_add_f64 v[201:202], v[201:202], 0
	v_add_f64 v[205:206], v[205:206], 0
	v_fma_f64 v[207:208], v[4:5], v[10:11], v[207:208]
	v_fma_f64 v[213:214], v[2:3], v[10:11], -v[12:13]
	ds_load_b128 v[2:5], v1 offset:1360
	scratch_load_b128 v[10:13], off, off offset:688
	v_add_f64 v[201:202], v[201:202], v[209:210]
	v_add_f64 v[203:204], v[205:206], v[203:204]
	v_fma_f64 v[209:210], v[8:9], v[14:15], v[211:212]
	v_fma_f64 v[211:212], v[6:7], v[14:15], -v[16:17]
	ds_load_b128 v[6:9], v1 offset:1376
	scratch_load_b128 v[14:17], off, off offset:704
	s_waitcnt vmcnt(9) lgkmcnt(1)
	v_mul_f64 v[205:206], v[2:3], v[20:21]
	v_mul_f64 v[20:21], v[4:5], v[20:21]
	v_add_f64 v[201:202], v[201:202], v[213:214]
	v_add_f64 v[203:204], v[203:204], v[207:208]
	s_waitcnt vmcnt(8) lgkmcnt(0)
	v_mul_f64 v[207:208], v[6:7], v[24:25]
	v_mul_f64 v[24:25], v[8:9], v[24:25]
	v_fma_f64 v[205:206], v[4:5], v[18:19], v[205:206]
	v_fma_f64 v[213:214], v[2:3], v[18:19], -v[20:21]
	scratch_load_b128 v[18:21], off, off offset:720
	ds_load_b128 v[2:5], v1 offset:1392
	v_add_f64 v[201:202], v[201:202], v[211:212]
	v_add_f64 v[203:204], v[203:204], v[209:210]
	v_fma_f64 v[207:208], v[8:9], v[22:23], v[207:208]
	v_fma_f64 v[211:212], v[6:7], v[22:23], -v[24:25]
	ds_load_b128 v[6:9], v1 offset:1408
	s_waitcnt vmcnt(8) lgkmcnt(1)
	v_mul_f64 v[209:210], v[2:3], v[28:29]
	v_mul_f64 v[28:29], v[4:5], v[28:29]
	scratch_load_b128 v[22:25], off, off offset:736
	v_add_f64 v[201:202], v[201:202], v[213:214]
	v_add_f64 v[203:204], v[203:204], v[205:206]
	s_waitcnt vmcnt(8) lgkmcnt(0)
	v_mul_f64 v[205:206], v[6:7], v[32:33]
	v_mul_f64 v[32:33], v[8:9], v[32:33]
	v_fma_f64 v[209:210], v[4:5], v[26:27], v[209:210]
	v_fma_f64 v[213:214], v[2:3], v[26:27], -v[28:29]
	scratch_load_b128 v[26:29], off, off offset:752
	ds_load_b128 v[2:5], v1 offset:1424
	v_add_f64 v[201:202], v[201:202], v[211:212]
	v_add_f64 v[203:204], v[203:204], v[207:208]
	v_fma_f64 v[205:206], v[8:9], v[30:31], v[205:206]
	v_fma_f64 v[211:212], v[6:7], v[30:31], -v[32:33]
	ds_load_b128 v[6:9], v1 offset:1440
	s_waitcnt vmcnt(8) lgkmcnt(1)
	v_mul_f64 v[207:208], v[2:3], v[40:41]
	v_mul_f64 v[40:41], v[4:5], v[40:41]
	scratch_load_b128 v[30:33], off, off offset:768
	v_add_f64 v[201:202], v[201:202], v[213:214]
	v_add_f64 v[203:204], v[203:204], v[209:210]
	s_waitcnt vmcnt(8) lgkmcnt(0)
	v_mul_f64 v[209:210], v[6:7], v[199:200]
	v_mul_f64 v[199:200], v[8:9], v[199:200]
	v_fma_f64 v[207:208], v[4:5], v[38:39], v[207:208]
	v_fma_f64 v[213:214], v[2:3], v[38:39], -v[40:41]
	scratch_load_b128 v[38:41], off, off offset:784
	ds_load_b128 v[2:5], v1 offset:1456
	v_add_f64 v[201:202], v[201:202], v[211:212]
	v_add_f64 v[203:204], v[203:204], v[205:206]
	v_fma_f64 v[209:210], v[8:9], v[197:198], v[209:210]
	v_fma_f64 v[197:198], v[6:7], v[197:198], -v[199:200]
	ds_load_b128 v[6:9], v1 offset:1472
	s_waitcnt vmcnt(8) lgkmcnt(1)
	v_mul_f64 v[205:206], v[2:3], v[36:37]
	v_mul_f64 v[36:37], v[4:5], v[36:37]
	v_add_f64 v[199:200], v[201:202], v[213:214]
	v_add_f64 v[201:202], v[203:204], v[207:208]
	s_waitcnt vmcnt(7) lgkmcnt(0)
	v_mul_f64 v[203:204], v[6:7], v[195:196]
	v_mul_f64 v[195:196], v[8:9], v[195:196]
	v_fma_f64 v[205:206], v[4:5], v[34:35], v[205:206]
	v_fma_f64 v[34:35], v[2:3], v[34:35], -v[36:37]
	ds_load_b128 v[2:5], v1 offset:1488
	v_add_f64 v[36:37], v[199:200], v[197:198]
	v_add_f64 v[197:198], v[201:202], v[209:210]
	v_fma_f64 v[201:202], v[8:9], v[193:194], v[203:204]
	v_fma_f64 v[193:194], v[6:7], v[193:194], -v[195:196]
	ds_load_b128 v[6:9], v1 offset:1504
	s_waitcnt vmcnt(5) lgkmcnt(0)
	v_mul_f64 v[203:204], v[6:7], v[16:17]
	v_mul_f64 v[16:17], v[8:9], v[16:17]
	v_add_f64 v[195:196], v[36:37], v[34:35]
	v_add_f64 v[197:198], v[197:198], v[205:206]
	scratch_load_b128 v[34:37], off, off offset:480
	v_mul_f64 v[199:200], v[2:3], v[12:13]
	v_mul_f64 v[12:13], v[4:5], v[12:13]
	s_delay_alu instid0(VALU_DEP_2) | instskip(NEXT) | instid1(VALU_DEP_2)
	v_fma_f64 v[199:200], v[4:5], v[10:11], v[199:200]
	v_fma_f64 v[10:11], v[2:3], v[10:11], -v[12:13]
	v_add_f64 v[12:13], v[195:196], v[193:194]
	v_add_f64 v[193:194], v[197:198], v[201:202]
	ds_load_b128 v[2:5], v1 offset:1520
	v_fma_f64 v[197:198], v[8:9], v[14:15], v[203:204]
	v_fma_f64 v[14:15], v[6:7], v[14:15], -v[16:17]
	ds_load_b128 v[6:9], v1 offset:1536
	s_waitcnt vmcnt(5) lgkmcnt(1)
	v_mul_f64 v[195:196], v[2:3], v[20:21]
	v_mul_f64 v[20:21], v[4:5], v[20:21]
	s_waitcnt vmcnt(4) lgkmcnt(0)
	v_mul_f64 v[16:17], v[6:7], v[24:25]
	v_mul_f64 v[24:25], v[8:9], v[24:25]
	v_add_f64 v[10:11], v[12:13], v[10:11]
	v_add_f64 v[12:13], v[193:194], v[199:200]
	v_fma_f64 v[193:194], v[4:5], v[18:19], v[195:196]
	v_fma_f64 v[18:19], v[2:3], v[18:19], -v[20:21]
	ds_load_b128 v[2:5], v1 offset:1552
	v_fma_f64 v[16:17], v[8:9], v[22:23], v[16:17]
	v_fma_f64 v[22:23], v[6:7], v[22:23], -v[24:25]
	ds_load_b128 v[6:9], v1 offset:1568
	v_add_f64 v[10:11], v[10:11], v[14:15]
	v_add_f64 v[12:13], v[12:13], v[197:198]
	s_waitcnt vmcnt(3) lgkmcnt(1)
	v_mul_f64 v[14:15], v[2:3], v[28:29]
	v_mul_f64 v[20:21], v[4:5], v[28:29]
	s_waitcnt vmcnt(2) lgkmcnt(0)
	v_mul_f64 v[24:25], v[8:9], v[32:33]
	v_add_f64 v[10:11], v[10:11], v[18:19]
	v_add_f64 v[12:13], v[12:13], v[193:194]
	v_mul_f64 v[18:19], v[6:7], v[32:33]
	v_fma_f64 v[14:15], v[4:5], v[26:27], v[14:15]
	v_fma_f64 v[20:21], v[2:3], v[26:27], -v[20:21]
	ds_load_b128 v[2:5], v1 offset:1584
	v_fma_f64 v[6:7], v[6:7], v[30:31], -v[24:25]
	v_add_f64 v[10:11], v[10:11], v[22:23]
	v_add_f64 v[12:13], v[12:13], v[16:17]
	s_waitcnt vmcnt(1) lgkmcnt(0)
	v_mul_f64 v[16:17], v[2:3], v[40:41]
	v_mul_f64 v[22:23], v[4:5], v[40:41]
	v_fma_f64 v[8:9], v[8:9], v[30:31], v[18:19]
	v_add_f64 v[10:11], v[10:11], v[20:21]
	v_add_f64 v[12:13], v[12:13], v[14:15]
	v_fma_f64 v[4:5], v[4:5], v[38:39], v[16:17]
	v_fma_f64 v[2:3], v[2:3], v[38:39], -v[22:23]
	s_delay_alu instid0(VALU_DEP_4) | instskip(NEXT) | instid1(VALU_DEP_4)
	v_add_f64 v[6:7], v[10:11], v[6:7]
	v_add_f64 v[8:9], v[12:13], v[8:9]
	s_delay_alu instid0(VALU_DEP_2) | instskip(NEXT) | instid1(VALU_DEP_2)
	v_add_f64 v[2:3], v[6:7], v[2:3]
	v_add_f64 v[4:5], v[8:9], v[4:5]
	s_waitcnt vmcnt(0)
	s_delay_alu instid0(VALU_DEP_2) | instskip(NEXT) | instid1(VALU_DEP_2)
	v_add_f64 v[2:3], v[34:35], -v[2:3]
	v_add_f64 v[4:5], v[36:37], -v[4:5]
	scratch_store_b128 off, v[2:5], off offset:480
	v_cmpx_lt_u32_e32 29, v142
	s_cbranch_execz .LBB49_255
; %bb.254:
	scratch_load_b128 v[5:8], v163, off
	v_mov_b32_e32 v2, v1
	v_mov_b32_e32 v3, v1
	;; [unrolled: 1-line block ×3, first 2 shown]
	scratch_store_b128 off, v[1:4], off offset:464
	s_waitcnt vmcnt(0)
	ds_store_b128 v192, v[5:8]
.LBB49_255:
	s_or_b32 exec_lo, exec_lo, s2
	s_waitcnt lgkmcnt(0)
	s_waitcnt_vscnt null, 0x0
	s_barrier
	buffer_gl0_inv
	s_clause 0x7
	scratch_load_b128 v[2:5], off, off offset:480
	scratch_load_b128 v[6:9], off, off offset:496
	;; [unrolled: 1-line block ×8, first 2 shown]
	ds_load_b128 v[34:37], v1 offset:1280
	ds_load_b128 v[193:196], v1 offset:1296
	s_clause 0x1
	scratch_load_b128 v[38:41], off, off offset:608
	scratch_load_b128 v[197:200], off, off offset:624
	s_mov_b32 s2, exec_lo
	s_waitcnt vmcnt(9) lgkmcnt(1)
	v_mul_f64 v[201:202], v[36:37], v[4:5]
	v_mul_f64 v[4:5], v[34:35], v[4:5]
	s_waitcnt vmcnt(8) lgkmcnt(0)
	v_mul_f64 v[203:204], v[193:194], v[8:9]
	v_mul_f64 v[8:9], v[195:196], v[8:9]
	s_delay_alu instid0(VALU_DEP_4) | instskip(NEXT) | instid1(VALU_DEP_4)
	v_fma_f64 v[201:202], v[34:35], v[2:3], -v[201:202]
	v_fma_f64 v[205:206], v[36:37], v[2:3], v[4:5]
	ds_load_b128 v[2:5], v1 offset:1312
	scratch_load_b128 v[34:37], off, off offset:640
	v_fma_f64 v[203:204], v[195:196], v[6:7], v[203:204]
	v_fma_f64 v[209:210], v[193:194], v[6:7], -v[8:9]
	ds_load_b128 v[6:9], v1 offset:1328
	scratch_load_b128 v[193:196], off, off offset:656
	s_waitcnt vmcnt(9) lgkmcnt(1)
	v_mul_f64 v[207:208], v[2:3], v[12:13]
	v_mul_f64 v[12:13], v[4:5], v[12:13]
	s_waitcnt vmcnt(8) lgkmcnt(0)
	v_mul_f64 v[211:212], v[6:7], v[16:17]
	v_mul_f64 v[16:17], v[8:9], v[16:17]
	v_add_f64 v[201:202], v[201:202], 0
	v_add_f64 v[205:206], v[205:206], 0
	v_fma_f64 v[207:208], v[4:5], v[10:11], v[207:208]
	v_fma_f64 v[213:214], v[2:3], v[10:11], -v[12:13]
	scratch_load_b128 v[10:13], off, off offset:672
	ds_load_b128 v[2:5], v1 offset:1344
	v_add_f64 v[201:202], v[201:202], v[209:210]
	v_add_f64 v[203:204], v[205:206], v[203:204]
	v_fma_f64 v[209:210], v[8:9], v[14:15], v[211:212]
	v_fma_f64 v[211:212], v[6:7], v[14:15], -v[16:17]
	ds_load_b128 v[6:9], v1 offset:1360
	scratch_load_b128 v[14:17], off, off offset:688
	s_waitcnt vmcnt(9) lgkmcnt(1)
	v_mul_f64 v[205:206], v[2:3], v[20:21]
	v_mul_f64 v[20:21], v[4:5], v[20:21]
	v_add_f64 v[201:202], v[201:202], v[213:214]
	v_add_f64 v[203:204], v[203:204], v[207:208]
	s_waitcnt vmcnt(8) lgkmcnt(0)
	v_mul_f64 v[207:208], v[6:7], v[24:25]
	v_mul_f64 v[24:25], v[8:9], v[24:25]
	v_fma_f64 v[205:206], v[4:5], v[18:19], v[205:206]
	v_fma_f64 v[213:214], v[2:3], v[18:19], -v[20:21]
	scratch_load_b128 v[18:21], off, off offset:704
	ds_load_b128 v[2:5], v1 offset:1376
	v_add_f64 v[201:202], v[201:202], v[211:212]
	v_add_f64 v[203:204], v[203:204], v[209:210]
	v_fma_f64 v[207:208], v[8:9], v[22:23], v[207:208]
	v_fma_f64 v[211:212], v[6:7], v[22:23], -v[24:25]
	ds_load_b128 v[6:9], v1 offset:1392
	s_waitcnt vmcnt(8) lgkmcnt(1)
	v_mul_f64 v[209:210], v[2:3], v[28:29]
	v_mul_f64 v[28:29], v[4:5], v[28:29]
	scratch_load_b128 v[22:25], off, off offset:720
	v_add_f64 v[201:202], v[201:202], v[213:214]
	v_add_f64 v[203:204], v[203:204], v[205:206]
	s_waitcnt vmcnt(8) lgkmcnt(0)
	v_mul_f64 v[205:206], v[6:7], v[32:33]
	v_mul_f64 v[32:33], v[8:9], v[32:33]
	v_fma_f64 v[209:210], v[4:5], v[26:27], v[209:210]
	v_fma_f64 v[213:214], v[2:3], v[26:27], -v[28:29]
	scratch_load_b128 v[26:29], off, off offset:736
	ds_load_b128 v[2:5], v1 offset:1408
	v_add_f64 v[201:202], v[201:202], v[211:212]
	v_add_f64 v[203:204], v[203:204], v[207:208]
	v_fma_f64 v[205:206], v[8:9], v[30:31], v[205:206]
	v_fma_f64 v[211:212], v[6:7], v[30:31], -v[32:33]
	ds_load_b128 v[6:9], v1 offset:1424
	s_waitcnt vmcnt(8) lgkmcnt(1)
	v_mul_f64 v[207:208], v[2:3], v[40:41]
	v_mul_f64 v[40:41], v[4:5], v[40:41]
	scratch_load_b128 v[30:33], off, off offset:752
	v_add_f64 v[201:202], v[201:202], v[213:214]
	v_add_f64 v[203:204], v[203:204], v[209:210]
	s_waitcnt vmcnt(8) lgkmcnt(0)
	v_mul_f64 v[209:210], v[6:7], v[199:200]
	v_mul_f64 v[199:200], v[8:9], v[199:200]
	v_fma_f64 v[207:208], v[4:5], v[38:39], v[207:208]
	v_fma_f64 v[213:214], v[2:3], v[38:39], -v[40:41]
	scratch_load_b128 v[38:41], off, off offset:768
	ds_load_b128 v[2:5], v1 offset:1440
	v_add_f64 v[201:202], v[201:202], v[211:212]
	v_add_f64 v[203:204], v[203:204], v[205:206]
	v_fma_f64 v[209:210], v[8:9], v[197:198], v[209:210]
	v_fma_f64 v[211:212], v[6:7], v[197:198], -v[199:200]
	ds_load_b128 v[6:9], v1 offset:1456
	scratch_load_b128 v[197:200], off, off offset:784
	s_waitcnt vmcnt(9) lgkmcnt(1)
	v_mul_f64 v[205:206], v[2:3], v[36:37]
	v_mul_f64 v[36:37], v[4:5], v[36:37]
	v_add_f64 v[201:202], v[201:202], v[213:214]
	v_add_f64 v[203:204], v[203:204], v[207:208]
	s_delay_alu instid0(VALU_DEP_4) | instskip(NEXT) | instid1(VALU_DEP_4)
	v_fma_f64 v[205:206], v[4:5], v[34:35], v[205:206]
	v_fma_f64 v[34:35], v[2:3], v[34:35], -v[36:37]
	ds_load_b128 v[2:5], v1 offset:1472
	v_add_f64 v[36:37], v[201:202], v[211:212]
	v_add_f64 v[201:202], v[203:204], v[209:210]
	s_waitcnt vmcnt(7) lgkmcnt(0)
	v_mul_f64 v[203:204], v[2:3], v[12:13]
	v_mul_f64 v[12:13], v[4:5], v[12:13]
	s_delay_alu instid0(VALU_DEP_4) | instskip(NEXT) | instid1(VALU_DEP_4)
	v_add_f64 v[34:35], v[36:37], v[34:35]
	v_add_f64 v[36:37], v[201:202], v[205:206]
	s_delay_alu instid0(VALU_DEP_4) | instskip(NEXT) | instid1(VALU_DEP_4)
	v_fma_f64 v[201:202], v[4:5], v[10:11], v[203:204]
	v_fma_f64 v[203:204], v[2:3], v[10:11], -v[12:13]
	scratch_load_b128 v[10:13], off, off offset:464
	v_mul_f64 v[207:208], v[6:7], v[195:196]
	v_mul_f64 v[195:196], v[8:9], v[195:196]
	ds_load_b128 v[2:5], v1 offset:1504
	v_fma_f64 v[207:208], v[8:9], v[193:194], v[207:208]
	v_fma_f64 v[193:194], v[6:7], v[193:194], -v[195:196]
	ds_load_b128 v[6:9], v1 offset:1488
	s_waitcnt vmcnt(7) lgkmcnt(0)
	v_mul_f64 v[195:196], v[6:7], v[16:17]
	v_mul_f64 v[16:17], v[8:9], v[16:17]
	v_add_f64 v[36:37], v[36:37], v[207:208]
	v_add_f64 v[34:35], v[34:35], v[193:194]
	s_waitcnt vmcnt(6)
	v_mul_f64 v[193:194], v[2:3], v[20:21]
	v_mul_f64 v[20:21], v[4:5], v[20:21]
	v_fma_f64 v[195:196], v[8:9], v[14:15], v[195:196]
	v_fma_f64 v[14:15], v[6:7], v[14:15], -v[16:17]
	ds_load_b128 v[6:9], v1 offset:1520
	v_add_f64 v[16:17], v[34:35], v[203:204]
	v_add_f64 v[34:35], v[36:37], v[201:202]
	v_fma_f64 v[193:194], v[4:5], v[18:19], v[193:194]
	v_fma_f64 v[18:19], v[2:3], v[18:19], -v[20:21]
	ds_load_b128 v[2:5], v1 offset:1536
	s_waitcnt vmcnt(5) lgkmcnt(1)
	v_mul_f64 v[36:37], v[6:7], v[24:25]
	v_mul_f64 v[24:25], v[8:9], v[24:25]
	s_waitcnt vmcnt(4) lgkmcnt(0)
	v_mul_f64 v[20:21], v[2:3], v[28:29]
	v_mul_f64 v[28:29], v[4:5], v[28:29]
	v_add_f64 v[14:15], v[16:17], v[14:15]
	v_add_f64 v[16:17], v[34:35], v[195:196]
	v_fma_f64 v[34:35], v[8:9], v[22:23], v[36:37]
	v_fma_f64 v[22:23], v[6:7], v[22:23], -v[24:25]
	ds_load_b128 v[6:9], v1 offset:1552
	v_fma_f64 v[20:21], v[4:5], v[26:27], v[20:21]
	v_fma_f64 v[26:27], v[2:3], v[26:27], -v[28:29]
	ds_load_b128 v[2:5], v1 offset:1568
	s_waitcnt vmcnt(3) lgkmcnt(1)
	v_mul_f64 v[24:25], v[8:9], v[32:33]
	v_add_f64 v[14:15], v[14:15], v[18:19]
	v_add_f64 v[16:17], v[16:17], v[193:194]
	v_mul_f64 v[18:19], v[6:7], v[32:33]
	s_waitcnt vmcnt(2) lgkmcnt(0)
	v_mul_f64 v[28:29], v[4:5], v[40:41]
	v_fma_f64 v[24:25], v[6:7], v[30:31], -v[24:25]
	v_add_f64 v[14:15], v[14:15], v[22:23]
	v_add_f64 v[16:17], v[16:17], v[34:35]
	v_mul_f64 v[22:23], v[2:3], v[40:41]
	v_fma_f64 v[18:19], v[8:9], v[30:31], v[18:19]
	ds_load_b128 v[6:9], v1 offset:1584
	v_fma_f64 v[1:2], v[2:3], v[38:39], -v[28:29]
	v_add_f64 v[14:15], v[14:15], v[26:27]
	v_add_f64 v[16:17], v[16:17], v[20:21]
	s_waitcnt vmcnt(1) lgkmcnt(0)
	v_mul_f64 v[20:21], v[6:7], v[199:200]
	v_mul_f64 v[26:27], v[8:9], v[199:200]
	v_fma_f64 v[4:5], v[4:5], v[38:39], v[22:23]
	v_add_f64 v[14:15], v[14:15], v[24:25]
	v_add_f64 v[16:17], v[16:17], v[18:19]
	v_fma_f64 v[8:9], v[8:9], v[197:198], v[20:21]
	v_fma_f64 v[6:7], v[6:7], v[197:198], -v[26:27]
	s_delay_alu instid0(VALU_DEP_4) | instskip(NEXT) | instid1(VALU_DEP_4)
	v_add_f64 v[1:2], v[14:15], v[1:2]
	v_add_f64 v[3:4], v[16:17], v[4:5]
	s_delay_alu instid0(VALU_DEP_2) | instskip(NEXT) | instid1(VALU_DEP_2)
	v_add_f64 v[1:2], v[1:2], v[6:7]
	v_add_f64 v[3:4], v[3:4], v[8:9]
	s_waitcnt vmcnt(0)
	s_delay_alu instid0(VALU_DEP_2) | instskip(NEXT) | instid1(VALU_DEP_2)
	v_add_f64 v[1:2], v[10:11], -v[1:2]
	v_add_f64 v[3:4], v[12:13], -v[3:4]
	scratch_store_b128 off, v[1:4], off offset:464
	v_cmpx_lt_u32_e32 28, v142
	s_cbranch_execz .LBB49_257
; %bb.256:
	scratch_load_b128 v[1:4], v164, off
	v_mov_b32_e32 v5, 0
	s_delay_alu instid0(VALU_DEP_1)
	v_mov_b32_e32 v6, v5
	v_mov_b32_e32 v7, v5
	;; [unrolled: 1-line block ×3, first 2 shown]
	scratch_store_b128 off, v[5:8], off offset:448
	s_waitcnt vmcnt(0)
	ds_store_b128 v192, v[1:4]
.LBB49_257:
	s_or_b32 exec_lo, exec_lo, s2
	s_waitcnt lgkmcnt(0)
	s_waitcnt_vscnt null, 0x0
	s_barrier
	buffer_gl0_inv
	s_clause 0x7
	scratch_load_b128 v[2:5], off, off offset:464
	scratch_load_b128 v[6:9], off, off offset:480
	;; [unrolled: 1-line block ×8, first 2 shown]
	v_mov_b32_e32 v1, 0
	s_clause 0x1
	scratch_load_b128 v[38:41], off, off offset:592
	scratch_load_b128 v[197:200], off, off offset:608
	s_mov_b32 s2, exec_lo
	ds_load_b128 v[34:37], v1 offset:1264
	ds_load_b128 v[193:196], v1 offset:1280
	s_waitcnt vmcnt(9) lgkmcnt(1)
	v_mul_f64 v[201:202], v[36:37], v[4:5]
	v_mul_f64 v[4:5], v[34:35], v[4:5]
	s_waitcnt vmcnt(8) lgkmcnt(0)
	v_mul_f64 v[203:204], v[193:194], v[8:9]
	v_mul_f64 v[8:9], v[195:196], v[8:9]
	s_delay_alu instid0(VALU_DEP_4) | instskip(NEXT) | instid1(VALU_DEP_4)
	v_fma_f64 v[201:202], v[34:35], v[2:3], -v[201:202]
	v_fma_f64 v[205:206], v[36:37], v[2:3], v[4:5]
	ds_load_b128 v[2:5], v1 offset:1296
	scratch_load_b128 v[34:37], off, off offset:624
	v_fma_f64 v[203:204], v[195:196], v[6:7], v[203:204]
	v_fma_f64 v[209:210], v[193:194], v[6:7], -v[8:9]
	scratch_load_b128 v[193:196], off, off offset:640
	ds_load_b128 v[6:9], v1 offset:1312
	s_waitcnt vmcnt(9) lgkmcnt(1)
	v_mul_f64 v[207:208], v[2:3], v[12:13]
	v_mul_f64 v[12:13], v[4:5], v[12:13]
	s_waitcnt vmcnt(8) lgkmcnt(0)
	v_mul_f64 v[211:212], v[6:7], v[16:17]
	v_mul_f64 v[16:17], v[8:9], v[16:17]
	v_add_f64 v[201:202], v[201:202], 0
	v_add_f64 v[205:206], v[205:206], 0
	v_fma_f64 v[207:208], v[4:5], v[10:11], v[207:208]
	v_fma_f64 v[213:214], v[2:3], v[10:11], -v[12:13]
	ds_load_b128 v[2:5], v1 offset:1328
	scratch_load_b128 v[10:13], off, off offset:656
	v_add_f64 v[201:202], v[201:202], v[209:210]
	v_add_f64 v[203:204], v[205:206], v[203:204]
	v_fma_f64 v[209:210], v[8:9], v[14:15], v[211:212]
	v_fma_f64 v[211:212], v[6:7], v[14:15], -v[16:17]
	scratch_load_b128 v[14:17], off, off offset:672
	ds_load_b128 v[6:9], v1 offset:1344
	s_waitcnt vmcnt(9) lgkmcnt(1)
	v_mul_f64 v[205:206], v[2:3], v[20:21]
	v_mul_f64 v[20:21], v[4:5], v[20:21]
	v_add_f64 v[201:202], v[201:202], v[213:214]
	v_add_f64 v[203:204], v[203:204], v[207:208]
	s_waitcnt vmcnt(8) lgkmcnt(0)
	v_mul_f64 v[207:208], v[6:7], v[24:25]
	v_mul_f64 v[24:25], v[8:9], v[24:25]
	v_fma_f64 v[205:206], v[4:5], v[18:19], v[205:206]
	v_fma_f64 v[213:214], v[2:3], v[18:19], -v[20:21]
	ds_load_b128 v[2:5], v1 offset:1360
	scratch_load_b128 v[18:21], off, off offset:688
	v_add_f64 v[201:202], v[201:202], v[211:212]
	v_add_f64 v[203:204], v[203:204], v[209:210]
	v_fma_f64 v[207:208], v[8:9], v[22:23], v[207:208]
	v_fma_f64 v[211:212], v[6:7], v[22:23], -v[24:25]
	ds_load_b128 v[6:9], v1 offset:1376
	s_waitcnt vmcnt(8) lgkmcnt(1)
	v_mul_f64 v[209:210], v[2:3], v[28:29]
	v_mul_f64 v[28:29], v[4:5], v[28:29]
	scratch_load_b128 v[22:25], off, off offset:704
	v_add_f64 v[201:202], v[201:202], v[213:214]
	v_add_f64 v[203:204], v[203:204], v[205:206]
	s_waitcnt vmcnt(8) lgkmcnt(0)
	v_mul_f64 v[205:206], v[6:7], v[32:33]
	v_mul_f64 v[32:33], v[8:9], v[32:33]
	v_fma_f64 v[209:210], v[4:5], v[26:27], v[209:210]
	v_fma_f64 v[213:214], v[2:3], v[26:27], -v[28:29]
	scratch_load_b128 v[26:29], off, off offset:720
	ds_load_b128 v[2:5], v1 offset:1392
	v_add_f64 v[201:202], v[201:202], v[211:212]
	v_add_f64 v[203:204], v[203:204], v[207:208]
	v_fma_f64 v[205:206], v[8:9], v[30:31], v[205:206]
	v_fma_f64 v[211:212], v[6:7], v[30:31], -v[32:33]
	ds_load_b128 v[6:9], v1 offset:1408
	s_waitcnt vmcnt(8) lgkmcnt(1)
	v_mul_f64 v[207:208], v[2:3], v[40:41]
	v_mul_f64 v[40:41], v[4:5], v[40:41]
	scratch_load_b128 v[30:33], off, off offset:736
	v_add_f64 v[201:202], v[201:202], v[213:214]
	v_add_f64 v[203:204], v[203:204], v[209:210]
	s_waitcnt vmcnt(8) lgkmcnt(0)
	v_mul_f64 v[209:210], v[6:7], v[199:200]
	v_mul_f64 v[199:200], v[8:9], v[199:200]
	v_fma_f64 v[207:208], v[4:5], v[38:39], v[207:208]
	v_fma_f64 v[213:214], v[2:3], v[38:39], -v[40:41]
	scratch_load_b128 v[38:41], off, off offset:752
	ds_load_b128 v[2:5], v1 offset:1424
	v_add_f64 v[201:202], v[201:202], v[211:212]
	v_add_f64 v[203:204], v[203:204], v[205:206]
	v_fma_f64 v[209:210], v[8:9], v[197:198], v[209:210]
	v_fma_f64 v[211:212], v[6:7], v[197:198], -v[199:200]
	ds_load_b128 v[6:9], v1 offset:1440
	scratch_load_b128 v[197:200], off, off offset:768
	s_waitcnt vmcnt(9) lgkmcnt(1)
	v_mul_f64 v[205:206], v[2:3], v[36:37]
	v_mul_f64 v[36:37], v[4:5], v[36:37]
	v_add_f64 v[201:202], v[201:202], v[213:214]
	v_add_f64 v[203:204], v[203:204], v[207:208]
	s_waitcnt vmcnt(8) lgkmcnt(0)
	v_mul_f64 v[207:208], v[6:7], v[195:196]
	v_mul_f64 v[195:196], v[8:9], v[195:196]
	v_fma_f64 v[205:206], v[4:5], v[34:35], v[205:206]
	v_fma_f64 v[213:214], v[2:3], v[34:35], -v[36:37]
	scratch_load_b128 v[34:37], off, off offset:784
	ds_load_b128 v[2:5], v1 offset:1456
	v_add_f64 v[201:202], v[201:202], v[211:212]
	v_add_f64 v[203:204], v[203:204], v[209:210]
	v_fma_f64 v[207:208], v[8:9], v[193:194], v[207:208]
	v_fma_f64 v[193:194], v[6:7], v[193:194], -v[195:196]
	ds_load_b128 v[6:9], v1 offset:1472
	s_waitcnt vmcnt(8) lgkmcnt(1)
	v_mul_f64 v[209:210], v[2:3], v[12:13]
	v_mul_f64 v[12:13], v[4:5], v[12:13]
	v_add_f64 v[195:196], v[201:202], v[213:214]
	v_add_f64 v[201:202], v[203:204], v[205:206]
	s_waitcnt vmcnt(7) lgkmcnt(0)
	v_mul_f64 v[203:204], v[6:7], v[16:17]
	v_mul_f64 v[16:17], v[8:9], v[16:17]
	v_fma_f64 v[205:206], v[4:5], v[10:11], v[209:210]
	v_fma_f64 v[10:11], v[2:3], v[10:11], -v[12:13]
	ds_load_b128 v[2:5], v1 offset:1488
	v_add_f64 v[12:13], v[195:196], v[193:194]
	v_add_f64 v[193:194], v[201:202], v[207:208]
	v_fma_f64 v[201:202], v[8:9], v[14:15], v[203:204]
	v_fma_f64 v[14:15], v[6:7], v[14:15], -v[16:17]
	ds_load_b128 v[6:9], v1 offset:1504
	s_waitcnt vmcnt(5) lgkmcnt(0)
	v_mul_f64 v[203:204], v[6:7], v[24:25]
	v_mul_f64 v[24:25], v[8:9], v[24:25]
	v_add_f64 v[16:17], v[12:13], v[10:11]
	v_add_f64 v[193:194], v[193:194], v[205:206]
	scratch_load_b128 v[10:13], off, off offset:448
	v_mul_f64 v[195:196], v[2:3], v[20:21]
	v_mul_f64 v[20:21], v[4:5], v[20:21]
	v_add_f64 v[14:15], v[16:17], v[14:15]
	v_add_f64 v[16:17], v[193:194], v[201:202]
	v_fma_f64 v[193:194], v[8:9], v[22:23], v[203:204]
	v_fma_f64 v[195:196], v[4:5], v[18:19], v[195:196]
	v_fma_f64 v[18:19], v[2:3], v[18:19], -v[20:21]
	ds_load_b128 v[2:5], v1 offset:1520
	v_fma_f64 v[22:23], v[6:7], v[22:23], -v[24:25]
	ds_load_b128 v[6:9], v1 offset:1536
	s_waitcnt vmcnt(5) lgkmcnt(1)
	v_mul_f64 v[20:21], v[2:3], v[28:29]
	v_mul_f64 v[28:29], v[4:5], v[28:29]
	s_waitcnt vmcnt(4) lgkmcnt(0)
	v_mul_f64 v[24:25], v[8:9], v[32:33]
	v_add_f64 v[16:17], v[16:17], v[195:196]
	v_add_f64 v[14:15], v[14:15], v[18:19]
	v_mul_f64 v[18:19], v[6:7], v[32:33]
	v_fma_f64 v[20:21], v[4:5], v[26:27], v[20:21]
	v_fma_f64 v[26:27], v[2:3], v[26:27], -v[28:29]
	ds_load_b128 v[2:5], v1 offset:1552
	v_fma_f64 v[24:25], v[6:7], v[30:31], -v[24:25]
	v_add_f64 v[16:17], v[16:17], v[193:194]
	v_add_f64 v[14:15], v[14:15], v[22:23]
	v_fma_f64 v[18:19], v[8:9], v[30:31], v[18:19]
	ds_load_b128 v[6:9], v1 offset:1568
	s_waitcnt vmcnt(3) lgkmcnt(1)
	v_mul_f64 v[22:23], v[2:3], v[40:41]
	v_mul_f64 v[28:29], v[4:5], v[40:41]
	v_add_f64 v[16:17], v[16:17], v[20:21]
	v_add_f64 v[14:15], v[14:15], v[26:27]
	s_waitcnt vmcnt(2) lgkmcnt(0)
	v_mul_f64 v[20:21], v[6:7], v[199:200]
	v_mul_f64 v[26:27], v[8:9], v[199:200]
	v_fma_f64 v[22:23], v[4:5], v[38:39], v[22:23]
	v_fma_f64 v[28:29], v[2:3], v[38:39], -v[28:29]
	ds_load_b128 v[2:5], v1 offset:1584
	v_add_f64 v[16:17], v[16:17], v[18:19]
	v_add_f64 v[14:15], v[14:15], v[24:25]
	s_waitcnt vmcnt(1) lgkmcnt(0)
	v_mul_f64 v[18:19], v[2:3], v[36:37]
	v_mul_f64 v[24:25], v[4:5], v[36:37]
	v_fma_f64 v[8:9], v[8:9], v[197:198], v[20:21]
	v_fma_f64 v[6:7], v[6:7], v[197:198], -v[26:27]
	v_add_f64 v[16:17], v[16:17], v[22:23]
	v_add_f64 v[14:15], v[14:15], v[28:29]
	v_fma_f64 v[4:5], v[4:5], v[34:35], v[18:19]
	v_fma_f64 v[2:3], v[2:3], v[34:35], -v[24:25]
	s_delay_alu instid0(VALU_DEP_4) | instskip(NEXT) | instid1(VALU_DEP_4)
	v_add_f64 v[8:9], v[16:17], v[8:9]
	v_add_f64 v[6:7], v[14:15], v[6:7]
	s_delay_alu instid0(VALU_DEP_2) | instskip(NEXT) | instid1(VALU_DEP_2)
	v_add_f64 v[4:5], v[8:9], v[4:5]
	v_add_f64 v[2:3], v[6:7], v[2:3]
	s_waitcnt vmcnt(0)
	s_delay_alu instid0(VALU_DEP_2) | instskip(NEXT) | instid1(VALU_DEP_2)
	v_add_f64 v[4:5], v[12:13], -v[4:5]
	v_add_f64 v[2:3], v[10:11], -v[2:3]
	scratch_store_b128 off, v[2:5], off offset:448
	v_cmpx_lt_u32_e32 27, v142
	s_cbranch_execz .LBB49_259
; %bb.258:
	scratch_load_b128 v[5:8], v166, off
	v_mov_b32_e32 v2, v1
	v_mov_b32_e32 v3, v1
	;; [unrolled: 1-line block ×3, first 2 shown]
	scratch_store_b128 off, v[1:4], off offset:432
	s_waitcnt vmcnt(0)
	ds_store_b128 v192, v[5:8]
.LBB49_259:
	s_or_b32 exec_lo, exec_lo, s2
	s_waitcnt lgkmcnt(0)
	s_waitcnt_vscnt null, 0x0
	s_barrier
	buffer_gl0_inv
	s_clause 0x7
	scratch_load_b128 v[2:5], off, off offset:448
	scratch_load_b128 v[6:9], off, off offset:464
	;; [unrolled: 1-line block ×8, first 2 shown]
	ds_load_b128 v[34:37], v1 offset:1248
	ds_load_b128 v[193:196], v1 offset:1264
	s_clause 0x1
	scratch_load_b128 v[38:41], off, off offset:576
	scratch_load_b128 v[197:200], off, off offset:592
	s_mov_b32 s2, exec_lo
	s_waitcnt vmcnt(9) lgkmcnt(1)
	v_mul_f64 v[201:202], v[36:37], v[4:5]
	v_mul_f64 v[4:5], v[34:35], v[4:5]
	s_waitcnt vmcnt(8) lgkmcnt(0)
	v_mul_f64 v[203:204], v[193:194], v[8:9]
	v_mul_f64 v[8:9], v[195:196], v[8:9]
	s_delay_alu instid0(VALU_DEP_4) | instskip(NEXT) | instid1(VALU_DEP_4)
	v_fma_f64 v[201:202], v[34:35], v[2:3], -v[201:202]
	v_fma_f64 v[205:206], v[36:37], v[2:3], v[4:5]
	ds_load_b128 v[2:5], v1 offset:1280
	scratch_load_b128 v[34:37], off, off offset:608
	v_fma_f64 v[203:204], v[195:196], v[6:7], v[203:204]
	v_fma_f64 v[209:210], v[193:194], v[6:7], -v[8:9]
	scratch_load_b128 v[193:196], off, off offset:624
	ds_load_b128 v[6:9], v1 offset:1296
	s_waitcnt vmcnt(9) lgkmcnt(1)
	v_mul_f64 v[207:208], v[2:3], v[12:13]
	v_mul_f64 v[12:13], v[4:5], v[12:13]
	s_waitcnt vmcnt(8) lgkmcnt(0)
	v_mul_f64 v[211:212], v[6:7], v[16:17]
	v_mul_f64 v[16:17], v[8:9], v[16:17]
	v_add_f64 v[201:202], v[201:202], 0
	v_add_f64 v[205:206], v[205:206], 0
	v_fma_f64 v[207:208], v[4:5], v[10:11], v[207:208]
	v_fma_f64 v[213:214], v[2:3], v[10:11], -v[12:13]
	ds_load_b128 v[2:5], v1 offset:1312
	scratch_load_b128 v[10:13], off, off offset:640
	v_add_f64 v[201:202], v[201:202], v[209:210]
	v_add_f64 v[203:204], v[205:206], v[203:204]
	v_fma_f64 v[209:210], v[8:9], v[14:15], v[211:212]
	v_fma_f64 v[211:212], v[6:7], v[14:15], -v[16:17]
	scratch_load_b128 v[14:17], off, off offset:656
	ds_load_b128 v[6:9], v1 offset:1328
	s_waitcnt vmcnt(9) lgkmcnt(1)
	v_mul_f64 v[205:206], v[2:3], v[20:21]
	v_mul_f64 v[20:21], v[4:5], v[20:21]
	v_add_f64 v[201:202], v[201:202], v[213:214]
	v_add_f64 v[203:204], v[203:204], v[207:208]
	s_waitcnt vmcnt(8) lgkmcnt(0)
	v_mul_f64 v[207:208], v[6:7], v[24:25]
	v_mul_f64 v[24:25], v[8:9], v[24:25]
	v_fma_f64 v[205:206], v[4:5], v[18:19], v[205:206]
	v_fma_f64 v[213:214], v[2:3], v[18:19], -v[20:21]
	ds_load_b128 v[2:5], v1 offset:1344
	scratch_load_b128 v[18:21], off, off offset:672
	v_add_f64 v[201:202], v[201:202], v[211:212]
	v_add_f64 v[203:204], v[203:204], v[209:210]
	v_fma_f64 v[207:208], v[8:9], v[22:23], v[207:208]
	v_fma_f64 v[211:212], v[6:7], v[22:23], -v[24:25]
	ds_load_b128 v[6:9], v1 offset:1360
	s_waitcnt vmcnt(8) lgkmcnt(1)
	v_mul_f64 v[209:210], v[2:3], v[28:29]
	v_mul_f64 v[28:29], v[4:5], v[28:29]
	scratch_load_b128 v[22:25], off, off offset:688
	v_add_f64 v[201:202], v[201:202], v[213:214]
	v_add_f64 v[203:204], v[203:204], v[205:206]
	s_waitcnt vmcnt(8) lgkmcnt(0)
	v_mul_f64 v[205:206], v[6:7], v[32:33]
	v_mul_f64 v[32:33], v[8:9], v[32:33]
	v_fma_f64 v[209:210], v[4:5], v[26:27], v[209:210]
	v_fma_f64 v[213:214], v[2:3], v[26:27], -v[28:29]
	ds_load_b128 v[2:5], v1 offset:1376
	scratch_load_b128 v[26:29], off, off offset:704
	v_add_f64 v[201:202], v[201:202], v[211:212]
	v_add_f64 v[203:204], v[203:204], v[207:208]
	v_fma_f64 v[205:206], v[8:9], v[30:31], v[205:206]
	v_fma_f64 v[211:212], v[6:7], v[30:31], -v[32:33]
	ds_load_b128 v[6:9], v1 offset:1392
	s_waitcnt vmcnt(8) lgkmcnt(1)
	v_mul_f64 v[207:208], v[2:3], v[40:41]
	v_mul_f64 v[40:41], v[4:5], v[40:41]
	scratch_load_b128 v[30:33], off, off offset:720
	v_add_f64 v[201:202], v[201:202], v[213:214]
	v_add_f64 v[203:204], v[203:204], v[209:210]
	s_waitcnt vmcnt(8) lgkmcnt(0)
	v_mul_f64 v[209:210], v[6:7], v[199:200]
	v_mul_f64 v[199:200], v[8:9], v[199:200]
	v_fma_f64 v[207:208], v[4:5], v[38:39], v[207:208]
	v_fma_f64 v[213:214], v[2:3], v[38:39], -v[40:41]
	scratch_load_b128 v[38:41], off, off offset:736
	ds_load_b128 v[2:5], v1 offset:1408
	v_add_f64 v[201:202], v[201:202], v[211:212]
	v_add_f64 v[203:204], v[203:204], v[205:206]
	v_fma_f64 v[209:210], v[8:9], v[197:198], v[209:210]
	v_fma_f64 v[211:212], v[6:7], v[197:198], -v[199:200]
	ds_load_b128 v[6:9], v1 offset:1424
	scratch_load_b128 v[197:200], off, off offset:752
	s_waitcnt vmcnt(9) lgkmcnt(1)
	v_mul_f64 v[205:206], v[2:3], v[36:37]
	v_mul_f64 v[36:37], v[4:5], v[36:37]
	v_add_f64 v[201:202], v[201:202], v[213:214]
	v_add_f64 v[203:204], v[203:204], v[207:208]
	s_waitcnt vmcnt(8) lgkmcnt(0)
	v_mul_f64 v[207:208], v[6:7], v[195:196]
	v_mul_f64 v[195:196], v[8:9], v[195:196]
	v_fma_f64 v[205:206], v[4:5], v[34:35], v[205:206]
	v_fma_f64 v[213:214], v[2:3], v[34:35], -v[36:37]
	scratch_load_b128 v[34:37], off, off offset:768
	ds_load_b128 v[2:5], v1 offset:1440
	v_add_f64 v[201:202], v[201:202], v[211:212]
	v_add_f64 v[203:204], v[203:204], v[209:210]
	v_fma_f64 v[207:208], v[8:9], v[193:194], v[207:208]
	v_fma_f64 v[211:212], v[6:7], v[193:194], -v[195:196]
	ds_load_b128 v[6:9], v1 offset:1456
	s_waitcnt vmcnt(8) lgkmcnt(1)
	v_mul_f64 v[209:210], v[2:3], v[12:13]
	v_mul_f64 v[12:13], v[4:5], v[12:13]
	scratch_load_b128 v[193:196], off, off offset:784
	v_add_f64 v[201:202], v[201:202], v[213:214]
	v_add_f64 v[203:204], v[203:204], v[205:206]
	s_waitcnt vmcnt(8) lgkmcnt(0)
	v_mul_f64 v[205:206], v[6:7], v[16:17]
	v_mul_f64 v[16:17], v[8:9], v[16:17]
	v_fma_f64 v[209:210], v[4:5], v[10:11], v[209:210]
	v_fma_f64 v[10:11], v[2:3], v[10:11], -v[12:13]
	ds_load_b128 v[2:5], v1 offset:1472
	v_add_f64 v[12:13], v[201:202], v[211:212]
	v_add_f64 v[201:202], v[203:204], v[207:208]
	v_fma_f64 v[205:206], v[8:9], v[14:15], v[205:206]
	v_fma_f64 v[14:15], v[6:7], v[14:15], -v[16:17]
	ds_load_b128 v[6:9], v1 offset:1488
	s_waitcnt vmcnt(7) lgkmcnt(1)
	v_mul_f64 v[203:204], v[2:3], v[20:21]
	v_mul_f64 v[20:21], v[4:5], v[20:21]
	v_add_f64 v[10:11], v[12:13], v[10:11]
	v_add_f64 v[12:13], v[201:202], v[209:210]
	s_delay_alu instid0(VALU_DEP_4) | instskip(NEXT) | instid1(VALU_DEP_4)
	v_fma_f64 v[201:202], v[4:5], v[18:19], v[203:204]
	v_fma_f64 v[18:19], v[2:3], v[18:19], -v[20:21]
	ds_load_b128 v[2:5], v1 offset:1504
	v_add_f64 v[14:15], v[10:11], v[14:15]
	v_add_f64 v[20:21], v[12:13], v[205:206]
	scratch_load_b128 v[10:13], off, off offset:432
	s_waitcnt vmcnt(7) lgkmcnt(1)
	v_mul_f64 v[16:17], v[6:7], v[24:25]
	v_mul_f64 v[24:25], v[8:9], v[24:25]
	v_add_f64 v[14:15], v[14:15], v[18:19]
	v_add_f64 v[18:19], v[20:21], v[201:202]
	s_delay_alu instid0(VALU_DEP_4) | instskip(NEXT) | instid1(VALU_DEP_4)
	v_fma_f64 v[16:17], v[8:9], v[22:23], v[16:17]
	v_fma_f64 v[22:23], v[6:7], v[22:23], -v[24:25]
	ds_load_b128 v[6:9], v1 offset:1520
	s_waitcnt vmcnt(6) lgkmcnt(1)
	v_mul_f64 v[203:204], v[2:3], v[28:29]
	v_mul_f64 v[28:29], v[4:5], v[28:29]
	s_waitcnt vmcnt(5) lgkmcnt(0)
	v_mul_f64 v[20:21], v[6:7], v[32:33]
	v_mul_f64 v[24:25], v[8:9], v[32:33]
	v_add_f64 v[16:17], v[18:19], v[16:17]
	v_add_f64 v[14:15], v[14:15], v[22:23]
	v_fma_f64 v[32:33], v[4:5], v[26:27], v[203:204]
	v_fma_f64 v[26:27], v[2:3], v[26:27], -v[28:29]
	ds_load_b128 v[2:5], v1 offset:1536
	v_fma_f64 v[20:21], v[8:9], v[30:31], v[20:21]
	v_fma_f64 v[24:25], v[6:7], v[30:31], -v[24:25]
	ds_load_b128 v[6:9], v1 offset:1552
	s_waitcnt vmcnt(4) lgkmcnt(1)
	v_mul_f64 v[18:19], v[2:3], v[40:41]
	v_mul_f64 v[22:23], v[4:5], v[40:41]
	v_add_f64 v[16:17], v[16:17], v[32:33]
	v_add_f64 v[14:15], v[14:15], v[26:27]
	s_waitcnt vmcnt(3) lgkmcnt(0)
	v_mul_f64 v[26:27], v[6:7], v[199:200]
	v_mul_f64 v[28:29], v[8:9], v[199:200]
	v_fma_f64 v[18:19], v[4:5], v[38:39], v[18:19]
	v_fma_f64 v[22:23], v[2:3], v[38:39], -v[22:23]
	ds_load_b128 v[2:5], v1 offset:1568
	v_add_f64 v[16:17], v[16:17], v[20:21]
	v_add_f64 v[14:15], v[14:15], v[24:25]
	v_fma_f64 v[26:27], v[8:9], v[197:198], v[26:27]
	v_fma_f64 v[28:29], v[6:7], v[197:198], -v[28:29]
	ds_load_b128 v[6:9], v1 offset:1584
	s_waitcnt vmcnt(2) lgkmcnt(1)
	v_mul_f64 v[20:21], v[2:3], v[36:37]
	v_mul_f64 v[24:25], v[4:5], v[36:37]
	v_add_f64 v[16:17], v[16:17], v[18:19]
	v_add_f64 v[14:15], v[14:15], v[22:23]
	s_waitcnt vmcnt(1) lgkmcnt(0)
	v_mul_f64 v[18:19], v[6:7], v[195:196]
	v_mul_f64 v[22:23], v[8:9], v[195:196]
	v_fma_f64 v[4:5], v[4:5], v[34:35], v[20:21]
	v_fma_f64 v[1:2], v[2:3], v[34:35], -v[24:25]
	v_add_f64 v[16:17], v[16:17], v[26:27]
	v_add_f64 v[14:15], v[14:15], v[28:29]
	v_fma_f64 v[8:9], v[8:9], v[193:194], v[18:19]
	v_fma_f64 v[6:7], v[6:7], v[193:194], -v[22:23]
	s_delay_alu instid0(VALU_DEP_4) | instskip(NEXT) | instid1(VALU_DEP_4)
	v_add_f64 v[3:4], v[16:17], v[4:5]
	v_add_f64 v[1:2], v[14:15], v[1:2]
	s_delay_alu instid0(VALU_DEP_2) | instskip(NEXT) | instid1(VALU_DEP_2)
	v_add_f64 v[3:4], v[3:4], v[8:9]
	v_add_f64 v[1:2], v[1:2], v[6:7]
	s_waitcnt vmcnt(0)
	s_delay_alu instid0(VALU_DEP_2) | instskip(NEXT) | instid1(VALU_DEP_2)
	v_add_f64 v[3:4], v[12:13], -v[3:4]
	v_add_f64 v[1:2], v[10:11], -v[1:2]
	scratch_store_b128 off, v[1:4], off offset:432
	v_cmpx_lt_u32_e32 26, v142
	s_cbranch_execz .LBB49_261
; %bb.260:
	scratch_load_b128 v[1:4], v165, off
	v_mov_b32_e32 v5, 0
	s_delay_alu instid0(VALU_DEP_1)
	v_mov_b32_e32 v6, v5
	v_mov_b32_e32 v7, v5
	;; [unrolled: 1-line block ×3, first 2 shown]
	scratch_store_b128 off, v[5:8], off offset:416
	s_waitcnt vmcnt(0)
	ds_store_b128 v192, v[1:4]
.LBB49_261:
	s_or_b32 exec_lo, exec_lo, s2
	s_waitcnt lgkmcnt(0)
	s_waitcnt_vscnt null, 0x0
	s_barrier
	buffer_gl0_inv
	s_clause 0x7
	scratch_load_b128 v[2:5], off, off offset:432
	scratch_load_b128 v[6:9], off, off offset:448
	;; [unrolled: 1-line block ×8, first 2 shown]
	v_mov_b32_e32 v1, 0
	s_clause 0x1
	scratch_load_b128 v[38:41], off, off offset:560
	scratch_load_b128 v[197:200], off, off offset:576
	s_mov_b32 s2, exec_lo
	ds_load_b128 v[34:37], v1 offset:1232
	ds_load_b128 v[193:196], v1 offset:1248
	s_waitcnt vmcnt(9) lgkmcnt(1)
	v_mul_f64 v[201:202], v[36:37], v[4:5]
	v_mul_f64 v[4:5], v[34:35], v[4:5]
	s_waitcnt vmcnt(8) lgkmcnt(0)
	v_mul_f64 v[203:204], v[193:194], v[8:9]
	v_mul_f64 v[8:9], v[195:196], v[8:9]
	s_delay_alu instid0(VALU_DEP_4) | instskip(NEXT) | instid1(VALU_DEP_4)
	v_fma_f64 v[201:202], v[34:35], v[2:3], -v[201:202]
	v_fma_f64 v[205:206], v[36:37], v[2:3], v[4:5]
	ds_load_b128 v[2:5], v1 offset:1264
	scratch_load_b128 v[34:37], off, off offset:592
	v_fma_f64 v[203:204], v[195:196], v[6:7], v[203:204]
	v_fma_f64 v[209:210], v[193:194], v[6:7], -v[8:9]
	scratch_load_b128 v[193:196], off, off offset:608
	ds_load_b128 v[6:9], v1 offset:1280
	s_waitcnt vmcnt(9) lgkmcnt(1)
	v_mul_f64 v[207:208], v[2:3], v[12:13]
	v_mul_f64 v[12:13], v[4:5], v[12:13]
	s_waitcnt vmcnt(8) lgkmcnt(0)
	v_mul_f64 v[211:212], v[6:7], v[16:17]
	v_mul_f64 v[16:17], v[8:9], v[16:17]
	v_add_f64 v[201:202], v[201:202], 0
	v_add_f64 v[205:206], v[205:206], 0
	v_fma_f64 v[207:208], v[4:5], v[10:11], v[207:208]
	v_fma_f64 v[213:214], v[2:3], v[10:11], -v[12:13]
	ds_load_b128 v[2:5], v1 offset:1296
	scratch_load_b128 v[10:13], off, off offset:624
	v_add_f64 v[201:202], v[201:202], v[209:210]
	v_add_f64 v[203:204], v[205:206], v[203:204]
	v_fma_f64 v[209:210], v[8:9], v[14:15], v[211:212]
	v_fma_f64 v[211:212], v[6:7], v[14:15], -v[16:17]
	scratch_load_b128 v[14:17], off, off offset:640
	ds_load_b128 v[6:9], v1 offset:1312
	s_waitcnt vmcnt(9) lgkmcnt(1)
	v_mul_f64 v[205:206], v[2:3], v[20:21]
	v_mul_f64 v[20:21], v[4:5], v[20:21]
	v_add_f64 v[201:202], v[201:202], v[213:214]
	v_add_f64 v[203:204], v[203:204], v[207:208]
	s_waitcnt vmcnt(8) lgkmcnt(0)
	v_mul_f64 v[207:208], v[6:7], v[24:25]
	v_mul_f64 v[24:25], v[8:9], v[24:25]
	v_fma_f64 v[205:206], v[4:5], v[18:19], v[205:206]
	v_fma_f64 v[213:214], v[2:3], v[18:19], -v[20:21]
	ds_load_b128 v[2:5], v1 offset:1328
	scratch_load_b128 v[18:21], off, off offset:656
	v_add_f64 v[201:202], v[201:202], v[211:212]
	v_add_f64 v[203:204], v[203:204], v[209:210]
	v_fma_f64 v[207:208], v[8:9], v[22:23], v[207:208]
	v_fma_f64 v[211:212], v[6:7], v[22:23], -v[24:25]
	scratch_load_b128 v[22:25], off, off offset:672
	ds_load_b128 v[6:9], v1 offset:1344
	s_waitcnt vmcnt(9) lgkmcnt(1)
	v_mul_f64 v[209:210], v[2:3], v[28:29]
	v_mul_f64 v[28:29], v[4:5], v[28:29]
	v_add_f64 v[201:202], v[201:202], v[213:214]
	v_add_f64 v[203:204], v[203:204], v[205:206]
	s_waitcnt vmcnt(8) lgkmcnt(0)
	v_mul_f64 v[205:206], v[6:7], v[32:33]
	v_mul_f64 v[32:33], v[8:9], v[32:33]
	v_fma_f64 v[209:210], v[4:5], v[26:27], v[209:210]
	v_fma_f64 v[213:214], v[2:3], v[26:27], -v[28:29]
	ds_load_b128 v[2:5], v1 offset:1360
	scratch_load_b128 v[26:29], off, off offset:688
	v_add_f64 v[201:202], v[201:202], v[211:212]
	v_add_f64 v[203:204], v[203:204], v[207:208]
	v_fma_f64 v[205:206], v[8:9], v[30:31], v[205:206]
	v_fma_f64 v[211:212], v[6:7], v[30:31], -v[32:33]
	ds_load_b128 v[6:9], v1 offset:1376
	s_waitcnt vmcnt(8) lgkmcnt(1)
	v_mul_f64 v[207:208], v[2:3], v[40:41]
	v_mul_f64 v[40:41], v[4:5], v[40:41]
	scratch_load_b128 v[30:33], off, off offset:704
	v_add_f64 v[201:202], v[201:202], v[213:214]
	v_add_f64 v[203:204], v[203:204], v[209:210]
	s_waitcnt vmcnt(8) lgkmcnt(0)
	v_mul_f64 v[209:210], v[6:7], v[199:200]
	v_mul_f64 v[199:200], v[8:9], v[199:200]
	v_fma_f64 v[207:208], v[4:5], v[38:39], v[207:208]
	v_fma_f64 v[213:214], v[2:3], v[38:39], -v[40:41]
	scratch_load_b128 v[38:41], off, off offset:720
	ds_load_b128 v[2:5], v1 offset:1392
	v_add_f64 v[201:202], v[201:202], v[211:212]
	v_add_f64 v[203:204], v[203:204], v[205:206]
	v_fma_f64 v[209:210], v[8:9], v[197:198], v[209:210]
	v_fma_f64 v[211:212], v[6:7], v[197:198], -v[199:200]
	ds_load_b128 v[6:9], v1 offset:1408
	scratch_load_b128 v[197:200], off, off offset:736
	s_waitcnt vmcnt(9) lgkmcnt(1)
	v_mul_f64 v[205:206], v[2:3], v[36:37]
	v_mul_f64 v[36:37], v[4:5], v[36:37]
	v_add_f64 v[201:202], v[201:202], v[213:214]
	v_add_f64 v[203:204], v[203:204], v[207:208]
	s_waitcnt vmcnt(8) lgkmcnt(0)
	v_mul_f64 v[207:208], v[6:7], v[195:196]
	v_mul_f64 v[195:196], v[8:9], v[195:196]
	v_fma_f64 v[205:206], v[4:5], v[34:35], v[205:206]
	v_fma_f64 v[213:214], v[2:3], v[34:35], -v[36:37]
	scratch_load_b128 v[34:37], off, off offset:752
	ds_load_b128 v[2:5], v1 offset:1424
	v_add_f64 v[201:202], v[201:202], v[211:212]
	v_add_f64 v[203:204], v[203:204], v[209:210]
	v_fma_f64 v[207:208], v[8:9], v[193:194], v[207:208]
	v_fma_f64 v[211:212], v[6:7], v[193:194], -v[195:196]
	ds_load_b128 v[6:9], v1 offset:1440
	s_waitcnt vmcnt(8) lgkmcnt(1)
	v_mul_f64 v[209:210], v[2:3], v[12:13]
	v_mul_f64 v[12:13], v[4:5], v[12:13]
	scratch_load_b128 v[193:196], off, off offset:768
	v_add_f64 v[201:202], v[201:202], v[213:214]
	v_add_f64 v[203:204], v[203:204], v[205:206]
	s_waitcnt vmcnt(8) lgkmcnt(0)
	v_mul_f64 v[205:206], v[6:7], v[16:17]
	v_mul_f64 v[16:17], v[8:9], v[16:17]
	v_fma_f64 v[209:210], v[4:5], v[10:11], v[209:210]
	v_fma_f64 v[213:214], v[2:3], v[10:11], -v[12:13]
	scratch_load_b128 v[10:13], off, off offset:784
	ds_load_b128 v[2:5], v1 offset:1456
	v_add_f64 v[201:202], v[201:202], v[211:212]
	v_add_f64 v[203:204], v[203:204], v[207:208]
	v_fma_f64 v[205:206], v[8:9], v[14:15], v[205:206]
	v_fma_f64 v[14:15], v[6:7], v[14:15], -v[16:17]
	ds_load_b128 v[6:9], v1 offset:1472
	s_waitcnt vmcnt(8) lgkmcnt(1)
	v_mul_f64 v[207:208], v[2:3], v[20:21]
	v_mul_f64 v[20:21], v[4:5], v[20:21]
	v_add_f64 v[16:17], v[201:202], v[213:214]
	v_add_f64 v[201:202], v[203:204], v[209:210]
	s_waitcnt vmcnt(7) lgkmcnt(0)
	v_mul_f64 v[203:204], v[6:7], v[24:25]
	v_mul_f64 v[24:25], v[8:9], v[24:25]
	v_fma_f64 v[207:208], v[4:5], v[18:19], v[207:208]
	v_fma_f64 v[18:19], v[2:3], v[18:19], -v[20:21]
	ds_load_b128 v[2:5], v1 offset:1488
	v_add_f64 v[14:15], v[16:17], v[14:15]
	v_add_f64 v[16:17], v[201:202], v[205:206]
	v_fma_f64 v[201:202], v[8:9], v[22:23], v[203:204]
	v_fma_f64 v[22:23], v[6:7], v[22:23], -v[24:25]
	ds_load_b128 v[6:9], v1 offset:1504
	s_waitcnt vmcnt(5) lgkmcnt(0)
	v_mul_f64 v[203:204], v[6:7], v[32:33]
	v_mul_f64 v[32:33], v[8:9], v[32:33]
	v_add_f64 v[18:19], v[14:15], v[18:19]
	v_add_f64 v[24:25], v[16:17], v[207:208]
	scratch_load_b128 v[14:17], off, off offset:416
	v_mul_f64 v[20:21], v[2:3], v[28:29]
	v_mul_f64 v[28:29], v[4:5], v[28:29]
	v_add_f64 v[18:19], v[18:19], v[22:23]
	v_add_f64 v[22:23], v[24:25], v[201:202]
	s_delay_alu instid0(VALU_DEP_4) | instskip(NEXT) | instid1(VALU_DEP_4)
	v_fma_f64 v[20:21], v[4:5], v[26:27], v[20:21]
	v_fma_f64 v[26:27], v[2:3], v[26:27], -v[28:29]
	ds_load_b128 v[2:5], v1 offset:1520
	s_waitcnt vmcnt(5) lgkmcnt(0)
	v_mul_f64 v[24:25], v[2:3], v[40:41]
	v_mul_f64 v[28:29], v[4:5], v[40:41]
	v_fma_f64 v[40:41], v[8:9], v[30:31], v[203:204]
	v_fma_f64 v[30:31], v[6:7], v[30:31], -v[32:33]
	ds_load_b128 v[6:9], v1 offset:1536
	v_add_f64 v[20:21], v[22:23], v[20:21]
	v_add_f64 v[18:19], v[18:19], v[26:27]
	v_fma_f64 v[24:25], v[4:5], v[38:39], v[24:25]
	v_fma_f64 v[28:29], v[2:3], v[38:39], -v[28:29]
	ds_load_b128 v[2:5], v1 offset:1552
	s_waitcnt vmcnt(4) lgkmcnt(1)
	v_mul_f64 v[22:23], v[6:7], v[199:200]
	v_mul_f64 v[26:27], v[8:9], v[199:200]
	v_add_f64 v[20:21], v[20:21], v[40:41]
	v_add_f64 v[18:19], v[18:19], v[30:31]
	s_waitcnt vmcnt(3) lgkmcnt(0)
	v_mul_f64 v[30:31], v[2:3], v[36:37]
	v_mul_f64 v[32:33], v[4:5], v[36:37]
	v_fma_f64 v[22:23], v[8:9], v[197:198], v[22:23]
	v_fma_f64 v[26:27], v[6:7], v[197:198], -v[26:27]
	ds_load_b128 v[6:9], v1 offset:1568
	v_add_f64 v[20:21], v[20:21], v[24:25]
	v_add_f64 v[18:19], v[18:19], v[28:29]
	v_fma_f64 v[30:31], v[4:5], v[34:35], v[30:31]
	v_fma_f64 v[32:33], v[2:3], v[34:35], -v[32:33]
	ds_load_b128 v[2:5], v1 offset:1584
	s_waitcnt vmcnt(2) lgkmcnt(1)
	v_mul_f64 v[24:25], v[6:7], v[195:196]
	v_mul_f64 v[28:29], v[8:9], v[195:196]
	v_add_f64 v[20:21], v[20:21], v[22:23]
	v_add_f64 v[18:19], v[18:19], v[26:27]
	s_waitcnt vmcnt(1) lgkmcnt(0)
	v_mul_f64 v[22:23], v[2:3], v[12:13]
	v_mul_f64 v[12:13], v[4:5], v[12:13]
	v_fma_f64 v[8:9], v[8:9], v[193:194], v[24:25]
	v_fma_f64 v[6:7], v[6:7], v[193:194], -v[28:29]
	v_add_f64 v[20:21], v[20:21], v[30:31]
	v_add_f64 v[18:19], v[18:19], v[32:33]
	v_fma_f64 v[4:5], v[4:5], v[10:11], v[22:23]
	v_fma_f64 v[2:3], v[2:3], v[10:11], -v[12:13]
	s_delay_alu instid0(VALU_DEP_4) | instskip(NEXT) | instid1(VALU_DEP_4)
	v_add_f64 v[8:9], v[20:21], v[8:9]
	v_add_f64 v[6:7], v[18:19], v[6:7]
	s_delay_alu instid0(VALU_DEP_2) | instskip(NEXT) | instid1(VALU_DEP_2)
	v_add_f64 v[4:5], v[8:9], v[4:5]
	v_add_f64 v[2:3], v[6:7], v[2:3]
	s_waitcnt vmcnt(0)
	s_delay_alu instid0(VALU_DEP_2) | instskip(NEXT) | instid1(VALU_DEP_2)
	v_add_f64 v[4:5], v[16:17], -v[4:5]
	v_add_f64 v[2:3], v[14:15], -v[2:3]
	scratch_store_b128 off, v[2:5], off offset:416
	v_cmpx_lt_u32_e32 25, v142
	s_cbranch_execz .LBB49_263
; %bb.262:
	scratch_load_b128 v[5:8], v167, off
	v_mov_b32_e32 v2, v1
	v_mov_b32_e32 v3, v1
	;; [unrolled: 1-line block ×3, first 2 shown]
	scratch_store_b128 off, v[1:4], off offset:400
	s_waitcnt vmcnt(0)
	ds_store_b128 v192, v[5:8]
.LBB49_263:
	s_or_b32 exec_lo, exec_lo, s2
	s_waitcnt lgkmcnt(0)
	s_waitcnt_vscnt null, 0x0
	s_barrier
	buffer_gl0_inv
	s_clause 0x7
	scratch_load_b128 v[2:5], off, off offset:416
	scratch_load_b128 v[6:9], off, off offset:432
	;; [unrolled: 1-line block ×8, first 2 shown]
	ds_load_b128 v[34:37], v1 offset:1216
	ds_load_b128 v[193:196], v1 offset:1232
	s_clause 0x1
	scratch_load_b128 v[38:41], off, off offset:544
	scratch_load_b128 v[197:200], off, off offset:560
	s_mov_b32 s2, exec_lo
	s_waitcnt vmcnt(9) lgkmcnt(1)
	v_mul_f64 v[201:202], v[36:37], v[4:5]
	v_mul_f64 v[4:5], v[34:35], v[4:5]
	s_waitcnt vmcnt(8) lgkmcnt(0)
	v_mul_f64 v[203:204], v[193:194], v[8:9]
	v_mul_f64 v[8:9], v[195:196], v[8:9]
	s_delay_alu instid0(VALU_DEP_4) | instskip(NEXT) | instid1(VALU_DEP_4)
	v_fma_f64 v[201:202], v[34:35], v[2:3], -v[201:202]
	v_fma_f64 v[205:206], v[36:37], v[2:3], v[4:5]
	ds_load_b128 v[2:5], v1 offset:1248
	scratch_load_b128 v[34:37], off, off offset:576
	v_fma_f64 v[203:204], v[195:196], v[6:7], v[203:204]
	v_fma_f64 v[209:210], v[193:194], v[6:7], -v[8:9]
	scratch_load_b128 v[193:196], off, off offset:592
	ds_load_b128 v[6:9], v1 offset:1264
	s_waitcnt vmcnt(9) lgkmcnt(1)
	v_mul_f64 v[207:208], v[2:3], v[12:13]
	v_mul_f64 v[12:13], v[4:5], v[12:13]
	s_waitcnt vmcnt(8) lgkmcnt(0)
	v_mul_f64 v[211:212], v[6:7], v[16:17]
	v_mul_f64 v[16:17], v[8:9], v[16:17]
	v_add_f64 v[201:202], v[201:202], 0
	v_add_f64 v[205:206], v[205:206], 0
	v_fma_f64 v[207:208], v[4:5], v[10:11], v[207:208]
	v_fma_f64 v[213:214], v[2:3], v[10:11], -v[12:13]
	ds_load_b128 v[2:5], v1 offset:1280
	scratch_load_b128 v[10:13], off, off offset:608
	v_add_f64 v[201:202], v[201:202], v[209:210]
	v_add_f64 v[203:204], v[205:206], v[203:204]
	v_fma_f64 v[209:210], v[8:9], v[14:15], v[211:212]
	v_fma_f64 v[211:212], v[6:7], v[14:15], -v[16:17]
	scratch_load_b128 v[14:17], off, off offset:624
	ds_load_b128 v[6:9], v1 offset:1296
	s_waitcnt vmcnt(9) lgkmcnt(1)
	v_mul_f64 v[205:206], v[2:3], v[20:21]
	v_mul_f64 v[20:21], v[4:5], v[20:21]
	v_add_f64 v[201:202], v[201:202], v[213:214]
	v_add_f64 v[203:204], v[203:204], v[207:208]
	s_waitcnt vmcnt(8) lgkmcnt(0)
	v_mul_f64 v[207:208], v[6:7], v[24:25]
	v_mul_f64 v[24:25], v[8:9], v[24:25]
	v_fma_f64 v[205:206], v[4:5], v[18:19], v[205:206]
	v_fma_f64 v[213:214], v[2:3], v[18:19], -v[20:21]
	ds_load_b128 v[2:5], v1 offset:1312
	scratch_load_b128 v[18:21], off, off offset:640
	v_add_f64 v[201:202], v[201:202], v[211:212]
	v_add_f64 v[203:204], v[203:204], v[209:210]
	v_fma_f64 v[207:208], v[8:9], v[22:23], v[207:208]
	v_fma_f64 v[211:212], v[6:7], v[22:23], -v[24:25]
	scratch_load_b128 v[22:25], off, off offset:656
	ds_load_b128 v[6:9], v1 offset:1328
	s_waitcnt vmcnt(9) lgkmcnt(1)
	v_mul_f64 v[209:210], v[2:3], v[28:29]
	v_mul_f64 v[28:29], v[4:5], v[28:29]
	v_add_f64 v[201:202], v[201:202], v[213:214]
	v_add_f64 v[203:204], v[203:204], v[205:206]
	s_waitcnt vmcnt(8) lgkmcnt(0)
	v_mul_f64 v[205:206], v[6:7], v[32:33]
	v_mul_f64 v[32:33], v[8:9], v[32:33]
	v_fma_f64 v[209:210], v[4:5], v[26:27], v[209:210]
	v_fma_f64 v[213:214], v[2:3], v[26:27], -v[28:29]
	ds_load_b128 v[2:5], v1 offset:1344
	scratch_load_b128 v[26:29], off, off offset:672
	v_add_f64 v[201:202], v[201:202], v[211:212]
	v_add_f64 v[203:204], v[203:204], v[207:208]
	v_fma_f64 v[205:206], v[8:9], v[30:31], v[205:206]
	v_fma_f64 v[211:212], v[6:7], v[30:31], -v[32:33]
	ds_load_b128 v[6:9], v1 offset:1360
	s_waitcnt vmcnt(8) lgkmcnt(1)
	v_mul_f64 v[207:208], v[2:3], v[40:41]
	v_mul_f64 v[40:41], v[4:5], v[40:41]
	scratch_load_b128 v[30:33], off, off offset:688
	v_add_f64 v[201:202], v[201:202], v[213:214]
	v_add_f64 v[203:204], v[203:204], v[209:210]
	s_waitcnt vmcnt(8) lgkmcnt(0)
	v_mul_f64 v[209:210], v[6:7], v[199:200]
	v_mul_f64 v[199:200], v[8:9], v[199:200]
	v_fma_f64 v[207:208], v[4:5], v[38:39], v[207:208]
	v_fma_f64 v[213:214], v[2:3], v[38:39], -v[40:41]
	ds_load_b128 v[2:5], v1 offset:1376
	scratch_load_b128 v[38:41], off, off offset:704
	v_add_f64 v[201:202], v[201:202], v[211:212]
	v_add_f64 v[203:204], v[203:204], v[205:206]
	v_fma_f64 v[209:210], v[8:9], v[197:198], v[209:210]
	v_fma_f64 v[211:212], v[6:7], v[197:198], -v[199:200]
	ds_load_b128 v[6:9], v1 offset:1392
	scratch_load_b128 v[197:200], off, off offset:720
	s_waitcnt vmcnt(9) lgkmcnt(1)
	v_mul_f64 v[205:206], v[2:3], v[36:37]
	v_mul_f64 v[36:37], v[4:5], v[36:37]
	v_add_f64 v[201:202], v[201:202], v[213:214]
	v_add_f64 v[203:204], v[203:204], v[207:208]
	s_waitcnt vmcnt(8) lgkmcnt(0)
	v_mul_f64 v[207:208], v[6:7], v[195:196]
	v_mul_f64 v[195:196], v[8:9], v[195:196]
	v_fma_f64 v[205:206], v[4:5], v[34:35], v[205:206]
	v_fma_f64 v[213:214], v[2:3], v[34:35], -v[36:37]
	scratch_load_b128 v[34:37], off, off offset:736
	ds_load_b128 v[2:5], v1 offset:1408
	v_add_f64 v[201:202], v[201:202], v[211:212]
	v_add_f64 v[203:204], v[203:204], v[209:210]
	v_fma_f64 v[207:208], v[8:9], v[193:194], v[207:208]
	v_fma_f64 v[211:212], v[6:7], v[193:194], -v[195:196]
	ds_load_b128 v[6:9], v1 offset:1424
	s_waitcnt vmcnt(8) lgkmcnt(1)
	v_mul_f64 v[209:210], v[2:3], v[12:13]
	v_mul_f64 v[12:13], v[4:5], v[12:13]
	scratch_load_b128 v[193:196], off, off offset:752
	v_add_f64 v[201:202], v[201:202], v[213:214]
	v_add_f64 v[203:204], v[203:204], v[205:206]
	s_waitcnt vmcnt(8) lgkmcnt(0)
	v_mul_f64 v[205:206], v[6:7], v[16:17]
	v_mul_f64 v[16:17], v[8:9], v[16:17]
	v_fma_f64 v[209:210], v[4:5], v[10:11], v[209:210]
	v_fma_f64 v[213:214], v[2:3], v[10:11], -v[12:13]
	scratch_load_b128 v[10:13], off, off offset:768
	ds_load_b128 v[2:5], v1 offset:1440
	v_add_f64 v[201:202], v[201:202], v[211:212]
	v_add_f64 v[203:204], v[203:204], v[207:208]
	v_fma_f64 v[205:206], v[8:9], v[14:15], v[205:206]
	v_fma_f64 v[211:212], v[6:7], v[14:15], -v[16:17]
	ds_load_b128 v[6:9], v1 offset:1456
	s_waitcnt vmcnt(8) lgkmcnt(1)
	v_mul_f64 v[207:208], v[2:3], v[20:21]
	v_mul_f64 v[20:21], v[4:5], v[20:21]
	scratch_load_b128 v[14:17], off, off offset:784
	v_add_f64 v[201:202], v[201:202], v[213:214]
	v_add_f64 v[203:204], v[203:204], v[209:210]
	s_waitcnt vmcnt(8) lgkmcnt(0)
	v_mul_f64 v[209:210], v[6:7], v[24:25]
	v_mul_f64 v[24:25], v[8:9], v[24:25]
	v_fma_f64 v[207:208], v[4:5], v[18:19], v[207:208]
	v_fma_f64 v[18:19], v[2:3], v[18:19], -v[20:21]
	ds_load_b128 v[2:5], v1 offset:1472
	v_add_f64 v[20:21], v[201:202], v[211:212]
	v_add_f64 v[201:202], v[203:204], v[205:206]
	v_fma_f64 v[205:206], v[8:9], v[22:23], v[209:210]
	v_fma_f64 v[22:23], v[6:7], v[22:23], -v[24:25]
	ds_load_b128 v[6:9], v1 offset:1488
	s_waitcnt vmcnt(7) lgkmcnt(1)
	v_mul_f64 v[203:204], v[2:3], v[28:29]
	v_mul_f64 v[28:29], v[4:5], v[28:29]
	v_add_f64 v[18:19], v[20:21], v[18:19]
	v_add_f64 v[20:21], v[201:202], v[207:208]
	s_delay_alu instid0(VALU_DEP_4) | instskip(NEXT) | instid1(VALU_DEP_4)
	v_fma_f64 v[201:202], v[4:5], v[26:27], v[203:204]
	v_fma_f64 v[26:27], v[2:3], v[26:27], -v[28:29]
	ds_load_b128 v[2:5], v1 offset:1504
	v_add_f64 v[22:23], v[18:19], v[22:23]
	v_add_f64 v[28:29], v[20:21], v[205:206]
	scratch_load_b128 v[18:21], off, off offset:400
	s_waitcnt vmcnt(7) lgkmcnt(1)
	v_mul_f64 v[24:25], v[6:7], v[32:33]
	v_mul_f64 v[32:33], v[8:9], v[32:33]
	v_add_f64 v[22:23], v[22:23], v[26:27]
	v_add_f64 v[26:27], v[28:29], v[201:202]
	s_delay_alu instid0(VALU_DEP_4) | instskip(NEXT) | instid1(VALU_DEP_4)
	v_fma_f64 v[24:25], v[8:9], v[30:31], v[24:25]
	v_fma_f64 v[30:31], v[6:7], v[30:31], -v[32:33]
	ds_load_b128 v[6:9], v1 offset:1520
	s_waitcnt vmcnt(6) lgkmcnt(1)
	v_mul_f64 v[203:204], v[2:3], v[40:41]
	v_mul_f64 v[40:41], v[4:5], v[40:41]
	s_waitcnt vmcnt(5) lgkmcnt(0)
	v_mul_f64 v[28:29], v[6:7], v[199:200]
	v_mul_f64 v[32:33], v[8:9], v[199:200]
	v_add_f64 v[24:25], v[26:27], v[24:25]
	v_add_f64 v[22:23], v[22:23], v[30:31]
	v_fma_f64 v[199:200], v[4:5], v[38:39], v[203:204]
	v_fma_f64 v[38:39], v[2:3], v[38:39], -v[40:41]
	ds_load_b128 v[2:5], v1 offset:1536
	v_fma_f64 v[28:29], v[8:9], v[197:198], v[28:29]
	v_fma_f64 v[32:33], v[6:7], v[197:198], -v[32:33]
	ds_load_b128 v[6:9], v1 offset:1552
	s_waitcnt vmcnt(4) lgkmcnt(1)
	v_mul_f64 v[26:27], v[2:3], v[36:37]
	v_mul_f64 v[30:31], v[4:5], v[36:37]
	v_add_f64 v[24:25], v[24:25], v[199:200]
	v_add_f64 v[22:23], v[22:23], v[38:39]
	s_waitcnt vmcnt(3) lgkmcnt(0)
	v_mul_f64 v[36:37], v[6:7], v[195:196]
	v_mul_f64 v[38:39], v[8:9], v[195:196]
	v_fma_f64 v[26:27], v[4:5], v[34:35], v[26:27]
	v_fma_f64 v[30:31], v[2:3], v[34:35], -v[30:31]
	ds_load_b128 v[2:5], v1 offset:1568
	v_add_f64 v[24:25], v[24:25], v[28:29]
	v_add_f64 v[22:23], v[22:23], v[32:33]
	v_fma_f64 v[32:33], v[8:9], v[193:194], v[36:37]
	v_fma_f64 v[34:35], v[6:7], v[193:194], -v[38:39]
	ds_load_b128 v[6:9], v1 offset:1584
	s_waitcnt vmcnt(2) lgkmcnt(1)
	v_mul_f64 v[28:29], v[2:3], v[12:13]
	v_mul_f64 v[12:13], v[4:5], v[12:13]
	v_add_f64 v[24:25], v[24:25], v[26:27]
	v_add_f64 v[22:23], v[22:23], v[30:31]
	s_waitcnt vmcnt(1) lgkmcnt(0)
	v_mul_f64 v[26:27], v[6:7], v[16:17]
	v_mul_f64 v[16:17], v[8:9], v[16:17]
	v_fma_f64 v[4:5], v[4:5], v[10:11], v[28:29]
	v_fma_f64 v[1:2], v[2:3], v[10:11], -v[12:13]
	v_add_f64 v[12:13], v[24:25], v[32:33]
	v_add_f64 v[10:11], v[22:23], v[34:35]
	v_fma_f64 v[8:9], v[8:9], v[14:15], v[26:27]
	v_fma_f64 v[6:7], v[6:7], v[14:15], -v[16:17]
	s_delay_alu instid0(VALU_DEP_4) | instskip(NEXT) | instid1(VALU_DEP_4)
	v_add_f64 v[3:4], v[12:13], v[4:5]
	v_add_f64 v[1:2], v[10:11], v[1:2]
	s_delay_alu instid0(VALU_DEP_2) | instskip(NEXT) | instid1(VALU_DEP_2)
	v_add_f64 v[3:4], v[3:4], v[8:9]
	v_add_f64 v[1:2], v[1:2], v[6:7]
	s_waitcnt vmcnt(0)
	s_delay_alu instid0(VALU_DEP_2) | instskip(NEXT) | instid1(VALU_DEP_2)
	v_add_f64 v[3:4], v[20:21], -v[3:4]
	v_add_f64 v[1:2], v[18:19], -v[1:2]
	scratch_store_b128 off, v[1:4], off offset:400
	v_cmpx_lt_u32_e32 24, v142
	s_cbranch_execz .LBB49_265
; %bb.264:
	scratch_load_b128 v[1:4], v168, off
	v_mov_b32_e32 v5, 0
	s_delay_alu instid0(VALU_DEP_1)
	v_mov_b32_e32 v6, v5
	v_mov_b32_e32 v7, v5
	;; [unrolled: 1-line block ×3, first 2 shown]
	scratch_store_b128 off, v[5:8], off offset:384
	s_waitcnt vmcnt(0)
	ds_store_b128 v192, v[1:4]
.LBB49_265:
	s_or_b32 exec_lo, exec_lo, s2
	s_waitcnt lgkmcnt(0)
	s_waitcnt_vscnt null, 0x0
	s_barrier
	buffer_gl0_inv
	s_clause 0x7
	scratch_load_b128 v[2:5], off, off offset:400
	scratch_load_b128 v[6:9], off, off offset:416
	;; [unrolled: 1-line block ×8, first 2 shown]
	v_mov_b32_e32 v1, 0
	s_clause 0x1
	scratch_load_b128 v[38:41], off, off offset:528
	scratch_load_b128 v[197:200], off, off offset:544
	s_mov_b32 s2, exec_lo
	ds_load_b128 v[34:37], v1 offset:1200
	ds_load_b128 v[193:196], v1 offset:1216
	s_waitcnt vmcnt(9) lgkmcnt(1)
	v_mul_f64 v[201:202], v[36:37], v[4:5]
	v_mul_f64 v[4:5], v[34:35], v[4:5]
	s_waitcnt vmcnt(8) lgkmcnt(0)
	v_mul_f64 v[203:204], v[193:194], v[8:9]
	v_mul_f64 v[8:9], v[195:196], v[8:9]
	s_delay_alu instid0(VALU_DEP_4) | instskip(NEXT) | instid1(VALU_DEP_4)
	v_fma_f64 v[201:202], v[34:35], v[2:3], -v[201:202]
	v_fma_f64 v[205:206], v[36:37], v[2:3], v[4:5]
	ds_load_b128 v[2:5], v1 offset:1232
	scratch_load_b128 v[34:37], off, off offset:560
	v_fma_f64 v[203:204], v[195:196], v[6:7], v[203:204]
	v_fma_f64 v[209:210], v[193:194], v[6:7], -v[8:9]
	scratch_load_b128 v[193:196], off, off offset:576
	ds_load_b128 v[6:9], v1 offset:1248
	s_waitcnt vmcnt(9) lgkmcnt(1)
	v_mul_f64 v[207:208], v[2:3], v[12:13]
	v_mul_f64 v[12:13], v[4:5], v[12:13]
	s_waitcnt vmcnt(8) lgkmcnt(0)
	v_mul_f64 v[211:212], v[6:7], v[16:17]
	v_mul_f64 v[16:17], v[8:9], v[16:17]
	v_add_f64 v[201:202], v[201:202], 0
	v_add_f64 v[205:206], v[205:206], 0
	v_fma_f64 v[207:208], v[4:5], v[10:11], v[207:208]
	v_fma_f64 v[213:214], v[2:3], v[10:11], -v[12:13]
	ds_load_b128 v[2:5], v1 offset:1264
	scratch_load_b128 v[10:13], off, off offset:592
	v_add_f64 v[201:202], v[201:202], v[209:210]
	v_add_f64 v[203:204], v[205:206], v[203:204]
	v_fma_f64 v[209:210], v[8:9], v[14:15], v[211:212]
	v_fma_f64 v[211:212], v[6:7], v[14:15], -v[16:17]
	scratch_load_b128 v[14:17], off, off offset:608
	ds_load_b128 v[6:9], v1 offset:1280
	s_waitcnt vmcnt(9) lgkmcnt(1)
	v_mul_f64 v[205:206], v[2:3], v[20:21]
	v_mul_f64 v[20:21], v[4:5], v[20:21]
	v_add_f64 v[201:202], v[201:202], v[213:214]
	v_add_f64 v[203:204], v[203:204], v[207:208]
	s_waitcnt vmcnt(8) lgkmcnt(0)
	v_mul_f64 v[207:208], v[6:7], v[24:25]
	v_mul_f64 v[24:25], v[8:9], v[24:25]
	v_fma_f64 v[205:206], v[4:5], v[18:19], v[205:206]
	v_fma_f64 v[213:214], v[2:3], v[18:19], -v[20:21]
	ds_load_b128 v[2:5], v1 offset:1296
	scratch_load_b128 v[18:21], off, off offset:624
	v_add_f64 v[201:202], v[201:202], v[211:212]
	v_add_f64 v[203:204], v[203:204], v[209:210]
	v_fma_f64 v[207:208], v[8:9], v[22:23], v[207:208]
	v_fma_f64 v[211:212], v[6:7], v[22:23], -v[24:25]
	scratch_load_b128 v[22:25], off, off offset:640
	ds_load_b128 v[6:9], v1 offset:1312
	s_waitcnt vmcnt(9) lgkmcnt(1)
	v_mul_f64 v[209:210], v[2:3], v[28:29]
	v_mul_f64 v[28:29], v[4:5], v[28:29]
	v_add_f64 v[201:202], v[201:202], v[213:214]
	v_add_f64 v[203:204], v[203:204], v[205:206]
	s_waitcnt vmcnt(8) lgkmcnt(0)
	v_mul_f64 v[205:206], v[6:7], v[32:33]
	v_mul_f64 v[32:33], v[8:9], v[32:33]
	;; [unrolled: 18-line block ×3, first 2 shown]
	v_fma_f64 v[207:208], v[4:5], v[38:39], v[207:208]
	v_fma_f64 v[213:214], v[2:3], v[38:39], -v[40:41]
	ds_load_b128 v[2:5], v1 offset:1360
	scratch_load_b128 v[38:41], off, off offset:688
	v_add_f64 v[201:202], v[201:202], v[211:212]
	v_add_f64 v[203:204], v[203:204], v[205:206]
	v_fma_f64 v[209:210], v[8:9], v[197:198], v[209:210]
	v_fma_f64 v[211:212], v[6:7], v[197:198], -v[199:200]
	ds_load_b128 v[6:9], v1 offset:1376
	scratch_load_b128 v[197:200], off, off offset:704
	s_waitcnt vmcnt(9) lgkmcnt(1)
	v_mul_f64 v[205:206], v[2:3], v[36:37]
	v_mul_f64 v[36:37], v[4:5], v[36:37]
	v_add_f64 v[201:202], v[201:202], v[213:214]
	v_add_f64 v[203:204], v[203:204], v[207:208]
	s_waitcnt vmcnt(8) lgkmcnt(0)
	v_mul_f64 v[207:208], v[6:7], v[195:196]
	v_mul_f64 v[195:196], v[8:9], v[195:196]
	v_fma_f64 v[205:206], v[4:5], v[34:35], v[205:206]
	v_fma_f64 v[213:214], v[2:3], v[34:35], -v[36:37]
	scratch_load_b128 v[34:37], off, off offset:720
	ds_load_b128 v[2:5], v1 offset:1392
	v_add_f64 v[201:202], v[201:202], v[211:212]
	v_add_f64 v[203:204], v[203:204], v[209:210]
	v_fma_f64 v[207:208], v[8:9], v[193:194], v[207:208]
	v_fma_f64 v[211:212], v[6:7], v[193:194], -v[195:196]
	ds_load_b128 v[6:9], v1 offset:1408
	s_waitcnt vmcnt(8) lgkmcnt(1)
	v_mul_f64 v[209:210], v[2:3], v[12:13]
	v_mul_f64 v[12:13], v[4:5], v[12:13]
	scratch_load_b128 v[193:196], off, off offset:736
	v_add_f64 v[201:202], v[201:202], v[213:214]
	v_add_f64 v[203:204], v[203:204], v[205:206]
	s_waitcnt vmcnt(8) lgkmcnt(0)
	v_mul_f64 v[205:206], v[6:7], v[16:17]
	v_mul_f64 v[16:17], v[8:9], v[16:17]
	v_fma_f64 v[209:210], v[4:5], v[10:11], v[209:210]
	v_fma_f64 v[213:214], v[2:3], v[10:11], -v[12:13]
	scratch_load_b128 v[10:13], off, off offset:752
	ds_load_b128 v[2:5], v1 offset:1424
	v_add_f64 v[201:202], v[201:202], v[211:212]
	v_add_f64 v[203:204], v[203:204], v[207:208]
	v_fma_f64 v[205:206], v[8:9], v[14:15], v[205:206]
	v_fma_f64 v[211:212], v[6:7], v[14:15], -v[16:17]
	ds_load_b128 v[6:9], v1 offset:1440
	s_waitcnt vmcnt(8) lgkmcnt(1)
	v_mul_f64 v[207:208], v[2:3], v[20:21]
	v_mul_f64 v[20:21], v[4:5], v[20:21]
	scratch_load_b128 v[14:17], off, off offset:768
	v_add_f64 v[201:202], v[201:202], v[213:214]
	v_add_f64 v[203:204], v[203:204], v[209:210]
	s_waitcnt vmcnt(8) lgkmcnt(0)
	v_mul_f64 v[209:210], v[6:7], v[24:25]
	v_mul_f64 v[24:25], v[8:9], v[24:25]
	v_fma_f64 v[207:208], v[4:5], v[18:19], v[207:208]
	v_fma_f64 v[213:214], v[2:3], v[18:19], -v[20:21]
	scratch_load_b128 v[18:21], off, off offset:784
	ds_load_b128 v[2:5], v1 offset:1456
	v_add_f64 v[201:202], v[201:202], v[211:212]
	v_add_f64 v[203:204], v[203:204], v[205:206]
	v_fma_f64 v[209:210], v[8:9], v[22:23], v[209:210]
	v_fma_f64 v[22:23], v[6:7], v[22:23], -v[24:25]
	ds_load_b128 v[6:9], v1 offset:1472
	s_waitcnt vmcnt(8) lgkmcnt(1)
	v_mul_f64 v[205:206], v[2:3], v[28:29]
	v_mul_f64 v[28:29], v[4:5], v[28:29]
	v_add_f64 v[24:25], v[201:202], v[213:214]
	v_add_f64 v[201:202], v[203:204], v[207:208]
	s_waitcnt vmcnt(7) lgkmcnt(0)
	v_mul_f64 v[203:204], v[6:7], v[32:33]
	v_mul_f64 v[32:33], v[8:9], v[32:33]
	v_fma_f64 v[205:206], v[4:5], v[26:27], v[205:206]
	v_fma_f64 v[26:27], v[2:3], v[26:27], -v[28:29]
	ds_load_b128 v[2:5], v1 offset:1488
	v_add_f64 v[22:23], v[24:25], v[22:23]
	v_add_f64 v[24:25], v[201:202], v[209:210]
	v_fma_f64 v[201:202], v[8:9], v[30:31], v[203:204]
	v_fma_f64 v[30:31], v[6:7], v[30:31], -v[32:33]
	ds_load_b128 v[6:9], v1 offset:1504
	s_waitcnt vmcnt(5) lgkmcnt(0)
	v_mul_f64 v[203:204], v[6:7], v[199:200]
	v_mul_f64 v[199:200], v[8:9], v[199:200]
	v_add_f64 v[26:27], v[22:23], v[26:27]
	v_add_f64 v[32:33], v[24:25], v[205:206]
	scratch_load_b128 v[22:25], off, off offset:384
	v_mul_f64 v[28:29], v[2:3], v[40:41]
	v_mul_f64 v[40:41], v[4:5], v[40:41]
	v_add_f64 v[26:27], v[26:27], v[30:31]
	v_add_f64 v[30:31], v[32:33], v[201:202]
	s_delay_alu instid0(VALU_DEP_4) | instskip(NEXT) | instid1(VALU_DEP_4)
	v_fma_f64 v[28:29], v[4:5], v[38:39], v[28:29]
	v_fma_f64 v[38:39], v[2:3], v[38:39], -v[40:41]
	ds_load_b128 v[2:5], v1 offset:1520
	v_fma_f64 v[40:41], v[8:9], v[197:198], v[203:204]
	v_fma_f64 v[197:198], v[6:7], v[197:198], -v[199:200]
	ds_load_b128 v[6:9], v1 offset:1536
	s_waitcnt vmcnt(5) lgkmcnt(1)
	v_mul_f64 v[32:33], v[2:3], v[36:37]
	v_mul_f64 v[36:37], v[4:5], v[36:37]
	v_add_f64 v[28:29], v[30:31], v[28:29]
	v_add_f64 v[26:27], v[26:27], v[38:39]
	s_waitcnt vmcnt(4) lgkmcnt(0)
	v_mul_f64 v[30:31], v[6:7], v[195:196]
	v_mul_f64 v[38:39], v[8:9], v[195:196]
	v_fma_f64 v[32:33], v[4:5], v[34:35], v[32:33]
	v_fma_f64 v[34:35], v[2:3], v[34:35], -v[36:37]
	ds_load_b128 v[2:5], v1 offset:1552
	v_add_f64 v[28:29], v[28:29], v[40:41]
	v_add_f64 v[26:27], v[26:27], v[197:198]
	v_fma_f64 v[30:31], v[8:9], v[193:194], v[30:31]
	v_fma_f64 v[38:39], v[6:7], v[193:194], -v[38:39]
	ds_load_b128 v[6:9], v1 offset:1568
	s_waitcnt vmcnt(3) lgkmcnt(1)
	v_mul_f64 v[36:37], v[2:3], v[12:13]
	v_mul_f64 v[12:13], v[4:5], v[12:13]
	v_add_f64 v[28:29], v[28:29], v[32:33]
	v_add_f64 v[26:27], v[26:27], v[34:35]
	s_waitcnt vmcnt(2) lgkmcnt(0)
	v_mul_f64 v[32:33], v[6:7], v[16:17]
	v_mul_f64 v[16:17], v[8:9], v[16:17]
	v_fma_f64 v[34:35], v[4:5], v[10:11], v[36:37]
	v_fma_f64 v[10:11], v[2:3], v[10:11], -v[12:13]
	ds_load_b128 v[2:5], v1 offset:1584
	v_add_f64 v[12:13], v[26:27], v[38:39]
	v_add_f64 v[26:27], v[28:29], v[30:31]
	s_waitcnt vmcnt(1) lgkmcnt(0)
	v_mul_f64 v[28:29], v[2:3], v[20:21]
	v_mul_f64 v[20:21], v[4:5], v[20:21]
	v_fma_f64 v[8:9], v[8:9], v[14:15], v[32:33]
	v_fma_f64 v[6:7], v[6:7], v[14:15], -v[16:17]
	v_add_f64 v[10:11], v[12:13], v[10:11]
	v_add_f64 v[12:13], v[26:27], v[34:35]
	v_fma_f64 v[4:5], v[4:5], v[18:19], v[28:29]
	v_fma_f64 v[2:3], v[2:3], v[18:19], -v[20:21]
	s_delay_alu instid0(VALU_DEP_4) | instskip(NEXT) | instid1(VALU_DEP_4)
	v_add_f64 v[6:7], v[10:11], v[6:7]
	v_add_f64 v[8:9], v[12:13], v[8:9]
	s_delay_alu instid0(VALU_DEP_2) | instskip(NEXT) | instid1(VALU_DEP_2)
	v_add_f64 v[2:3], v[6:7], v[2:3]
	v_add_f64 v[4:5], v[8:9], v[4:5]
	s_waitcnt vmcnt(0)
	s_delay_alu instid0(VALU_DEP_2) | instskip(NEXT) | instid1(VALU_DEP_2)
	v_add_f64 v[2:3], v[22:23], -v[2:3]
	v_add_f64 v[4:5], v[24:25], -v[4:5]
	scratch_store_b128 off, v[2:5], off offset:384
	v_cmpx_lt_u32_e32 23, v142
	s_cbranch_execz .LBB49_267
; %bb.266:
	scratch_load_b128 v[5:8], v170, off
	v_mov_b32_e32 v2, v1
	v_mov_b32_e32 v3, v1
	;; [unrolled: 1-line block ×3, first 2 shown]
	scratch_store_b128 off, v[1:4], off offset:368
	s_waitcnt vmcnt(0)
	ds_store_b128 v192, v[5:8]
.LBB49_267:
	s_or_b32 exec_lo, exec_lo, s2
	s_waitcnt lgkmcnt(0)
	s_waitcnt_vscnt null, 0x0
	s_barrier
	buffer_gl0_inv
	s_clause 0x7
	scratch_load_b128 v[2:5], off, off offset:384
	scratch_load_b128 v[6:9], off, off offset:400
	;; [unrolled: 1-line block ×8, first 2 shown]
	ds_load_b128 v[38:41], v1 offset:1184
	ds_load_b128 v[193:196], v1 offset:1200
	s_clause 0x1
	scratch_load_b128 v[34:37], off, off offset:512
	scratch_load_b128 v[197:200], off, off offset:528
	s_mov_b32 s2, exec_lo
	s_waitcnt vmcnt(9) lgkmcnt(1)
	v_mul_f64 v[201:202], v[40:41], v[4:5]
	v_mul_f64 v[4:5], v[38:39], v[4:5]
	s_waitcnt vmcnt(8) lgkmcnt(0)
	v_mul_f64 v[203:204], v[193:194], v[8:9]
	v_mul_f64 v[8:9], v[195:196], v[8:9]
	s_delay_alu instid0(VALU_DEP_4) | instskip(NEXT) | instid1(VALU_DEP_4)
	v_fma_f64 v[201:202], v[38:39], v[2:3], -v[201:202]
	v_fma_f64 v[205:206], v[40:41], v[2:3], v[4:5]
	ds_load_b128 v[2:5], v1 offset:1216
	scratch_load_b128 v[38:41], off, off offset:544
	v_fma_f64 v[203:204], v[195:196], v[6:7], v[203:204]
	v_fma_f64 v[209:210], v[193:194], v[6:7], -v[8:9]
	scratch_load_b128 v[193:196], off, off offset:560
	ds_load_b128 v[6:9], v1 offset:1232
	s_waitcnt vmcnt(9) lgkmcnt(1)
	v_mul_f64 v[207:208], v[2:3], v[12:13]
	v_mul_f64 v[12:13], v[4:5], v[12:13]
	s_waitcnt vmcnt(8) lgkmcnt(0)
	v_mul_f64 v[211:212], v[6:7], v[16:17]
	v_mul_f64 v[16:17], v[8:9], v[16:17]
	v_add_f64 v[201:202], v[201:202], 0
	v_add_f64 v[205:206], v[205:206], 0
	v_fma_f64 v[207:208], v[4:5], v[10:11], v[207:208]
	v_fma_f64 v[213:214], v[2:3], v[10:11], -v[12:13]
	ds_load_b128 v[2:5], v1 offset:1248
	scratch_load_b128 v[10:13], off, off offset:576
	v_add_f64 v[201:202], v[201:202], v[209:210]
	v_add_f64 v[203:204], v[205:206], v[203:204]
	v_fma_f64 v[209:210], v[8:9], v[14:15], v[211:212]
	v_fma_f64 v[211:212], v[6:7], v[14:15], -v[16:17]
	scratch_load_b128 v[14:17], off, off offset:592
	ds_load_b128 v[6:9], v1 offset:1264
	s_waitcnt vmcnt(9) lgkmcnt(1)
	v_mul_f64 v[205:206], v[2:3], v[20:21]
	v_mul_f64 v[20:21], v[4:5], v[20:21]
	v_add_f64 v[201:202], v[201:202], v[213:214]
	v_add_f64 v[203:204], v[203:204], v[207:208]
	s_waitcnt vmcnt(8) lgkmcnt(0)
	v_mul_f64 v[207:208], v[6:7], v[24:25]
	v_mul_f64 v[24:25], v[8:9], v[24:25]
	v_fma_f64 v[205:206], v[4:5], v[18:19], v[205:206]
	v_fma_f64 v[213:214], v[2:3], v[18:19], -v[20:21]
	ds_load_b128 v[2:5], v1 offset:1280
	scratch_load_b128 v[18:21], off, off offset:608
	v_add_f64 v[201:202], v[201:202], v[211:212]
	v_add_f64 v[203:204], v[203:204], v[209:210]
	v_fma_f64 v[207:208], v[8:9], v[22:23], v[207:208]
	v_fma_f64 v[211:212], v[6:7], v[22:23], -v[24:25]
	scratch_load_b128 v[22:25], off, off offset:624
	ds_load_b128 v[6:9], v1 offset:1296
	s_waitcnt vmcnt(9) lgkmcnt(1)
	v_mul_f64 v[209:210], v[2:3], v[28:29]
	v_mul_f64 v[28:29], v[4:5], v[28:29]
	v_add_f64 v[201:202], v[201:202], v[213:214]
	v_add_f64 v[203:204], v[203:204], v[205:206]
	s_waitcnt vmcnt(8) lgkmcnt(0)
	v_mul_f64 v[205:206], v[6:7], v[32:33]
	v_mul_f64 v[32:33], v[8:9], v[32:33]
	;; [unrolled: 18-line block ×3, first 2 shown]
	v_fma_f64 v[207:208], v[4:5], v[34:35], v[207:208]
	v_fma_f64 v[213:214], v[2:3], v[34:35], -v[36:37]
	ds_load_b128 v[2:5], v1 offset:1344
	scratch_load_b128 v[34:37], off, off offset:672
	v_add_f64 v[201:202], v[201:202], v[211:212]
	v_add_f64 v[203:204], v[203:204], v[205:206]
	v_fma_f64 v[209:210], v[8:9], v[197:198], v[209:210]
	v_fma_f64 v[211:212], v[6:7], v[197:198], -v[199:200]
	ds_load_b128 v[6:9], v1 offset:1360
	scratch_load_b128 v[197:200], off, off offset:688
	s_waitcnt vmcnt(9) lgkmcnt(1)
	v_mul_f64 v[205:206], v[2:3], v[40:41]
	v_mul_f64 v[40:41], v[4:5], v[40:41]
	v_add_f64 v[201:202], v[201:202], v[213:214]
	v_add_f64 v[203:204], v[203:204], v[207:208]
	s_waitcnt vmcnt(8) lgkmcnt(0)
	v_mul_f64 v[207:208], v[6:7], v[195:196]
	v_mul_f64 v[195:196], v[8:9], v[195:196]
	v_fma_f64 v[205:206], v[4:5], v[38:39], v[205:206]
	v_fma_f64 v[213:214], v[2:3], v[38:39], -v[40:41]
	ds_load_b128 v[2:5], v1 offset:1376
	scratch_load_b128 v[38:41], off, off offset:704
	v_add_f64 v[201:202], v[201:202], v[211:212]
	v_add_f64 v[203:204], v[203:204], v[209:210]
	v_fma_f64 v[207:208], v[8:9], v[193:194], v[207:208]
	v_fma_f64 v[211:212], v[6:7], v[193:194], -v[195:196]
	ds_load_b128 v[6:9], v1 offset:1392
	s_waitcnt vmcnt(8) lgkmcnt(1)
	v_mul_f64 v[209:210], v[2:3], v[12:13]
	v_mul_f64 v[12:13], v[4:5], v[12:13]
	scratch_load_b128 v[193:196], off, off offset:720
	v_add_f64 v[201:202], v[201:202], v[213:214]
	v_add_f64 v[203:204], v[203:204], v[205:206]
	s_waitcnt vmcnt(8) lgkmcnt(0)
	v_mul_f64 v[205:206], v[6:7], v[16:17]
	v_mul_f64 v[16:17], v[8:9], v[16:17]
	v_fma_f64 v[209:210], v[4:5], v[10:11], v[209:210]
	v_fma_f64 v[213:214], v[2:3], v[10:11], -v[12:13]
	scratch_load_b128 v[10:13], off, off offset:736
	ds_load_b128 v[2:5], v1 offset:1408
	v_add_f64 v[201:202], v[201:202], v[211:212]
	v_add_f64 v[203:204], v[203:204], v[207:208]
	v_fma_f64 v[205:206], v[8:9], v[14:15], v[205:206]
	v_fma_f64 v[211:212], v[6:7], v[14:15], -v[16:17]
	ds_load_b128 v[6:9], v1 offset:1424
	s_waitcnt vmcnt(8) lgkmcnt(1)
	v_mul_f64 v[207:208], v[2:3], v[20:21]
	v_mul_f64 v[20:21], v[4:5], v[20:21]
	scratch_load_b128 v[14:17], off, off offset:752
	v_add_f64 v[201:202], v[201:202], v[213:214]
	v_add_f64 v[203:204], v[203:204], v[209:210]
	s_waitcnt vmcnt(8) lgkmcnt(0)
	v_mul_f64 v[209:210], v[6:7], v[24:25]
	v_mul_f64 v[24:25], v[8:9], v[24:25]
	v_fma_f64 v[207:208], v[4:5], v[18:19], v[207:208]
	v_fma_f64 v[213:214], v[2:3], v[18:19], -v[20:21]
	scratch_load_b128 v[18:21], off, off offset:768
	ds_load_b128 v[2:5], v1 offset:1440
	v_add_f64 v[201:202], v[201:202], v[211:212]
	v_add_f64 v[203:204], v[203:204], v[205:206]
	v_fma_f64 v[209:210], v[8:9], v[22:23], v[209:210]
	v_fma_f64 v[211:212], v[6:7], v[22:23], -v[24:25]
	ds_load_b128 v[6:9], v1 offset:1456
	s_waitcnt vmcnt(8) lgkmcnt(1)
	v_mul_f64 v[205:206], v[2:3], v[28:29]
	v_mul_f64 v[28:29], v[4:5], v[28:29]
	scratch_load_b128 v[22:25], off, off offset:784
	v_add_f64 v[201:202], v[201:202], v[213:214]
	v_add_f64 v[203:204], v[203:204], v[207:208]
	s_waitcnt vmcnt(8) lgkmcnt(0)
	v_mul_f64 v[207:208], v[6:7], v[32:33]
	v_mul_f64 v[32:33], v[8:9], v[32:33]
	v_fma_f64 v[205:206], v[4:5], v[26:27], v[205:206]
	v_fma_f64 v[26:27], v[2:3], v[26:27], -v[28:29]
	ds_load_b128 v[2:5], v1 offset:1472
	v_add_f64 v[28:29], v[201:202], v[211:212]
	v_add_f64 v[201:202], v[203:204], v[209:210]
	v_fma_f64 v[207:208], v[8:9], v[30:31], v[207:208]
	v_fma_f64 v[30:31], v[6:7], v[30:31], -v[32:33]
	ds_load_b128 v[6:9], v1 offset:1488
	s_waitcnt vmcnt(7) lgkmcnt(1)
	v_mul_f64 v[203:204], v[2:3], v[36:37]
	v_mul_f64 v[36:37], v[4:5], v[36:37]
	v_add_f64 v[26:27], v[28:29], v[26:27]
	v_add_f64 v[28:29], v[201:202], v[205:206]
	s_delay_alu instid0(VALU_DEP_4) | instskip(NEXT) | instid1(VALU_DEP_4)
	v_fma_f64 v[201:202], v[4:5], v[34:35], v[203:204]
	v_fma_f64 v[34:35], v[2:3], v[34:35], -v[36:37]
	ds_load_b128 v[2:5], v1 offset:1504
	v_add_f64 v[30:31], v[26:27], v[30:31]
	v_add_f64 v[36:37], v[28:29], v[207:208]
	scratch_load_b128 v[26:29], off, off offset:368
	s_waitcnt vmcnt(7) lgkmcnt(1)
	v_mul_f64 v[32:33], v[6:7], v[199:200]
	v_mul_f64 v[199:200], v[8:9], v[199:200]
	v_add_f64 v[30:31], v[30:31], v[34:35]
	v_add_f64 v[34:35], v[36:37], v[201:202]
	s_delay_alu instid0(VALU_DEP_4) | instskip(NEXT) | instid1(VALU_DEP_4)
	v_fma_f64 v[32:33], v[8:9], v[197:198], v[32:33]
	v_fma_f64 v[197:198], v[6:7], v[197:198], -v[199:200]
	ds_load_b128 v[6:9], v1 offset:1520
	s_waitcnt vmcnt(6) lgkmcnt(1)
	v_mul_f64 v[203:204], v[2:3], v[40:41]
	v_mul_f64 v[40:41], v[4:5], v[40:41]
	s_waitcnt vmcnt(5) lgkmcnt(0)
	v_mul_f64 v[36:37], v[6:7], v[195:196]
	v_mul_f64 v[195:196], v[8:9], v[195:196]
	v_add_f64 v[32:33], v[34:35], v[32:33]
	v_add_f64 v[30:31], v[30:31], v[197:198]
	v_fma_f64 v[199:200], v[4:5], v[38:39], v[203:204]
	v_fma_f64 v[38:39], v[2:3], v[38:39], -v[40:41]
	ds_load_b128 v[2:5], v1 offset:1536
	v_fma_f64 v[36:37], v[8:9], v[193:194], v[36:37]
	v_fma_f64 v[40:41], v[6:7], v[193:194], -v[195:196]
	ds_load_b128 v[6:9], v1 offset:1552
	s_waitcnt vmcnt(4) lgkmcnt(1)
	v_mul_f64 v[34:35], v[2:3], v[12:13]
	v_mul_f64 v[12:13], v[4:5], v[12:13]
	v_add_f64 v[32:33], v[32:33], v[199:200]
	v_add_f64 v[30:31], v[30:31], v[38:39]
	s_waitcnt vmcnt(3) lgkmcnt(0)
	v_mul_f64 v[38:39], v[6:7], v[16:17]
	v_mul_f64 v[16:17], v[8:9], v[16:17]
	v_fma_f64 v[34:35], v[4:5], v[10:11], v[34:35]
	v_fma_f64 v[10:11], v[2:3], v[10:11], -v[12:13]
	ds_load_b128 v[2:5], v1 offset:1568
	v_add_f64 v[12:13], v[30:31], v[40:41]
	v_add_f64 v[30:31], v[32:33], v[36:37]
	v_fma_f64 v[36:37], v[8:9], v[14:15], v[38:39]
	v_fma_f64 v[14:15], v[6:7], v[14:15], -v[16:17]
	ds_load_b128 v[6:9], v1 offset:1584
	s_waitcnt vmcnt(2) lgkmcnt(1)
	v_mul_f64 v[32:33], v[2:3], v[20:21]
	v_mul_f64 v[20:21], v[4:5], v[20:21]
	s_waitcnt vmcnt(1) lgkmcnt(0)
	v_mul_f64 v[16:17], v[6:7], v[24:25]
	v_mul_f64 v[24:25], v[8:9], v[24:25]
	v_add_f64 v[10:11], v[12:13], v[10:11]
	v_add_f64 v[12:13], v[30:31], v[34:35]
	v_fma_f64 v[4:5], v[4:5], v[18:19], v[32:33]
	v_fma_f64 v[1:2], v[2:3], v[18:19], -v[20:21]
	v_fma_f64 v[8:9], v[8:9], v[22:23], v[16:17]
	v_fma_f64 v[6:7], v[6:7], v[22:23], -v[24:25]
	v_add_f64 v[10:11], v[10:11], v[14:15]
	v_add_f64 v[12:13], v[12:13], v[36:37]
	s_delay_alu instid0(VALU_DEP_2) | instskip(NEXT) | instid1(VALU_DEP_2)
	v_add_f64 v[1:2], v[10:11], v[1:2]
	v_add_f64 v[3:4], v[12:13], v[4:5]
	s_delay_alu instid0(VALU_DEP_2) | instskip(NEXT) | instid1(VALU_DEP_2)
	v_add_f64 v[1:2], v[1:2], v[6:7]
	v_add_f64 v[3:4], v[3:4], v[8:9]
	s_waitcnt vmcnt(0)
	s_delay_alu instid0(VALU_DEP_2) | instskip(NEXT) | instid1(VALU_DEP_2)
	v_add_f64 v[1:2], v[26:27], -v[1:2]
	v_add_f64 v[3:4], v[28:29], -v[3:4]
	scratch_store_b128 off, v[1:4], off offset:368
	v_cmpx_lt_u32_e32 22, v142
	s_cbranch_execz .LBB49_269
; %bb.268:
	scratch_load_b128 v[1:4], v169, off
	v_mov_b32_e32 v5, 0
	s_delay_alu instid0(VALU_DEP_1)
	v_mov_b32_e32 v6, v5
	v_mov_b32_e32 v7, v5
	;; [unrolled: 1-line block ×3, first 2 shown]
	scratch_store_b128 off, v[5:8], off offset:352
	s_waitcnt vmcnt(0)
	ds_store_b128 v192, v[1:4]
.LBB49_269:
	s_or_b32 exec_lo, exec_lo, s2
	s_waitcnt lgkmcnt(0)
	s_waitcnt_vscnt null, 0x0
	s_barrier
	buffer_gl0_inv
	s_clause 0x7
	scratch_load_b128 v[2:5], off, off offset:368
	scratch_load_b128 v[6:9], off, off offset:384
	;; [unrolled: 1-line block ×8, first 2 shown]
	v_mov_b32_e32 v1, 0
	s_clause 0x1
	scratch_load_b128 v[34:37], off, off offset:496
	scratch_load_b128 v[197:200], off, off offset:512
	s_mov_b32 s2, exec_lo
	ds_load_b128 v[38:41], v1 offset:1168
	ds_load_b128 v[193:196], v1 offset:1184
	s_waitcnt vmcnt(9) lgkmcnt(1)
	v_mul_f64 v[201:202], v[40:41], v[4:5]
	v_mul_f64 v[4:5], v[38:39], v[4:5]
	s_waitcnt vmcnt(8) lgkmcnt(0)
	v_mul_f64 v[203:204], v[193:194], v[8:9]
	v_mul_f64 v[8:9], v[195:196], v[8:9]
	s_delay_alu instid0(VALU_DEP_4) | instskip(NEXT) | instid1(VALU_DEP_4)
	v_fma_f64 v[201:202], v[38:39], v[2:3], -v[201:202]
	v_fma_f64 v[205:206], v[40:41], v[2:3], v[4:5]
	ds_load_b128 v[2:5], v1 offset:1200
	scratch_load_b128 v[38:41], off, off offset:528
	v_fma_f64 v[203:204], v[195:196], v[6:7], v[203:204]
	v_fma_f64 v[209:210], v[193:194], v[6:7], -v[8:9]
	scratch_load_b128 v[193:196], off, off offset:544
	ds_load_b128 v[6:9], v1 offset:1216
	s_waitcnt vmcnt(9) lgkmcnt(1)
	v_mul_f64 v[207:208], v[2:3], v[12:13]
	v_mul_f64 v[12:13], v[4:5], v[12:13]
	s_waitcnt vmcnt(8) lgkmcnt(0)
	v_mul_f64 v[211:212], v[6:7], v[16:17]
	v_mul_f64 v[16:17], v[8:9], v[16:17]
	v_add_f64 v[201:202], v[201:202], 0
	v_add_f64 v[205:206], v[205:206], 0
	v_fma_f64 v[207:208], v[4:5], v[10:11], v[207:208]
	v_fma_f64 v[213:214], v[2:3], v[10:11], -v[12:13]
	ds_load_b128 v[2:5], v1 offset:1232
	scratch_load_b128 v[10:13], off, off offset:560
	v_add_f64 v[201:202], v[201:202], v[209:210]
	v_add_f64 v[203:204], v[205:206], v[203:204]
	v_fma_f64 v[209:210], v[8:9], v[14:15], v[211:212]
	v_fma_f64 v[211:212], v[6:7], v[14:15], -v[16:17]
	scratch_load_b128 v[14:17], off, off offset:576
	ds_load_b128 v[6:9], v1 offset:1248
	s_waitcnt vmcnt(9) lgkmcnt(1)
	v_mul_f64 v[205:206], v[2:3], v[20:21]
	v_mul_f64 v[20:21], v[4:5], v[20:21]
	v_add_f64 v[201:202], v[201:202], v[213:214]
	v_add_f64 v[203:204], v[203:204], v[207:208]
	s_waitcnt vmcnt(8) lgkmcnt(0)
	v_mul_f64 v[207:208], v[6:7], v[24:25]
	v_mul_f64 v[24:25], v[8:9], v[24:25]
	v_fma_f64 v[205:206], v[4:5], v[18:19], v[205:206]
	v_fma_f64 v[213:214], v[2:3], v[18:19], -v[20:21]
	ds_load_b128 v[2:5], v1 offset:1264
	scratch_load_b128 v[18:21], off, off offset:592
	v_add_f64 v[201:202], v[201:202], v[211:212]
	v_add_f64 v[203:204], v[203:204], v[209:210]
	v_fma_f64 v[207:208], v[8:9], v[22:23], v[207:208]
	v_fma_f64 v[211:212], v[6:7], v[22:23], -v[24:25]
	scratch_load_b128 v[22:25], off, off offset:608
	ds_load_b128 v[6:9], v1 offset:1280
	s_waitcnt vmcnt(9) lgkmcnt(1)
	v_mul_f64 v[209:210], v[2:3], v[28:29]
	v_mul_f64 v[28:29], v[4:5], v[28:29]
	v_add_f64 v[201:202], v[201:202], v[213:214]
	v_add_f64 v[203:204], v[203:204], v[205:206]
	s_waitcnt vmcnt(8) lgkmcnt(0)
	v_mul_f64 v[205:206], v[6:7], v[32:33]
	v_mul_f64 v[32:33], v[8:9], v[32:33]
	;; [unrolled: 18-line block ×4, first 2 shown]
	v_fma_f64 v[205:206], v[4:5], v[38:39], v[205:206]
	v_fma_f64 v[213:214], v[2:3], v[38:39], -v[40:41]
	ds_load_b128 v[2:5], v1 offset:1360
	scratch_load_b128 v[38:41], off, off offset:688
	v_add_f64 v[201:202], v[201:202], v[211:212]
	v_add_f64 v[203:204], v[203:204], v[209:210]
	v_fma_f64 v[207:208], v[8:9], v[193:194], v[207:208]
	v_fma_f64 v[211:212], v[6:7], v[193:194], -v[195:196]
	ds_load_b128 v[6:9], v1 offset:1376
	s_waitcnt vmcnt(8) lgkmcnt(1)
	v_mul_f64 v[209:210], v[2:3], v[12:13]
	v_mul_f64 v[12:13], v[4:5], v[12:13]
	scratch_load_b128 v[193:196], off, off offset:704
	v_add_f64 v[201:202], v[201:202], v[213:214]
	v_add_f64 v[203:204], v[203:204], v[205:206]
	s_waitcnt vmcnt(8) lgkmcnt(0)
	v_mul_f64 v[205:206], v[6:7], v[16:17]
	v_mul_f64 v[16:17], v[8:9], v[16:17]
	v_fma_f64 v[209:210], v[4:5], v[10:11], v[209:210]
	v_fma_f64 v[213:214], v[2:3], v[10:11], -v[12:13]
	scratch_load_b128 v[10:13], off, off offset:720
	ds_load_b128 v[2:5], v1 offset:1392
	v_add_f64 v[201:202], v[201:202], v[211:212]
	v_add_f64 v[203:204], v[203:204], v[207:208]
	v_fma_f64 v[205:206], v[8:9], v[14:15], v[205:206]
	v_fma_f64 v[211:212], v[6:7], v[14:15], -v[16:17]
	ds_load_b128 v[6:9], v1 offset:1408
	s_waitcnt vmcnt(8) lgkmcnt(1)
	v_mul_f64 v[207:208], v[2:3], v[20:21]
	v_mul_f64 v[20:21], v[4:5], v[20:21]
	scratch_load_b128 v[14:17], off, off offset:736
	v_add_f64 v[201:202], v[201:202], v[213:214]
	v_add_f64 v[203:204], v[203:204], v[209:210]
	s_waitcnt vmcnt(8) lgkmcnt(0)
	v_mul_f64 v[209:210], v[6:7], v[24:25]
	v_mul_f64 v[24:25], v[8:9], v[24:25]
	v_fma_f64 v[207:208], v[4:5], v[18:19], v[207:208]
	v_fma_f64 v[213:214], v[2:3], v[18:19], -v[20:21]
	scratch_load_b128 v[18:21], off, off offset:752
	ds_load_b128 v[2:5], v1 offset:1424
	;; [unrolled: 18-line block ×3, first 2 shown]
	v_add_f64 v[201:202], v[201:202], v[211:212]
	v_add_f64 v[203:204], v[203:204], v[209:210]
	v_fma_f64 v[207:208], v[8:9], v[30:31], v[207:208]
	v_fma_f64 v[30:31], v[6:7], v[30:31], -v[32:33]
	ds_load_b128 v[6:9], v1 offset:1472
	s_waitcnt vmcnt(8) lgkmcnt(1)
	v_mul_f64 v[209:210], v[2:3], v[36:37]
	v_mul_f64 v[36:37], v[4:5], v[36:37]
	v_add_f64 v[32:33], v[201:202], v[213:214]
	v_add_f64 v[201:202], v[203:204], v[205:206]
	s_waitcnt vmcnt(7) lgkmcnt(0)
	v_mul_f64 v[203:204], v[6:7], v[199:200]
	v_mul_f64 v[199:200], v[8:9], v[199:200]
	v_fma_f64 v[205:206], v[4:5], v[34:35], v[209:210]
	v_fma_f64 v[34:35], v[2:3], v[34:35], -v[36:37]
	ds_load_b128 v[2:5], v1 offset:1488
	v_add_f64 v[30:31], v[32:33], v[30:31]
	v_add_f64 v[32:33], v[201:202], v[207:208]
	v_fma_f64 v[201:202], v[8:9], v[197:198], v[203:204]
	v_fma_f64 v[197:198], v[6:7], v[197:198], -v[199:200]
	ds_load_b128 v[6:9], v1 offset:1504
	s_waitcnt vmcnt(5) lgkmcnt(0)
	v_mul_f64 v[203:204], v[6:7], v[195:196]
	v_mul_f64 v[195:196], v[8:9], v[195:196]
	v_add_f64 v[34:35], v[30:31], v[34:35]
	v_add_f64 v[199:200], v[32:33], v[205:206]
	scratch_load_b128 v[30:33], off, off offset:352
	v_mul_f64 v[36:37], v[2:3], v[40:41]
	v_mul_f64 v[40:41], v[4:5], v[40:41]
	v_add_f64 v[34:35], v[34:35], v[197:198]
	s_delay_alu instid0(VALU_DEP_3) | instskip(NEXT) | instid1(VALU_DEP_3)
	v_fma_f64 v[36:37], v[4:5], v[38:39], v[36:37]
	v_fma_f64 v[38:39], v[2:3], v[38:39], -v[40:41]
	v_add_f64 v[40:41], v[199:200], v[201:202]
	ds_load_b128 v[2:5], v1 offset:1520
	v_fma_f64 v[199:200], v[8:9], v[193:194], v[203:204]
	v_fma_f64 v[193:194], v[6:7], v[193:194], -v[195:196]
	ds_load_b128 v[6:9], v1 offset:1536
	s_waitcnt vmcnt(5) lgkmcnt(1)
	v_mul_f64 v[197:198], v[2:3], v[12:13]
	v_mul_f64 v[12:13], v[4:5], v[12:13]
	v_add_f64 v[34:35], v[34:35], v[38:39]
	v_add_f64 v[36:37], v[40:41], v[36:37]
	s_waitcnt vmcnt(4) lgkmcnt(0)
	v_mul_f64 v[38:39], v[6:7], v[16:17]
	v_mul_f64 v[16:17], v[8:9], v[16:17]
	v_fma_f64 v[40:41], v[4:5], v[10:11], v[197:198]
	v_fma_f64 v[10:11], v[2:3], v[10:11], -v[12:13]
	ds_load_b128 v[2:5], v1 offset:1552
	v_add_f64 v[12:13], v[34:35], v[193:194]
	v_add_f64 v[34:35], v[36:37], v[199:200]
	v_fma_f64 v[38:39], v[8:9], v[14:15], v[38:39]
	v_fma_f64 v[14:15], v[6:7], v[14:15], -v[16:17]
	ds_load_b128 v[6:9], v1 offset:1568
	s_waitcnt vmcnt(3) lgkmcnt(1)
	v_mul_f64 v[36:37], v[2:3], v[20:21]
	v_mul_f64 v[20:21], v[4:5], v[20:21]
	s_waitcnt vmcnt(2) lgkmcnt(0)
	v_mul_f64 v[16:17], v[6:7], v[24:25]
	v_mul_f64 v[24:25], v[8:9], v[24:25]
	v_add_f64 v[10:11], v[12:13], v[10:11]
	v_add_f64 v[12:13], v[34:35], v[40:41]
	v_fma_f64 v[34:35], v[4:5], v[18:19], v[36:37]
	v_fma_f64 v[18:19], v[2:3], v[18:19], -v[20:21]
	ds_load_b128 v[2:5], v1 offset:1584
	v_fma_f64 v[8:9], v[8:9], v[22:23], v[16:17]
	v_fma_f64 v[6:7], v[6:7], v[22:23], -v[24:25]
	s_waitcnt vmcnt(1) lgkmcnt(0)
	v_mul_f64 v[20:21], v[4:5], v[28:29]
	v_add_f64 v[10:11], v[10:11], v[14:15]
	v_add_f64 v[12:13], v[12:13], v[38:39]
	v_mul_f64 v[14:15], v[2:3], v[28:29]
	s_delay_alu instid0(VALU_DEP_4) | instskip(NEXT) | instid1(VALU_DEP_4)
	v_fma_f64 v[2:3], v[2:3], v[26:27], -v[20:21]
	v_add_f64 v[10:11], v[10:11], v[18:19]
	s_delay_alu instid0(VALU_DEP_4) | instskip(NEXT) | instid1(VALU_DEP_4)
	v_add_f64 v[12:13], v[12:13], v[34:35]
	v_fma_f64 v[4:5], v[4:5], v[26:27], v[14:15]
	s_delay_alu instid0(VALU_DEP_3) | instskip(NEXT) | instid1(VALU_DEP_3)
	v_add_f64 v[6:7], v[10:11], v[6:7]
	v_add_f64 v[8:9], v[12:13], v[8:9]
	s_delay_alu instid0(VALU_DEP_2) | instskip(NEXT) | instid1(VALU_DEP_2)
	v_add_f64 v[2:3], v[6:7], v[2:3]
	v_add_f64 v[4:5], v[8:9], v[4:5]
	s_waitcnt vmcnt(0)
	s_delay_alu instid0(VALU_DEP_2) | instskip(NEXT) | instid1(VALU_DEP_2)
	v_add_f64 v[2:3], v[30:31], -v[2:3]
	v_add_f64 v[4:5], v[32:33], -v[4:5]
	scratch_store_b128 off, v[2:5], off offset:352
	v_cmpx_lt_u32_e32 21, v142
	s_cbranch_execz .LBB49_271
; %bb.270:
	scratch_load_b128 v[5:8], v171, off
	v_mov_b32_e32 v2, v1
	v_mov_b32_e32 v3, v1
	;; [unrolled: 1-line block ×3, first 2 shown]
	scratch_store_b128 off, v[1:4], off offset:336
	s_waitcnt vmcnt(0)
	ds_store_b128 v192, v[5:8]
.LBB49_271:
	s_or_b32 exec_lo, exec_lo, s2
	s_waitcnt lgkmcnt(0)
	s_waitcnt_vscnt null, 0x0
	s_barrier
	buffer_gl0_inv
	s_clause 0x7
	scratch_load_b128 v[2:5], off, off offset:352
	scratch_load_b128 v[6:9], off, off offset:368
	;; [unrolled: 1-line block ×8, first 2 shown]
	ds_load_b128 v[38:41], v1 offset:1152
	ds_load_b128 v[193:196], v1 offset:1168
	s_clause 0x1
	scratch_load_b128 v[34:37], off, off offset:480
	scratch_load_b128 v[197:200], off, off offset:496
	s_mov_b32 s2, exec_lo
	s_waitcnt vmcnt(9) lgkmcnt(1)
	v_mul_f64 v[201:202], v[40:41], v[4:5]
	v_mul_f64 v[4:5], v[38:39], v[4:5]
	s_waitcnt vmcnt(8) lgkmcnt(0)
	v_mul_f64 v[203:204], v[193:194], v[8:9]
	v_mul_f64 v[8:9], v[195:196], v[8:9]
	s_delay_alu instid0(VALU_DEP_4) | instskip(NEXT) | instid1(VALU_DEP_4)
	v_fma_f64 v[201:202], v[38:39], v[2:3], -v[201:202]
	v_fma_f64 v[205:206], v[40:41], v[2:3], v[4:5]
	ds_load_b128 v[2:5], v1 offset:1184
	scratch_load_b128 v[38:41], off, off offset:512
	v_fma_f64 v[203:204], v[195:196], v[6:7], v[203:204]
	v_fma_f64 v[209:210], v[193:194], v[6:7], -v[8:9]
	scratch_load_b128 v[193:196], off, off offset:528
	ds_load_b128 v[6:9], v1 offset:1200
	s_waitcnt vmcnt(9) lgkmcnt(1)
	v_mul_f64 v[207:208], v[2:3], v[12:13]
	v_mul_f64 v[12:13], v[4:5], v[12:13]
	s_waitcnt vmcnt(8) lgkmcnt(0)
	v_mul_f64 v[211:212], v[6:7], v[16:17]
	v_mul_f64 v[16:17], v[8:9], v[16:17]
	v_add_f64 v[201:202], v[201:202], 0
	v_add_f64 v[205:206], v[205:206], 0
	v_fma_f64 v[207:208], v[4:5], v[10:11], v[207:208]
	v_fma_f64 v[213:214], v[2:3], v[10:11], -v[12:13]
	ds_load_b128 v[2:5], v1 offset:1216
	scratch_load_b128 v[10:13], off, off offset:544
	v_add_f64 v[201:202], v[201:202], v[209:210]
	v_add_f64 v[203:204], v[205:206], v[203:204]
	v_fma_f64 v[209:210], v[8:9], v[14:15], v[211:212]
	v_fma_f64 v[211:212], v[6:7], v[14:15], -v[16:17]
	scratch_load_b128 v[14:17], off, off offset:560
	ds_load_b128 v[6:9], v1 offset:1232
	s_waitcnt vmcnt(9) lgkmcnt(1)
	v_mul_f64 v[205:206], v[2:3], v[20:21]
	v_mul_f64 v[20:21], v[4:5], v[20:21]
	v_add_f64 v[201:202], v[201:202], v[213:214]
	v_add_f64 v[203:204], v[203:204], v[207:208]
	s_waitcnt vmcnt(8) lgkmcnt(0)
	v_mul_f64 v[207:208], v[6:7], v[24:25]
	v_mul_f64 v[24:25], v[8:9], v[24:25]
	v_fma_f64 v[205:206], v[4:5], v[18:19], v[205:206]
	v_fma_f64 v[213:214], v[2:3], v[18:19], -v[20:21]
	ds_load_b128 v[2:5], v1 offset:1248
	scratch_load_b128 v[18:21], off, off offset:576
	v_add_f64 v[201:202], v[201:202], v[211:212]
	v_add_f64 v[203:204], v[203:204], v[209:210]
	v_fma_f64 v[207:208], v[8:9], v[22:23], v[207:208]
	v_fma_f64 v[211:212], v[6:7], v[22:23], -v[24:25]
	scratch_load_b128 v[22:25], off, off offset:592
	ds_load_b128 v[6:9], v1 offset:1264
	s_waitcnt vmcnt(9) lgkmcnt(1)
	v_mul_f64 v[209:210], v[2:3], v[28:29]
	v_mul_f64 v[28:29], v[4:5], v[28:29]
	v_add_f64 v[201:202], v[201:202], v[213:214]
	v_add_f64 v[203:204], v[203:204], v[205:206]
	s_waitcnt vmcnt(8) lgkmcnt(0)
	v_mul_f64 v[205:206], v[6:7], v[32:33]
	v_mul_f64 v[32:33], v[8:9], v[32:33]
	;; [unrolled: 18-line block ×4, first 2 shown]
	v_fma_f64 v[205:206], v[4:5], v[38:39], v[205:206]
	v_fma_f64 v[213:214], v[2:3], v[38:39], -v[40:41]
	ds_load_b128 v[2:5], v1 offset:1344
	scratch_load_b128 v[38:41], off, off offset:672
	v_add_f64 v[201:202], v[201:202], v[211:212]
	v_add_f64 v[203:204], v[203:204], v[209:210]
	v_fma_f64 v[207:208], v[8:9], v[193:194], v[207:208]
	v_fma_f64 v[211:212], v[6:7], v[193:194], -v[195:196]
	ds_load_b128 v[6:9], v1 offset:1360
	s_waitcnt vmcnt(8) lgkmcnt(1)
	v_mul_f64 v[209:210], v[2:3], v[12:13]
	v_mul_f64 v[12:13], v[4:5], v[12:13]
	scratch_load_b128 v[193:196], off, off offset:688
	v_add_f64 v[201:202], v[201:202], v[213:214]
	v_add_f64 v[203:204], v[203:204], v[205:206]
	s_waitcnt vmcnt(8) lgkmcnt(0)
	v_mul_f64 v[205:206], v[6:7], v[16:17]
	v_mul_f64 v[16:17], v[8:9], v[16:17]
	v_fma_f64 v[209:210], v[4:5], v[10:11], v[209:210]
	v_fma_f64 v[213:214], v[2:3], v[10:11], -v[12:13]
	ds_load_b128 v[2:5], v1 offset:1376
	scratch_load_b128 v[10:13], off, off offset:704
	v_add_f64 v[201:202], v[201:202], v[211:212]
	v_add_f64 v[203:204], v[203:204], v[207:208]
	v_fma_f64 v[205:206], v[8:9], v[14:15], v[205:206]
	v_fma_f64 v[211:212], v[6:7], v[14:15], -v[16:17]
	ds_load_b128 v[6:9], v1 offset:1392
	s_waitcnt vmcnt(8) lgkmcnt(1)
	v_mul_f64 v[207:208], v[2:3], v[20:21]
	v_mul_f64 v[20:21], v[4:5], v[20:21]
	scratch_load_b128 v[14:17], off, off offset:720
	v_add_f64 v[201:202], v[201:202], v[213:214]
	v_add_f64 v[203:204], v[203:204], v[209:210]
	s_waitcnt vmcnt(8) lgkmcnt(0)
	v_mul_f64 v[209:210], v[6:7], v[24:25]
	v_mul_f64 v[24:25], v[8:9], v[24:25]
	v_fma_f64 v[207:208], v[4:5], v[18:19], v[207:208]
	v_fma_f64 v[213:214], v[2:3], v[18:19], -v[20:21]
	scratch_load_b128 v[18:21], off, off offset:736
	ds_load_b128 v[2:5], v1 offset:1408
	v_add_f64 v[201:202], v[201:202], v[211:212]
	v_add_f64 v[203:204], v[203:204], v[205:206]
	v_fma_f64 v[209:210], v[8:9], v[22:23], v[209:210]
	v_fma_f64 v[211:212], v[6:7], v[22:23], -v[24:25]
	ds_load_b128 v[6:9], v1 offset:1424
	s_waitcnt vmcnt(8) lgkmcnt(1)
	v_mul_f64 v[205:206], v[2:3], v[28:29]
	v_mul_f64 v[28:29], v[4:5], v[28:29]
	scratch_load_b128 v[22:25], off, off offset:752
	v_add_f64 v[201:202], v[201:202], v[213:214]
	v_add_f64 v[203:204], v[203:204], v[207:208]
	s_waitcnt vmcnt(8) lgkmcnt(0)
	v_mul_f64 v[207:208], v[6:7], v[32:33]
	v_mul_f64 v[32:33], v[8:9], v[32:33]
	v_fma_f64 v[205:206], v[4:5], v[26:27], v[205:206]
	v_fma_f64 v[213:214], v[2:3], v[26:27], -v[28:29]
	scratch_load_b128 v[26:29], off, off offset:768
	ds_load_b128 v[2:5], v1 offset:1440
	v_add_f64 v[201:202], v[201:202], v[211:212]
	v_add_f64 v[203:204], v[203:204], v[209:210]
	v_fma_f64 v[207:208], v[8:9], v[30:31], v[207:208]
	v_fma_f64 v[211:212], v[6:7], v[30:31], -v[32:33]
	ds_load_b128 v[6:9], v1 offset:1456
	s_waitcnt vmcnt(8) lgkmcnt(1)
	v_mul_f64 v[209:210], v[2:3], v[36:37]
	v_mul_f64 v[36:37], v[4:5], v[36:37]
	scratch_load_b128 v[30:33], off, off offset:784
	v_add_f64 v[201:202], v[201:202], v[213:214]
	v_add_f64 v[203:204], v[203:204], v[205:206]
	s_waitcnt vmcnt(8) lgkmcnt(0)
	v_mul_f64 v[205:206], v[6:7], v[199:200]
	v_mul_f64 v[199:200], v[8:9], v[199:200]
	v_fma_f64 v[209:210], v[4:5], v[34:35], v[209:210]
	v_fma_f64 v[34:35], v[2:3], v[34:35], -v[36:37]
	ds_load_b128 v[2:5], v1 offset:1472
	v_add_f64 v[36:37], v[201:202], v[211:212]
	v_add_f64 v[201:202], v[203:204], v[207:208]
	v_fma_f64 v[205:206], v[8:9], v[197:198], v[205:206]
	v_fma_f64 v[197:198], v[6:7], v[197:198], -v[199:200]
	ds_load_b128 v[6:9], v1 offset:1488
	s_waitcnt vmcnt(7) lgkmcnt(1)
	v_mul_f64 v[203:204], v[2:3], v[40:41]
	v_mul_f64 v[40:41], v[4:5], v[40:41]
	v_add_f64 v[34:35], v[36:37], v[34:35]
	v_add_f64 v[36:37], v[201:202], v[209:210]
	s_delay_alu instid0(VALU_DEP_4) | instskip(NEXT) | instid1(VALU_DEP_4)
	v_fma_f64 v[201:202], v[4:5], v[38:39], v[203:204]
	v_fma_f64 v[38:39], v[2:3], v[38:39], -v[40:41]
	ds_load_b128 v[2:5], v1 offset:1504
	v_add_f64 v[40:41], v[34:35], v[197:198]
	v_add_f64 v[197:198], v[36:37], v[205:206]
	scratch_load_b128 v[34:37], off, off offset:336
	s_waitcnt vmcnt(7) lgkmcnt(1)
	v_mul_f64 v[199:200], v[6:7], v[195:196]
	v_mul_f64 v[195:196], v[8:9], v[195:196]
	v_add_f64 v[38:39], v[40:41], v[38:39]
	v_add_f64 v[40:41], v[197:198], v[201:202]
	s_delay_alu instid0(VALU_DEP_4) | instskip(NEXT) | instid1(VALU_DEP_4)
	v_fma_f64 v[199:200], v[8:9], v[193:194], v[199:200]
	v_fma_f64 v[193:194], v[6:7], v[193:194], -v[195:196]
	ds_load_b128 v[6:9], v1 offset:1520
	s_waitcnt vmcnt(6) lgkmcnt(1)
	v_mul_f64 v[203:204], v[2:3], v[12:13]
	v_mul_f64 v[12:13], v[4:5], v[12:13]
	s_waitcnt vmcnt(5) lgkmcnt(0)
	v_mul_f64 v[195:196], v[6:7], v[16:17]
	v_mul_f64 v[16:17], v[8:9], v[16:17]
	s_delay_alu instid0(VALU_DEP_4) | instskip(NEXT) | instid1(VALU_DEP_4)
	v_fma_f64 v[197:198], v[4:5], v[10:11], v[203:204]
	v_fma_f64 v[10:11], v[2:3], v[10:11], -v[12:13]
	v_add_f64 v[12:13], v[38:39], v[193:194]
	v_add_f64 v[38:39], v[40:41], v[199:200]
	ds_load_b128 v[2:5], v1 offset:1536
	v_fma_f64 v[193:194], v[8:9], v[14:15], v[195:196]
	v_fma_f64 v[14:15], v[6:7], v[14:15], -v[16:17]
	ds_load_b128 v[6:9], v1 offset:1552
	s_waitcnt vmcnt(4) lgkmcnt(1)
	v_mul_f64 v[40:41], v[2:3], v[20:21]
	v_mul_f64 v[20:21], v[4:5], v[20:21]
	v_add_f64 v[10:11], v[12:13], v[10:11]
	v_add_f64 v[12:13], v[38:39], v[197:198]
	s_waitcnt vmcnt(3) lgkmcnt(0)
	v_mul_f64 v[16:17], v[6:7], v[24:25]
	v_mul_f64 v[24:25], v[8:9], v[24:25]
	v_fma_f64 v[38:39], v[4:5], v[18:19], v[40:41]
	v_fma_f64 v[18:19], v[2:3], v[18:19], -v[20:21]
	ds_load_b128 v[2:5], v1 offset:1568
	v_add_f64 v[10:11], v[10:11], v[14:15]
	v_add_f64 v[12:13], v[12:13], v[193:194]
	v_fma_f64 v[16:17], v[8:9], v[22:23], v[16:17]
	v_fma_f64 v[22:23], v[6:7], v[22:23], -v[24:25]
	ds_load_b128 v[6:9], v1 offset:1584
	s_waitcnt vmcnt(2) lgkmcnt(1)
	v_mul_f64 v[14:15], v[2:3], v[28:29]
	v_mul_f64 v[20:21], v[4:5], v[28:29]
	s_waitcnt vmcnt(1) lgkmcnt(0)
	v_mul_f64 v[24:25], v[8:9], v[32:33]
	v_add_f64 v[10:11], v[10:11], v[18:19]
	v_add_f64 v[12:13], v[12:13], v[38:39]
	v_mul_f64 v[18:19], v[6:7], v[32:33]
	v_fma_f64 v[4:5], v[4:5], v[26:27], v[14:15]
	v_fma_f64 v[1:2], v[2:3], v[26:27], -v[20:21]
	v_fma_f64 v[6:7], v[6:7], v[30:31], -v[24:25]
	v_add_f64 v[10:11], v[10:11], v[22:23]
	v_add_f64 v[12:13], v[12:13], v[16:17]
	v_fma_f64 v[8:9], v[8:9], v[30:31], v[18:19]
	s_delay_alu instid0(VALU_DEP_3) | instskip(NEXT) | instid1(VALU_DEP_3)
	v_add_f64 v[1:2], v[10:11], v[1:2]
	v_add_f64 v[3:4], v[12:13], v[4:5]
	s_delay_alu instid0(VALU_DEP_2) | instskip(NEXT) | instid1(VALU_DEP_2)
	v_add_f64 v[1:2], v[1:2], v[6:7]
	v_add_f64 v[3:4], v[3:4], v[8:9]
	s_waitcnt vmcnt(0)
	s_delay_alu instid0(VALU_DEP_2) | instskip(NEXT) | instid1(VALU_DEP_2)
	v_add_f64 v[1:2], v[34:35], -v[1:2]
	v_add_f64 v[3:4], v[36:37], -v[3:4]
	scratch_store_b128 off, v[1:4], off offset:336
	v_cmpx_lt_u32_e32 20, v142
	s_cbranch_execz .LBB49_273
; %bb.272:
	scratch_load_b128 v[1:4], v172, off
	v_mov_b32_e32 v5, 0
	s_delay_alu instid0(VALU_DEP_1)
	v_mov_b32_e32 v6, v5
	v_mov_b32_e32 v7, v5
	;; [unrolled: 1-line block ×3, first 2 shown]
	scratch_store_b128 off, v[5:8], off offset:320
	s_waitcnt vmcnt(0)
	ds_store_b128 v192, v[1:4]
.LBB49_273:
	s_or_b32 exec_lo, exec_lo, s2
	s_waitcnt lgkmcnt(0)
	s_waitcnt_vscnt null, 0x0
	s_barrier
	buffer_gl0_inv
	s_clause 0x7
	scratch_load_b128 v[2:5], off, off offset:336
	scratch_load_b128 v[6:9], off, off offset:352
	scratch_load_b128 v[10:13], off, off offset:368
	scratch_load_b128 v[14:17], off, off offset:384
	scratch_load_b128 v[18:21], off, off offset:400
	scratch_load_b128 v[22:25], off, off offset:416
	scratch_load_b128 v[26:29], off, off offset:432
	scratch_load_b128 v[30:33], off, off offset:448
	v_mov_b32_e32 v1, 0
	s_clause 0x1
	scratch_load_b128 v[34:37], off, off offset:464
	scratch_load_b128 v[197:200], off, off offset:480
	s_mov_b32 s2, exec_lo
	ds_load_b128 v[38:41], v1 offset:1136
	ds_load_b128 v[193:196], v1 offset:1152
	s_waitcnt vmcnt(9) lgkmcnt(1)
	v_mul_f64 v[201:202], v[40:41], v[4:5]
	v_mul_f64 v[4:5], v[38:39], v[4:5]
	s_waitcnt vmcnt(8) lgkmcnt(0)
	v_mul_f64 v[203:204], v[193:194], v[8:9]
	v_mul_f64 v[8:9], v[195:196], v[8:9]
	s_delay_alu instid0(VALU_DEP_4) | instskip(NEXT) | instid1(VALU_DEP_4)
	v_fma_f64 v[201:202], v[38:39], v[2:3], -v[201:202]
	v_fma_f64 v[205:206], v[40:41], v[2:3], v[4:5]
	ds_load_b128 v[2:5], v1 offset:1168
	scratch_load_b128 v[38:41], off, off offset:496
	v_fma_f64 v[203:204], v[195:196], v[6:7], v[203:204]
	v_fma_f64 v[209:210], v[193:194], v[6:7], -v[8:9]
	scratch_load_b128 v[193:196], off, off offset:512
	ds_load_b128 v[6:9], v1 offset:1184
	s_waitcnt vmcnt(9) lgkmcnt(1)
	v_mul_f64 v[207:208], v[2:3], v[12:13]
	v_mul_f64 v[12:13], v[4:5], v[12:13]
	s_waitcnt vmcnt(8) lgkmcnt(0)
	v_mul_f64 v[211:212], v[6:7], v[16:17]
	v_mul_f64 v[16:17], v[8:9], v[16:17]
	v_add_f64 v[201:202], v[201:202], 0
	v_add_f64 v[205:206], v[205:206], 0
	v_fma_f64 v[207:208], v[4:5], v[10:11], v[207:208]
	v_fma_f64 v[213:214], v[2:3], v[10:11], -v[12:13]
	ds_load_b128 v[2:5], v1 offset:1200
	scratch_load_b128 v[10:13], off, off offset:528
	v_add_f64 v[201:202], v[201:202], v[209:210]
	v_add_f64 v[203:204], v[205:206], v[203:204]
	v_fma_f64 v[209:210], v[8:9], v[14:15], v[211:212]
	v_fma_f64 v[211:212], v[6:7], v[14:15], -v[16:17]
	scratch_load_b128 v[14:17], off, off offset:544
	ds_load_b128 v[6:9], v1 offset:1216
	s_waitcnt vmcnt(9) lgkmcnt(1)
	v_mul_f64 v[205:206], v[2:3], v[20:21]
	v_mul_f64 v[20:21], v[4:5], v[20:21]
	v_add_f64 v[201:202], v[201:202], v[213:214]
	v_add_f64 v[203:204], v[203:204], v[207:208]
	s_waitcnt vmcnt(8) lgkmcnt(0)
	v_mul_f64 v[207:208], v[6:7], v[24:25]
	v_mul_f64 v[24:25], v[8:9], v[24:25]
	v_fma_f64 v[205:206], v[4:5], v[18:19], v[205:206]
	v_fma_f64 v[213:214], v[2:3], v[18:19], -v[20:21]
	ds_load_b128 v[2:5], v1 offset:1232
	scratch_load_b128 v[18:21], off, off offset:560
	v_add_f64 v[201:202], v[201:202], v[211:212]
	v_add_f64 v[203:204], v[203:204], v[209:210]
	v_fma_f64 v[207:208], v[8:9], v[22:23], v[207:208]
	v_fma_f64 v[211:212], v[6:7], v[22:23], -v[24:25]
	scratch_load_b128 v[22:25], off, off offset:576
	ds_load_b128 v[6:9], v1 offset:1248
	s_waitcnt vmcnt(9) lgkmcnt(1)
	v_mul_f64 v[209:210], v[2:3], v[28:29]
	v_mul_f64 v[28:29], v[4:5], v[28:29]
	v_add_f64 v[201:202], v[201:202], v[213:214]
	v_add_f64 v[203:204], v[203:204], v[205:206]
	s_waitcnt vmcnt(8) lgkmcnt(0)
	v_mul_f64 v[205:206], v[6:7], v[32:33]
	v_mul_f64 v[32:33], v[8:9], v[32:33]
	;; [unrolled: 18-line block ×5, first 2 shown]
	v_fma_f64 v[209:210], v[4:5], v[10:11], v[209:210]
	v_fma_f64 v[213:214], v[2:3], v[10:11], -v[12:13]
	ds_load_b128 v[2:5], v1 offset:1360
	scratch_load_b128 v[10:13], off, off offset:688
	v_add_f64 v[201:202], v[201:202], v[211:212]
	v_add_f64 v[203:204], v[203:204], v[207:208]
	v_fma_f64 v[205:206], v[8:9], v[14:15], v[205:206]
	v_fma_f64 v[211:212], v[6:7], v[14:15], -v[16:17]
	ds_load_b128 v[6:9], v1 offset:1376
	s_waitcnt vmcnt(8) lgkmcnt(1)
	v_mul_f64 v[207:208], v[2:3], v[20:21]
	v_mul_f64 v[20:21], v[4:5], v[20:21]
	scratch_load_b128 v[14:17], off, off offset:704
	v_add_f64 v[201:202], v[201:202], v[213:214]
	v_add_f64 v[203:204], v[203:204], v[209:210]
	s_waitcnt vmcnt(8) lgkmcnt(0)
	v_mul_f64 v[209:210], v[6:7], v[24:25]
	v_mul_f64 v[24:25], v[8:9], v[24:25]
	v_fma_f64 v[207:208], v[4:5], v[18:19], v[207:208]
	v_fma_f64 v[213:214], v[2:3], v[18:19], -v[20:21]
	scratch_load_b128 v[18:21], off, off offset:720
	ds_load_b128 v[2:5], v1 offset:1392
	v_add_f64 v[201:202], v[201:202], v[211:212]
	v_add_f64 v[203:204], v[203:204], v[205:206]
	v_fma_f64 v[209:210], v[8:9], v[22:23], v[209:210]
	v_fma_f64 v[211:212], v[6:7], v[22:23], -v[24:25]
	ds_load_b128 v[6:9], v1 offset:1408
	s_waitcnt vmcnt(8) lgkmcnt(1)
	v_mul_f64 v[205:206], v[2:3], v[28:29]
	v_mul_f64 v[28:29], v[4:5], v[28:29]
	scratch_load_b128 v[22:25], off, off offset:736
	v_add_f64 v[201:202], v[201:202], v[213:214]
	v_add_f64 v[203:204], v[203:204], v[207:208]
	s_waitcnt vmcnt(8) lgkmcnt(0)
	v_mul_f64 v[207:208], v[6:7], v[32:33]
	v_mul_f64 v[32:33], v[8:9], v[32:33]
	v_fma_f64 v[205:206], v[4:5], v[26:27], v[205:206]
	v_fma_f64 v[213:214], v[2:3], v[26:27], -v[28:29]
	scratch_load_b128 v[26:29], off, off offset:752
	ds_load_b128 v[2:5], v1 offset:1424
	;; [unrolled: 18-line block ×3, first 2 shown]
	v_add_f64 v[201:202], v[201:202], v[211:212]
	v_add_f64 v[203:204], v[203:204], v[207:208]
	v_fma_f64 v[205:206], v[8:9], v[197:198], v[205:206]
	v_fma_f64 v[197:198], v[6:7], v[197:198], -v[199:200]
	ds_load_b128 v[6:9], v1 offset:1472
	s_waitcnt vmcnt(8) lgkmcnt(1)
	v_mul_f64 v[207:208], v[2:3], v[40:41]
	v_mul_f64 v[40:41], v[4:5], v[40:41]
	v_add_f64 v[199:200], v[201:202], v[213:214]
	v_add_f64 v[201:202], v[203:204], v[209:210]
	s_waitcnt vmcnt(7) lgkmcnt(0)
	v_mul_f64 v[203:204], v[6:7], v[195:196]
	v_mul_f64 v[195:196], v[8:9], v[195:196]
	v_fma_f64 v[207:208], v[4:5], v[38:39], v[207:208]
	v_fma_f64 v[38:39], v[2:3], v[38:39], -v[40:41]
	ds_load_b128 v[2:5], v1 offset:1488
	v_add_f64 v[40:41], v[199:200], v[197:198]
	v_add_f64 v[197:198], v[201:202], v[205:206]
	v_fma_f64 v[201:202], v[8:9], v[193:194], v[203:204]
	v_fma_f64 v[193:194], v[6:7], v[193:194], -v[195:196]
	ds_load_b128 v[6:9], v1 offset:1504
	s_waitcnt vmcnt(5) lgkmcnt(0)
	v_mul_f64 v[203:204], v[6:7], v[16:17]
	v_mul_f64 v[16:17], v[8:9], v[16:17]
	v_add_f64 v[195:196], v[40:41], v[38:39]
	v_add_f64 v[197:198], v[197:198], v[207:208]
	scratch_load_b128 v[38:41], off, off offset:320
	v_mul_f64 v[199:200], v[2:3], v[12:13]
	v_mul_f64 v[12:13], v[4:5], v[12:13]
	s_delay_alu instid0(VALU_DEP_2) | instskip(NEXT) | instid1(VALU_DEP_2)
	v_fma_f64 v[199:200], v[4:5], v[10:11], v[199:200]
	v_fma_f64 v[10:11], v[2:3], v[10:11], -v[12:13]
	v_add_f64 v[12:13], v[195:196], v[193:194]
	v_add_f64 v[193:194], v[197:198], v[201:202]
	ds_load_b128 v[2:5], v1 offset:1520
	v_fma_f64 v[197:198], v[8:9], v[14:15], v[203:204]
	v_fma_f64 v[14:15], v[6:7], v[14:15], -v[16:17]
	ds_load_b128 v[6:9], v1 offset:1536
	s_waitcnt vmcnt(5) lgkmcnt(1)
	v_mul_f64 v[195:196], v[2:3], v[20:21]
	v_mul_f64 v[20:21], v[4:5], v[20:21]
	s_waitcnt vmcnt(4) lgkmcnt(0)
	v_mul_f64 v[16:17], v[6:7], v[24:25]
	v_mul_f64 v[24:25], v[8:9], v[24:25]
	v_add_f64 v[10:11], v[12:13], v[10:11]
	v_add_f64 v[12:13], v[193:194], v[199:200]
	v_fma_f64 v[193:194], v[4:5], v[18:19], v[195:196]
	v_fma_f64 v[18:19], v[2:3], v[18:19], -v[20:21]
	ds_load_b128 v[2:5], v1 offset:1552
	v_fma_f64 v[16:17], v[8:9], v[22:23], v[16:17]
	v_fma_f64 v[22:23], v[6:7], v[22:23], -v[24:25]
	ds_load_b128 v[6:9], v1 offset:1568
	v_add_f64 v[10:11], v[10:11], v[14:15]
	v_add_f64 v[12:13], v[12:13], v[197:198]
	s_waitcnt vmcnt(3) lgkmcnt(1)
	v_mul_f64 v[14:15], v[2:3], v[28:29]
	v_mul_f64 v[20:21], v[4:5], v[28:29]
	s_waitcnt vmcnt(2) lgkmcnt(0)
	v_mul_f64 v[24:25], v[8:9], v[32:33]
	v_add_f64 v[10:11], v[10:11], v[18:19]
	v_add_f64 v[12:13], v[12:13], v[193:194]
	v_mul_f64 v[18:19], v[6:7], v[32:33]
	v_fma_f64 v[14:15], v[4:5], v[26:27], v[14:15]
	v_fma_f64 v[20:21], v[2:3], v[26:27], -v[20:21]
	ds_load_b128 v[2:5], v1 offset:1584
	v_fma_f64 v[6:7], v[6:7], v[30:31], -v[24:25]
	v_add_f64 v[10:11], v[10:11], v[22:23]
	v_add_f64 v[12:13], v[12:13], v[16:17]
	s_waitcnt vmcnt(1) lgkmcnt(0)
	v_mul_f64 v[16:17], v[2:3], v[36:37]
	v_mul_f64 v[22:23], v[4:5], v[36:37]
	v_fma_f64 v[8:9], v[8:9], v[30:31], v[18:19]
	v_add_f64 v[10:11], v[10:11], v[20:21]
	v_add_f64 v[12:13], v[12:13], v[14:15]
	v_fma_f64 v[4:5], v[4:5], v[34:35], v[16:17]
	v_fma_f64 v[2:3], v[2:3], v[34:35], -v[22:23]
	s_delay_alu instid0(VALU_DEP_4) | instskip(NEXT) | instid1(VALU_DEP_4)
	v_add_f64 v[6:7], v[10:11], v[6:7]
	v_add_f64 v[8:9], v[12:13], v[8:9]
	s_delay_alu instid0(VALU_DEP_2) | instskip(NEXT) | instid1(VALU_DEP_2)
	v_add_f64 v[2:3], v[6:7], v[2:3]
	v_add_f64 v[4:5], v[8:9], v[4:5]
	s_waitcnt vmcnt(0)
	s_delay_alu instid0(VALU_DEP_2) | instskip(NEXT) | instid1(VALU_DEP_2)
	v_add_f64 v[2:3], v[38:39], -v[2:3]
	v_add_f64 v[4:5], v[40:41], -v[4:5]
	scratch_store_b128 off, v[2:5], off offset:320
	v_cmpx_lt_u32_e32 19, v142
	s_cbranch_execz .LBB49_275
; %bb.274:
	scratch_load_b128 v[5:8], v174, off
	v_mov_b32_e32 v2, v1
	v_mov_b32_e32 v3, v1
	;; [unrolled: 1-line block ×3, first 2 shown]
	scratch_store_b128 off, v[1:4], off offset:304
	s_waitcnt vmcnt(0)
	ds_store_b128 v192, v[5:8]
.LBB49_275:
	s_or_b32 exec_lo, exec_lo, s2
	s_waitcnt lgkmcnt(0)
	s_waitcnt_vscnt null, 0x0
	s_barrier
	buffer_gl0_inv
	s_clause 0x7
	scratch_load_b128 v[2:5], off, off offset:320
	scratch_load_b128 v[6:9], off, off offset:336
	;; [unrolled: 1-line block ×8, first 2 shown]
	ds_load_b128 v[38:41], v1 offset:1120
	ds_load_b128 v[193:196], v1 offset:1136
	s_clause 0x1
	scratch_load_b128 v[34:37], off, off offset:448
	scratch_load_b128 v[197:200], off, off offset:464
	s_mov_b32 s2, exec_lo
	s_waitcnt vmcnt(9) lgkmcnt(1)
	v_mul_f64 v[201:202], v[40:41], v[4:5]
	v_mul_f64 v[4:5], v[38:39], v[4:5]
	s_waitcnt vmcnt(8) lgkmcnt(0)
	v_mul_f64 v[203:204], v[193:194], v[8:9]
	v_mul_f64 v[8:9], v[195:196], v[8:9]
	s_delay_alu instid0(VALU_DEP_4) | instskip(NEXT) | instid1(VALU_DEP_4)
	v_fma_f64 v[201:202], v[38:39], v[2:3], -v[201:202]
	v_fma_f64 v[205:206], v[40:41], v[2:3], v[4:5]
	ds_load_b128 v[2:5], v1 offset:1152
	scratch_load_b128 v[38:41], off, off offset:480
	v_fma_f64 v[203:204], v[195:196], v[6:7], v[203:204]
	v_fma_f64 v[209:210], v[193:194], v[6:7], -v[8:9]
	scratch_load_b128 v[193:196], off, off offset:496
	ds_load_b128 v[6:9], v1 offset:1168
	s_waitcnt vmcnt(9) lgkmcnt(1)
	v_mul_f64 v[207:208], v[2:3], v[12:13]
	v_mul_f64 v[12:13], v[4:5], v[12:13]
	s_waitcnt vmcnt(8) lgkmcnt(0)
	v_mul_f64 v[211:212], v[6:7], v[16:17]
	v_mul_f64 v[16:17], v[8:9], v[16:17]
	v_add_f64 v[201:202], v[201:202], 0
	v_add_f64 v[205:206], v[205:206], 0
	v_fma_f64 v[207:208], v[4:5], v[10:11], v[207:208]
	v_fma_f64 v[213:214], v[2:3], v[10:11], -v[12:13]
	scratch_load_b128 v[10:13], off, off offset:512
	ds_load_b128 v[2:5], v1 offset:1184
	v_add_f64 v[201:202], v[201:202], v[209:210]
	v_add_f64 v[203:204], v[205:206], v[203:204]
	v_fma_f64 v[209:210], v[8:9], v[14:15], v[211:212]
	v_fma_f64 v[211:212], v[6:7], v[14:15], -v[16:17]
	ds_load_b128 v[6:9], v1 offset:1200
	scratch_load_b128 v[14:17], off, off offset:528
	s_waitcnt vmcnt(9) lgkmcnt(1)
	v_mul_f64 v[205:206], v[2:3], v[20:21]
	v_mul_f64 v[20:21], v[4:5], v[20:21]
	v_add_f64 v[201:202], v[201:202], v[213:214]
	v_add_f64 v[203:204], v[203:204], v[207:208]
	s_waitcnt vmcnt(8) lgkmcnt(0)
	v_mul_f64 v[207:208], v[6:7], v[24:25]
	v_mul_f64 v[24:25], v[8:9], v[24:25]
	v_fma_f64 v[205:206], v[4:5], v[18:19], v[205:206]
	v_fma_f64 v[213:214], v[2:3], v[18:19], -v[20:21]
	ds_load_b128 v[2:5], v1 offset:1216
	scratch_load_b128 v[18:21], off, off offset:544
	v_add_f64 v[201:202], v[201:202], v[211:212]
	v_add_f64 v[203:204], v[203:204], v[209:210]
	v_fma_f64 v[207:208], v[8:9], v[22:23], v[207:208]
	v_fma_f64 v[211:212], v[6:7], v[22:23], -v[24:25]
	scratch_load_b128 v[22:25], off, off offset:560
	ds_load_b128 v[6:9], v1 offset:1232
	s_waitcnt vmcnt(9) lgkmcnt(1)
	v_mul_f64 v[209:210], v[2:3], v[28:29]
	v_mul_f64 v[28:29], v[4:5], v[28:29]
	v_add_f64 v[201:202], v[201:202], v[213:214]
	v_add_f64 v[203:204], v[203:204], v[205:206]
	s_waitcnt vmcnt(8) lgkmcnt(0)
	v_mul_f64 v[205:206], v[6:7], v[32:33]
	v_mul_f64 v[32:33], v[8:9], v[32:33]
	v_fma_f64 v[209:210], v[4:5], v[26:27], v[209:210]
	v_fma_f64 v[213:214], v[2:3], v[26:27], -v[28:29]
	ds_load_b128 v[2:5], v1 offset:1248
	scratch_load_b128 v[26:29], off, off offset:576
	v_add_f64 v[201:202], v[201:202], v[211:212]
	v_add_f64 v[203:204], v[203:204], v[207:208]
	v_fma_f64 v[205:206], v[8:9], v[30:31], v[205:206]
	v_fma_f64 v[211:212], v[6:7], v[30:31], -v[32:33]
	scratch_load_b128 v[30:33], off, off offset:592
	ds_load_b128 v[6:9], v1 offset:1264
	;; [unrolled: 18-line block ×3, first 2 shown]
	s_waitcnt vmcnt(9) lgkmcnt(1)
	v_mul_f64 v[205:206], v[2:3], v[40:41]
	v_mul_f64 v[40:41], v[4:5], v[40:41]
	v_add_f64 v[201:202], v[201:202], v[213:214]
	v_add_f64 v[203:204], v[203:204], v[207:208]
	s_waitcnt vmcnt(8) lgkmcnt(0)
	v_mul_f64 v[207:208], v[6:7], v[195:196]
	v_mul_f64 v[195:196], v[8:9], v[195:196]
	v_fma_f64 v[205:206], v[4:5], v[38:39], v[205:206]
	v_fma_f64 v[213:214], v[2:3], v[38:39], -v[40:41]
	ds_load_b128 v[2:5], v1 offset:1312
	scratch_load_b128 v[38:41], off, off offset:640
	v_add_f64 v[201:202], v[201:202], v[211:212]
	v_add_f64 v[203:204], v[203:204], v[209:210]
	v_fma_f64 v[207:208], v[8:9], v[193:194], v[207:208]
	v_fma_f64 v[211:212], v[6:7], v[193:194], -v[195:196]
	ds_load_b128 v[6:9], v1 offset:1328
	s_waitcnt vmcnt(8) lgkmcnt(1)
	v_mul_f64 v[209:210], v[2:3], v[12:13]
	v_mul_f64 v[12:13], v[4:5], v[12:13]
	scratch_load_b128 v[193:196], off, off offset:656
	v_add_f64 v[201:202], v[201:202], v[213:214]
	v_add_f64 v[203:204], v[203:204], v[205:206]
	s_waitcnt vmcnt(8) lgkmcnt(0)
	v_mul_f64 v[205:206], v[6:7], v[16:17]
	v_mul_f64 v[16:17], v[8:9], v[16:17]
	v_fma_f64 v[209:210], v[4:5], v[10:11], v[209:210]
	v_fma_f64 v[213:214], v[2:3], v[10:11], -v[12:13]
	scratch_load_b128 v[10:13], off, off offset:672
	ds_load_b128 v[2:5], v1 offset:1344
	v_add_f64 v[201:202], v[201:202], v[211:212]
	v_add_f64 v[203:204], v[203:204], v[207:208]
	v_fma_f64 v[205:206], v[8:9], v[14:15], v[205:206]
	v_fma_f64 v[211:212], v[6:7], v[14:15], -v[16:17]
	ds_load_b128 v[6:9], v1 offset:1360
	s_waitcnt vmcnt(8) lgkmcnt(1)
	v_mul_f64 v[207:208], v[2:3], v[20:21]
	v_mul_f64 v[20:21], v[4:5], v[20:21]
	scratch_load_b128 v[14:17], off, off offset:688
	v_add_f64 v[201:202], v[201:202], v[213:214]
	v_add_f64 v[203:204], v[203:204], v[209:210]
	s_waitcnt vmcnt(8) lgkmcnt(0)
	v_mul_f64 v[209:210], v[6:7], v[24:25]
	v_mul_f64 v[24:25], v[8:9], v[24:25]
	v_fma_f64 v[207:208], v[4:5], v[18:19], v[207:208]
	v_fma_f64 v[213:214], v[2:3], v[18:19], -v[20:21]
	scratch_load_b128 v[18:21], off, off offset:704
	ds_load_b128 v[2:5], v1 offset:1376
	;; [unrolled: 18-line block ×4, first 2 shown]
	v_add_f64 v[201:202], v[201:202], v[211:212]
	v_add_f64 v[203:204], v[203:204], v[207:208]
	v_fma_f64 v[205:206], v[8:9], v[197:198], v[205:206]
	v_fma_f64 v[211:212], v[6:7], v[197:198], -v[199:200]
	ds_load_b128 v[6:9], v1 offset:1456
	s_waitcnt vmcnt(8) lgkmcnt(1)
	v_mul_f64 v[207:208], v[2:3], v[40:41]
	v_mul_f64 v[40:41], v[4:5], v[40:41]
	scratch_load_b128 v[197:200], off, off offset:784
	v_add_f64 v[201:202], v[201:202], v[213:214]
	v_add_f64 v[203:204], v[203:204], v[209:210]
	v_fma_f64 v[207:208], v[4:5], v[38:39], v[207:208]
	v_fma_f64 v[38:39], v[2:3], v[38:39], -v[40:41]
	ds_load_b128 v[2:5], v1 offset:1472
	v_add_f64 v[40:41], v[201:202], v[211:212]
	v_add_f64 v[201:202], v[203:204], v[205:206]
	s_waitcnt vmcnt(7) lgkmcnt(0)
	v_mul_f64 v[203:204], v[2:3], v[12:13]
	v_mul_f64 v[12:13], v[4:5], v[12:13]
	s_delay_alu instid0(VALU_DEP_4) | instskip(NEXT) | instid1(VALU_DEP_4)
	v_add_f64 v[38:39], v[40:41], v[38:39]
	v_add_f64 v[40:41], v[201:202], v[207:208]
	s_delay_alu instid0(VALU_DEP_4) | instskip(NEXT) | instid1(VALU_DEP_4)
	v_fma_f64 v[201:202], v[4:5], v[10:11], v[203:204]
	v_fma_f64 v[203:204], v[2:3], v[10:11], -v[12:13]
	scratch_load_b128 v[10:13], off, off offset:304
	v_mul_f64 v[209:210], v[6:7], v[195:196]
	v_mul_f64 v[195:196], v[8:9], v[195:196]
	ds_load_b128 v[2:5], v1 offset:1504
	v_fma_f64 v[205:206], v[8:9], v[193:194], v[209:210]
	v_fma_f64 v[193:194], v[6:7], v[193:194], -v[195:196]
	ds_load_b128 v[6:9], v1 offset:1488
	s_waitcnt vmcnt(7) lgkmcnt(0)
	v_mul_f64 v[195:196], v[6:7], v[16:17]
	v_mul_f64 v[16:17], v[8:9], v[16:17]
	v_add_f64 v[40:41], v[40:41], v[205:206]
	v_add_f64 v[38:39], v[38:39], v[193:194]
	s_waitcnt vmcnt(6)
	v_mul_f64 v[193:194], v[2:3], v[20:21]
	v_mul_f64 v[20:21], v[4:5], v[20:21]
	v_fma_f64 v[195:196], v[8:9], v[14:15], v[195:196]
	v_fma_f64 v[14:15], v[6:7], v[14:15], -v[16:17]
	ds_load_b128 v[6:9], v1 offset:1520
	v_add_f64 v[16:17], v[38:39], v[203:204]
	v_add_f64 v[38:39], v[40:41], v[201:202]
	v_fma_f64 v[193:194], v[4:5], v[18:19], v[193:194]
	v_fma_f64 v[18:19], v[2:3], v[18:19], -v[20:21]
	ds_load_b128 v[2:5], v1 offset:1536
	s_waitcnt vmcnt(5) lgkmcnt(1)
	v_mul_f64 v[40:41], v[6:7], v[24:25]
	v_mul_f64 v[24:25], v[8:9], v[24:25]
	s_waitcnt vmcnt(4) lgkmcnt(0)
	v_mul_f64 v[20:21], v[2:3], v[28:29]
	v_mul_f64 v[28:29], v[4:5], v[28:29]
	v_add_f64 v[14:15], v[16:17], v[14:15]
	v_add_f64 v[16:17], v[38:39], v[195:196]
	v_fma_f64 v[38:39], v[8:9], v[22:23], v[40:41]
	v_fma_f64 v[22:23], v[6:7], v[22:23], -v[24:25]
	ds_load_b128 v[6:9], v1 offset:1552
	v_fma_f64 v[20:21], v[4:5], v[26:27], v[20:21]
	v_fma_f64 v[26:27], v[2:3], v[26:27], -v[28:29]
	ds_load_b128 v[2:5], v1 offset:1568
	s_waitcnt vmcnt(3) lgkmcnt(1)
	v_mul_f64 v[24:25], v[8:9], v[32:33]
	v_add_f64 v[14:15], v[14:15], v[18:19]
	v_add_f64 v[16:17], v[16:17], v[193:194]
	v_mul_f64 v[18:19], v[6:7], v[32:33]
	s_waitcnt vmcnt(2) lgkmcnt(0)
	v_mul_f64 v[28:29], v[4:5], v[36:37]
	v_fma_f64 v[24:25], v[6:7], v[30:31], -v[24:25]
	v_add_f64 v[14:15], v[14:15], v[22:23]
	v_add_f64 v[16:17], v[16:17], v[38:39]
	v_mul_f64 v[22:23], v[2:3], v[36:37]
	v_fma_f64 v[18:19], v[8:9], v[30:31], v[18:19]
	ds_load_b128 v[6:9], v1 offset:1584
	v_fma_f64 v[1:2], v[2:3], v[34:35], -v[28:29]
	v_add_f64 v[14:15], v[14:15], v[26:27]
	v_add_f64 v[16:17], v[16:17], v[20:21]
	s_waitcnt vmcnt(1) lgkmcnt(0)
	v_mul_f64 v[20:21], v[6:7], v[199:200]
	v_mul_f64 v[26:27], v[8:9], v[199:200]
	v_fma_f64 v[4:5], v[4:5], v[34:35], v[22:23]
	v_add_f64 v[14:15], v[14:15], v[24:25]
	v_add_f64 v[16:17], v[16:17], v[18:19]
	v_fma_f64 v[8:9], v[8:9], v[197:198], v[20:21]
	v_fma_f64 v[6:7], v[6:7], v[197:198], -v[26:27]
	s_delay_alu instid0(VALU_DEP_4) | instskip(NEXT) | instid1(VALU_DEP_4)
	v_add_f64 v[1:2], v[14:15], v[1:2]
	v_add_f64 v[3:4], v[16:17], v[4:5]
	s_delay_alu instid0(VALU_DEP_2) | instskip(NEXT) | instid1(VALU_DEP_2)
	v_add_f64 v[1:2], v[1:2], v[6:7]
	v_add_f64 v[3:4], v[3:4], v[8:9]
	s_waitcnt vmcnt(0)
	s_delay_alu instid0(VALU_DEP_2) | instskip(NEXT) | instid1(VALU_DEP_2)
	v_add_f64 v[1:2], v[10:11], -v[1:2]
	v_add_f64 v[3:4], v[12:13], -v[3:4]
	scratch_store_b128 off, v[1:4], off offset:304
	v_cmpx_lt_u32_e32 18, v142
	s_cbranch_execz .LBB49_277
; %bb.276:
	scratch_load_b128 v[1:4], v173, off
	v_mov_b32_e32 v5, 0
	s_delay_alu instid0(VALU_DEP_1)
	v_mov_b32_e32 v6, v5
	v_mov_b32_e32 v7, v5
	;; [unrolled: 1-line block ×3, first 2 shown]
	scratch_store_b128 off, v[5:8], off offset:288
	s_waitcnt vmcnt(0)
	ds_store_b128 v192, v[1:4]
.LBB49_277:
	s_or_b32 exec_lo, exec_lo, s2
	s_waitcnt lgkmcnt(0)
	s_waitcnt_vscnt null, 0x0
	s_barrier
	buffer_gl0_inv
	s_clause 0x7
	scratch_load_b128 v[2:5], off, off offset:304
	scratch_load_b128 v[6:9], off, off offset:320
	;; [unrolled: 1-line block ×8, first 2 shown]
	v_mov_b32_e32 v1, 0
	s_clause 0x1
	scratch_load_b128 v[34:37], off, off offset:432
	scratch_load_b128 v[197:200], off, off offset:448
	s_mov_b32 s2, exec_lo
	ds_load_b128 v[38:41], v1 offset:1104
	ds_load_b128 v[193:196], v1 offset:1120
	s_waitcnt vmcnt(9) lgkmcnt(1)
	v_mul_f64 v[201:202], v[40:41], v[4:5]
	v_mul_f64 v[4:5], v[38:39], v[4:5]
	s_waitcnt vmcnt(8) lgkmcnt(0)
	v_mul_f64 v[203:204], v[193:194], v[8:9]
	v_mul_f64 v[8:9], v[195:196], v[8:9]
	s_delay_alu instid0(VALU_DEP_4) | instskip(NEXT) | instid1(VALU_DEP_4)
	v_fma_f64 v[201:202], v[38:39], v[2:3], -v[201:202]
	v_fma_f64 v[205:206], v[40:41], v[2:3], v[4:5]
	ds_load_b128 v[2:5], v1 offset:1136
	scratch_load_b128 v[38:41], off, off offset:464
	v_fma_f64 v[203:204], v[195:196], v[6:7], v[203:204]
	v_fma_f64 v[209:210], v[193:194], v[6:7], -v[8:9]
	scratch_load_b128 v[193:196], off, off offset:480
	ds_load_b128 v[6:9], v1 offset:1152
	s_waitcnt vmcnt(9) lgkmcnt(1)
	v_mul_f64 v[207:208], v[2:3], v[12:13]
	v_mul_f64 v[12:13], v[4:5], v[12:13]
	s_waitcnt vmcnt(8) lgkmcnt(0)
	v_mul_f64 v[211:212], v[6:7], v[16:17]
	v_mul_f64 v[16:17], v[8:9], v[16:17]
	v_add_f64 v[201:202], v[201:202], 0
	v_add_f64 v[205:206], v[205:206], 0
	v_fma_f64 v[207:208], v[4:5], v[10:11], v[207:208]
	v_fma_f64 v[213:214], v[2:3], v[10:11], -v[12:13]
	ds_load_b128 v[2:5], v1 offset:1168
	scratch_load_b128 v[10:13], off, off offset:496
	v_add_f64 v[201:202], v[201:202], v[209:210]
	v_add_f64 v[203:204], v[205:206], v[203:204]
	v_fma_f64 v[209:210], v[8:9], v[14:15], v[211:212]
	v_fma_f64 v[211:212], v[6:7], v[14:15], -v[16:17]
	scratch_load_b128 v[14:17], off, off offset:512
	ds_load_b128 v[6:9], v1 offset:1184
	s_waitcnt vmcnt(9) lgkmcnt(1)
	v_mul_f64 v[205:206], v[2:3], v[20:21]
	v_mul_f64 v[20:21], v[4:5], v[20:21]
	v_add_f64 v[201:202], v[201:202], v[213:214]
	v_add_f64 v[203:204], v[203:204], v[207:208]
	s_waitcnt vmcnt(8) lgkmcnt(0)
	v_mul_f64 v[207:208], v[6:7], v[24:25]
	v_mul_f64 v[24:25], v[8:9], v[24:25]
	v_fma_f64 v[205:206], v[4:5], v[18:19], v[205:206]
	v_fma_f64 v[213:214], v[2:3], v[18:19], -v[20:21]
	ds_load_b128 v[2:5], v1 offset:1200
	scratch_load_b128 v[18:21], off, off offset:528
	v_add_f64 v[201:202], v[201:202], v[211:212]
	v_add_f64 v[203:204], v[203:204], v[209:210]
	v_fma_f64 v[207:208], v[8:9], v[22:23], v[207:208]
	v_fma_f64 v[211:212], v[6:7], v[22:23], -v[24:25]
	scratch_load_b128 v[22:25], off, off offset:544
	ds_load_b128 v[6:9], v1 offset:1216
	s_waitcnt vmcnt(9) lgkmcnt(1)
	v_mul_f64 v[209:210], v[2:3], v[28:29]
	v_mul_f64 v[28:29], v[4:5], v[28:29]
	v_add_f64 v[201:202], v[201:202], v[213:214]
	v_add_f64 v[203:204], v[203:204], v[205:206]
	s_waitcnt vmcnt(8) lgkmcnt(0)
	v_mul_f64 v[205:206], v[6:7], v[32:33]
	v_mul_f64 v[32:33], v[8:9], v[32:33]
	;; [unrolled: 18-line block ×6, first 2 shown]
	v_fma_f64 v[207:208], v[4:5], v[18:19], v[207:208]
	v_fma_f64 v[213:214], v[2:3], v[18:19], -v[20:21]
	ds_load_b128 v[2:5], v1 offset:1360
	scratch_load_b128 v[18:21], off, off offset:688
	v_add_f64 v[201:202], v[201:202], v[211:212]
	v_add_f64 v[203:204], v[203:204], v[205:206]
	v_fma_f64 v[209:210], v[8:9], v[22:23], v[209:210]
	v_fma_f64 v[211:212], v[6:7], v[22:23], -v[24:25]
	ds_load_b128 v[6:9], v1 offset:1376
	s_waitcnt vmcnt(8) lgkmcnt(1)
	v_mul_f64 v[205:206], v[2:3], v[28:29]
	v_mul_f64 v[28:29], v[4:5], v[28:29]
	scratch_load_b128 v[22:25], off, off offset:704
	v_add_f64 v[201:202], v[201:202], v[213:214]
	v_add_f64 v[203:204], v[203:204], v[207:208]
	s_waitcnt vmcnt(8) lgkmcnt(0)
	v_mul_f64 v[207:208], v[6:7], v[32:33]
	v_mul_f64 v[32:33], v[8:9], v[32:33]
	v_fma_f64 v[205:206], v[4:5], v[26:27], v[205:206]
	v_fma_f64 v[213:214], v[2:3], v[26:27], -v[28:29]
	scratch_load_b128 v[26:29], off, off offset:720
	ds_load_b128 v[2:5], v1 offset:1392
	v_add_f64 v[201:202], v[201:202], v[211:212]
	v_add_f64 v[203:204], v[203:204], v[209:210]
	v_fma_f64 v[207:208], v[8:9], v[30:31], v[207:208]
	v_fma_f64 v[211:212], v[6:7], v[30:31], -v[32:33]
	ds_load_b128 v[6:9], v1 offset:1408
	s_waitcnt vmcnt(8) lgkmcnt(1)
	v_mul_f64 v[209:210], v[2:3], v[36:37]
	v_mul_f64 v[36:37], v[4:5], v[36:37]
	scratch_load_b128 v[30:33], off, off offset:736
	v_add_f64 v[201:202], v[201:202], v[213:214]
	v_add_f64 v[203:204], v[203:204], v[205:206]
	s_waitcnt vmcnt(8) lgkmcnt(0)
	v_mul_f64 v[205:206], v[6:7], v[199:200]
	v_mul_f64 v[199:200], v[8:9], v[199:200]
	v_fma_f64 v[209:210], v[4:5], v[34:35], v[209:210]
	v_fma_f64 v[213:214], v[2:3], v[34:35], -v[36:37]
	scratch_load_b128 v[34:37], off, off offset:752
	ds_load_b128 v[2:5], v1 offset:1424
	v_add_f64 v[201:202], v[201:202], v[211:212]
	v_add_f64 v[203:204], v[203:204], v[207:208]
	v_fma_f64 v[205:206], v[8:9], v[197:198], v[205:206]
	v_fma_f64 v[211:212], v[6:7], v[197:198], -v[199:200]
	ds_load_b128 v[6:9], v1 offset:1440
	s_waitcnt vmcnt(8) lgkmcnt(1)
	v_mul_f64 v[207:208], v[2:3], v[40:41]
	v_mul_f64 v[40:41], v[4:5], v[40:41]
	scratch_load_b128 v[197:200], off, off offset:768
	v_add_f64 v[201:202], v[201:202], v[213:214]
	v_add_f64 v[203:204], v[203:204], v[209:210]
	s_waitcnt vmcnt(8) lgkmcnt(0)
	v_mul_f64 v[209:210], v[6:7], v[195:196]
	v_mul_f64 v[195:196], v[8:9], v[195:196]
	v_fma_f64 v[207:208], v[4:5], v[38:39], v[207:208]
	v_fma_f64 v[213:214], v[2:3], v[38:39], -v[40:41]
	scratch_load_b128 v[38:41], off, off offset:784
	ds_load_b128 v[2:5], v1 offset:1456
	v_add_f64 v[201:202], v[201:202], v[211:212]
	v_add_f64 v[203:204], v[203:204], v[205:206]
	v_fma_f64 v[209:210], v[8:9], v[193:194], v[209:210]
	v_fma_f64 v[193:194], v[6:7], v[193:194], -v[195:196]
	ds_load_b128 v[6:9], v1 offset:1472
	s_waitcnt vmcnt(8) lgkmcnt(1)
	v_mul_f64 v[205:206], v[2:3], v[12:13]
	v_mul_f64 v[12:13], v[4:5], v[12:13]
	v_add_f64 v[195:196], v[201:202], v[213:214]
	v_add_f64 v[201:202], v[203:204], v[207:208]
	s_waitcnt vmcnt(7) lgkmcnt(0)
	v_mul_f64 v[203:204], v[6:7], v[16:17]
	v_mul_f64 v[16:17], v[8:9], v[16:17]
	v_fma_f64 v[205:206], v[4:5], v[10:11], v[205:206]
	v_fma_f64 v[10:11], v[2:3], v[10:11], -v[12:13]
	ds_load_b128 v[2:5], v1 offset:1488
	v_add_f64 v[12:13], v[195:196], v[193:194]
	v_add_f64 v[193:194], v[201:202], v[209:210]
	v_fma_f64 v[201:202], v[8:9], v[14:15], v[203:204]
	v_fma_f64 v[14:15], v[6:7], v[14:15], -v[16:17]
	ds_load_b128 v[6:9], v1 offset:1504
	s_waitcnt vmcnt(5) lgkmcnt(0)
	v_mul_f64 v[203:204], v[6:7], v[24:25]
	v_mul_f64 v[24:25], v[8:9], v[24:25]
	v_add_f64 v[16:17], v[12:13], v[10:11]
	v_add_f64 v[193:194], v[193:194], v[205:206]
	scratch_load_b128 v[10:13], off, off offset:288
	v_mul_f64 v[195:196], v[2:3], v[20:21]
	v_mul_f64 v[20:21], v[4:5], v[20:21]
	v_add_f64 v[14:15], v[16:17], v[14:15]
	v_add_f64 v[16:17], v[193:194], v[201:202]
	v_fma_f64 v[193:194], v[8:9], v[22:23], v[203:204]
	v_fma_f64 v[195:196], v[4:5], v[18:19], v[195:196]
	v_fma_f64 v[18:19], v[2:3], v[18:19], -v[20:21]
	ds_load_b128 v[2:5], v1 offset:1520
	v_fma_f64 v[22:23], v[6:7], v[22:23], -v[24:25]
	ds_load_b128 v[6:9], v1 offset:1536
	s_waitcnt vmcnt(5) lgkmcnt(1)
	v_mul_f64 v[20:21], v[2:3], v[28:29]
	v_mul_f64 v[28:29], v[4:5], v[28:29]
	s_waitcnt vmcnt(4) lgkmcnt(0)
	v_mul_f64 v[24:25], v[8:9], v[32:33]
	v_add_f64 v[16:17], v[16:17], v[195:196]
	v_add_f64 v[14:15], v[14:15], v[18:19]
	v_mul_f64 v[18:19], v[6:7], v[32:33]
	v_fma_f64 v[20:21], v[4:5], v[26:27], v[20:21]
	v_fma_f64 v[26:27], v[2:3], v[26:27], -v[28:29]
	ds_load_b128 v[2:5], v1 offset:1552
	v_fma_f64 v[24:25], v[6:7], v[30:31], -v[24:25]
	v_add_f64 v[16:17], v[16:17], v[193:194]
	v_add_f64 v[14:15], v[14:15], v[22:23]
	v_fma_f64 v[18:19], v[8:9], v[30:31], v[18:19]
	ds_load_b128 v[6:9], v1 offset:1568
	s_waitcnt vmcnt(3) lgkmcnt(1)
	v_mul_f64 v[22:23], v[2:3], v[36:37]
	v_mul_f64 v[28:29], v[4:5], v[36:37]
	v_add_f64 v[16:17], v[16:17], v[20:21]
	v_add_f64 v[14:15], v[14:15], v[26:27]
	s_waitcnt vmcnt(2) lgkmcnt(0)
	v_mul_f64 v[20:21], v[6:7], v[199:200]
	v_mul_f64 v[26:27], v[8:9], v[199:200]
	v_fma_f64 v[22:23], v[4:5], v[34:35], v[22:23]
	v_fma_f64 v[28:29], v[2:3], v[34:35], -v[28:29]
	ds_load_b128 v[2:5], v1 offset:1584
	v_add_f64 v[16:17], v[16:17], v[18:19]
	v_add_f64 v[14:15], v[14:15], v[24:25]
	s_waitcnt vmcnt(1) lgkmcnt(0)
	v_mul_f64 v[18:19], v[2:3], v[40:41]
	v_mul_f64 v[24:25], v[4:5], v[40:41]
	v_fma_f64 v[8:9], v[8:9], v[197:198], v[20:21]
	v_fma_f64 v[6:7], v[6:7], v[197:198], -v[26:27]
	v_add_f64 v[16:17], v[16:17], v[22:23]
	v_add_f64 v[14:15], v[14:15], v[28:29]
	v_fma_f64 v[4:5], v[4:5], v[38:39], v[18:19]
	v_fma_f64 v[2:3], v[2:3], v[38:39], -v[24:25]
	s_delay_alu instid0(VALU_DEP_4) | instskip(NEXT) | instid1(VALU_DEP_4)
	v_add_f64 v[8:9], v[16:17], v[8:9]
	v_add_f64 v[6:7], v[14:15], v[6:7]
	s_delay_alu instid0(VALU_DEP_2) | instskip(NEXT) | instid1(VALU_DEP_2)
	v_add_f64 v[4:5], v[8:9], v[4:5]
	v_add_f64 v[2:3], v[6:7], v[2:3]
	s_waitcnt vmcnt(0)
	s_delay_alu instid0(VALU_DEP_2) | instskip(NEXT) | instid1(VALU_DEP_2)
	v_add_f64 v[4:5], v[12:13], -v[4:5]
	v_add_f64 v[2:3], v[10:11], -v[2:3]
	scratch_store_b128 off, v[2:5], off offset:288
	v_cmpx_lt_u32_e32 17, v142
	s_cbranch_execz .LBB49_279
; %bb.278:
	scratch_load_b128 v[5:8], v175, off
	v_mov_b32_e32 v2, v1
	v_mov_b32_e32 v3, v1
	v_mov_b32_e32 v4, v1
	scratch_store_b128 off, v[1:4], off offset:272
	s_waitcnt vmcnt(0)
	ds_store_b128 v192, v[5:8]
.LBB49_279:
	s_or_b32 exec_lo, exec_lo, s2
	s_waitcnt lgkmcnt(0)
	s_waitcnt_vscnt null, 0x0
	s_barrier
	buffer_gl0_inv
	s_clause 0x7
	scratch_load_b128 v[2:5], off, off offset:288
	scratch_load_b128 v[6:9], off, off offset:304
	;; [unrolled: 1-line block ×8, first 2 shown]
	ds_load_b128 v[38:41], v1 offset:1088
	ds_load_b128 v[193:196], v1 offset:1104
	s_clause 0x1
	scratch_load_b128 v[34:37], off, off offset:416
	scratch_load_b128 v[197:200], off, off offset:432
	s_mov_b32 s2, exec_lo
	s_waitcnt vmcnt(9) lgkmcnt(1)
	v_mul_f64 v[201:202], v[40:41], v[4:5]
	v_mul_f64 v[4:5], v[38:39], v[4:5]
	s_waitcnt vmcnt(8) lgkmcnt(0)
	v_mul_f64 v[203:204], v[193:194], v[8:9]
	v_mul_f64 v[8:9], v[195:196], v[8:9]
	s_delay_alu instid0(VALU_DEP_4) | instskip(NEXT) | instid1(VALU_DEP_4)
	v_fma_f64 v[201:202], v[38:39], v[2:3], -v[201:202]
	v_fma_f64 v[205:206], v[40:41], v[2:3], v[4:5]
	ds_load_b128 v[2:5], v1 offset:1120
	scratch_load_b128 v[38:41], off, off offset:448
	v_fma_f64 v[203:204], v[195:196], v[6:7], v[203:204]
	v_fma_f64 v[209:210], v[193:194], v[6:7], -v[8:9]
	scratch_load_b128 v[193:196], off, off offset:464
	ds_load_b128 v[6:9], v1 offset:1136
	s_waitcnt vmcnt(9) lgkmcnt(1)
	v_mul_f64 v[207:208], v[2:3], v[12:13]
	v_mul_f64 v[12:13], v[4:5], v[12:13]
	s_waitcnt vmcnt(8) lgkmcnt(0)
	v_mul_f64 v[211:212], v[6:7], v[16:17]
	v_mul_f64 v[16:17], v[8:9], v[16:17]
	v_add_f64 v[201:202], v[201:202], 0
	v_add_f64 v[205:206], v[205:206], 0
	v_fma_f64 v[207:208], v[4:5], v[10:11], v[207:208]
	v_fma_f64 v[213:214], v[2:3], v[10:11], -v[12:13]
	ds_load_b128 v[2:5], v1 offset:1152
	scratch_load_b128 v[10:13], off, off offset:480
	v_add_f64 v[201:202], v[201:202], v[209:210]
	v_add_f64 v[203:204], v[205:206], v[203:204]
	v_fma_f64 v[209:210], v[8:9], v[14:15], v[211:212]
	v_fma_f64 v[211:212], v[6:7], v[14:15], -v[16:17]
	scratch_load_b128 v[14:17], off, off offset:496
	ds_load_b128 v[6:9], v1 offset:1168
	s_waitcnt vmcnt(9) lgkmcnt(1)
	v_mul_f64 v[205:206], v[2:3], v[20:21]
	v_mul_f64 v[20:21], v[4:5], v[20:21]
	v_add_f64 v[201:202], v[201:202], v[213:214]
	v_add_f64 v[203:204], v[203:204], v[207:208]
	s_waitcnt vmcnt(8) lgkmcnt(0)
	v_mul_f64 v[207:208], v[6:7], v[24:25]
	v_mul_f64 v[24:25], v[8:9], v[24:25]
	v_fma_f64 v[205:206], v[4:5], v[18:19], v[205:206]
	v_fma_f64 v[213:214], v[2:3], v[18:19], -v[20:21]
	ds_load_b128 v[2:5], v1 offset:1184
	scratch_load_b128 v[18:21], off, off offset:512
	v_add_f64 v[201:202], v[201:202], v[211:212]
	v_add_f64 v[203:204], v[203:204], v[209:210]
	v_fma_f64 v[207:208], v[8:9], v[22:23], v[207:208]
	v_fma_f64 v[211:212], v[6:7], v[22:23], -v[24:25]
	scratch_load_b128 v[22:25], off, off offset:528
	ds_load_b128 v[6:9], v1 offset:1200
	s_waitcnt vmcnt(9) lgkmcnt(1)
	v_mul_f64 v[209:210], v[2:3], v[28:29]
	v_mul_f64 v[28:29], v[4:5], v[28:29]
	v_add_f64 v[201:202], v[201:202], v[213:214]
	v_add_f64 v[203:204], v[203:204], v[205:206]
	s_waitcnt vmcnt(8) lgkmcnt(0)
	v_mul_f64 v[205:206], v[6:7], v[32:33]
	v_mul_f64 v[32:33], v[8:9], v[32:33]
	;; [unrolled: 18-line block ×6, first 2 shown]
	v_fma_f64 v[207:208], v[4:5], v[18:19], v[207:208]
	v_fma_f64 v[213:214], v[2:3], v[18:19], -v[20:21]
	ds_load_b128 v[2:5], v1 offset:1344
	scratch_load_b128 v[18:21], off, off offset:672
	v_add_f64 v[201:202], v[201:202], v[211:212]
	v_add_f64 v[203:204], v[203:204], v[205:206]
	v_fma_f64 v[209:210], v[8:9], v[22:23], v[209:210]
	v_fma_f64 v[211:212], v[6:7], v[22:23], -v[24:25]
	ds_load_b128 v[6:9], v1 offset:1360
	s_waitcnt vmcnt(8) lgkmcnt(1)
	v_mul_f64 v[205:206], v[2:3], v[28:29]
	v_mul_f64 v[28:29], v[4:5], v[28:29]
	scratch_load_b128 v[22:25], off, off offset:688
	v_add_f64 v[201:202], v[201:202], v[213:214]
	v_add_f64 v[203:204], v[203:204], v[207:208]
	s_waitcnt vmcnt(8) lgkmcnt(0)
	v_mul_f64 v[207:208], v[6:7], v[32:33]
	v_mul_f64 v[32:33], v[8:9], v[32:33]
	v_fma_f64 v[205:206], v[4:5], v[26:27], v[205:206]
	v_fma_f64 v[213:214], v[2:3], v[26:27], -v[28:29]
	ds_load_b128 v[2:5], v1 offset:1376
	scratch_load_b128 v[26:29], off, off offset:704
	v_add_f64 v[201:202], v[201:202], v[211:212]
	v_add_f64 v[203:204], v[203:204], v[209:210]
	v_fma_f64 v[207:208], v[8:9], v[30:31], v[207:208]
	v_fma_f64 v[211:212], v[6:7], v[30:31], -v[32:33]
	ds_load_b128 v[6:9], v1 offset:1392
	s_waitcnt vmcnt(8) lgkmcnt(1)
	v_mul_f64 v[209:210], v[2:3], v[36:37]
	v_mul_f64 v[36:37], v[4:5], v[36:37]
	scratch_load_b128 v[30:33], off, off offset:720
	v_add_f64 v[201:202], v[201:202], v[213:214]
	v_add_f64 v[203:204], v[203:204], v[205:206]
	s_waitcnt vmcnt(8) lgkmcnt(0)
	v_mul_f64 v[205:206], v[6:7], v[199:200]
	v_mul_f64 v[199:200], v[8:9], v[199:200]
	v_fma_f64 v[209:210], v[4:5], v[34:35], v[209:210]
	v_fma_f64 v[213:214], v[2:3], v[34:35], -v[36:37]
	scratch_load_b128 v[34:37], off, off offset:736
	ds_load_b128 v[2:5], v1 offset:1408
	v_add_f64 v[201:202], v[201:202], v[211:212]
	v_add_f64 v[203:204], v[203:204], v[207:208]
	v_fma_f64 v[205:206], v[8:9], v[197:198], v[205:206]
	v_fma_f64 v[211:212], v[6:7], v[197:198], -v[199:200]
	ds_load_b128 v[6:9], v1 offset:1424
	s_waitcnt vmcnt(8) lgkmcnt(1)
	v_mul_f64 v[207:208], v[2:3], v[40:41]
	v_mul_f64 v[40:41], v[4:5], v[40:41]
	scratch_load_b128 v[197:200], off, off offset:752
	v_add_f64 v[201:202], v[201:202], v[213:214]
	v_add_f64 v[203:204], v[203:204], v[209:210]
	s_waitcnt vmcnt(8) lgkmcnt(0)
	v_mul_f64 v[209:210], v[6:7], v[195:196]
	v_mul_f64 v[195:196], v[8:9], v[195:196]
	v_fma_f64 v[207:208], v[4:5], v[38:39], v[207:208]
	v_fma_f64 v[213:214], v[2:3], v[38:39], -v[40:41]
	scratch_load_b128 v[38:41], off, off offset:768
	ds_load_b128 v[2:5], v1 offset:1440
	v_add_f64 v[201:202], v[201:202], v[211:212]
	v_add_f64 v[203:204], v[203:204], v[205:206]
	v_fma_f64 v[209:210], v[8:9], v[193:194], v[209:210]
	v_fma_f64 v[211:212], v[6:7], v[193:194], -v[195:196]
	ds_load_b128 v[6:9], v1 offset:1456
	s_waitcnt vmcnt(8) lgkmcnt(1)
	v_mul_f64 v[205:206], v[2:3], v[12:13]
	v_mul_f64 v[12:13], v[4:5], v[12:13]
	scratch_load_b128 v[193:196], off, off offset:784
	v_add_f64 v[201:202], v[201:202], v[213:214]
	v_add_f64 v[203:204], v[203:204], v[207:208]
	s_waitcnt vmcnt(8) lgkmcnt(0)
	v_mul_f64 v[207:208], v[6:7], v[16:17]
	v_mul_f64 v[16:17], v[8:9], v[16:17]
	v_fma_f64 v[205:206], v[4:5], v[10:11], v[205:206]
	v_fma_f64 v[10:11], v[2:3], v[10:11], -v[12:13]
	ds_load_b128 v[2:5], v1 offset:1472
	v_add_f64 v[12:13], v[201:202], v[211:212]
	v_add_f64 v[201:202], v[203:204], v[209:210]
	v_fma_f64 v[207:208], v[8:9], v[14:15], v[207:208]
	v_fma_f64 v[14:15], v[6:7], v[14:15], -v[16:17]
	ds_load_b128 v[6:9], v1 offset:1488
	s_waitcnt vmcnt(7) lgkmcnt(1)
	v_mul_f64 v[203:204], v[2:3], v[20:21]
	v_mul_f64 v[20:21], v[4:5], v[20:21]
	v_add_f64 v[10:11], v[12:13], v[10:11]
	v_add_f64 v[12:13], v[201:202], v[205:206]
	s_delay_alu instid0(VALU_DEP_4) | instskip(NEXT) | instid1(VALU_DEP_4)
	v_fma_f64 v[201:202], v[4:5], v[18:19], v[203:204]
	v_fma_f64 v[18:19], v[2:3], v[18:19], -v[20:21]
	ds_load_b128 v[2:5], v1 offset:1504
	v_add_f64 v[14:15], v[10:11], v[14:15]
	v_add_f64 v[20:21], v[12:13], v[207:208]
	scratch_load_b128 v[10:13], off, off offset:272
	s_waitcnt vmcnt(7) lgkmcnt(1)
	v_mul_f64 v[16:17], v[6:7], v[24:25]
	v_mul_f64 v[24:25], v[8:9], v[24:25]
	v_add_f64 v[14:15], v[14:15], v[18:19]
	v_add_f64 v[18:19], v[20:21], v[201:202]
	s_delay_alu instid0(VALU_DEP_4) | instskip(NEXT) | instid1(VALU_DEP_4)
	v_fma_f64 v[16:17], v[8:9], v[22:23], v[16:17]
	v_fma_f64 v[22:23], v[6:7], v[22:23], -v[24:25]
	ds_load_b128 v[6:9], v1 offset:1520
	s_waitcnt vmcnt(6) lgkmcnt(1)
	v_mul_f64 v[203:204], v[2:3], v[28:29]
	v_mul_f64 v[28:29], v[4:5], v[28:29]
	s_waitcnt vmcnt(5) lgkmcnt(0)
	v_mul_f64 v[20:21], v[6:7], v[32:33]
	v_mul_f64 v[24:25], v[8:9], v[32:33]
	v_add_f64 v[16:17], v[18:19], v[16:17]
	v_add_f64 v[14:15], v[14:15], v[22:23]
	v_fma_f64 v[32:33], v[4:5], v[26:27], v[203:204]
	v_fma_f64 v[26:27], v[2:3], v[26:27], -v[28:29]
	ds_load_b128 v[2:5], v1 offset:1536
	v_fma_f64 v[20:21], v[8:9], v[30:31], v[20:21]
	v_fma_f64 v[24:25], v[6:7], v[30:31], -v[24:25]
	ds_load_b128 v[6:9], v1 offset:1552
	s_waitcnt vmcnt(4) lgkmcnt(1)
	v_mul_f64 v[18:19], v[2:3], v[36:37]
	v_mul_f64 v[22:23], v[4:5], v[36:37]
	v_add_f64 v[16:17], v[16:17], v[32:33]
	v_add_f64 v[14:15], v[14:15], v[26:27]
	s_waitcnt vmcnt(3) lgkmcnt(0)
	v_mul_f64 v[26:27], v[6:7], v[199:200]
	v_mul_f64 v[28:29], v[8:9], v[199:200]
	v_fma_f64 v[18:19], v[4:5], v[34:35], v[18:19]
	v_fma_f64 v[22:23], v[2:3], v[34:35], -v[22:23]
	ds_load_b128 v[2:5], v1 offset:1568
	v_add_f64 v[16:17], v[16:17], v[20:21]
	v_add_f64 v[14:15], v[14:15], v[24:25]
	v_fma_f64 v[26:27], v[8:9], v[197:198], v[26:27]
	v_fma_f64 v[28:29], v[6:7], v[197:198], -v[28:29]
	ds_load_b128 v[6:9], v1 offset:1584
	s_waitcnt vmcnt(2) lgkmcnt(1)
	v_mul_f64 v[20:21], v[2:3], v[40:41]
	v_mul_f64 v[24:25], v[4:5], v[40:41]
	v_add_f64 v[16:17], v[16:17], v[18:19]
	v_add_f64 v[14:15], v[14:15], v[22:23]
	s_waitcnt vmcnt(1) lgkmcnt(0)
	v_mul_f64 v[18:19], v[6:7], v[195:196]
	v_mul_f64 v[22:23], v[8:9], v[195:196]
	v_fma_f64 v[4:5], v[4:5], v[38:39], v[20:21]
	v_fma_f64 v[1:2], v[2:3], v[38:39], -v[24:25]
	v_add_f64 v[16:17], v[16:17], v[26:27]
	v_add_f64 v[14:15], v[14:15], v[28:29]
	v_fma_f64 v[8:9], v[8:9], v[193:194], v[18:19]
	v_fma_f64 v[6:7], v[6:7], v[193:194], -v[22:23]
	s_delay_alu instid0(VALU_DEP_4) | instskip(NEXT) | instid1(VALU_DEP_4)
	v_add_f64 v[3:4], v[16:17], v[4:5]
	v_add_f64 v[1:2], v[14:15], v[1:2]
	s_delay_alu instid0(VALU_DEP_2) | instskip(NEXT) | instid1(VALU_DEP_2)
	v_add_f64 v[3:4], v[3:4], v[8:9]
	v_add_f64 v[1:2], v[1:2], v[6:7]
	s_waitcnt vmcnt(0)
	s_delay_alu instid0(VALU_DEP_2) | instskip(NEXT) | instid1(VALU_DEP_2)
	v_add_f64 v[3:4], v[12:13], -v[3:4]
	v_add_f64 v[1:2], v[10:11], -v[1:2]
	scratch_store_b128 off, v[1:4], off offset:272
	v_cmpx_lt_u32_e32 16, v142
	s_cbranch_execz .LBB49_281
; %bb.280:
	scratch_load_b128 v[1:4], v176, off
	v_mov_b32_e32 v5, 0
	s_delay_alu instid0(VALU_DEP_1)
	v_mov_b32_e32 v6, v5
	v_mov_b32_e32 v7, v5
	;; [unrolled: 1-line block ×3, first 2 shown]
	scratch_store_b128 off, v[5:8], off offset:256
	s_waitcnt vmcnt(0)
	ds_store_b128 v192, v[1:4]
.LBB49_281:
	s_or_b32 exec_lo, exec_lo, s2
	s_waitcnt lgkmcnt(0)
	s_waitcnt_vscnt null, 0x0
	s_barrier
	buffer_gl0_inv
	s_clause 0x7
	scratch_load_b128 v[2:5], off, off offset:272
	scratch_load_b128 v[6:9], off, off offset:288
	;; [unrolled: 1-line block ×8, first 2 shown]
	v_mov_b32_e32 v1, 0
	s_clause 0x1
	scratch_load_b128 v[34:37], off, off offset:400
	scratch_load_b128 v[197:200], off, off offset:416
	s_mov_b32 s2, exec_lo
	ds_load_b128 v[38:41], v1 offset:1072
	ds_load_b128 v[193:196], v1 offset:1088
	s_waitcnt vmcnt(9) lgkmcnt(1)
	v_mul_f64 v[201:202], v[40:41], v[4:5]
	v_mul_f64 v[4:5], v[38:39], v[4:5]
	s_waitcnt vmcnt(8) lgkmcnt(0)
	v_mul_f64 v[203:204], v[193:194], v[8:9]
	v_mul_f64 v[8:9], v[195:196], v[8:9]
	s_delay_alu instid0(VALU_DEP_4) | instskip(NEXT) | instid1(VALU_DEP_4)
	v_fma_f64 v[201:202], v[38:39], v[2:3], -v[201:202]
	v_fma_f64 v[205:206], v[40:41], v[2:3], v[4:5]
	ds_load_b128 v[2:5], v1 offset:1104
	scratch_load_b128 v[38:41], off, off offset:432
	v_fma_f64 v[203:204], v[195:196], v[6:7], v[203:204]
	v_fma_f64 v[209:210], v[193:194], v[6:7], -v[8:9]
	scratch_load_b128 v[193:196], off, off offset:448
	ds_load_b128 v[6:9], v1 offset:1120
	s_waitcnt vmcnt(9) lgkmcnt(1)
	v_mul_f64 v[207:208], v[2:3], v[12:13]
	v_mul_f64 v[12:13], v[4:5], v[12:13]
	s_waitcnt vmcnt(8) lgkmcnt(0)
	v_mul_f64 v[211:212], v[6:7], v[16:17]
	v_mul_f64 v[16:17], v[8:9], v[16:17]
	v_add_f64 v[201:202], v[201:202], 0
	v_add_f64 v[205:206], v[205:206], 0
	v_fma_f64 v[207:208], v[4:5], v[10:11], v[207:208]
	v_fma_f64 v[213:214], v[2:3], v[10:11], -v[12:13]
	ds_load_b128 v[2:5], v1 offset:1136
	scratch_load_b128 v[10:13], off, off offset:464
	v_add_f64 v[201:202], v[201:202], v[209:210]
	v_add_f64 v[203:204], v[205:206], v[203:204]
	v_fma_f64 v[209:210], v[8:9], v[14:15], v[211:212]
	v_fma_f64 v[211:212], v[6:7], v[14:15], -v[16:17]
	scratch_load_b128 v[14:17], off, off offset:480
	ds_load_b128 v[6:9], v1 offset:1152
	s_waitcnt vmcnt(9) lgkmcnt(1)
	v_mul_f64 v[205:206], v[2:3], v[20:21]
	v_mul_f64 v[20:21], v[4:5], v[20:21]
	v_add_f64 v[201:202], v[201:202], v[213:214]
	v_add_f64 v[203:204], v[203:204], v[207:208]
	s_waitcnt vmcnt(8) lgkmcnt(0)
	v_mul_f64 v[207:208], v[6:7], v[24:25]
	v_mul_f64 v[24:25], v[8:9], v[24:25]
	v_fma_f64 v[205:206], v[4:5], v[18:19], v[205:206]
	v_fma_f64 v[213:214], v[2:3], v[18:19], -v[20:21]
	ds_load_b128 v[2:5], v1 offset:1168
	scratch_load_b128 v[18:21], off, off offset:496
	v_add_f64 v[201:202], v[201:202], v[211:212]
	v_add_f64 v[203:204], v[203:204], v[209:210]
	v_fma_f64 v[207:208], v[8:9], v[22:23], v[207:208]
	v_fma_f64 v[211:212], v[6:7], v[22:23], -v[24:25]
	scratch_load_b128 v[22:25], off, off offset:512
	ds_load_b128 v[6:9], v1 offset:1184
	s_waitcnt vmcnt(9) lgkmcnt(1)
	v_mul_f64 v[209:210], v[2:3], v[28:29]
	v_mul_f64 v[28:29], v[4:5], v[28:29]
	v_add_f64 v[201:202], v[201:202], v[213:214]
	v_add_f64 v[203:204], v[203:204], v[205:206]
	s_waitcnt vmcnt(8) lgkmcnt(0)
	v_mul_f64 v[205:206], v[6:7], v[32:33]
	v_mul_f64 v[32:33], v[8:9], v[32:33]
	v_fma_f64 v[209:210], v[4:5], v[26:27], v[209:210]
	v_fma_f64 v[213:214], v[2:3], v[26:27], -v[28:29]
	ds_load_b128 v[2:5], v1 offset:1200
	scratch_load_b128 v[26:29], off, off offset:528
	v_add_f64 v[201:202], v[201:202], v[211:212]
	v_add_f64 v[203:204], v[203:204], v[207:208]
	v_fma_f64 v[205:206], v[8:9], v[30:31], v[205:206]
	v_fma_f64 v[211:212], v[6:7], v[30:31], -v[32:33]
	scratch_load_b128 v[30:33], off, off offset:544
	ds_load_b128 v[6:9], v1 offset:1216
	s_waitcnt vmcnt(9) lgkmcnt(1)
	v_mul_f64 v[207:208], v[2:3], v[36:37]
	v_mul_f64 v[36:37], v[4:5], v[36:37]
	v_add_f64 v[201:202], v[201:202], v[213:214]
	v_add_f64 v[203:204], v[203:204], v[209:210]
	s_waitcnt vmcnt(8) lgkmcnt(0)
	v_mul_f64 v[209:210], v[6:7], v[199:200]
	v_mul_f64 v[199:200], v[8:9], v[199:200]
	v_fma_f64 v[207:208], v[4:5], v[34:35], v[207:208]
	v_fma_f64 v[213:214], v[2:3], v[34:35], -v[36:37]
	ds_load_b128 v[2:5], v1 offset:1232
	scratch_load_b128 v[34:37], off, off offset:560
	v_add_f64 v[201:202], v[201:202], v[211:212]
	v_add_f64 v[203:204], v[203:204], v[205:206]
	v_fma_f64 v[209:210], v[8:9], v[197:198], v[209:210]
	v_fma_f64 v[211:212], v[6:7], v[197:198], -v[199:200]
	scratch_load_b128 v[197:200], off, off offset:576
	ds_load_b128 v[6:9], v1 offset:1248
	s_waitcnt vmcnt(9) lgkmcnt(1)
	v_mul_f64 v[205:206], v[2:3], v[40:41]
	v_mul_f64 v[40:41], v[4:5], v[40:41]
	v_add_f64 v[201:202], v[201:202], v[213:214]
	v_add_f64 v[203:204], v[203:204], v[207:208]
	s_waitcnt vmcnt(8) lgkmcnt(0)
	v_mul_f64 v[207:208], v[6:7], v[195:196]
	v_mul_f64 v[195:196], v[8:9], v[195:196]
	v_fma_f64 v[205:206], v[4:5], v[38:39], v[205:206]
	v_fma_f64 v[213:214], v[2:3], v[38:39], -v[40:41]
	ds_load_b128 v[2:5], v1 offset:1264
	scratch_load_b128 v[38:41], off, off offset:592
	v_add_f64 v[201:202], v[201:202], v[211:212]
	v_add_f64 v[203:204], v[203:204], v[209:210]
	v_fma_f64 v[207:208], v[8:9], v[193:194], v[207:208]
	v_fma_f64 v[211:212], v[6:7], v[193:194], -v[195:196]
	scratch_load_b128 v[193:196], off, off offset:608
	ds_load_b128 v[6:9], v1 offset:1280
	s_waitcnt vmcnt(9) lgkmcnt(1)
	v_mul_f64 v[209:210], v[2:3], v[12:13]
	v_mul_f64 v[12:13], v[4:5], v[12:13]
	v_add_f64 v[201:202], v[201:202], v[213:214]
	v_add_f64 v[203:204], v[203:204], v[205:206]
	s_waitcnt vmcnt(8) lgkmcnt(0)
	v_mul_f64 v[205:206], v[6:7], v[16:17]
	v_mul_f64 v[16:17], v[8:9], v[16:17]
	v_fma_f64 v[209:210], v[4:5], v[10:11], v[209:210]
	v_fma_f64 v[213:214], v[2:3], v[10:11], -v[12:13]
	ds_load_b128 v[2:5], v1 offset:1296
	scratch_load_b128 v[10:13], off, off offset:624
	v_add_f64 v[201:202], v[201:202], v[211:212]
	v_add_f64 v[203:204], v[203:204], v[207:208]
	v_fma_f64 v[205:206], v[8:9], v[14:15], v[205:206]
	v_fma_f64 v[211:212], v[6:7], v[14:15], -v[16:17]
	scratch_load_b128 v[14:17], off, off offset:640
	ds_load_b128 v[6:9], v1 offset:1312
	s_waitcnt vmcnt(9) lgkmcnt(1)
	v_mul_f64 v[207:208], v[2:3], v[20:21]
	v_mul_f64 v[20:21], v[4:5], v[20:21]
	v_add_f64 v[201:202], v[201:202], v[213:214]
	v_add_f64 v[203:204], v[203:204], v[209:210]
	s_waitcnt vmcnt(8) lgkmcnt(0)
	v_mul_f64 v[209:210], v[6:7], v[24:25]
	v_mul_f64 v[24:25], v[8:9], v[24:25]
	v_fma_f64 v[207:208], v[4:5], v[18:19], v[207:208]
	v_fma_f64 v[213:214], v[2:3], v[18:19], -v[20:21]
	ds_load_b128 v[2:5], v1 offset:1328
	scratch_load_b128 v[18:21], off, off offset:656
	v_add_f64 v[201:202], v[201:202], v[211:212]
	v_add_f64 v[203:204], v[203:204], v[205:206]
	v_fma_f64 v[209:210], v[8:9], v[22:23], v[209:210]
	v_fma_f64 v[211:212], v[6:7], v[22:23], -v[24:25]
	scratch_load_b128 v[22:25], off, off offset:672
	ds_load_b128 v[6:9], v1 offset:1344
	s_waitcnt vmcnt(9) lgkmcnt(1)
	v_mul_f64 v[205:206], v[2:3], v[28:29]
	v_mul_f64 v[28:29], v[4:5], v[28:29]
	v_add_f64 v[201:202], v[201:202], v[213:214]
	v_add_f64 v[203:204], v[203:204], v[207:208]
	s_waitcnt vmcnt(8) lgkmcnt(0)
	v_mul_f64 v[207:208], v[6:7], v[32:33]
	v_mul_f64 v[32:33], v[8:9], v[32:33]
	v_fma_f64 v[205:206], v[4:5], v[26:27], v[205:206]
	v_fma_f64 v[213:214], v[2:3], v[26:27], -v[28:29]
	ds_load_b128 v[2:5], v1 offset:1360
	scratch_load_b128 v[26:29], off, off offset:688
	v_add_f64 v[201:202], v[201:202], v[211:212]
	v_add_f64 v[203:204], v[203:204], v[209:210]
	v_fma_f64 v[207:208], v[8:9], v[30:31], v[207:208]
	v_fma_f64 v[211:212], v[6:7], v[30:31], -v[32:33]
	ds_load_b128 v[6:9], v1 offset:1376
	s_waitcnt vmcnt(8) lgkmcnt(1)
	v_mul_f64 v[209:210], v[2:3], v[36:37]
	v_mul_f64 v[36:37], v[4:5], v[36:37]
	scratch_load_b128 v[30:33], off, off offset:704
	v_add_f64 v[201:202], v[201:202], v[213:214]
	v_add_f64 v[203:204], v[203:204], v[205:206]
	s_waitcnt vmcnt(8) lgkmcnt(0)
	v_mul_f64 v[205:206], v[6:7], v[199:200]
	v_mul_f64 v[199:200], v[8:9], v[199:200]
	v_fma_f64 v[209:210], v[4:5], v[34:35], v[209:210]
	v_fma_f64 v[213:214], v[2:3], v[34:35], -v[36:37]
	scratch_load_b128 v[34:37], off, off offset:720
	ds_load_b128 v[2:5], v1 offset:1392
	v_add_f64 v[201:202], v[201:202], v[211:212]
	v_add_f64 v[203:204], v[203:204], v[207:208]
	v_fma_f64 v[205:206], v[8:9], v[197:198], v[205:206]
	v_fma_f64 v[211:212], v[6:7], v[197:198], -v[199:200]
	ds_load_b128 v[6:9], v1 offset:1408
	s_waitcnt vmcnt(8) lgkmcnt(1)
	v_mul_f64 v[207:208], v[2:3], v[40:41]
	v_mul_f64 v[40:41], v[4:5], v[40:41]
	scratch_load_b128 v[197:200], off, off offset:736
	v_add_f64 v[201:202], v[201:202], v[213:214]
	v_add_f64 v[203:204], v[203:204], v[209:210]
	s_waitcnt vmcnt(8) lgkmcnt(0)
	v_mul_f64 v[209:210], v[6:7], v[195:196]
	v_mul_f64 v[195:196], v[8:9], v[195:196]
	v_fma_f64 v[207:208], v[4:5], v[38:39], v[207:208]
	v_fma_f64 v[213:214], v[2:3], v[38:39], -v[40:41]
	scratch_load_b128 v[38:41], off, off offset:752
	ds_load_b128 v[2:5], v1 offset:1424
	;; [unrolled: 18-line block ×3, first 2 shown]
	v_add_f64 v[201:202], v[201:202], v[211:212]
	v_add_f64 v[203:204], v[203:204], v[209:210]
	v_fma_f64 v[207:208], v[8:9], v[14:15], v[207:208]
	v_fma_f64 v[14:15], v[6:7], v[14:15], -v[16:17]
	ds_load_b128 v[6:9], v1 offset:1472
	s_waitcnt vmcnt(8) lgkmcnt(1)
	v_mul_f64 v[209:210], v[2:3], v[20:21]
	v_mul_f64 v[20:21], v[4:5], v[20:21]
	v_add_f64 v[16:17], v[201:202], v[213:214]
	v_add_f64 v[201:202], v[203:204], v[205:206]
	s_waitcnt vmcnt(7) lgkmcnt(0)
	v_mul_f64 v[203:204], v[6:7], v[24:25]
	v_mul_f64 v[24:25], v[8:9], v[24:25]
	v_fma_f64 v[205:206], v[4:5], v[18:19], v[209:210]
	v_fma_f64 v[18:19], v[2:3], v[18:19], -v[20:21]
	ds_load_b128 v[2:5], v1 offset:1488
	v_add_f64 v[14:15], v[16:17], v[14:15]
	v_add_f64 v[16:17], v[201:202], v[207:208]
	v_fma_f64 v[201:202], v[8:9], v[22:23], v[203:204]
	v_fma_f64 v[22:23], v[6:7], v[22:23], -v[24:25]
	ds_load_b128 v[6:9], v1 offset:1504
	s_waitcnt vmcnt(5) lgkmcnt(0)
	v_mul_f64 v[203:204], v[6:7], v[32:33]
	v_mul_f64 v[32:33], v[8:9], v[32:33]
	v_add_f64 v[18:19], v[14:15], v[18:19]
	v_add_f64 v[24:25], v[16:17], v[205:206]
	scratch_load_b128 v[14:17], off, off offset:256
	v_mul_f64 v[20:21], v[2:3], v[28:29]
	v_mul_f64 v[28:29], v[4:5], v[28:29]
	v_add_f64 v[18:19], v[18:19], v[22:23]
	v_add_f64 v[22:23], v[24:25], v[201:202]
	s_delay_alu instid0(VALU_DEP_4) | instskip(NEXT) | instid1(VALU_DEP_4)
	v_fma_f64 v[20:21], v[4:5], v[26:27], v[20:21]
	v_fma_f64 v[26:27], v[2:3], v[26:27], -v[28:29]
	ds_load_b128 v[2:5], v1 offset:1520
	s_waitcnt vmcnt(5) lgkmcnt(0)
	v_mul_f64 v[24:25], v[2:3], v[36:37]
	v_mul_f64 v[28:29], v[4:5], v[36:37]
	v_fma_f64 v[36:37], v[8:9], v[30:31], v[203:204]
	v_fma_f64 v[30:31], v[6:7], v[30:31], -v[32:33]
	ds_load_b128 v[6:9], v1 offset:1536
	v_add_f64 v[20:21], v[22:23], v[20:21]
	v_add_f64 v[18:19], v[18:19], v[26:27]
	v_fma_f64 v[24:25], v[4:5], v[34:35], v[24:25]
	v_fma_f64 v[28:29], v[2:3], v[34:35], -v[28:29]
	ds_load_b128 v[2:5], v1 offset:1552
	s_waitcnt vmcnt(4) lgkmcnt(1)
	v_mul_f64 v[22:23], v[6:7], v[199:200]
	v_mul_f64 v[26:27], v[8:9], v[199:200]
	v_add_f64 v[20:21], v[20:21], v[36:37]
	v_add_f64 v[18:19], v[18:19], v[30:31]
	s_waitcnt vmcnt(3) lgkmcnt(0)
	v_mul_f64 v[30:31], v[2:3], v[40:41]
	v_mul_f64 v[32:33], v[4:5], v[40:41]
	v_fma_f64 v[22:23], v[8:9], v[197:198], v[22:23]
	v_fma_f64 v[26:27], v[6:7], v[197:198], -v[26:27]
	ds_load_b128 v[6:9], v1 offset:1568
	v_add_f64 v[20:21], v[20:21], v[24:25]
	v_add_f64 v[18:19], v[18:19], v[28:29]
	v_fma_f64 v[30:31], v[4:5], v[38:39], v[30:31]
	v_fma_f64 v[32:33], v[2:3], v[38:39], -v[32:33]
	ds_load_b128 v[2:5], v1 offset:1584
	s_waitcnt vmcnt(2) lgkmcnt(1)
	v_mul_f64 v[24:25], v[6:7], v[195:196]
	v_mul_f64 v[28:29], v[8:9], v[195:196]
	v_add_f64 v[20:21], v[20:21], v[22:23]
	v_add_f64 v[18:19], v[18:19], v[26:27]
	s_waitcnt vmcnt(1) lgkmcnt(0)
	v_mul_f64 v[22:23], v[2:3], v[12:13]
	v_mul_f64 v[12:13], v[4:5], v[12:13]
	v_fma_f64 v[8:9], v[8:9], v[193:194], v[24:25]
	v_fma_f64 v[6:7], v[6:7], v[193:194], -v[28:29]
	v_add_f64 v[20:21], v[20:21], v[30:31]
	v_add_f64 v[18:19], v[18:19], v[32:33]
	v_fma_f64 v[4:5], v[4:5], v[10:11], v[22:23]
	v_fma_f64 v[2:3], v[2:3], v[10:11], -v[12:13]
	s_delay_alu instid0(VALU_DEP_4) | instskip(NEXT) | instid1(VALU_DEP_4)
	v_add_f64 v[8:9], v[20:21], v[8:9]
	v_add_f64 v[6:7], v[18:19], v[6:7]
	s_delay_alu instid0(VALU_DEP_2) | instskip(NEXT) | instid1(VALU_DEP_2)
	v_add_f64 v[4:5], v[8:9], v[4:5]
	v_add_f64 v[2:3], v[6:7], v[2:3]
	s_waitcnt vmcnt(0)
	s_delay_alu instid0(VALU_DEP_2) | instskip(NEXT) | instid1(VALU_DEP_2)
	v_add_f64 v[4:5], v[16:17], -v[4:5]
	v_add_f64 v[2:3], v[14:15], -v[2:3]
	scratch_store_b128 off, v[2:5], off offset:256
	v_cmpx_lt_u32_e32 15, v142
	s_cbranch_execz .LBB49_283
; %bb.282:
	scratch_load_b128 v[5:8], v177, off
	v_mov_b32_e32 v2, v1
	v_mov_b32_e32 v3, v1
	;; [unrolled: 1-line block ×3, first 2 shown]
	scratch_store_b128 off, v[1:4], off offset:240
	s_waitcnt vmcnt(0)
	ds_store_b128 v192, v[5:8]
.LBB49_283:
	s_or_b32 exec_lo, exec_lo, s2
	s_waitcnt lgkmcnt(0)
	s_waitcnt_vscnt null, 0x0
	s_barrier
	buffer_gl0_inv
	s_clause 0x7
	scratch_load_b128 v[2:5], off, off offset:256
	scratch_load_b128 v[6:9], off, off offset:272
	;; [unrolled: 1-line block ×8, first 2 shown]
	ds_load_b128 v[38:41], v1 offset:1056
	ds_load_b128 v[193:196], v1 offset:1072
	s_clause 0x1
	scratch_load_b128 v[34:37], off, off offset:384
	scratch_load_b128 v[197:200], off, off offset:400
	s_mov_b32 s2, exec_lo
	s_waitcnt vmcnt(9) lgkmcnt(1)
	v_mul_f64 v[201:202], v[40:41], v[4:5]
	v_mul_f64 v[4:5], v[38:39], v[4:5]
	s_waitcnt vmcnt(8) lgkmcnt(0)
	v_mul_f64 v[203:204], v[193:194], v[8:9]
	v_mul_f64 v[8:9], v[195:196], v[8:9]
	s_delay_alu instid0(VALU_DEP_4) | instskip(NEXT) | instid1(VALU_DEP_4)
	v_fma_f64 v[201:202], v[38:39], v[2:3], -v[201:202]
	v_fma_f64 v[205:206], v[40:41], v[2:3], v[4:5]
	ds_load_b128 v[2:5], v1 offset:1088
	scratch_load_b128 v[38:41], off, off offset:416
	v_fma_f64 v[203:204], v[195:196], v[6:7], v[203:204]
	v_fma_f64 v[209:210], v[193:194], v[6:7], -v[8:9]
	scratch_load_b128 v[193:196], off, off offset:432
	ds_load_b128 v[6:9], v1 offset:1104
	s_waitcnt vmcnt(9) lgkmcnt(1)
	v_mul_f64 v[207:208], v[2:3], v[12:13]
	v_mul_f64 v[12:13], v[4:5], v[12:13]
	s_waitcnt vmcnt(8) lgkmcnt(0)
	v_mul_f64 v[211:212], v[6:7], v[16:17]
	v_mul_f64 v[16:17], v[8:9], v[16:17]
	v_add_f64 v[201:202], v[201:202], 0
	v_add_f64 v[205:206], v[205:206], 0
	v_fma_f64 v[207:208], v[4:5], v[10:11], v[207:208]
	v_fma_f64 v[213:214], v[2:3], v[10:11], -v[12:13]
	ds_load_b128 v[2:5], v1 offset:1120
	scratch_load_b128 v[10:13], off, off offset:448
	v_add_f64 v[201:202], v[201:202], v[209:210]
	v_add_f64 v[203:204], v[205:206], v[203:204]
	v_fma_f64 v[209:210], v[8:9], v[14:15], v[211:212]
	v_fma_f64 v[211:212], v[6:7], v[14:15], -v[16:17]
	scratch_load_b128 v[14:17], off, off offset:464
	ds_load_b128 v[6:9], v1 offset:1136
	s_waitcnt vmcnt(9) lgkmcnt(1)
	v_mul_f64 v[205:206], v[2:3], v[20:21]
	v_mul_f64 v[20:21], v[4:5], v[20:21]
	v_add_f64 v[201:202], v[201:202], v[213:214]
	v_add_f64 v[203:204], v[203:204], v[207:208]
	s_waitcnt vmcnt(8) lgkmcnt(0)
	v_mul_f64 v[207:208], v[6:7], v[24:25]
	v_mul_f64 v[24:25], v[8:9], v[24:25]
	v_fma_f64 v[205:206], v[4:5], v[18:19], v[205:206]
	v_fma_f64 v[213:214], v[2:3], v[18:19], -v[20:21]
	ds_load_b128 v[2:5], v1 offset:1152
	scratch_load_b128 v[18:21], off, off offset:480
	v_add_f64 v[201:202], v[201:202], v[211:212]
	v_add_f64 v[203:204], v[203:204], v[209:210]
	v_fma_f64 v[207:208], v[8:9], v[22:23], v[207:208]
	v_fma_f64 v[211:212], v[6:7], v[22:23], -v[24:25]
	scratch_load_b128 v[22:25], off, off offset:496
	ds_load_b128 v[6:9], v1 offset:1168
	s_waitcnt vmcnt(9) lgkmcnt(1)
	v_mul_f64 v[209:210], v[2:3], v[28:29]
	v_mul_f64 v[28:29], v[4:5], v[28:29]
	v_add_f64 v[201:202], v[201:202], v[213:214]
	v_add_f64 v[203:204], v[203:204], v[205:206]
	s_waitcnt vmcnt(8) lgkmcnt(0)
	v_mul_f64 v[205:206], v[6:7], v[32:33]
	v_mul_f64 v[32:33], v[8:9], v[32:33]
	;; [unrolled: 18-line block ×7, first 2 shown]
	v_fma_f64 v[205:206], v[4:5], v[26:27], v[205:206]
	v_fma_f64 v[213:214], v[2:3], v[26:27], -v[28:29]
	ds_load_b128 v[2:5], v1 offset:1344
	scratch_load_b128 v[26:29], off, off offset:672
	v_add_f64 v[201:202], v[201:202], v[211:212]
	v_add_f64 v[203:204], v[203:204], v[209:210]
	v_fma_f64 v[207:208], v[8:9], v[30:31], v[207:208]
	v_fma_f64 v[211:212], v[6:7], v[30:31], -v[32:33]
	ds_load_b128 v[6:9], v1 offset:1360
	s_waitcnt vmcnt(8) lgkmcnt(1)
	v_mul_f64 v[209:210], v[2:3], v[36:37]
	v_mul_f64 v[36:37], v[4:5], v[36:37]
	scratch_load_b128 v[30:33], off, off offset:688
	v_add_f64 v[201:202], v[201:202], v[213:214]
	v_add_f64 v[203:204], v[203:204], v[205:206]
	s_waitcnt vmcnt(8) lgkmcnt(0)
	v_mul_f64 v[205:206], v[6:7], v[199:200]
	v_mul_f64 v[199:200], v[8:9], v[199:200]
	v_fma_f64 v[209:210], v[4:5], v[34:35], v[209:210]
	v_fma_f64 v[213:214], v[2:3], v[34:35], -v[36:37]
	ds_load_b128 v[2:5], v1 offset:1376
	scratch_load_b128 v[34:37], off, off offset:704
	v_add_f64 v[201:202], v[201:202], v[211:212]
	v_add_f64 v[203:204], v[203:204], v[207:208]
	v_fma_f64 v[205:206], v[8:9], v[197:198], v[205:206]
	v_fma_f64 v[211:212], v[6:7], v[197:198], -v[199:200]
	ds_load_b128 v[6:9], v1 offset:1392
	s_waitcnt vmcnt(8) lgkmcnt(1)
	v_mul_f64 v[207:208], v[2:3], v[40:41]
	v_mul_f64 v[40:41], v[4:5], v[40:41]
	scratch_load_b128 v[197:200], off, off offset:720
	v_add_f64 v[201:202], v[201:202], v[213:214]
	v_add_f64 v[203:204], v[203:204], v[209:210]
	s_waitcnt vmcnt(8) lgkmcnt(0)
	v_mul_f64 v[209:210], v[6:7], v[195:196]
	v_mul_f64 v[195:196], v[8:9], v[195:196]
	v_fma_f64 v[207:208], v[4:5], v[38:39], v[207:208]
	v_fma_f64 v[213:214], v[2:3], v[38:39], -v[40:41]
	scratch_load_b128 v[38:41], off, off offset:736
	ds_load_b128 v[2:5], v1 offset:1408
	v_add_f64 v[201:202], v[201:202], v[211:212]
	v_add_f64 v[203:204], v[203:204], v[205:206]
	v_fma_f64 v[209:210], v[8:9], v[193:194], v[209:210]
	v_fma_f64 v[211:212], v[6:7], v[193:194], -v[195:196]
	ds_load_b128 v[6:9], v1 offset:1424
	s_waitcnt vmcnt(8) lgkmcnt(1)
	v_mul_f64 v[205:206], v[2:3], v[12:13]
	v_mul_f64 v[12:13], v[4:5], v[12:13]
	scratch_load_b128 v[193:196], off, off offset:752
	v_add_f64 v[201:202], v[201:202], v[213:214]
	v_add_f64 v[203:204], v[203:204], v[207:208]
	s_waitcnt vmcnt(8) lgkmcnt(0)
	v_mul_f64 v[207:208], v[6:7], v[16:17]
	v_mul_f64 v[16:17], v[8:9], v[16:17]
	v_fma_f64 v[205:206], v[4:5], v[10:11], v[205:206]
	v_fma_f64 v[213:214], v[2:3], v[10:11], -v[12:13]
	scratch_load_b128 v[10:13], off, off offset:768
	ds_load_b128 v[2:5], v1 offset:1440
	v_add_f64 v[201:202], v[201:202], v[211:212]
	v_add_f64 v[203:204], v[203:204], v[209:210]
	v_fma_f64 v[207:208], v[8:9], v[14:15], v[207:208]
	v_fma_f64 v[211:212], v[6:7], v[14:15], -v[16:17]
	ds_load_b128 v[6:9], v1 offset:1456
	s_waitcnt vmcnt(8) lgkmcnt(1)
	v_mul_f64 v[209:210], v[2:3], v[20:21]
	v_mul_f64 v[20:21], v[4:5], v[20:21]
	scratch_load_b128 v[14:17], off, off offset:784
	v_add_f64 v[201:202], v[201:202], v[213:214]
	v_add_f64 v[203:204], v[203:204], v[205:206]
	s_waitcnt vmcnt(8) lgkmcnt(0)
	v_mul_f64 v[205:206], v[6:7], v[24:25]
	v_mul_f64 v[24:25], v[8:9], v[24:25]
	v_fma_f64 v[209:210], v[4:5], v[18:19], v[209:210]
	v_fma_f64 v[18:19], v[2:3], v[18:19], -v[20:21]
	ds_load_b128 v[2:5], v1 offset:1472
	v_add_f64 v[20:21], v[201:202], v[211:212]
	v_add_f64 v[201:202], v[203:204], v[207:208]
	v_fma_f64 v[205:206], v[8:9], v[22:23], v[205:206]
	v_fma_f64 v[22:23], v[6:7], v[22:23], -v[24:25]
	ds_load_b128 v[6:9], v1 offset:1488
	s_waitcnt vmcnt(7) lgkmcnt(1)
	v_mul_f64 v[203:204], v[2:3], v[28:29]
	v_mul_f64 v[28:29], v[4:5], v[28:29]
	v_add_f64 v[18:19], v[20:21], v[18:19]
	v_add_f64 v[20:21], v[201:202], v[209:210]
	s_delay_alu instid0(VALU_DEP_4) | instskip(NEXT) | instid1(VALU_DEP_4)
	v_fma_f64 v[201:202], v[4:5], v[26:27], v[203:204]
	v_fma_f64 v[26:27], v[2:3], v[26:27], -v[28:29]
	ds_load_b128 v[2:5], v1 offset:1504
	v_add_f64 v[22:23], v[18:19], v[22:23]
	v_add_f64 v[28:29], v[20:21], v[205:206]
	scratch_load_b128 v[18:21], off, off offset:240
	s_waitcnt vmcnt(7) lgkmcnt(1)
	v_mul_f64 v[24:25], v[6:7], v[32:33]
	v_mul_f64 v[32:33], v[8:9], v[32:33]
	v_add_f64 v[22:23], v[22:23], v[26:27]
	v_add_f64 v[26:27], v[28:29], v[201:202]
	s_delay_alu instid0(VALU_DEP_4) | instskip(NEXT) | instid1(VALU_DEP_4)
	v_fma_f64 v[24:25], v[8:9], v[30:31], v[24:25]
	v_fma_f64 v[30:31], v[6:7], v[30:31], -v[32:33]
	ds_load_b128 v[6:9], v1 offset:1520
	s_waitcnt vmcnt(6) lgkmcnt(1)
	v_mul_f64 v[203:204], v[2:3], v[36:37]
	v_mul_f64 v[36:37], v[4:5], v[36:37]
	s_waitcnt vmcnt(5) lgkmcnt(0)
	v_mul_f64 v[28:29], v[6:7], v[199:200]
	v_mul_f64 v[32:33], v[8:9], v[199:200]
	v_add_f64 v[24:25], v[26:27], v[24:25]
	v_add_f64 v[22:23], v[22:23], v[30:31]
	v_fma_f64 v[199:200], v[4:5], v[34:35], v[203:204]
	v_fma_f64 v[34:35], v[2:3], v[34:35], -v[36:37]
	ds_load_b128 v[2:5], v1 offset:1536
	v_fma_f64 v[28:29], v[8:9], v[197:198], v[28:29]
	v_fma_f64 v[32:33], v[6:7], v[197:198], -v[32:33]
	ds_load_b128 v[6:9], v1 offset:1552
	s_waitcnt vmcnt(4) lgkmcnt(1)
	v_mul_f64 v[26:27], v[2:3], v[40:41]
	v_mul_f64 v[30:31], v[4:5], v[40:41]
	v_add_f64 v[24:25], v[24:25], v[199:200]
	v_add_f64 v[22:23], v[22:23], v[34:35]
	s_waitcnt vmcnt(3) lgkmcnt(0)
	v_mul_f64 v[34:35], v[6:7], v[195:196]
	v_mul_f64 v[36:37], v[8:9], v[195:196]
	v_fma_f64 v[26:27], v[4:5], v[38:39], v[26:27]
	v_fma_f64 v[30:31], v[2:3], v[38:39], -v[30:31]
	ds_load_b128 v[2:5], v1 offset:1568
	v_add_f64 v[24:25], v[24:25], v[28:29]
	v_add_f64 v[22:23], v[22:23], v[32:33]
	v_fma_f64 v[32:33], v[8:9], v[193:194], v[34:35]
	v_fma_f64 v[34:35], v[6:7], v[193:194], -v[36:37]
	ds_load_b128 v[6:9], v1 offset:1584
	s_waitcnt vmcnt(2) lgkmcnt(1)
	v_mul_f64 v[28:29], v[2:3], v[12:13]
	v_mul_f64 v[12:13], v[4:5], v[12:13]
	v_add_f64 v[24:25], v[24:25], v[26:27]
	v_add_f64 v[22:23], v[22:23], v[30:31]
	s_waitcnt vmcnt(1) lgkmcnt(0)
	v_mul_f64 v[26:27], v[6:7], v[16:17]
	v_mul_f64 v[16:17], v[8:9], v[16:17]
	v_fma_f64 v[4:5], v[4:5], v[10:11], v[28:29]
	v_fma_f64 v[1:2], v[2:3], v[10:11], -v[12:13]
	v_add_f64 v[12:13], v[24:25], v[32:33]
	v_add_f64 v[10:11], v[22:23], v[34:35]
	v_fma_f64 v[8:9], v[8:9], v[14:15], v[26:27]
	v_fma_f64 v[6:7], v[6:7], v[14:15], -v[16:17]
	s_delay_alu instid0(VALU_DEP_4) | instskip(NEXT) | instid1(VALU_DEP_4)
	v_add_f64 v[3:4], v[12:13], v[4:5]
	v_add_f64 v[1:2], v[10:11], v[1:2]
	s_delay_alu instid0(VALU_DEP_2) | instskip(NEXT) | instid1(VALU_DEP_2)
	v_add_f64 v[3:4], v[3:4], v[8:9]
	v_add_f64 v[1:2], v[1:2], v[6:7]
	s_waitcnt vmcnt(0)
	s_delay_alu instid0(VALU_DEP_2) | instskip(NEXT) | instid1(VALU_DEP_2)
	v_add_f64 v[3:4], v[20:21], -v[3:4]
	v_add_f64 v[1:2], v[18:19], -v[1:2]
	scratch_store_b128 off, v[1:4], off offset:240
	v_cmpx_lt_u32_e32 14, v142
	s_cbranch_execz .LBB49_285
; %bb.284:
	scratch_load_b128 v[1:4], v178, off
	v_mov_b32_e32 v5, 0
	s_delay_alu instid0(VALU_DEP_1)
	v_mov_b32_e32 v6, v5
	v_mov_b32_e32 v7, v5
	;; [unrolled: 1-line block ×3, first 2 shown]
	scratch_store_b128 off, v[5:8], off offset:224
	s_waitcnt vmcnt(0)
	ds_store_b128 v192, v[1:4]
.LBB49_285:
	s_or_b32 exec_lo, exec_lo, s2
	s_waitcnt lgkmcnt(0)
	s_waitcnt_vscnt null, 0x0
	s_barrier
	buffer_gl0_inv
	s_clause 0x7
	scratch_load_b128 v[2:5], off, off offset:240
	scratch_load_b128 v[6:9], off, off offset:256
	;; [unrolled: 1-line block ×8, first 2 shown]
	v_mov_b32_e32 v1, 0
	s_clause 0x1
	scratch_load_b128 v[34:37], off, off offset:368
	scratch_load_b128 v[197:200], off, off offset:384
	s_mov_b32 s2, exec_lo
	ds_load_b128 v[38:41], v1 offset:1040
	ds_load_b128 v[193:196], v1 offset:1056
	s_waitcnt vmcnt(9) lgkmcnt(1)
	v_mul_f64 v[201:202], v[40:41], v[4:5]
	v_mul_f64 v[4:5], v[38:39], v[4:5]
	s_waitcnt vmcnt(8) lgkmcnt(0)
	v_mul_f64 v[203:204], v[193:194], v[8:9]
	v_mul_f64 v[8:9], v[195:196], v[8:9]
	s_delay_alu instid0(VALU_DEP_4) | instskip(NEXT) | instid1(VALU_DEP_4)
	v_fma_f64 v[201:202], v[38:39], v[2:3], -v[201:202]
	v_fma_f64 v[205:206], v[40:41], v[2:3], v[4:5]
	ds_load_b128 v[2:5], v1 offset:1072
	scratch_load_b128 v[38:41], off, off offset:400
	v_fma_f64 v[203:204], v[195:196], v[6:7], v[203:204]
	v_fma_f64 v[209:210], v[193:194], v[6:7], -v[8:9]
	scratch_load_b128 v[193:196], off, off offset:416
	ds_load_b128 v[6:9], v1 offset:1088
	s_waitcnt vmcnt(9) lgkmcnt(1)
	v_mul_f64 v[207:208], v[2:3], v[12:13]
	v_mul_f64 v[12:13], v[4:5], v[12:13]
	s_waitcnt vmcnt(8) lgkmcnt(0)
	v_mul_f64 v[211:212], v[6:7], v[16:17]
	v_mul_f64 v[16:17], v[8:9], v[16:17]
	v_add_f64 v[201:202], v[201:202], 0
	v_add_f64 v[205:206], v[205:206], 0
	v_fma_f64 v[207:208], v[4:5], v[10:11], v[207:208]
	v_fma_f64 v[213:214], v[2:3], v[10:11], -v[12:13]
	ds_load_b128 v[2:5], v1 offset:1104
	scratch_load_b128 v[10:13], off, off offset:432
	v_add_f64 v[201:202], v[201:202], v[209:210]
	v_add_f64 v[203:204], v[205:206], v[203:204]
	v_fma_f64 v[209:210], v[8:9], v[14:15], v[211:212]
	v_fma_f64 v[211:212], v[6:7], v[14:15], -v[16:17]
	scratch_load_b128 v[14:17], off, off offset:448
	ds_load_b128 v[6:9], v1 offset:1120
	s_waitcnt vmcnt(9) lgkmcnt(1)
	v_mul_f64 v[205:206], v[2:3], v[20:21]
	v_mul_f64 v[20:21], v[4:5], v[20:21]
	v_add_f64 v[201:202], v[201:202], v[213:214]
	v_add_f64 v[203:204], v[203:204], v[207:208]
	s_waitcnt vmcnt(8) lgkmcnt(0)
	v_mul_f64 v[207:208], v[6:7], v[24:25]
	v_mul_f64 v[24:25], v[8:9], v[24:25]
	v_fma_f64 v[205:206], v[4:5], v[18:19], v[205:206]
	v_fma_f64 v[213:214], v[2:3], v[18:19], -v[20:21]
	ds_load_b128 v[2:5], v1 offset:1136
	scratch_load_b128 v[18:21], off, off offset:464
	v_add_f64 v[201:202], v[201:202], v[211:212]
	v_add_f64 v[203:204], v[203:204], v[209:210]
	v_fma_f64 v[207:208], v[8:9], v[22:23], v[207:208]
	v_fma_f64 v[211:212], v[6:7], v[22:23], -v[24:25]
	scratch_load_b128 v[22:25], off, off offset:480
	ds_load_b128 v[6:9], v1 offset:1152
	s_waitcnt vmcnt(9) lgkmcnt(1)
	v_mul_f64 v[209:210], v[2:3], v[28:29]
	v_mul_f64 v[28:29], v[4:5], v[28:29]
	v_add_f64 v[201:202], v[201:202], v[213:214]
	v_add_f64 v[203:204], v[203:204], v[205:206]
	s_waitcnt vmcnt(8) lgkmcnt(0)
	v_mul_f64 v[205:206], v[6:7], v[32:33]
	v_mul_f64 v[32:33], v[8:9], v[32:33]
	;; [unrolled: 18-line block ×8, first 2 shown]
	v_fma_f64 v[209:210], v[4:5], v[34:35], v[209:210]
	v_fma_f64 v[213:214], v[2:3], v[34:35], -v[36:37]
	ds_load_b128 v[2:5], v1 offset:1360
	scratch_load_b128 v[34:37], off, off offset:688
	v_add_f64 v[201:202], v[201:202], v[211:212]
	v_add_f64 v[203:204], v[203:204], v[207:208]
	v_fma_f64 v[205:206], v[8:9], v[197:198], v[205:206]
	v_fma_f64 v[211:212], v[6:7], v[197:198], -v[199:200]
	ds_load_b128 v[6:9], v1 offset:1376
	s_waitcnt vmcnt(8) lgkmcnt(1)
	v_mul_f64 v[207:208], v[2:3], v[40:41]
	v_mul_f64 v[40:41], v[4:5], v[40:41]
	scratch_load_b128 v[197:200], off, off offset:704
	v_add_f64 v[201:202], v[201:202], v[213:214]
	v_add_f64 v[203:204], v[203:204], v[209:210]
	s_waitcnt vmcnt(8) lgkmcnt(0)
	v_mul_f64 v[209:210], v[6:7], v[195:196]
	v_mul_f64 v[195:196], v[8:9], v[195:196]
	v_fma_f64 v[207:208], v[4:5], v[38:39], v[207:208]
	v_fma_f64 v[213:214], v[2:3], v[38:39], -v[40:41]
	scratch_load_b128 v[38:41], off, off offset:720
	ds_load_b128 v[2:5], v1 offset:1392
	v_add_f64 v[201:202], v[201:202], v[211:212]
	v_add_f64 v[203:204], v[203:204], v[205:206]
	v_fma_f64 v[209:210], v[8:9], v[193:194], v[209:210]
	v_fma_f64 v[211:212], v[6:7], v[193:194], -v[195:196]
	ds_load_b128 v[6:9], v1 offset:1408
	s_waitcnt vmcnt(8) lgkmcnt(1)
	v_mul_f64 v[205:206], v[2:3], v[12:13]
	v_mul_f64 v[12:13], v[4:5], v[12:13]
	scratch_load_b128 v[193:196], off, off offset:736
	v_add_f64 v[201:202], v[201:202], v[213:214]
	v_add_f64 v[203:204], v[203:204], v[207:208]
	s_waitcnt vmcnt(8) lgkmcnt(0)
	v_mul_f64 v[207:208], v[6:7], v[16:17]
	v_mul_f64 v[16:17], v[8:9], v[16:17]
	v_fma_f64 v[205:206], v[4:5], v[10:11], v[205:206]
	v_fma_f64 v[213:214], v[2:3], v[10:11], -v[12:13]
	scratch_load_b128 v[10:13], off, off offset:752
	ds_load_b128 v[2:5], v1 offset:1424
	;; [unrolled: 18-line block ×3, first 2 shown]
	v_add_f64 v[201:202], v[201:202], v[211:212]
	v_add_f64 v[203:204], v[203:204], v[207:208]
	v_fma_f64 v[205:206], v[8:9], v[22:23], v[205:206]
	v_fma_f64 v[22:23], v[6:7], v[22:23], -v[24:25]
	ds_load_b128 v[6:9], v1 offset:1472
	s_waitcnt vmcnt(8) lgkmcnt(1)
	v_mul_f64 v[207:208], v[2:3], v[28:29]
	v_mul_f64 v[28:29], v[4:5], v[28:29]
	v_add_f64 v[24:25], v[201:202], v[213:214]
	v_add_f64 v[201:202], v[203:204], v[209:210]
	s_waitcnt vmcnt(7) lgkmcnt(0)
	v_mul_f64 v[203:204], v[6:7], v[32:33]
	v_mul_f64 v[32:33], v[8:9], v[32:33]
	v_fma_f64 v[207:208], v[4:5], v[26:27], v[207:208]
	v_fma_f64 v[26:27], v[2:3], v[26:27], -v[28:29]
	ds_load_b128 v[2:5], v1 offset:1488
	v_add_f64 v[22:23], v[24:25], v[22:23]
	v_add_f64 v[24:25], v[201:202], v[205:206]
	v_fma_f64 v[201:202], v[8:9], v[30:31], v[203:204]
	v_fma_f64 v[30:31], v[6:7], v[30:31], -v[32:33]
	ds_load_b128 v[6:9], v1 offset:1504
	s_waitcnt vmcnt(5) lgkmcnt(0)
	v_mul_f64 v[203:204], v[6:7], v[199:200]
	v_mul_f64 v[199:200], v[8:9], v[199:200]
	v_add_f64 v[26:27], v[22:23], v[26:27]
	v_add_f64 v[32:33], v[24:25], v[207:208]
	scratch_load_b128 v[22:25], off, off offset:224
	v_mul_f64 v[28:29], v[2:3], v[36:37]
	v_mul_f64 v[36:37], v[4:5], v[36:37]
	v_add_f64 v[26:27], v[26:27], v[30:31]
	v_add_f64 v[30:31], v[32:33], v[201:202]
	s_delay_alu instid0(VALU_DEP_4) | instskip(NEXT) | instid1(VALU_DEP_4)
	v_fma_f64 v[28:29], v[4:5], v[34:35], v[28:29]
	v_fma_f64 v[34:35], v[2:3], v[34:35], -v[36:37]
	ds_load_b128 v[2:5], v1 offset:1520
	s_waitcnt vmcnt(5) lgkmcnt(0)
	v_mul_f64 v[32:33], v[2:3], v[40:41]
	v_mul_f64 v[36:37], v[4:5], v[40:41]
	v_fma_f64 v[40:41], v[8:9], v[197:198], v[203:204]
	v_fma_f64 v[197:198], v[6:7], v[197:198], -v[199:200]
	ds_load_b128 v[6:9], v1 offset:1536
	v_add_f64 v[28:29], v[30:31], v[28:29]
	v_add_f64 v[26:27], v[26:27], v[34:35]
	v_fma_f64 v[32:33], v[4:5], v[38:39], v[32:33]
	v_fma_f64 v[36:37], v[2:3], v[38:39], -v[36:37]
	ds_load_b128 v[2:5], v1 offset:1552
	s_waitcnt vmcnt(4) lgkmcnt(1)
	v_mul_f64 v[30:31], v[6:7], v[195:196]
	v_mul_f64 v[34:35], v[8:9], v[195:196]
	v_add_f64 v[28:29], v[28:29], v[40:41]
	v_add_f64 v[26:27], v[26:27], v[197:198]
	s_waitcnt vmcnt(3) lgkmcnt(0)
	v_mul_f64 v[38:39], v[2:3], v[12:13]
	v_mul_f64 v[12:13], v[4:5], v[12:13]
	v_fma_f64 v[30:31], v[8:9], v[193:194], v[30:31]
	v_fma_f64 v[34:35], v[6:7], v[193:194], -v[34:35]
	ds_load_b128 v[6:9], v1 offset:1568
	v_add_f64 v[28:29], v[28:29], v[32:33]
	v_add_f64 v[26:27], v[26:27], v[36:37]
	v_fma_f64 v[36:37], v[4:5], v[10:11], v[38:39]
	v_fma_f64 v[10:11], v[2:3], v[10:11], -v[12:13]
	ds_load_b128 v[2:5], v1 offset:1584
	s_waitcnt vmcnt(2) lgkmcnt(1)
	v_mul_f64 v[32:33], v[6:7], v[16:17]
	v_mul_f64 v[16:17], v[8:9], v[16:17]
	v_add_f64 v[12:13], v[26:27], v[34:35]
	v_add_f64 v[26:27], v[28:29], v[30:31]
	s_waitcnt vmcnt(1) lgkmcnt(0)
	v_mul_f64 v[28:29], v[2:3], v[20:21]
	v_mul_f64 v[20:21], v[4:5], v[20:21]
	v_fma_f64 v[8:9], v[8:9], v[14:15], v[32:33]
	v_fma_f64 v[6:7], v[6:7], v[14:15], -v[16:17]
	v_add_f64 v[10:11], v[12:13], v[10:11]
	v_add_f64 v[12:13], v[26:27], v[36:37]
	v_fma_f64 v[4:5], v[4:5], v[18:19], v[28:29]
	v_fma_f64 v[2:3], v[2:3], v[18:19], -v[20:21]
	s_delay_alu instid0(VALU_DEP_4) | instskip(NEXT) | instid1(VALU_DEP_4)
	v_add_f64 v[6:7], v[10:11], v[6:7]
	v_add_f64 v[8:9], v[12:13], v[8:9]
	s_delay_alu instid0(VALU_DEP_2) | instskip(NEXT) | instid1(VALU_DEP_2)
	v_add_f64 v[2:3], v[6:7], v[2:3]
	v_add_f64 v[4:5], v[8:9], v[4:5]
	s_waitcnt vmcnt(0)
	s_delay_alu instid0(VALU_DEP_2) | instskip(NEXT) | instid1(VALU_DEP_2)
	v_add_f64 v[2:3], v[22:23], -v[2:3]
	v_add_f64 v[4:5], v[24:25], -v[4:5]
	scratch_store_b128 off, v[2:5], off offset:224
	v_cmpx_lt_u32_e32 13, v142
	s_cbranch_execz .LBB49_287
; %bb.286:
	scratch_load_b128 v[5:8], v179, off
	v_mov_b32_e32 v2, v1
	v_mov_b32_e32 v3, v1
	;; [unrolled: 1-line block ×3, first 2 shown]
	scratch_store_b128 off, v[1:4], off offset:208
	s_waitcnt vmcnt(0)
	ds_store_b128 v192, v[5:8]
.LBB49_287:
	s_or_b32 exec_lo, exec_lo, s2
	s_waitcnt lgkmcnt(0)
	s_waitcnt_vscnt null, 0x0
	s_barrier
	buffer_gl0_inv
	s_clause 0x7
	scratch_load_b128 v[2:5], off, off offset:224
	scratch_load_b128 v[6:9], off, off offset:240
	;; [unrolled: 1-line block ×8, first 2 shown]
	ds_load_b128 v[38:41], v1 offset:1024
	ds_load_b128 v[193:196], v1 offset:1040
	s_clause 0x1
	scratch_load_b128 v[34:37], off, off offset:352
	scratch_load_b128 v[197:200], off, off offset:368
	s_mov_b32 s2, exec_lo
	s_waitcnt vmcnt(9) lgkmcnt(1)
	v_mul_f64 v[201:202], v[40:41], v[4:5]
	v_mul_f64 v[4:5], v[38:39], v[4:5]
	s_waitcnt vmcnt(8) lgkmcnt(0)
	v_mul_f64 v[203:204], v[193:194], v[8:9]
	v_mul_f64 v[8:9], v[195:196], v[8:9]
	s_delay_alu instid0(VALU_DEP_4) | instskip(NEXT) | instid1(VALU_DEP_4)
	v_fma_f64 v[201:202], v[38:39], v[2:3], -v[201:202]
	v_fma_f64 v[205:206], v[40:41], v[2:3], v[4:5]
	ds_load_b128 v[2:5], v1 offset:1056
	scratch_load_b128 v[38:41], off, off offset:384
	v_fma_f64 v[203:204], v[195:196], v[6:7], v[203:204]
	v_fma_f64 v[209:210], v[193:194], v[6:7], -v[8:9]
	scratch_load_b128 v[193:196], off, off offset:400
	ds_load_b128 v[6:9], v1 offset:1072
	s_waitcnt vmcnt(9) lgkmcnt(1)
	v_mul_f64 v[207:208], v[2:3], v[12:13]
	v_mul_f64 v[12:13], v[4:5], v[12:13]
	s_waitcnt vmcnt(8) lgkmcnt(0)
	v_mul_f64 v[211:212], v[6:7], v[16:17]
	v_mul_f64 v[16:17], v[8:9], v[16:17]
	v_add_f64 v[201:202], v[201:202], 0
	v_add_f64 v[205:206], v[205:206], 0
	v_fma_f64 v[207:208], v[4:5], v[10:11], v[207:208]
	v_fma_f64 v[213:214], v[2:3], v[10:11], -v[12:13]
	ds_load_b128 v[2:5], v1 offset:1088
	scratch_load_b128 v[10:13], off, off offset:416
	v_add_f64 v[201:202], v[201:202], v[209:210]
	v_add_f64 v[203:204], v[205:206], v[203:204]
	v_fma_f64 v[209:210], v[8:9], v[14:15], v[211:212]
	v_fma_f64 v[211:212], v[6:7], v[14:15], -v[16:17]
	scratch_load_b128 v[14:17], off, off offset:432
	ds_load_b128 v[6:9], v1 offset:1104
	s_waitcnt vmcnt(9) lgkmcnt(1)
	v_mul_f64 v[205:206], v[2:3], v[20:21]
	v_mul_f64 v[20:21], v[4:5], v[20:21]
	v_add_f64 v[201:202], v[201:202], v[213:214]
	v_add_f64 v[203:204], v[203:204], v[207:208]
	s_waitcnt vmcnt(8) lgkmcnt(0)
	v_mul_f64 v[207:208], v[6:7], v[24:25]
	v_mul_f64 v[24:25], v[8:9], v[24:25]
	v_fma_f64 v[205:206], v[4:5], v[18:19], v[205:206]
	v_fma_f64 v[213:214], v[2:3], v[18:19], -v[20:21]
	ds_load_b128 v[2:5], v1 offset:1120
	scratch_load_b128 v[18:21], off, off offset:448
	v_add_f64 v[201:202], v[201:202], v[211:212]
	v_add_f64 v[203:204], v[203:204], v[209:210]
	v_fma_f64 v[207:208], v[8:9], v[22:23], v[207:208]
	v_fma_f64 v[211:212], v[6:7], v[22:23], -v[24:25]
	scratch_load_b128 v[22:25], off, off offset:464
	ds_load_b128 v[6:9], v1 offset:1136
	s_waitcnt vmcnt(9) lgkmcnt(1)
	v_mul_f64 v[209:210], v[2:3], v[28:29]
	v_mul_f64 v[28:29], v[4:5], v[28:29]
	v_add_f64 v[201:202], v[201:202], v[213:214]
	v_add_f64 v[203:204], v[203:204], v[205:206]
	s_waitcnt vmcnt(8) lgkmcnt(0)
	v_mul_f64 v[205:206], v[6:7], v[32:33]
	v_mul_f64 v[32:33], v[8:9], v[32:33]
	;; [unrolled: 18-line block ×8, first 2 shown]
	v_fma_f64 v[209:210], v[4:5], v[34:35], v[209:210]
	v_fma_f64 v[213:214], v[2:3], v[34:35], -v[36:37]
	ds_load_b128 v[2:5], v1 offset:1344
	scratch_load_b128 v[34:37], off, off offset:672
	v_add_f64 v[201:202], v[201:202], v[211:212]
	v_add_f64 v[203:204], v[203:204], v[207:208]
	v_fma_f64 v[205:206], v[8:9], v[197:198], v[205:206]
	v_fma_f64 v[211:212], v[6:7], v[197:198], -v[199:200]
	ds_load_b128 v[6:9], v1 offset:1360
	s_waitcnt vmcnt(8) lgkmcnt(1)
	v_mul_f64 v[207:208], v[2:3], v[40:41]
	v_mul_f64 v[40:41], v[4:5], v[40:41]
	scratch_load_b128 v[197:200], off, off offset:688
	v_add_f64 v[201:202], v[201:202], v[213:214]
	v_add_f64 v[203:204], v[203:204], v[209:210]
	s_waitcnt vmcnt(8) lgkmcnt(0)
	v_mul_f64 v[209:210], v[6:7], v[195:196]
	v_mul_f64 v[195:196], v[8:9], v[195:196]
	v_fma_f64 v[207:208], v[4:5], v[38:39], v[207:208]
	v_fma_f64 v[213:214], v[2:3], v[38:39], -v[40:41]
	ds_load_b128 v[2:5], v1 offset:1376
	scratch_load_b128 v[38:41], off, off offset:704
	v_add_f64 v[201:202], v[201:202], v[211:212]
	v_add_f64 v[203:204], v[203:204], v[205:206]
	v_fma_f64 v[209:210], v[8:9], v[193:194], v[209:210]
	v_fma_f64 v[211:212], v[6:7], v[193:194], -v[195:196]
	ds_load_b128 v[6:9], v1 offset:1392
	s_waitcnt vmcnt(8) lgkmcnt(1)
	v_mul_f64 v[205:206], v[2:3], v[12:13]
	v_mul_f64 v[12:13], v[4:5], v[12:13]
	scratch_load_b128 v[193:196], off, off offset:720
	v_add_f64 v[201:202], v[201:202], v[213:214]
	v_add_f64 v[203:204], v[203:204], v[207:208]
	s_waitcnt vmcnt(8) lgkmcnt(0)
	v_mul_f64 v[207:208], v[6:7], v[16:17]
	v_mul_f64 v[16:17], v[8:9], v[16:17]
	v_fma_f64 v[205:206], v[4:5], v[10:11], v[205:206]
	v_fma_f64 v[213:214], v[2:3], v[10:11], -v[12:13]
	scratch_load_b128 v[10:13], off, off offset:736
	ds_load_b128 v[2:5], v1 offset:1408
	v_add_f64 v[201:202], v[201:202], v[211:212]
	v_add_f64 v[203:204], v[203:204], v[209:210]
	v_fma_f64 v[207:208], v[8:9], v[14:15], v[207:208]
	v_fma_f64 v[211:212], v[6:7], v[14:15], -v[16:17]
	ds_load_b128 v[6:9], v1 offset:1424
	s_waitcnt vmcnt(8) lgkmcnt(1)
	v_mul_f64 v[209:210], v[2:3], v[20:21]
	v_mul_f64 v[20:21], v[4:5], v[20:21]
	scratch_load_b128 v[14:17], off, off offset:752
	v_add_f64 v[201:202], v[201:202], v[213:214]
	v_add_f64 v[203:204], v[203:204], v[205:206]
	s_waitcnt vmcnt(8) lgkmcnt(0)
	v_mul_f64 v[205:206], v[6:7], v[24:25]
	v_mul_f64 v[24:25], v[8:9], v[24:25]
	v_fma_f64 v[209:210], v[4:5], v[18:19], v[209:210]
	v_fma_f64 v[213:214], v[2:3], v[18:19], -v[20:21]
	scratch_load_b128 v[18:21], off, off offset:768
	ds_load_b128 v[2:5], v1 offset:1440
	v_add_f64 v[201:202], v[201:202], v[211:212]
	v_add_f64 v[203:204], v[203:204], v[207:208]
	v_fma_f64 v[205:206], v[8:9], v[22:23], v[205:206]
	v_fma_f64 v[211:212], v[6:7], v[22:23], -v[24:25]
	ds_load_b128 v[6:9], v1 offset:1456
	s_waitcnt vmcnt(8) lgkmcnt(1)
	v_mul_f64 v[207:208], v[2:3], v[28:29]
	v_mul_f64 v[28:29], v[4:5], v[28:29]
	scratch_load_b128 v[22:25], off, off offset:784
	v_add_f64 v[201:202], v[201:202], v[213:214]
	v_add_f64 v[203:204], v[203:204], v[209:210]
	s_waitcnt vmcnt(8) lgkmcnt(0)
	v_mul_f64 v[209:210], v[6:7], v[32:33]
	v_mul_f64 v[32:33], v[8:9], v[32:33]
	v_fma_f64 v[207:208], v[4:5], v[26:27], v[207:208]
	v_fma_f64 v[26:27], v[2:3], v[26:27], -v[28:29]
	ds_load_b128 v[2:5], v1 offset:1472
	v_add_f64 v[28:29], v[201:202], v[211:212]
	v_add_f64 v[201:202], v[203:204], v[205:206]
	v_fma_f64 v[205:206], v[8:9], v[30:31], v[209:210]
	v_fma_f64 v[30:31], v[6:7], v[30:31], -v[32:33]
	ds_load_b128 v[6:9], v1 offset:1488
	s_waitcnt vmcnt(7) lgkmcnt(1)
	v_mul_f64 v[203:204], v[2:3], v[36:37]
	v_mul_f64 v[36:37], v[4:5], v[36:37]
	v_add_f64 v[26:27], v[28:29], v[26:27]
	v_add_f64 v[28:29], v[201:202], v[207:208]
	s_delay_alu instid0(VALU_DEP_4) | instskip(NEXT) | instid1(VALU_DEP_4)
	v_fma_f64 v[201:202], v[4:5], v[34:35], v[203:204]
	v_fma_f64 v[34:35], v[2:3], v[34:35], -v[36:37]
	ds_load_b128 v[2:5], v1 offset:1504
	v_add_f64 v[30:31], v[26:27], v[30:31]
	v_add_f64 v[36:37], v[28:29], v[205:206]
	scratch_load_b128 v[26:29], off, off offset:208
	s_waitcnt vmcnt(7) lgkmcnt(1)
	v_mul_f64 v[32:33], v[6:7], v[199:200]
	v_mul_f64 v[199:200], v[8:9], v[199:200]
	v_add_f64 v[30:31], v[30:31], v[34:35]
	v_add_f64 v[34:35], v[36:37], v[201:202]
	s_delay_alu instid0(VALU_DEP_4) | instskip(NEXT) | instid1(VALU_DEP_4)
	v_fma_f64 v[32:33], v[8:9], v[197:198], v[32:33]
	v_fma_f64 v[197:198], v[6:7], v[197:198], -v[199:200]
	ds_load_b128 v[6:9], v1 offset:1520
	s_waitcnt vmcnt(6) lgkmcnt(1)
	v_mul_f64 v[203:204], v[2:3], v[40:41]
	v_mul_f64 v[40:41], v[4:5], v[40:41]
	s_waitcnt vmcnt(5) lgkmcnt(0)
	v_mul_f64 v[36:37], v[6:7], v[195:196]
	v_mul_f64 v[195:196], v[8:9], v[195:196]
	v_add_f64 v[32:33], v[34:35], v[32:33]
	v_add_f64 v[30:31], v[30:31], v[197:198]
	v_fma_f64 v[199:200], v[4:5], v[38:39], v[203:204]
	v_fma_f64 v[38:39], v[2:3], v[38:39], -v[40:41]
	ds_load_b128 v[2:5], v1 offset:1536
	v_fma_f64 v[36:37], v[8:9], v[193:194], v[36:37]
	v_fma_f64 v[40:41], v[6:7], v[193:194], -v[195:196]
	ds_load_b128 v[6:9], v1 offset:1552
	s_waitcnt vmcnt(4) lgkmcnt(1)
	v_mul_f64 v[34:35], v[2:3], v[12:13]
	v_mul_f64 v[12:13], v[4:5], v[12:13]
	v_add_f64 v[32:33], v[32:33], v[199:200]
	v_add_f64 v[30:31], v[30:31], v[38:39]
	s_waitcnt vmcnt(3) lgkmcnt(0)
	v_mul_f64 v[38:39], v[6:7], v[16:17]
	v_mul_f64 v[16:17], v[8:9], v[16:17]
	v_fma_f64 v[34:35], v[4:5], v[10:11], v[34:35]
	v_fma_f64 v[10:11], v[2:3], v[10:11], -v[12:13]
	ds_load_b128 v[2:5], v1 offset:1568
	v_add_f64 v[12:13], v[30:31], v[40:41]
	v_add_f64 v[30:31], v[32:33], v[36:37]
	v_fma_f64 v[36:37], v[8:9], v[14:15], v[38:39]
	v_fma_f64 v[14:15], v[6:7], v[14:15], -v[16:17]
	ds_load_b128 v[6:9], v1 offset:1584
	s_waitcnt vmcnt(2) lgkmcnt(1)
	v_mul_f64 v[32:33], v[2:3], v[20:21]
	v_mul_f64 v[20:21], v[4:5], v[20:21]
	s_waitcnt vmcnt(1) lgkmcnt(0)
	v_mul_f64 v[16:17], v[6:7], v[24:25]
	v_mul_f64 v[24:25], v[8:9], v[24:25]
	v_add_f64 v[10:11], v[12:13], v[10:11]
	v_add_f64 v[12:13], v[30:31], v[34:35]
	v_fma_f64 v[4:5], v[4:5], v[18:19], v[32:33]
	v_fma_f64 v[1:2], v[2:3], v[18:19], -v[20:21]
	v_fma_f64 v[8:9], v[8:9], v[22:23], v[16:17]
	v_fma_f64 v[6:7], v[6:7], v[22:23], -v[24:25]
	v_add_f64 v[10:11], v[10:11], v[14:15]
	v_add_f64 v[12:13], v[12:13], v[36:37]
	s_delay_alu instid0(VALU_DEP_2) | instskip(NEXT) | instid1(VALU_DEP_2)
	v_add_f64 v[1:2], v[10:11], v[1:2]
	v_add_f64 v[3:4], v[12:13], v[4:5]
	s_delay_alu instid0(VALU_DEP_2) | instskip(NEXT) | instid1(VALU_DEP_2)
	v_add_f64 v[1:2], v[1:2], v[6:7]
	v_add_f64 v[3:4], v[3:4], v[8:9]
	s_waitcnt vmcnt(0)
	s_delay_alu instid0(VALU_DEP_2) | instskip(NEXT) | instid1(VALU_DEP_2)
	v_add_f64 v[1:2], v[26:27], -v[1:2]
	v_add_f64 v[3:4], v[28:29], -v[3:4]
	scratch_store_b128 off, v[1:4], off offset:208
	v_cmpx_lt_u32_e32 12, v142
	s_cbranch_execz .LBB49_289
; %bb.288:
	scratch_load_b128 v[1:4], v180, off
	v_mov_b32_e32 v5, 0
	s_delay_alu instid0(VALU_DEP_1)
	v_mov_b32_e32 v6, v5
	v_mov_b32_e32 v7, v5
	;; [unrolled: 1-line block ×3, first 2 shown]
	scratch_store_b128 off, v[5:8], off offset:192
	s_waitcnt vmcnt(0)
	ds_store_b128 v192, v[1:4]
.LBB49_289:
	s_or_b32 exec_lo, exec_lo, s2
	s_waitcnt lgkmcnt(0)
	s_waitcnt_vscnt null, 0x0
	s_barrier
	buffer_gl0_inv
	s_clause 0x7
	scratch_load_b128 v[2:5], off, off offset:208
	scratch_load_b128 v[6:9], off, off offset:224
	;; [unrolled: 1-line block ×8, first 2 shown]
	v_mov_b32_e32 v1, 0
	s_clause 0x1
	scratch_load_b128 v[34:37], off, off offset:336
	scratch_load_b128 v[197:200], off, off offset:352
	s_mov_b32 s2, exec_lo
	ds_load_b128 v[38:41], v1 offset:1008
	ds_load_b128 v[193:196], v1 offset:1024
	s_waitcnt vmcnt(9) lgkmcnt(1)
	v_mul_f64 v[201:202], v[40:41], v[4:5]
	v_mul_f64 v[4:5], v[38:39], v[4:5]
	s_waitcnt vmcnt(8) lgkmcnt(0)
	v_mul_f64 v[203:204], v[193:194], v[8:9]
	v_mul_f64 v[8:9], v[195:196], v[8:9]
	s_delay_alu instid0(VALU_DEP_4) | instskip(NEXT) | instid1(VALU_DEP_4)
	v_fma_f64 v[201:202], v[38:39], v[2:3], -v[201:202]
	v_fma_f64 v[205:206], v[40:41], v[2:3], v[4:5]
	ds_load_b128 v[2:5], v1 offset:1040
	scratch_load_b128 v[38:41], off, off offset:368
	v_fma_f64 v[203:204], v[195:196], v[6:7], v[203:204]
	v_fma_f64 v[209:210], v[193:194], v[6:7], -v[8:9]
	scratch_load_b128 v[193:196], off, off offset:384
	ds_load_b128 v[6:9], v1 offset:1056
	s_waitcnt vmcnt(9) lgkmcnt(1)
	v_mul_f64 v[207:208], v[2:3], v[12:13]
	v_mul_f64 v[12:13], v[4:5], v[12:13]
	s_waitcnt vmcnt(8) lgkmcnt(0)
	v_mul_f64 v[211:212], v[6:7], v[16:17]
	v_mul_f64 v[16:17], v[8:9], v[16:17]
	v_add_f64 v[201:202], v[201:202], 0
	v_add_f64 v[205:206], v[205:206], 0
	v_fma_f64 v[207:208], v[4:5], v[10:11], v[207:208]
	v_fma_f64 v[213:214], v[2:3], v[10:11], -v[12:13]
	ds_load_b128 v[2:5], v1 offset:1072
	scratch_load_b128 v[10:13], off, off offset:400
	v_add_f64 v[201:202], v[201:202], v[209:210]
	v_add_f64 v[203:204], v[205:206], v[203:204]
	v_fma_f64 v[209:210], v[8:9], v[14:15], v[211:212]
	v_fma_f64 v[211:212], v[6:7], v[14:15], -v[16:17]
	scratch_load_b128 v[14:17], off, off offset:416
	ds_load_b128 v[6:9], v1 offset:1088
	s_waitcnt vmcnt(9) lgkmcnt(1)
	v_mul_f64 v[205:206], v[2:3], v[20:21]
	v_mul_f64 v[20:21], v[4:5], v[20:21]
	v_add_f64 v[201:202], v[201:202], v[213:214]
	v_add_f64 v[203:204], v[203:204], v[207:208]
	s_waitcnt vmcnt(8) lgkmcnt(0)
	v_mul_f64 v[207:208], v[6:7], v[24:25]
	v_mul_f64 v[24:25], v[8:9], v[24:25]
	v_fma_f64 v[205:206], v[4:5], v[18:19], v[205:206]
	v_fma_f64 v[213:214], v[2:3], v[18:19], -v[20:21]
	ds_load_b128 v[2:5], v1 offset:1104
	scratch_load_b128 v[18:21], off, off offset:432
	v_add_f64 v[201:202], v[201:202], v[211:212]
	v_add_f64 v[203:204], v[203:204], v[209:210]
	v_fma_f64 v[207:208], v[8:9], v[22:23], v[207:208]
	v_fma_f64 v[211:212], v[6:7], v[22:23], -v[24:25]
	scratch_load_b128 v[22:25], off, off offset:448
	ds_load_b128 v[6:9], v1 offset:1120
	s_waitcnt vmcnt(9) lgkmcnt(1)
	v_mul_f64 v[209:210], v[2:3], v[28:29]
	v_mul_f64 v[28:29], v[4:5], v[28:29]
	v_add_f64 v[201:202], v[201:202], v[213:214]
	v_add_f64 v[203:204], v[203:204], v[205:206]
	s_waitcnt vmcnt(8) lgkmcnt(0)
	v_mul_f64 v[205:206], v[6:7], v[32:33]
	v_mul_f64 v[32:33], v[8:9], v[32:33]
	;; [unrolled: 18-line block ×9, first 2 shown]
	v_fma_f64 v[207:208], v[4:5], v[38:39], v[207:208]
	v_fma_f64 v[213:214], v[2:3], v[38:39], -v[40:41]
	ds_load_b128 v[2:5], v1 offset:1360
	scratch_load_b128 v[38:41], off, off offset:688
	v_add_f64 v[201:202], v[201:202], v[211:212]
	v_add_f64 v[203:204], v[203:204], v[205:206]
	v_fma_f64 v[209:210], v[8:9], v[193:194], v[209:210]
	v_fma_f64 v[211:212], v[6:7], v[193:194], -v[195:196]
	ds_load_b128 v[6:9], v1 offset:1376
	s_waitcnt vmcnt(8) lgkmcnt(1)
	v_mul_f64 v[205:206], v[2:3], v[12:13]
	v_mul_f64 v[12:13], v[4:5], v[12:13]
	scratch_load_b128 v[193:196], off, off offset:704
	v_add_f64 v[201:202], v[201:202], v[213:214]
	v_add_f64 v[203:204], v[203:204], v[207:208]
	s_waitcnt vmcnt(8) lgkmcnt(0)
	v_mul_f64 v[207:208], v[6:7], v[16:17]
	v_mul_f64 v[16:17], v[8:9], v[16:17]
	v_fma_f64 v[205:206], v[4:5], v[10:11], v[205:206]
	v_fma_f64 v[213:214], v[2:3], v[10:11], -v[12:13]
	scratch_load_b128 v[10:13], off, off offset:720
	ds_load_b128 v[2:5], v1 offset:1392
	v_add_f64 v[201:202], v[201:202], v[211:212]
	v_add_f64 v[203:204], v[203:204], v[209:210]
	v_fma_f64 v[207:208], v[8:9], v[14:15], v[207:208]
	v_fma_f64 v[211:212], v[6:7], v[14:15], -v[16:17]
	ds_load_b128 v[6:9], v1 offset:1408
	s_waitcnt vmcnt(8) lgkmcnt(1)
	v_mul_f64 v[209:210], v[2:3], v[20:21]
	v_mul_f64 v[20:21], v[4:5], v[20:21]
	scratch_load_b128 v[14:17], off, off offset:736
	v_add_f64 v[201:202], v[201:202], v[213:214]
	v_add_f64 v[203:204], v[203:204], v[205:206]
	s_waitcnt vmcnt(8) lgkmcnt(0)
	v_mul_f64 v[205:206], v[6:7], v[24:25]
	v_mul_f64 v[24:25], v[8:9], v[24:25]
	v_fma_f64 v[209:210], v[4:5], v[18:19], v[209:210]
	v_fma_f64 v[213:214], v[2:3], v[18:19], -v[20:21]
	scratch_load_b128 v[18:21], off, off offset:752
	ds_load_b128 v[2:5], v1 offset:1424
	;; [unrolled: 18-line block ×3, first 2 shown]
	v_add_f64 v[201:202], v[201:202], v[211:212]
	v_add_f64 v[203:204], v[203:204], v[205:206]
	v_fma_f64 v[209:210], v[8:9], v[30:31], v[209:210]
	v_fma_f64 v[30:31], v[6:7], v[30:31], -v[32:33]
	ds_load_b128 v[6:9], v1 offset:1472
	s_waitcnt vmcnt(8) lgkmcnt(1)
	v_mul_f64 v[205:206], v[2:3], v[36:37]
	v_mul_f64 v[36:37], v[4:5], v[36:37]
	v_add_f64 v[32:33], v[201:202], v[213:214]
	v_add_f64 v[201:202], v[203:204], v[207:208]
	s_waitcnt vmcnt(7) lgkmcnt(0)
	v_mul_f64 v[203:204], v[6:7], v[199:200]
	v_mul_f64 v[199:200], v[8:9], v[199:200]
	v_fma_f64 v[205:206], v[4:5], v[34:35], v[205:206]
	v_fma_f64 v[34:35], v[2:3], v[34:35], -v[36:37]
	ds_load_b128 v[2:5], v1 offset:1488
	v_add_f64 v[30:31], v[32:33], v[30:31]
	v_add_f64 v[32:33], v[201:202], v[209:210]
	v_fma_f64 v[201:202], v[8:9], v[197:198], v[203:204]
	v_fma_f64 v[197:198], v[6:7], v[197:198], -v[199:200]
	ds_load_b128 v[6:9], v1 offset:1504
	s_waitcnt vmcnt(5) lgkmcnt(0)
	v_mul_f64 v[203:204], v[6:7], v[195:196]
	v_mul_f64 v[195:196], v[8:9], v[195:196]
	v_add_f64 v[34:35], v[30:31], v[34:35]
	v_add_f64 v[199:200], v[32:33], v[205:206]
	scratch_load_b128 v[30:33], off, off offset:192
	v_mul_f64 v[36:37], v[2:3], v[40:41]
	v_mul_f64 v[40:41], v[4:5], v[40:41]
	v_add_f64 v[34:35], v[34:35], v[197:198]
	s_delay_alu instid0(VALU_DEP_3) | instskip(NEXT) | instid1(VALU_DEP_3)
	v_fma_f64 v[36:37], v[4:5], v[38:39], v[36:37]
	v_fma_f64 v[38:39], v[2:3], v[38:39], -v[40:41]
	v_add_f64 v[40:41], v[199:200], v[201:202]
	ds_load_b128 v[2:5], v1 offset:1520
	v_fma_f64 v[199:200], v[8:9], v[193:194], v[203:204]
	v_fma_f64 v[193:194], v[6:7], v[193:194], -v[195:196]
	ds_load_b128 v[6:9], v1 offset:1536
	s_waitcnt vmcnt(5) lgkmcnt(1)
	v_mul_f64 v[197:198], v[2:3], v[12:13]
	v_mul_f64 v[12:13], v[4:5], v[12:13]
	v_add_f64 v[34:35], v[34:35], v[38:39]
	v_add_f64 v[36:37], v[40:41], v[36:37]
	s_waitcnt vmcnt(4) lgkmcnt(0)
	v_mul_f64 v[38:39], v[6:7], v[16:17]
	v_mul_f64 v[16:17], v[8:9], v[16:17]
	v_fma_f64 v[40:41], v[4:5], v[10:11], v[197:198]
	v_fma_f64 v[10:11], v[2:3], v[10:11], -v[12:13]
	ds_load_b128 v[2:5], v1 offset:1552
	v_add_f64 v[12:13], v[34:35], v[193:194]
	v_add_f64 v[34:35], v[36:37], v[199:200]
	v_fma_f64 v[38:39], v[8:9], v[14:15], v[38:39]
	v_fma_f64 v[14:15], v[6:7], v[14:15], -v[16:17]
	ds_load_b128 v[6:9], v1 offset:1568
	s_waitcnt vmcnt(3) lgkmcnt(1)
	v_mul_f64 v[36:37], v[2:3], v[20:21]
	v_mul_f64 v[20:21], v[4:5], v[20:21]
	s_waitcnt vmcnt(2) lgkmcnt(0)
	v_mul_f64 v[16:17], v[6:7], v[24:25]
	v_mul_f64 v[24:25], v[8:9], v[24:25]
	v_add_f64 v[10:11], v[12:13], v[10:11]
	v_add_f64 v[12:13], v[34:35], v[40:41]
	v_fma_f64 v[34:35], v[4:5], v[18:19], v[36:37]
	v_fma_f64 v[18:19], v[2:3], v[18:19], -v[20:21]
	ds_load_b128 v[2:5], v1 offset:1584
	v_fma_f64 v[8:9], v[8:9], v[22:23], v[16:17]
	v_fma_f64 v[6:7], v[6:7], v[22:23], -v[24:25]
	s_waitcnt vmcnt(1) lgkmcnt(0)
	v_mul_f64 v[20:21], v[4:5], v[28:29]
	v_add_f64 v[10:11], v[10:11], v[14:15]
	v_add_f64 v[12:13], v[12:13], v[38:39]
	v_mul_f64 v[14:15], v[2:3], v[28:29]
	s_delay_alu instid0(VALU_DEP_4) | instskip(NEXT) | instid1(VALU_DEP_4)
	v_fma_f64 v[2:3], v[2:3], v[26:27], -v[20:21]
	v_add_f64 v[10:11], v[10:11], v[18:19]
	s_delay_alu instid0(VALU_DEP_4) | instskip(NEXT) | instid1(VALU_DEP_4)
	v_add_f64 v[12:13], v[12:13], v[34:35]
	v_fma_f64 v[4:5], v[4:5], v[26:27], v[14:15]
	s_delay_alu instid0(VALU_DEP_3) | instskip(NEXT) | instid1(VALU_DEP_3)
	v_add_f64 v[6:7], v[10:11], v[6:7]
	v_add_f64 v[8:9], v[12:13], v[8:9]
	s_delay_alu instid0(VALU_DEP_2) | instskip(NEXT) | instid1(VALU_DEP_2)
	v_add_f64 v[2:3], v[6:7], v[2:3]
	v_add_f64 v[4:5], v[8:9], v[4:5]
	s_waitcnt vmcnt(0)
	s_delay_alu instid0(VALU_DEP_2) | instskip(NEXT) | instid1(VALU_DEP_2)
	v_add_f64 v[2:3], v[30:31], -v[2:3]
	v_add_f64 v[4:5], v[32:33], -v[4:5]
	scratch_store_b128 off, v[2:5], off offset:192
	v_cmpx_lt_u32_e32 11, v142
	s_cbranch_execz .LBB49_291
; %bb.290:
	scratch_load_b128 v[5:8], v181, off
	v_mov_b32_e32 v2, v1
	v_mov_b32_e32 v3, v1
	;; [unrolled: 1-line block ×3, first 2 shown]
	scratch_store_b128 off, v[1:4], off offset:176
	s_waitcnt vmcnt(0)
	ds_store_b128 v192, v[5:8]
.LBB49_291:
	s_or_b32 exec_lo, exec_lo, s2
	s_waitcnt lgkmcnt(0)
	s_waitcnt_vscnt null, 0x0
	s_barrier
	buffer_gl0_inv
	s_clause 0x7
	scratch_load_b128 v[2:5], off, off offset:192
	scratch_load_b128 v[6:9], off, off offset:208
	;; [unrolled: 1-line block ×8, first 2 shown]
	ds_load_b128 v[38:41], v1 offset:992
	ds_load_b128 v[193:196], v1 offset:1008
	s_clause 0x1
	scratch_load_b128 v[34:37], off, off offset:320
	scratch_load_b128 v[197:200], off, off offset:336
	s_mov_b32 s2, exec_lo
	s_waitcnt vmcnt(9) lgkmcnt(1)
	v_mul_f64 v[201:202], v[40:41], v[4:5]
	v_mul_f64 v[4:5], v[38:39], v[4:5]
	s_waitcnt vmcnt(8) lgkmcnt(0)
	v_mul_f64 v[203:204], v[193:194], v[8:9]
	v_mul_f64 v[8:9], v[195:196], v[8:9]
	s_delay_alu instid0(VALU_DEP_4) | instskip(NEXT) | instid1(VALU_DEP_4)
	v_fma_f64 v[201:202], v[38:39], v[2:3], -v[201:202]
	v_fma_f64 v[205:206], v[40:41], v[2:3], v[4:5]
	ds_load_b128 v[2:5], v1 offset:1024
	scratch_load_b128 v[38:41], off, off offset:352
	v_fma_f64 v[203:204], v[195:196], v[6:7], v[203:204]
	v_fma_f64 v[209:210], v[193:194], v[6:7], -v[8:9]
	scratch_load_b128 v[193:196], off, off offset:368
	ds_load_b128 v[6:9], v1 offset:1040
	s_waitcnt vmcnt(9) lgkmcnt(1)
	v_mul_f64 v[207:208], v[2:3], v[12:13]
	v_mul_f64 v[12:13], v[4:5], v[12:13]
	s_waitcnt vmcnt(8) lgkmcnt(0)
	v_mul_f64 v[211:212], v[6:7], v[16:17]
	v_mul_f64 v[16:17], v[8:9], v[16:17]
	v_add_f64 v[201:202], v[201:202], 0
	v_add_f64 v[205:206], v[205:206], 0
	v_fma_f64 v[207:208], v[4:5], v[10:11], v[207:208]
	v_fma_f64 v[213:214], v[2:3], v[10:11], -v[12:13]
	ds_load_b128 v[2:5], v1 offset:1056
	scratch_load_b128 v[10:13], off, off offset:384
	v_add_f64 v[201:202], v[201:202], v[209:210]
	v_add_f64 v[203:204], v[205:206], v[203:204]
	v_fma_f64 v[209:210], v[8:9], v[14:15], v[211:212]
	v_fma_f64 v[211:212], v[6:7], v[14:15], -v[16:17]
	scratch_load_b128 v[14:17], off, off offset:400
	ds_load_b128 v[6:9], v1 offset:1072
	s_waitcnt vmcnt(9) lgkmcnt(1)
	v_mul_f64 v[205:206], v[2:3], v[20:21]
	v_mul_f64 v[20:21], v[4:5], v[20:21]
	v_add_f64 v[201:202], v[201:202], v[213:214]
	v_add_f64 v[203:204], v[203:204], v[207:208]
	s_waitcnt vmcnt(8) lgkmcnt(0)
	v_mul_f64 v[207:208], v[6:7], v[24:25]
	v_mul_f64 v[24:25], v[8:9], v[24:25]
	v_fma_f64 v[205:206], v[4:5], v[18:19], v[205:206]
	v_fma_f64 v[213:214], v[2:3], v[18:19], -v[20:21]
	ds_load_b128 v[2:5], v1 offset:1088
	scratch_load_b128 v[18:21], off, off offset:416
	v_add_f64 v[201:202], v[201:202], v[211:212]
	v_add_f64 v[203:204], v[203:204], v[209:210]
	v_fma_f64 v[207:208], v[8:9], v[22:23], v[207:208]
	v_fma_f64 v[211:212], v[6:7], v[22:23], -v[24:25]
	scratch_load_b128 v[22:25], off, off offset:432
	ds_load_b128 v[6:9], v1 offset:1104
	s_waitcnt vmcnt(9) lgkmcnt(1)
	v_mul_f64 v[209:210], v[2:3], v[28:29]
	v_mul_f64 v[28:29], v[4:5], v[28:29]
	v_add_f64 v[201:202], v[201:202], v[213:214]
	v_add_f64 v[203:204], v[203:204], v[205:206]
	s_waitcnt vmcnt(8) lgkmcnt(0)
	v_mul_f64 v[205:206], v[6:7], v[32:33]
	v_mul_f64 v[32:33], v[8:9], v[32:33]
	;; [unrolled: 18-line block ×9, first 2 shown]
	v_fma_f64 v[207:208], v[4:5], v[38:39], v[207:208]
	v_fma_f64 v[213:214], v[2:3], v[38:39], -v[40:41]
	ds_load_b128 v[2:5], v1 offset:1344
	scratch_load_b128 v[38:41], off, off offset:672
	v_add_f64 v[201:202], v[201:202], v[211:212]
	v_add_f64 v[203:204], v[203:204], v[205:206]
	v_fma_f64 v[209:210], v[8:9], v[193:194], v[209:210]
	v_fma_f64 v[211:212], v[6:7], v[193:194], -v[195:196]
	ds_load_b128 v[6:9], v1 offset:1360
	s_waitcnt vmcnt(8) lgkmcnt(1)
	v_mul_f64 v[205:206], v[2:3], v[12:13]
	v_mul_f64 v[12:13], v[4:5], v[12:13]
	scratch_load_b128 v[193:196], off, off offset:688
	v_add_f64 v[201:202], v[201:202], v[213:214]
	v_add_f64 v[203:204], v[203:204], v[207:208]
	s_waitcnt vmcnt(8) lgkmcnt(0)
	v_mul_f64 v[207:208], v[6:7], v[16:17]
	v_mul_f64 v[16:17], v[8:9], v[16:17]
	v_fma_f64 v[205:206], v[4:5], v[10:11], v[205:206]
	v_fma_f64 v[213:214], v[2:3], v[10:11], -v[12:13]
	ds_load_b128 v[2:5], v1 offset:1376
	scratch_load_b128 v[10:13], off, off offset:704
	v_add_f64 v[201:202], v[201:202], v[211:212]
	v_add_f64 v[203:204], v[203:204], v[209:210]
	v_fma_f64 v[207:208], v[8:9], v[14:15], v[207:208]
	v_fma_f64 v[211:212], v[6:7], v[14:15], -v[16:17]
	ds_load_b128 v[6:9], v1 offset:1392
	s_waitcnt vmcnt(8) lgkmcnt(1)
	v_mul_f64 v[209:210], v[2:3], v[20:21]
	v_mul_f64 v[20:21], v[4:5], v[20:21]
	scratch_load_b128 v[14:17], off, off offset:720
	v_add_f64 v[201:202], v[201:202], v[213:214]
	v_add_f64 v[203:204], v[203:204], v[205:206]
	s_waitcnt vmcnt(8) lgkmcnt(0)
	v_mul_f64 v[205:206], v[6:7], v[24:25]
	v_mul_f64 v[24:25], v[8:9], v[24:25]
	v_fma_f64 v[209:210], v[4:5], v[18:19], v[209:210]
	v_fma_f64 v[213:214], v[2:3], v[18:19], -v[20:21]
	scratch_load_b128 v[18:21], off, off offset:736
	ds_load_b128 v[2:5], v1 offset:1408
	v_add_f64 v[201:202], v[201:202], v[211:212]
	v_add_f64 v[203:204], v[203:204], v[207:208]
	v_fma_f64 v[205:206], v[8:9], v[22:23], v[205:206]
	v_fma_f64 v[211:212], v[6:7], v[22:23], -v[24:25]
	ds_load_b128 v[6:9], v1 offset:1424
	s_waitcnt vmcnt(8) lgkmcnt(1)
	v_mul_f64 v[207:208], v[2:3], v[28:29]
	v_mul_f64 v[28:29], v[4:5], v[28:29]
	scratch_load_b128 v[22:25], off, off offset:752
	v_add_f64 v[201:202], v[201:202], v[213:214]
	v_add_f64 v[203:204], v[203:204], v[209:210]
	s_waitcnt vmcnt(8) lgkmcnt(0)
	v_mul_f64 v[209:210], v[6:7], v[32:33]
	v_mul_f64 v[32:33], v[8:9], v[32:33]
	v_fma_f64 v[207:208], v[4:5], v[26:27], v[207:208]
	v_fma_f64 v[213:214], v[2:3], v[26:27], -v[28:29]
	scratch_load_b128 v[26:29], off, off offset:768
	ds_load_b128 v[2:5], v1 offset:1440
	v_add_f64 v[201:202], v[201:202], v[211:212]
	v_add_f64 v[203:204], v[203:204], v[205:206]
	v_fma_f64 v[209:210], v[8:9], v[30:31], v[209:210]
	v_fma_f64 v[211:212], v[6:7], v[30:31], -v[32:33]
	ds_load_b128 v[6:9], v1 offset:1456
	s_waitcnt vmcnt(8) lgkmcnt(1)
	v_mul_f64 v[205:206], v[2:3], v[36:37]
	v_mul_f64 v[36:37], v[4:5], v[36:37]
	scratch_load_b128 v[30:33], off, off offset:784
	v_add_f64 v[201:202], v[201:202], v[213:214]
	v_add_f64 v[203:204], v[203:204], v[207:208]
	s_waitcnt vmcnt(8) lgkmcnt(0)
	v_mul_f64 v[207:208], v[6:7], v[199:200]
	v_mul_f64 v[199:200], v[8:9], v[199:200]
	v_fma_f64 v[205:206], v[4:5], v[34:35], v[205:206]
	v_fma_f64 v[34:35], v[2:3], v[34:35], -v[36:37]
	ds_load_b128 v[2:5], v1 offset:1472
	v_add_f64 v[36:37], v[201:202], v[211:212]
	v_add_f64 v[201:202], v[203:204], v[209:210]
	v_fma_f64 v[207:208], v[8:9], v[197:198], v[207:208]
	v_fma_f64 v[197:198], v[6:7], v[197:198], -v[199:200]
	ds_load_b128 v[6:9], v1 offset:1488
	s_waitcnt vmcnt(7) lgkmcnt(1)
	v_mul_f64 v[203:204], v[2:3], v[40:41]
	v_mul_f64 v[40:41], v[4:5], v[40:41]
	v_add_f64 v[34:35], v[36:37], v[34:35]
	v_add_f64 v[36:37], v[201:202], v[205:206]
	s_delay_alu instid0(VALU_DEP_4) | instskip(NEXT) | instid1(VALU_DEP_4)
	v_fma_f64 v[201:202], v[4:5], v[38:39], v[203:204]
	v_fma_f64 v[38:39], v[2:3], v[38:39], -v[40:41]
	ds_load_b128 v[2:5], v1 offset:1504
	v_add_f64 v[40:41], v[34:35], v[197:198]
	v_add_f64 v[197:198], v[36:37], v[207:208]
	scratch_load_b128 v[34:37], off, off offset:176
	s_waitcnt vmcnt(7) lgkmcnt(1)
	v_mul_f64 v[199:200], v[6:7], v[195:196]
	v_mul_f64 v[195:196], v[8:9], v[195:196]
	v_add_f64 v[38:39], v[40:41], v[38:39]
	v_add_f64 v[40:41], v[197:198], v[201:202]
	s_delay_alu instid0(VALU_DEP_4) | instskip(NEXT) | instid1(VALU_DEP_4)
	v_fma_f64 v[199:200], v[8:9], v[193:194], v[199:200]
	v_fma_f64 v[193:194], v[6:7], v[193:194], -v[195:196]
	ds_load_b128 v[6:9], v1 offset:1520
	s_waitcnt vmcnt(6) lgkmcnt(1)
	v_mul_f64 v[203:204], v[2:3], v[12:13]
	v_mul_f64 v[12:13], v[4:5], v[12:13]
	s_waitcnt vmcnt(5) lgkmcnt(0)
	v_mul_f64 v[195:196], v[6:7], v[16:17]
	v_mul_f64 v[16:17], v[8:9], v[16:17]
	s_delay_alu instid0(VALU_DEP_4) | instskip(NEXT) | instid1(VALU_DEP_4)
	v_fma_f64 v[197:198], v[4:5], v[10:11], v[203:204]
	v_fma_f64 v[10:11], v[2:3], v[10:11], -v[12:13]
	v_add_f64 v[12:13], v[38:39], v[193:194]
	v_add_f64 v[38:39], v[40:41], v[199:200]
	ds_load_b128 v[2:5], v1 offset:1536
	v_fma_f64 v[193:194], v[8:9], v[14:15], v[195:196]
	v_fma_f64 v[14:15], v[6:7], v[14:15], -v[16:17]
	ds_load_b128 v[6:9], v1 offset:1552
	s_waitcnt vmcnt(4) lgkmcnt(1)
	v_mul_f64 v[40:41], v[2:3], v[20:21]
	v_mul_f64 v[20:21], v[4:5], v[20:21]
	v_add_f64 v[10:11], v[12:13], v[10:11]
	v_add_f64 v[12:13], v[38:39], v[197:198]
	s_waitcnt vmcnt(3) lgkmcnt(0)
	v_mul_f64 v[16:17], v[6:7], v[24:25]
	v_mul_f64 v[24:25], v[8:9], v[24:25]
	v_fma_f64 v[38:39], v[4:5], v[18:19], v[40:41]
	v_fma_f64 v[18:19], v[2:3], v[18:19], -v[20:21]
	ds_load_b128 v[2:5], v1 offset:1568
	v_add_f64 v[10:11], v[10:11], v[14:15]
	v_add_f64 v[12:13], v[12:13], v[193:194]
	v_fma_f64 v[16:17], v[8:9], v[22:23], v[16:17]
	v_fma_f64 v[22:23], v[6:7], v[22:23], -v[24:25]
	ds_load_b128 v[6:9], v1 offset:1584
	s_waitcnt vmcnt(2) lgkmcnt(1)
	v_mul_f64 v[14:15], v[2:3], v[28:29]
	v_mul_f64 v[20:21], v[4:5], v[28:29]
	s_waitcnt vmcnt(1) lgkmcnt(0)
	v_mul_f64 v[24:25], v[8:9], v[32:33]
	v_add_f64 v[10:11], v[10:11], v[18:19]
	v_add_f64 v[12:13], v[12:13], v[38:39]
	v_mul_f64 v[18:19], v[6:7], v[32:33]
	v_fma_f64 v[4:5], v[4:5], v[26:27], v[14:15]
	v_fma_f64 v[1:2], v[2:3], v[26:27], -v[20:21]
	v_fma_f64 v[6:7], v[6:7], v[30:31], -v[24:25]
	v_add_f64 v[10:11], v[10:11], v[22:23]
	v_add_f64 v[12:13], v[12:13], v[16:17]
	v_fma_f64 v[8:9], v[8:9], v[30:31], v[18:19]
	s_delay_alu instid0(VALU_DEP_3) | instskip(NEXT) | instid1(VALU_DEP_3)
	v_add_f64 v[1:2], v[10:11], v[1:2]
	v_add_f64 v[3:4], v[12:13], v[4:5]
	s_delay_alu instid0(VALU_DEP_2) | instskip(NEXT) | instid1(VALU_DEP_2)
	v_add_f64 v[1:2], v[1:2], v[6:7]
	v_add_f64 v[3:4], v[3:4], v[8:9]
	s_waitcnt vmcnt(0)
	s_delay_alu instid0(VALU_DEP_2) | instskip(NEXT) | instid1(VALU_DEP_2)
	v_add_f64 v[1:2], v[34:35], -v[1:2]
	v_add_f64 v[3:4], v[36:37], -v[3:4]
	scratch_store_b128 off, v[1:4], off offset:176
	v_cmpx_lt_u32_e32 10, v142
	s_cbranch_execz .LBB49_293
; %bb.292:
	scratch_load_b128 v[1:4], v182, off
	v_mov_b32_e32 v5, 0
	s_delay_alu instid0(VALU_DEP_1)
	v_mov_b32_e32 v6, v5
	v_mov_b32_e32 v7, v5
	;; [unrolled: 1-line block ×3, first 2 shown]
	scratch_store_b128 off, v[5:8], off offset:160
	s_waitcnt vmcnt(0)
	ds_store_b128 v192, v[1:4]
.LBB49_293:
	s_or_b32 exec_lo, exec_lo, s2
	s_waitcnt lgkmcnt(0)
	s_waitcnt_vscnt null, 0x0
	s_barrier
	buffer_gl0_inv
	s_clause 0x7
	scratch_load_b128 v[2:5], off, off offset:176
	scratch_load_b128 v[6:9], off, off offset:192
	;; [unrolled: 1-line block ×8, first 2 shown]
	v_mov_b32_e32 v1, 0
	s_clause 0x1
	scratch_load_b128 v[34:37], off, off offset:304
	scratch_load_b128 v[197:200], off, off offset:320
	s_mov_b32 s2, exec_lo
	ds_load_b128 v[38:41], v1 offset:976
	ds_load_b128 v[193:196], v1 offset:992
	s_waitcnt vmcnt(9) lgkmcnt(1)
	v_mul_f64 v[201:202], v[40:41], v[4:5]
	v_mul_f64 v[4:5], v[38:39], v[4:5]
	s_waitcnt vmcnt(8) lgkmcnt(0)
	v_mul_f64 v[203:204], v[193:194], v[8:9]
	v_mul_f64 v[8:9], v[195:196], v[8:9]
	s_delay_alu instid0(VALU_DEP_4) | instskip(NEXT) | instid1(VALU_DEP_4)
	v_fma_f64 v[201:202], v[38:39], v[2:3], -v[201:202]
	v_fma_f64 v[205:206], v[40:41], v[2:3], v[4:5]
	ds_load_b128 v[2:5], v1 offset:1008
	scratch_load_b128 v[38:41], off, off offset:336
	v_fma_f64 v[203:204], v[195:196], v[6:7], v[203:204]
	v_fma_f64 v[209:210], v[193:194], v[6:7], -v[8:9]
	scratch_load_b128 v[193:196], off, off offset:352
	ds_load_b128 v[6:9], v1 offset:1024
	s_waitcnt vmcnt(9) lgkmcnt(1)
	v_mul_f64 v[207:208], v[2:3], v[12:13]
	v_mul_f64 v[12:13], v[4:5], v[12:13]
	s_waitcnt vmcnt(8) lgkmcnt(0)
	v_mul_f64 v[211:212], v[6:7], v[16:17]
	v_mul_f64 v[16:17], v[8:9], v[16:17]
	v_add_f64 v[201:202], v[201:202], 0
	v_add_f64 v[205:206], v[205:206], 0
	v_fma_f64 v[207:208], v[4:5], v[10:11], v[207:208]
	v_fma_f64 v[213:214], v[2:3], v[10:11], -v[12:13]
	ds_load_b128 v[2:5], v1 offset:1040
	scratch_load_b128 v[10:13], off, off offset:368
	v_add_f64 v[201:202], v[201:202], v[209:210]
	v_add_f64 v[203:204], v[205:206], v[203:204]
	v_fma_f64 v[209:210], v[8:9], v[14:15], v[211:212]
	v_fma_f64 v[211:212], v[6:7], v[14:15], -v[16:17]
	scratch_load_b128 v[14:17], off, off offset:384
	ds_load_b128 v[6:9], v1 offset:1056
	s_waitcnt vmcnt(9) lgkmcnt(1)
	v_mul_f64 v[205:206], v[2:3], v[20:21]
	v_mul_f64 v[20:21], v[4:5], v[20:21]
	v_add_f64 v[201:202], v[201:202], v[213:214]
	v_add_f64 v[203:204], v[203:204], v[207:208]
	s_waitcnt vmcnt(8) lgkmcnt(0)
	v_mul_f64 v[207:208], v[6:7], v[24:25]
	v_mul_f64 v[24:25], v[8:9], v[24:25]
	v_fma_f64 v[205:206], v[4:5], v[18:19], v[205:206]
	v_fma_f64 v[213:214], v[2:3], v[18:19], -v[20:21]
	ds_load_b128 v[2:5], v1 offset:1072
	scratch_load_b128 v[18:21], off, off offset:400
	v_add_f64 v[201:202], v[201:202], v[211:212]
	v_add_f64 v[203:204], v[203:204], v[209:210]
	v_fma_f64 v[207:208], v[8:9], v[22:23], v[207:208]
	v_fma_f64 v[211:212], v[6:7], v[22:23], -v[24:25]
	scratch_load_b128 v[22:25], off, off offset:416
	ds_load_b128 v[6:9], v1 offset:1088
	s_waitcnt vmcnt(9) lgkmcnt(1)
	v_mul_f64 v[209:210], v[2:3], v[28:29]
	v_mul_f64 v[28:29], v[4:5], v[28:29]
	v_add_f64 v[201:202], v[201:202], v[213:214]
	v_add_f64 v[203:204], v[203:204], v[205:206]
	s_waitcnt vmcnt(8) lgkmcnt(0)
	v_mul_f64 v[205:206], v[6:7], v[32:33]
	v_mul_f64 v[32:33], v[8:9], v[32:33]
	;; [unrolled: 18-line block ×10, first 2 shown]
	v_fma_f64 v[205:206], v[4:5], v[10:11], v[205:206]
	v_fma_f64 v[213:214], v[2:3], v[10:11], -v[12:13]
	ds_load_b128 v[2:5], v1 offset:1360
	scratch_load_b128 v[10:13], off, off offset:688
	v_add_f64 v[201:202], v[201:202], v[211:212]
	v_add_f64 v[203:204], v[203:204], v[209:210]
	v_fma_f64 v[207:208], v[8:9], v[14:15], v[207:208]
	v_fma_f64 v[211:212], v[6:7], v[14:15], -v[16:17]
	ds_load_b128 v[6:9], v1 offset:1376
	s_waitcnt vmcnt(8) lgkmcnt(1)
	v_mul_f64 v[209:210], v[2:3], v[20:21]
	v_mul_f64 v[20:21], v[4:5], v[20:21]
	scratch_load_b128 v[14:17], off, off offset:704
	v_add_f64 v[201:202], v[201:202], v[213:214]
	v_add_f64 v[203:204], v[203:204], v[205:206]
	s_waitcnt vmcnt(8) lgkmcnt(0)
	v_mul_f64 v[205:206], v[6:7], v[24:25]
	v_mul_f64 v[24:25], v[8:9], v[24:25]
	v_fma_f64 v[209:210], v[4:5], v[18:19], v[209:210]
	v_fma_f64 v[213:214], v[2:3], v[18:19], -v[20:21]
	scratch_load_b128 v[18:21], off, off offset:720
	ds_load_b128 v[2:5], v1 offset:1392
	v_add_f64 v[201:202], v[201:202], v[211:212]
	v_add_f64 v[203:204], v[203:204], v[207:208]
	v_fma_f64 v[205:206], v[8:9], v[22:23], v[205:206]
	v_fma_f64 v[211:212], v[6:7], v[22:23], -v[24:25]
	ds_load_b128 v[6:9], v1 offset:1408
	s_waitcnt vmcnt(8) lgkmcnt(1)
	v_mul_f64 v[207:208], v[2:3], v[28:29]
	v_mul_f64 v[28:29], v[4:5], v[28:29]
	scratch_load_b128 v[22:25], off, off offset:736
	v_add_f64 v[201:202], v[201:202], v[213:214]
	v_add_f64 v[203:204], v[203:204], v[209:210]
	s_waitcnt vmcnt(8) lgkmcnt(0)
	v_mul_f64 v[209:210], v[6:7], v[32:33]
	v_mul_f64 v[32:33], v[8:9], v[32:33]
	v_fma_f64 v[207:208], v[4:5], v[26:27], v[207:208]
	v_fma_f64 v[213:214], v[2:3], v[26:27], -v[28:29]
	scratch_load_b128 v[26:29], off, off offset:752
	ds_load_b128 v[2:5], v1 offset:1424
	;; [unrolled: 18-line block ×3, first 2 shown]
	v_add_f64 v[201:202], v[201:202], v[211:212]
	v_add_f64 v[203:204], v[203:204], v[209:210]
	v_fma_f64 v[207:208], v[8:9], v[197:198], v[207:208]
	v_fma_f64 v[197:198], v[6:7], v[197:198], -v[199:200]
	ds_load_b128 v[6:9], v1 offset:1472
	s_waitcnt vmcnt(8) lgkmcnt(1)
	v_mul_f64 v[209:210], v[2:3], v[40:41]
	v_mul_f64 v[40:41], v[4:5], v[40:41]
	v_add_f64 v[199:200], v[201:202], v[213:214]
	v_add_f64 v[201:202], v[203:204], v[205:206]
	s_waitcnt vmcnt(7) lgkmcnt(0)
	v_mul_f64 v[203:204], v[6:7], v[195:196]
	v_mul_f64 v[195:196], v[8:9], v[195:196]
	v_fma_f64 v[205:206], v[4:5], v[38:39], v[209:210]
	v_fma_f64 v[38:39], v[2:3], v[38:39], -v[40:41]
	ds_load_b128 v[2:5], v1 offset:1488
	v_add_f64 v[40:41], v[199:200], v[197:198]
	v_add_f64 v[197:198], v[201:202], v[207:208]
	v_fma_f64 v[201:202], v[8:9], v[193:194], v[203:204]
	v_fma_f64 v[193:194], v[6:7], v[193:194], -v[195:196]
	ds_load_b128 v[6:9], v1 offset:1504
	s_waitcnt vmcnt(5) lgkmcnt(0)
	v_mul_f64 v[203:204], v[6:7], v[16:17]
	v_mul_f64 v[16:17], v[8:9], v[16:17]
	v_add_f64 v[195:196], v[40:41], v[38:39]
	v_add_f64 v[197:198], v[197:198], v[205:206]
	scratch_load_b128 v[38:41], off, off offset:160
	v_mul_f64 v[199:200], v[2:3], v[12:13]
	v_mul_f64 v[12:13], v[4:5], v[12:13]
	s_delay_alu instid0(VALU_DEP_2) | instskip(NEXT) | instid1(VALU_DEP_2)
	v_fma_f64 v[199:200], v[4:5], v[10:11], v[199:200]
	v_fma_f64 v[10:11], v[2:3], v[10:11], -v[12:13]
	v_add_f64 v[12:13], v[195:196], v[193:194]
	v_add_f64 v[193:194], v[197:198], v[201:202]
	ds_load_b128 v[2:5], v1 offset:1520
	v_fma_f64 v[197:198], v[8:9], v[14:15], v[203:204]
	v_fma_f64 v[14:15], v[6:7], v[14:15], -v[16:17]
	ds_load_b128 v[6:9], v1 offset:1536
	s_waitcnt vmcnt(5) lgkmcnt(1)
	v_mul_f64 v[195:196], v[2:3], v[20:21]
	v_mul_f64 v[20:21], v[4:5], v[20:21]
	s_waitcnt vmcnt(4) lgkmcnt(0)
	v_mul_f64 v[16:17], v[6:7], v[24:25]
	v_mul_f64 v[24:25], v[8:9], v[24:25]
	v_add_f64 v[10:11], v[12:13], v[10:11]
	v_add_f64 v[12:13], v[193:194], v[199:200]
	v_fma_f64 v[193:194], v[4:5], v[18:19], v[195:196]
	v_fma_f64 v[18:19], v[2:3], v[18:19], -v[20:21]
	ds_load_b128 v[2:5], v1 offset:1552
	v_fma_f64 v[16:17], v[8:9], v[22:23], v[16:17]
	v_fma_f64 v[22:23], v[6:7], v[22:23], -v[24:25]
	ds_load_b128 v[6:9], v1 offset:1568
	v_add_f64 v[10:11], v[10:11], v[14:15]
	v_add_f64 v[12:13], v[12:13], v[197:198]
	s_waitcnt vmcnt(3) lgkmcnt(1)
	v_mul_f64 v[14:15], v[2:3], v[28:29]
	v_mul_f64 v[20:21], v[4:5], v[28:29]
	s_waitcnt vmcnt(2) lgkmcnt(0)
	v_mul_f64 v[24:25], v[8:9], v[32:33]
	v_add_f64 v[10:11], v[10:11], v[18:19]
	v_add_f64 v[12:13], v[12:13], v[193:194]
	v_mul_f64 v[18:19], v[6:7], v[32:33]
	v_fma_f64 v[14:15], v[4:5], v[26:27], v[14:15]
	v_fma_f64 v[20:21], v[2:3], v[26:27], -v[20:21]
	ds_load_b128 v[2:5], v1 offset:1584
	v_fma_f64 v[6:7], v[6:7], v[30:31], -v[24:25]
	v_add_f64 v[10:11], v[10:11], v[22:23]
	v_add_f64 v[12:13], v[12:13], v[16:17]
	s_waitcnt vmcnt(1) lgkmcnt(0)
	v_mul_f64 v[16:17], v[2:3], v[36:37]
	v_mul_f64 v[22:23], v[4:5], v[36:37]
	v_fma_f64 v[8:9], v[8:9], v[30:31], v[18:19]
	v_add_f64 v[10:11], v[10:11], v[20:21]
	v_add_f64 v[12:13], v[12:13], v[14:15]
	v_fma_f64 v[4:5], v[4:5], v[34:35], v[16:17]
	v_fma_f64 v[2:3], v[2:3], v[34:35], -v[22:23]
	s_delay_alu instid0(VALU_DEP_4) | instskip(NEXT) | instid1(VALU_DEP_4)
	v_add_f64 v[6:7], v[10:11], v[6:7]
	v_add_f64 v[8:9], v[12:13], v[8:9]
	s_delay_alu instid0(VALU_DEP_2) | instskip(NEXT) | instid1(VALU_DEP_2)
	v_add_f64 v[2:3], v[6:7], v[2:3]
	v_add_f64 v[4:5], v[8:9], v[4:5]
	s_waitcnt vmcnt(0)
	s_delay_alu instid0(VALU_DEP_2) | instskip(NEXT) | instid1(VALU_DEP_2)
	v_add_f64 v[2:3], v[38:39], -v[2:3]
	v_add_f64 v[4:5], v[40:41], -v[4:5]
	scratch_store_b128 off, v[2:5], off offset:160
	v_cmpx_lt_u32_e32 9, v142
	s_cbranch_execz .LBB49_295
; %bb.294:
	scratch_load_b128 v[5:8], v183, off
	v_mov_b32_e32 v2, v1
	v_mov_b32_e32 v3, v1
	;; [unrolled: 1-line block ×3, first 2 shown]
	scratch_store_b128 off, v[1:4], off offset:144
	s_waitcnt vmcnt(0)
	ds_store_b128 v192, v[5:8]
.LBB49_295:
	s_or_b32 exec_lo, exec_lo, s2
	s_waitcnt lgkmcnt(0)
	s_waitcnt_vscnt null, 0x0
	s_barrier
	buffer_gl0_inv
	s_clause 0x7
	scratch_load_b128 v[2:5], off, off offset:160
	scratch_load_b128 v[6:9], off, off offset:176
	;; [unrolled: 1-line block ×8, first 2 shown]
	ds_load_b128 v[38:41], v1 offset:960
	ds_load_b128 v[193:196], v1 offset:976
	s_clause 0x1
	scratch_load_b128 v[34:37], off, off offset:288
	scratch_load_b128 v[197:200], off, off offset:304
	s_mov_b32 s2, exec_lo
	s_waitcnt vmcnt(9) lgkmcnt(1)
	v_mul_f64 v[201:202], v[40:41], v[4:5]
	v_mul_f64 v[4:5], v[38:39], v[4:5]
	s_waitcnt vmcnt(8) lgkmcnt(0)
	v_mul_f64 v[203:204], v[193:194], v[8:9]
	v_mul_f64 v[8:9], v[195:196], v[8:9]
	s_delay_alu instid0(VALU_DEP_4) | instskip(NEXT) | instid1(VALU_DEP_4)
	v_fma_f64 v[201:202], v[38:39], v[2:3], -v[201:202]
	v_fma_f64 v[205:206], v[40:41], v[2:3], v[4:5]
	ds_load_b128 v[2:5], v1 offset:992
	scratch_load_b128 v[38:41], off, off offset:320
	v_fma_f64 v[203:204], v[195:196], v[6:7], v[203:204]
	v_fma_f64 v[209:210], v[193:194], v[6:7], -v[8:9]
	scratch_load_b128 v[193:196], off, off offset:336
	ds_load_b128 v[6:9], v1 offset:1008
	s_waitcnt vmcnt(9) lgkmcnt(1)
	v_mul_f64 v[207:208], v[2:3], v[12:13]
	v_mul_f64 v[12:13], v[4:5], v[12:13]
	s_waitcnt vmcnt(8) lgkmcnt(0)
	v_mul_f64 v[211:212], v[6:7], v[16:17]
	v_mul_f64 v[16:17], v[8:9], v[16:17]
	v_add_f64 v[201:202], v[201:202], 0
	v_add_f64 v[205:206], v[205:206], 0
	v_fma_f64 v[207:208], v[4:5], v[10:11], v[207:208]
	v_fma_f64 v[213:214], v[2:3], v[10:11], -v[12:13]
	ds_load_b128 v[2:5], v1 offset:1024
	scratch_load_b128 v[10:13], off, off offset:352
	v_add_f64 v[201:202], v[201:202], v[209:210]
	v_add_f64 v[203:204], v[205:206], v[203:204]
	v_fma_f64 v[209:210], v[8:9], v[14:15], v[211:212]
	v_fma_f64 v[211:212], v[6:7], v[14:15], -v[16:17]
	scratch_load_b128 v[14:17], off, off offset:368
	ds_load_b128 v[6:9], v1 offset:1040
	s_waitcnt vmcnt(9) lgkmcnt(1)
	v_mul_f64 v[205:206], v[2:3], v[20:21]
	v_mul_f64 v[20:21], v[4:5], v[20:21]
	v_add_f64 v[201:202], v[201:202], v[213:214]
	v_add_f64 v[203:204], v[203:204], v[207:208]
	s_waitcnt vmcnt(8) lgkmcnt(0)
	v_mul_f64 v[207:208], v[6:7], v[24:25]
	v_mul_f64 v[24:25], v[8:9], v[24:25]
	v_fma_f64 v[205:206], v[4:5], v[18:19], v[205:206]
	v_fma_f64 v[213:214], v[2:3], v[18:19], -v[20:21]
	ds_load_b128 v[2:5], v1 offset:1056
	scratch_load_b128 v[18:21], off, off offset:384
	v_add_f64 v[201:202], v[201:202], v[211:212]
	v_add_f64 v[203:204], v[203:204], v[209:210]
	v_fma_f64 v[207:208], v[8:9], v[22:23], v[207:208]
	v_fma_f64 v[211:212], v[6:7], v[22:23], -v[24:25]
	scratch_load_b128 v[22:25], off, off offset:400
	ds_load_b128 v[6:9], v1 offset:1072
	s_waitcnt vmcnt(9) lgkmcnt(1)
	v_mul_f64 v[209:210], v[2:3], v[28:29]
	v_mul_f64 v[28:29], v[4:5], v[28:29]
	v_add_f64 v[201:202], v[201:202], v[213:214]
	v_add_f64 v[203:204], v[203:204], v[205:206]
	s_waitcnt vmcnt(8) lgkmcnt(0)
	v_mul_f64 v[205:206], v[6:7], v[32:33]
	v_mul_f64 v[32:33], v[8:9], v[32:33]
	;; [unrolled: 18-line block ×5, first 2 shown]
	v_fma_f64 v[209:210], v[4:5], v[10:11], v[209:210]
	v_fma_f64 v[213:214], v[2:3], v[10:11], -v[12:13]
	scratch_load_b128 v[10:13], off, off offset:512
	ds_load_b128 v[2:5], v1 offset:1184
	v_add_f64 v[201:202], v[201:202], v[211:212]
	v_add_f64 v[203:204], v[203:204], v[207:208]
	v_fma_f64 v[205:206], v[8:9], v[14:15], v[205:206]
	v_fma_f64 v[211:212], v[6:7], v[14:15], -v[16:17]
	ds_load_b128 v[6:9], v1 offset:1200
	s_waitcnt vmcnt(8) lgkmcnt(1)
	v_mul_f64 v[207:208], v[2:3], v[20:21]
	v_mul_f64 v[20:21], v[4:5], v[20:21]
	scratch_load_b128 v[14:17], off, off offset:528
	v_add_f64 v[201:202], v[201:202], v[213:214]
	v_add_f64 v[203:204], v[203:204], v[209:210]
	s_waitcnt vmcnt(8) lgkmcnt(0)
	v_mul_f64 v[209:210], v[6:7], v[24:25]
	v_mul_f64 v[24:25], v[8:9], v[24:25]
	v_fma_f64 v[207:208], v[4:5], v[18:19], v[207:208]
	v_fma_f64 v[213:214], v[2:3], v[18:19], -v[20:21]
	ds_load_b128 v[2:5], v1 offset:1216
	scratch_load_b128 v[18:21], off, off offset:544
	v_add_f64 v[201:202], v[201:202], v[211:212]
	v_add_f64 v[203:204], v[203:204], v[205:206]
	v_fma_f64 v[209:210], v[8:9], v[22:23], v[209:210]
	v_fma_f64 v[211:212], v[6:7], v[22:23], -v[24:25]
	scratch_load_b128 v[22:25], off, off offset:560
	ds_load_b128 v[6:9], v1 offset:1232
	s_waitcnt vmcnt(9) lgkmcnt(1)
	v_mul_f64 v[205:206], v[2:3], v[28:29]
	v_mul_f64 v[28:29], v[4:5], v[28:29]
	v_add_f64 v[201:202], v[201:202], v[213:214]
	v_add_f64 v[203:204], v[203:204], v[207:208]
	s_waitcnt vmcnt(8) lgkmcnt(0)
	v_mul_f64 v[207:208], v[6:7], v[32:33]
	v_mul_f64 v[32:33], v[8:9], v[32:33]
	v_fma_f64 v[205:206], v[4:5], v[26:27], v[205:206]
	v_fma_f64 v[213:214], v[2:3], v[26:27], -v[28:29]
	ds_load_b128 v[2:5], v1 offset:1248
	scratch_load_b128 v[26:29], off, off offset:576
	v_add_f64 v[201:202], v[201:202], v[211:212]
	v_add_f64 v[203:204], v[203:204], v[209:210]
	v_fma_f64 v[207:208], v[8:9], v[30:31], v[207:208]
	v_fma_f64 v[211:212], v[6:7], v[30:31], -v[32:33]
	scratch_load_b128 v[30:33], off, off offset:592
	ds_load_b128 v[6:9], v1 offset:1264
	s_waitcnt vmcnt(9) lgkmcnt(1)
	v_mul_f64 v[209:210], v[2:3], v[36:37]
	v_mul_f64 v[36:37], v[4:5], v[36:37]
	;; [unrolled: 18-line block ×3, first 2 shown]
	v_add_f64 v[201:202], v[201:202], v[213:214]
	v_add_f64 v[203:204], v[203:204], v[209:210]
	s_waitcnt vmcnt(8) lgkmcnt(0)
	v_mul_f64 v[209:210], v[6:7], v[195:196]
	v_mul_f64 v[195:196], v[8:9], v[195:196]
	v_fma_f64 v[207:208], v[4:5], v[38:39], v[207:208]
	v_fma_f64 v[213:214], v[2:3], v[38:39], -v[40:41]
	ds_load_b128 v[2:5], v1 offset:1312
	scratch_load_b128 v[38:41], off, off offset:640
	v_add_f64 v[201:202], v[201:202], v[211:212]
	v_add_f64 v[203:204], v[203:204], v[205:206]
	v_fma_f64 v[209:210], v[8:9], v[193:194], v[209:210]
	v_fma_f64 v[211:212], v[6:7], v[193:194], -v[195:196]
	ds_load_b128 v[6:9], v1 offset:1328
	s_waitcnt vmcnt(8) lgkmcnt(1)
	v_mul_f64 v[205:206], v[2:3], v[12:13]
	v_mul_f64 v[12:13], v[4:5], v[12:13]
	scratch_load_b128 v[193:196], off, off offset:656
	v_add_f64 v[201:202], v[201:202], v[213:214]
	v_add_f64 v[203:204], v[203:204], v[207:208]
	s_waitcnt vmcnt(8) lgkmcnt(0)
	v_mul_f64 v[207:208], v[6:7], v[16:17]
	v_mul_f64 v[16:17], v[8:9], v[16:17]
	v_fma_f64 v[205:206], v[4:5], v[10:11], v[205:206]
	v_fma_f64 v[213:214], v[2:3], v[10:11], -v[12:13]
	scratch_load_b128 v[10:13], off, off offset:672
	ds_load_b128 v[2:5], v1 offset:1344
	v_add_f64 v[201:202], v[201:202], v[211:212]
	v_add_f64 v[203:204], v[203:204], v[209:210]
	v_fma_f64 v[207:208], v[8:9], v[14:15], v[207:208]
	v_fma_f64 v[211:212], v[6:7], v[14:15], -v[16:17]
	ds_load_b128 v[6:9], v1 offset:1360
	s_waitcnt vmcnt(8) lgkmcnt(1)
	v_mul_f64 v[209:210], v[2:3], v[20:21]
	v_mul_f64 v[20:21], v[4:5], v[20:21]
	scratch_load_b128 v[14:17], off, off offset:688
	v_add_f64 v[201:202], v[201:202], v[213:214]
	v_add_f64 v[203:204], v[203:204], v[205:206]
	s_waitcnt vmcnt(8) lgkmcnt(0)
	v_mul_f64 v[205:206], v[6:7], v[24:25]
	v_mul_f64 v[24:25], v[8:9], v[24:25]
	v_fma_f64 v[209:210], v[4:5], v[18:19], v[209:210]
	v_fma_f64 v[213:214], v[2:3], v[18:19], -v[20:21]
	scratch_load_b128 v[18:21], off, off offset:704
	ds_load_b128 v[2:5], v1 offset:1376
	;; [unrolled: 18-line block ×4, first 2 shown]
	v_add_f64 v[201:202], v[201:202], v[211:212]
	v_add_f64 v[203:204], v[203:204], v[209:210]
	v_fma_f64 v[207:208], v[8:9], v[197:198], v[207:208]
	v_fma_f64 v[211:212], v[6:7], v[197:198], -v[199:200]
	ds_load_b128 v[6:9], v1 offset:1456
	s_waitcnt vmcnt(8) lgkmcnt(1)
	v_mul_f64 v[209:210], v[2:3], v[40:41]
	v_mul_f64 v[40:41], v[4:5], v[40:41]
	scratch_load_b128 v[197:200], off, off offset:784
	v_add_f64 v[201:202], v[201:202], v[213:214]
	v_add_f64 v[203:204], v[203:204], v[205:206]
	v_fma_f64 v[209:210], v[4:5], v[38:39], v[209:210]
	v_fma_f64 v[38:39], v[2:3], v[38:39], -v[40:41]
	ds_load_b128 v[2:5], v1 offset:1472
	v_add_f64 v[40:41], v[201:202], v[211:212]
	v_add_f64 v[201:202], v[203:204], v[207:208]
	s_waitcnt vmcnt(7) lgkmcnt(0)
	v_mul_f64 v[203:204], v[2:3], v[12:13]
	v_mul_f64 v[12:13], v[4:5], v[12:13]
	s_delay_alu instid0(VALU_DEP_4) | instskip(NEXT) | instid1(VALU_DEP_4)
	v_add_f64 v[38:39], v[40:41], v[38:39]
	v_add_f64 v[40:41], v[201:202], v[209:210]
	s_delay_alu instid0(VALU_DEP_4) | instskip(NEXT) | instid1(VALU_DEP_4)
	v_fma_f64 v[201:202], v[4:5], v[10:11], v[203:204]
	v_fma_f64 v[203:204], v[2:3], v[10:11], -v[12:13]
	scratch_load_b128 v[10:13], off, off offset:144
	v_mul_f64 v[205:206], v[6:7], v[195:196]
	v_mul_f64 v[195:196], v[8:9], v[195:196]
	ds_load_b128 v[2:5], v1 offset:1504
	v_fma_f64 v[205:206], v[8:9], v[193:194], v[205:206]
	v_fma_f64 v[193:194], v[6:7], v[193:194], -v[195:196]
	ds_load_b128 v[6:9], v1 offset:1488
	s_waitcnt vmcnt(7) lgkmcnt(0)
	v_mul_f64 v[195:196], v[6:7], v[16:17]
	v_mul_f64 v[16:17], v[8:9], v[16:17]
	v_add_f64 v[40:41], v[40:41], v[205:206]
	v_add_f64 v[38:39], v[38:39], v[193:194]
	s_waitcnt vmcnt(6)
	v_mul_f64 v[193:194], v[2:3], v[20:21]
	v_mul_f64 v[20:21], v[4:5], v[20:21]
	v_fma_f64 v[195:196], v[8:9], v[14:15], v[195:196]
	v_fma_f64 v[14:15], v[6:7], v[14:15], -v[16:17]
	ds_load_b128 v[6:9], v1 offset:1520
	v_add_f64 v[16:17], v[38:39], v[203:204]
	v_add_f64 v[38:39], v[40:41], v[201:202]
	v_fma_f64 v[193:194], v[4:5], v[18:19], v[193:194]
	v_fma_f64 v[18:19], v[2:3], v[18:19], -v[20:21]
	ds_load_b128 v[2:5], v1 offset:1536
	s_waitcnt vmcnt(5) lgkmcnt(1)
	v_mul_f64 v[40:41], v[6:7], v[24:25]
	v_mul_f64 v[24:25], v[8:9], v[24:25]
	s_waitcnt vmcnt(4) lgkmcnt(0)
	v_mul_f64 v[20:21], v[2:3], v[28:29]
	v_mul_f64 v[28:29], v[4:5], v[28:29]
	v_add_f64 v[14:15], v[16:17], v[14:15]
	v_add_f64 v[16:17], v[38:39], v[195:196]
	v_fma_f64 v[38:39], v[8:9], v[22:23], v[40:41]
	v_fma_f64 v[22:23], v[6:7], v[22:23], -v[24:25]
	ds_load_b128 v[6:9], v1 offset:1552
	v_fma_f64 v[20:21], v[4:5], v[26:27], v[20:21]
	v_fma_f64 v[26:27], v[2:3], v[26:27], -v[28:29]
	ds_load_b128 v[2:5], v1 offset:1568
	s_waitcnt vmcnt(3) lgkmcnt(1)
	v_mul_f64 v[24:25], v[8:9], v[32:33]
	v_add_f64 v[14:15], v[14:15], v[18:19]
	v_add_f64 v[16:17], v[16:17], v[193:194]
	v_mul_f64 v[18:19], v[6:7], v[32:33]
	s_waitcnt vmcnt(2) lgkmcnt(0)
	v_mul_f64 v[28:29], v[4:5], v[36:37]
	v_fma_f64 v[24:25], v[6:7], v[30:31], -v[24:25]
	v_add_f64 v[14:15], v[14:15], v[22:23]
	v_add_f64 v[16:17], v[16:17], v[38:39]
	v_mul_f64 v[22:23], v[2:3], v[36:37]
	v_fma_f64 v[18:19], v[8:9], v[30:31], v[18:19]
	ds_load_b128 v[6:9], v1 offset:1584
	v_fma_f64 v[1:2], v[2:3], v[34:35], -v[28:29]
	v_add_f64 v[14:15], v[14:15], v[26:27]
	v_add_f64 v[16:17], v[16:17], v[20:21]
	s_waitcnt vmcnt(1) lgkmcnt(0)
	v_mul_f64 v[20:21], v[6:7], v[199:200]
	v_mul_f64 v[26:27], v[8:9], v[199:200]
	v_fma_f64 v[4:5], v[4:5], v[34:35], v[22:23]
	v_add_f64 v[14:15], v[14:15], v[24:25]
	v_add_f64 v[16:17], v[16:17], v[18:19]
	v_fma_f64 v[8:9], v[8:9], v[197:198], v[20:21]
	v_fma_f64 v[6:7], v[6:7], v[197:198], -v[26:27]
	s_delay_alu instid0(VALU_DEP_4) | instskip(NEXT) | instid1(VALU_DEP_4)
	v_add_f64 v[1:2], v[14:15], v[1:2]
	v_add_f64 v[3:4], v[16:17], v[4:5]
	s_delay_alu instid0(VALU_DEP_2) | instskip(NEXT) | instid1(VALU_DEP_2)
	v_add_f64 v[1:2], v[1:2], v[6:7]
	v_add_f64 v[3:4], v[3:4], v[8:9]
	s_waitcnt vmcnt(0)
	s_delay_alu instid0(VALU_DEP_2) | instskip(NEXT) | instid1(VALU_DEP_2)
	v_add_f64 v[1:2], v[10:11], -v[1:2]
	v_add_f64 v[3:4], v[12:13], -v[3:4]
	scratch_store_b128 off, v[1:4], off offset:144
	v_cmpx_lt_u32_e32 8, v142
	s_cbranch_execz .LBB49_297
; %bb.296:
	scratch_load_b128 v[1:4], v184, off
	v_mov_b32_e32 v5, 0
	s_delay_alu instid0(VALU_DEP_1)
	v_mov_b32_e32 v6, v5
	v_mov_b32_e32 v7, v5
	;; [unrolled: 1-line block ×3, first 2 shown]
	scratch_store_b128 off, v[5:8], off offset:128
	s_waitcnt vmcnt(0)
	ds_store_b128 v192, v[1:4]
.LBB49_297:
	s_or_b32 exec_lo, exec_lo, s2
	s_waitcnt lgkmcnt(0)
	s_waitcnt_vscnt null, 0x0
	s_barrier
	buffer_gl0_inv
	s_clause 0x7
	scratch_load_b128 v[2:5], off, off offset:144
	scratch_load_b128 v[6:9], off, off offset:160
	;; [unrolled: 1-line block ×8, first 2 shown]
	v_mov_b32_e32 v1, 0
	s_clause 0x1
	scratch_load_b128 v[34:37], off, off offset:272
	scratch_load_b128 v[197:200], off, off offset:288
	s_mov_b32 s2, exec_lo
	ds_load_b128 v[38:41], v1 offset:944
	ds_load_b128 v[193:196], v1 offset:960
	s_waitcnt vmcnt(9) lgkmcnt(1)
	v_mul_f64 v[201:202], v[40:41], v[4:5]
	v_mul_f64 v[4:5], v[38:39], v[4:5]
	s_waitcnt vmcnt(8) lgkmcnt(0)
	v_mul_f64 v[203:204], v[193:194], v[8:9]
	v_mul_f64 v[8:9], v[195:196], v[8:9]
	s_delay_alu instid0(VALU_DEP_4) | instskip(NEXT) | instid1(VALU_DEP_4)
	v_fma_f64 v[201:202], v[38:39], v[2:3], -v[201:202]
	v_fma_f64 v[205:206], v[40:41], v[2:3], v[4:5]
	ds_load_b128 v[2:5], v1 offset:976
	scratch_load_b128 v[38:41], off, off offset:304
	v_fma_f64 v[203:204], v[195:196], v[6:7], v[203:204]
	v_fma_f64 v[209:210], v[193:194], v[6:7], -v[8:9]
	scratch_load_b128 v[193:196], off, off offset:320
	ds_load_b128 v[6:9], v1 offset:992
	s_waitcnt vmcnt(9) lgkmcnt(1)
	v_mul_f64 v[207:208], v[2:3], v[12:13]
	v_mul_f64 v[12:13], v[4:5], v[12:13]
	s_waitcnt vmcnt(8) lgkmcnt(0)
	v_mul_f64 v[211:212], v[6:7], v[16:17]
	v_mul_f64 v[16:17], v[8:9], v[16:17]
	v_add_f64 v[201:202], v[201:202], 0
	v_add_f64 v[205:206], v[205:206], 0
	v_fma_f64 v[207:208], v[4:5], v[10:11], v[207:208]
	v_fma_f64 v[213:214], v[2:3], v[10:11], -v[12:13]
	ds_load_b128 v[2:5], v1 offset:1008
	scratch_load_b128 v[10:13], off, off offset:336
	v_add_f64 v[201:202], v[201:202], v[209:210]
	v_add_f64 v[203:204], v[205:206], v[203:204]
	v_fma_f64 v[209:210], v[8:9], v[14:15], v[211:212]
	v_fma_f64 v[211:212], v[6:7], v[14:15], -v[16:17]
	scratch_load_b128 v[14:17], off, off offset:352
	ds_load_b128 v[6:9], v1 offset:1024
	s_waitcnt vmcnt(9) lgkmcnt(1)
	v_mul_f64 v[205:206], v[2:3], v[20:21]
	v_mul_f64 v[20:21], v[4:5], v[20:21]
	v_add_f64 v[201:202], v[201:202], v[213:214]
	v_add_f64 v[203:204], v[203:204], v[207:208]
	s_waitcnt vmcnt(8) lgkmcnt(0)
	v_mul_f64 v[207:208], v[6:7], v[24:25]
	v_mul_f64 v[24:25], v[8:9], v[24:25]
	v_fma_f64 v[205:206], v[4:5], v[18:19], v[205:206]
	v_fma_f64 v[213:214], v[2:3], v[18:19], -v[20:21]
	ds_load_b128 v[2:5], v1 offset:1040
	scratch_load_b128 v[18:21], off, off offset:368
	v_add_f64 v[201:202], v[201:202], v[211:212]
	v_add_f64 v[203:204], v[203:204], v[209:210]
	v_fma_f64 v[207:208], v[8:9], v[22:23], v[207:208]
	v_fma_f64 v[211:212], v[6:7], v[22:23], -v[24:25]
	scratch_load_b128 v[22:25], off, off offset:384
	ds_load_b128 v[6:9], v1 offset:1056
	s_waitcnt vmcnt(9) lgkmcnt(1)
	v_mul_f64 v[209:210], v[2:3], v[28:29]
	v_mul_f64 v[28:29], v[4:5], v[28:29]
	v_add_f64 v[201:202], v[201:202], v[213:214]
	v_add_f64 v[203:204], v[203:204], v[205:206]
	s_waitcnt vmcnt(8) lgkmcnt(0)
	v_mul_f64 v[205:206], v[6:7], v[32:33]
	v_mul_f64 v[32:33], v[8:9], v[32:33]
	;; [unrolled: 18-line block ×11, first 2 shown]
	v_fma_f64 v[209:210], v[4:5], v[18:19], v[209:210]
	v_fma_f64 v[213:214], v[2:3], v[18:19], -v[20:21]
	ds_load_b128 v[2:5], v1 offset:1360
	scratch_load_b128 v[18:21], off, off offset:688
	v_add_f64 v[201:202], v[201:202], v[211:212]
	v_add_f64 v[203:204], v[203:204], v[207:208]
	v_fma_f64 v[205:206], v[8:9], v[22:23], v[205:206]
	v_fma_f64 v[211:212], v[6:7], v[22:23], -v[24:25]
	ds_load_b128 v[6:9], v1 offset:1376
	s_waitcnt vmcnt(8) lgkmcnt(1)
	v_mul_f64 v[207:208], v[2:3], v[28:29]
	v_mul_f64 v[28:29], v[4:5], v[28:29]
	scratch_load_b128 v[22:25], off, off offset:704
	v_add_f64 v[201:202], v[201:202], v[213:214]
	v_add_f64 v[203:204], v[203:204], v[209:210]
	s_waitcnt vmcnt(8) lgkmcnt(0)
	v_mul_f64 v[209:210], v[6:7], v[32:33]
	v_mul_f64 v[32:33], v[8:9], v[32:33]
	v_fma_f64 v[207:208], v[4:5], v[26:27], v[207:208]
	v_fma_f64 v[213:214], v[2:3], v[26:27], -v[28:29]
	scratch_load_b128 v[26:29], off, off offset:720
	ds_load_b128 v[2:5], v1 offset:1392
	v_add_f64 v[201:202], v[201:202], v[211:212]
	v_add_f64 v[203:204], v[203:204], v[205:206]
	v_fma_f64 v[209:210], v[8:9], v[30:31], v[209:210]
	v_fma_f64 v[211:212], v[6:7], v[30:31], -v[32:33]
	ds_load_b128 v[6:9], v1 offset:1408
	s_waitcnt vmcnt(8) lgkmcnt(1)
	v_mul_f64 v[205:206], v[2:3], v[36:37]
	v_mul_f64 v[36:37], v[4:5], v[36:37]
	scratch_load_b128 v[30:33], off, off offset:736
	v_add_f64 v[201:202], v[201:202], v[213:214]
	v_add_f64 v[203:204], v[203:204], v[207:208]
	s_waitcnt vmcnt(8) lgkmcnt(0)
	v_mul_f64 v[207:208], v[6:7], v[199:200]
	v_mul_f64 v[199:200], v[8:9], v[199:200]
	v_fma_f64 v[205:206], v[4:5], v[34:35], v[205:206]
	v_fma_f64 v[213:214], v[2:3], v[34:35], -v[36:37]
	scratch_load_b128 v[34:37], off, off offset:752
	ds_load_b128 v[2:5], v1 offset:1424
	;; [unrolled: 18-line block ×3, first 2 shown]
	v_add_f64 v[201:202], v[201:202], v[211:212]
	v_add_f64 v[203:204], v[203:204], v[207:208]
	v_fma_f64 v[205:206], v[8:9], v[193:194], v[205:206]
	v_fma_f64 v[193:194], v[6:7], v[193:194], -v[195:196]
	ds_load_b128 v[6:9], v1 offset:1472
	s_waitcnt vmcnt(8) lgkmcnt(1)
	v_mul_f64 v[207:208], v[2:3], v[12:13]
	v_mul_f64 v[12:13], v[4:5], v[12:13]
	v_add_f64 v[195:196], v[201:202], v[213:214]
	v_add_f64 v[201:202], v[203:204], v[209:210]
	s_waitcnt vmcnt(7) lgkmcnt(0)
	v_mul_f64 v[203:204], v[6:7], v[16:17]
	v_mul_f64 v[16:17], v[8:9], v[16:17]
	v_fma_f64 v[207:208], v[4:5], v[10:11], v[207:208]
	v_fma_f64 v[10:11], v[2:3], v[10:11], -v[12:13]
	ds_load_b128 v[2:5], v1 offset:1488
	v_add_f64 v[12:13], v[195:196], v[193:194]
	v_add_f64 v[193:194], v[201:202], v[205:206]
	v_fma_f64 v[201:202], v[8:9], v[14:15], v[203:204]
	v_fma_f64 v[14:15], v[6:7], v[14:15], -v[16:17]
	ds_load_b128 v[6:9], v1 offset:1504
	s_waitcnt vmcnt(5) lgkmcnt(0)
	v_mul_f64 v[203:204], v[6:7], v[24:25]
	v_mul_f64 v[24:25], v[8:9], v[24:25]
	v_add_f64 v[16:17], v[12:13], v[10:11]
	v_add_f64 v[193:194], v[193:194], v[207:208]
	scratch_load_b128 v[10:13], off, off offset:128
	v_mul_f64 v[195:196], v[2:3], v[20:21]
	v_mul_f64 v[20:21], v[4:5], v[20:21]
	v_add_f64 v[14:15], v[16:17], v[14:15]
	v_add_f64 v[16:17], v[193:194], v[201:202]
	v_fma_f64 v[193:194], v[8:9], v[22:23], v[203:204]
	v_fma_f64 v[195:196], v[4:5], v[18:19], v[195:196]
	v_fma_f64 v[18:19], v[2:3], v[18:19], -v[20:21]
	ds_load_b128 v[2:5], v1 offset:1520
	v_fma_f64 v[22:23], v[6:7], v[22:23], -v[24:25]
	ds_load_b128 v[6:9], v1 offset:1536
	s_waitcnt vmcnt(5) lgkmcnt(1)
	v_mul_f64 v[20:21], v[2:3], v[28:29]
	v_mul_f64 v[28:29], v[4:5], v[28:29]
	s_waitcnt vmcnt(4) lgkmcnt(0)
	v_mul_f64 v[24:25], v[8:9], v[32:33]
	v_add_f64 v[16:17], v[16:17], v[195:196]
	v_add_f64 v[14:15], v[14:15], v[18:19]
	v_mul_f64 v[18:19], v[6:7], v[32:33]
	v_fma_f64 v[20:21], v[4:5], v[26:27], v[20:21]
	v_fma_f64 v[26:27], v[2:3], v[26:27], -v[28:29]
	ds_load_b128 v[2:5], v1 offset:1552
	v_fma_f64 v[24:25], v[6:7], v[30:31], -v[24:25]
	v_add_f64 v[16:17], v[16:17], v[193:194]
	v_add_f64 v[14:15], v[14:15], v[22:23]
	v_fma_f64 v[18:19], v[8:9], v[30:31], v[18:19]
	ds_load_b128 v[6:9], v1 offset:1568
	s_waitcnt vmcnt(3) lgkmcnt(1)
	v_mul_f64 v[22:23], v[2:3], v[36:37]
	v_mul_f64 v[28:29], v[4:5], v[36:37]
	v_add_f64 v[16:17], v[16:17], v[20:21]
	v_add_f64 v[14:15], v[14:15], v[26:27]
	s_waitcnt vmcnt(2) lgkmcnt(0)
	v_mul_f64 v[20:21], v[6:7], v[199:200]
	v_mul_f64 v[26:27], v[8:9], v[199:200]
	v_fma_f64 v[22:23], v[4:5], v[34:35], v[22:23]
	v_fma_f64 v[28:29], v[2:3], v[34:35], -v[28:29]
	ds_load_b128 v[2:5], v1 offset:1584
	v_add_f64 v[16:17], v[16:17], v[18:19]
	v_add_f64 v[14:15], v[14:15], v[24:25]
	s_waitcnt vmcnt(1) lgkmcnt(0)
	v_mul_f64 v[18:19], v[2:3], v[40:41]
	v_mul_f64 v[24:25], v[4:5], v[40:41]
	v_fma_f64 v[8:9], v[8:9], v[197:198], v[20:21]
	v_fma_f64 v[6:7], v[6:7], v[197:198], -v[26:27]
	v_add_f64 v[16:17], v[16:17], v[22:23]
	v_add_f64 v[14:15], v[14:15], v[28:29]
	v_fma_f64 v[4:5], v[4:5], v[38:39], v[18:19]
	v_fma_f64 v[2:3], v[2:3], v[38:39], -v[24:25]
	s_delay_alu instid0(VALU_DEP_4) | instskip(NEXT) | instid1(VALU_DEP_4)
	v_add_f64 v[8:9], v[16:17], v[8:9]
	v_add_f64 v[6:7], v[14:15], v[6:7]
	s_delay_alu instid0(VALU_DEP_2) | instskip(NEXT) | instid1(VALU_DEP_2)
	v_add_f64 v[4:5], v[8:9], v[4:5]
	v_add_f64 v[2:3], v[6:7], v[2:3]
	s_waitcnt vmcnt(0)
	s_delay_alu instid0(VALU_DEP_2) | instskip(NEXT) | instid1(VALU_DEP_2)
	v_add_f64 v[4:5], v[12:13], -v[4:5]
	v_add_f64 v[2:3], v[10:11], -v[2:3]
	scratch_store_b128 off, v[2:5], off offset:128
	v_cmpx_lt_u32_e32 7, v142
	s_cbranch_execz .LBB49_299
; %bb.298:
	scratch_load_b128 v[5:8], v185, off
	v_mov_b32_e32 v2, v1
	v_mov_b32_e32 v3, v1
	;; [unrolled: 1-line block ×3, first 2 shown]
	scratch_store_b128 off, v[1:4], off offset:112
	s_waitcnt vmcnt(0)
	ds_store_b128 v192, v[5:8]
.LBB49_299:
	s_or_b32 exec_lo, exec_lo, s2
	s_waitcnt lgkmcnt(0)
	s_waitcnt_vscnt null, 0x0
	s_barrier
	buffer_gl0_inv
	s_clause 0x7
	scratch_load_b128 v[2:5], off, off offset:128
	scratch_load_b128 v[6:9], off, off offset:144
	;; [unrolled: 1-line block ×8, first 2 shown]
	ds_load_b128 v[38:41], v1 offset:928
	ds_load_b128 v[193:196], v1 offset:944
	s_clause 0x1
	scratch_load_b128 v[34:37], off, off offset:256
	scratch_load_b128 v[197:200], off, off offset:272
	s_mov_b32 s2, exec_lo
	s_waitcnt vmcnt(9) lgkmcnt(1)
	v_mul_f64 v[201:202], v[40:41], v[4:5]
	v_mul_f64 v[4:5], v[38:39], v[4:5]
	s_waitcnt vmcnt(8) lgkmcnt(0)
	v_mul_f64 v[203:204], v[193:194], v[8:9]
	v_mul_f64 v[8:9], v[195:196], v[8:9]
	s_delay_alu instid0(VALU_DEP_4) | instskip(NEXT) | instid1(VALU_DEP_4)
	v_fma_f64 v[201:202], v[38:39], v[2:3], -v[201:202]
	v_fma_f64 v[205:206], v[40:41], v[2:3], v[4:5]
	ds_load_b128 v[2:5], v1 offset:960
	scratch_load_b128 v[38:41], off, off offset:288
	v_fma_f64 v[203:204], v[195:196], v[6:7], v[203:204]
	v_fma_f64 v[209:210], v[193:194], v[6:7], -v[8:9]
	scratch_load_b128 v[193:196], off, off offset:304
	ds_load_b128 v[6:9], v1 offset:976
	s_waitcnt vmcnt(9) lgkmcnt(1)
	v_mul_f64 v[207:208], v[2:3], v[12:13]
	v_mul_f64 v[12:13], v[4:5], v[12:13]
	s_waitcnt vmcnt(8) lgkmcnt(0)
	v_mul_f64 v[211:212], v[6:7], v[16:17]
	v_mul_f64 v[16:17], v[8:9], v[16:17]
	v_add_f64 v[201:202], v[201:202], 0
	v_add_f64 v[205:206], v[205:206], 0
	v_fma_f64 v[207:208], v[4:5], v[10:11], v[207:208]
	v_fma_f64 v[213:214], v[2:3], v[10:11], -v[12:13]
	ds_load_b128 v[2:5], v1 offset:992
	scratch_load_b128 v[10:13], off, off offset:320
	v_add_f64 v[201:202], v[201:202], v[209:210]
	v_add_f64 v[203:204], v[205:206], v[203:204]
	v_fma_f64 v[209:210], v[8:9], v[14:15], v[211:212]
	v_fma_f64 v[211:212], v[6:7], v[14:15], -v[16:17]
	scratch_load_b128 v[14:17], off, off offset:336
	ds_load_b128 v[6:9], v1 offset:1008
	s_waitcnt vmcnt(9) lgkmcnt(1)
	v_mul_f64 v[205:206], v[2:3], v[20:21]
	v_mul_f64 v[20:21], v[4:5], v[20:21]
	v_add_f64 v[201:202], v[201:202], v[213:214]
	v_add_f64 v[203:204], v[203:204], v[207:208]
	s_waitcnt vmcnt(8) lgkmcnt(0)
	v_mul_f64 v[207:208], v[6:7], v[24:25]
	v_mul_f64 v[24:25], v[8:9], v[24:25]
	v_fma_f64 v[205:206], v[4:5], v[18:19], v[205:206]
	v_fma_f64 v[213:214], v[2:3], v[18:19], -v[20:21]
	ds_load_b128 v[2:5], v1 offset:1024
	scratch_load_b128 v[18:21], off, off offset:352
	v_add_f64 v[201:202], v[201:202], v[211:212]
	v_add_f64 v[203:204], v[203:204], v[209:210]
	v_fma_f64 v[207:208], v[8:9], v[22:23], v[207:208]
	v_fma_f64 v[211:212], v[6:7], v[22:23], -v[24:25]
	scratch_load_b128 v[22:25], off, off offset:368
	ds_load_b128 v[6:9], v1 offset:1040
	s_waitcnt vmcnt(9) lgkmcnt(1)
	v_mul_f64 v[209:210], v[2:3], v[28:29]
	v_mul_f64 v[28:29], v[4:5], v[28:29]
	v_add_f64 v[201:202], v[201:202], v[213:214]
	v_add_f64 v[203:204], v[203:204], v[205:206]
	s_waitcnt vmcnt(8) lgkmcnt(0)
	v_mul_f64 v[205:206], v[6:7], v[32:33]
	v_mul_f64 v[32:33], v[8:9], v[32:33]
	;; [unrolled: 18-line block ×11, first 2 shown]
	v_fma_f64 v[209:210], v[4:5], v[18:19], v[209:210]
	v_fma_f64 v[213:214], v[2:3], v[18:19], -v[20:21]
	ds_load_b128 v[2:5], v1 offset:1344
	scratch_load_b128 v[18:21], off, off offset:672
	v_add_f64 v[201:202], v[201:202], v[211:212]
	v_add_f64 v[203:204], v[203:204], v[207:208]
	v_fma_f64 v[205:206], v[8:9], v[22:23], v[205:206]
	v_fma_f64 v[211:212], v[6:7], v[22:23], -v[24:25]
	ds_load_b128 v[6:9], v1 offset:1360
	s_waitcnt vmcnt(8) lgkmcnt(1)
	v_mul_f64 v[207:208], v[2:3], v[28:29]
	v_mul_f64 v[28:29], v[4:5], v[28:29]
	scratch_load_b128 v[22:25], off, off offset:688
	v_add_f64 v[201:202], v[201:202], v[213:214]
	v_add_f64 v[203:204], v[203:204], v[209:210]
	s_waitcnt vmcnt(8) lgkmcnt(0)
	v_mul_f64 v[209:210], v[6:7], v[32:33]
	v_mul_f64 v[32:33], v[8:9], v[32:33]
	v_fma_f64 v[207:208], v[4:5], v[26:27], v[207:208]
	v_fma_f64 v[213:214], v[2:3], v[26:27], -v[28:29]
	ds_load_b128 v[2:5], v1 offset:1376
	scratch_load_b128 v[26:29], off, off offset:704
	v_add_f64 v[201:202], v[201:202], v[211:212]
	v_add_f64 v[203:204], v[203:204], v[205:206]
	v_fma_f64 v[209:210], v[8:9], v[30:31], v[209:210]
	v_fma_f64 v[211:212], v[6:7], v[30:31], -v[32:33]
	ds_load_b128 v[6:9], v1 offset:1392
	s_waitcnt vmcnt(8) lgkmcnt(1)
	v_mul_f64 v[205:206], v[2:3], v[36:37]
	v_mul_f64 v[36:37], v[4:5], v[36:37]
	scratch_load_b128 v[30:33], off, off offset:720
	v_add_f64 v[201:202], v[201:202], v[213:214]
	v_add_f64 v[203:204], v[203:204], v[207:208]
	s_waitcnt vmcnt(8) lgkmcnt(0)
	v_mul_f64 v[207:208], v[6:7], v[199:200]
	v_mul_f64 v[199:200], v[8:9], v[199:200]
	v_fma_f64 v[205:206], v[4:5], v[34:35], v[205:206]
	v_fma_f64 v[213:214], v[2:3], v[34:35], -v[36:37]
	scratch_load_b128 v[34:37], off, off offset:736
	ds_load_b128 v[2:5], v1 offset:1408
	v_add_f64 v[201:202], v[201:202], v[211:212]
	v_add_f64 v[203:204], v[203:204], v[209:210]
	v_fma_f64 v[207:208], v[8:9], v[197:198], v[207:208]
	v_fma_f64 v[211:212], v[6:7], v[197:198], -v[199:200]
	ds_load_b128 v[6:9], v1 offset:1424
	s_waitcnt vmcnt(8) lgkmcnt(1)
	v_mul_f64 v[209:210], v[2:3], v[40:41]
	v_mul_f64 v[40:41], v[4:5], v[40:41]
	scratch_load_b128 v[197:200], off, off offset:752
	v_add_f64 v[201:202], v[201:202], v[213:214]
	v_add_f64 v[203:204], v[203:204], v[205:206]
	s_waitcnt vmcnt(8) lgkmcnt(0)
	v_mul_f64 v[205:206], v[6:7], v[195:196]
	v_mul_f64 v[195:196], v[8:9], v[195:196]
	v_fma_f64 v[209:210], v[4:5], v[38:39], v[209:210]
	v_fma_f64 v[213:214], v[2:3], v[38:39], -v[40:41]
	scratch_load_b128 v[38:41], off, off offset:768
	ds_load_b128 v[2:5], v1 offset:1440
	v_add_f64 v[201:202], v[201:202], v[211:212]
	v_add_f64 v[203:204], v[203:204], v[207:208]
	v_fma_f64 v[205:206], v[8:9], v[193:194], v[205:206]
	v_fma_f64 v[211:212], v[6:7], v[193:194], -v[195:196]
	ds_load_b128 v[6:9], v1 offset:1456
	s_waitcnt vmcnt(8) lgkmcnt(1)
	v_mul_f64 v[207:208], v[2:3], v[12:13]
	v_mul_f64 v[12:13], v[4:5], v[12:13]
	scratch_load_b128 v[193:196], off, off offset:784
	v_add_f64 v[201:202], v[201:202], v[213:214]
	v_add_f64 v[203:204], v[203:204], v[209:210]
	s_waitcnt vmcnt(8) lgkmcnt(0)
	v_mul_f64 v[209:210], v[6:7], v[16:17]
	v_mul_f64 v[16:17], v[8:9], v[16:17]
	v_fma_f64 v[207:208], v[4:5], v[10:11], v[207:208]
	v_fma_f64 v[10:11], v[2:3], v[10:11], -v[12:13]
	ds_load_b128 v[2:5], v1 offset:1472
	v_add_f64 v[12:13], v[201:202], v[211:212]
	v_add_f64 v[201:202], v[203:204], v[205:206]
	v_fma_f64 v[205:206], v[8:9], v[14:15], v[209:210]
	v_fma_f64 v[14:15], v[6:7], v[14:15], -v[16:17]
	ds_load_b128 v[6:9], v1 offset:1488
	s_waitcnt vmcnt(7) lgkmcnt(1)
	v_mul_f64 v[203:204], v[2:3], v[20:21]
	v_mul_f64 v[20:21], v[4:5], v[20:21]
	v_add_f64 v[10:11], v[12:13], v[10:11]
	v_add_f64 v[12:13], v[201:202], v[207:208]
	s_delay_alu instid0(VALU_DEP_4) | instskip(NEXT) | instid1(VALU_DEP_4)
	v_fma_f64 v[201:202], v[4:5], v[18:19], v[203:204]
	v_fma_f64 v[18:19], v[2:3], v[18:19], -v[20:21]
	ds_load_b128 v[2:5], v1 offset:1504
	v_add_f64 v[14:15], v[10:11], v[14:15]
	v_add_f64 v[20:21], v[12:13], v[205:206]
	scratch_load_b128 v[10:13], off, off offset:112
	s_waitcnt vmcnt(7) lgkmcnt(1)
	v_mul_f64 v[16:17], v[6:7], v[24:25]
	v_mul_f64 v[24:25], v[8:9], v[24:25]
	v_add_f64 v[14:15], v[14:15], v[18:19]
	v_add_f64 v[18:19], v[20:21], v[201:202]
	s_delay_alu instid0(VALU_DEP_4) | instskip(NEXT) | instid1(VALU_DEP_4)
	v_fma_f64 v[16:17], v[8:9], v[22:23], v[16:17]
	v_fma_f64 v[22:23], v[6:7], v[22:23], -v[24:25]
	ds_load_b128 v[6:9], v1 offset:1520
	s_waitcnt vmcnt(6) lgkmcnt(1)
	v_mul_f64 v[203:204], v[2:3], v[28:29]
	v_mul_f64 v[28:29], v[4:5], v[28:29]
	s_waitcnt vmcnt(5) lgkmcnt(0)
	v_mul_f64 v[20:21], v[6:7], v[32:33]
	v_mul_f64 v[24:25], v[8:9], v[32:33]
	v_add_f64 v[16:17], v[18:19], v[16:17]
	v_add_f64 v[14:15], v[14:15], v[22:23]
	v_fma_f64 v[32:33], v[4:5], v[26:27], v[203:204]
	v_fma_f64 v[26:27], v[2:3], v[26:27], -v[28:29]
	ds_load_b128 v[2:5], v1 offset:1536
	v_fma_f64 v[20:21], v[8:9], v[30:31], v[20:21]
	v_fma_f64 v[24:25], v[6:7], v[30:31], -v[24:25]
	ds_load_b128 v[6:9], v1 offset:1552
	s_waitcnt vmcnt(4) lgkmcnt(1)
	v_mul_f64 v[18:19], v[2:3], v[36:37]
	v_mul_f64 v[22:23], v[4:5], v[36:37]
	v_add_f64 v[16:17], v[16:17], v[32:33]
	v_add_f64 v[14:15], v[14:15], v[26:27]
	s_waitcnt vmcnt(3) lgkmcnt(0)
	v_mul_f64 v[26:27], v[6:7], v[199:200]
	v_mul_f64 v[28:29], v[8:9], v[199:200]
	v_fma_f64 v[18:19], v[4:5], v[34:35], v[18:19]
	v_fma_f64 v[22:23], v[2:3], v[34:35], -v[22:23]
	ds_load_b128 v[2:5], v1 offset:1568
	v_add_f64 v[16:17], v[16:17], v[20:21]
	v_add_f64 v[14:15], v[14:15], v[24:25]
	v_fma_f64 v[26:27], v[8:9], v[197:198], v[26:27]
	v_fma_f64 v[28:29], v[6:7], v[197:198], -v[28:29]
	ds_load_b128 v[6:9], v1 offset:1584
	s_waitcnt vmcnt(2) lgkmcnt(1)
	v_mul_f64 v[20:21], v[2:3], v[40:41]
	v_mul_f64 v[24:25], v[4:5], v[40:41]
	v_add_f64 v[16:17], v[16:17], v[18:19]
	v_add_f64 v[14:15], v[14:15], v[22:23]
	s_waitcnt vmcnt(1) lgkmcnt(0)
	v_mul_f64 v[18:19], v[6:7], v[195:196]
	v_mul_f64 v[22:23], v[8:9], v[195:196]
	v_fma_f64 v[4:5], v[4:5], v[38:39], v[20:21]
	v_fma_f64 v[1:2], v[2:3], v[38:39], -v[24:25]
	v_add_f64 v[16:17], v[16:17], v[26:27]
	v_add_f64 v[14:15], v[14:15], v[28:29]
	v_fma_f64 v[8:9], v[8:9], v[193:194], v[18:19]
	v_fma_f64 v[6:7], v[6:7], v[193:194], -v[22:23]
	s_delay_alu instid0(VALU_DEP_4) | instskip(NEXT) | instid1(VALU_DEP_4)
	v_add_f64 v[3:4], v[16:17], v[4:5]
	v_add_f64 v[1:2], v[14:15], v[1:2]
	s_delay_alu instid0(VALU_DEP_2) | instskip(NEXT) | instid1(VALU_DEP_2)
	v_add_f64 v[3:4], v[3:4], v[8:9]
	v_add_f64 v[1:2], v[1:2], v[6:7]
	s_waitcnt vmcnt(0)
	s_delay_alu instid0(VALU_DEP_2) | instskip(NEXT) | instid1(VALU_DEP_2)
	v_add_f64 v[3:4], v[12:13], -v[3:4]
	v_add_f64 v[1:2], v[10:11], -v[1:2]
	scratch_store_b128 off, v[1:4], off offset:112
	v_cmpx_lt_u32_e32 6, v142
	s_cbranch_execz .LBB49_301
; %bb.300:
	scratch_load_b128 v[1:4], v186, off
	v_mov_b32_e32 v5, 0
	s_delay_alu instid0(VALU_DEP_1)
	v_mov_b32_e32 v6, v5
	v_mov_b32_e32 v7, v5
	;; [unrolled: 1-line block ×3, first 2 shown]
	scratch_store_b128 off, v[5:8], off offset:96
	s_waitcnt vmcnt(0)
	ds_store_b128 v192, v[1:4]
.LBB49_301:
	s_or_b32 exec_lo, exec_lo, s2
	s_waitcnt lgkmcnt(0)
	s_waitcnt_vscnt null, 0x0
	s_barrier
	buffer_gl0_inv
	s_clause 0x7
	scratch_load_b128 v[2:5], off, off offset:112
	scratch_load_b128 v[6:9], off, off offset:128
	;; [unrolled: 1-line block ×8, first 2 shown]
	v_mov_b32_e32 v1, 0
	s_clause 0x1
	scratch_load_b128 v[34:37], off, off offset:240
	scratch_load_b128 v[197:200], off, off offset:256
	s_mov_b32 s2, exec_lo
	ds_load_b128 v[38:41], v1 offset:912
	ds_load_b128 v[193:196], v1 offset:928
	s_waitcnt vmcnt(9) lgkmcnt(1)
	v_mul_f64 v[201:202], v[40:41], v[4:5]
	v_mul_f64 v[4:5], v[38:39], v[4:5]
	s_waitcnt vmcnt(8) lgkmcnt(0)
	v_mul_f64 v[203:204], v[193:194], v[8:9]
	v_mul_f64 v[8:9], v[195:196], v[8:9]
	s_delay_alu instid0(VALU_DEP_4) | instskip(NEXT) | instid1(VALU_DEP_4)
	v_fma_f64 v[201:202], v[38:39], v[2:3], -v[201:202]
	v_fma_f64 v[205:206], v[40:41], v[2:3], v[4:5]
	ds_load_b128 v[2:5], v1 offset:944
	scratch_load_b128 v[38:41], off, off offset:272
	v_fma_f64 v[203:204], v[195:196], v[6:7], v[203:204]
	v_fma_f64 v[209:210], v[193:194], v[6:7], -v[8:9]
	scratch_load_b128 v[193:196], off, off offset:288
	ds_load_b128 v[6:9], v1 offset:960
	s_waitcnt vmcnt(9) lgkmcnt(1)
	v_mul_f64 v[207:208], v[2:3], v[12:13]
	v_mul_f64 v[12:13], v[4:5], v[12:13]
	s_waitcnt vmcnt(8) lgkmcnt(0)
	v_mul_f64 v[211:212], v[6:7], v[16:17]
	v_mul_f64 v[16:17], v[8:9], v[16:17]
	v_add_f64 v[201:202], v[201:202], 0
	v_add_f64 v[205:206], v[205:206], 0
	v_fma_f64 v[207:208], v[4:5], v[10:11], v[207:208]
	v_fma_f64 v[213:214], v[2:3], v[10:11], -v[12:13]
	ds_load_b128 v[2:5], v1 offset:976
	scratch_load_b128 v[10:13], off, off offset:304
	v_add_f64 v[201:202], v[201:202], v[209:210]
	v_add_f64 v[203:204], v[205:206], v[203:204]
	v_fma_f64 v[209:210], v[8:9], v[14:15], v[211:212]
	v_fma_f64 v[211:212], v[6:7], v[14:15], -v[16:17]
	scratch_load_b128 v[14:17], off, off offset:320
	ds_load_b128 v[6:9], v1 offset:992
	s_waitcnt vmcnt(9) lgkmcnt(1)
	v_mul_f64 v[205:206], v[2:3], v[20:21]
	v_mul_f64 v[20:21], v[4:5], v[20:21]
	v_add_f64 v[201:202], v[201:202], v[213:214]
	v_add_f64 v[203:204], v[203:204], v[207:208]
	s_waitcnt vmcnt(8) lgkmcnt(0)
	v_mul_f64 v[207:208], v[6:7], v[24:25]
	v_mul_f64 v[24:25], v[8:9], v[24:25]
	v_fma_f64 v[205:206], v[4:5], v[18:19], v[205:206]
	v_fma_f64 v[213:214], v[2:3], v[18:19], -v[20:21]
	ds_load_b128 v[2:5], v1 offset:1008
	scratch_load_b128 v[18:21], off, off offset:336
	v_add_f64 v[201:202], v[201:202], v[211:212]
	v_add_f64 v[203:204], v[203:204], v[209:210]
	v_fma_f64 v[207:208], v[8:9], v[22:23], v[207:208]
	v_fma_f64 v[211:212], v[6:7], v[22:23], -v[24:25]
	scratch_load_b128 v[22:25], off, off offset:352
	ds_load_b128 v[6:9], v1 offset:1024
	s_waitcnt vmcnt(9) lgkmcnt(1)
	v_mul_f64 v[209:210], v[2:3], v[28:29]
	v_mul_f64 v[28:29], v[4:5], v[28:29]
	v_add_f64 v[201:202], v[201:202], v[213:214]
	v_add_f64 v[203:204], v[203:204], v[205:206]
	s_waitcnt vmcnt(8) lgkmcnt(0)
	v_mul_f64 v[205:206], v[6:7], v[32:33]
	v_mul_f64 v[32:33], v[8:9], v[32:33]
	;; [unrolled: 18-line block ×12, first 2 shown]
	v_fma_f64 v[207:208], v[4:5], v[26:27], v[207:208]
	v_fma_f64 v[213:214], v[2:3], v[26:27], -v[28:29]
	ds_load_b128 v[2:5], v1 offset:1360
	scratch_load_b128 v[26:29], off, off offset:688
	v_add_f64 v[201:202], v[201:202], v[211:212]
	v_add_f64 v[203:204], v[203:204], v[205:206]
	v_fma_f64 v[209:210], v[8:9], v[30:31], v[209:210]
	v_fma_f64 v[211:212], v[6:7], v[30:31], -v[32:33]
	ds_load_b128 v[6:9], v1 offset:1376
	s_waitcnt vmcnt(8) lgkmcnt(1)
	v_mul_f64 v[205:206], v[2:3], v[36:37]
	v_mul_f64 v[36:37], v[4:5], v[36:37]
	scratch_load_b128 v[30:33], off, off offset:704
	v_add_f64 v[201:202], v[201:202], v[213:214]
	v_add_f64 v[203:204], v[203:204], v[207:208]
	s_waitcnt vmcnt(8) lgkmcnt(0)
	v_mul_f64 v[207:208], v[6:7], v[199:200]
	v_mul_f64 v[199:200], v[8:9], v[199:200]
	v_fma_f64 v[205:206], v[4:5], v[34:35], v[205:206]
	v_fma_f64 v[213:214], v[2:3], v[34:35], -v[36:37]
	scratch_load_b128 v[34:37], off, off offset:720
	ds_load_b128 v[2:5], v1 offset:1392
	v_add_f64 v[201:202], v[201:202], v[211:212]
	v_add_f64 v[203:204], v[203:204], v[209:210]
	v_fma_f64 v[207:208], v[8:9], v[197:198], v[207:208]
	v_fma_f64 v[211:212], v[6:7], v[197:198], -v[199:200]
	ds_load_b128 v[6:9], v1 offset:1408
	s_waitcnt vmcnt(8) lgkmcnt(1)
	v_mul_f64 v[209:210], v[2:3], v[40:41]
	v_mul_f64 v[40:41], v[4:5], v[40:41]
	scratch_load_b128 v[197:200], off, off offset:736
	v_add_f64 v[201:202], v[201:202], v[213:214]
	v_add_f64 v[203:204], v[203:204], v[205:206]
	s_waitcnt vmcnt(8) lgkmcnt(0)
	v_mul_f64 v[205:206], v[6:7], v[195:196]
	v_mul_f64 v[195:196], v[8:9], v[195:196]
	v_fma_f64 v[209:210], v[4:5], v[38:39], v[209:210]
	v_fma_f64 v[213:214], v[2:3], v[38:39], -v[40:41]
	scratch_load_b128 v[38:41], off, off offset:752
	ds_load_b128 v[2:5], v1 offset:1424
	;; [unrolled: 18-line block ×3, first 2 shown]
	v_add_f64 v[201:202], v[201:202], v[211:212]
	v_add_f64 v[203:204], v[203:204], v[205:206]
	v_fma_f64 v[209:210], v[8:9], v[14:15], v[209:210]
	v_fma_f64 v[14:15], v[6:7], v[14:15], -v[16:17]
	ds_load_b128 v[6:9], v1 offset:1472
	s_waitcnt vmcnt(8) lgkmcnt(1)
	v_mul_f64 v[205:206], v[2:3], v[20:21]
	v_mul_f64 v[20:21], v[4:5], v[20:21]
	v_add_f64 v[16:17], v[201:202], v[213:214]
	v_add_f64 v[201:202], v[203:204], v[207:208]
	s_waitcnt vmcnt(7) lgkmcnt(0)
	v_mul_f64 v[203:204], v[6:7], v[24:25]
	v_mul_f64 v[24:25], v[8:9], v[24:25]
	v_fma_f64 v[205:206], v[4:5], v[18:19], v[205:206]
	v_fma_f64 v[18:19], v[2:3], v[18:19], -v[20:21]
	ds_load_b128 v[2:5], v1 offset:1488
	v_add_f64 v[14:15], v[16:17], v[14:15]
	v_add_f64 v[16:17], v[201:202], v[209:210]
	v_fma_f64 v[201:202], v[8:9], v[22:23], v[203:204]
	v_fma_f64 v[22:23], v[6:7], v[22:23], -v[24:25]
	ds_load_b128 v[6:9], v1 offset:1504
	s_waitcnt vmcnt(5) lgkmcnt(0)
	v_mul_f64 v[203:204], v[6:7], v[32:33]
	v_mul_f64 v[32:33], v[8:9], v[32:33]
	v_add_f64 v[18:19], v[14:15], v[18:19]
	v_add_f64 v[24:25], v[16:17], v[205:206]
	scratch_load_b128 v[14:17], off, off offset:96
	v_mul_f64 v[20:21], v[2:3], v[28:29]
	v_mul_f64 v[28:29], v[4:5], v[28:29]
	v_add_f64 v[18:19], v[18:19], v[22:23]
	v_add_f64 v[22:23], v[24:25], v[201:202]
	s_delay_alu instid0(VALU_DEP_4) | instskip(NEXT) | instid1(VALU_DEP_4)
	v_fma_f64 v[20:21], v[4:5], v[26:27], v[20:21]
	v_fma_f64 v[26:27], v[2:3], v[26:27], -v[28:29]
	ds_load_b128 v[2:5], v1 offset:1520
	s_waitcnt vmcnt(5) lgkmcnt(0)
	v_mul_f64 v[24:25], v[2:3], v[36:37]
	v_mul_f64 v[28:29], v[4:5], v[36:37]
	v_fma_f64 v[36:37], v[8:9], v[30:31], v[203:204]
	v_fma_f64 v[30:31], v[6:7], v[30:31], -v[32:33]
	ds_load_b128 v[6:9], v1 offset:1536
	v_add_f64 v[20:21], v[22:23], v[20:21]
	v_add_f64 v[18:19], v[18:19], v[26:27]
	v_fma_f64 v[24:25], v[4:5], v[34:35], v[24:25]
	v_fma_f64 v[28:29], v[2:3], v[34:35], -v[28:29]
	ds_load_b128 v[2:5], v1 offset:1552
	s_waitcnt vmcnt(4) lgkmcnt(1)
	v_mul_f64 v[22:23], v[6:7], v[199:200]
	v_mul_f64 v[26:27], v[8:9], v[199:200]
	v_add_f64 v[20:21], v[20:21], v[36:37]
	v_add_f64 v[18:19], v[18:19], v[30:31]
	s_waitcnt vmcnt(3) lgkmcnt(0)
	v_mul_f64 v[30:31], v[2:3], v[40:41]
	v_mul_f64 v[32:33], v[4:5], v[40:41]
	v_fma_f64 v[22:23], v[8:9], v[197:198], v[22:23]
	v_fma_f64 v[26:27], v[6:7], v[197:198], -v[26:27]
	ds_load_b128 v[6:9], v1 offset:1568
	v_add_f64 v[20:21], v[20:21], v[24:25]
	v_add_f64 v[18:19], v[18:19], v[28:29]
	v_fma_f64 v[30:31], v[4:5], v[38:39], v[30:31]
	v_fma_f64 v[32:33], v[2:3], v[38:39], -v[32:33]
	ds_load_b128 v[2:5], v1 offset:1584
	s_waitcnt vmcnt(2) lgkmcnt(1)
	v_mul_f64 v[24:25], v[6:7], v[195:196]
	v_mul_f64 v[28:29], v[8:9], v[195:196]
	v_add_f64 v[20:21], v[20:21], v[22:23]
	v_add_f64 v[18:19], v[18:19], v[26:27]
	s_waitcnt vmcnt(1) lgkmcnt(0)
	v_mul_f64 v[22:23], v[2:3], v[12:13]
	v_mul_f64 v[12:13], v[4:5], v[12:13]
	v_fma_f64 v[8:9], v[8:9], v[193:194], v[24:25]
	v_fma_f64 v[6:7], v[6:7], v[193:194], -v[28:29]
	v_add_f64 v[20:21], v[20:21], v[30:31]
	v_add_f64 v[18:19], v[18:19], v[32:33]
	v_fma_f64 v[4:5], v[4:5], v[10:11], v[22:23]
	v_fma_f64 v[2:3], v[2:3], v[10:11], -v[12:13]
	s_delay_alu instid0(VALU_DEP_4) | instskip(NEXT) | instid1(VALU_DEP_4)
	v_add_f64 v[8:9], v[20:21], v[8:9]
	v_add_f64 v[6:7], v[18:19], v[6:7]
	s_delay_alu instid0(VALU_DEP_2) | instskip(NEXT) | instid1(VALU_DEP_2)
	v_add_f64 v[4:5], v[8:9], v[4:5]
	v_add_f64 v[2:3], v[6:7], v[2:3]
	s_waitcnt vmcnt(0)
	s_delay_alu instid0(VALU_DEP_2) | instskip(NEXT) | instid1(VALU_DEP_2)
	v_add_f64 v[4:5], v[16:17], -v[4:5]
	v_add_f64 v[2:3], v[14:15], -v[2:3]
	scratch_store_b128 off, v[2:5], off offset:96
	v_cmpx_lt_u32_e32 5, v142
	s_cbranch_execz .LBB49_303
; %bb.302:
	scratch_load_b128 v[5:8], v187, off
	v_mov_b32_e32 v2, v1
	v_mov_b32_e32 v3, v1
	;; [unrolled: 1-line block ×3, first 2 shown]
	scratch_store_b128 off, v[1:4], off offset:80
	s_waitcnt vmcnt(0)
	ds_store_b128 v192, v[5:8]
.LBB49_303:
	s_or_b32 exec_lo, exec_lo, s2
	s_waitcnt lgkmcnt(0)
	s_waitcnt_vscnt null, 0x0
	s_barrier
	buffer_gl0_inv
	s_clause 0x7
	scratch_load_b128 v[2:5], off, off offset:96
	scratch_load_b128 v[6:9], off, off offset:112
	;; [unrolled: 1-line block ×8, first 2 shown]
	ds_load_b128 v[38:41], v1 offset:896
	ds_load_b128 v[193:196], v1 offset:912
	s_clause 0x1
	scratch_load_b128 v[34:37], off, off offset:224
	scratch_load_b128 v[197:200], off, off offset:240
	s_mov_b32 s2, exec_lo
	s_waitcnt vmcnt(9) lgkmcnt(1)
	v_mul_f64 v[201:202], v[40:41], v[4:5]
	v_mul_f64 v[4:5], v[38:39], v[4:5]
	s_waitcnt vmcnt(8) lgkmcnt(0)
	v_mul_f64 v[203:204], v[193:194], v[8:9]
	v_mul_f64 v[8:9], v[195:196], v[8:9]
	s_delay_alu instid0(VALU_DEP_4) | instskip(NEXT) | instid1(VALU_DEP_4)
	v_fma_f64 v[201:202], v[38:39], v[2:3], -v[201:202]
	v_fma_f64 v[205:206], v[40:41], v[2:3], v[4:5]
	ds_load_b128 v[2:5], v1 offset:928
	scratch_load_b128 v[38:41], off, off offset:256
	v_fma_f64 v[203:204], v[195:196], v[6:7], v[203:204]
	v_fma_f64 v[209:210], v[193:194], v[6:7], -v[8:9]
	scratch_load_b128 v[193:196], off, off offset:272
	ds_load_b128 v[6:9], v1 offset:944
	s_waitcnt vmcnt(9) lgkmcnt(1)
	v_mul_f64 v[207:208], v[2:3], v[12:13]
	v_mul_f64 v[12:13], v[4:5], v[12:13]
	s_waitcnt vmcnt(8) lgkmcnt(0)
	v_mul_f64 v[211:212], v[6:7], v[16:17]
	v_mul_f64 v[16:17], v[8:9], v[16:17]
	v_add_f64 v[201:202], v[201:202], 0
	v_add_f64 v[205:206], v[205:206], 0
	v_fma_f64 v[207:208], v[4:5], v[10:11], v[207:208]
	v_fma_f64 v[213:214], v[2:3], v[10:11], -v[12:13]
	ds_load_b128 v[2:5], v1 offset:960
	scratch_load_b128 v[10:13], off, off offset:288
	v_add_f64 v[201:202], v[201:202], v[209:210]
	v_add_f64 v[203:204], v[205:206], v[203:204]
	v_fma_f64 v[209:210], v[8:9], v[14:15], v[211:212]
	v_fma_f64 v[211:212], v[6:7], v[14:15], -v[16:17]
	scratch_load_b128 v[14:17], off, off offset:304
	ds_load_b128 v[6:9], v1 offset:976
	s_waitcnt vmcnt(9) lgkmcnt(1)
	v_mul_f64 v[205:206], v[2:3], v[20:21]
	v_mul_f64 v[20:21], v[4:5], v[20:21]
	v_add_f64 v[201:202], v[201:202], v[213:214]
	v_add_f64 v[203:204], v[203:204], v[207:208]
	s_waitcnt vmcnt(8) lgkmcnt(0)
	v_mul_f64 v[207:208], v[6:7], v[24:25]
	v_mul_f64 v[24:25], v[8:9], v[24:25]
	v_fma_f64 v[205:206], v[4:5], v[18:19], v[205:206]
	v_fma_f64 v[213:214], v[2:3], v[18:19], -v[20:21]
	ds_load_b128 v[2:5], v1 offset:992
	scratch_load_b128 v[18:21], off, off offset:320
	v_add_f64 v[201:202], v[201:202], v[211:212]
	v_add_f64 v[203:204], v[203:204], v[209:210]
	v_fma_f64 v[207:208], v[8:9], v[22:23], v[207:208]
	v_fma_f64 v[211:212], v[6:7], v[22:23], -v[24:25]
	scratch_load_b128 v[22:25], off, off offset:336
	ds_load_b128 v[6:9], v1 offset:1008
	s_waitcnt vmcnt(9) lgkmcnt(1)
	v_mul_f64 v[209:210], v[2:3], v[28:29]
	v_mul_f64 v[28:29], v[4:5], v[28:29]
	v_add_f64 v[201:202], v[201:202], v[213:214]
	v_add_f64 v[203:204], v[203:204], v[205:206]
	s_waitcnt vmcnt(8) lgkmcnt(0)
	v_mul_f64 v[205:206], v[6:7], v[32:33]
	v_mul_f64 v[32:33], v[8:9], v[32:33]
	v_fma_f64 v[209:210], v[4:5], v[26:27], v[209:210]
	v_fma_f64 v[213:214], v[2:3], v[26:27], -v[28:29]
	ds_load_b128 v[2:5], v1 offset:1024
	scratch_load_b128 v[26:29], off, off offset:352
	v_add_f64 v[201:202], v[201:202], v[211:212]
	v_add_f64 v[203:204], v[203:204], v[207:208]
	v_fma_f64 v[205:206], v[8:9], v[30:31], v[205:206]
	v_fma_f64 v[211:212], v[6:7], v[30:31], -v[32:33]
	scratch_load_b128 v[30:33], off, off offset:368
	ds_load_b128 v[6:9], v1 offset:1040
	s_waitcnt vmcnt(9) lgkmcnt(1)
	v_mul_f64 v[207:208], v[2:3], v[36:37]
	v_mul_f64 v[36:37], v[4:5], v[36:37]
	v_add_f64 v[201:202], v[201:202], v[213:214]
	v_add_f64 v[203:204], v[203:204], v[209:210]
	s_waitcnt vmcnt(8) lgkmcnt(0)
	v_mul_f64 v[209:210], v[6:7], v[199:200]
	v_mul_f64 v[199:200], v[8:9], v[199:200]
	v_fma_f64 v[207:208], v[4:5], v[34:35], v[207:208]
	v_fma_f64 v[213:214], v[2:3], v[34:35], -v[36:37]
	ds_load_b128 v[2:5], v1 offset:1056
	scratch_load_b128 v[34:37], off, off offset:384
	v_add_f64 v[201:202], v[201:202], v[211:212]
	v_add_f64 v[203:204], v[203:204], v[205:206]
	v_fma_f64 v[209:210], v[8:9], v[197:198], v[209:210]
	v_fma_f64 v[211:212], v[6:7], v[197:198], -v[199:200]
	scratch_load_b128 v[197:200], off, off offset:400
	ds_load_b128 v[6:9], v1 offset:1072
	s_waitcnt vmcnt(9) lgkmcnt(1)
	v_mul_f64 v[205:206], v[2:3], v[40:41]
	v_mul_f64 v[40:41], v[4:5], v[40:41]
	v_add_f64 v[201:202], v[201:202], v[213:214]
	v_add_f64 v[203:204], v[203:204], v[207:208]
	s_waitcnt vmcnt(8) lgkmcnt(0)
	v_mul_f64 v[207:208], v[6:7], v[195:196]
	v_mul_f64 v[195:196], v[8:9], v[195:196]
	v_fma_f64 v[205:206], v[4:5], v[38:39], v[205:206]
	v_fma_f64 v[213:214], v[2:3], v[38:39], -v[40:41]
	ds_load_b128 v[2:5], v1 offset:1088
	scratch_load_b128 v[38:41], off, off offset:416
	v_add_f64 v[201:202], v[201:202], v[211:212]
	v_add_f64 v[203:204], v[203:204], v[209:210]
	v_fma_f64 v[207:208], v[8:9], v[193:194], v[207:208]
	v_fma_f64 v[211:212], v[6:7], v[193:194], -v[195:196]
	scratch_load_b128 v[193:196], off, off offset:432
	ds_load_b128 v[6:9], v1 offset:1104
	s_waitcnt vmcnt(9) lgkmcnt(1)
	v_mul_f64 v[209:210], v[2:3], v[12:13]
	v_mul_f64 v[12:13], v[4:5], v[12:13]
	v_add_f64 v[201:202], v[201:202], v[213:214]
	v_add_f64 v[203:204], v[203:204], v[205:206]
	s_waitcnt vmcnt(8) lgkmcnt(0)
	v_mul_f64 v[205:206], v[6:7], v[16:17]
	v_mul_f64 v[16:17], v[8:9], v[16:17]
	v_fma_f64 v[209:210], v[4:5], v[10:11], v[209:210]
	v_fma_f64 v[213:214], v[2:3], v[10:11], -v[12:13]
	ds_load_b128 v[2:5], v1 offset:1120
	scratch_load_b128 v[10:13], off, off offset:448
	v_add_f64 v[201:202], v[201:202], v[211:212]
	v_add_f64 v[203:204], v[203:204], v[207:208]
	v_fma_f64 v[205:206], v[8:9], v[14:15], v[205:206]
	v_fma_f64 v[211:212], v[6:7], v[14:15], -v[16:17]
	scratch_load_b128 v[14:17], off, off offset:464
	ds_load_b128 v[6:9], v1 offset:1136
	s_waitcnt vmcnt(9) lgkmcnt(1)
	v_mul_f64 v[207:208], v[2:3], v[20:21]
	v_mul_f64 v[20:21], v[4:5], v[20:21]
	v_add_f64 v[201:202], v[201:202], v[213:214]
	v_add_f64 v[203:204], v[203:204], v[209:210]
	s_waitcnt vmcnt(8) lgkmcnt(0)
	v_mul_f64 v[209:210], v[6:7], v[24:25]
	v_mul_f64 v[24:25], v[8:9], v[24:25]
	v_fma_f64 v[207:208], v[4:5], v[18:19], v[207:208]
	v_fma_f64 v[213:214], v[2:3], v[18:19], -v[20:21]
	ds_load_b128 v[2:5], v1 offset:1152
	scratch_load_b128 v[18:21], off, off offset:480
	v_add_f64 v[201:202], v[201:202], v[211:212]
	v_add_f64 v[203:204], v[203:204], v[205:206]
	v_fma_f64 v[209:210], v[8:9], v[22:23], v[209:210]
	v_fma_f64 v[211:212], v[6:7], v[22:23], -v[24:25]
	scratch_load_b128 v[22:25], off, off offset:496
	ds_load_b128 v[6:9], v1 offset:1168
	s_waitcnt vmcnt(9) lgkmcnt(1)
	v_mul_f64 v[205:206], v[2:3], v[28:29]
	v_mul_f64 v[28:29], v[4:5], v[28:29]
	v_add_f64 v[201:202], v[201:202], v[213:214]
	v_add_f64 v[203:204], v[203:204], v[207:208]
	s_waitcnt vmcnt(8) lgkmcnt(0)
	v_mul_f64 v[207:208], v[6:7], v[32:33]
	v_mul_f64 v[32:33], v[8:9], v[32:33]
	v_fma_f64 v[205:206], v[4:5], v[26:27], v[205:206]
	v_fma_f64 v[213:214], v[2:3], v[26:27], -v[28:29]
	ds_load_b128 v[2:5], v1 offset:1184
	scratch_load_b128 v[26:29], off, off offset:512
	v_add_f64 v[201:202], v[201:202], v[211:212]
	v_add_f64 v[203:204], v[203:204], v[209:210]
	v_fma_f64 v[207:208], v[8:9], v[30:31], v[207:208]
	v_fma_f64 v[211:212], v[6:7], v[30:31], -v[32:33]
	scratch_load_b128 v[30:33], off, off offset:528
	ds_load_b128 v[6:9], v1 offset:1200
	s_waitcnt vmcnt(9) lgkmcnt(1)
	v_mul_f64 v[209:210], v[2:3], v[36:37]
	v_mul_f64 v[36:37], v[4:5], v[36:37]
	v_add_f64 v[201:202], v[201:202], v[213:214]
	v_add_f64 v[203:204], v[203:204], v[205:206]
	s_waitcnt vmcnt(8) lgkmcnt(0)
	v_mul_f64 v[205:206], v[6:7], v[199:200]
	v_mul_f64 v[199:200], v[8:9], v[199:200]
	v_fma_f64 v[209:210], v[4:5], v[34:35], v[209:210]
	v_fma_f64 v[213:214], v[2:3], v[34:35], -v[36:37]
	ds_load_b128 v[2:5], v1 offset:1216
	scratch_load_b128 v[34:37], off, off offset:544
	v_add_f64 v[201:202], v[201:202], v[211:212]
	v_add_f64 v[203:204], v[203:204], v[207:208]
	v_fma_f64 v[205:206], v[8:9], v[197:198], v[205:206]
	v_fma_f64 v[211:212], v[6:7], v[197:198], -v[199:200]
	scratch_load_b128 v[197:200], off, off offset:560
	ds_load_b128 v[6:9], v1 offset:1232
	s_waitcnt vmcnt(9) lgkmcnt(1)
	v_mul_f64 v[207:208], v[2:3], v[40:41]
	v_mul_f64 v[40:41], v[4:5], v[40:41]
	v_add_f64 v[201:202], v[201:202], v[213:214]
	v_add_f64 v[203:204], v[203:204], v[209:210]
	s_waitcnt vmcnt(8) lgkmcnt(0)
	v_mul_f64 v[209:210], v[6:7], v[195:196]
	v_mul_f64 v[195:196], v[8:9], v[195:196]
	v_fma_f64 v[207:208], v[4:5], v[38:39], v[207:208]
	v_fma_f64 v[213:214], v[2:3], v[38:39], -v[40:41]
	ds_load_b128 v[2:5], v1 offset:1248
	scratch_load_b128 v[38:41], off, off offset:576
	v_add_f64 v[201:202], v[201:202], v[211:212]
	v_add_f64 v[203:204], v[203:204], v[205:206]
	v_fma_f64 v[209:210], v[8:9], v[193:194], v[209:210]
	v_fma_f64 v[211:212], v[6:7], v[193:194], -v[195:196]
	scratch_load_b128 v[193:196], off, off offset:592
	ds_load_b128 v[6:9], v1 offset:1264
	s_waitcnt vmcnt(9) lgkmcnt(1)
	v_mul_f64 v[205:206], v[2:3], v[12:13]
	v_mul_f64 v[12:13], v[4:5], v[12:13]
	v_add_f64 v[201:202], v[201:202], v[213:214]
	v_add_f64 v[203:204], v[203:204], v[207:208]
	s_waitcnt vmcnt(8) lgkmcnt(0)
	v_mul_f64 v[207:208], v[6:7], v[16:17]
	v_mul_f64 v[16:17], v[8:9], v[16:17]
	v_fma_f64 v[205:206], v[4:5], v[10:11], v[205:206]
	v_fma_f64 v[213:214], v[2:3], v[10:11], -v[12:13]
	ds_load_b128 v[2:5], v1 offset:1280
	scratch_load_b128 v[10:13], off, off offset:608
	v_add_f64 v[201:202], v[201:202], v[211:212]
	v_add_f64 v[203:204], v[203:204], v[209:210]
	v_fma_f64 v[207:208], v[8:9], v[14:15], v[207:208]
	v_fma_f64 v[211:212], v[6:7], v[14:15], -v[16:17]
	scratch_load_b128 v[14:17], off, off offset:624
	ds_load_b128 v[6:9], v1 offset:1296
	s_waitcnt vmcnt(9) lgkmcnt(1)
	v_mul_f64 v[209:210], v[2:3], v[20:21]
	v_mul_f64 v[20:21], v[4:5], v[20:21]
	v_add_f64 v[201:202], v[201:202], v[213:214]
	v_add_f64 v[203:204], v[203:204], v[205:206]
	s_waitcnt vmcnt(8) lgkmcnt(0)
	v_mul_f64 v[205:206], v[6:7], v[24:25]
	v_mul_f64 v[24:25], v[8:9], v[24:25]
	v_fma_f64 v[209:210], v[4:5], v[18:19], v[209:210]
	v_fma_f64 v[213:214], v[2:3], v[18:19], -v[20:21]
	ds_load_b128 v[2:5], v1 offset:1312
	scratch_load_b128 v[18:21], off, off offset:640
	v_add_f64 v[201:202], v[201:202], v[211:212]
	v_add_f64 v[203:204], v[203:204], v[207:208]
	v_fma_f64 v[205:206], v[8:9], v[22:23], v[205:206]
	v_fma_f64 v[211:212], v[6:7], v[22:23], -v[24:25]
	scratch_load_b128 v[22:25], off, off offset:656
	ds_load_b128 v[6:9], v1 offset:1328
	s_waitcnt vmcnt(9) lgkmcnt(1)
	v_mul_f64 v[207:208], v[2:3], v[28:29]
	v_mul_f64 v[28:29], v[4:5], v[28:29]
	v_add_f64 v[201:202], v[201:202], v[213:214]
	v_add_f64 v[203:204], v[203:204], v[209:210]
	s_waitcnt vmcnt(8) lgkmcnt(0)
	v_mul_f64 v[209:210], v[6:7], v[32:33]
	v_mul_f64 v[32:33], v[8:9], v[32:33]
	v_fma_f64 v[207:208], v[4:5], v[26:27], v[207:208]
	v_fma_f64 v[213:214], v[2:3], v[26:27], -v[28:29]
	ds_load_b128 v[2:5], v1 offset:1344
	scratch_load_b128 v[26:29], off, off offset:672
	v_add_f64 v[201:202], v[201:202], v[211:212]
	v_add_f64 v[203:204], v[203:204], v[205:206]
	v_fma_f64 v[209:210], v[8:9], v[30:31], v[209:210]
	v_fma_f64 v[211:212], v[6:7], v[30:31], -v[32:33]
	ds_load_b128 v[6:9], v1 offset:1360
	s_waitcnt vmcnt(8) lgkmcnt(1)
	v_mul_f64 v[205:206], v[2:3], v[36:37]
	v_mul_f64 v[36:37], v[4:5], v[36:37]
	scratch_load_b128 v[30:33], off, off offset:688
	v_add_f64 v[201:202], v[201:202], v[213:214]
	v_add_f64 v[203:204], v[203:204], v[207:208]
	s_waitcnt vmcnt(8) lgkmcnt(0)
	v_mul_f64 v[207:208], v[6:7], v[199:200]
	v_mul_f64 v[199:200], v[8:9], v[199:200]
	v_fma_f64 v[205:206], v[4:5], v[34:35], v[205:206]
	v_fma_f64 v[213:214], v[2:3], v[34:35], -v[36:37]
	ds_load_b128 v[2:5], v1 offset:1376
	scratch_load_b128 v[34:37], off, off offset:704
	v_add_f64 v[201:202], v[201:202], v[211:212]
	v_add_f64 v[203:204], v[203:204], v[209:210]
	v_fma_f64 v[207:208], v[8:9], v[197:198], v[207:208]
	v_fma_f64 v[211:212], v[6:7], v[197:198], -v[199:200]
	ds_load_b128 v[6:9], v1 offset:1392
	s_waitcnt vmcnt(8) lgkmcnt(1)
	v_mul_f64 v[209:210], v[2:3], v[40:41]
	v_mul_f64 v[40:41], v[4:5], v[40:41]
	scratch_load_b128 v[197:200], off, off offset:720
	v_add_f64 v[201:202], v[201:202], v[213:214]
	v_add_f64 v[203:204], v[203:204], v[205:206]
	s_waitcnt vmcnt(8) lgkmcnt(0)
	v_mul_f64 v[205:206], v[6:7], v[195:196]
	v_mul_f64 v[195:196], v[8:9], v[195:196]
	v_fma_f64 v[209:210], v[4:5], v[38:39], v[209:210]
	v_fma_f64 v[213:214], v[2:3], v[38:39], -v[40:41]
	scratch_load_b128 v[38:41], off, off offset:736
	ds_load_b128 v[2:5], v1 offset:1408
	v_add_f64 v[201:202], v[201:202], v[211:212]
	v_add_f64 v[203:204], v[203:204], v[207:208]
	v_fma_f64 v[205:206], v[8:9], v[193:194], v[205:206]
	v_fma_f64 v[211:212], v[6:7], v[193:194], -v[195:196]
	ds_load_b128 v[6:9], v1 offset:1424
	s_waitcnt vmcnt(8) lgkmcnt(1)
	v_mul_f64 v[207:208], v[2:3], v[12:13]
	v_mul_f64 v[12:13], v[4:5], v[12:13]
	scratch_load_b128 v[193:196], off, off offset:752
	v_add_f64 v[201:202], v[201:202], v[213:214]
	v_add_f64 v[203:204], v[203:204], v[209:210]
	s_waitcnt vmcnt(8) lgkmcnt(0)
	v_mul_f64 v[209:210], v[6:7], v[16:17]
	v_mul_f64 v[16:17], v[8:9], v[16:17]
	v_fma_f64 v[207:208], v[4:5], v[10:11], v[207:208]
	v_fma_f64 v[213:214], v[2:3], v[10:11], -v[12:13]
	scratch_load_b128 v[10:13], off, off offset:768
	ds_load_b128 v[2:5], v1 offset:1440
	v_add_f64 v[201:202], v[201:202], v[211:212]
	v_add_f64 v[203:204], v[203:204], v[205:206]
	v_fma_f64 v[209:210], v[8:9], v[14:15], v[209:210]
	v_fma_f64 v[211:212], v[6:7], v[14:15], -v[16:17]
	ds_load_b128 v[6:9], v1 offset:1456
	s_waitcnt vmcnt(8) lgkmcnt(1)
	v_mul_f64 v[205:206], v[2:3], v[20:21]
	v_mul_f64 v[20:21], v[4:5], v[20:21]
	scratch_load_b128 v[14:17], off, off offset:784
	v_add_f64 v[201:202], v[201:202], v[213:214]
	v_add_f64 v[203:204], v[203:204], v[207:208]
	s_waitcnt vmcnt(8) lgkmcnt(0)
	v_mul_f64 v[207:208], v[6:7], v[24:25]
	v_mul_f64 v[24:25], v[8:9], v[24:25]
	v_fma_f64 v[205:206], v[4:5], v[18:19], v[205:206]
	v_fma_f64 v[18:19], v[2:3], v[18:19], -v[20:21]
	ds_load_b128 v[2:5], v1 offset:1472
	v_add_f64 v[20:21], v[201:202], v[211:212]
	v_add_f64 v[201:202], v[203:204], v[209:210]
	v_fma_f64 v[207:208], v[8:9], v[22:23], v[207:208]
	v_fma_f64 v[22:23], v[6:7], v[22:23], -v[24:25]
	ds_load_b128 v[6:9], v1 offset:1488
	s_waitcnt vmcnt(7) lgkmcnt(1)
	v_mul_f64 v[203:204], v[2:3], v[28:29]
	v_mul_f64 v[28:29], v[4:5], v[28:29]
	v_add_f64 v[18:19], v[20:21], v[18:19]
	v_add_f64 v[20:21], v[201:202], v[205:206]
	s_delay_alu instid0(VALU_DEP_4) | instskip(NEXT) | instid1(VALU_DEP_4)
	v_fma_f64 v[201:202], v[4:5], v[26:27], v[203:204]
	v_fma_f64 v[26:27], v[2:3], v[26:27], -v[28:29]
	ds_load_b128 v[2:5], v1 offset:1504
	v_add_f64 v[22:23], v[18:19], v[22:23]
	v_add_f64 v[28:29], v[20:21], v[207:208]
	scratch_load_b128 v[18:21], off, off offset:80
	s_waitcnt vmcnt(7) lgkmcnt(1)
	v_mul_f64 v[24:25], v[6:7], v[32:33]
	v_mul_f64 v[32:33], v[8:9], v[32:33]
	v_add_f64 v[22:23], v[22:23], v[26:27]
	v_add_f64 v[26:27], v[28:29], v[201:202]
	s_delay_alu instid0(VALU_DEP_4) | instskip(NEXT) | instid1(VALU_DEP_4)
	v_fma_f64 v[24:25], v[8:9], v[30:31], v[24:25]
	v_fma_f64 v[30:31], v[6:7], v[30:31], -v[32:33]
	ds_load_b128 v[6:9], v1 offset:1520
	s_waitcnt vmcnt(6) lgkmcnt(1)
	v_mul_f64 v[203:204], v[2:3], v[36:37]
	v_mul_f64 v[36:37], v[4:5], v[36:37]
	s_waitcnt vmcnt(5) lgkmcnt(0)
	v_mul_f64 v[28:29], v[6:7], v[199:200]
	v_mul_f64 v[32:33], v[8:9], v[199:200]
	v_add_f64 v[24:25], v[26:27], v[24:25]
	v_add_f64 v[22:23], v[22:23], v[30:31]
	v_fma_f64 v[199:200], v[4:5], v[34:35], v[203:204]
	v_fma_f64 v[34:35], v[2:3], v[34:35], -v[36:37]
	ds_load_b128 v[2:5], v1 offset:1536
	v_fma_f64 v[28:29], v[8:9], v[197:198], v[28:29]
	v_fma_f64 v[32:33], v[6:7], v[197:198], -v[32:33]
	ds_load_b128 v[6:9], v1 offset:1552
	s_waitcnt vmcnt(4) lgkmcnt(1)
	v_mul_f64 v[26:27], v[2:3], v[40:41]
	v_mul_f64 v[30:31], v[4:5], v[40:41]
	v_add_f64 v[24:25], v[24:25], v[199:200]
	v_add_f64 v[22:23], v[22:23], v[34:35]
	s_waitcnt vmcnt(3) lgkmcnt(0)
	v_mul_f64 v[34:35], v[6:7], v[195:196]
	v_mul_f64 v[36:37], v[8:9], v[195:196]
	v_fma_f64 v[26:27], v[4:5], v[38:39], v[26:27]
	v_fma_f64 v[30:31], v[2:3], v[38:39], -v[30:31]
	ds_load_b128 v[2:5], v1 offset:1568
	v_add_f64 v[24:25], v[24:25], v[28:29]
	v_add_f64 v[22:23], v[22:23], v[32:33]
	v_fma_f64 v[32:33], v[8:9], v[193:194], v[34:35]
	v_fma_f64 v[34:35], v[6:7], v[193:194], -v[36:37]
	ds_load_b128 v[6:9], v1 offset:1584
	s_waitcnt vmcnt(2) lgkmcnt(1)
	v_mul_f64 v[28:29], v[2:3], v[12:13]
	v_mul_f64 v[12:13], v[4:5], v[12:13]
	v_add_f64 v[24:25], v[24:25], v[26:27]
	v_add_f64 v[22:23], v[22:23], v[30:31]
	s_waitcnt vmcnt(1) lgkmcnt(0)
	v_mul_f64 v[26:27], v[6:7], v[16:17]
	v_mul_f64 v[16:17], v[8:9], v[16:17]
	v_fma_f64 v[4:5], v[4:5], v[10:11], v[28:29]
	v_fma_f64 v[1:2], v[2:3], v[10:11], -v[12:13]
	v_add_f64 v[12:13], v[24:25], v[32:33]
	v_add_f64 v[10:11], v[22:23], v[34:35]
	v_fma_f64 v[8:9], v[8:9], v[14:15], v[26:27]
	v_fma_f64 v[6:7], v[6:7], v[14:15], -v[16:17]
	s_delay_alu instid0(VALU_DEP_4) | instskip(NEXT) | instid1(VALU_DEP_4)
	v_add_f64 v[3:4], v[12:13], v[4:5]
	v_add_f64 v[1:2], v[10:11], v[1:2]
	s_delay_alu instid0(VALU_DEP_2) | instskip(NEXT) | instid1(VALU_DEP_2)
	v_add_f64 v[3:4], v[3:4], v[8:9]
	v_add_f64 v[1:2], v[1:2], v[6:7]
	s_waitcnt vmcnt(0)
	s_delay_alu instid0(VALU_DEP_2) | instskip(NEXT) | instid1(VALU_DEP_2)
	v_add_f64 v[3:4], v[20:21], -v[3:4]
	v_add_f64 v[1:2], v[18:19], -v[1:2]
	scratch_store_b128 off, v[1:4], off offset:80
	v_cmpx_lt_u32_e32 4, v142
	s_cbranch_execz .LBB49_305
; %bb.304:
	scratch_load_b128 v[1:4], v188, off
	v_mov_b32_e32 v5, 0
	s_delay_alu instid0(VALU_DEP_1)
	v_mov_b32_e32 v6, v5
	v_mov_b32_e32 v7, v5
	v_mov_b32_e32 v8, v5
	scratch_store_b128 off, v[5:8], off offset:64
	s_waitcnt vmcnt(0)
	ds_store_b128 v192, v[1:4]
.LBB49_305:
	s_or_b32 exec_lo, exec_lo, s2
	s_waitcnt lgkmcnt(0)
	s_waitcnt_vscnt null, 0x0
	s_barrier
	buffer_gl0_inv
	s_clause 0x7
	scratch_load_b128 v[2:5], off, off offset:80
	scratch_load_b128 v[6:9], off, off offset:96
	scratch_load_b128 v[10:13], off, off offset:112
	scratch_load_b128 v[14:17], off, off offset:128
	scratch_load_b128 v[18:21], off, off offset:144
	scratch_load_b128 v[22:25], off, off offset:160
	scratch_load_b128 v[26:29], off, off offset:176
	scratch_load_b128 v[30:33], off, off offset:192
	v_mov_b32_e32 v1, 0
	s_clause 0x1
	scratch_load_b128 v[34:37], off, off offset:208
	scratch_load_b128 v[197:200], off, off offset:224
	s_mov_b32 s2, exec_lo
	ds_load_b128 v[38:41], v1 offset:880
	ds_load_b128 v[193:196], v1 offset:896
	s_waitcnt vmcnt(9) lgkmcnt(1)
	v_mul_f64 v[201:202], v[40:41], v[4:5]
	v_mul_f64 v[4:5], v[38:39], v[4:5]
	s_waitcnt vmcnt(8) lgkmcnt(0)
	v_mul_f64 v[203:204], v[193:194], v[8:9]
	v_mul_f64 v[8:9], v[195:196], v[8:9]
	s_delay_alu instid0(VALU_DEP_4) | instskip(NEXT) | instid1(VALU_DEP_4)
	v_fma_f64 v[201:202], v[38:39], v[2:3], -v[201:202]
	v_fma_f64 v[205:206], v[40:41], v[2:3], v[4:5]
	ds_load_b128 v[2:5], v1 offset:912
	scratch_load_b128 v[38:41], off, off offset:240
	v_fma_f64 v[203:204], v[195:196], v[6:7], v[203:204]
	v_fma_f64 v[209:210], v[193:194], v[6:7], -v[8:9]
	scratch_load_b128 v[193:196], off, off offset:256
	ds_load_b128 v[6:9], v1 offset:928
	s_waitcnt vmcnt(9) lgkmcnt(1)
	v_mul_f64 v[207:208], v[2:3], v[12:13]
	v_mul_f64 v[12:13], v[4:5], v[12:13]
	s_waitcnt vmcnt(8) lgkmcnt(0)
	v_mul_f64 v[211:212], v[6:7], v[16:17]
	v_mul_f64 v[16:17], v[8:9], v[16:17]
	v_add_f64 v[201:202], v[201:202], 0
	v_add_f64 v[205:206], v[205:206], 0
	v_fma_f64 v[207:208], v[4:5], v[10:11], v[207:208]
	v_fma_f64 v[213:214], v[2:3], v[10:11], -v[12:13]
	ds_load_b128 v[2:5], v1 offset:944
	scratch_load_b128 v[10:13], off, off offset:272
	v_add_f64 v[201:202], v[201:202], v[209:210]
	v_add_f64 v[203:204], v[205:206], v[203:204]
	v_fma_f64 v[209:210], v[8:9], v[14:15], v[211:212]
	v_fma_f64 v[211:212], v[6:7], v[14:15], -v[16:17]
	scratch_load_b128 v[14:17], off, off offset:288
	ds_load_b128 v[6:9], v1 offset:960
	s_waitcnt vmcnt(9) lgkmcnt(1)
	v_mul_f64 v[205:206], v[2:3], v[20:21]
	v_mul_f64 v[20:21], v[4:5], v[20:21]
	v_add_f64 v[201:202], v[201:202], v[213:214]
	v_add_f64 v[203:204], v[203:204], v[207:208]
	s_waitcnt vmcnt(8) lgkmcnt(0)
	v_mul_f64 v[207:208], v[6:7], v[24:25]
	v_mul_f64 v[24:25], v[8:9], v[24:25]
	v_fma_f64 v[205:206], v[4:5], v[18:19], v[205:206]
	v_fma_f64 v[213:214], v[2:3], v[18:19], -v[20:21]
	ds_load_b128 v[2:5], v1 offset:976
	scratch_load_b128 v[18:21], off, off offset:304
	v_add_f64 v[201:202], v[201:202], v[211:212]
	v_add_f64 v[203:204], v[203:204], v[209:210]
	v_fma_f64 v[207:208], v[8:9], v[22:23], v[207:208]
	v_fma_f64 v[211:212], v[6:7], v[22:23], -v[24:25]
	scratch_load_b128 v[22:25], off, off offset:320
	ds_load_b128 v[6:9], v1 offset:992
	s_waitcnt vmcnt(9) lgkmcnt(1)
	v_mul_f64 v[209:210], v[2:3], v[28:29]
	v_mul_f64 v[28:29], v[4:5], v[28:29]
	v_add_f64 v[201:202], v[201:202], v[213:214]
	v_add_f64 v[203:204], v[203:204], v[205:206]
	s_waitcnt vmcnt(8) lgkmcnt(0)
	v_mul_f64 v[205:206], v[6:7], v[32:33]
	v_mul_f64 v[32:33], v[8:9], v[32:33]
	;; [unrolled: 18-line block ×13, first 2 shown]
	v_fma_f64 v[205:206], v[4:5], v[34:35], v[205:206]
	v_fma_f64 v[213:214], v[2:3], v[34:35], -v[36:37]
	ds_load_b128 v[2:5], v1 offset:1360
	scratch_load_b128 v[34:37], off, off offset:688
	v_add_f64 v[201:202], v[201:202], v[211:212]
	v_add_f64 v[203:204], v[203:204], v[209:210]
	v_fma_f64 v[207:208], v[8:9], v[197:198], v[207:208]
	v_fma_f64 v[211:212], v[6:7], v[197:198], -v[199:200]
	ds_load_b128 v[6:9], v1 offset:1376
	s_waitcnt vmcnt(8) lgkmcnt(1)
	v_mul_f64 v[209:210], v[2:3], v[40:41]
	v_mul_f64 v[40:41], v[4:5], v[40:41]
	scratch_load_b128 v[197:200], off, off offset:704
	v_add_f64 v[201:202], v[201:202], v[213:214]
	v_add_f64 v[203:204], v[203:204], v[205:206]
	s_waitcnt vmcnt(8) lgkmcnt(0)
	v_mul_f64 v[205:206], v[6:7], v[195:196]
	v_mul_f64 v[195:196], v[8:9], v[195:196]
	v_fma_f64 v[209:210], v[4:5], v[38:39], v[209:210]
	v_fma_f64 v[213:214], v[2:3], v[38:39], -v[40:41]
	scratch_load_b128 v[38:41], off, off offset:720
	ds_load_b128 v[2:5], v1 offset:1392
	v_add_f64 v[201:202], v[201:202], v[211:212]
	v_add_f64 v[203:204], v[203:204], v[207:208]
	v_fma_f64 v[205:206], v[8:9], v[193:194], v[205:206]
	v_fma_f64 v[211:212], v[6:7], v[193:194], -v[195:196]
	ds_load_b128 v[6:9], v1 offset:1408
	s_waitcnt vmcnt(8) lgkmcnt(1)
	v_mul_f64 v[207:208], v[2:3], v[12:13]
	v_mul_f64 v[12:13], v[4:5], v[12:13]
	scratch_load_b128 v[193:196], off, off offset:736
	v_add_f64 v[201:202], v[201:202], v[213:214]
	v_add_f64 v[203:204], v[203:204], v[209:210]
	s_waitcnt vmcnt(8) lgkmcnt(0)
	v_mul_f64 v[209:210], v[6:7], v[16:17]
	v_mul_f64 v[16:17], v[8:9], v[16:17]
	v_fma_f64 v[207:208], v[4:5], v[10:11], v[207:208]
	v_fma_f64 v[213:214], v[2:3], v[10:11], -v[12:13]
	scratch_load_b128 v[10:13], off, off offset:752
	ds_load_b128 v[2:5], v1 offset:1424
	;; [unrolled: 18-line block ×3, first 2 shown]
	v_add_f64 v[201:202], v[201:202], v[211:212]
	v_add_f64 v[203:204], v[203:204], v[209:210]
	v_fma_f64 v[207:208], v[8:9], v[22:23], v[207:208]
	v_fma_f64 v[22:23], v[6:7], v[22:23], -v[24:25]
	ds_load_b128 v[6:9], v1 offset:1472
	s_waitcnt vmcnt(8) lgkmcnt(1)
	v_mul_f64 v[209:210], v[2:3], v[28:29]
	v_mul_f64 v[28:29], v[4:5], v[28:29]
	v_add_f64 v[24:25], v[201:202], v[213:214]
	v_add_f64 v[201:202], v[203:204], v[205:206]
	s_waitcnt vmcnt(7) lgkmcnt(0)
	v_mul_f64 v[203:204], v[6:7], v[32:33]
	v_mul_f64 v[32:33], v[8:9], v[32:33]
	v_fma_f64 v[205:206], v[4:5], v[26:27], v[209:210]
	v_fma_f64 v[26:27], v[2:3], v[26:27], -v[28:29]
	ds_load_b128 v[2:5], v1 offset:1488
	v_add_f64 v[22:23], v[24:25], v[22:23]
	v_add_f64 v[24:25], v[201:202], v[207:208]
	v_fma_f64 v[201:202], v[8:9], v[30:31], v[203:204]
	v_fma_f64 v[30:31], v[6:7], v[30:31], -v[32:33]
	ds_load_b128 v[6:9], v1 offset:1504
	s_waitcnt vmcnt(5) lgkmcnt(0)
	v_mul_f64 v[203:204], v[6:7], v[199:200]
	v_mul_f64 v[199:200], v[8:9], v[199:200]
	v_add_f64 v[26:27], v[22:23], v[26:27]
	v_add_f64 v[32:33], v[24:25], v[205:206]
	scratch_load_b128 v[22:25], off, off offset:64
	v_mul_f64 v[28:29], v[2:3], v[36:37]
	v_mul_f64 v[36:37], v[4:5], v[36:37]
	v_add_f64 v[26:27], v[26:27], v[30:31]
	v_add_f64 v[30:31], v[32:33], v[201:202]
	s_delay_alu instid0(VALU_DEP_4) | instskip(NEXT) | instid1(VALU_DEP_4)
	v_fma_f64 v[28:29], v[4:5], v[34:35], v[28:29]
	v_fma_f64 v[34:35], v[2:3], v[34:35], -v[36:37]
	ds_load_b128 v[2:5], v1 offset:1520
	s_waitcnt vmcnt(5) lgkmcnt(0)
	v_mul_f64 v[32:33], v[2:3], v[40:41]
	v_mul_f64 v[36:37], v[4:5], v[40:41]
	v_fma_f64 v[40:41], v[8:9], v[197:198], v[203:204]
	v_fma_f64 v[197:198], v[6:7], v[197:198], -v[199:200]
	ds_load_b128 v[6:9], v1 offset:1536
	v_add_f64 v[28:29], v[30:31], v[28:29]
	v_add_f64 v[26:27], v[26:27], v[34:35]
	v_fma_f64 v[32:33], v[4:5], v[38:39], v[32:33]
	v_fma_f64 v[36:37], v[2:3], v[38:39], -v[36:37]
	ds_load_b128 v[2:5], v1 offset:1552
	s_waitcnt vmcnt(4) lgkmcnt(1)
	v_mul_f64 v[30:31], v[6:7], v[195:196]
	v_mul_f64 v[34:35], v[8:9], v[195:196]
	v_add_f64 v[28:29], v[28:29], v[40:41]
	v_add_f64 v[26:27], v[26:27], v[197:198]
	s_waitcnt vmcnt(3) lgkmcnt(0)
	v_mul_f64 v[38:39], v[2:3], v[12:13]
	v_mul_f64 v[12:13], v[4:5], v[12:13]
	v_fma_f64 v[30:31], v[8:9], v[193:194], v[30:31]
	v_fma_f64 v[34:35], v[6:7], v[193:194], -v[34:35]
	ds_load_b128 v[6:9], v1 offset:1568
	v_add_f64 v[28:29], v[28:29], v[32:33]
	v_add_f64 v[26:27], v[26:27], v[36:37]
	v_fma_f64 v[36:37], v[4:5], v[10:11], v[38:39]
	v_fma_f64 v[10:11], v[2:3], v[10:11], -v[12:13]
	ds_load_b128 v[2:5], v1 offset:1584
	s_waitcnt vmcnt(2) lgkmcnt(1)
	v_mul_f64 v[32:33], v[6:7], v[16:17]
	v_mul_f64 v[16:17], v[8:9], v[16:17]
	v_add_f64 v[12:13], v[26:27], v[34:35]
	v_add_f64 v[26:27], v[28:29], v[30:31]
	s_waitcnt vmcnt(1) lgkmcnt(0)
	v_mul_f64 v[28:29], v[2:3], v[20:21]
	v_mul_f64 v[20:21], v[4:5], v[20:21]
	v_fma_f64 v[8:9], v[8:9], v[14:15], v[32:33]
	v_fma_f64 v[6:7], v[6:7], v[14:15], -v[16:17]
	v_add_f64 v[10:11], v[12:13], v[10:11]
	v_add_f64 v[12:13], v[26:27], v[36:37]
	v_fma_f64 v[4:5], v[4:5], v[18:19], v[28:29]
	v_fma_f64 v[2:3], v[2:3], v[18:19], -v[20:21]
	s_delay_alu instid0(VALU_DEP_4) | instskip(NEXT) | instid1(VALU_DEP_4)
	v_add_f64 v[6:7], v[10:11], v[6:7]
	v_add_f64 v[8:9], v[12:13], v[8:9]
	s_delay_alu instid0(VALU_DEP_2) | instskip(NEXT) | instid1(VALU_DEP_2)
	v_add_f64 v[2:3], v[6:7], v[2:3]
	v_add_f64 v[4:5], v[8:9], v[4:5]
	s_waitcnt vmcnt(0)
	s_delay_alu instid0(VALU_DEP_2) | instskip(NEXT) | instid1(VALU_DEP_2)
	v_add_f64 v[2:3], v[22:23], -v[2:3]
	v_add_f64 v[4:5], v[24:25], -v[4:5]
	scratch_store_b128 off, v[2:5], off offset:64
	v_cmpx_lt_u32_e32 3, v142
	s_cbranch_execz .LBB49_307
; %bb.306:
	scratch_load_b128 v[5:8], v189, off
	v_mov_b32_e32 v2, v1
	v_mov_b32_e32 v3, v1
	v_mov_b32_e32 v4, v1
	scratch_store_b128 off, v[1:4], off offset:48
	s_waitcnt vmcnt(0)
	ds_store_b128 v192, v[5:8]
.LBB49_307:
	s_or_b32 exec_lo, exec_lo, s2
	s_waitcnt lgkmcnt(0)
	s_waitcnt_vscnt null, 0x0
	s_barrier
	buffer_gl0_inv
	s_clause 0x7
	scratch_load_b128 v[2:5], off, off offset:64
	scratch_load_b128 v[6:9], off, off offset:80
	;; [unrolled: 1-line block ×8, first 2 shown]
	ds_load_b128 v[38:41], v1 offset:864
	ds_load_b128 v[193:196], v1 offset:880
	s_clause 0x1
	scratch_load_b128 v[34:37], off, off offset:192
	scratch_load_b128 v[197:200], off, off offset:208
	s_mov_b32 s2, exec_lo
	s_waitcnt vmcnt(9) lgkmcnt(1)
	v_mul_f64 v[201:202], v[40:41], v[4:5]
	v_mul_f64 v[4:5], v[38:39], v[4:5]
	s_waitcnt vmcnt(8) lgkmcnt(0)
	v_mul_f64 v[203:204], v[193:194], v[8:9]
	v_mul_f64 v[8:9], v[195:196], v[8:9]
	s_delay_alu instid0(VALU_DEP_4) | instskip(NEXT) | instid1(VALU_DEP_4)
	v_fma_f64 v[201:202], v[38:39], v[2:3], -v[201:202]
	v_fma_f64 v[205:206], v[40:41], v[2:3], v[4:5]
	ds_load_b128 v[2:5], v1 offset:896
	scratch_load_b128 v[38:41], off, off offset:224
	v_fma_f64 v[203:204], v[195:196], v[6:7], v[203:204]
	v_fma_f64 v[209:210], v[193:194], v[6:7], -v[8:9]
	scratch_load_b128 v[193:196], off, off offset:240
	ds_load_b128 v[6:9], v1 offset:912
	s_waitcnt vmcnt(9) lgkmcnt(1)
	v_mul_f64 v[207:208], v[2:3], v[12:13]
	v_mul_f64 v[12:13], v[4:5], v[12:13]
	s_waitcnt vmcnt(8) lgkmcnt(0)
	v_mul_f64 v[211:212], v[6:7], v[16:17]
	v_mul_f64 v[16:17], v[8:9], v[16:17]
	v_add_f64 v[201:202], v[201:202], 0
	v_add_f64 v[205:206], v[205:206], 0
	v_fma_f64 v[207:208], v[4:5], v[10:11], v[207:208]
	v_fma_f64 v[213:214], v[2:3], v[10:11], -v[12:13]
	ds_load_b128 v[2:5], v1 offset:928
	scratch_load_b128 v[10:13], off, off offset:256
	v_add_f64 v[201:202], v[201:202], v[209:210]
	v_add_f64 v[203:204], v[205:206], v[203:204]
	v_fma_f64 v[209:210], v[8:9], v[14:15], v[211:212]
	v_fma_f64 v[211:212], v[6:7], v[14:15], -v[16:17]
	scratch_load_b128 v[14:17], off, off offset:272
	ds_load_b128 v[6:9], v1 offset:944
	s_waitcnt vmcnt(9) lgkmcnt(1)
	v_mul_f64 v[205:206], v[2:3], v[20:21]
	v_mul_f64 v[20:21], v[4:5], v[20:21]
	v_add_f64 v[201:202], v[201:202], v[213:214]
	v_add_f64 v[203:204], v[203:204], v[207:208]
	s_waitcnt vmcnt(8) lgkmcnt(0)
	v_mul_f64 v[207:208], v[6:7], v[24:25]
	v_mul_f64 v[24:25], v[8:9], v[24:25]
	v_fma_f64 v[205:206], v[4:5], v[18:19], v[205:206]
	v_fma_f64 v[213:214], v[2:3], v[18:19], -v[20:21]
	ds_load_b128 v[2:5], v1 offset:960
	scratch_load_b128 v[18:21], off, off offset:288
	v_add_f64 v[201:202], v[201:202], v[211:212]
	v_add_f64 v[203:204], v[203:204], v[209:210]
	v_fma_f64 v[207:208], v[8:9], v[22:23], v[207:208]
	v_fma_f64 v[211:212], v[6:7], v[22:23], -v[24:25]
	scratch_load_b128 v[22:25], off, off offset:304
	ds_load_b128 v[6:9], v1 offset:976
	s_waitcnt vmcnt(9) lgkmcnt(1)
	v_mul_f64 v[209:210], v[2:3], v[28:29]
	v_mul_f64 v[28:29], v[4:5], v[28:29]
	v_add_f64 v[201:202], v[201:202], v[213:214]
	v_add_f64 v[203:204], v[203:204], v[205:206]
	s_waitcnt vmcnt(8) lgkmcnt(0)
	v_mul_f64 v[205:206], v[6:7], v[32:33]
	v_mul_f64 v[32:33], v[8:9], v[32:33]
	;; [unrolled: 18-line block ×13, first 2 shown]
	v_fma_f64 v[205:206], v[4:5], v[34:35], v[205:206]
	v_fma_f64 v[213:214], v[2:3], v[34:35], -v[36:37]
	ds_load_b128 v[2:5], v1 offset:1344
	scratch_load_b128 v[34:37], off, off offset:672
	v_add_f64 v[201:202], v[201:202], v[211:212]
	v_add_f64 v[203:204], v[203:204], v[209:210]
	v_fma_f64 v[207:208], v[8:9], v[197:198], v[207:208]
	v_fma_f64 v[211:212], v[6:7], v[197:198], -v[199:200]
	ds_load_b128 v[6:9], v1 offset:1360
	s_waitcnt vmcnt(8) lgkmcnt(1)
	v_mul_f64 v[209:210], v[2:3], v[40:41]
	v_mul_f64 v[40:41], v[4:5], v[40:41]
	scratch_load_b128 v[197:200], off, off offset:688
	v_add_f64 v[201:202], v[201:202], v[213:214]
	v_add_f64 v[203:204], v[203:204], v[205:206]
	s_waitcnt vmcnt(8) lgkmcnt(0)
	v_mul_f64 v[205:206], v[6:7], v[195:196]
	v_mul_f64 v[195:196], v[8:9], v[195:196]
	v_fma_f64 v[209:210], v[4:5], v[38:39], v[209:210]
	v_fma_f64 v[213:214], v[2:3], v[38:39], -v[40:41]
	ds_load_b128 v[2:5], v1 offset:1376
	scratch_load_b128 v[38:41], off, off offset:704
	v_add_f64 v[201:202], v[201:202], v[211:212]
	v_add_f64 v[203:204], v[203:204], v[207:208]
	v_fma_f64 v[205:206], v[8:9], v[193:194], v[205:206]
	v_fma_f64 v[211:212], v[6:7], v[193:194], -v[195:196]
	ds_load_b128 v[6:9], v1 offset:1392
	s_waitcnt vmcnt(8) lgkmcnt(1)
	v_mul_f64 v[207:208], v[2:3], v[12:13]
	v_mul_f64 v[12:13], v[4:5], v[12:13]
	scratch_load_b128 v[193:196], off, off offset:720
	v_add_f64 v[201:202], v[201:202], v[213:214]
	v_add_f64 v[203:204], v[203:204], v[209:210]
	s_waitcnt vmcnt(8) lgkmcnt(0)
	v_mul_f64 v[209:210], v[6:7], v[16:17]
	v_mul_f64 v[16:17], v[8:9], v[16:17]
	v_fma_f64 v[207:208], v[4:5], v[10:11], v[207:208]
	v_fma_f64 v[213:214], v[2:3], v[10:11], -v[12:13]
	scratch_load_b128 v[10:13], off, off offset:736
	ds_load_b128 v[2:5], v1 offset:1408
	v_add_f64 v[201:202], v[201:202], v[211:212]
	v_add_f64 v[203:204], v[203:204], v[205:206]
	v_fma_f64 v[209:210], v[8:9], v[14:15], v[209:210]
	v_fma_f64 v[211:212], v[6:7], v[14:15], -v[16:17]
	ds_load_b128 v[6:9], v1 offset:1424
	s_waitcnt vmcnt(8) lgkmcnt(1)
	v_mul_f64 v[205:206], v[2:3], v[20:21]
	v_mul_f64 v[20:21], v[4:5], v[20:21]
	scratch_load_b128 v[14:17], off, off offset:752
	v_add_f64 v[201:202], v[201:202], v[213:214]
	v_add_f64 v[203:204], v[203:204], v[207:208]
	s_waitcnt vmcnt(8) lgkmcnt(0)
	v_mul_f64 v[207:208], v[6:7], v[24:25]
	v_mul_f64 v[24:25], v[8:9], v[24:25]
	v_fma_f64 v[205:206], v[4:5], v[18:19], v[205:206]
	v_fma_f64 v[213:214], v[2:3], v[18:19], -v[20:21]
	scratch_load_b128 v[18:21], off, off offset:768
	ds_load_b128 v[2:5], v1 offset:1440
	v_add_f64 v[201:202], v[201:202], v[211:212]
	v_add_f64 v[203:204], v[203:204], v[209:210]
	v_fma_f64 v[207:208], v[8:9], v[22:23], v[207:208]
	v_fma_f64 v[211:212], v[6:7], v[22:23], -v[24:25]
	ds_load_b128 v[6:9], v1 offset:1456
	s_waitcnt vmcnt(8) lgkmcnt(1)
	v_mul_f64 v[209:210], v[2:3], v[28:29]
	v_mul_f64 v[28:29], v[4:5], v[28:29]
	scratch_load_b128 v[22:25], off, off offset:784
	v_add_f64 v[201:202], v[201:202], v[213:214]
	v_add_f64 v[203:204], v[203:204], v[205:206]
	s_waitcnt vmcnt(8) lgkmcnt(0)
	v_mul_f64 v[205:206], v[6:7], v[32:33]
	v_mul_f64 v[32:33], v[8:9], v[32:33]
	v_fma_f64 v[209:210], v[4:5], v[26:27], v[209:210]
	v_fma_f64 v[26:27], v[2:3], v[26:27], -v[28:29]
	ds_load_b128 v[2:5], v1 offset:1472
	v_add_f64 v[28:29], v[201:202], v[211:212]
	v_add_f64 v[201:202], v[203:204], v[207:208]
	v_fma_f64 v[205:206], v[8:9], v[30:31], v[205:206]
	v_fma_f64 v[30:31], v[6:7], v[30:31], -v[32:33]
	ds_load_b128 v[6:9], v1 offset:1488
	s_waitcnt vmcnt(7) lgkmcnt(1)
	v_mul_f64 v[203:204], v[2:3], v[36:37]
	v_mul_f64 v[36:37], v[4:5], v[36:37]
	v_add_f64 v[26:27], v[28:29], v[26:27]
	v_add_f64 v[28:29], v[201:202], v[209:210]
	s_delay_alu instid0(VALU_DEP_4) | instskip(NEXT) | instid1(VALU_DEP_4)
	v_fma_f64 v[201:202], v[4:5], v[34:35], v[203:204]
	v_fma_f64 v[34:35], v[2:3], v[34:35], -v[36:37]
	ds_load_b128 v[2:5], v1 offset:1504
	v_add_f64 v[30:31], v[26:27], v[30:31]
	v_add_f64 v[36:37], v[28:29], v[205:206]
	scratch_load_b128 v[26:29], off, off offset:48
	s_waitcnt vmcnt(7) lgkmcnt(1)
	v_mul_f64 v[32:33], v[6:7], v[199:200]
	v_mul_f64 v[199:200], v[8:9], v[199:200]
	v_add_f64 v[30:31], v[30:31], v[34:35]
	v_add_f64 v[34:35], v[36:37], v[201:202]
	s_delay_alu instid0(VALU_DEP_4) | instskip(NEXT) | instid1(VALU_DEP_4)
	v_fma_f64 v[32:33], v[8:9], v[197:198], v[32:33]
	v_fma_f64 v[197:198], v[6:7], v[197:198], -v[199:200]
	ds_load_b128 v[6:9], v1 offset:1520
	s_waitcnt vmcnt(6) lgkmcnt(1)
	v_mul_f64 v[203:204], v[2:3], v[40:41]
	v_mul_f64 v[40:41], v[4:5], v[40:41]
	s_waitcnt vmcnt(5) lgkmcnt(0)
	v_mul_f64 v[36:37], v[6:7], v[195:196]
	v_mul_f64 v[195:196], v[8:9], v[195:196]
	v_add_f64 v[32:33], v[34:35], v[32:33]
	v_add_f64 v[30:31], v[30:31], v[197:198]
	v_fma_f64 v[199:200], v[4:5], v[38:39], v[203:204]
	v_fma_f64 v[38:39], v[2:3], v[38:39], -v[40:41]
	ds_load_b128 v[2:5], v1 offset:1536
	v_fma_f64 v[36:37], v[8:9], v[193:194], v[36:37]
	v_fma_f64 v[40:41], v[6:7], v[193:194], -v[195:196]
	ds_load_b128 v[6:9], v1 offset:1552
	s_waitcnt vmcnt(4) lgkmcnt(1)
	v_mul_f64 v[34:35], v[2:3], v[12:13]
	v_mul_f64 v[12:13], v[4:5], v[12:13]
	v_add_f64 v[32:33], v[32:33], v[199:200]
	v_add_f64 v[30:31], v[30:31], v[38:39]
	s_waitcnt vmcnt(3) lgkmcnt(0)
	v_mul_f64 v[38:39], v[6:7], v[16:17]
	v_mul_f64 v[16:17], v[8:9], v[16:17]
	v_fma_f64 v[34:35], v[4:5], v[10:11], v[34:35]
	v_fma_f64 v[10:11], v[2:3], v[10:11], -v[12:13]
	ds_load_b128 v[2:5], v1 offset:1568
	v_add_f64 v[12:13], v[30:31], v[40:41]
	v_add_f64 v[30:31], v[32:33], v[36:37]
	v_fma_f64 v[36:37], v[8:9], v[14:15], v[38:39]
	v_fma_f64 v[14:15], v[6:7], v[14:15], -v[16:17]
	ds_load_b128 v[6:9], v1 offset:1584
	s_waitcnt vmcnt(2) lgkmcnt(1)
	v_mul_f64 v[32:33], v[2:3], v[20:21]
	v_mul_f64 v[20:21], v[4:5], v[20:21]
	s_waitcnt vmcnt(1) lgkmcnt(0)
	v_mul_f64 v[16:17], v[6:7], v[24:25]
	v_mul_f64 v[24:25], v[8:9], v[24:25]
	v_add_f64 v[10:11], v[12:13], v[10:11]
	v_add_f64 v[12:13], v[30:31], v[34:35]
	v_fma_f64 v[4:5], v[4:5], v[18:19], v[32:33]
	v_fma_f64 v[1:2], v[2:3], v[18:19], -v[20:21]
	v_fma_f64 v[8:9], v[8:9], v[22:23], v[16:17]
	v_fma_f64 v[6:7], v[6:7], v[22:23], -v[24:25]
	v_add_f64 v[10:11], v[10:11], v[14:15]
	v_add_f64 v[12:13], v[12:13], v[36:37]
	s_delay_alu instid0(VALU_DEP_2) | instskip(NEXT) | instid1(VALU_DEP_2)
	v_add_f64 v[1:2], v[10:11], v[1:2]
	v_add_f64 v[3:4], v[12:13], v[4:5]
	s_delay_alu instid0(VALU_DEP_2) | instskip(NEXT) | instid1(VALU_DEP_2)
	v_add_f64 v[1:2], v[1:2], v[6:7]
	v_add_f64 v[3:4], v[3:4], v[8:9]
	s_waitcnt vmcnt(0)
	s_delay_alu instid0(VALU_DEP_2) | instskip(NEXT) | instid1(VALU_DEP_2)
	v_add_f64 v[1:2], v[26:27], -v[1:2]
	v_add_f64 v[3:4], v[28:29], -v[3:4]
	scratch_store_b128 off, v[1:4], off offset:48
	v_cmpx_lt_u32_e32 2, v142
	s_cbranch_execz .LBB49_309
; %bb.308:
	scratch_load_b128 v[1:4], v190, off
	v_mov_b32_e32 v5, 0
	s_delay_alu instid0(VALU_DEP_1)
	v_mov_b32_e32 v6, v5
	v_mov_b32_e32 v7, v5
	;; [unrolled: 1-line block ×3, first 2 shown]
	scratch_store_b128 off, v[5:8], off offset:32
	s_waitcnt vmcnt(0)
	ds_store_b128 v192, v[1:4]
.LBB49_309:
	s_or_b32 exec_lo, exec_lo, s2
	s_waitcnt lgkmcnt(0)
	s_waitcnt_vscnt null, 0x0
	s_barrier
	buffer_gl0_inv
	s_clause 0x7
	scratch_load_b128 v[2:5], off, off offset:48
	scratch_load_b128 v[6:9], off, off offset:64
	;; [unrolled: 1-line block ×8, first 2 shown]
	v_mov_b32_e32 v1, 0
	s_clause 0x1
	scratch_load_b128 v[34:37], off, off offset:176
	scratch_load_b128 v[197:200], off, off offset:192
	s_mov_b32 s2, exec_lo
	ds_load_b128 v[38:41], v1 offset:848
	ds_load_b128 v[193:196], v1 offset:864
	s_waitcnt vmcnt(9) lgkmcnt(1)
	v_mul_f64 v[201:202], v[40:41], v[4:5]
	v_mul_f64 v[4:5], v[38:39], v[4:5]
	s_waitcnt vmcnt(8) lgkmcnt(0)
	v_mul_f64 v[203:204], v[193:194], v[8:9]
	v_mul_f64 v[8:9], v[195:196], v[8:9]
	s_delay_alu instid0(VALU_DEP_4) | instskip(NEXT) | instid1(VALU_DEP_4)
	v_fma_f64 v[201:202], v[38:39], v[2:3], -v[201:202]
	v_fma_f64 v[205:206], v[40:41], v[2:3], v[4:5]
	ds_load_b128 v[2:5], v1 offset:880
	scratch_load_b128 v[38:41], off, off offset:208
	v_fma_f64 v[203:204], v[195:196], v[6:7], v[203:204]
	v_fma_f64 v[209:210], v[193:194], v[6:7], -v[8:9]
	scratch_load_b128 v[193:196], off, off offset:224
	ds_load_b128 v[6:9], v1 offset:896
	s_waitcnt vmcnt(9) lgkmcnt(1)
	v_mul_f64 v[207:208], v[2:3], v[12:13]
	v_mul_f64 v[12:13], v[4:5], v[12:13]
	s_waitcnt vmcnt(8) lgkmcnt(0)
	v_mul_f64 v[211:212], v[6:7], v[16:17]
	v_mul_f64 v[16:17], v[8:9], v[16:17]
	v_add_f64 v[201:202], v[201:202], 0
	v_add_f64 v[205:206], v[205:206], 0
	v_fma_f64 v[207:208], v[4:5], v[10:11], v[207:208]
	v_fma_f64 v[213:214], v[2:3], v[10:11], -v[12:13]
	ds_load_b128 v[2:5], v1 offset:912
	scratch_load_b128 v[10:13], off, off offset:240
	v_add_f64 v[201:202], v[201:202], v[209:210]
	v_add_f64 v[203:204], v[205:206], v[203:204]
	v_fma_f64 v[209:210], v[8:9], v[14:15], v[211:212]
	v_fma_f64 v[211:212], v[6:7], v[14:15], -v[16:17]
	scratch_load_b128 v[14:17], off, off offset:256
	ds_load_b128 v[6:9], v1 offset:928
	s_waitcnt vmcnt(9) lgkmcnt(1)
	v_mul_f64 v[205:206], v[2:3], v[20:21]
	v_mul_f64 v[20:21], v[4:5], v[20:21]
	v_add_f64 v[201:202], v[201:202], v[213:214]
	v_add_f64 v[203:204], v[203:204], v[207:208]
	s_waitcnt vmcnt(8) lgkmcnt(0)
	v_mul_f64 v[207:208], v[6:7], v[24:25]
	v_mul_f64 v[24:25], v[8:9], v[24:25]
	v_fma_f64 v[205:206], v[4:5], v[18:19], v[205:206]
	v_fma_f64 v[213:214], v[2:3], v[18:19], -v[20:21]
	ds_load_b128 v[2:5], v1 offset:944
	scratch_load_b128 v[18:21], off, off offset:272
	v_add_f64 v[201:202], v[201:202], v[211:212]
	v_add_f64 v[203:204], v[203:204], v[209:210]
	v_fma_f64 v[207:208], v[8:9], v[22:23], v[207:208]
	v_fma_f64 v[211:212], v[6:7], v[22:23], -v[24:25]
	scratch_load_b128 v[22:25], off, off offset:288
	ds_load_b128 v[6:9], v1 offset:960
	s_waitcnt vmcnt(9) lgkmcnt(1)
	v_mul_f64 v[209:210], v[2:3], v[28:29]
	v_mul_f64 v[28:29], v[4:5], v[28:29]
	v_add_f64 v[201:202], v[201:202], v[213:214]
	v_add_f64 v[203:204], v[203:204], v[205:206]
	s_waitcnt vmcnt(8) lgkmcnt(0)
	v_mul_f64 v[205:206], v[6:7], v[32:33]
	v_mul_f64 v[32:33], v[8:9], v[32:33]
	;; [unrolled: 18-line block ×14, first 2 shown]
	v_fma_f64 v[209:210], v[4:5], v[38:39], v[209:210]
	v_fma_f64 v[213:214], v[2:3], v[38:39], -v[40:41]
	ds_load_b128 v[2:5], v1 offset:1360
	scratch_load_b128 v[38:41], off, off offset:688
	v_add_f64 v[201:202], v[201:202], v[211:212]
	v_add_f64 v[203:204], v[203:204], v[207:208]
	v_fma_f64 v[205:206], v[8:9], v[193:194], v[205:206]
	v_fma_f64 v[211:212], v[6:7], v[193:194], -v[195:196]
	ds_load_b128 v[6:9], v1 offset:1376
	s_waitcnt vmcnt(8) lgkmcnt(1)
	v_mul_f64 v[207:208], v[2:3], v[12:13]
	v_mul_f64 v[12:13], v[4:5], v[12:13]
	scratch_load_b128 v[193:196], off, off offset:704
	v_add_f64 v[201:202], v[201:202], v[213:214]
	v_add_f64 v[203:204], v[203:204], v[209:210]
	s_waitcnt vmcnt(8) lgkmcnt(0)
	v_mul_f64 v[209:210], v[6:7], v[16:17]
	v_mul_f64 v[16:17], v[8:9], v[16:17]
	v_fma_f64 v[207:208], v[4:5], v[10:11], v[207:208]
	v_fma_f64 v[213:214], v[2:3], v[10:11], -v[12:13]
	scratch_load_b128 v[10:13], off, off offset:720
	ds_load_b128 v[2:5], v1 offset:1392
	v_add_f64 v[201:202], v[201:202], v[211:212]
	v_add_f64 v[203:204], v[203:204], v[205:206]
	v_fma_f64 v[209:210], v[8:9], v[14:15], v[209:210]
	v_fma_f64 v[211:212], v[6:7], v[14:15], -v[16:17]
	ds_load_b128 v[6:9], v1 offset:1408
	s_waitcnt vmcnt(8) lgkmcnt(1)
	v_mul_f64 v[205:206], v[2:3], v[20:21]
	v_mul_f64 v[20:21], v[4:5], v[20:21]
	scratch_load_b128 v[14:17], off, off offset:736
	v_add_f64 v[201:202], v[201:202], v[213:214]
	v_add_f64 v[203:204], v[203:204], v[207:208]
	s_waitcnt vmcnt(8) lgkmcnt(0)
	v_mul_f64 v[207:208], v[6:7], v[24:25]
	v_mul_f64 v[24:25], v[8:9], v[24:25]
	v_fma_f64 v[205:206], v[4:5], v[18:19], v[205:206]
	v_fma_f64 v[213:214], v[2:3], v[18:19], -v[20:21]
	scratch_load_b128 v[18:21], off, off offset:752
	ds_load_b128 v[2:5], v1 offset:1424
	;; [unrolled: 18-line block ×3, first 2 shown]
	v_add_f64 v[201:202], v[201:202], v[211:212]
	v_add_f64 v[203:204], v[203:204], v[207:208]
	v_fma_f64 v[205:206], v[8:9], v[30:31], v[205:206]
	v_fma_f64 v[30:31], v[6:7], v[30:31], -v[32:33]
	ds_load_b128 v[6:9], v1 offset:1472
	s_waitcnt vmcnt(8) lgkmcnt(1)
	v_mul_f64 v[207:208], v[2:3], v[36:37]
	v_mul_f64 v[36:37], v[4:5], v[36:37]
	v_add_f64 v[32:33], v[201:202], v[213:214]
	v_add_f64 v[201:202], v[203:204], v[209:210]
	s_waitcnt vmcnt(7) lgkmcnt(0)
	v_mul_f64 v[203:204], v[6:7], v[199:200]
	v_mul_f64 v[199:200], v[8:9], v[199:200]
	v_fma_f64 v[207:208], v[4:5], v[34:35], v[207:208]
	v_fma_f64 v[34:35], v[2:3], v[34:35], -v[36:37]
	ds_load_b128 v[2:5], v1 offset:1488
	v_add_f64 v[30:31], v[32:33], v[30:31]
	v_add_f64 v[32:33], v[201:202], v[205:206]
	v_fma_f64 v[201:202], v[8:9], v[197:198], v[203:204]
	v_fma_f64 v[197:198], v[6:7], v[197:198], -v[199:200]
	ds_load_b128 v[6:9], v1 offset:1504
	s_waitcnt vmcnt(5) lgkmcnt(0)
	v_mul_f64 v[203:204], v[6:7], v[195:196]
	v_mul_f64 v[195:196], v[8:9], v[195:196]
	v_add_f64 v[34:35], v[30:31], v[34:35]
	v_add_f64 v[199:200], v[32:33], v[207:208]
	scratch_load_b128 v[30:33], off, off offset:32
	v_mul_f64 v[36:37], v[2:3], v[40:41]
	v_mul_f64 v[40:41], v[4:5], v[40:41]
	v_add_f64 v[34:35], v[34:35], v[197:198]
	s_delay_alu instid0(VALU_DEP_3) | instskip(NEXT) | instid1(VALU_DEP_3)
	v_fma_f64 v[36:37], v[4:5], v[38:39], v[36:37]
	v_fma_f64 v[38:39], v[2:3], v[38:39], -v[40:41]
	v_add_f64 v[40:41], v[199:200], v[201:202]
	ds_load_b128 v[2:5], v1 offset:1520
	v_fma_f64 v[199:200], v[8:9], v[193:194], v[203:204]
	v_fma_f64 v[193:194], v[6:7], v[193:194], -v[195:196]
	ds_load_b128 v[6:9], v1 offset:1536
	s_waitcnt vmcnt(5) lgkmcnt(1)
	v_mul_f64 v[197:198], v[2:3], v[12:13]
	v_mul_f64 v[12:13], v[4:5], v[12:13]
	v_add_f64 v[34:35], v[34:35], v[38:39]
	v_add_f64 v[36:37], v[40:41], v[36:37]
	s_waitcnt vmcnt(4) lgkmcnt(0)
	v_mul_f64 v[38:39], v[6:7], v[16:17]
	v_mul_f64 v[16:17], v[8:9], v[16:17]
	v_fma_f64 v[40:41], v[4:5], v[10:11], v[197:198]
	v_fma_f64 v[10:11], v[2:3], v[10:11], -v[12:13]
	ds_load_b128 v[2:5], v1 offset:1552
	v_add_f64 v[12:13], v[34:35], v[193:194]
	v_add_f64 v[34:35], v[36:37], v[199:200]
	v_fma_f64 v[38:39], v[8:9], v[14:15], v[38:39]
	v_fma_f64 v[14:15], v[6:7], v[14:15], -v[16:17]
	ds_load_b128 v[6:9], v1 offset:1568
	s_waitcnt vmcnt(3) lgkmcnt(1)
	v_mul_f64 v[36:37], v[2:3], v[20:21]
	v_mul_f64 v[20:21], v[4:5], v[20:21]
	s_waitcnt vmcnt(2) lgkmcnt(0)
	v_mul_f64 v[16:17], v[6:7], v[24:25]
	v_mul_f64 v[24:25], v[8:9], v[24:25]
	v_add_f64 v[10:11], v[12:13], v[10:11]
	v_add_f64 v[12:13], v[34:35], v[40:41]
	v_fma_f64 v[34:35], v[4:5], v[18:19], v[36:37]
	v_fma_f64 v[18:19], v[2:3], v[18:19], -v[20:21]
	ds_load_b128 v[2:5], v1 offset:1584
	v_fma_f64 v[8:9], v[8:9], v[22:23], v[16:17]
	v_fma_f64 v[6:7], v[6:7], v[22:23], -v[24:25]
	s_waitcnt vmcnt(1) lgkmcnt(0)
	v_mul_f64 v[20:21], v[4:5], v[28:29]
	v_add_f64 v[10:11], v[10:11], v[14:15]
	v_add_f64 v[12:13], v[12:13], v[38:39]
	v_mul_f64 v[14:15], v[2:3], v[28:29]
	s_delay_alu instid0(VALU_DEP_4) | instskip(NEXT) | instid1(VALU_DEP_4)
	v_fma_f64 v[2:3], v[2:3], v[26:27], -v[20:21]
	v_add_f64 v[10:11], v[10:11], v[18:19]
	s_delay_alu instid0(VALU_DEP_4) | instskip(NEXT) | instid1(VALU_DEP_4)
	v_add_f64 v[12:13], v[12:13], v[34:35]
	v_fma_f64 v[4:5], v[4:5], v[26:27], v[14:15]
	s_delay_alu instid0(VALU_DEP_3) | instskip(NEXT) | instid1(VALU_DEP_3)
	v_add_f64 v[6:7], v[10:11], v[6:7]
	v_add_f64 v[8:9], v[12:13], v[8:9]
	s_delay_alu instid0(VALU_DEP_2) | instskip(NEXT) | instid1(VALU_DEP_2)
	v_add_f64 v[2:3], v[6:7], v[2:3]
	v_add_f64 v[4:5], v[8:9], v[4:5]
	s_waitcnt vmcnt(0)
	s_delay_alu instid0(VALU_DEP_2) | instskip(NEXT) | instid1(VALU_DEP_2)
	v_add_f64 v[2:3], v[30:31], -v[2:3]
	v_add_f64 v[4:5], v[32:33], -v[4:5]
	scratch_store_b128 off, v[2:5], off offset:32
	v_cmpx_lt_u32_e32 1, v142
	s_cbranch_execz .LBB49_311
; %bb.310:
	scratch_load_b128 v[5:8], v191, off
	v_mov_b32_e32 v2, v1
	v_mov_b32_e32 v3, v1
	;; [unrolled: 1-line block ×3, first 2 shown]
	scratch_store_b128 off, v[1:4], off offset:16
	s_waitcnt vmcnt(0)
	ds_store_b128 v192, v[5:8]
.LBB49_311:
	s_or_b32 exec_lo, exec_lo, s2
	s_waitcnt lgkmcnt(0)
	s_waitcnt_vscnt null, 0x0
	s_barrier
	buffer_gl0_inv
	s_clause 0x7
	scratch_load_b128 v[2:5], off, off offset:32
	scratch_load_b128 v[6:9], off, off offset:48
	;; [unrolled: 1-line block ×8, first 2 shown]
	ds_load_b128 v[38:41], v1 offset:832
	ds_load_b128 v[193:196], v1 offset:848
	s_clause 0x1
	scratch_load_b128 v[34:37], off, off offset:160
	scratch_load_b128 v[197:200], off, off offset:176
	s_mov_b32 s2, exec_lo
	s_waitcnt vmcnt(9) lgkmcnt(1)
	v_mul_f64 v[201:202], v[40:41], v[4:5]
	v_mul_f64 v[4:5], v[38:39], v[4:5]
	s_waitcnt vmcnt(8) lgkmcnt(0)
	v_mul_f64 v[203:204], v[193:194], v[8:9]
	v_mul_f64 v[8:9], v[195:196], v[8:9]
	s_delay_alu instid0(VALU_DEP_4) | instskip(NEXT) | instid1(VALU_DEP_4)
	v_fma_f64 v[201:202], v[38:39], v[2:3], -v[201:202]
	v_fma_f64 v[205:206], v[40:41], v[2:3], v[4:5]
	ds_load_b128 v[2:5], v1 offset:864
	scratch_load_b128 v[38:41], off, off offset:192
	v_fma_f64 v[203:204], v[195:196], v[6:7], v[203:204]
	v_fma_f64 v[209:210], v[193:194], v[6:7], -v[8:9]
	scratch_load_b128 v[193:196], off, off offset:208
	ds_load_b128 v[6:9], v1 offset:880
	s_waitcnt vmcnt(9) lgkmcnt(1)
	v_mul_f64 v[207:208], v[2:3], v[12:13]
	v_mul_f64 v[12:13], v[4:5], v[12:13]
	s_waitcnt vmcnt(8) lgkmcnt(0)
	v_mul_f64 v[211:212], v[6:7], v[16:17]
	v_mul_f64 v[16:17], v[8:9], v[16:17]
	v_add_f64 v[201:202], v[201:202], 0
	v_add_f64 v[205:206], v[205:206], 0
	v_fma_f64 v[207:208], v[4:5], v[10:11], v[207:208]
	v_fma_f64 v[213:214], v[2:3], v[10:11], -v[12:13]
	ds_load_b128 v[2:5], v1 offset:896
	scratch_load_b128 v[10:13], off, off offset:224
	v_add_f64 v[201:202], v[201:202], v[209:210]
	v_add_f64 v[203:204], v[205:206], v[203:204]
	v_fma_f64 v[209:210], v[8:9], v[14:15], v[211:212]
	v_fma_f64 v[211:212], v[6:7], v[14:15], -v[16:17]
	scratch_load_b128 v[14:17], off, off offset:240
	ds_load_b128 v[6:9], v1 offset:912
	s_waitcnt vmcnt(9) lgkmcnt(1)
	v_mul_f64 v[205:206], v[2:3], v[20:21]
	v_mul_f64 v[20:21], v[4:5], v[20:21]
	v_add_f64 v[201:202], v[201:202], v[213:214]
	v_add_f64 v[203:204], v[203:204], v[207:208]
	s_waitcnt vmcnt(8) lgkmcnt(0)
	v_mul_f64 v[207:208], v[6:7], v[24:25]
	v_mul_f64 v[24:25], v[8:9], v[24:25]
	v_fma_f64 v[205:206], v[4:5], v[18:19], v[205:206]
	v_fma_f64 v[213:214], v[2:3], v[18:19], -v[20:21]
	ds_load_b128 v[2:5], v1 offset:928
	scratch_load_b128 v[18:21], off, off offset:256
	v_add_f64 v[201:202], v[201:202], v[211:212]
	v_add_f64 v[203:204], v[203:204], v[209:210]
	v_fma_f64 v[207:208], v[8:9], v[22:23], v[207:208]
	v_fma_f64 v[211:212], v[6:7], v[22:23], -v[24:25]
	scratch_load_b128 v[22:25], off, off offset:272
	ds_load_b128 v[6:9], v1 offset:944
	s_waitcnt vmcnt(9) lgkmcnt(1)
	v_mul_f64 v[209:210], v[2:3], v[28:29]
	v_mul_f64 v[28:29], v[4:5], v[28:29]
	v_add_f64 v[201:202], v[201:202], v[213:214]
	v_add_f64 v[203:204], v[203:204], v[205:206]
	s_waitcnt vmcnt(8) lgkmcnt(0)
	v_mul_f64 v[205:206], v[6:7], v[32:33]
	v_mul_f64 v[32:33], v[8:9], v[32:33]
	;; [unrolled: 18-line block ×14, first 2 shown]
	v_fma_f64 v[209:210], v[4:5], v[38:39], v[209:210]
	v_fma_f64 v[213:214], v[2:3], v[38:39], -v[40:41]
	ds_load_b128 v[2:5], v1 offset:1344
	scratch_load_b128 v[38:41], off, off offset:672
	v_add_f64 v[201:202], v[201:202], v[211:212]
	v_add_f64 v[203:204], v[203:204], v[207:208]
	v_fma_f64 v[205:206], v[8:9], v[193:194], v[205:206]
	v_fma_f64 v[211:212], v[6:7], v[193:194], -v[195:196]
	ds_load_b128 v[6:9], v1 offset:1360
	s_waitcnt vmcnt(8) lgkmcnt(1)
	v_mul_f64 v[207:208], v[2:3], v[12:13]
	v_mul_f64 v[12:13], v[4:5], v[12:13]
	scratch_load_b128 v[193:196], off, off offset:688
	v_add_f64 v[201:202], v[201:202], v[213:214]
	v_add_f64 v[203:204], v[203:204], v[209:210]
	s_waitcnt vmcnt(8) lgkmcnt(0)
	v_mul_f64 v[209:210], v[6:7], v[16:17]
	v_mul_f64 v[16:17], v[8:9], v[16:17]
	v_fma_f64 v[207:208], v[4:5], v[10:11], v[207:208]
	v_fma_f64 v[213:214], v[2:3], v[10:11], -v[12:13]
	ds_load_b128 v[2:5], v1 offset:1376
	scratch_load_b128 v[10:13], off, off offset:704
	v_add_f64 v[201:202], v[201:202], v[211:212]
	v_add_f64 v[203:204], v[203:204], v[205:206]
	v_fma_f64 v[209:210], v[8:9], v[14:15], v[209:210]
	v_fma_f64 v[211:212], v[6:7], v[14:15], -v[16:17]
	ds_load_b128 v[6:9], v1 offset:1392
	s_waitcnt vmcnt(8) lgkmcnt(1)
	v_mul_f64 v[205:206], v[2:3], v[20:21]
	v_mul_f64 v[20:21], v[4:5], v[20:21]
	scratch_load_b128 v[14:17], off, off offset:720
	v_add_f64 v[201:202], v[201:202], v[213:214]
	v_add_f64 v[203:204], v[203:204], v[207:208]
	s_waitcnt vmcnt(8) lgkmcnt(0)
	v_mul_f64 v[207:208], v[6:7], v[24:25]
	v_mul_f64 v[24:25], v[8:9], v[24:25]
	v_fma_f64 v[205:206], v[4:5], v[18:19], v[205:206]
	v_fma_f64 v[213:214], v[2:3], v[18:19], -v[20:21]
	scratch_load_b128 v[18:21], off, off offset:736
	ds_load_b128 v[2:5], v1 offset:1408
	v_add_f64 v[201:202], v[201:202], v[211:212]
	v_add_f64 v[203:204], v[203:204], v[209:210]
	v_fma_f64 v[207:208], v[8:9], v[22:23], v[207:208]
	v_fma_f64 v[211:212], v[6:7], v[22:23], -v[24:25]
	ds_load_b128 v[6:9], v1 offset:1424
	s_waitcnt vmcnt(8) lgkmcnt(1)
	v_mul_f64 v[209:210], v[2:3], v[28:29]
	v_mul_f64 v[28:29], v[4:5], v[28:29]
	scratch_load_b128 v[22:25], off, off offset:752
	v_add_f64 v[201:202], v[201:202], v[213:214]
	v_add_f64 v[203:204], v[203:204], v[205:206]
	s_waitcnt vmcnt(8) lgkmcnt(0)
	v_mul_f64 v[205:206], v[6:7], v[32:33]
	v_mul_f64 v[32:33], v[8:9], v[32:33]
	v_fma_f64 v[209:210], v[4:5], v[26:27], v[209:210]
	v_fma_f64 v[213:214], v[2:3], v[26:27], -v[28:29]
	scratch_load_b128 v[26:29], off, off offset:768
	ds_load_b128 v[2:5], v1 offset:1440
	v_add_f64 v[201:202], v[201:202], v[211:212]
	v_add_f64 v[203:204], v[203:204], v[207:208]
	v_fma_f64 v[205:206], v[8:9], v[30:31], v[205:206]
	v_fma_f64 v[211:212], v[6:7], v[30:31], -v[32:33]
	ds_load_b128 v[6:9], v1 offset:1456
	s_waitcnt vmcnt(8) lgkmcnt(1)
	v_mul_f64 v[207:208], v[2:3], v[36:37]
	v_mul_f64 v[36:37], v[4:5], v[36:37]
	scratch_load_b128 v[30:33], off, off offset:784
	v_add_f64 v[201:202], v[201:202], v[213:214]
	v_add_f64 v[203:204], v[203:204], v[209:210]
	s_waitcnt vmcnt(8) lgkmcnt(0)
	v_mul_f64 v[209:210], v[6:7], v[199:200]
	v_mul_f64 v[199:200], v[8:9], v[199:200]
	v_fma_f64 v[207:208], v[4:5], v[34:35], v[207:208]
	v_fma_f64 v[34:35], v[2:3], v[34:35], -v[36:37]
	ds_load_b128 v[2:5], v1 offset:1472
	v_add_f64 v[36:37], v[201:202], v[211:212]
	v_add_f64 v[201:202], v[203:204], v[205:206]
	v_fma_f64 v[205:206], v[8:9], v[197:198], v[209:210]
	v_fma_f64 v[197:198], v[6:7], v[197:198], -v[199:200]
	ds_load_b128 v[6:9], v1 offset:1488
	s_waitcnt vmcnt(7) lgkmcnt(1)
	v_mul_f64 v[203:204], v[2:3], v[40:41]
	v_mul_f64 v[40:41], v[4:5], v[40:41]
	v_add_f64 v[34:35], v[36:37], v[34:35]
	v_add_f64 v[36:37], v[201:202], v[207:208]
	s_delay_alu instid0(VALU_DEP_4) | instskip(NEXT) | instid1(VALU_DEP_4)
	v_fma_f64 v[201:202], v[4:5], v[38:39], v[203:204]
	v_fma_f64 v[38:39], v[2:3], v[38:39], -v[40:41]
	ds_load_b128 v[2:5], v1 offset:1504
	v_add_f64 v[40:41], v[34:35], v[197:198]
	v_add_f64 v[197:198], v[36:37], v[205:206]
	scratch_load_b128 v[34:37], off, off offset:16
	s_waitcnt vmcnt(7) lgkmcnt(1)
	v_mul_f64 v[199:200], v[6:7], v[195:196]
	v_mul_f64 v[195:196], v[8:9], v[195:196]
	v_add_f64 v[38:39], v[40:41], v[38:39]
	v_add_f64 v[40:41], v[197:198], v[201:202]
	s_delay_alu instid0(VALU_DEP_4) | instskip(NEXT) | instid1(VALU_DEP_4)
	v_fma_f64 v[199:200], v[8:9], v[193:194], v[199:200]
	v_fma_f64 v[193:194], v[6:7], v[193:194], -v[195:196]
	ds_load_b128 v[6:9], v1 offset:1520
	s_waitcnt vmcnt(6) lgkmcnt(1)
	v_mul_f64 v[203:204], v[2:3], v[12:13]
	v_mul_f64 v[12:13], v[4:5], v[12:13]
	s_waitcnt vmcnt(5) lgkmcnt(0)
	v_mul_f64 v[195:196], v[6:7], v[16:17]
	v_mul_f64 v[16:17], v[8:9], v[16:17]
	s_delay_alu instid0(VALU_DEP_4) | instskip(NEXT) | instid1(VALU_DEP_4)
	v_fma_f64 v[197:198], v[4:5], v[10:11], v[203:204]
	v_fma_f64 v[10:11], v[2:3], v[10:11], -v[12:13]
	v_add_f64 v[12:13], v[38:39], v[193:194]
	v_add_f64 v[38:39], v[40:41], v[199:200]
	ds_load_b128 v[2:5], v1 offset:1536
	v_fma_f64 v[193:194], v[8:9], v[14:15], v[195:196]
	v_fma_f64 v[14:15], v[6:7], v[14:15], -v[16:17]
	ds_load_b128 v[6:9], v1 offset:1552
	s_waitcnt vmcnt(4) lgkmcnt(1)
	v_mul_f64 v[40:41], v[2:3], v[20:21]
	v_mul_f64 v[20:21], v[4:5], v[20:21]
	v_add_f64 v[10:11], v[12:13], v[10:11]
	v_add_f64 v[12:13], v[38:39], v[197:198]
	s_waitcnt vmcnt(3) lgkmcnt(0)
	v_mul_f64 v[16:17], v[6:7], v[24:25]
	v_mul_f64 v[24:25], v[8:9], v[24:25]
	v_fma_f64 v[38:39], v[4:5], v[18:19], v[40:41]
	v_fma_f64 v[18:19], v[2:3], v[18:19], -v[20:21]
	ds_load_b128 v[2:5], v1 offset:1568
	v_add_f64 v[10:11], v[10:11], v[14:15]
	v_add_f64 v[12:13], v[12:13], v[193:194]
	v_fma_f64 v[16:17], v[8:9], v[22:23], v[16:17]
	v_fma_f64 v[22:23], v[6:7], v[22:23], -v[24:25]
	ds_load_b128 v[6:9], v1 offset:1584
	s_waitcnt vmcnt(2) lgkmcnt(1)
	v_mul_f64 v[14:15], v[2:3], v[28:29]
	v_mul_f64 v[20:21], v[4:5], v[28:29]
	s_waitcnt vmcnt(1) lgkmcnt(0)
	v_mul_f64 v[24:25], v[8:9], v[32:33]
	v_add_f64 v[10:11], v[10:11], v[18:19]
	v_add_f64 v[12:13], v[12:13], v[38:39]
	v_mul_f64 v[18:19], v[6:7], v[32:33]
	v_fma_f64 v[4:5], v[4:5], v[26:27], v[14:15]
	v_fma_f64 v[1:2], v[2:3], v[26:27], -v[20:21]
	v_fma_f64 v[6:7], v[6:7], v[30:31], -v[24:25]
	v_add_f64 v[10:11], v[10:11], v[22:23]
	v_add_f64 v[12:13], v[12:13], v[16:17]
	v_fma_f64 v[8:9], v[8:9], v[30:31], v[18:19]
	s_delay_alu instid0(VALU_DEP_3) | instskip(NEXT) | instid1(VALU_DEP_3)
	v_add_f64 v[1:2], v[10:11], v[1:2]
	v_add_f64 v[3:4], v[12:13], v[4:5]
	s_delay_alu instid0(VALU_DEP_2) | instskip(NEXT) | instid1(VALU_DEP_2)
	v_add_f64 v[1:2], v[1:2], v[6:7]
	v_add_f64 v[3:4], v[3:4], v[8:9]
	s_waitcnt vmcnt(0)
	s_delay_alu instid0(VALU_DEP_2) | instskip(NEXT) | instid1(VALU_DEP_2)
	v_add_f64 v[1:2], v[34:35], -v[1:2]
	v_add_f64 v[3:4], v[36:37], -v[3:4]
	scratch_store_b128 off, v[1:4], off offset:16
	v_cmpx_ne_u32_e32 0, v142
	s_cbranch_execz .LBB49_313
; %bb.312:
	scratch_load_b128 v[1:4], off, off
	v_mov_b32_e32 v5, 0
	s_delay_alu instid0(VALU_DEP_1)
	v_mov_b32_e32 v6, v5
	v_mov_b32_e32 v7, v5
	v_mov_b32_e32 v8, v5
	scratch_store_b128 off, v[5:8], off
	s_waitcnt vmcnt(0)
	ds_store_b128 v192, v[1:4]
.LBB49_313:
	s_or_b32 exec_lo, exec_lo, s2
	s_waitcnt lgkmcnt(0)
	s_waitcnt_vscnt null, 0x0
	s_barrier
	buffer_gl0_inv
	s_clause 0x7
	scratch_load_b128 v[1:4], off, off offset:16
	scratch_load_b128 v[5:8], off, off offset:32
	;; [unrolled: 1-line block ×8, first 2 shown]
	v_mov_b32_e32 v41, 0
	s_clause 0x1
	scratch_load_b128 v[33:36], off, off offset:144
	scratch_load_b128 v[196:199], off, off offset:160
	s_and_b32 vcc_lo, exec_lo, s20
	ds_load_b128 v[37:40], v41 offset:816
	ds_load_b128 v[192:195], v41 offset:832
	s_waitcnt vmcnt(9) lgkmcnt(1)
	v_mul_f64 v[200:201], v[39:40], v[3:4]
	v_mul_f64 v[3:4], v[37:38], v[3:4]
	s_waitcnt vmcnt(8) lgkmcnt(0)
	v_mul_f64 v[202:203], v[192:193], v[7:8]
	v_mul_f64 v[7:8], v[194:195], v[7:8]
	s_delay_alu instid0(VALU_DEP_4) | instskip(NEXT) | instid1(VALU_DEP_4)
	v_fma_f64 v[200:201], v[37:38], v[1:2], -v[200:201]
	v_fma_f64 v[204:205], v[39:40], v[1:2], v[3:4]
	ds_load_b128 v[1:4], v41 offset:848
	scratch_load_b128 v[37:40], off, off offset:176
	v_fma_f64 v[202:203], v[194:195], v[5:6], v[202:203]
	v_fma_f64 v[208:209], v[192:193], v[5:6], -v[7:8]
	scratch_load_b128 v[192:195], off, off offset:192
	ds_load_b128 v[5:8], v41 offset:864
	s_waitcnt vmcnt(9) lgkmcnt(1)
	v_mul_f64 v[206:207], v[1:2], v[11:12]
	v_mul_f64 v[11:12], v[3:4], v[11:12]
	s_waitcnt vmcnt(8) lgkmcnt(0)
	v_mul_f64 v[210:211], v[5:6], v[15:16]
	v_mul_f64 v[15:16], v[7:8], v[15:16]
	v_add_f64 v[200:201], v[200:201], 0
	v_add_f64 v[204:205], v[204:205], 0
	v_fma_f64 v[206:207], v[3:4], v[9:10], v[206:207]
	v_fma_f64 v[212:213], v[1:2], v[9:10], -v[11:12]
	ds_load_b128 v[1:4], v41 offset:880
	scratch_load_b128 v[9:12], off, off offset:208
	v_add_f64 v[200:201], v[200:201], v[208:209]
	v_add_f64 v[202:203], v[204:205], v[202:203]
	v_fma_f64 v[208:209], v[7:8], v[13:14], v[210:211]
	v_fma_f64 v[210:211], v[5:6], v[13:14], -v[15:16]
	scratch_load_b128 v[13:16], off, off offset:224
	ds_load_b128 v[5:8], v41 offset:896
	s_waitcnt vmcnt(9) lgkmcnt(1)
	v_mul_f64 v[204:205], v[1:2], v[19:20]
	v_mul_f64 v[19:20], v[3:4], v[19:20]
	v_add_f64 v[200:201], v[200:201], v[212:213]
	v_add_f64 v[202:203], v[202:203], v[206:207]
	s_waitcnt vmcnt(8) lgkmcnt(0)
	v_mul_f64 v[206:207], v[5:6], v[23:24]
	v_mul_f64 v[23:24], v[7:8], v[23:24]
	v_fma_f64 v[204:205], v[3:4], v[17:18], v[204:205]
	v_fma_f64 v[212:213], v[1:2], v[17:18], -v[19:20]
	ds_load_b128 v[1:4], v41 offset:912
	scratch_load_b128 v[17:20], off, off offset:240
	v_add_f64 v[200:201], v[200:201], v[210:211]
	v_add_f64 v[202:203], v[202:203], v[208:209]
	v_fma_f64 v[206:207], v[7:8], v[21:22], v[206:207]
	v_fma_f64 v[210:211], v[5:6], v[21:22], -v[23:24]
	scratch_load_b128 v[21:24], off, off offset:256
	ds_load_b128 v[5:8], v41 offset:928
	s_waitcnt vmcnt(9) lgkmcnt(1)
	v_mul_f64 v[208:209], v[1:2], v[27:28]
	v_mul_f64 v[27:28], v[3:4], v[27:28]
	v_add_f64 v[200:201], v[200:201], v[212:213]
	v_add_f64 v[202:203], v[202:203], v[204:205]
	s_waitcnt vmcnt(8) lgkmcnt(0)
	v_mul_f64 v[204:205], v[5:6], v[31:32]
	v_mul_f64 v[31:32], v[7:8], v[31:32]
	;; [unrolled: 18-line block ×15, first 2 shown]
	v_fma_f64 v[206:207], v[3:4], v[9:10], v[206:207]
	v_fma_f64 v[212:213], v[1:2], v[9:10], -v[11:12]
	ds_load_b128 v[1:4], v41 offset:1360
	scratch_load_b128 v[9:12], off, off offset:688
	v_add_f64 v[200:201], v[200:201], v[210:211]
	v_add_f64 v[202:203], v[202:203], v[204:205]
	v_fma_f64 v[208:209], v[7:8], v[13:14], v[208:209]
	v_fma_f64 v[210:211], v[5:6], v[13:14], -v[15:16]
	ds_load_b128 v[5:8], v41 offset:1376
	s_waitcnt vmcnt(8) lgkmcnt(1)
	v_mul_f64 v[204:205], v[1:2], v[19:20]
	v_mul_f64 v[19:20], v[3:4], v[19:20]
	scratch_load_b128 v[13:16], off, off offset:704
	v_add_f64 v[200:201], v[200:201], v[212:213]
	v_add_f64 v[202:203], v[202:203], v[206:207]
	s_waitcnt vmcnt(8) lgkmcnt(0)
	v_mul_f64 v[206:207], v[5:6], v[23:24]
	v_mul_f64 v[23:24], v[7:8], v[23:24]
	v_fma_f64 v[204:205], v[3:4], v[17:18], v[204:205]
	v_fma_f64 v[212:213], v[1:2], v[17:18], -v[19:20]
	scratch_load_b128 v[17:20], off, off offset:720
	ds_load_b128 v[1:4], v41 offset:1392
	v_add_f64 v[200:201], v[200:201], v[210:211]
	v_add_f64 v[202:203], v[202:203], v[208:209]
	v_fma_f64 v[206:207], v[7:8], v[21:22], v[206:207]
	v_fma_f64 v[210:211], v[5:6], v[21:22], -v[23:24]
	ds_load_b128 v[5:8], v41 offset:1408
	s_waitcnt vmcnt(8) lgkmcnt(1)
	v_mul_f64 v[208:209], v[1:2], v[27:28]
	v_mul_f64 v[27:28], v[3:4], v[27:28]
	scratch_load_b128 v[21:24], off, off offset:736
	v_add_f64 v[200:201], v[200:201], v[212:213]
	v_add_f64 v[202:203], v[202:203], v[204:205]
	s_waitcnt vmcnt(8) lgkmcnt(0)
	v_mul_f64 v[204:205], v[5:6], v[31:32]
	v_mul_f64 v[31:32], v[7:8], v[31:32]
	v_fma_f64 v[208:209], v[3:4], v[25:26], v[208:209]
	v_fma_f64 v[212:213], v[1:2], v[25:26], -v[27:28]
	scratch_load_b128 v[25:28], off, off offset:752
	ds_load_b128 v[1:4], v41 offset:1424
	;; [unrolled: 18-line block ×3, first 2 shown]
	v_add_f64 v[200:201], v[200:201], v[210:211]
	v_add_f64 v[202:203], v[202:203], v[204:205]
	v_fma_f64 v[208:209], v[7:8], v[196:197], v[208:209]
	v_fma_f64 v[196:197], v[5:6], v[196:197], -v[198:199]
	ds_load_b128 v[5:8], v41 offset:1472
	s_waitcnt vmcnt(8) lgkmcnt(1)
	v_mul_f64 v[204:205], v[1:2], v[39:40]
	v_mul_f64 v[39:40], v[3:4], v[39:40]
	v_add_f64 v[198:199], v[200:201], v[212:213]
	v_add_f64 v[200:201], v[202:203], v[206:207]
	s_waitcnt vmcnt(7) lgkmcnt(0)
	v_mul_f64 v[202:203], v[5:6], v[194:195]
	v_mul_f64 v[194:195], v[7:8], v[194:195]
	v_fma_f64 v[204:205], v[3:4], v[37:38], v[204:205]
	v_fma_f64 v[37:38], v[1:2], v[37:38], -v[39:40]
	ds_load_b128 v[1:4], v41 offset:1488
	v_add_f64 v[39:40], v[198:199], v[196:197]
	v_add_f64 v[196:197], v[200:201], v[208:209]
	v_fma_f64 v[200:201], v[7:8], v[192:193], v[202:203]
	v_fma_f64 v[192:193], v[5:6], v[192:193], -v[194:195]
	ds_load_b128 v[5:8], v41 offset:1504
	s_waitcnt vmcnt(5) lgkmcnt(0)
	v_mul_f64 v[202:203], v[5:6], v[15:16]
	v_mul_f64 v[15:16], v[7:8], v[15:16]
	v_add_f64 v[194:195], v[39:40], v[37:38]
	v_add_f64 v[196:197], v[196:197], v[204:205]
	scratch_load_b128 v[37:40], off, off
	v_mul_f64 v[198:199], v[1:2], v[11:12]
	v_mul_f64 v[11:12], v[3:4], v[11:12]
	s_delay_alu instid0(VALU_DEP_2) | instskip(NEXT) | instid1(VALU_DEP_2)
	v_fma_f64 v[198:199], v[3:4], v[9:10], v[198:199]
	v_fma_f64 v[9:10], v[1:2], v[9:10], -v[11:12]
	v_add_f64 v[11:12], v[194:195], v[192:193]
	v_add_f64 v[192:193], v[196:197], v[200:201]
	ds_load_b128 v[1:4], v41 offset:1520
	v_fma_f64 v[196:197], v[7:8], v[13:14], v[202:203]
	v_fma_f64 v[13:14], v[5:6], v[13:14], -v[15:16]
	ds_load_b128 v[5:8], v41 offset:1536
	s_waitcnt vmcnt(5) lgkmcnt(1)
	v_mul_f64 v[194:195], v[1:2], v[19:20]
	v_mul_f64 v[19:20], v[3:4], v[19:20]
	s_waitcnt vmcnt(4) lgkmcnt(0)
	v_mul_f64 v[15:16], v[5:6], v[23:24]
	v_mul_f64 v[23:24], v[7:8], v[23:24]
	v_add_f64 v[9:10], v[11:12], v[9:10]
	v_add_f64 v[11:12], v[192:193], v[198:199]
	v_fma_f64 v[192:193], v[3:4], v[17:18], v[194:195]
	v_fma_f64 v[17:18], v[1:2], v[17:18], -v[19:20]
	ds_load_b128 v[1:4], v41 offset:1552
	v_fma_f64 v[15:16], v[7:8], v[21:22], v[15:16]
	v_fma_f64 v[21:22], v[5:6], v[21:22], -v[23:24]
	ds_load_b128 v[5:8], v41 offset:1568
	v_add_f64 v[9:10], v[9:10], v[13:14]
	v_add_f64 v[11:12], v[11:12], v[196:197]
	s_waitcnt vmcnt(3) lgkmcnt(1)
	v_mul_f64 v[13:14], v[1:2], v[27:28]
	v_mul_f64 v[19:20], v[3:4], v[27:28]
	s_waitcnt vmcnt(2) lgkmcnt(0)
	v_mul_f64 v[23:24], v[7:8], v[31:32]
	v_add_f64 v[9:10], v[9:10], v[17:18]
	v_add_f64 v[11:12], v[11:12], v[192:193]
	v_mul_f64 v[17:18], v[5:6], v[31:32]
	v_fma_f64 v[13:14], v[3:4], v[25:26], v[13:14]
	v_fma_f64 v[19:20], v[1:2], v[25:26], -v[19:20]
	ds_load_b128 v[1:4], v41 offset:1584
	v_fma_f64 v[5:6], v[5:6], v[29:30], -v[23:24]
	v_add_f64 v[9:10], v[9:10], v[21:22]
	v_add_f64 v[11:12], v[11:12], v[15:16]
	s_waitcnt vmcnt(1) lgkmcnt(0)
	v_mul_f64 v[15:16], v[1:2], v[35:36]
	v_mul_f64 v[21:22], v[3:4], v[35:36]
	v_fma_f64 v[7:8], v[7:8], v[29:30], v[17:18]
	v_add_f64 v[9:10], v[9:10], v[19:20]
	v_add_f64 v[11:12], v[11:12], v[13:14]
	v_fma_f64 v[3:4], v[3:4], v[33:34], v[15:16]
	v_fma_f64 v[1:2], v[1:2], v[33:34], -v[21:22]
	s_delay_alu instid0(VALU_DEP_4) | instskip(NEXT) | instid1(VALU_DEP_4)
	v_add_f64 v[5:6], v[9:10], v[5:6]
	v_add_f64 v[7:8], v[11:12], v[7:8]
	s_delay_alu instid0(VALU_DEP_2) | instskip(NEXT) | instid1(VALU_DEP_2)
	v_add_f64 v[1:2], v[5:6], v[1:2]
	v_add_f64 v[3:4], v[7:8], v[3:4]
	s_waitcnt vmcnt(0)
	s_delay_alu instid0(VALU_DEP_2) | instskip(NEXT) | instid1(VALU_DEP_2)
	v_add_f64 v[1:2], v[37:38], -v[1:2]
	v_add_f64 v[3:4], v[39:40], -v[3:4]
	scratch_store_b128 off, v[1:4], off
	s_cbranch_vccz .LBB49_413
; %bb.314:
	v_dual_mov_b32 v1, s16 :: v_dual_mov_b32 v2, s17
	s_load_b64 s[0:1], s[0:1], 0x4
	flat_load_b32 v1, v[1:2] offset:192
	v_bfe_u32 v2, v0, 10, 10
	v_bfe_u32 v0, v0, 20, 10
	s_waitcnt lgkmcnt(0)
	s_lshr_b32 s0, s0, 16
	s_delay_alu instid0(VALU_DEP_2) | instskip(SKIP_1) | instid1(SALU_CYCLE_1)
	v_mul_u32_u24_e32 v2, s1, v2
	s_mul_i32 s0, s0, s1
	v_mul_u32_u24_e32 v3, s0, v142
	s_mov_b32 s0, exec_lo
	s_delay_alu instid0(VALU_DEP_1) | instskip(NEXT) | instid1(VALU_DEP_1)
	v_add3_u32 v0, v3, v2, v0
	v_lshl_add_u32 v0, v0, 4, 0x648
	s_waitcnt vmcnt(0)
	v_cmpx_ne_u32_e32 49, v1
	s_cbranch_execz .LBB49_316
; %bb.315:
	v_lshl_add_u32 v9, v1, 4, 0
	s_clause 0x1
	scratch_load_b128 v[1:4], v149, off
	scratch_load_b128 v[5:8], v9, off offset:-16
	s_waitcnt vmcnt(1)
	ds_store_2addr_b64 v0, v[1:2], v[3:4] offset1:1
	s_waitcnt vmcnt(0)
	s_clause 0x1
	scratch_store_b128 v149, v[5:8], off
	scratch_store_b128 v9, v[1:4], off offset:-16
.LBB49_316:
	s_or_b32 exec_lo, exec_lo, s0
	v_dual_mov_b32 v1, s16 :: v_dual_mov_b32 v2, s17
	s_mov_b32 s0, exec_lo
	flat_load_b32 v1, v[1:2] offset:188
	s_waitcnt vmcnt(0) lgkmcnt(0)
	v_cmpx_ne_u32_e32 48, v1
	s_cbranch_execz .LBB49_318
; %bb.317:
	v_lshl_add_u32 v9, v1, 4, 0
	s_clause 0x1
	scratch_load_b128 v[1:4], v150, off
	scratch_load_b128 v[5:8], v9, off offset:-16
	s_waitcnt vmcnt(1)
	ds_store_2addr_b64 v0, v[1:2], v[3:4] offset1:1
	s_waitcnt vmcnt(0)
	s_clause 0x1
	scratch_store_b128 v150, v[5:8], off
	scratch_store_b128 v9, v[1:4], off offset:-16
.LBB49_318:
	s_or_b32 exec_lo, exec_lo, s0
	v_dual_mov_b32 v1, s16 :: v_dual_mov_b32 v2, s17
	s_mov_b32 s0, exec_lo
	flat_load_b32 v1, v[1:2] offset:184
	s_waitcnt vmcnt(0) lgkmcnt(0)
	;; [unrolled: 19-line block ×47, first 2 shown]
	v_cmpx_ne_u32_e32 2, v1
	s_cbranch_execz .LBB49_410
; %bb.409:
	v_lshl_add_u32 v9, v1, 4, 0
	s_clause 0x1
	scratch_load_b128 v[1:4], v191, off
	scratch_load_b128 v[5:8], v9, off offset:-16
	s_waitcnt vmcnt(1)
	ds_store_2addr_b64 v0, v[1:2], v[3:4] offset1:1
	s_waitcnt vmcnt(0)
	s_clause 0x1
	scratch_store_b128 v191, v[5:8], off
	scratch_store_b128 v9, v[1:4], off offset:-16
.LBB49_410:
	s_or_b32 exec_lo, exec_lo, s0
	v_dual_mov_b32 v1, s16 :: v_dual_mov_b32 v2, s17
	s_mov_b32 s0, exec_lo
	flat_load_b32 v1, v[1:2]
	s_waitcnt vmcnt(0) lgkmcnt(0)
	v_cmpx_ne_u32_e32 1, v1
	s_cbranch_execz .LBB49_412
; %bb.411:
	v_lshl_add_u32 v9, v1, 4, 0
	scratch_load_b128 v[1:4], off, off
	scratch_load_b128 v[5:8], v9, off offset:-16
	s_waitcnt vmcnt(1)
	ds_store_2addr_b64 v0, v[1:2], v[3:4] offset1:1
	s_waitcnt vmcnt(0)
	scratch_store_b128 off, v[5:8], off
	scratch_store_b128 v9, v[1:4], off offset:-16
.LBB49_412:
	s_or_b32 exec_lo, exec_lo, s0
.LBB49_413:
	scratch_load_b128 v[0:3], off, off
	s_clause 0x12
	scratch_load_b128 v[4:7], v191, off
	scratch_load_b128 v[8:11], v190, off
	;; [unrolled: 1-line block ×19, first 2 shown]
	s_waitcnt vmcnt(19)
	global_store_b128 v[42:43], v[0:3], off
	s_clause 0x1
	scratch_load_b128 v[0:3], v172, off
	scratch_load_b128 v[40:43], v171, off
	s_waitcnt vmcnt(20)
	global_store_b128 v[46:47], v[4:7], off
	s_clause 0x1
	scratch_load_b128 v[4:7], v169, off
	scratch_load_b128 v[169:172], v170, off
	s_waitcnt vmcnt(21)
	global_store_b128 v[44:45], v[8:11], off
	s_clause 0x1
	scratch_load_b128 v[8:11], v168, off
	scratch_load_b128 v[44:47], v167, off
	s_waitcnt vmcnt(22)
	global_store_b128 v[52:53], v[12:15], off
	s_clause 0x1
	scratch_load_b128 v[12:15], v165, off
	scratch_load_b128 v[165:168], v166, off
	s_waitcnt vmcnt(23)
	global_store_b128 v[48:49], v[16:19], off
	s_clause 0x1
	scratch_load_b128 v[16:19], v164, off
	scratch_load_b128 v[214:217], v163, off
	s_waitcnt vmcnt(24)
	global_store_b128 v[50:51], v[20:23], off
	s_clause 0x1
	scratch_load_b128 v[20:23], v161, off
	scratch_load_b128 v[48:51], v162, off
	s_waitcnt vmcnt(25)
	global_store_b128 v[54:55], v[24:27], off
	s_clause 0x1
	scratch_load_b128 v[24:27], v160, off
	scratch_load_b128 v[52:55], v159, off
	s_waitcnt vmcnt(26)
	global_store_b128 v[56:57], v[28:31], off
	s_clause 0x1
	scratch_load_b128 v[28:31], v157, off
	scratch_load_b128 v[157:160], v158, off
	s_waitcnt vmcnt(27)
	global_store_b128 v[58:59], v[32:35], off
	s_clause 0x1
	scratch_load_b128 v[32:35], v155, off
	scratch_load_b128 v[56:59], v154, off
	s_waitcnt vmcnt(28)
	global_store_b128 v[60:61], v[36:39], off
	s_clause 0x1
	scratch_load_b128 v[36:39], v146, off
	scratch_load_b128 v[161:164], v147, off
	s_waitcnt vmcnt(29)
	global_store_b128 v[62:63], v[182:185], off
	s_clause 0x1
	scratch_load_b128 v[60:63], v145, off
	scratch_load_b128 v[144:147], v144, off
	s_waitcnt vmcnt(30)
	global_store_b128 v[64:65], v[186:189], off
	s_clause 0x1
	scratch_load_b128 v[182:185], v143, off
	scratch_load_b128 v[186:189], v156, off
	s_waitcnt vmcnt(31)
	global_store_b128 v[66:67], v[190:193], off
	s_clause 0x1
	scratch_load_b128 v[64:67], v153, off
	scratch_load_b128 v[152:155], v152, off
	s_waitcnt vmcnt(32)
	global_store_b128 v[68:69], v[194:197], off
	s_clause 0x1
	scratch_load_b128 v[190:193], v151, off
	scratch_load_b128 v[194:197], v150, off
	s_waitcnt vmcnt(33)
	global_store_b128 v[70:71], v[178:181], off
	s_clause 0x1
	scratch_load_b128 v[68:71], v149, off
	scratch_load_b128 v[148:151], v148, off
	s_waitcnt vmcnt(34)
	global_store_b128 v[72:73], v[198:201], off
	s_waitcnt vmcnt(33)
	global_store_b128 v[74:75], v[202:205], off
	;; [unrolled: 2-line block ×35, first 2 shown]
	s_endpgm
	.section	.rodata,"a",@progbits
	.p2align	6, 0x0
	.amdhsa_kernel _ZN9rocsolver6v33100L18getri_kernel_smallILi50E19rocblas_complex_numIdEPS3_EEvT1_iilPiilS6_bb
		.amdhsa_group_segment_fixed_size 2632
		.amdhsa_private_segment_fixed_size 816
		.amdhsa_kernarg_size 60
		.amdhsa_user_sgpr_count 15
		.amdhsa_user_sgpr_dispatch_ptr 1
		.amdhsa_user_sgpr_queue_ptr 0
		.amdhsa_user_sgpr_kernarg_segment_ptr 1
		.amdhsa_user_sgpr_dispatch_id 0
		.amdhsa_user_sgpr_private_segment_size 0
		.amdhsa_wavefront_size32 1
		.amdhsa_uses_dynamic_stack 0
		.amdhsa_enable_private_segment 1
		.amdhsa_system_sgpr_workgroup_id_x 1
		.amdhsa_system_sgpr_workgroup_id_y 0
		.amdhsa_system_sgpr_workgroup_id_z 0
		.amdhsa_system_sgpr_workgroup_info 0
		.amdhsa_system_vgpr_workitem_id 2
		.amdhsa_next_free_vgpr 248
		.amdhsa_next_free_sgpr 56
		.amdhsa_reserve_vcc 1
		.amdhsa_float_round_mode_32 0
		.amdhsa_float_round_mode_16_64 0
		.amdhsa_float_denorm_mode_32 3
		.amdhsa_float_denorm_mode_16_64 3
		.amdhsa_dx10_clamp 1
		.amdhsa_ieee_mode 1
		.amdhsa_fp16_overflow 0
		.amdhsa_workgroup_processor_mode 1
		.amdhsa_memory_ordered 1
		.amdhsa_forward_progress 0
		.amdhsa_shared_vgpr_count 0
		.amdhsa_exception_fp_ieee_invalid_op 0
		.amdhsa_exception_fp_denorm_src 0
		.amdhsa_exception_fp_ieee_div_zero 0
		.amdhsa_exception_fp_ieee_overflow 0
		.amdhsa_exception_fp_ieee_underflow 0
		.amdhsa_exception_fp_ieee_inexact 0
		.amdhsa_exception_int_div_zero 0
	.end_amdhsa_kernel
	.section	.text._ZN9rocsolver6v33100L18getri_kernel_smallILi50E19rocblas_complex_numIdEPS3_EEvT1_iilPiilS6_bb,"axG",@progbits,_ZN9rocsolver6v33100L18getri_kernel_smallILi50E19rocblas_complex_numIdEPS3_EEvT1_iilPiilS6_bb,comdat
.Lfunc_end49:
	.size	_ZN9rocsolver6v33100L18getri_kernel_smallILi50E19rocblas_complex_numIdEPS3_EEvT1_iilPiilS6_bb, .Lfunc_end49-_ZN9rocsolver6v33100L18getri_kernel_smallILi50E19rocblas_complex_numIdEPS3_EEvT1_iilPiilS6_bb
                                        ; -- End function
	.section	.AMDGPU.csdata,"",@progbits
; Kernel info:
; codeLenInByte = 114472
; NumSgprs: 58
; NumVgprs: 248
; ScratchSize: 816
; MemoryBound: 0
; FloatMode: 240
; IeeeMode: 1
; LDSByteSize: 2632 bytes/workgroup (compile time only)
; SGPRBlocks: 7
; VGPRBlocks: 30
; NumSGPRsForWavesPerEU: 58
; NumVGPRsForWavesPerEU: 248
; Occupancy: 5
; WaveLimiterHint : 1
; COMPUTE_PGM_RSRC2:SCRATCH_EN: 1
; COMPUTE_PGM_RSRC2:USER_SGPR: 15
; COMPUTE_PGM_RSRC2:TRAP_HANDLER: 0
; COMPUTE_PGM_RSRC2:TGID_X_EN: 1
; COMPUTE_PGM_RSRC2:TGID_Y_EN: 0
; COMPUTE_PGM_RSRC2:TGID_Z_EN: 0
; COMPUTE_PGM_RSRC2:TIDIG_COMP_CNT: 2
	.section	.text._ZN9rocsolver6v33100L18getri_kernel_smallILi51E19rocblas_complex_numIdEPS3_EEvT1_iilPiilS6_bb,"axG",@progbits,_ZN9rocsolver6v33100L18getri_kernel_smallILi51E19rocblas_complex_numIdEPS3_EEvT1_iilPiilS6_bb,comdat
	.globl	_ZN9rocsolver6v33100L18getri_kernel_smallILi51E19rocblas_complex_numIdEPS3_EEvT1_iilPiilS6_bb ; -- Begin function _ZN9rocsolver6v33100L18getri_kernel_smallILi51E19rocblas_complex_numIdEPS3_EEvT1_iilPiilS6_bb
	.p2align	8
	.type	_ZN9rocsolver6v33100L18getri_kernel_smallILi51E19rocblas_complex_numIdEPS3_EEvT1_iilPiilS6_bb,@function
_ZN9rocsolver6v33100L18getri_kernel_smallILi51E19rocblas_complex_numIdEPS3_EEvT1_iilPiilS6_bb: ; @_ZN9rocsolver6v33100L18getri_kernel_smallILi51E19rocblas_complex_numIdEPS3_EEvT1_iilPiilS6_bb
; %bb.0:
	v_and_b32_e32 v148, 0x3ff, v0
	s_mov_b32 s4, exec_lo
	s_delay_alu instid0(VALU_DEP_1)
	v_cmpx_gt_u32_e32 51, v148
	s_cbranch_execz .LBB50_218
; %bb.1:
	s_mov_b32 s18, s15
	s_clause 0x2
	s_load_b32 s21, s[2:3], 0x38
	s_load_b128 s[12:15], s[2:3], 0x10
	s_load_b128 s[4:7], s[2:3], 0x28
                                        ; implicit-def: $sgpr16_sgpr17
	s_waitcnt lgkmcnt(0)
	s_bitcmp1_b32 s21, 8
	s_cselect_b32 s20, -1, 0
	s_bfe_u32 s8, s21, 0x10008
	s_ashr_i32 s19, s18, 31
	s_cmp_eq_u32 s8, 0
	s_cbranch_scc1 .LBB50_3
; %bb.2:
	s_load_b32 s8, s[2:3], 0x20
	s_mul_i32 s5, s18, s5
	s_mul_hi_u32 s9, s18, s4
	s_mul_i32 s10, s19, s4
	s_add_i32 s5, s9, s5
	s_mul_i32 s4, s18, s4
	s_add_i32 s5, s5, s10
	s_delay_alu instid0(SALU_CYCLE_1)
	s_lshl_b64 s[4:5], s[4:5], 2
	s_waitcnt lgkmcnt(0)
	s_ashr_i32 s9, s8, 31
	s_add_u32 s10, s14, s4
	s_addc_u32 s11, s15, s5
	s_lshl_b64 s[4:5], s[8:9], 2
	s_delay_alu instid0(SALU_CYCLE_1)
	s_add_u32 s16, s10, s4
	s_addc_u32 s17, s11, s5
.LBB50_3:
	s_load_b128 s[8:11], s[2:3], 0x0
	s_mul_i32 s2, s18, s13
	s_mul_hi_u32 s3, s18, s12
	s_mul_i32 s4, s19, s12
	s_add_i32 s3, s3, s2
	s_mul_i32 s2, s18, s12
	s_add_i32 s3, s3, s4
	v_lshlrev_b32_e32 v13, 4, v148
	s_lshl_b64 s[2:3], s[2:3], 4
	s_movk_i32 s12, 0xd0
	s_movk_i32 s13, 0xe0
	;; [unrolled: 1-line block ×11, first 2 shown]
	s_waitcnt lgkmcnt(0)
	v_add3_u32 v5, s11, s11, v148
	s_ashr_i32 s5, s10, 31
	s_mov_b32 s4, s10
	s_add_u32 s8, s8, s2
	s_addc_u32 s9, s9, s3
	v_add_nc_u32_e32 v7, s11, v5
	s_lshl_b64 s[2:3], s[4:5], 4
	v_ashrrev_i32_e32 v6, 31, v5
	s_add_u32 s2, s8, s2
	s_addc_u32 s3, s9, s3
	v_add_co_u32 v46, s8, s2, v13
	v_add_nc_u32_e32 v9, s11, v7
	s_mov_b32 s4, s11
	s_ashr_i32 s5, s11, 31
	v_add_co_ci_u32_e64 v47, null, s3, 0, s8
	v_ashrrev_i32_e32 v8, 31, v7
	v_lshlrev_b64 v[5:6], 4, v[5:6]
	s_lshl_b64 s[4:5], s[4:5], 4
	v_ashrrev_i32_e32 v10, 31, v9
	v_add_co_u32 v48, vcc_lo, v46, s4
	v_add_nc_u32_e32 v11, s11, v9
	v_add_co_ci_u32_e32 v49, vcc_lo, s5, v47, vcc_lo
	v_lshlrev_b64 v[7:8], 4, v[7:8]
	v_add_co_u32 v50, vcc_lo, s2, v5
	v_add_co_ci_u32_e32 v51, vcc_lo, s3, v6, vcc_lo
	v_lshlrev_b64 v[5:6], 4, v[9:10]
	v_ashrrev_i32_e32 v12, 31, v11
	v_add_nc_u32_e32 v9, s11, v11
	v_add_co_u32 v52, vcc_lo, s2, v7
	v_add_co_ci_u32_e32 v53, vcc_lo, s3, v8, vcc_lo
	s_delay_alu instid0(VALU_DEP_4) | instskip(NEXT) | instid1(VALU_DEP_4)
	v_lshlrev_b64 v[7:8], 4, v[11:12]
	v_ashrrev_i32_e32 v10, 31, v9
	v_add_nc_u32_e32 v11, s11, v9
	v_add_co_u32 v54, vcc_lo, s2, v5
	v_add_co_ci_u32_e32 v55, vcc_lo, s3, v6, vcc_lo
	s_delay_alu instid0(VALU_DEP_4) | instskip(NEXT) | instid1(VALU_DEP_4)
	v_lshlrev_b64 v[5:6], 4, v[9:10]
	v_add_nc_u32_e32 v9, s11, v11
	v_ashrrev_i32_e32 v12, 31, v11
	v_add_co_u32 v56, vcc_lo, s2, v7
	v_add_co_ci_u32_e32 v57, vcc_lo, s3, v8, vcc_lo
	s_delay_alu instid0(VALU_DEP_4) | instskip(SKIP_3) | instid1(VALU_DEP_4)
	v_add_nc_u32_e32 v16, s11, v9
	v_ashrrev_i32_e32 v10, 31, v9
	v_lshlrev_b64 v[14:15], 4, v[11:12]
	v_add_co_u32 v58, vcc_lo, s2, v5
	v_add_nc_u32_e32 v20, s11, v16
	v_ashrrev_i32_e32 v17, 31, v16
	global_load_b128 v[1:4], v13, s[2:3]
	v_add_co_ci_u32_e32 v59, vcc_lo, s3, v6, vcc_lo
	v_add_nc_u32_e32 v28, s11, v20
	v_lshlrev_b64 v[18:19], 4, v[9:10]
	s_clause 0x1
	global_load_b128 v[5:8], v[48:49], off
	global_load_b128 v[9:12], v[50:51], off
	v_add_co_u32 v60, vcc_lo, s2, v14
	v_lshlrev_b64 v[26:27], 4, v[16:17]
	v_add_nc_u32_e32 v32, s11, v28
	v_add_co_ci_u32_e32 v61, vcc_lo, s3, v15, vcc_lo
	v_ashrrev_i32_e32 v21, 31, v20
	v_add_co_u32 v62, vcc_lo, s2, v18
	v_ashrrev_i32_e32 v29, 31, v28
	v_add_co_ci_u32_e32 v63, vcc_lo, s3, v19, vcc_lo
	v_add_nc_u32_e32 v38, s11, v32
	v_add_co_u32 v64, vcc_lo, s2, v26
	global_load_b128 v[14:17], v[52:53], off
	v_lshlrev_b64 v[30:31], 4, v[20:21]
	s_clause 0x1
	global_load_b128 v[18:21], v[54:55], off
	global_load_b128 v[22:25], v[56:57], off
	v_add_co_ci_u32_e32 v65, vcc_lo, s3, v27, vcc_lo
	v_lshlrev_b64 v[34:35], 4, v[28:29]
	global_load_b128 v[26:29], v[58:59], off
	v_add_nc_u32_e32 v44, s11, v38
	v_ashrrev_i32_e32 v33, 31, v32
	v_add_co_u32 v66, vcc_lo, s2, v30
	v_ashrrev_i32_e32 v39, 31, v38
	s_delay_alu instid0(VALU_DEP_4)
	v_add_nc_u32_e32 v74, s11, v44
	v_add_co_ci_u32_e32 v67, vcc_lo, s3, v31, vcc_lo
	v_lshlrev_b64 v[42:43], 4, v[32:33]
	v_add_co_u32 v68, vcc_lo, s2, v34
	v_ashrrev_i32_e32 v45, 31, v44
	v_add_nc_u32_e32 v78, s11, v74
	v_add_co_ci_u32_e32 v69, vcc_lo, s3, v35, vcc_lo
	s_clause 0x1
	global_load_b128 v[30:33], v[60:61], off
	global_load_b128 v[34:37], v[62:63], off
	v_lshlrev_b64 v[72:73], 4, v[38:39]
	v_ashrrev_i32_e32 v75, 31, v74
	v_add_co_u32 v70, vcc_lo, s2, v42
	v_lshlrev_b64 v[76:77], 4, v[44:45]
	v_add_nc_u32_e32 v82, s11, v78
	v_add_co_ci_u32_e32 v71, vcc_lo, s3, v43, vcc_lo
	v_add_co_u32 v72, vcc_lo, s2, v72
	v_lshlrev_b64 v[80:81], 4, v[74:75]
	v_ashrrev_i32_e32 v79, 31, v78
	v_add_co_ci_u32_e32 v73, vcc_lo, s3, v73, vcc_lo
	s_clause 0x2
	global_load_b128 v[38:41], v[64:65], off
	global_load_b128 v[42:45], v[66:67], off
	;; [unrolled: 1-line block ×3, first 2 shown]
	v_add_co_u32 v74, vcc_lo, s2, v76
	v_ashrrev_i32_e32 v83, 31, v82
	v_add_co_ci_u32_e32 v75, vcc_lo, s3, v77, vcc_lo
	v_lshlrev_b64 v[78:79], 4, v[78:79]
	v_add_co_u32 v76, vcc_lo, s2, v80
	v_add_co_ci_u32_e32 v77, vcc_lo, s3, v81, vcc_lo
	v_lshlrev_b64 v[80:81], 4, v[82:83]
	s_delay_alu instid0(VALU_DEP_4)
	v_add_co_u32 v78, vcc_lo, s2, v78
	s_clause 0x1
	global_load_b128 v[149:152], v[70:71], off
	global_load_b128 v[153:156], v[72:73], off
	v_add_co_ci_u32_e32 v79, vcc_lo, s3, v79, vcc_lo
	v_add_co_u32 v80, vcc_lo, s2, v80
	v_add_co_ci_u32_e32 v81, vcc_lo, s3, v81, vcc_lo
	s_clause 0x3
	global_load_b128 v[157:160], v[74:75], off
	global_load_b128 v[161:164], v[76:77], off
	;; [unrolled: 1-line block ×4, first 2 shown]
	v_add_nc_u32_e32 v82, s11, v82
	s_movk_i32 s4, 0x70
	s_movk_i32 s5, 0x80
	;; [unrolled: 1-line block ×4, first 2 shown]
	v_add_nc_u32_e32 v84, s11, v82
	v_ashrrev_i32_e32 v83, 31, v82
	s_movk_i32 s10, 0xb0
	s_movk_i32 s29, 0x180
	;; [unrolled: 1-line block ×3, first 2 shown]
	v_add_nc_u32_e32 v86, s11, v84
	v_ashrrev_i32_e32 v85, 31, v84
	v_lshlrev_b64 v[82:83], 4, v[82:83]
	s_movk_i32 s31, 0x1a0
	s_movk_i32 s33, 0x1b0
	v_add_nc_u32_e32 v88, s11, v86
	v_ashrrev_i32_e32 v87, 31, v86
	v_lshlrev_b64 v[84:85], 4, v[84:85]
	v_add_co_u32 v82, vcc_lo, s2, v82
	s_delay_alu instid0(VALU_DEP_4) | instskip(SKIP_3) | instid1(VALU_DEP_4)
	v_add_nc_u32_e32 v90, s11, v88
	v_ashrrev_i32_e32 v89, 31, v88
	v_lshlrev_b64 v[86:87], 4, v[86:87]
	v_add_co_ci_u32_e32 v83, vcc_lo, s3, v83, vcc_lo
	v_add_nc_u32_e32 v92, s11, v90
	v_ashrrev_i32_e32 v91, 31, v90
	v_add_co_u32 v84, vcc_lo, s2, v84
	v_lshlrev_b64 v[88:89], 4, v[88:89]
	s_delay_alu instid0(VALU_DEP_4) | instskip(SKIP_3) | instid1(VALU_DEP_4)
	v_add_nc_u32_e32 v94, s11, v92
	v_ashrrev_i32_e32 v93, 31, v92
	v_add_co_ci_u32_e32 v85, vcc_lo, s3, v85, vcc_lo
	v_add_co_u32 v86, vcc_lo, s2, v86
	v_add_nc_u32_e32 v96, s11, v94
	v_lshlrev_b64 v[90:91], 4, v[90:91]
	v_ashrrev_i32_e32 v95, 31, v94
	v_add_co_ci_u32_e32 v87, vcc_lo, s3, v87, vcc_lo
	s_delay_alu instid0(VALU_DEP_4) | instskip(SKIP_3) | instid1(VALU_DEP_4)
	v_add_nc_u32_e32 v98, s11, v96
	v_add_co_u32 v88, vcc_lo, s2, v88
	v_lshlrev_b64 v[92:93], 4, v[92:93]
	v_ashrrev_i32_e32 v97, 31, v96
	v_add_nc_u32_e32 v100, s11, v98
	v_add_co_ci_u32_e32 v89, vcc_lo, s3, v89, vcc_lo
	v_add_co_u32 v90, vcc_lo, s2, v90
	s_delay_alu instid0(VALU_DEP_3) | instskip(SKIP_3) | instid1(VALU_DEP_4)
	v_add_nc_u32_e32 v102, s11, v100
	v_lshlrev_b64 v[94:95], 4, v[94:95]
	v_ashrrev_i32_e32 v99, 31, v98
	v_add_co_ci_u32_e32 v91, vcc_lo, s3, v91, vcc_lo
	v_add_nc_u32_e32 v104, s11, v102
	v_add_co_u32 v92, vcc_lo, s2, v92
	v_lshlrev_b64 v[96:97], 4, v[96:97]
	v_ashrrev_i32_e32 v101, 31, v100
	s_delay_alu instid0(VALU_DEP_4) | instskip(SKIP_2) | instid1(VALU_DEP_3)
	v_add_nc_u32_e32 v106, s11, v104
	v_add_co_ci_u32_e32 v93, vcc_lo, s3, v93, vcc_lo
	v_add_co_u32 v94, vcc_lo, s2, v94
	v_add_nc_u32_e32 v108, s11, v106
	v_lshlrev_b64 v[98:99], 4, v[98:99]
	v_ashrrev_i32_e32 v103, 31, v102
	v_add_co_ci_u32_e32 v95, vcc_lo, s3, v95, vcc_lo
	s_delay_alu instid0(VALU_DEP_4) | instskip(SKIP_3) | instid1(VALU_DEP_4)
	v_add_nc_u32_e32 v110, s11, v108
	v_add_co_u32 v96, vcc_lo, s2, v96
	v_lshlrev_b64 v[100:101], 4, v[100:101]
	v_ashrrev_i32_e32 v105, 31, v104
	v_add_nc_u32_e32 v112, s11, v110
	v_add_co_ci_u32_e32 v97, vcc_lo, s3, v97, vcc_lo
	v_add_co_u32 v98, vcc_lo, s2, v98
	s_delay_alu instid0(VALU_DEP_3) | instskip(SKIP_3) | instid1(VALU_DEP_4)
	v_add_nc_u32_e32 v114, s11, v112
	v_lshlrev_b64 v[102:103], 4, v[102:103]
	v_ashrrev_i32_e32 v107, 31, v106
	v_add_co_ci_u32_e32 v99, vcc_lo, s3, v99, vcc_lo
	v_add_nc_u32_e32 v116, s11, v114
	v_add_co_u32 v100, vcc_lo, s2, v100
	v_lshlrev_b64 v[104:105], 4, v[104:105]
	v_ashrrev_i32_e32 v109, 31, v108
	s_delay_alu instid0(VALU_DEP_4) | instskip(SKIP_2) | instid1(VALU_DEP_3)
	v_add_nc_u32_e32 v118, s11, v116
	v_add_co_ci_u32_e32 v101, vcc_lo, s3, v101, vcc_lo
	v_add_co_u32 v102, vcc_lo, s2, v102
	v_add_nc_u32_e32 v120, s11, v118
	v_lshlrev_b64 v[106:107], 4, v[106:107]
	v_ashrrev_i32_e32 v111, 31, v110
	v_add_co_ci_u32_e32 v103, vcc_lo, s3, v103, vcc_lo
	s_delay_alu instid0(VALU_DEP_4)
	v_add_nc_u32_e32 v122, s11, v120
	v_add_co_u32 v104, vcc_lo, s2, v104
	v_lshlrev_b64 v[108:109], 4, v[108:109]
	v_ashrrev_i32_e32 v113, 31, v112
	v_add_co_ci_u32_e32 v105, vcc_lo, s3, v105, vcc_lo
	v_add_co_u32 v106, vcc_lo, s2, v106
	v_lshlrev_b64 v[110:111], 4, v[110:111]
	v_ashrrev_i32_e32 v115, 31, v114
	v_add_nc_u32_e32 v124, s11, v122
	v_add_co_ci_u32_e32 v107, vcc_lo, s3, v107, vcc_lo
	v_add_co_u32 v108, vcc_lo, s2, v108
	v_lshlrev_b64 v[112:113], 4, v[112:113]
	v_ashrrev_i32_e32 v117, 31, v116
	v_add_co_ci_u32_e32 v109, vcc_lo, s3, v109, vcc_lo
	v_add_co_u32 v110, vcc_lo, s2, v110
	v_lshlrev_b64 v[114:115], 4, v[114:115]
	v_add_nc_u32_e32 v126, s11, v124
	v_ashrrev_i32_e32 v119, 31, v118
	v_add_co_ci_u32_e32 v111, vcc_lo, s3, v111, vcc_lo
	v_add_co_u32 v112, vcc_lo, s2, v112
	v_lshlrev_b64 v[116:117], 4, v[116:117]
	v_ashrrev_i32_e32 v121, 31, v120
	v_add_co_ci_u32_e32 v113, vcc_lo, s3, v113, vcc_lo
	v_add_nc_u32_e32 v128, s11, v126
	v_add_co_u32 v114, vcc_lo, s2, v114
	v_lshlrev_b64 v[118:119], 4, v[118:119]
	v_ashrrev_i32_e32 v123, 31, v122
	v_add_co_ci_u32_e32 v115, vcc_lo, s3, v115, vcc_lo
	v_add_co_u32 v116, vcc_lo, s2, v116
	v_lshlrev_b64 v[120:121], 4, v[120:121]
	v_ashrrev_i32_e32 v125, 31, v124
	v_add_nc_u32_e32 v130, s11, v128
	v_add_co_ci_u32_e32 v117, vcc_lo, s3, v117, vcc_lo
	v_add_co_u32 v118, vcc_lo, s2, v118
	v_lshlrev_b64 v[122:123], 4, v[122:123]
	v_ashrrev_i32_e32 v127, 31, v126
	v_add_co_ci_u32_e32 v119, vcc_lo, s3, v119, vcc_lo
	v_add_co_u32 v120, vcc_lo, s2, v120
	v_lshlrev_b64 v[124:125], 4, v[124:125]
	v_add_nc_u32_e32 v132, s11, v130
	v_ashrrev_i32_e32 v129, 31, v128
	v_add_co_ci_u32_e32 v121, vcc_lo, s3, v121, vcc_lo
	v_add_co_u32 v122, vcc_lo, s2, v122
	v_lshlrev_b64 v[126:127], 4, v[126:127]
	v_ashrrev_i32_e32 v131, 31, v130
	v_add_co_ci_u32_e32 v123, vcc_lo, s3, v123, vcc_lo
	v_add_nc_u32_e32 v134, s11, v132
	v_add_co_u32 v124, vcc_lo, s2, v124
	v_lshlrev_b64 v[128:129], 4, v[128:129]
	v_ashrrev_i32_e32 v133, 31, v132
	v_add_co_ci_u32_e32 v125, vcc_lo, s3, v125, vcc_lo
	s_clause 0x12
	global_load_b128 v[173:176], v[82:83], off
	global_load_b128 v[177:180], v[84:85], off
	;; [unrolled: 1-line block ×19, first 2 shown]
	v_add_co_u32 v126, vcc_lo, s2, v126
	v_add_nc_u32_e32 v136, s11, v134
	v_add_co_ci_u32_e32 v127, vcc_lo, s3, v127, vcc_lo
	v_add_co_u32 v128, vcc_lo, s2, v128
	v_add_co_ci_u32_e32 v129, vcc_lo, s3, v129, vcc_lo
	s_delay_alu instid0(VALU_DEP_4)
	v_add_nc_u32_e32 v138, s11, v136
	v_ashrrev_i32_e32 v135, 31, v134
	v_ashrrev_i32_e32 v137, 31, v136
	s_movk_i32 s34, 0x1c0
	s_movk_i32 s35, 0x1d0
	v_ashrrev_i32_e32 v139, 31, v138
	s_movk_i32 s36, 0x1e0
	s_movk_i32 s37, 0x1f0
	;; [unrolled: 1-line block ×21, first 2 shown]
	v_add_nc_u32_e64 v198, 0, 16
	v_add_nc_u32_e64 v197, 0, 32
	s_bitcmp0_b32 s21, 0
	s_waitcnt vmcnt(36)
	scratch_store_b128 off, v[1:4], off
	s_waitcnt vmcnt(35)
	scratch_store_b128 off, v[5:8], off offset:16
	s_waitcnt vmcnt(34)
	scratch_store_b128 off, v[9:12], off offset:32
	v_lshlrev_b64 v[9:10], 4, v[130:131]
	v_lshlrev_b64 v[11:12], 4, v[132:133]
	s_clause 0x1
	global_load_b128 v[1:4], v[120:121], off
	global_load_b128 v[5:8], v[122:123], off
	v_add_co_u32 v130, vcc_lo, s2, v9
	v_add_co_ci_u32_e32 v131, vcc_lo, s3, v10, vcc_lo
	v_add_co_u32 v132, vcc_lo, s2, v11
	v_add_co_ci_u32_e32 v133, vcc_lo, s3, v12, vcc_lo
	s_waitcnt vmcnt(35)
	scratch_store_b128 off, v[14:17], off offset:48
	s_waitcnt vmcnt(34)
	scratch_store_b128 off, v[18:21], off offset:64
	;; [unrolled: 2-line block ×3, first 2 shown]
	s_clause 0x1
	global_load_b128 v[9:12], v[124:125], off
	global_load_b128 v[14:17], v[126:127], off
	v_lshlrev_b64 v[18:19], 4, v[134:135]
	v_lshlrev_b64 v[20:21], 4, v[136:137]
	s_waitcnt vmcnt(34)
	scratch_store_b128 off, v[26:29], off offset:96
	v_add_nc_u32_e32 v26, s11, v138
	s_waitcnt vmcnt(33)
	scratch_store_b128 off, v[30:33], off offset:112
	s_waitcnt vmcnt(32)
	scratch_store_b128 off, v[34:37], off offset:128
	v_add_nc_u32_e32 v28, s11, v26
	v_ashrrev_i32_e32 v27, 31, v26
	v_add_co_u32 v134, vcc_lo, s2, v18
	v_lshlrev_b64 v[30:31], 4, v[138:139]
	s_delay_alu instid0(VALU_DEP_4) | instskip(SKIP_3) | instid1(VALU_DEP_4)
	v_add_nc_u32_e32 v193, s11, v28
	v_ashrrev_i32_e32 v29, 31, v28
	v_add_co_ci_u32_e32 v135, vcc_lo, s3, v19, vcc_lo
	v_add_co_u32 v136, vcc_lo, s2, v20
	v_add_nc_u32_e32 v195, s11, v193
	v_lshlrev_b64 v[26:27], 4, v[26:27]
	v_ashrrev_i32_e32 v194, 31, v193
	v_add_co_ci_u32_e32 v137, vcc_lo, s3, v21, vcc_lo
	v_add_co_u32 v138, vcc_lo, s2, v30
	v_lshlrev_b64 v[28:29], 4, v[28:29]
	v_ashrrev_i32_e32 v196, 31, v195
	v_add_co_ci_u32_e32 v139, vcc_lo, s3, v31, vcc_lo
	s_clause 0x1
	global_load_b128 v[18:21], v[128:129], off
	global_load_b128 v[22:25], v[130:131], off
	s_waitcnt vmcnt(33)
	scratch_store_b128 off, v[38:41], off offset:144
	v_add_co_u32 v140, vcc_lo, s2, v26
	s_waitcnt vmcnt(32)
	scratch_store_b128 off, v[42:45], off offset:160
	s_waitcnt vmcnt(31)
	scratch_store_b128 off, v[144:147], off offset:176
	v_lshlrev_b64 v[144:145], 4, v[193:194]
	v_add_co_ci_u32_e32 v141, vcc_lo, s3, v27, vcc_lo
	v_add_co_u32 v142, vcc_lo, s2, v28
	v_lshlrev_b64 v[146:147], 4, v[195:196]
	v_add_co_ci_u32_e32 v143, vcc_lo, s3, v29, vcc_lo
	v_add_co_u32 v144, vcc_lo, s2, v144
	v_add_co_ci_u32_e32 v145, vcc_lo, s3, v145, vcc_lo
	s_delay_alu instid0(VALU_DEP_4)
	v_add_co_u32 v146, vcc_lo, s2, v146
	s_clause 0x1
	global_load_b128 v[26:29], v[132:133], off
	global_load_b128 v[30:33], v[134:135], off
	s_waitcnt vmcnt(32)
	scratch_store_b128 off, v[149:152], off offset:192
	s_waitcnt vmcnt(31)
	scratch_store_b128 off, v[153:156], off offset:208
	s_clause 0x1
	global_load_b128 v[34:37], v[136:137], off
	global_load_b128 v[38:41], v[138:139], off
	v_add_co_ci_u32_e32 v147, vcc_lo, s3, v147, vcc_lo
	s_waitcnt vmcnt(32)
	scratch_store_b128 off, v[157:160], off offset:224
	s_waitcnt vmcnt(31)
	scratch_store_b128 off, v[161:164], off offset:240
	s_clause 0x1
	global_load_b128 v[42:45], v[140:141], off
	global_load_b128 v[154:157], v[142:143], off
	s_waitcnt vmcnt(32)
	scratch_store_b128 off, v[165:168], off offset:256
	s_waitcnt vmcnt(31)
	scratch_store_b128 off, v[169:172], off offset:272
	s_clause 0x1
	global_load_b128 v[158:161], v[144:145], off
	global_load_b128 v[162:165], v[146:147], off
	s_movk_i32 s2, 0x50
	s_movk_i32 s3, 0x60
	;; [unrolled: 1-line block ×3, first 2 shown]
	v_add_nc_u32_e64 v196, 0, 48
	v_add_nc_u32_e64 v195, 0, 64
	;; [unrolled: 1-line block ×17, first 2 shown]
	s_mov_b32 s3, -1
	s_waitcnt vmcnt(32)
	scratch_store_b128 off, v[173:176], off offset:288
	s_waitcnt vmcnt(31)
	scratch_store_b128 off, v[177:180], off offset:304
	;; [unrolled: 2-line block ×4, first 2 shown]
	v_add_nc_u32_e64 v201, s12, 0
	v_add_nc_u32_e64 v200, s13, 0
	;; [unrolled: 1-line block ×4, first 2 shown]
	s_waitcnt vmcnt(28)
	scratch_store_b128 off, v[203:206], off offset:352
	s_waitcnt vmcnt(27)
	scratch_store_b128 off, v[207:210], off offset:368
	v_add_nc_u32_e64 v182, s22, 0
	v_add_nc_u32_e64 v181, s23, 0
	;; [unrolled: 1-line block ×8, first 2 shown]
	s_waitcnt vmcnt(26)
	scratch_store_b128 off, v[211:214], off offset:384
	s_waitcnt vmcnt(25)
	scratch_store_b128 off, v[215:218], off offset:400
	v_add_nc_u32_e64 v173, s30, 0
	v_add_nc_u32_e64 v211, s36, 0
	;; [unrolled: 1-line block ×4, first 2 shown]
	s_waitcnt vmcnt(24)
	scratch_store_b128 off, v[219:222], off offset:416
	s_waitcnt vmcnt(23)
	scratch_store_b128 off, v[223:226], off offset:432
	v_add_nc_u32_e64 v208, s39, 0
	v_add_nc_u32_e64 v207, s40, 0
	v_add_nc_u32_e64 v206, s41, 0
	v_add_nc_u32_e64 v205, s42, 0
	v_add_nc_u32_e64 v204, s43, 0
	v_add_nc_u32_e64 v203, s44, 0
	v_add_nc_u32_e64 v202, s45, 0
	v_add_nc_u32_e64 v175, s46, 0
	s_waitcnt vmcnt(22)
	scratch_store_b128 off, v[227:230], off offset:448
	s_waitcnt vmcnt(21)
	scratch_store_b128 off, v[231:234], off offset:464
	;; [unrolled: 2-line block ×20, first 2 shown]
	v_add_nc_u32_e64 v191, s50, 0
	v_add_nc_u32_e64 v190, s51, 0
	;; [unrolled: 1-line block ×7, first 2 shown]
	s_waitcnt vmcnt(2)
	scratch_store_b128 off, v[154:157], off offset:768
	s_waitcnt vmcnt(1)
	scratch_store_b128 off, v[158:161], off offset:784
	;; [unrolled: 2-line block ×3, first 2 shown]
	s_cbranch_scc1 .LBB50_216
; %bb.4:
	v_cmp_eq_u32_e64 s2, 0, v148
	s_delay_alu instid0(VALU_DEP_1)
	s_and_saveexec_b32 s3, s2
	s_cbranch_execz .LBB50_6
; %bb.5:
	v_mov_b32_e32 v1, 0
	ds_store_b32 v1, v1 offset:1632
.LBB50_6:
	s_or_b32 exec_lo, exec_lo, s3
	s_waitcnt lgkmcnt(0)
	s_waitcnt_vscnt null, 0x0
	s_barrier
	buffer_gl0_inv
	scratch_load_b128 v[1:4], v13, off
	s_waitcnt vmcnt(0)
	v_cmp_eq_f64_e32 vcc_lo, 0, v[1:2]
	v_cmp_eq_f64_e64 s3, 0, v[3:4]
	s_delay_alu instid0(VALU_DEP_1) | instskip(NEXT) | instid1(SALU_CYCLE_1)
	s_and_b32 s3, vcc_lo, s3
	s_and_saveexec_b32 s4, s3
	s_cbranch_execz .LBB50_10
; %bb.7:
	v_mov_b32_e32 v1, 0
	s_mov_b32 s5, 0
	ds_load_b32 v2, v1 offset:1632
	s_waitcnt lgkmcnt(0)
	v_readfirstlane_b32 s3, v2
	v_add_nc_u32_e32 v2, 1, v148
	s_delay_alu instid0(VALU_DEP_2) | instskip(NEXT) | instid1(VALU_DEP_1)
	s_cmp_eq_u32 s3, 0
	v_cmp_gt_i32_e32 vcc_lo, s3, v2
	s_cselect_b32 s8, -1, 0
	s_delay_alu instid0(SALU_CYCLE_1) | instskip(NEXT) | instid1(SALU_CYCLE_1)
	s_or_b32 s8, s8, vcc_lo
	s_and_b32 exec_lo, exec_lo, s8
	s_cbranch_execz .LBB50_10
; %bb.8:
	v_mov_b32_e32 v3, s3
.LBB50_9:                               ; =>This Inner Loop Header: Depth=1
	ds_cmpstore_rtn_b32 v3, v1, v2, v3 offset:1632
	s_waitcnt lgkmcnt(0)
	v_cmp_ne_u32_e32 vcc_lo, 0, v3
	v_cmp_le_i32_e64 s3, v3, v2
	s_delay_alu instid0(VALU_DEP_1) | instskip(NEXT) | instid1(SALU_CYCLE_1)
	s_and_b32 s3, vcc_lo, s3
	s_and_b32 s3, exec_lo, s3
	s_delay_alu instid0(SALU_CYCLE_1) | instskip(NEXT) | instid1(SALU_CYCLE_1)
	s_or_b32 s5, s3, s5
	s_and_not1_b32 exec_lo, exec_lo, s5
	s_cbranch_execnz .LBB50_9
.LBB50_10:
	s_or_b32 exec_lo, exec_lo, s4
	v_mov_b32_e32 v1, 0
	s_barrier
	buffer_gl0_inv
	ds_load_b32 v2, v1 offset:1632
	s_and_saveexec_b32 s3, s2
	s_cbranch_execz .LBB50_12
; %bb.11:
	s_lshl_b64 s[4:5], s[18:19], 2
	s_delay_alu instid0(SALU_CYCLE_1)
	s_add_u32 s4, s6, s4
	s_addc_u32 s5, s7, s5
	s_waitcnt lgkmcnt(0)
	global_store_b32 v1, v2, s[4:5]
.LBB50_12:
	s_or_b32 exec_lo, exec_lo, s3
	s_waitcnt lgkmcnt(0)
	v_cmp_ne_u32_e32 vcc_lo, 0, v2
	s_mov_b32 s3, 0
	s_cbranch_vccnz .LBB50_216
; %bb.13:
	v_add_nc_u32_e32 v14, 0, v13
                                        ; implicit-def: $vgpr9_vgpr10
	scratch_load_b128 v[1:4], v14, off
	s_waitcnt vmcnt(0)
	v_mov_b32_e32 v5, v1
	v_cmp_gt_f64_e32 vcc_lo, 0, v[1:2]
	v_xor_b32_e32 v6, 0x80000000, v2
	v_xor_b32_e32 v7, 0x80000000, v4
	s_delay_alu instid0(VALU_DEP_2) | instskip(SKIP_1) | instid1(VALU_DEP_3)
	v_cndmask_b32_e32 v6, v2, v6, vcc_lo
	v_cmp_gt_f64_e32 vcc_lo, 0, v[3:4]
	v_dual_cndmask_b32 v8, v4, v7 :: v_dual_mov_b32 v7, v3
	s_delay_alu instid0(VALU_DEP_1) | instskip(SKIP_1) | instid1(SALU_CYCLE_1)
	v_cmp_ngt_f64_e32 vcc_lo, v[5:6], v[7:8]
                                        ; implicit-def: $vgpr5_vgpr6
	s_and_saveexec_b32 s3, vcc_lo
	s_xor_b32 s3, exec_lo, s3
	s_cbranch_execz .LBB50_15
; %bb.14:
	v_div_scale_f64 v[5:6], null, v[3:4], v[3:4], v[1:2]
	v_div_scale_f64 v[11:12], vcc_lo, v[1:2], v[3:4], v[1:2]
	s_delay_alu instid0(VALU_DEP_2) | instskip(SKIP_2) | instid1(VALU_DEP_1)
	v_rcp_f64_e32 v[7:8], v[5:6]
	s_waitcnt_depctr 0xfff
	v_fma_f64 v[9:10], -v[5:6], v[7:8], 1.0
	v_fma_f64 v[7:8], v[7:8], v[9:10], v[7:8]
	s_delay_alu instid0(VALU_DEP_1) | instskip(NEXT) | instid1(VALU_DEP_1)
	v_fma_f64 v[9:10], -v[5:6], v[7:8], 1.0
	v_fma_f64 v[7:8], v[7:8], v[9:10], v[7:8]
	s_delay_alu instid0(VALU_DEP_1) | instskip(NEXT) | instid1(VALU_DEP_1)
	v_mul_f64 v[9:10], v[11:12], v[7:8]
	v_fma_f64 v[5:6], -v[5:6], v[9:10], v[11:12]
	s_delay_alu instid0(VALU_DEP_1) | instskip(NEXT) | instid1(VALU_DEP_1)
	v_div_fmas_f64 v[5:6], v[5:6], v[7:8], v[9:10]
	v_div_fixup_f64 v[5:6], v[5:6], v[3:4], v[1:2]
	s_delay_alu instid0(VALU_DEP_1) | instskip(NEXT) | instid1(VALU_DEP_1)
	v_fma_f64 v[1:2], v[1:2], v[5:6], v[3:4]
	v_div_scale_f64 v[3:4], null, v[1:2], v[1:2], 1.0
	v_div_scale_f64 v[11:12], vcc_lo, 1.0, v[1:2], 1.0
	s_delay_alu instid0(VALU_DEP_2) | instskip(SKIP_2) | instid1(VALU_DEP_1)
	v_rcp_f64_e32 v[7:8], v[3:4]
	s_waitcnt_depctr 0xfff
	v_fma_f64 v[9:10], -v[3:4], v[7:8], 1.0
	v_fma_f64 v[7:8], v[7:8], v[9:10], v[7:8]
	s_delay_alu instid0(VALU_DEP_1) | instskip(NEXT) | instid1(VALU_DEP_1)
	v_fma_f64 v[9:10], -v[3:4], v[7:8], 1.0
	v_fma_f64 v[7:8], v[7:8], v[9:10], v[7:8]
	s_delay_alu instid0(VALU_DEP_1) | instskip(NEXT) | instid1(VALU_DEP_1)
	v_mul_f64 v[9:10], v[11:12], v[7:8]
	v_fma_f64 v[3:4], -v[3:4], v[9:10], v[11:12]
	s_delay_alu instid0(VALU_DEP_1) | instskip(NEXT) | instid1(VALU_DEP_1)
	v_div_fmas_f64 v[3:4], v[3:4], v[7:8], v[9:10]
	v_div_fixup_f64 v[7:8], v[3:4], v[1:2], 1.0
                                        ; implicit-def: $vgpr1_vgpr2
	s_delay_alu instid0(VALU_DEP_1) | instskip(SKIP_1) | instid1(VALU_DEP_2)
	v_mul_f64 v[5:6], v[5:6], v[7:8]
	v_xor_b32_e32 v8, 0x80000000, v8
	v_xor_b32_e32 v10, 0x80000000, v6
	s_delay_alu instid0(VALU_DEP_3)
	v_mov_b32_e32 v9, v5
.LBB50_15:
	s_and_not1_saveexec_b32 s3, s3
	s_cbranch_execz .LBB50_17
; %bb.16:
	v_div_scale_f64 v[5:6], null, v[1:2], v[1:2], v[3:4]
	v_div_scale_f64 v[11:12], vcc_lo, v[3:4], v[1:2], v[3:4]
	s_delay_alu instid0(VALU_DEP_2) | instskip(SKIP_2) | instid1(VALU_DEP_1)
	v_rcp_f64_e32 v[7:8], v[5:6]
	s_waitcnt_depctr 0xfff
	v_fma_f64 v[9:10], -v[5:6], v[7:8], 1.0
	v_fma_f64 v[7:8], v[7:8], v[9:10], v[7:8]
	s_delay_alu instid0(VALU_DEP_1) | instskip(NEXT) | instid1(VALU_DEP_1)
	v_fma_f64 v[9:10], -v[5:6], v[7:8], 1.0
	v_fma_f64 v[7:8], v[7:8], v[9:10], v[7:8]
	s_delay_alu instid0(VALU_DEP_1) | instskip(NEXT) | instid1(VALU_DEP_1)
	v_mul_f64 v[9:10], v[11:12], v[7:8]
	v_fma_f64 v[5:6], -v[5:6], v[9:10], v[11:12]
	s_delay_alu instid0(VALU_DEP_1) | instskip(NEXT) | instid1(VALU_DEP_1)
	v_div_fmas_f64 v[5:6], v[5:6], v[7:8], v[9:10]
	v_div_fixup_f64 v[7:8], v[5:6], v[1:2], v[3:4]
	s_delay_alu instid0(VALU_DEP_1) | instskip(NEXT) | instid1(VALU_DEP_1)
	v_fma_f64 v[1:2], v[3:4], v[7:8], v[1:2]
	v_div_scale_f64 v[3:4], null, v[1:2], v[1:2], 1.0
	s_delay_alu instid0(VALU_DEP_1) | instskip(SKIP_2) | instid1(VALU_DEP_1)
	v_rcp_f64_e32 v[5:6], v[3:4]
	s_waitcnt_depctr 0xfff
	v_fma_f64 v[9:10], -v[3:4], v[5:6], 1.0
	v_fma_f64 v[5:6], v[5:6], v[9:10], v[5:6]
	s_delay_alu instid0(VALU_DEP_1) | instskip(NEXT) | instid1(VALU_DEP_1)
	v_fma_f64 v[9:10], -v[3:4], v[5:6], 1.0
	v_fma_f64 v[5:6], v[5:6], v[9:10], v[5:6]
	v_div_scale_f64 v[9:10], vcc_lo, 1.0, v[1:2], 1.0
	s_delay_alu instid0(VALU_DEP_1) | instskip(NEXT) | instid1(VALU_DEP_1)
	v_mul_f64 v[11:12], v[9:10], v[5:6]
	v_fma_f64 v[3:4], -v[3:4], v[11:12], v[9:10]
	s_delay_alu instid0(VALU_DEP_1) | instskip(NEXT) | instid1(VALU_DEP_1)
	v_div_fmas_f64 v[3:4], v[3:4], v[5:6], v[11:12]
	v_div_fixup_f64 v[5:6], v[3:4], v[1:2], 1.0
	s_delay_alu instid0(VALU_DEP_1)
	v_mul_f64 v[7:8], v[7:8], -v[5:6]
	v_xor_b32_e32 v10, 0x80000000, v6
	v_mov_b32_e32 v9, v5
.LBB50_17:
	s_or_b32 exec_lo, exec_lo, s3
	scratch_store_b128 v14, v[5:8], off
	scratch_load_b128 v[1:4], v198, off
	v_xor_b32_e32 v12, 0x80000000, v8
	v_mov_b32_e32 v11, v7
	v_add_nc_u32_e32 v5, 0x330, v13
	ds_store_b128 v13, v[9:12]
	s_waitcnt vmcnt(0)
	ds_store_b128 v13, v[1:4] offset:816
	s_waitcnt lgkmcnt(0)
	s_waitcnt_vscnt null, 0x0
	s_barrier
	buffer_gl0_inv
	s_and_saveexec_b32 s3, s2
	s_cbranch_execz .LBB50_19
; %bb.18:
	scratch_load_b128 v[1:4], v14, off
	ds_load_b128 v[6:9], v5
	v_mov_b32_e32 v10, 0
	ds_load_b128 v[15:18], v10 offset:16
	s_waitcnt vmcnt(0) lgkmcnt(1)
	v_mul_f64 v[10:11], v[6:7], v[3:4]
	v_mul_f64 v[3:4], v[8:9], v[3:4]
	s_delay_alu instid0(VALU_DEP_2) | instskip(NEXT) | instid1(VALU_DEP_2)
	v_fma_f64 v[8:9], v[8:9], v[1:2], v[10:11]
	v_fma_f64 v[1:2], v[6:7], v[1:2], -v[3:4]
	s_delay_alu instid0(VALU_DEP_2) | instskip(NEXT) | instid1(VALU_DEP_2)
	v_add_f64 v[3:4], v[8:9], 0
	v_add_f64 v[1:2], v[1:2], 0
	s_waitcnt lgkmcnt(0)
	s_delay_alu instid0(VALU_DEP_2) | instskip(NEXT) | instid1(VALU_DEP_2)
	v_mul_f64 v[6:7], v[3:4], v[17:18]
	v_mul_f64 v[8:9], v[1:2], v[17:18]
	s_delay_alu instid0(VALU_DEP_2) | instskip(NEXT) | instid1(VALU_DEP_2)
	v_fma_f64 v[1:2], v[1:2], v[15:16], -v[6:7]
	v_fma_f64 v[3:4], v[3:4], v[15:16], v[8:9]
	scratch_store_b128 off, v[1:4], off offset:16
.LBB50_19:
	s_or_b32 exec_lo, exec_lo, s3
	s_waitcnt_vscnt null, 0x0
	s_barrier
	buffer_gl0_inv
	scratch_load_b128 v[1:4], v197, off
	s_mov_b32 s3, exec_lo
	s_waitcnt vmcnt(0)
	ds_store_b128 v5, v[1:4]
	s_waitcnt lgkmcnt(0)
	s_barrier
	buffer_gl0_inv
	v_cmpx_gt_u32_e32 2, v148
	s_cbranch_execz .LBB50_23
; %bb.20:
	scratch_load_b128 v[1:4], v14, off
	ds_load_b128 v[6:9], v5
	s_waitcnt vmcnt(0) lgkmcnt(0)
	v_mul_f64 v[10:11], v[8:9], v[3:4]
	v_mul_f64 v[3:4], v[6:7], v[3:4]
	s_delay_alu instid0(VALU_DEP_2) | instskip(NEXT) | instid1(VALU_DEP_2)
	v_fma_f64 v[6:7], v[6:7], v[1:2], -v[10:11]
	v_fma_f64 v[3:4], v[8:9], v[1:2], v[3:4]
	s_delay_alu instid0(VALU_DEP_2) | instskip(NEXT) | instid1(VALU_DEP_2)
	v_add_f64 v[1:2], v[6:7], 0
	v_add_f64 v[3:4], v[3:4], 0
	s_and_saveexec_b32 s4, s2
	s_cbranch_execz .LBB50_22
; %bb.21:
	scratch_load_b128 v[6:9], off, off offset:16
	v_mov_b32_e32 v10, 0
	ds_load_b128 v[15:18], v10 offset:832
	s_waitcnt vmcnt(0) lgkmcnt(0)
	v_mul_f64 v[10:11], v[15:16], v[8:9]
	v_mul_f64 v[8:9], v[17:18], v[8:9]
	s_delay_alu instid0(VALU_DEP_2) | instskip(NEXT) | instid1(VALU_DEP_2)
	v_fma_f64 v[10:11], v[17:18], v[6:7], v[10:11]
	v_fma_f64 v[6:7], v[15:16], v[6:7], -v[8:9]
	s_delay_alu instid0(VALU_DEP_2) | instskip(NEXT) | instid1(VALU_DEP_2)
	v_add_f64 v[3:4], v[3:4], v[10:11]
	v_add_f64 v[1:2], v[1:2], v[6:7]
.LBB50_22:
	s_or_b32 exec_lo, exec_lo, s4
	v_mov_b32_e32 v6, 0
	ds_load_b128 v[6:9], v6 offset:32
	s_waitcnt lgkmcnt(0)
	v_mul_f64 v[10:11], v[3:4], v[8:9]
	v_mul_f64 v[8:9], v[1:2], v[8:9]
	s_delay_alu instid0(VALU_DEP_2) | instskip(NEXT) | instid1(VALU_DEP_2)
	v_fma_f64 v[1:2], v[1:2], v[6:7], -v[10:11]
	v_fma_f64 v[3:4], v[3:4], v[6:7], v[8:9]
	scratch_store_b128 off, v[1:4], off offset:32
.LBB50_23:
	s_or_b32 exec_lo, exec_lo, s3
	s_waitcnt_vscnt null, 0x0
	s_barrier
	buffer_gl0_inv
	scratch_load_b128 v[1:4], v196, off
	v_add_nc_u32_e32 v6, -1, v148
	s_mov_b32 s2, exec_lo
	s_waitcnt vmcnt(0)
	ds_store_b128 v5, v[1:4]
	s_waitcnt lgkmcnt(0)
	s_barrier
	buffer_gl0_inv
	v_cmpx_gt_u32_e32 3, v148
	s_cbranch_execz .LBB50_27
; %bb.24:
	v_dual_mov_b32 v1, 0 :: v_dual_add_nc_u32 v8, 0x330, v13
	v_dual_mov_b32 v2, 0 :: v_dual_add_nc_u32 v7, -1, v148
	v_or_b32_e32 v9, 8, v14
	s_mov_b32 s3, 0
	s_delay_alu instid0(VALU_DEP_2)
	v_dual_mov_b32 v4, v2 :: v_dual_mov_b32 v3, v1
	.p2align	6
.LBB50_25:                              ; =>This Inner Loop Header: Depth=1
	scratch_load_b128 v[15:18], v9, off offset:-8
	ds_load_b128 v[19:22], v8
	v_add_nc_u32_e32 v7, 1, v7
	v_add_nc_u32_e32 v8, 16, v8
	;; [unrolled: 1-line block ×3, first 2 shown]
	s_delay_alu instid0(VALU_DEP_3) | instskip(SKIP_4) | instid1(VALU_DEP_2)
	v_cmp_lt_u32_e32 vcc_lo, 1, v7
	s_or_b32 s3, vcc_lo, s3
	s_waitcnt vmcnt(0) lgkmcnt(0)
	v_mul_f64 v[10:11], v[21:22], v[17:18]
	v_mul_f64 v[17:18], v[19:20], v[17:18]
	v_fma_f64 v[10:11], v[19:20], v[15:16], -v[10:11]
	s_delay_alu instid0(VALU_DEP_2) | instskip(NEXT) | instid1(VALU_DEP_2)
	v_fma_f64 v[15:16], v[21:22], v[15:16], v[17:18]
	v_add_f64 v[3:4], v[3:4], v[10:11]
	s_delay_alu instid0(VALU_DEP_2)
	v_add_f64 v[1:2], v[1:2], v[15:16]
	s_and_not1_b32 exec_lo, exec_lo, s3
	s_cbranch_execnz .LBB50_25
; %bb.26:
	s_or_b32 exec_lo, exec_lo, s3
	v_mov_b32_e32 v7, 0
	ds_load_b128 v[7:10], v7 offset:48
	s_waitcnt lgkmcnt(0)
	v_mul_f64 v[11:12], v[1:2], v[9:10]
	v_mul_f64 v[15:16], v[3:4], v[9:10]
	s_delay_alu instid0(VALU_DEP_2) | instskip(NEXT) | instid1(VALU_DEP_2)
	v_fma_f64 v[9:10], v[3:4], v[7:8], -v[11:12]
	v_fma_f64 v[11:12], v[1:2], v[7:8], v[15:16]
	scratch_store_b128 off, v[9:12], off offset:48
.LBB50_27:
	s_or_b32 exec_lo, exec_lo, s2
	s_waitcnt_vscnt null, 0x0
	s_barrier
	buffer_gl0_inv
	scratch_load_b128 v[1:4], v195, off
	s_mov_b32 s2, exec_lo
	s_waitcnt vmcnt(0)
	ds_store_b128 v5, v[1:4]
	s_waitcnt lgkmcnt(0)
	s_barrier
	buffer_gl0_inv
	v_cmpx_gt_u32_e32 4, v148
	s_cbranch_execz .LBB50_31
; %bb.28:
	v_dual_mov_b32 v1, 0 :: v_dual_add_nc_u32 v8, 0x330, v13
	v_dual_mov_b32 v2, 0 :: v_dual_add_nc_u32 v7, -1, v148
	v_or_b32_e32 v9, 8, v14
	s_mov_b32 s3, 0
	s_delay_alu instid0(VALU_DEP_2)
	v_dual_mov_b32 v4, v2 :: v_dual_mov_b32 v3, v1
	.p2align	6
.LBB50_29:                              ; =>This Inner Loop Header: Depth=1
	scratch_load_b128 v[15:18], v9, off offset:-8
	ds_load_b128 v[19:22], v8
	v_add_nc_u32_e32 v7, 1, v7
	v_add_nc_u32_e32 v8, 16, v8
	;; [unrolled: 1-line block ×3, first 2 shown]
	s_delay_alu instid0(VALU_DEP_3) | instskip(SKIP_4) | instid1(VALU_DEP_2)
	v_cmp_lt_u32_e32 vcc_lo, 2, v7
	s_or_b32 s3, vcc_lo, s3
	s_waitcnt vmcnt(0) lgkmcnt(0)
	v_mul_f64 v[10:11], v[21:22], v[17:18]
	v_mul_f64 v[17:18], v[19:20], v[17:18]
	v_fma_f64 v[10:11], v[19:20], v[15:16], -v[10:11]
	s_delay_alu instid0(VALU_DEP_2) | instskip(NEXT) | instid1(VALU_DEP_2)
	v_fma_f64 v[15:16], v[21:22], v[15:16], v[17:18]
	v_add_f64 v[3:4], v[3:4], v[10:11]
	s_delay_alu instid0(VALU_DEP_2)
	v_add_f64 v[1:2], v[1:2], v[15:16]
	s_and_not1_b32 exec_lo, exec_lo, s3
	s_cbranch_execnz .LBB50_29
; %bb.30:
	s_or_b32 exec_lo, exec_lo, s3
	v_mov_b32_e32 v7, 0
	ds_load_b128 v[7:10], v7 offset:64
	s_waitcnt lgkmcnt(0)
	v_mul_f64 v[11:12], v[1:2], v[9:10]
	v_mul_f64 v[15:16], v[3:4], v[9:10]
	s_delay_alu instid0(VALU_DEP_2) | instskip(NEXT) | instid1(VALU_DEP_2)
	v_fma_f64 v[9:10], v[3:4], v[7:8], -v[11:12]
	v_fma_f64 v[11:12], v[1:2], v[7:8], v[15:16]
	scratch_store_b128 off, v[9:12], off offset:64
.LBB50_31:
	s_or_b32 exec_lo, exec_lo, s2
	s_waitcnt_vscnt null, 0x0
	s_barrier
	buffer_gl0_inv
	scratch_load_b128 v[1:4], v194, off
	s_mov_b32 s2, exec_lo
	s_waitcnt vmcnt(0)
	ds_store_b128 v5, v[1:4]
	s_waitcnt lgkmcnt(0)
	s_barrier
	buffer_gl0_inv
	v_cmpx_gt_u32_e32 5, v148
	s_cbranch_execz .LBB50_35
; %bb.32:
	v_dual_mov_b32 v1, 0 :: v_dual_add_nc_u32 v8, 0x330, v13
	v_dual_mov_b32 v2, 0 :: v_dual_add_nc_u32 v7, -1, v148
	v_or_b32_e32 v9, 8, v14
	s_mov_b32 s3, 0
	s_delay_alu instid0(VALU_DEP_2)
	v_dual_mov_b32 v4, v2 :: v_dual_mov_b32 v3, v1
	.p2align	6
.LBB50_33:                              ; =>This Inner Loop Header: Depth=1
	scratch_load_b128 v[15:18], v9, off offset:-8
	ds_load_b128 v[19:22], v8
	v_add_nc_u32_e32 v7, 1, v7
	v_add_nc_u32_e32 v8, 16, v8
	;; [unrolled: 1-line block ×3, first 2 shown]
	s_delay_alu instid0(VALU_DEP_3) | instskip(SKIP_4) | instid1(VALU_DEP_2)
	v_cmp_lt_u32_e32 vcc_lo, 3, v7
	s_or_b32 s3, vcc_lo, s3
	s_waitcnt vmcnt(0) lgkmcnt(0)
	v_mul_f64 v[10:11], v[21:22], v[17:18]
	v_mul_f64 v[17:18], v[19:20], v[17:18]
	v_fma_f64 v[10:11], v[19:20], v[15:16], -v[10:11]
	s_delay_alu instid0(VALU_DEP_2) | instskip(NEXT) | instid1(VALU_DEP_2)
	v_fma_f64 v[15:16], v[21:22], v[15:16], v[17:18]
	v_add_f64 v[3:4], v[3:4], v[10:11]
	s_delay_alu instid0(VALU_DEP_2)
	v_add_f64 v[1:2], v[1:2], v[15:16]
	s_and_not1_b32 exec_lo, exec_lo, s3
	s_cbranch_execnz .LBB50_33
; %bb.34:
	s_or_b32 exec_lo, exec_lo, s3
	v_mov_b32_e32 v7, 0
	ds_load_b128 v[7:10], v7 offset:80
	s_waitcnt lgkmcnt(0)
	v_mul_f64 v[11:12], v[1:2], v[9:10]
	v_mul_f64 v[15:16], v[3:4], v[9:10]
	s_delay_alu instid0(VALU_DEP_2) | instskip(NEXT) | instid1(VALU_DEP_2)
	v_fma_f64 v[9:10], v[3:4], v[7:8], -v[11:12]
	v_fma_f64 v[11:12], v[1:2], v[7:8], v[15:16]
	scratch_store_b128 off, v[9:12], off offset:80
.LBB50_35:
	s_or_b32 exec_lo, exec_lo, s2
	s_waitcnt_vscnt null, 0x0
	s_barrier
	buffer_gl0_inv
	scratch_load_b128 v[1:4], v193, off
	s_mov_b32 s2, exec_lo
	s_waitcnt vmcnt(0)
	ds_store_b128 v5, v[1:4]
	s_waitcnt lgkmcnt(0)
	s_barrier
	buffer_gl0_inv
	v_cmpx_gt_u32_e32 6, v148
	s_cbranch_execz .LBB50_39
; %bb.36:
	v_dual_mov_b32 v1, 0 :: v_dual_add_nc_u32 v8, 0x330, v13
	v_dual_mov_b32 v2, 0 :: v_dual_add_nc_u32 v7, -1, v148
	v_or_b32_e32 v9, 8, v14
	s_mov_b32 s3, 0
	s_delay_alu instid0(VALU_DEP_2)
	v_dual_mov_b32 v4, v2 :: v_dual_mov_b32 v3, v1
	.p2align	6
.LBB50_37:                              ; =>This Inner Loop Header: Depth=1
	scratch_load_b128 v[15:18], v9, off offset:-8
	ds_load_b128 v[19:22], v8
	v_add_nc_u32_e32 v7, 1, v7
	v_add_nc_u32_e32 v8, 16, v8
	;; [unrolled: 1-line block ×3, first 2 shown]
	s_delay_alu instid0(VALU_DEP_3) | instskip(SKIP_4) | instid1(VALU_DEP_2)
	v_cmp_lt_u32_e32 vcc_lo, 4, v7
	s_or_b32 s3, vcc_lo, s3
	s_waitcnt vmcnt(0) lgkmcnt(0)
	v_mul_f64 v[10:11], v[21:22], v[17:18]
	v_mul_f64 v[17:18], v[19:20], v[17:18]
	v_fma_f64 v[10:11], v[19:20], v[15:16], -v[10:11]
	s_delay_alu instid0(VALU_DEP_2) | instskip(NEXT) | instid1(VALU_DEP_2)
	v_fma_f64 v[15:16], v[21:22], v[15:16], v[17:18]
	v_add_f64 v[3:4], v[3:4], v[10:11]
	s_delay_alu instid0(VALU_DEP_2)
	v_add_f64 v[1:2], v[1:2], v[15:16]
	s_and_not1_b32 exec_lo, exec_lo, s3
	s_cbranch_execnz .LBB50_37
; %bb.38:
	s_or_b32 exec_lo, exec_lo, s3
	v_mov_b32_e32 v7, 0
	ds_load_b128 v[7:10], v7 offset:96
	s_waitcnt lgkmcnt(0)
	v_mul_f64 v[11:12], v[1:2], v[9:10]
	v_mul_f64 v[15:16], v[3:4], v[9:10]
	s_delay_alu instid0(VALU_DEP_2) | instskip(NEXT) | instid1(VALU_DEP_2)
	v_fma_f64 v[9:10], v[3:4], v[7:8], -v[11:12]
	v_fma_f64 v[11:12], v[1:2], v[7:8], v[15:16]
	scratch_store_b128 off, v[9:12], off offset:96
.LBB50_39:
	s_or_b32 exec_lo, exec_lo, s2
	s_waitcnt_vscnt null, 0x0
	s_barrier
	buffer_gl0_inv
	scratch_load_b128 v[1:4], v153, off
	s_mov_b32 s2, exec_lo
	s_waitcnt vmcnt(0)
	ds_store_b128 v5, v[1:4]
	s_waitcnt lgkmcnt(0)
	s_barrier
	buffer_gl0_inv
	v_cmpx_gt_u32_e32 7, v148
	s_cbranch_execz .LBB50_43
; %bb.40:
	v_dual_mov_b32 v1, 0 :: v_dual_add_nc_u32 v8, 0x330, v13
	v_dual_mov_b32 v2, 0 :: v_dual_add_nc_u32 v7, -1, v148
	v_or_b32_e32 v9, 8, v14
	s_mov_b32 s3, 0
	s_delay_alu instid0(VALU_DEP_2)
	v_dual_mov_b32 v4, v2 :: v_dual_mov_b32 v3, v1
	.p2align	6
.LBB50_41:                              ; =>This Inner Loop Header: Depth=1
	scratch_load_b128 v[15:18], v9, off offset:-8
	ds_load_b128 v[19:22], v8
	v_add_nc_u32_e32 v7, 1, v7
	v_add_nc_u32_e32 v8, 16, v8
	;; [unrolled: 1-line block ×3, first 2 shown]
	s_delay_alu instid0(VALU_DEP_3) | instskip(SKIP_4) | instid1(VALU_DEP_2)
	v_cmp_lt_u32_e32 vcc_lo, 5, v7
	s_or_b32 s3, vcc_lo, s3
	s_waitcnt vmcnt(0) lgkmcnt(0)
	v_mul_f64 v[10:11], v[21:22], v[17:18]
	v_mul_f64 v[17:18], v[19:20], v[17:18]
	v_fma_f64 v[10:11], v[19:20], v[15:16], -v[10:11]
	s_delay_alu instid0(VALU_DEP_2) | instskip(NEXT) | instid1(VALU_DEP_2)
	v_fma_f64 v[15:16], v[21:22], v[15:16], v[17:18]
	v_add_f64 v[3:4], v[3:4], v[10:11]
	s_delay_alu instid0(VALU_DEP_2)
	v_add_f64 v[1:2], v[1:2], v[15:16]
	s_and_not1_b32 exec_lo, exec_lo, s3
	s_cbranch_execnz .LBB50_41
; %bb.42:
	s_or_b32 exec_lo, exec_lo, s3
	v_mov_b32_e32 v7, 0
	ds_load_b128 v[7:10], v7 offset:112
	s_waitcnt lgkmcnt(0)
	v_mul_f64 v[11:12], v[1:2], v[9:10]
	v_mul_f64 v[15:16], v[3:4], v[9:10]
	s_delay_alu instid0(VALU_DEP_2) | instskip(NEXT) | instid1(VALU_DEP_2)
	v_fma_f64 v[9:10], v[3:4], v[7:8], -v[11:12]
	v_fma_f64 v[11:12], v[1:2], v[7:8], v[15:16]
	scratch_store_b128 off, v[9:12], off offset:112
.LBB50_43:
	s_or_b32 exec_lo, exec_lo, s2
	s_waitcnt_vscnt null, 0x0
	s_barrier
	buffer_gl0_inv
	scratch_load_b128 v[1:4], v151, off
	s_mov_b32 s2, exec_lo
	s_waitcnt vmcnt(0)
	ds_store_b128 v5, v[1:4]
	s_waitcnt lgkmcnt(0)
	s_barrier
	buffer_gl0_inv
	v_cmpx_gt_u32_e32 8, v148
	s_cbranch_execz .LBB50_47
; %bb.44:
	v_dual_mov_b32 v1, 0 :: v_dual_add_nc_u32 v8, 0x330, v13
	v_dual_mov_b32 v2, 0 :: v_dual_add_nc_u32 v7, -1, v148
	v_or_b32_e32 v9, 8, v14
	s_mov_b32 s3, 0
	s_delay_alu instid0(VALU_DEP_2)
	v_dual_mov_b32 v4, v2 :: v_dual_mov_b32 v3, v1
	.p2align	6
.LBB50_45:                              ; =>This Inner Loop Header: Depth=1
	scratch_load_b128 v[15:18], v9, off offset:-8
	ds_load_b128 v[19:22], v8
	v_add_nc_u32_e32 v7, 1, v7
	v_add_nc_u32_e32 v8, 16, v8
	;; [unrolled: 1-line block ×3, first 2 shown]
	s_delay_alu instid0(VALU_DEP_3) | instskip(SKIP_4) | instid1(VALU_DEP_2)
	v_cmp_lt_u32_e32 vcc_lo, 6, v7
	s_or_b32 s3, vcc_lo, s3
	s_waitcnt vmcnt(0) lgkmcnt(0)
	v_mul_f64 v[10:11], v[21:22], v[17:18]
	v_mul_f64 v[17:18], v[19:20], v[17:18]
	v_fma_f64 v[10:11], v[19:20], v[15:16], -v[10:11]
	s_delay_alu instid0(VALU_DEP_2) | instskip(NEXT) | instid1(VALU_DEP_2)
	v_fma_f64 v[15:16], v[21:22], v[15:16], v[17:18]
	v_add_f64 v[3:4], v[3:4], v[10:11]
	s_delay_alu instid0(VALU_DEP_2)
	v_add_f64 v[1:2], v[1:2], v[15:16]
	s_and_not1_b32 exec_lo, exec_lo, s3
	s_cbranch_execnz .LBB50_45
; %bb.46:
	s_or_b32 exec_lo, exec_lo, s3
	v_mov_b32_e32 v7, 0
	ds_load_b128 v[7:10], v7 offset:128
	s_waitcnt lgkmcnt(0)
	v_mul_f64 v[11:12], v[1:2], v[9:10]
	v_mul_f64 v[15:16], v[3:4], v[9:10]
	s_delay_alu instid0(VALU_DEP_2) | instskip(NEXT) | instid1(VALU_DEP_2)
	v_fma_f64 v[9:10], v[3:4], v[7:8], -v[11:12]
	v_fma_f64 v[11:12], v[1:2], v[7:8], v[15:16]
	scratch_store_b128 off, v[9:12], off offset:128
.LBB50_47:
	s_or_b32 exec_lo, exec_lo, s2
	s_waitcnt_vscnt null, 0x0
	s_barrier
	buffer_gl0_inv
	scratch_load_b128 v[1:4], v150, off
	s_mov_b32 s2, exec_lo
	s_waitcnt vmcnt(0)
	ds_store_b128 v5, v[1:4]
	s_waitcnt lgkmcnt(0)
	s_barrier
	buffer_gl0_inv
	v_cmpx_gt_u32_e32 9, v148
	s_cbranch_execz .LBB50_51
; %bb.48:
	v_dual_mov_b32 v1, 0 :: v_dual_add_nc_u32 v8, 0x330, v13
	v_dual_mov_b32 v2, 0 :: v_dual_add_nc_u32 v7, -1, v148
	v_or_b32_e32 v9, 8, v14
	s_mov_b32 s3, 0
	s_delay_alu instid0(VALU_DEP_2)
	v_dual_mov_b32 v4, v2 :: v_dual_mov_b32 v3, v1
	.p2align	6
.LBB50_49:                              ; =>This Inner Loop Header: Depth=1
	scratch_load_b128 v[15:18], v9, off offset:-8
	ds_load_b128 v[19:22], v8
	v_add_nc_u32_e32 v7, 1, v7
	v_add_nc_u32_e32 v8, 16, v8
	;; [unrolled: 1-line block ×3, first 2 shown]
	s_delay_alu instid0(VALU_DEP_3) | instskip(SKIP_4) | instid1(VALU_DEP_2)
	v_cmp_lt_u32_e32 vcc_lo, 7, v7
	s_or_b32 s3, vcc_lo, s3
	s_waitcnt vmcnt(0) lgkmcnt(0)
	v_mul_f64 v[10:11], v[21:22], v[17:18]
	v_mul_f64 v[17:18], v[19:20], v[17:18]
	v_fma_f64 v[10:11], v[19:20], v[15:16], -v[10:11]
	s_delay_alu instid0(VALU_DEP_2) | instskip(NEXT) | instid1(VALU_DEP_2)
	v_fma_f64 v[15:16], v[21:22], v[15:16], v[17:18]
	v_add_f64 v[3:4], v[3:4], v[10:11]
	s_delay_alu instid0(VALU_DEP_2)
	v_add_f64 v[1:2], v[1:2], v[15:16]
	s_and_not1_b32 exec_lo, exec_lo, s3
	s_cbranch_execnz .LBB50_49
; %bb.50:
	s_or_b32 exec_lo, exec_lo, s3
	v_mov_b32_e32 v7, 0
	ds_load_b128 v[7:10], v7 offset:144
	s_waitcnt lgkmcnt(0)
	v_mul_f64 v[11:12], v[1:2], v[9:10]
	v_mul_f64 v[15:16], v[3:4], v[9:10]
	s_delay_alu instid0(VALU_DEP_2) | instskip(NEXT) | instid1(VALU_DEP_2)
	v_fma_f64 v[9:10], v[3:4], v[7:8], -v[11:12]
	v_fma_f64 v[11:12], v[1:2], v[7:8], v[15:16]
	scratch_store_b128 off, v[9:12], off offset:144
.LBB50_51:
	s_or_b32 exec_lo, exec_lo, s2
	s_waitcnt_vscnt null, 0x0
	s_barrier
	buffer_gl0_inv
	scratch_load_b128 v[1:4], v149, off
	s_mov_b32 s2, exec_lo
	s_waitcnt vmcnt(0)
	ds_store_b128 v5, v[1:4]
	s_waitcnt lgkmcnt(0)
	s_barrier
	buffer_gl0_inv
	v_cmpx_gt_u32_e32 10, v148
	s_cbranch_execz .LBB50_55
; %bb.52:
	v_dual_mov_b32 v1, 0 :: v_dual_add_nc_u32 v8, 0x330, v13
	v_dual_mov_b32 v2, 0 :: v_dual_add_nc_u32 v7, -1, v148
	v_or_b32_e32 v9, 8, v14
	s_mov_b32 s3, 0
	s_delay_alu instid0(VALU_DEP_2)
	v_dual_mov_b32 v4, v2 :: v_dual_mov_b32 v3, v1
	.p2align	6
.LBB50_53:                              ; =>This Inner Loop Header: Depth=1
	scratch_load_b128 v[15:18], v9, off offset:-8
	ds_load_b128 v[19:22], v8
	v_add_nc_u32_e32 v7, 1, v7
	v_add_nc_u32_e32 v8, 16, v8
	;; [unrolled: 1-line block ×3, first 2 shown]
	s_delay_alu instid0(VALU_DEP_3) | instskip(SKIP_4) | instid1(VALU_DEP_2)
	v_cmp_lt_u32_e32 vcc_lo, 8, v7
	s_or_b32 s3, vcc_lo, s3
	s_waitcnt vmcnt(0) lgkmcnt(0)
	v_mul_f64 v[10:11], v[21:22], v[17:18]
	v_mul_f64 v[17:18], v[19:20], v[17:18]
	v_fma_f64 v[10:11], v[19:20], v[15:16], -v[10:11]
	s_delay_alu instid0(VALU_DEP_2) | instskip(NEXT) | instid1(VALU_DEP_2)
	v_fma_f64 v[15:16], v[21:22], v[15:16], v[17:18]
	v_add_f64 v[3:4], v[3:4], v[10:11]
	s_delay_alu instid0(VALU_DEP_2)
	v_add_f64 v[1:2], v[1:2], v[15:16]
	s_and_not1_b32 exec_lo, exec_lo, s3
	s_cbranch_execnz .LBB50_53
; %bb.54:
	s_or_b32 exec_lo, exec_lo, s3
	v_mov_b32_e32 v7, 0
	ds_load_b128 v[7:10], v7 offset:160
	s_waitcnt lgkmcnt(0)
	v_mul_f64 v[11:12], v[1:2], v[9:10]
	v_mul_f64 v[15:16], v[3:4], v[9:10]
	s_delay_alu instid0(VALU_DEP_2) | instskip(NEXT) | instid1(VALU_DEP_2)
	v_fma_f64 v[9:10], v[3:4], v[7:8], -v[11:12]
	v_fma_f64 v[11:12], v[1:2], v[7:8], v[15:16]
	scratch_store_b128 off, v[9:12], off offset:160
.LBB50_55:
	s_or_b32 exec_lo, exec_lo, s2
	s_waitcnt_vscnt null, 0x0
	s_barrier
	buffer_gl0_inv
	scratch_load_b128 v[1:4], v152, off
	s_mov_b32 s2, exec_lo
	s_waitcnt vmcnt(0)
	ds_store_b128 v5, v[1:4]
	s_waitcnt lgkmcnt(0)
	s_barrier
	buffer_gl0_inv
	v_cmpx_gt_u32_e32 11, v148
	s_cbranch_execz .LBB50_59
; %bb.56:
	v_dual_mov_b32 v1, 0 :: v_dual_add_nc_u32 v8, 0x330, v13
	v_dual_mov_b32 v2, 0 :: v_dual_add_nc_u32 v7, -1, v148
	v_or_b32_e32 v9, 8, v14
	s_mov_b32 s3, 0
	s_delay_alu instid0(VALU_DEP_2)
	v_dual_mov_b32 v4, v2 :: v_dual_mov_b32 v3, v1
	.p2align	6
.LBB50_57:                              ; =>This Inner Loop Header: Depth=1
	scratch_load_b128 v[15:18], v9, off offset:-8
	ds_load_b128 v[19:22], v8
	v_add_nc_u32_e32 v7, 1, v7
	v_add_nc_u32_e32 v8, 16, v8
	;; [unrolled: 1-line block ×3, first 2 shown]
	s_delay_alu instid0(VALU_DEP_3) | instskip(SKIP_4) | instid1(VALU_DEP_2)
	v_cmp_lt_u32_e32 vcc_lo, 9, v7
	s_or_b32 s3, vcc_lo, s3
	s_waitcnt vmcnt(0) lgkmcnt(0)
	v_mul_f64 v[10:11], v[21:22], v[17:18]
	v_mul_f64 v[17:18], v[19:20], v[17:18]
	v_fma_f64 v[10:11], v[19:20], v[15:16], -v[10:11]
	s_delay_alu instid0(VALU_DEP_2) | instskip(NEXT) | instid1(VALU_DEP_2)
	v_fma_f64 v[15:16], v[21:22], v[15:16], v[17:18]
	v_add_f64 v[3:4], v[3:4], v[10:11]
	s_delay_alu instid0(VALU_DEP_2)
	v_add_f64 v[1:2], v[1:2], v[15:16]
	s_and_not1_b32 exec_lo, exec_lo, s3
	s_cbranch_execnz .LBB50_57
; %bb.58:
	s_or_b32 exec_lo, exec_lo, s3
	v_mov_b32_e32 v7, 0
	ds_load_b128 v[7:10], v7 offset:176
	s_waitcnt lgkmcnt(0)
	v_mul_f64 v[11:12], v[1:2], v[9:10]
	v_mul_f64 v[15:16], v[3:4], v[9:10]
	s_delay_alu instid0(VALU_DEP_2) | instskip(NEXT) | instid1(VALU_DEP_2)
	v_fma_f64 v[9:10], v[3:4], v[7:8], -v[11:12]
	v_fma_f64 v[11:12], v[1:2], v[7:8], v[15:16]
	scratch_store_b128 off, v[9:12], off offset:176
.LBB50_59:
	s_or_b32 exec_lo, exec_lo, s2
	s_waitcnt_vscnt null, 0x0
	s_barrier
	buffer_gl0_inv
	scratch_load_b128 v[1:4], v255, off
	s_mov_b32 s2, exec_lo
	s_waitcnt vmcnt(0)
	ds_store_b128 v5, v[1:4]
	s_waitcnt lgkmcnt(0)
	s_barrier
	buffer_gl0_inv
	v_cmpx_gt_u32_e32 12, v148
	s_cbranch_execz .LBB50_63
; %bb.60:
	v_dual_mov_b32 v1, 0 :: v_dual_add_nc_u32 v8, 0x330, v13
	v_dual_mov_b32 v2, 0 :: v_dual_add_nc_u32 v7, -1, v148
	v_or_b32_e32 v9, 8, v14
	s_mov_b32 s3, 0
	s_delay_alu instid0(VALU_DEP_2)
	v_dual_mov_b32 v4, v2 :: v_dual_mov_b32 v3, v1
	.p2align	6
.LBB50_61:                              ; =>This Inner Loop Header: Depth=1
	scratch_load_b128 v[15:18], v9, off offset:-8
	ds_load_b128 v[19:22], v8
	v_add_nc_u32_e32 v7, 1, v7
	v_add_nc_u32_e32 v8, 16, v8
	;; [unrolled: 1-line block ×3, first 2 shown]
	s_delay_alu instid0(VALU_DEP_3) | instskip(SKIP_4) | instid1(VALU_DEP_2)
	v_cmp_lt_u32_e32 vcc_lo, 10, v7
	s_or_b32 s3, vcc_lo, s3
	s_waitcnt vmcnt(0) lgkmcnt(0)
	v_mul_f64 v[10:11], v[21:22], v[17:18]
	v_mul_f64 v[17:18], v[19:20], v[17:18]
	v_fma_f64 v[10:11], v[19:20], v[15:16], -v[10:11]
	s_delay_alu instid0(VALU_DEP_2) | instskip(NEXT) | instid1(VALU_DEP_2)
	v_fma_f64 v[15:16], v[21:22], v[15:16], v[17:18]
	v_add_f64 v[3:4], v[3:4], v[10:11]
	s_delay_alu instid0(VALU_DEP_2)
	v_add_f64 v[1:2], v[1:2], v[15:16]
	s_and_not1_b32 exec_lo, exec_lo, s3
	s_cbranch_execnz .LBB50_61
; %bb.62:
	s_or_b32 exec_lo, exec_lo, s3
	v_mov_b32_e32 v7, 0
	ds_load_b128 v[7:10], v7 offset:192
	s_waitcnt lgkmcnt(0)
	v_mul_f64 v[11:12], v[1:2], v[9:10]
	v_mul_f64 v[15:16], v[3:4], v[9:10]
	s_delay_alu instid0(VALU_DEP_2) | instskip(NEXT) | instid1(VALU_DEP_2)
	v_fma_f64 v[9:10], v[3:4], v[7:8], -v[11:12]
	v_fma_f64 v[11:12], v[1:2], v[7:8], v[15:16]
	scratch_store_b128 off, v[9:12], off offset:192
.LBB50_63:
	s_or_b32 exec_lo, exec_lo, s2
	s_waitcnt_vscnt null, 0x0
	s_barrier
	buffer_gl0_inv
	scratch_load_b128 v[1:4], v201, off
	s_mov_b32 s2, exec_lo
	s_waitcnt vmcnt(0)
	ds_store_b128 v5, v[1:4]
	s_waitcnt lgkmcnt(0)
	s_barrier
	buffer_gl0_inv
	v_cmpx_gt_u32_e32 13, v148
	s_cbranch_execz .LBB50_67
; %bb.64:
	v_dual_mov_b32 v1, 0 :: v_dual_add_nc_u32 v8, 0x330, v13
	v_dual_mov_b32 v2, 0 :: v_dual_add_nc_u32 v7, -1, v148
	v_or_b32_e32 v9, 8, v14
	s_mov_b32 s3, 0
	s_delay_alu instid0(VALU_DEP_2)
	v_dual_mov_b32 v4, v2 :: v_dual_mov_b32 v3, v1
	.p2align	6
.LBB50_65:                              ; =>This Inner Loop Header: Depth=1
	scratch_load_b128 v[15:18], v9, off offset:-8
	ds_load_b128 v[19:22], v8
	v_add_nc_u32_e32 v7, 1, v7
	v_add_nc_u32_e32 v8, 16, v8
	;; [unrolled: 1-line block ×3, first 2 shown]
	s_delay_alu instid0(VALU_DEP_3) | instskip(SKIP_4) | instid1(VALU_DEP_2)
	v_cmp_lt_u32_e32 vcc_lo, 11, v7
	s_or_b32 s3, vcc_lo, s3
	s_waitcnt vmcnt(0) lgkmcnt(0)
	v_mul_f64 v[10:11], v[21:22], v[17:18]
	v_mul_f64 v[17:18], v[19:20], v[17:18]
	v_fma_f64 v[10:11], v[19:20], v[15:16], -v[10:11]
	s_delay_alu instid0(VALU_DEP_2) | instskip(NEXT) | instid1(VALU_DEP_2)
	v_fma_f64 v[15:16], v[21:22], v[15:16], v[17:18]
	v_add_f64 v[3:4], v[3:4], v[10:11]
	s_delay_alu instid0(VALU_DEP_2)
	v_add_f64 v[1:2], v[1:2], v[15:16]
	s_and_not1_b32 exec_lo, exec_lo, s3
	s_cbranch_execnz .LBB50_65
; %bb.66:
	s_or_b32 exec_lo, exec_lo, s3
	v_mov_b32_e32 v7, 0
	ds_load_b128 v[7:10], v7 offset:208
	s_waitcnt lgkmcnt(0)
	v_mul_f64 v[11:12], v[1:2], v[9:10]
	v_mul_f64 v[15:16], v[3:4], v[9:10]
	s_delay_alu instid0(VALU_DEP_2) | instskip(NEXT) | instid1(VALU_DEP_2)
	v_fma_f64 v[9:10], v[3:4], v[7:8], -v[11:12]
	v_fma_f64 v[11:12], v[1:2], v[7:8], v[15:16]
	scratch_store_b128 off, v[9:12], off offset:208
.LBB50_67:
	s_or_b32 exec_lo, exec_lo, s2
	s_waitcnt_vscnt null, 0x0
	s_barrier
	buffer_gl0_inv
	scratch_load_b128 v[1:4], v200, off
	s_mov_b32 s2, exec_lo
	s_waitcnt vmcnt(0)
	ds_store_b128 v5, v[1:4]
	s_waitcnt lgkmcnt(0)
	s_barrier
	buffer_gl0_inv
	v_cmpx_gt_u32_e32 14, v148
	s_cbranch_execz .LBB50_71
; %bb.68:
	v_dual_mov_b32 v1, 0 :: v_dual_add_nc_u32 v8, 0x330, v13
	v_dual_mov_b32 v2, 0 :: v_dual_add_nc_u32 v7, -1, v148
	v_or_b32_e32 v9, 8, v14
	s_mov_b32 s3, 0
	s_delay_alu instid0(VALU_DEP_2)
	v_dual_mov_b32 v4, v2 :: v_dual_mov_b32 v3, v1
	.p2align	6
.LBB50_69:                              ; =>This Inner Loop Header: Depth=1
	scratch_load_b128 v[15:18], v9, off offset:-8
	ds_load_b128 v[19:22], v8
	v_add_nc_u32_e32 v7, 1, v7
	v_add_nc_u32_e32 v8, 16, v8
	;; [unrolled: 1-line block ×3, first 2 shown]
	s_delay_alu instid0(VALU_DEP_3) | instskip(SKIP_4) | instid1(VALU_DEP_2)
	v_cmp_lt_u32_e32 vcc_lo, 12, v7
	s_or_b32 s3, vcc_lo, s3
	s_waitcnt vmcnt(0) lgkmcnt(0)
	v_mul_f64 v[10:11], v[21:22], v[17:18]
	v_mul_f64 v[17:18], v[19:20], v[17:18]
	v_fma_f64 v[10:11], v[19:20], v[15:16], -v[10:11]
	s_delay_alu instid0(VALU_DEP_2) | instskip(NEXT) | instid1(VALU_DEP_2)
	v_fma_f64 v[15:16], v[21:22], v[15:16], v[17:18]
	v_add_f64 v[3:4], v[3:4], v[10:11]
	s_delay_alu instid0(VALU_DEP_2)
	v_add_f64 v[1:2], v[1:2], v[15:16]
	s_and_not1_b32 exec_lo, exec_lo, s3
	s_cbranch_execnz .LBB50_69
; %bb.70:
	s_or_b32 exec_lo, exec_lo, s3
	v_mov_b32_e32 v7, 0
	ds_load_b128 v[7:10], v7 offset:224
	s_waitcnt lgkmcnt(0)
	v_mul_f64 v[11:12], v[1:2], v[9:10]
	v_mul_f64 v[15:16], v[3:4], v[9:10]
	s_delay_alu instid0(VALU_DEP_2) | instskip(NEXT) | instid1(VALU_DEP_2)
	v_fma_f64 v[9:10], v[3:4], v[7:8], -v[11:12]
	v_fma_f64 v[11:12], v[1:2], v[7:8], v[15:16]
	scratch_store_b128 off, v[9:12], off offset:224
.LBB50_71:
	s_or_b32 exec_lo, exec_lo, s2
	s_waitcnt_vscnt null, 0x0
	s_barrier
	buffer_gl0_inv
	scratch_load_b128 v[1:4], v184, off
	s_mov_b32 s2, exec_lo
	s_waitcnt vmcnt(0)
	ds_store_b128 v5, v[1:4]
	s_waitcnt lgkmcnt(0)
	s_barrier
	buffer_gl0_inv
	v_cmpx_gt_u32_e32 15, v148
	s_cbranch_execz .LBB50_75
; %bb.72:
	v_dual_mov_b32 v1, 0 :: v_dual_add_nc_u32 v8, 0x330, v13
	v_dual_mov_b32 v2, 0 :: v_dual_add_nc_u32 v7, -1, v148
	v_or_b32_e32 v9, 8, v14
	s_mov_b32 s3, 0
	s_delay_alu instid0(VALU_DEP_2)
	v_dual_mov_b32 v4, v2 :: v_dual_mov_b32 v3, v1
	.p2align	6
.LBB50_73:                              ; =>This Inner Loop Header: Depth=1
	scratch_load_b128 v[15:18], v9, off offset:-8
	ds_load_b128 v[19:22], v8
	v_add_nc_u32_e32 v7, 1, v7
	v_add_nc_u32_e32 v8, 16, v8
	;; [unrolled: 1-line block ×3, first 2 shown]
	s_delay_alu instid0(VALU_DEP_3) | instskip(SKIP_4) | instid1(VALU_DEP_2)
	v_cmp_lt_u32_e32 vcc_lo, 13, v7
	s_or_b32 s3, vcc_lo, s3
	s_waitcnt vmcnt(0) lgkmcnt(0)
	v_mul_f64 v[10:11], v[21:22], v[17:18]
	v_mul_f64 v[17:18], v[19:20], v[17:18]
	v_fma_f64 v[10:11], v[19:20], v[15:16], -v[10:11]
	s_delay_alu instid0(VALU_DEP_2) | instskip(NEXT) | instid1(VALU_DEP_2)
	v_fma_f64 v[15:16], v[21:22], v[15:16], v[17:18]
	v_add_f64 v[3:4], v[3:4], v[10:11]
	s_delay_alu instid0(VALU_DEP_2)
	v_add_f64 v[1:2], v[1:2], v[15:16]
	s_and_not1_b32 exec_lo, exec_lo, s3
	s_cbranch_execnz .LBB50_73
; %bb.74:
	s_or_b32 exec_lo, exec_lo, s3
	v_mov_b32_e32 v7, 0
	ds_load_b128 v[7:10], v7 offset:240
	s_waitcnt lgkmcnt(0)
	v_mul_f64 v[11:12], v[1:2], v[9:10]
	v_mul_f64 v[15:16], v[3:4], v[9:10]
	s_delay_alu instid0(VALU_DEP_2) | instskip(NEXT) | instid1(VALU_DEP_2)
	v_fma_f64 v[9:10], v[3:4], v[7:8], -v[11:12]
	v_fma_f64 v[11:12], v[1:2], v[7:8], v[15:16]
	scratch_store_b128 off, v[9:12], off offset:240
.LBB50_75:
	s_or_b32 exec_lo, exec_lo, s2
	s_waitcnt_vscnt null, 0x0
	s_barrier
	buffer_gl0_inv
	scratch_load_b128 v[1:4], v183, off
	s_mov_b32 s2, exec_lo
	s_waitcnt vmcnt(0)
	ds_store_b128 v5, v[1:4]
	s_waitcnt lgkmcnt(0)
	s_barrier
	buffer_gl0_inv
	v_cmpx_gt_u32_e32 16, v148
	s_cbranch_execz .LBB50_79
; %bb.76:
	v_dual_mov_b32 v1, 0 :: v_dual_add_nc_u32 v8, 0x330, v13
	v_dual_mov_b32 v2, 0 :: v_dual_add_nc_u32 v7, -1, v148
	v_or_b32_e32 v9, 8, v14
	s_mov_b32 s3, 0
	s_delay_alu instid0(VALU_DEP_2)
	v_dual_mov_b32 v4, v2 :: v_dual_mov_b32 v3, v1
	.p2align	6
.LBB50_77:                              ; =>This Inner Loop Header: Depth=1
	scratch_load_b128 v[15:18], v9, off offset:-8
	ds_load_b128 v[19:22], v8
	v_add_nc_u32_e32 v7, 1, v7
	v_add_nc_u32_e32 v8, 16, v8
	;; [unrolled: 1-line block ×3, first 2 shown]
	s_delay_alu instid0(VALU_DEP_3) | instskip(SKIP_4) | instid1(VALU_DEP_2)
	v_cmp_lt_u32_e32 vcc_lo, 14, v7
	s_or_b32 s3, vcc_lo, s3
	s_waitcnt vmcnt(0) lgkmcnt(0)
	v_mul_f64 v[10:11], v[21:22], v[17:18]
	v_mul_f64 v[17:18], v[19:20], v[17:18]
	v_fma_f64 v[10:11], v[19:20], v[15:16], -v[10:11]
	s_delay_alu instid0(VALU_DEP_2) | instskip(NEXT) | instid1(VALU_DEP_2)
	v_fma_f64 v[15:16], v[21:22], v[15:16], v[17:18]
	v_add_f64 v[3:4], v[3:4], v[10:11]
	s_delay_alu instid0(VALU_DEP_2)
	v_add_f64 v[1:2], v[1:2], v[15:16]
	s_and_not1_b32 exec_lo, exec_lo, s3
	s_cbranch_execnz .LBB50_77
; %bb.78:
	s_or_b32 exec_lo, exec_lo, s3
	v_mov_b32_e32 v7, 0
	ds_load_b128 v[7:10], v7 offset:256
	s_waitcnt lgkmcnt(0)
	v_mul_f64 v[11:12], v[1:2], v[9:10]
	v_mul_f64 v[15:16], v[3:4], v[9:10]
	s_delay_alu instid0(VALU_DEP_2) | instskip(NEXT) | instid1(VALU_DEP_2)
	v_fma_f64 v[9:10], v[3:4], v[7:8], -v[11:12]
	v_fma_f64 v[11:12], v[1:2], v[7:8], v[15:16]
	scratch_store_b128 off, v[9:12], off offset:256
.LBB50_79:
	s_or_b32 exec_lo, exec_lo, s2
	s_waitcnt_vscnt null, 0x0
	s_barrier
	buffer_gl0_inv
	scratch_load_b128 v[1:4], v182, off
	s_mov_b32 s2, exec_lo
	s_waitcnt vmcnt(0)
	ds_store_b128 v5, v[1:4]
	s_waitcnt lgkmcnt(0)
	s_barrier
	buffer_gl0_inv
	v_cmpx_gt_u32_e32 17, v148
	s_cbranch_execz .LBB50_83
; %bb.80:
	v_dual_mov_b32 v1, 0 :: v_dual_add_nc_u32 v8, 0x330, v13
	v_dual_mov_b32 v2, 0 :: v_dual_add_nc_u32 v7, -1, v148
	v_or_b32_e32 v9, 8, v14
	s_mov_b32 s3, 0
	s_delay_alu instid0(VALU_DEP_2)
	v_dual_mov_b32 v4, v2 :: v_dual_mov_b32 v3, v1
	.p2align	6
.LBB50_81:                              ; =>This Inner Loop Header: Depth=1
	scratch_load_b128 v[15:18], v9, off offset:-8
	ds_load_b128 v[19:22], v8
	v_add_nc_u32_e32 v7, 1, v7
	v_add_nc_u32_e32 v8, 16, v8
	;; [unrolled: 1-line block ×3, first 2 shown]
	s_delay_alu instid0(VALU_DEP_3) | instskip(SKIP_4) | instid1(VALU_DEP_2)
	v_cmp_lt_u32_e32 vcc_lo, 15, v7
	s_or_b32 s3, vcc_lo, s3
	s_waitcnt vmcnt(0) lgkmcnt(0)
	v_mul_f64 v[10:11], v[21:22], v[17:18]
	v_mul_f64 v[17:18], v[19:20], v[17:18]
	v_fma_f64 v[10:11], v[19:20], v[15:16], -v[10:11]
	s_delay_alu instid0(VALU_DEP_2) | instskip(NEXT) | instid1(VALU_DEP_2)
	v_fma_f64 v[15:16], v[21:22], v[15:16], v[17:18]
	v_add_f64 v[3:4], v[3:4], v[10:11]
	s_delay_alu instid0(VALU_DEP_2)
	v_add_f64 v[1:2], v[1:2], v[15:16]
	s_and_not1_b32 exec_lo, exec_lo, s3
	s_cbranch_execnz .LBB50_81
; %bb.82:
	s_or_b32 exec_lo, exec_lo, s3
	v_mov_b32_e32 v7, 0
	ds_load_b128 v[7:10], v7 offset:272
	s_waitcnt lgkmcnt(0)
	v_mul_f64 v[11:12], v[1:2], v[9:10]
	v_mul_f64 v[15:16], v[3:4], v[9:10]
	s_delay_alu instid0(VALU_DEP_2) | instskip(NEXT) | instid1(VALU_DEP_2)
	v_fma_f64 v[9:10], v[3:4], v[7:8], -v[11:12]
	v_fma_f64 v[11:12], v[1:2], v[7:8], v[15:16]
	scratch_store_b128 off, v[9:12], off offset:272
.LBB50_83:
	s_or_b32 exec_lo, exec_lo, s2
	s_waitcnt_vscnt null, 0x0
	s_barrier
	buffer_gl0_inv
	scratch_load_b128 v[1:4], v181, off
	s_mov_b32 s2, exec_lo
	s_waitcnt vmcnt(0)
	ds_store_b128 v5, v[1:4]
	s_waitcnt lgkmcnt(0)
	s_barrier
	buffer_gl0_inv
	v_cmpx_gt_u32_e32 18, v148
	s_cbranch_execz .LBB50_87
; %bb.84:
	v_dual_mov_b32 v1, 0 :: v_dual_add_nc_u32 v8, 0x330, v13
	v_dual_mov_b32 v2, 0 :: v_dual_add_nc_u32 v7, -1, v148
	v_or_b32_e32 v9, 8, v14
	s_mov_b32 s3, 0
	s_delay_alu instid0(VALU_DEP_2)
	v_dual_mov_b32 v4, v2 :: v_dual_mov_b32 v3, v1
	.p2align	6
.LBB50_85:                              ; =>This Inner Loop Header: Depth=1
	scratch_load_b128 v[15:18], v9, off offset:-8
	ds_load_b128 v[19:22], v8
	v_add_nc_u32_e32 v7, 1, v7
	v_add_nc_u32_e32 v8, 16, v8
	;; [unrolled: 1-line block ×3, first 2 shown]
	s_delay_alu instid0(VALU_DEP_3) | instskip(SKIP_4) | instid1(VALU_DEP_2)
	v_cmp_lt_u32_e32 vcc_lo, 16, v7
	s_or_b32 s3, vcc_lo, s3
	s_waitcnt vmcnt(0) lgkmcnt(0)
	v_mul_f64 v[10:11], v[21:22], v[17:18]
	v_mul_f64 v[17:18], v[19:20], v[17:18]
	v_fma_f64 v[10:11], v[19:20], v[15:16], -v[10:11]
	s_delay_alu instid0(VALU_DEP_2) | instskip(NEXT) | instid1(VALU_DEP_2)
	v_fma_f64 v[15:16], v[21:22], v[15:16], v[17:18]
	v_add_f64 v[3:4], v[3:4], v[10:11]
	s_delay_alu instid0(VALU_DEP_2)
	v_add_f64 v[1:2], v[1:2], v[15:16]
	s_and_not1_b32 exec_lo, exec_lo, s3
	s_cbranch_execnz .LBB50_85
; %bb.86:
	s_or_b32 exec_lo, exec_lo, s3
	v_mov_b32_e32 v7, 0
	ds_load_b128 v[7:10], v7 offset:288
	s_waitcnt lgkmcnt(0)
	v_mul_f64 v[11:12], v[1:2], v[9:10]
	v_mul_f64 v[15:16], v[3:4], v[9:10]
	s_delay_alu instid0(VALU_DEP_2) | instskip(NEXT) | instid1(VALU_DEP_2)
	v_fma_f64 v[9:10], v[3:4], v[7:8], -v[11:12]
	v_fma_f64 v[11:12], v[1:2], v[7:8], v[15:16]
	scratch_store_b128 off, v[9:12], off offset:288
.LBB50_87:
	s_or_b32 exec_lo, exec_lo, s2
	s_waitcnt_vscnt null, 0x0
	s_barrier
	buffer_gl0_inv
	scratch_load_b128 v[1:4], v180, off
	s_mov_b32 s2, exec_lo
	s_waitcnt vmcnt(0)
	ds_store_b128 v5, v[1:4]
	s_waitcnt lgkmcnt(0)
	s_barrier
	buffer_gl0_inv
	v_cmpx_gt_u32_e32 19, v148
	s_cbranch_execz .LBB50_91
; %bb.88:
	v_dual_mov_b32 v1, 0 :: v_dual_add_nc_u32 v8, 0x330, v13
	v_dual_mov_b32 v2, 0 :: v_dual_add_nc_u32 v7, -1, v148
	v_or_b32_e32 v9, 8, v14
	s_mov_b32 s3, 0
	s_delay_alu instid0(VALU_DEP_2)
	v_dual_mov_b32 v4, v2 :: v_dual_mov_b32 v3, v1
	.p2align	6
.LBB50_89:                              ; =>This Inner Loop Header: Depth=1
	scratch_load_b128 v[15:18], v9, off offset:-8
	ds_load_b128 v[19:22], v8
	v_add_nc_u32_e32 v7, 1, v7
	v_add_nc_u32_e32 v8, 16, v8
	;; [unrolled: 1-line block ×3, first 2 shown]
	s_delay_alu instid0(VALU_DEP_3) | instskip(SKIP_4) | instid1(VALU_DEP_2)
	v_cmp_lt_u32_e32 vcc_lo, 17, v7
	s_or_b32 s3, vcc_lo, s3
	s_waitcnt vmcnt(0) lgkmcnt(0)
	v_mul_f64 v[10:11], v[21:22], v[17:18]
	v_mul_f64 v[17:18], v[19:20], v[17:18]
	v_fma_f64 v[10:11], v[19:20], v[15:16], -v[10:11]
	s_delay_alu instid0(VALU_DEP_2) | instskip(NEXT) | instid1(VALU_DEP_2)
	v_fma_f64 v[15:16], v[21:22], v[15:16], v[17:18]
	v_add_f64 v[3:4], v[3:4], v[10:11]
	s_delay_alu instid0(VALU_DEP_2)
	v_add_f64 v[1:2], v[1:2], v[15:16]
	s_and_not1_b32 exec_lo, exec_lo, s3
	s_cbranch_execnz .LBB50_89
; %bb.90:
	s_or_b32 exec_lo, exec_lo, s3
	v_mov_b32_e32 v7, 0
	ds_load_b128 v[7:10], v7 offset:304
	s_waitcnt lgkmcnt(0)
	v_mul_f64 v[11:12], v[1:2], v[9:10]
	v_mul_f64 v[15:16], v[3:4], v[9:10]
	s_delay_alu instid0(VALU_DEP_2) | instskip(NEXT) | instid1(VALU_DEP_2)
	v_fma_f64 v[9:10], v[3:4], v[7:8], -v[11:12]
	v_fma_f64 v[11:12], v[1:2], v[7:8], v[15:16]
	scratch_store_b128 off, v[9:12], off offset:304
.LBB50_91:
	s_or_b32 exec_lo, exec_lo, s2
	s_waitcnt_vscnt null, 0x0
	s_barrier
	buffer_gl0_inv
	scratch_load_b128 v[1:4], v179, off
	s_mov_b32 s2, exec_lo
	s_waitcnt vmcnt(0)
	ds_store_b128 v5, v[1:4]
	s_waitcnt lgkmcnt(0)
	s_barrier
	buffer_gl0_inv
	v_cmpx_gt_u32_e32 20, v148
	s_cbranch_execz .LBB50_95
; %bb.92:
	v_dual_mov_b32 v1, 0 :: v_dual_add_nc_u32 v8, 0x330, v13
	v_dual_mov_b32 v2, 0 :: v_dual_add_nc_u32 v7, -1, v148
	v_or_b32_e32 v9, 8, v14
	s_mov_b32 s3, 0
	s_delay_alu instid0(VALU_DEP_2)
	v_dual_mov_b32 v4, v2 :: v_dual_mov_b32 v3, v1
	.p2align	6
.LBB50_93:                              ; =>This Inner Loop Header: Depth=1
	scratch_load_b128 v[15:18], v9, off offset:-8
	ds_load_b128 v[19:22], v8
	v_add_nc_u32_e32 v7, 1, v7
	v_add_nc_u32_e32 v8, 16, v8
	;; [unrolled: 1-line block ×3, first 2 shown]
	s_delay_alu instid0(VALU_DEP_3) | instskip(SKIP_4) | instid1(VALU_DEP_2)
	v_cmp_lt_u32_e32 vcc_lo, 18, v7
	s_or_b32 s3, vcc_lo, s3
	s_waitcnt vmcnt(0) lgkmcnt(0)
	v_mul_f64 v[10:11], v[21:22], v[17:18]
	v_mul_f64 v[17:18], v[19:20], v[17:18]
	v_fma_f64 v[10:11], v[19:20], v[15:16], -v[10:11]
	s_delay_alu instid0(VALU_DEP_2) | instskip(NEXT) | instid1(VALU_DEP_2)
	v_fma_f64 v[15:16], v[21:22], v[15:16], v[17:18]
	v_add_f64 v[3:4], v[3:4], v[10:11]
	s_delay_alu instid0(VALU_DEP_2)
	v_add_f64 v[1:2], v[1:2], v[15:16]
	s_and_not1_b32 exec_lo, exec_lo, s3
	s_cbranch_execnz .LBB50_93
; %bb.94:
	s_or_b32 exec_lo, exec_lo, s3
	v_mov_b32_e32 v7, 0
	ds_load_b128 v[7:10], v7 offset:320
	s_waitcnt lgkmcnt(0)
	v_mul_f64 v[11:12], v[1:2], v[9:10]
	v_mul_f64 v[15:16], v[3:4], v[9:10]
	s_delay_alu instid0(VALU_DEP_2) | instskip(NEXT) | instid1(VALU_DEP_2)
	v_fma_f64 v[9:10], v[3:4], v[7:8], -v[11:12]
	v_fma_f64 v[11:12], v[1:2], v[7:8], v[15:16]
	scratch_store_b128 off, v[9:12], off offset:320
.LBB50_95:
	s_or_b32 exec_lo, exec_lo, s2
	s_waitcnt_vscnt null, 0x0
	s_barrier
	buffer_gl0_inv
	scratch_load_b128 v[1:4], v178, off
	s_mov_b32 s2, exec_lo
	s_waitcnt vmcnt(0)
	ds_store_b128 v5, v[1:4]
	s_waitcnt lgkmcnt(0)
	s_barrier
	buffer_gl0_inv
	v_cmpx_gt_u32_e32 21, v148
	s_cbranch_execz .LBB50_99
; %bb.96:
	v_dual_mov_b32 v1, 0 :: v_dual_add_nc_u32 v8, 0x330, v13
	v_dual_mov_b32 v2, 0 :: v_dual_add_nc_u32 v7, -1, v148
	v_or_b32_e32 v9, 8, v14
	s_mov_b32 s3, 0
	s_delay_alu instid0(VALU_DEP_2)
	v_dual_mov_b32 v4, v2 :: v_dual_mov_b32 v3, v1
	.p2align	6
.LBB50_97:                              ; =>This Inner Loop Header: Depth=1
	scratch_load_b128 v[15:18], v9, off offset:-8
	ds_load_b128 v[19:22], v8
	v_add_nc_u32_e32 v7, 1, v7
	v_add_nc_u32_e32 v8, 16, v8
	;; [unrolled: 1-line block ×3, first 2 shown]
	s_delay_alu instid0(VALU_DEP_3) | instskip(SKIP_4) | instid1(VALU_DEP_2)
	v_cmp_lt_u32_e32 vcc_lo, 19, v7
	s_or_b32 s3, vcc_lo, s3
	s_waitcnt vmcnt(0) lgkmcnt(0)
	v_mul_f64 v[10:11], v[21:22], v[17:18]
	v_mul_f64 v[17:18], v[19:20], v[17:18]
	v_fma_f64 v[10:11], v[19:20], v[15:16], -v[10:11]
	s_delay_alu instid0(VALU_DEP_2) | instskip(NEXT) | instid1(VALU_DEP_2)
	v_fma_f64 v[15:16], v[21:22], v[15:16], v[17:18]
	v_add_f64 v[3:4], v[3:4], v[10:11]
	s_delay_alu instid0(VALU_DEP_2)
	v_add_f64 v[1:2], v[1:2], v[15:16]
	s_and_not1_b32 exec_lo, exec_lo, s3
	s_cbranch_execnz .LBB50_97
; %bb.98:
	s_or_b32 exec_lo, exec_lo, s3
	v_mov_b32_e32 v7, 0
	ds_load_b128 v[7:10], v7 offset:336
	s_waitcnt lgkmcnt(0)
	v_mul_f64 v[11:12], v[1:2], v[9:10]
	v_mul_f64 v[15:16], v[3:4], v[9:10]
	s_delay_alu instid0(VALU_DEP_2) | instskip(NEXT) | instid1(VALU_DEP_2)
	v_fma_f64 v[9:10], v[3:4], v[7:8], -v[11:12]
	v_fma_f64 v[11:12], v[1:2], v[7:8], v[15:16]
	scratch_store_b128 off, v[9:12], off offset:336
.LBB50_99:
	s_or_b32 exec_lo, exec_lo, s2
	s_waitcnt_vscnt null, 0x0
	s_barrier
	buffer_gl0_inv
	scratch_load_b128 v[1:4], v177, off
	s_mov_b32 s2, exec_lo
	s_waitcnt vmcnt(0)
	ds_store_b128 v5, v[1:4]
	s_waitcnt lgkmcnt(0)
	s_barrier
	buffer_gl0_inv
	v_cmpx_gt_u32_e32 22, v148
	s_cbranch_execz .LBB50_103
; %bb.100:
	v_dual_mov_b32 v1, 0 :: v_dual_add_nc_u32 v8, 0x330, v13
	v_dual_mov_b32 v2, 0 :: v_dual_add_nc_u32 v7, -1, v148
	v_or_b32_e32 v9, 8, v14
	s_mov_b32 s3, 0
	s_delay_alu instid0(VALU_DEP_2)
	v_dual_mov_b32 v4, v2 :: v_dual_mov_b32 v3, v1
	.p2align	6
.LBB50_101:                             ; =>This Inner Loop Header: Depth=1
	scratch_load_b128 v[15:18], v9, off offset:-8
	ds_load_b128 v[19:22], v8
	v_add_nc_u32_e32 v7, 1, v7
	v_add_nc_u32_e32 v8, 16, v8
	;; [unrolled: 1-line block ×3, first 2 shown]
	s_delay_alu instid0(VALU_DEP_3) | instskip(SKIP_4) | instid1(VALU_DEP_2)
	v_cmp_lt_u32_e32 vcc_lo, 20, v7
	s_or_b32 s3, vcc_lo, s3
	s_waitcnt vmcnt(0) lgkmcnt(0)
	v_mul_f64 v[10:11], v[21:22], v[17:18]
	v_mul_f64 v[17:18], v[19:20], v[17:18]
	v_fma_f64 v[10:11], v[19:20], v[15:16], -v[10:11]
	s_delay_alu instid0(VALU_DEP_2) | instskip(NEXT) | instid1(VALU_DEP_2)
	v_fma_f64 v[15:16], v[21:22], v[15:16], v[17:18]
	v_add_f64 v[3:4], v[3:4], v[10:11]
	s_delay_alu instid0(VALU_DEP_2)
	v_add_f64 v[1:2], v[1:2], v[15:16]
	s_and_not1_b32 exec_lo, exec_lo, s3
	s_cbranch_execnz .LBB50_101
; %bb.102:
	s_or_b32 exec_lo, exec_lo, s3
	v_mov_b32_e32 v7, 0
	ds_load_b128 v[7:10], v7 offset:352
	s_waitcnt lgkmcnt(0)
	v_mul_f64 v[11:12], v[1:2], v[9:10]
	v_mul_f64 v[15:16], v[3:4], v[9:10]
	s_delay_alu instid0(VALU_DEP_2) | instskip(NEXT) | instid1(VALU_DEP_2)
	v_fma_f64 v[9:10], v[3:4], v[7:8], -v[11:12]
	v_fma_f64 v[11:12], v[1:2], v[7:8], v[15:16]
	scratch_store_b128 off, v[9:12], off offset:352
.LBB50_103:
	s_or_b32 exec_lo, exec_lo, s2
	s_waitcnt_vscnt null, 0x0
	s_barrier
	buffer_gl0_inv
	scratch_load_b128 v[1:4], v176, off
	s_mov_b32 s2, exec_lo
	s_waitcnt vmcnt(0)
	ds_store_b128 v5, v[1:4]
	s_waitcnt lgkmcnt(0)
	s_barrier
	buffer_gl0_inv
	v_cmpx_gt_u32_e32 23, v148
	s_cbranch_execz .LBB50_107
; %bb.104:
	v_dual_mov_b32 v1, 0 :: v_dual_add_nc_u32 v8, 0x330, v13
	v_dual_mov_b32 v2, 0 :: v_dual_add_nc_u32 v7, -1, v148
	v_or_b32_e32 v9, 8, v14
	s_mov_b32 s3, 0
	s_delay_alu instid0(VALU_DEP_2)
	v_dual_mov_b32 v4, v2 :: v_dual_mov_b32 v3, v1
	.p2align	6
.LBB50_105:                             ; =>This Inner Loop Header: Depth=1
	scratch_load_b128 v[15:18], v9, off offset:-8
	ds_load_b128 v[19:22], v8
	v_add_nc_u32_e32 v7, 1, v7
	v_add_nc_u32_e32 v8, 16, v8
	;; [unrolled: 1-line block ×3, first 2 shown]
	s_delay_alu instid0(VALU_DEP_3) | instskip(SKIP_4) | instid1(VALU_DEP_2)
	v_cmp_lt_u32_e32 vcc_lo, 21, v7
	s_or_b32 s3, vcc_lo, s3
	s_waitcnt vmcnt(0) lgkmcnt(0)
	v_mul_f64 v[10:11], v[21:22], v[17:18]
	v_mul_f64 v[17:18], v[19:20], v[17:18]
	v_fma_f64 v[10:11], v[19:20], v[15:16], -v[10:11]
	s_delay_alu instid0(VALU_DEP_2) | instskip(NEXT) | instid1(VALU_DEP_2)
	v_fma_f64 v[15:16], v[21:22], v[15:16], v[17:18]
	v_add_f64 v[3:4], v[3:4], v[10:11]
	s_delay_alu instid0(VALU_DEP_2)
	v_add_f64 v[1:2], v[1:2], v[15:16]
	s_and_not1_b32 exec_lo, exec_lo, s3
	s_cbranch_execnz .LBB50_105
; %bb.106:
	s_or_b32 exec_lo, exec_lo, s3
	v_mov_b32_e32 v7, 0
	ds_load_b128 v[7:10], v7 offset:368
	s_waitcnt lgkmcnt(0)
	v_mul_f64 v[11:12], v[1:2], v[9:10]
	v_mul_f64 v[15:16], v[3:4], v[9:10]
	s_delay_alu instid0(VALU_DEP_2) | instskip(NEXT) | instid1(VALU_DEP_2)
	v_fma_f64 v[9:10], v[3:4], v[7:8], -v[11:12]
	v_fma_f64 v[11:12], v[1:2], v[7:8], v[15:16]
	scratch_store_b128 off, v[9:12], off offset:368
.LBB50_107:
	s_or_b32 exec_lo, exec_lo, s2
	s_waitcnt_vscnt null, 0x0
	s_barrier
	buffer_gl0_inv
	scratch_load_b128 v[1:4], v174, off
	s_mov_b32 s2, exec_lo
	s_waitcnt vmcnt(0)
	ds_store_b128 v5, v[1:4]
	s_waitcnt lgkmcnt(0)
	s_barrier
	buffer_gl0_inv
	v_cmpx_gt_u32_e32 24, v148
	s_cbranch_execz .LBB50_111
; %bb.108:
	v_dual_mov_b32 v1, 0 :: v_dual_add_nc_u32 v8, 0x330, v13
	v_dual_mov_b32 v2, 0 :: v_dual_add_nc_u32 v7, -1, v148
	v_or_b32_e32 v9, 8, v14
	s_mov_b32 s3, 0
	s_delay_alu instid0(VALU_DEP_2)
	v_dual_mov_b32 v4, v2 :: v_dual_mov_b32 v3, v1
	.p2align	6
.LBB50_109:                             ; =>This Inner Loop Header: Depth=1
	scratch_load_b128 v[15:18], v9, off offset:-8
	ds_load_b128 v[19:22], v8
	v_add_nc_u32_e32 v7, 1, v7
	v_add_nc_u32_e32 v8, 16, v8
	;; [unrolled: 1-line block ×3, first 2 shown]
	s_delay_alu instid0(VALU_DEP_3) | instskip(SKIP_4) | instid1(VALU_DEP_2)
	v_cmp_lt_u32_e32 vcc_lo, 22, v7
	s_or_b32 s3, vcc_lo, s3
	s_waitcnt vmcnt(0) lgkmcnt(0)
	v_mul_f64 v[10:11], v[21:22], v[17:18]
	v_mul_f64 v[17:18], v[19:20], v[17:18]
	v_fma_f64 v[10:11], v[19:20], v[15:16], -v[10:11]
	s_delay_alu instid0(VALU_DEP_2) | instskip(NEXT) | instid1(VALU_DEP_2)
	v_fma_f64 v[15:16], v[21:22], v[15:16], v[17:18]
	v_add_f64 v[3:4], v[3:4], v[10:11]
	s_delay_alu instid0(VALU_DEP_2)
	v_add_f64 v[1:2], v[1:2], v[15:16]
	s_and_not1_b32 exec_lo, exec_lo, s3
	s_cbranch_execnz .LBB50_109
; %bb.110:
	s_or_b32 exec_lo, exec_lo, s3
	v_mov_b32_e32 v7, 0
	ds_load_b128 v[7:10], v7 offset:384
	s_waitcnt lgkmcnt(0)
	v_mul_f64 v[11:12], v[1:2], v[9:10]
	v_mul_f64 v[15:16], v[3:4], v[9:10]
	s_delay_alu instid0(VALU_DEP_2) | instskip(NEXT) | instid1(VALU_DEP_2)
	v_fma_f64 v[9:10], v[3:4], v[7:8], -v[11:12]
	v_fma_f64 v[11:12], v[1:2], v[7:8], v[15:16]
	scratch_store_b128 off, v[9:12], off offset:384
.LBB50_111:
	s_or_b32 exec_lo, exec_lo, s2
	s_waitcnt_vscnt null, 0x0
	s_barrier
	buffer_gl0_inv
	scratch_load_b128 v[1:4], v173, off
	s_mov_b32 s2, exec_lo
	s_waitcnt vmcnt(0)
	ds_store_b128 v5, v[1:4]
	s_waitcnt lgkmcnt(0)
	s_barrier
	buffer_gl0_inv
	v_cmpx_gt_u32_e32 25, v148
	s_cbranch_execz .LBB50_115
; %bb.112:
	v_dual_mov_b32 v1, 0 :: v_dual_add_nc_u32 v8, 0x330, v13
	v_dual_mov_b32 v2, 0 :: v_dual_add_nc_u32 v7, -1, v148
	v_or_b32_e32 v9, 8, v14
	s_mov_b32 s3, 0
	s_delay_alu instid0(VALU_DEP_2)
	v_dual_mov_b32 v4, v2 :: v_dual_mov_b32 v3, v1
	.p2align	6
.LBB50_113:                             ; =>This Inner Loop Header: Depth=1
	scratch_load_b128 v[15:18], v9, off offset:-8
	ds_load_b128 v[19:22], v8
	v_add_nc_u32_e32 v7, 1, v7
	v_add_nc_u32_e32 v8, 16, v8
	;; [unrolled: 1-line block ×3, first 2 shown]
	s_delay_alu instid0(VALU_DEP_3) | instskip(SKIP_4) | instid1(VALU_DEP_2)
	v_cmp_lt_u32_e32 vcc_lo, 23, v7
	s_or_b32 s3, vcc_lo, s3
	s_waitcnt vmcnt(0) lgkmcnt(0)
	v_mul_f64 v[10:11], v[21:22], v[17:18]
	v_mul_f64 v[17:18], v[19:20], v[17:18]
	v_fma_f64 v[10:11], v[19:20], v[15:16], -v[10:11]
	s_delay_alu instid0(VALU_DEP_2) | instskip(NEXT) | instid1(VALU_DEP_2)
	v_fma_f64 v[15:16], v[21:22], v[15:16], v[17:18]
	v_add_f64 v[3:4], v[3:4], v[10:11]
	s_delay_alu instid0(VALU_DEP_2)
	v_add_f64 v[1:2], v[1:2], v[15:16]
	s_and_not1_b32 exec_lo, exec_lo, s3
	s_cbranch_execnz .LBB50_113
; %bb.114:
	s_or_b32 exec_lo, exec_lo, s3
	v_mov_b32_e32 v7, 0
	ds_load_b128 v[7:10], v7 offset:400
	s_waitcnt lgkmcnt(0)
	v_mul_f64 v[11:12], v[1:2], v[9:10]
	v_mul_f64 v[15:16], v[3:4], v[9:10]
	s_delay_alu instid0(VALU_DEP_2) | instskip(NEXT) | instid1(VALU_DEP_2)
	v_fma_f64 v[9:10], v[3:4], v[7:8], -v[11:12]
	v_fma_f64 v[11:12], v[1:2], v[7:8], v[15:16]
	scratch_store_b128 off, v[9:12], off offset:400
.LBB50_115:
	s_or_b32 exec_lo, exec_lo, s2
	s_waitcnt_vscnt null, 0x0
	s_barrier
	buffer_gl0_inv
	scratch_load_b128 v[1:4], v172, off
	s_mov_b32 s2, exec_lo
	s_waitcnt vmcnt(0)
	ds_store_b128 v5, v[1:4]
	s_waitcnt lgkmcnt(0)
	s_barrier
	buffer_gl0_inv
	v_cmpx_gt_u32_e32 26, v148
	s_cbranch_execz .LBB50_119
; %bb.116:
	v_dual_mov_b32 v1, 0 :: v_dual_add_nc_u32 v8, 0x330, v13
	v_dual_mov_b32 v2, 0 :: v_dual_add_nc_u32 v7, -1, v148
	v_or_b32_e32 v9, 8, v14
	s_mov_b32 s3, 0
	s_delay_alu instid0(VALU_DEP_2)
	v_dual_mov_b32 v4, v2 :: v_dual_mov_b32 v3, v1
	.p2align	6
.LBB50_117:                             ; =>This Inner Loop Header: Depth=1
	scratch_load_b128 v[15:18], v9, off offset:-8
	ds_load_b128 v[19:22], v8
	v_add_nc_u32_e32 v7, 1, v7
	v_add_nc_u32_e32 v8, 16, v8
	;; [unrolled: 1-line block ×3, first 2 shown]
	s_delay_alu instid0(VALU_DEP_3) | instskip(SKIP_4) | instid1(VALU_DEP_2)
	v_cmp_lt_u32_e32 vcc_lo, 24, v7
	s_or_b32 s3, vcc_lo, s3
	s_waitcnt vmcnt(0) lgkmcnt(0)
	v_mul_f64 v[10:11], v[21:22], v[17:18]
	v_mul_f64 v[17:18], v[19:20], v[17:18]
	v_fma_f64 v[10:11], v[19:20], v[15:16], -v[10:11]
	s_delay_alu instid0(VALU_DEP_2) | instskip(NEXT) | instid1(VALU_DEP_2)
	v_fma_f64 v[15:16], v[21:22], v[15:16], v[17:18]
	v_add_f64 v[3:4], v[3:4], v[10:11]
	s_delay_alu instid0(VALU_DEP_2)
	v_add_f64 v[1:2], v[1:2], v[15:16]
	s_and_not1_b32 exec_lo, exec_lo, s3
	s_cbranch_execnz .LBB50_117
; %bb.118:
	s_or_b32 exec_lo, exec_lo, s3
	v_mov_b32_e32 v7, 0
	ds_load_b128 v[7:10], v7 offset:416
	s_waitcnt lgkmcnt(0)
	v_mul_f64 v[11:12], v[1:2], v[9:10]
	v_mul_f64 v[15:16], v[3:4], v[9:10]
	s_delay_alu instid0(VALU_DEP_2) | instskip(NEXT) | instid1(VALU_DEP_2)
	v_fma_f64 v[9:10], v[3:4], v[7:8], -v[11:12]
	v_fma_f64 v[11:12], v[1:2], v[7:8], v[15:16]
	scratch_store_b128 off, v[9:12], off offset:416
.LBB50_119:
	s_or_b32 exec_lo, exec_lo, s2
	s_waitcnt_vscnt null, 0x0
	s_barrier
	buffer_gl0_inv
	scratch_load_b128 v[1:4], v169, off
	s_mov_b32 s2, exec_lo
	s_waitcnt vmcnt(0)
	ds_store_b128 v5, v[1:4]
	s_waitcnt lgkmcnt(0)
	s_barrier
	buffer_gl0_inv
	v_cmpx_gt_u32_e32 27, v148
	s_cbranch_execz .LBB50_123
; %bb.120:
	v_dual_mov_b32 v1, 0 :: v_dual_add_nc_u32 v8, 0x330, v13
	v_dual_mov_b32 v2, 0 :: v_dual_add_nc_u32 v7, -1, v148
	v_or_b32_e32 v9, 8, v14
	s_mov_b32 s3, 0
	s_delay_alu instid0(VALU_DEP_2)
	v_dual_mov_b32 v4, v2 :: v_dual_mov_b32 v3, v1
	.p2align	6
.LBB50_121:                             ; =>This Inner Loop Header: Depth=1
	scratch_load_b128 v[15:18], v9, off offset:-8
	ds_load_b128 v[19:22], v8
	v_add_nc_u32_e32 v7, 1, v7
	v_add_nc_u32_e32 v8, 16, v8
	;; [unrolled: 1-line block ×3, first 2 shown]
	s_delay_alu instid0(VALU_DEP_3) | instskip(SKIP_4) | instid1(VALU_DEP_2)
	v_cmp_lt_u32_e32 vcc_lo, 25, v7
	s_or_b32 s3, vcc_lo, s3
	s_waitcnt vmcnt(0) lgkmcnt(0)
	v_mul_f64 v[10:11], v[21:22], v[17:18]
	v_mul_f64 v[17:18], v[19:20], v[17:18]
	v_fma_f64 v[10:11], v[19:20], v[15:16], -v[10:11]
	s_delay_alu instid0(VALU_DEP_2) | instskip(NEXT) | instid1(VALU_DEP_2)
	v_fma_f64 v[15:16], v[21:22], v[15:16], v[17:18]
	v_add_f64 v[3:4], v[3:4], v[10:11]
	s_delay_alu instid0(VALU_DEP_2)
	v_add_f64 v[1:2], v[1:2], v[15:16]
	s_and_not1_b32 exec_lo, exec_lo, s3
	s_cbranch_execnz .LBB50_121
; %bb.122:
	s_or_b32 exec_lo, exec_lo, s3
	v_mov_b32_e32 v7, 0
	ds_load_b128 v[7:10], v7 offset:432
	s_waitcnt lgkmcnt(0)
	v_mul_f64 v[11:12], v[1:2], v[9:10]
	v_mul_f64 v[15:16], v[3:4], v[9:10]
	s_delay_alu instid0(VALU_DEP_2) | instskip(NEXT) | instid1(VALU_DEP_2)
	v_fma_f64 v[9:10], v[3:4], v[7:8], -v[11:12]
	v_fma_f64 v[11:12], v[1:2], v[7:8], v[15:16]
	scratch_store_b128 off, v[9:12], off offset:432
.LBB50_123:
	s_or_b32 exec_lo, exec_lo, s2
	s_waitcnt_vscnt null, 0x0
	s_barrier
	buffer_gl0_inv
	scratch_load_b128 v[1:4], v168, off
	s_mov_b32 s2, exec_lo
	s_waitcnt vmcnt(0)
	ds_store_b128 v5, v[1:4]
	s_waitcnt lgkmcnt(0)
	s_barrier
	buffer_gl0_inv
	v_cmpx_gt_u32_e32 28, v148
	s_cbranch_execz .LBB50_127
; %bb.124:
	v_dual_mov_b32 v1, 0 :: v_dual_add_nc_u32 v8, 0x330, v13
	v_dual_mov_b32 v2, 0 :: v_dual_add_nc_u32 v7, -1, v148
	v_or_b32_e32 v9, 8, v14
	s_mov_b32 s3, 0
	s_delay_alu instid0(VALU_DEP_2)
	v_dual_mov_b32 v4, v2 :: v_dual_mov_b32 v3, v1
	.p2align	6
.LBB50_125:                             ; =>This Inner Loop Header: Depth=1
	scratch_load_b128 v[15:18], v9, off offset:-8
	ds_load_b128 v[19:22], v8
	v_add_nc_u32_e32 v7, 1, v7
	v_add_nc_u32_e32 v8, 16, v8
	;; [unrolled: 1-line block ×3, first 2 shown]
	s_delay_alu instid0(VALU_DEP_3) | instskip(SKIP_4) | instid1(VALU_DEP_2)
	v_cmp_lt_u32_e32 vcc_lo, 26, v7
	s_or_b32 s3, vcc_lo, s3
	s_waitcnt vmcnt(0) lgkmcnt(0)
	v_mul_f64 v[10:11], v[21:22], v[17:18]
	v_mul_f64 v[17:18], v[19:20], v[17:18]
	v_fma_f64 v[10:11], v[19:20], v[15:16], -v[10:11]
	s_delay_alu instid0(VALU_DEP_2) | instskip(NEXT) | instid1(VALU_DEP_2)
	v_fma_f64 v[15:16], v[21:22], v[15:16], v[17:18]
	v_add_f64 v[3:4], v[3:4], v[10:11]
	s_delay_alu instid0(VALU_DEP_2)
	v_add_f64 v[1:2], v[1:2], v[15:16]
	s_and_not1_b32 exec_lo, exec_lo, s3
	s_cbranch_execnz .LBB50_125
; %bb.126:
	s_or_b32 exec_lo, exec_lo, s3
	v_mov_b32_e32 v7, 0
	ds_load_b128 v[7:10], v7 offset:448
	s_waitcnt lgkmcnt(0)
	v_mul_f64 v[11:12], v[1:2], v[9:10]
	v_mul_f64 v[15:16], v[3:4], v[9:10]
	s_delay_alu instid0(VALU_DEP_2) | instskip(NEXT) | instid1(VALU_DEP_2)
	v_fma_f64 v[9:10], v[3:4], v[7:8], -v[11:12]
	v_fma_f64 v[11:12], v[1:2], v[7:8], v[15:16]
	scratch_store_b128 off, v[9:12], off offset:448
.LBB50_127:
	s_or_b32 exec_lo, exec_lo, s2
	s_waitcnt_vscnt null, 0x0
	s_barrier
	buffer_gl0_inv
	scratch_load_b128 v[1:4], v166, off
	s_mov_b32 s2, exec_lo
	s_waitcnt vmcnt(0)
	ds_store_b128 v5, v[1:4]
	s_waitcnt lgkmcnt(0)
	s_barrier
	buffer_gl0_inv
	v_cmpx_gt_u32_e32 29, v148
	s_cbranch_execz .LBB50_131
; %bb.128:
	v_dual_mov_b32 v1, 0 :: v_dual_add_nc_u32 v8, 0x330, v13
	v_dual_mov_b32 v2, 0 :: v_dual_add_nc_u32 v7, -1, v148
	v_or_b32_e32 v9, 8, v14
	s_mov_b32 s3, 0
	s_delay_alu instid0(VALU_DEP_2)
	v_dual_mov_b32 v4, v2 :: v_dual_mov_b32 v3, v1
	.p2align	6
.LBB50_129:                             ; =>This Inner Loop Header: Depth=1
	scratch_load_b128 v[15:18], v9, off offset:-8
	ds_load_b128 v[19:22], v8
	v_add_nc_u32_e32 v7, 1, v7
	v_add_nc_u32_e32 v8, 16, v8
	;; [unrolled: 1-line block ×3, first 2 shown]
	s_delay_alu instid0(VALU_DEP_3) | instskip(SKIP_4) | instid1(VALU_DEP_2)
	v_cmp_lt_u32_e32 vcc_lo, 27, v7
	s_or_b32 s3, vcc_lo, s3
	s_waitcnt vmcnt(0) lgkmcnt(0)
	v_mul_f64 v[10:11], v[21:22], v[17:18]
	v_mul_f64 v[17:18], v[19:20], v[17:18]
	v_fma_f64 v[10:11], v[19:20], v[15:16], -v[10:11]
	s_delay_alu instid0(VALU_DEP_2) | instskip(NEXT) | instid1(VALU_DEP_2)
	v_fma_f64 v[15:16], v[21:22], v[15:16], v[17:18]
	v_add_f64 v[3:4], v[3:4], v[10:11]
	s_delay_alu instid0(VALU_DEP_2)
	v_add_f64 v[1:2], v[1:2], v[15:16]
	s_and_not1_b32 exec_lo, exec_lo, s3
	s_cbranch_execnz .LBB50_129
; %bb.130:
	s_or_b32 exec_lo, exec_lo, s3
	v_mov_b32_e32 v7, 0
	ds_load_b128 v[7:10], v7 offset:464
	s_waitcnt lgkmcnt(0)
	v_mul_f64 v[11:12], v[1:2], v[9:10]
	v_mul_f64 v[15:16], v[3:4], v[9:10]
	s_delay_alu instid0(VALU_DEP_2) | instskip(NEXT) | instid1(VALU_DEP_2)
	v_fma_f64 v[9:10], v[3:4], v[7:8], -v[11:12]
	v_fma_f64 v[11:12], v[1:2], v[7:8], v[15:16]
	scratch_store_b128 off, v[9:12], off offset:464
.LBB50_131:
	s_or_b32 exec_lo, exec_lo, s2
	s_waitcnt_vscnt null, 0x0
	s_barrier
	buffer_gl0_inv
	scratch_load_b128 v[1:4], v211, off
	s_mov_b32 s2, exec_lo
	s_waitcnt vmcnt(0)
	ds_store_b128 v5, v[1:4]
	s_waitcnt lgkmcnt(0)
	s_barrier
	buffer_gl0_inv
	v_cmpx_gt_u32_e32 30, v148
	s_cbranch_execz .LBB50_135
; %bb.132:
	v_dual_mov_b32 v1, 0 :: v_dual_add_nc_u32 v8, 0x330, v13
	v_dual_mov_b32 v2, 0 :: v_dual_add_nc_u32 v7, -1, v148
	v_or_b32_e32 v9, 8, v14
	s_mov_b32 s3, 0
	s_delay_alu instid0(VALU_DEP_2)
	v_dual_mov_b32 v4, v2 :: v_dual_mov_b32 v3, v1
	.p2align	6
.LBB50_133:                             ; =>This Inner Loop Header: Depth=1
	scratch_load_b128 v[15:18], v9, off offset:-8
	ds_load_b128 v[19:22], v8
	v_add_nc_u32_e32 v7, 1, v7
	v_add_nc_u32_e32 v8, 16, v8
	;; [unrolled: 1-line block ×3, first 2 shown]
	s_delay_alu instid0(VALU_DEP_3) | instskip(SKIP_4) | instid1(VALU_DEP_2)
	v_cmp_lt_u32_e32 vcc_lo, 28, v7
	s_or_b32 s3, vcc_lo, s3
	s_waitcnt vmcnt(0) lgkmcnt(0)
	v_mul_f64 v[10:11], v[21:22], v[17:18]
	v_mul_f64 v[17:18], v[19:20], v[17:18]
	v_fma_f64 v[10:11], v[19:20], v[15:16], -v[10:11]
	s_delay_alu instid0(VALU_DEP_2) | instskip(NEXT) | instid1(VALU_DEP_2)
	v_fma_f64 v[15:16], v[21:22], v[15:16], v[17:18]
	v_add_f64 v[3:4], v[3:4], v[10:11]
	s_delay_alu instid0(VALU_DEP_2)
	v_add_f64 v[1:2], v[1:2], v[15:16]
	s_and_not1_b32 exec_lo, exec_lo, s3
	s_cbranch_execnz .LBB50_133
; %bb.134:
	s_or_b32 exec_lo, exec_lo, s3
	v_mov_b32_e32 v7, 0
	ds_load_b128 v[7:10], v7 offset:480
	s_waitcnt lgkmcnt(0)
	v_mul_f64 v[11:12], v[1:2], v[9:10]
	v_mul_f64 v[15:16], v[3:4], v[9:10]
	s_delay_alu instid0(VALU_DEP_2) | instskip(NEXT) | instid1(VALU_DEP_2)
	v_fma_f64 v[9:10], v[3:4], v[7:8], -v[11:12]
	v_fma_f64 v[11:12], v[1:2], v[7:8], v[15:16]
	scratch_store_b128 off, v[9:12], off offset:480
.LBB50_135:
	s_or_b32 exec_lo, exec_lo, s2
	s_waitcnt_vscnt null, 0x0
	s_barrier
	buffer_gl0_inv
	scratch_load_b128 v[1:4], v210, off
	s_mov_b32 s2, exec_lo
	s_waitcnt vmcnt(0)
	ds_store_b128 v5, v[1:4]
	s_waitcnt lgkmcnt(0)
	s_barrier
	buffer_gl0_inv
	v_cmpx_gt_u32_e32 31, v148
	s_cbranch_execz .LBB50_139
; %bb.136:
	v_dual_mov_b32 v1, 0 :: v_dual_add_nc_u32 v8, 0x330, v13
	v_dual_mov_b32 v2, 0 :: v_dual_add_nc_u32 v7, -1, v148
	v_or_b32_e32 v9, 8, v14
	s_mov_b32 s3, 0
	s_delay_alu instid0(VALU_DEP_2)
	v_dual_mov_b32 v4, v2 :: v_dual_mov_b32 v3, v1
	.p2align	6
.LBB50_137:                             ; =>This Inner Loop Header: Depth=1
	scratch_load_b128 v[15:18], v9, off offset:-8
	ds_load_b128 v[19:22], v8
	v_add_nc_u32_e32 v7, 1, v7
	v_add_nc_u32_e32 v8, 16, v8
	;; [unrolled: 1-line block ×3, first 2 shown]
	s_delay_alu instid0(VALU_DEP_3) | instskip(SKIP_4) | instid1(VALU_DEP_2)
	v_cmp_lt_u32_e32 vcc_lo, 29, v7
	s_or_b32 s3, vcc_lo, s3
	s_waitcnt vmcnt(0) lgkmcnt(0)
	v_mul_f64 v[10:11], v[21:22], v[17:18]
	v_mul_f64 v[17:18], v[19:20], v[17:18]
	v_fma_f64 v[10:11], v[19:20], v[15:16], -v[10:11]
	s_delay_alu instid0(VALU_DEP_2) | instskip(NEXT) | instid1(VALU_DEP_2)
	v_fma_f64 v[15:16], v[21:22], v[15:16], v[17:18]
	v_add_f64 v[3:4], v[3:4], v[10:11]
	s_delay_alu instid0(VALU_DEP_2)
	v_add_f64 v[1:2], v[1:2], v[15:16]
	s_and_not1_b32 exec_lo, exec_lo, s3
	s_cbranch_execnz .LBB50_137
; %bb.138:
	s_or_b32 exec_lo, exec_lo, s3
	v_mov_b32_e32 v7, 0
	ds_load_b128 v[7:10], v7 offset:496
	s_waitcnt lgkmcnt(0)
	v_mul_f64 v[11:12], v[1:2], v[9:10]
	v_mul_f64 v[15:16], v[3:4], v[9:10]
	s_delay_alu instid0(VALU_DEP_2) | instskip(NEXT) | instid1(VALU_DEP_2)
	v_fma_f64 v[9:10], v[3:4], v[7:8], -v[11:12]
	v_fma_f64 v[11:12], v[1:2], v[7:8], v[15:16]
	scratch_store_b128 off, v[9:12], off offset:496
.LBB50_139:
	s_or_b32 exec_lo, exec_lo, s2
	s_waitcnt_vscnt null, 0x0
	s_barrier
	buffer_gl0_inv
	scratch_load_b128 v[1:4], v209, off
	s_mov_b32 s2, exec_lo
	s_waitcnt vmcnt(0)
	ds_store_b128 v5, v[1:4]
	s_waitcnt lgkmcnt(0)
	s_barrier
	buffer_gl0_inv
	v_cmpx_gt_u32_e32 32, v148
	s_cbranch_execz .LBB50_143
; %bb.140:
	v_dual_mov_b32 v1, 0 :: v_dual_add_nc_u32 v8, 0x330, v13
	v_dual_mov_b32 v2, 0 :: v_dual_add_nc_u32 v7, -1, v148
	v_or_b32_e32 v9, 8, v14
	s_mov_b32 s3, 0
	s_delay_alu instid0(VALU_DEP_2)
	v_dual_mov_b32 v4, v2 :: v_dual_mov_b32 v3, v1
	.p2align	6
.LBB50_141:                             ; =>This Inner Loop Header: Depth=1
	scratch_load_b128 v[15:18], v9, off offset:-8
	ds_load_b128 v[19:22], v8
	v_add_nc_u32_e32 v7, 1, v7
	v_add_nc_u32_e32 v8, 16, v8
	;; [unrolled: 1-line block ×3, first 2 shown]
	s_delay_alu instid0(VALU_DEP_3) | instskip(SKIP_4) | instid1(VALU_DEP_2)
	v_cmp_lt_u32_e32 vcc_lo, 30, v7
	s_or_b32 s3, vcc_lo, s3
	s_waitcnt vmcnt(0) lgkmcnt(0)
	v_mul_f64 v[10:11], v[21:22], v[17:18]
	v_mul_f64 v[17:18], v[19:20], v[17:18]
	v_fma_f64 v[10:11], v[19:20], v[15:16], -v[10:11]
	s_delay_alu instid0(VALU_DEP_2) | instskip(NEXT) | instid1(VALU_DEP_2)
	v_fma_f64 v[15:16], v[21:22], v[15:16], v[17:18]
	v_add_f64 v[3:4], v[3:4], v[10:11]
	s_delay_alu instid0(VALU_DEP_2)
	v_add_f64 v[1:2], v[1:2], v[15:16]
	s_and_not1_b32 exec_lo, exec_lo, s3
	s_cbranch_execnz .LBB50_141
; %bb.142:
	s_or_b32 exec_lo, exec_lo, s3
	v_mov_b32_e32 v7, 0
	ds_load_b128 v[7:10], v7 offset:512
	s_waitcnt lgkmcnt(0)
	v_mul_f64 v[11:12], v[1:2], v[9:10]
	v_mul_f64 v[15:16], v[3:4], v[9:10]
	s_delay_alu instid0(VALU_DEP_2) | instskip(NEXT) | instid1(VALU_DEP_2)
	v_fma_f64 v[9:10], v[3:4], v[7:8], -v[11:12]
	v_fma_f64 v[11:12], v[1:2], v[7:8], v[15:16]
	scratch_store_b128 off, v[9:12], off offset:512
.LBB50_143:
	s_or_b32 exec_lo, exec_lo, s2
	s_waitcnt_vscnt null, 0x0
	s_barrier
	buffer_gl0_inv
	scratch_load_b128 v[1:4], v208, off
	s_mov_b32 s2, exec_lo
	s_waitcnt vmcnt(0)
	ds_store_b128 v5, v[1:4]
	s_waitcnt lgkmcnt(0)
	s_barrier
	buffer_gl0_inv
	v_cmpx_gt_u32_e32 33, v148
	s_cbranch_execz .LBB50_147
; %bb.144:
	v_dual_mov_b32 v1, 0 :: v_dual_add_nc_u32 v8, 0x330, v13
	v_dual_mov_b32 v2, 0 :: v_dual_add_nc_u32 v7, -1, v148
	v_or_b32_e32 v9, 8, v14
	s_mov_b32 s3, 0
	s_delay_alu instid0(VALU_DEP_2)
	v_dual_mov_b32 v4, v2 :: v_dual_mov_b32 v3, v1
	.p2align	6
.LBB50_145:                             ; =>This Inner Loop Header: Depth=1
	scratch_load_b128 v[15:18], v9, off offset:-8
	ds_load_b128 v[19:22], v8
	v_add_nc_u32_e32 v7, 1, v7
	v_add_nc_u32_e32 v8, 16, v8
	;; [unrolled: 1-line block ×3, first 2 shown]
	s_delay_alu instid0(VALU_DEP_3) | instskip(SKIP_4) | instid1(VALU_DEP_2)
	v_cmp_lt_u32_e32 vcc_lo, 31, v7
	s_or_b32 s3, vcc_lo, s3
	s_waitcnt vmcnt(0) lgkmcnt(0)
	v_mul_f64 v[10:11], v[21:22], v[17:18]
	v_mul_f64 v[17:18], v[19:20], v[17:18]
	v_fma_f64 v[10:11], v[19:20], v[15:16], -v[10:11]
	s_delay_alu instid0(VALU_DEP_2) | instskip(NEXT) | instid1(VALU_DEP_2)
	v_fma_f64 v[15:16], v[21:22], v[15:16], v[17:18]
	v_add_f64 v[3:4], v[3:4], v[10:11]
	s_delay_alu instid0(VALU_DEP_2)
	v_add_f64 v[1:2], v[1:2], v[15:16]
	s_and_not1_b32 exec_lo, exec_lo, s3
	s_cbranch_execnz .LBB50_145
; %bb.146:
	s_or_b32 exec_lo, exec_lo, s3
	v_mov_b32_e32 v7, 0
	ds_load_b128 v[7:10], v7 offset:528
	s_waitcnt lgkmcnt(0)
	v_mul_f64 v[11:12], v[1:2], v[9:10]
	v_mul_f64 v[15:16], v[3:4], v[9:10]
	s_delay_alu instid0(VALU_DEP_2) | instskip(NEXT) | instid1(VALU_DEP_2)
	v_fma_f64 v[9:10], v[3:4], v[7:8], -v[11:12]
	v_fma_f64 v[11:12], v[1:2], v[7:8], v[15:16]
	scratch_store_b128 off, v[9:12], off offset:528
.LBB50_147:
	s_or_b32 exec_lo, exec_lo, s2
	s_waitcnt_vscnt null, 0x0
	s_barrier
	buffer_gl0_inv
	scratch_load_b128 v[1:4], v207, off
	s_mov_b32 s2, exec_lo
	s_waitcnt vmcnt(0)
	ds_store_b128 v5, v[1:4]
	s_waitcnt lgkmcnt(0)
	s_barrier
	buffer_gl0_inv
	v_cmpx_gt_u32_e32 34, v148
	s_cbranch_execz .LBB50_151
; %bb.148:
	v_dual_mov_b32 v1, 0 :: v_dual_add_nc_u32 v8, 0x330, v13
	v_dual_mov_b32 v2, 0 :: v_dual_add_nc_u32 v7, -1, v148
	v_or_b32_e32 v9, 8, v14
	s_mov_b32 s3, 0
	s_delay_alu instid0(VALU_DEP_2)
	v_dual_mov_b32 v4, v2 :: v_dual_mov_b32 v3, v1
	.p2align	6
.LBB50_149:                             ; =>This Inner Loop Header: Depth=1
	scratch_load_b128 v[15:18], v9, off offset:-8
	ds_load_b128 v[19:22], v8
	v_add_nc_u32_e32 v7, 1, v7
	v_add_nc_u32_e32 v8, 16, v8
	;; [unrolled: 1-line block ×3, first 2 shown]
	s_delay_alu instid0(VALU_DEP_3) | instskip(SKIP_4) | instid1(VALU_DEP_2)
	v_cmp_lt_u32_e32 vcc_lo, 32, v7
	s_or_b32 s3, vcc_lo, s3
	s_waitcnt vmcnt(0) lgkmcnt(0)
	v_mul_f64 v[10:11], v[21:22], v[17:18]
	v_mul_f64 v[17:18], v[19:20], v[17:18]
	v_fma_f64 v[10:11], v[19:20], v[15:16], -v[10:11]
	s_delay_alu instid0(VALU_DEP_2) | instskip(NEXT) | instid1(VALU_DEP_2)
	v_fma_f64 v[15:16], v[21:22], v[15:16], v[17:18]
	v_add_f64 v[3:4], v[3:4], v[10:11]
	s_delay_alu instid0(VALU_DEP_2)
	v_add_f64 v[1:2], v[1:2], v[15:16]
	s_and_not1_b32 exec_lo, exec_lo, s3
	s_cbranch_execnz .LBB50_149
; %bb.150:
	s_or_b32 exec_lo, exec_lo, s3
	v_mov_b32_e32 v7, 0
	ds_load_b128 v[7:10], v7 offset:544
	s_waitcnt lgkmcnt(0)
	v_mul_f64 v[11:12], v[1:2], v[9:10]
	v_mul_f64 v[15:16], v[3:4], v[9:10]
	s_delay_alu instid0(VALU_DEP_2) | instskip(NEXT) | instid1(VALU_DEP_2)
	v_fma_f64 v[9:10], v[3:4], v[7:8], -v[11:12]
	v_fma_f64 v[11:12], v[1:2], v[7:8], v[15:16]
	scratch_store_b128 off, v[9:12], off offset:544
.LBB50_151:
	s_or_b32 exec_lo, exec_lo, s2
	s_waitcnt_vscnt null, 0x0
	s_barrier
	buffer_gl0_inv
	scratch_load_b128 v[1:4], v206, off
	s_mov_b32 s2, exec_lo
	s_waitcnt vmcnt(0)
	ds_store_b128 v5, v[1:4]
	s_waitcnt lgkmcnt(0)
	s_barrier
	buffer_gl0_inv
	v_cmpx_gt_u32_e32 35, v148
	s_cbranch_execz .LBB50_155
; %bb.152:
	v_dual_mov_b32 v1, 0 :: v_dual_add_nc_u32 v8, 0x330, v13
	v_dual_mov_b32 v2, 0 :: v_dual_add_nc_u32 v7, -1, v148
	v_or_b32_e32 v9, 8, v14
	s_mov_b32 s3, 0
	s_delay_alu instid0(VALU_DEP_2)
	v_dual_mov_b32 v4, v2 :: v_dual_mov_b32 v3, v1
	.p2align	6
.LBB50_153:                             ; =>This Inner Loop Header: Depth=1
	scratch_load_b128 v[15:18], v9, off offset:-8
	ds_load_b128 v[19:22], v8
	v_add_nc_u32_e32 v7, 1, v7
	v_add_nc_u32_e32 v8, 16, v8
	;; [unrolled: 1-line block ×3, first 2 shown]
	s_delay_alu instid0(VALU_DEP_3) | instskip(SKIP_4) | instid1(VALU_DEP_2)
	v_cmp_lt_u32_e32 vcc_lo, 33, v7
	s_or_b32 s3, vcc_lo, s3
	s_waitcnt vmcnt(0) lgkmcnt(0)
	v_mul_f64 v[10:11], v[21:22], v[17:18]
	v_mul_f64 v[17:18], v[19:20], v[17:18]
	v_fma_f64 v[10:11], v[19:20], v[15:16], -v[10:11]
	s_delay_alu instid0(VALU_DEP_2) | instskip(NEXT) | instid1(VALU_DEP_2)
	v_fma_f64 v[15:16], v[21:22], v[15:16], v[17:18]
	v_add_f64 v[3:4], v[3:4], v[10:11]
	s_delay_alu instid0(VALU_DEP_2)
	v_add_f64 v[1:2], v[1:2], v[15:16]
	s_and_not1_b32 exec_lo, exec_lo, s3
	s_cbranch_execnz .LBB50_153
; %bb.154:
	s_or_b32 exec_lo, exec_lo, s3
	v_mov_b32_e32 v7, 0
	ds_load_b128 v[7:10], v7 offset:560
	s_waitcnt lgkmcnt(0)
	v_mul_f64 v[11:12], v[1:2], v[9:10]
	v_mul_f64 v[15:16], v[3:4], v[9:10]
	s_delay_alu instid0(VALU_DEP_2) | instskip(NEXT) | instid1(VALU_DEP_2)
	v_fma_f64 v[9:10], v[3:4], v[7:8], -v[11:12]
	v_fma_f64 v[11:12], v[1:2], v[7:8], v[15:16]
	scratch_store_b128 off, v[9:12], off offset:560
.LBB50_155:
	s_or_b32 exec_lo, exec_lo, s2
	s_waitcnt_vscnt null, 0x0
	s_barrier
	buffer_gl0_inv
	scratch_load_b128 v[1:4], v205, off
	s_mov_b32 s2, exec_lo
	s_waitcnt vmcnt(0)
	ds_store_b128 v5, v[1:4]
	s_waitcnt lgkmcnt(0)
	s_barrier
	buffer_gl0_inv
	v_cmpx_gt_u32_e32 36, v148
	s_cbranch_execz .LBB50_159
; %bb.156:
	v_dual_mov_b32 v1, 0 :: v_dual_add_nc_u32 v8, 0x330, v13
	v_dual_mov_b32 v2, 0 :: v_dual_add_nc_u32 v7, -1, v148
	v_or_b32_e32 v9, 8, v14
	s_mov_b32 s3, 0
	s_delay_alu instid0(VALU_DEP_2)
	v_dual_mov_b32 v4, v2 :: v_dual_mov_b32 v3, v1
	.p2align	6
.LBB50_157:                             ; =>This Inner Loop Header: Depth=1
	scratch_load_b128 v[15:18], v9, off offset:-8
	ds_load_b128 v[19:22], v8
	v_add_nc_u32_e32 v7, 1, v7
	v_add_nc_u32_e32 v8, 16, v8
	;; [unrolled: 1-line block ×3, first 2 shown]
	s_delay_alu instid0(VALU_DEP_3) | instskip(SKIP_4) | instid1(VALU_DEP_2)
	v_cmp_lt_u32_e32 vcc_lo, 34, v7
	s_or_b32 s3, vcc_lo, s3
	s_waitcnt vmcnt(0) lgkmcnt(0)
	v_mul_f64 v[10:11], v[21:22], v[17:18]
	v_mul_f64 v[17:18], v[19:20], v[17:18]
	v_fma_f64 v[10:11], v[19:20], v[15:16], -v[10:11]
	s_delay_alu instid0(VALU_DEP_2) | instskip(NEXT) | instid1(VALU_DEP_2)
	v_fma_f64 v[15:16], v[21:22], v[15:16], v[17:18]
	v_add_f64 v[3:4], v[3:4], v[10:11]
	s_delay_alu instid0(VALU_DEP_2)
	v_add_f64 v[1:2], v[1:2], v[15:16]
	s_and_not1_b32 exec_lo, exec_lo, s3
	s_cbranch_execnz .LBB50_157
; %bb.158:
	s_or_b32 exec_lo, exec_lo, s3
	v_mov_b32_e32 v7, 0
	ds_load_b128 v[7:10], v7 offset:576
	s_waitcnt lgkmcnt(0)
	v_mul_f64 v[11:12], v[1:2], v[9:10]
	v_mul_f64 v[15:16], v[3:4], v[9:10]
	s_delay_alu instid0(VALU_DEP_2) | instskip(NEXT) | instid1(VALU_DEP_2)
	v_fma_f64 v[9:10], v[3:4], v[7:8], -v[11:12]
	v_fma_f64 v[11:12], v[1:2], v[7:8], v[15:16]
	scratch_store_b128 off, v[9:12], off offset:576
.LBB50_159:
	s_or_b32 exec_lo, exec_lo, s2
	s_waitcnt_vscnt null, 0x0
	s_barrier
	buffer_gl0_inv
	scratch_load_b128 v[1:4], v204, off
	s_mov_b32 s2, exec_lo
	s_waitcnt vmcnt(0)
	ds_store_b128 v5, v[1:4]
	s_waitcnt lgkmcnt(0)
	s_barrier
	buffer_gl0_inv
	v_cmpx_gt_u32_e32 37, v148
	s_cbranch_execz .LBB50_163
; %bb.160:
	v_dual_mov_b32 v1, 0 :: v_dual_add_nc_u32 v8, 0x330, v13
	v_dual_mov_b32 v2, 0 :: v_dual_add_nc_u32 v7, -1, v148
	v_or_b32_e32 v9, 8, v14
	s_mov_b32 s3, 0
	s_delay_alu instid0(VALU_DEP_2)
	v_dual_mov_b32 v4, v2 :: v_dual_mov_b32 v3, v1
	.p2align	6
.LBB50_161:                             ; =>This Inner Loop Header: Depth=1
	scratch_load_b128 v[15:18], v9, off offset:-8
	ds_load_b128 v[19:22], v8
	v_add_nc_u32_e32 v7, 1, v7
	v_add_nc_u32_e32 v8, 16, v8
	;; [unrolled: 1-line block ×3, first 2 shown]
	s_delay_alu instid0(VALU_DEP_3) | instskip(SKIP_4) | instid1(VALU_DEP_2)
	v_cmp_lt_u32_e32 vcc_lo, 35, v7
	s_or_b32 s3, vcc_lo, s3
	s_waitcnt vmcnt(0) lgkmcnt(0)
	v_mul_f64 v[10:11], v[21:22], v[17:18]
	v_mul_f64 v[17:18], v[19:20], v[17:18]
	v_fma_f64 v[10:11], v[19:20], v[15:16], -v[10:11]
	s_delay_alu instid0(VALU_DEP_2) | instskip(NEXT) | instid1(VALU_DEP_2)
	v_fma_f64 v[15:16], v[21:22], v[15:16], v[17:18]
	v_add_f64 v[3:4], v[3:4], v[10:11]
	s_delay_alu instid0(VALU_DEP_2)
	v_add_f64 v[1:2], v[1:2], v[15:16]
	s_and_not1_b32 exec_lo, exec_lo, s3
	s_cbranch_execnz .LBB50_161
; %bb.162:
	s_or_b32 exec_lo, exec_lo, s3
	v_mov_b32_e32 v7, 0
	ds_load_b128 v[7:10], v7 offset:592
	s_waitcnt lgkmcnt(0)
	v_mul_f64 v[11:12], v[1:2], v[9:10]
	v_mul_f64 v[15:16], v[3:4], v[9:10]
	s_delay_alu instid0(VALU_DEP_2) | instskip(NEXT) | instid1(VALU_DEP_2)
	v_fma_f64 v[9:10], v[3:4], v[7:8], -v[11:12]
	v_fma_f64 v[11:12], v[1:2], v[7:8], v[15:16]
	scratch_store_b128 off, v[9:12], off offset:592
.LBB50_163:
	s_or_b32 exec_lo, exec_lo, s2
	s_waitcnt_vscnt null, 0x0
	s_barrier
	buffer_gl0_inv
	scratch_load_b128 v[1:4], v203, off
	s_mov_b32 s2, exec_lo
	s_waitcnt vmcnt(0)
	ds_store_b128 v5, v[1:4]
	s_waitcnt lgkmcnt(0)
	s_barrier
	buffer_gl0_inv
	v_cmpx_gt_u32_e32 38, v148
	s_cbranch_execz .LBB50_167
; %bb.164:
	v_dual_mov_b32 v1, 0 :: v_dual_add_nc_u32 v8, 0x330, v13
	v_dual_mov_b32 v2, 0 :: v_dual_add_nc_u32 v7, -1, v148
	v_or_b32_e32 v9, 8, v14
	s_mov_b32 s3, 0
	s_delay_alu instid0(VALU_DEP_2)
	v_dual_mov_b32 v4, v2 :: v_dual_mov_b32 v3, v1
	.p2align	6
.LBB50_165:                             ; =>This Inner Loop Header: Depth=1
	scratch_load_b128 v[15:18], v9, off offset:-8
	ds_load_b128 v[19:22], v8
	v_add_nc_u32_e32 v7, 1, v7
	v_add_nc_u32_e32 v8, 16, v8
	;; [unrolled: 1-line block ×3, first 2 shown]
	s_delay_alu instid0(VALU_DEP_3) | instskip(SKIP_4) | instid1(VALU_DEP_2)
	v_cmp_lt_u32_e32 vcc_lo, 36, v7
	s_or_b32 s3, vcc_lo, s3
	s_waitcnt vmcnt(0) lgkmcnt(0)
	v_mul_f64 v[10:11], v[21:22], v[17:18]
	v_mul_f64 v[17:18], v[19:20], v[17:18]
	v_fma_f64 v[10:11], v[19:20], v[15:16], -v[10:11]
	s_delay_alu instid0(VALU_DEP_2) | instskip(NEXT) | instid1(VALU_DEP_2)
	v_fma_f64 v[15:16], v[21:22], v[15:16], v[17:18]
	v_add_f64 v[3:4], v[3:4], v[10:11]
	s_delay_alu instid0(VALU_DEP_2)
	v_add_f64 v[1:2], v[1:2], v[15:16]
	s_and_not1_b32 exec_lo, exec_lo, s3
	s_cbranch_execnz .LBB50_165
; %bb.166:
	s_or_b32 exec_lo, exec_lo, s3
	v_mov_b32_e32 v7, 0
	ds_load_b128 v[7:10], v7 offset:608
	s_waitcnt lgkmcnt(0)
	v_mul_f64 v[11:12], v[1:2], v[9:10]
	v_mul_f64 v[15:16], v[3:4], v[9:10]
	s_delay_alu instid0(VALU_DEP_2) | instskip(NEXT) | instid1(VALU_DEP_2)
	v_fma_f64 v[9:10], v[3:4], v[7:8], -v[11:12]
	v_fma_f64 v[11:12], v[1:2], v[7:8], v[15:16]
	scratch_store_b128 off, v[9:12], off offset:608
.LBB50_167:
	s_or_b32 exec_lo, exec_lo, s2
	s_waitcnt_vscnt null, 0x0
	s_barrier
	buffer_gl0_inv
	scratch_load_b128 v[1:4], v202, off
	s_mov_b32 s2, exec_lo
	s_waitcnt vmcnt(0)
	ds_store_b128 v5, v[1:4]
	s_waitcnt lgkmcnt(0)
	s_barrier
	buffer_gl0_inv
	v_cmpx_gt_u32_e32 39, v148
	s_cbranch_execz .LBB50_171
; %bb.168:
	v_dual_mov_b32 v1, 0 :: v_dual_add_nc_u32 v8, 0x330, v13
	v_dual_mov_b32 v2, 0 :: v_dual_add_nc_u32 v7, -1, v148
	v_or_b32_e32 v9, 8, v14
	s_mov_b32 s3, 0
	s_delay_alu instid0(VALU_DEP_2)
	v_dual_mov_b32 v4, v2 :: v_dual_mov_b32 v3, v1
	.p2align	6
.LBB50_169:                             ; =>This Inner Loop Header: Depth=1
	scratch_load_b128 v[15:18], v9, off offset:-8
	ds_load_b128 v[19:22], v8
	v_add_nc_u32_e32 v7, 1, v7
	v_add_nc_u32_e32 v8, 16, v8
	;; [unrolled: 1-line block ×3, first 2 shown]
	s_delay_alu instid0(VALU_DEP_3) | instskip(SKIP_4) | instid1(VALU_DEP_2)
	v_cmp_lt_u32_e32 vcc_lo, 37, v7
	s_or_b32 s3, vcc_lo, s3
	s_waitcnt vmcnt(0) lgkmcnt(0)
	v_mul_f64 v[10:11], v[21:22], v[17:18]
	v_mul_f64 v[17:18], v[19:20], v[17:18]
	v_fma_f64 v[10:11], v[19:20], v[15:16], -v[10:11]
	s_delay_alu instid0(VALU_DEP_2) | instskip(NEXT) | instid1(VALU_DEP_2)
	v_fma_f64 v[15:16], v[21:22], v[15:16], v[17:18]
	v_add_f64 v[3:4], v[3:4], v[10:11]
	s_delay_alu instid0(VALU_DEP_2)
	v_add_f64 v[1:2], v[1:2], v[15:16]
	s_and_not1_b32 exec_lo, exec_lo, s3
	s_cbranch_execnz .LBB50_169
; %bb.170:
	s_or_b32 exec_lo, exec_lo, s3
	v_mov_b32_e32 v7, 0
	ds_load_b128 v[7:10], v7 offset:624
	s_waitcnt lgkmcnt(0)
	v_mul_f64 v[11:12], v[1:2], v[9:10]
	v_mul_f64 v[15:16], v[3:4], v[9:10]
	s_delay_alu instid0(VALU_DEP_2) | instskip(NEXT) | instid1(VALU_DEP_2)
	v_fma_f64 v[9:10], v[3:4], v[7:8], -v[11:12]
	v_fma_f64 v[11:12], v[1:2], v[7:8], v[15:16]
	scratch_store_b128 off, v[9:12], off offset:624
.LBB50_171:
	s_or_b32 exec_lo, exec_lo, s2
	s_waitcnt_vscnt null, 0x0
	s_barrier
	buffer_gl0_inv
	scratch_load_b128 v[1:4], v175, off
	s_mov_b32 s2, exec_lo
	s_waitcnt vmcnt(0)
	ds_store_b128 v5, v[1:4]
	s_waitcnt lgkmcnt(0)
	s_barrier
	buffer_gl0_inv
	v_cmpx_gt_u32_e32 40, v148
	s_cbranch_execz .LBB50_175
; %bb.172:
	v_dual_mov_b32 v1, 0 :: v_dual_add_nc_u32 v8, 0x330, v13
	v_dual_mov_b32 v2, 0 :: v_dual_add_nc_u32 v7, -1, v148
	v_or_b32_e32 v9, 8, v14
	s_mov_b32 s3, 0
	s_delay_alu instid0(VALU_DEP_2)
	v_dual_mov_b32 v4, v2 :: v_dual_mov_b32 v3, v1
	.p2align	6
.LBB50_173:                             ; =>This Inner Loop Header: Depth=1
	scratch_load_b128 v[15:18], v9, off offset:-8
	ds_load_b128 v[19:22], v8
	v_add_nc_u32_e32 v7, 1, v7
	v_add_nc_u32_e32 v8, 16, v8
	;; [unrolled: 1-line block ×3, first 2 shown]
	s_delay_alu instid0(VALU_DEP_3) | instskip(SKIP_4) | instid1(VALU_DEP_2)
	v_cmp_lt_u32_e32 vcc_lo, 38, v7
	s_or_b32 s3, vcc_lo, s3
	s_waitcnt vmcnt(0) lgkmcnt(0)
	v_mul_f64 v[10:11], v[21:22], v[17:18]
	v_mul_f64 v[17:18], v[19:20], v[17:18]
	v_fma_f64 v[10:11], v[19:20], v[15:16], -v[10:11]
	s_delay_alu instid0(VALU_DEP_2) | instskip(NEXT) | instid1(VALU_DEP_2)
	v_fma_f64 v[15:16], v[21:22], v[15:16], v[17:18]
	v_add_f64 v[3:4], v[3:4], v[10:11]
	s_delay_alu instid0(VALU_DEP_2)
	v_add_f64 v[1:2], v[1:2], v[15:16]
	s_and_not1_b32 exec_lo, exec_lo, s3
	s_cbranch_execnz .LBB50_173
; %bb.174:
	s_or_b32 exec_lo, exec_lo, s3
	v_mov_b32_e32 v7, 0
	ds_load_b128 v[7:10], v7 offset:640
	s_waitcnt lgkmcnt(0)
	v_mul_f64 v[11:12], v[1:2], v[9:10]
	v_mul_f64 v[15:16], v[3:4], v[9:10]
	s_delay_alu instid0(VALU_DEP_2) | instskip(NEXT) | instid1(VALU_DEP_2)
	v_fma_f64 v[9:10], v[3:4], v[7:8], -v[11:12]
	v_fma_f64 v[11:12], v[1:2], v[7:8], v[15:16]
	scratch_store_b128 off, v[9:12], off offset:640
.LBB50_175:
	s_or_b32 exec_lo, exec_lo, s2
	s_waitcnt_vscnt null, 0x0
	s_barrier
	buffer_gl0_inv
	scratch_load_b128 v[1:4], v171, off
	s_mov_b32 s2, exec_lo
	s_waitcnt vmcnt(0)
	ds_store_b128 v5, v[1:4]
	s_waitcnt lgkmcnt(0)
	s_barrier
	buffer_gl0_inv
	v_cmpx_gt_u32_e32 41, v148
	s_cbranch_execz .LBB50_179
; %bb.176:
	v_dual_mov_b32 v1, 0 :: v_dual_add_nc_u32 v8, 0x330, v13
	v_dual_mov_b32 v2, 0 :: v_dual_add_nc_u32 v7, -1, v148
	v_or_b32_e32 v9, 8, v14
	s_mov_b32 s3, 0
	s_delay_alu instid0(VALU_DEP_2)
	v_dual_mov_b32 v4, v2 :: v_dual_mov_b32 v3, v1
	.p2align	6
.LBB50_177:                             ; =>This Inner Loop Header: Depth=1
	scratch_load_b128 v[15:18], v9, off offset:-8
	ds_load_b128 v[19:22], v8
	v_add_nc_u32_e32 v7, 1, v7
	v_add_nc_u32_e32 v8, 16, v8
	;; [unrolled: 1-line block ×3, first 2 shown]
	s_delay_alu instid0(VALU_DEP_3) | instskip(SKIP_4) | instid1(VALU_DEP_2)
	v_cmp_lt_u32_e32 vcc_lo, 39, v7
	s_or_b32 s3, vcc_lo, s3
	s_waitcnt vmcnt(0) lgkmcnt(0)
	v_mul_f64 v[10:11], v[21:22], v[17:18]
	v_mul_f64 v[17:18], v[19:20], v[17:18]
	v_fma_f64 v[10:11], v[19:20], v[15:16], -v[10:11]
	s_delay_alu instid0(VALU_DEP_2) | instskip(NEXT) | instid1(VALU_DEP_2)
	v_fma_f64 v[15:16], v[21:22], v[15:16], v[17:18]
	v_add_f64 v[3:4], v[3:4], v[10:11]
	s_delay_alu instid0(VALU_DEP_2)
	v_add_f64 v[1:2], v[1:2], v[15:16]
	s_and_not1_b32 exec_lo, exec_lo, s3
	s_cbranch_execnz .LBB50_177
; %bb.178:
	s_or_b32 exec_lo, exec_lo, s3
	v_mov_b32_e32 v7, 0
	ds_load_b128 v[7:10], v7 offset:656
	s_waitcnt lgkmcnt(0)
	v_mul_f64 v[11:12], v[1:2], v[9:10]
	v_mul_f64 v[15:16], v[3:4], v[9:10]
	s_delay_alu instid0(VALU_DEP_2) | instskip(NEXT) | instid1(VALU_DEP_2)
	v_fma_f64 v[9:10], v[3:4], v[7:8], -v[11:12]
	v_fma_f64 v[11:12], v[1:2], v[7:8], v[15:16]
	scratch_store_b128 off, v[9:12], off offset:656
.LBB50_179:
	s_or_b32 exec_lo, exec_lo, s2
	s_waitcnt_vscnt null, 0x0
	s_barrier
	buffer_gl0_inv
	scratch_load_b128 v[1:4], v170, off
	s_mov_b32 s2, exec_lo
	s_waitcnt vmcnt(0)
	ds_store_b128 v5, v[1:4]
	s_waitcnt lgkmcnt(0)
	s_barrier
	buffer_gl0_inv
	v_cmpx_gt_u32_e32 42, v148
	s_cbranch_execz .LBB50_183
; %bb.180:
	v_dual_mov_b32 v1, 0 :: v_dual_add_nc_u32 v8, 0x330, v13
	v_dual_mov_b32 v2, 0 :: v_dual_add_nc_u32 v7, -1, v148
	v_or_b32_e32 v9, 8, v14
	s_mov_b32 s3, 0
	s_delay_alu instid0(VALU_DEP_2)
	v_dual_mov_b32 v4, v2 :: v_dual_mov_b32 v3, v1
	.p2align	6
.LBB50_181:                             ; =>This Inner Loop Header: Depth=1
	scratch_load_b128 v[15:18], v9, off offset:-8
	ds_load_b128 v[19:22], v8
	v_add_nc_u32_e32 v7, 1, v7
	v_add_nc_u32_e32 v8, 16, v8
	;; [unrolled: 1-line block ×3, first 2 shown]
	s_delay_alu instid0(VALU_DEP_3) | instskip(SKIP_4) | instid1(VALU_DEP_2)
	v_cmp_lt_u32_e32 vcc_lo, 40, v7
	s_or_b32 s3, vcc_lo, s3
	s_waitcnt vmcnt(0) lgkmcnt(0)
	v_mul_f64 v[10:11], v[21:22], v[17:18]
	v_mul_f64 v[17:18], v[19:20], v[17:18]
	v_fma_f64 v[10:11], v[19:20], v[15:16], -v[10:11]
	s_delay_alu instid0(VALU_DEP_2) | instskip(NEXT) | instid1(VALU_DEP_2)
	v_fma_f64 v[15:16], v[21:22], v[15:16], v[17:18]
	v_add_f64 v[3:4], v[3:4], v[10:11]
	s_delay_alu instid0(VALU_DEP_2)
	v_add_f64 v[1:2], v[1:2], v[15:16]
	s_and_not1_b32 exec_lo, exec_lo, s3
	s_cbranch_execnz .LBB50_181
; %bb.182:
	s_or_b32 exec_lo, exec_lo, s3
	v_mov_b32_e32 v7, 0
	ds_load_b128 v[7:10], v7 offset:672
	s_waitcnt lgkmcnt(0)
	v_mul_f64 v[11:12], v[1:2], v[9:10]
	v_mul_f64 v[15:16], v[3:4], v[9:10]
	s_delay_alu instid0(VALU_DEP_2) | instskip(NEXT) | instid1(VALU_DEP_2)
	v_fma_f64 v[9:10], v[3:4], v[7:8], -v[11:12]
	v_fma_f64 v[11:12], v[1:2], v[7:8], v[15:16]
	scratch_store_b128 off, v[9:12], off offset:672
.LBB50_183:
	s_or_b32 exec_lo, exec_lo, s2
	s_waitcnt_vscnt null, 0x0
	s_barrier
	buffer_gl0_inv
	scratch_load_b128 v[1:4], v167, off
	s_mov_b32 s2, exec_lo
	s_waitcnt vmcnt(0)
	ds_store_b128 v5, v[1:4]
	s_waitcnt lgkmcnt(0)
	s_barrier
	buffer_gl0_inv
	v_cmpx_gt_u32_e32 43, v148
	s_cbranch_execz .LBB50_187
; %bb.184:
	v_dual_mov_b32 v1, 0 :: v_dual_add_nc_u32 v8, 0x330, v13
	v_dual_mov_b32 v2, 0 :: v_dual_add_nc_u32 v7, -1, v148
	v_or_b32_e32 v9, 8, v14
	s_mov_b32 s3, 0
	s_delay_alu instid0(VALU_DEP_2)
	v_dual_mov_b32 v4, v2 :: v_dual_mov_b32 v3, v1
	.p2align	6
.LBB50_185:                             ; =>This Inner Loop Header: Depth=1
	scratch_load_b128 v[15:18], v9, off offset:-8
	ds_load_b128 v[19:22], v8
	v_add_nc_u32_e32 v7, 1, v7
	v_add_nc_u32_e32 v8, 16, v8
	;; [unrolled: 1-line block ×3, first 2 shown]
	s_delay_alu instid0(VALU_DEP_3) | instskip(SKIP_4) | instid1(VALU_DEP_2)
	v_cmp_lt_u32_e32 vcc_lo, 41, v7
	s_or_b32 s3, vcc_lo, s3
	s_waitcnt vmcnt(0) lgkmcnt(0)
	v_mul_f64 v[10:11], v[21:22], v[17:18]
	v_mul_f64 v[17:18], v[19:20], v[17:18]
	v_fma_f64 v[10:11], v[19:20], v[15:16], -v[10:11]
	s_delay_alu instid0(VALU_DEP_2) | instskip(NEXT) | instid1(VALU_DEP_2)
	v_fma_f64 v[15:16], v[21:22], v[15:16], v[17:18]
	v_add_f64 v[3:4], v[3:4], v[10:11]
	s_delay_alu instid0(VALU_DEP_2)
	v_add_f64 v[1:2], v[1:2], v[15:16]
	s_and_not1_b32 exec_lo, exec_lo, s3
	s_cbranch_execnz .LBB50_185
; %bb.186:
	s_or_b32 exec_lo, exec_lo, s3
	v_mov_b32_e32 v7, 0
	ds_load_b128 v[7:10], v7 offset:688
	s_waitcnt lgkmcnt(0)
	v_mul_f64 v[11:12], v[1:2], v[9:10]
	v_mul_f64 v[15:16], v[3:4], v[9:10]
	s_delay_alu instid0(VALU_DEP_2) | instskip(NEXT) | instid1(VALU_DEP_2)
	v_fma_f64 v[9:10], v[3:4], v[7:8], -v[11:12]
	v_fma_f64 v[11:12], v[1:2], v[7:8], v[15:16]
	scratch_store_b128 off, v[9:12], off offset:688
.LBB50_187:
	s_or_b32 exec_lo, exec_lo, s2
	s_waitcnt_vscnt null, 0x0
	s_barrier
	buffer_gl0_inv
	scratch_load_b128 v[1:4], v191, off
	s_mov_b32 s2, exec_lo
	s_waitcnt vmcnt(0)
	ds_store_b128 v5, v[1:4]
	s_waitcnt lgkmcnt(0)
	s_barrier
	buffer_gl0_inv
	v_cmpx_gt_u32_e32 44, v148
	s_cbranch_execz .LBB50_191
; %bb.188:
	v_dual_mov_b32 v1, 0 :: v_dual_add_nc_u32 v8, 0x330, v13
	v_dual_mov_b32 v2, 0 :: v_dual_add_nc_u32 v7, -1, v148
	v_or_b32_e32 v9, 8, v14
	s_mov_b32 s3, 0
	s_delay_alu instid0(VALU_DEP_2)
	v_dual_mov_b32 v4, v2 :: v_dual_mov_b32 v3, v1
	.p2align	6
.LBB50_189:                             ; =>This Inner Loop Header: Depth=1
	scratch_load_b128 v[15:18], v9, off offset:-8
	ds_load_b128 v[19:22], v8
	v_add_nc_u32_e32 v7, 1, v7
	v_add_nc_u32_e32 v8, 16, v8
	;; [unrolled: 1-line block ×3, first 2 shown]
	s_delay_alu instid0(VALU_DEP_3) | instskip(SKIP_4) | instid1(VALU_DEP_2)
	v_cmp_lt_u32_e32 vcc_lo, 42, v7
	s_or_b32 s3, vcc_lo, s3
	s_waitcnt vmcnt(0) lgkmcnt(0)
	v_mul_f64 v[10:11], v[21:22], v[17:18]
	v_mul_f64 v[17:18], v[19:20], v[17:18]
	v_fma_f64 v[10:11], v[19:20], v[15:16], -v[10:11]
	s_delay_alu instid0(VALU_DEP_2) | instskip(NEXT) | instid1(VALU_DEP_2)
	v_fma_f64 v[15:16], v[21:22], v[15:16], v[17:18]
	v_add_f64 v[3:4], v[3:4], v[10:11]
	s_delay_alu instid0(VALU_DEP_2)
	v_add_f64 v[1:2], v[1:2], v[15:16]
	s_and_not1_b32 exec_lo, exec_lo, s3
	s_cbranch_execnz .LBB50_189
; %bb.190:
	s_or_b32 exec_lo, exec_lo, s3
	v_mov_b32_e32 v7, 0
	ds_load_b128 v[7:10], v7 offset:704
	s_waitcnt lgkmcnt(0)
	v_mul_f64 v[11:12], v[1:2], v[9:10]
	v_mul_f64 v[15:16], v[3:4], v[9:10]
	s_delay_alu instid0(VALU_DEP_2) | instskip(NEXT) | instid1(VALU_DEP_2)
	v_fma_f64 v[9:10], v[3:4], v[7:8], -v[11:12]
	v_fma_f64 v[11:12], v[1:2], v[7:8], v[15:16]
	scratch_store_b128 off, v[9:12], off offset:704
.LBB50_191:
	s_or_b32 exec_lo, exec_lo, s2
	s_waitcnt_vscnt null, 0x0
	s_barrier
	buffer_gl0_inv
	scratch_load_b128 v[1:4], v190, off
	s_mov_b32 s2, exec_lo
	s_waitcnt vmcnt(0)
	ds_store_b128 v5, v[1:4]
	s_waitcnt lgkmcnt(0)
	s_barrier
	buffer_gl0_inv
	v_cmpx_gt_u32_e32 45, v148
	s_cbranch_execz .LBB50_195
; %bb.192:
	v_dual_mov_b32 v1, 0 :: v_dual_add_nc_u32 v8, 0x330, v13
	v_dual_mov_b32 v2, 0 :: v_dual_add_nc_u32 v7, -1, v148
	v_or_b32_e32 v9, 8, v14
	s_mov_b32 s3, 0
	s_delay_alu instid0(VALU_DEP_2)
	v_dual_mov_b32 v4, v2 :: v_dual_mov_b32 v3, v1
	.p2align	6
.LBB50_193:                             ; =>This Inner Loop Header: Depth=1
	scratch_load_b128 v[15:18], v9, off offset:-8
	ds_load_b128 v[19:22], v8
	v_add_nc_u32_e32 v7, 1, v7
	v_add_nc_u32_e32 v8, 16, v8
	;; [unrolled: 1-line block ×3, first 2 shown]
	s_delay_alu instid0(VALU_DEP_3) | instskip(SKIP_4) | instid1(VALU_DEP_2)
	v_cmp_lt_u32_e32 vcc_lo, 43, v7
	s_or_b32 s3, vcc_lo, s3
	s_waitcnt vmcnt(0) lgkmcnt(0)
	v_mul_f64 v[10:11], v[21:22], v[17:18]
	v_mul_f64 v[17:18], v[19:20], v[17:18]
	v_fma_f64 v[10:11], v[19:20], v[15:16], -v[10:11]
	s_delay_alu instid0(VALU_DEP_2) | instskip(NEXT) | instid1(VALU_DEP_2)
	v_fma_f64 v[15:16], v[21:22], v[15:16], v[17:18]
	v_add_f64 v[3:4], v[3:4], v[10:11]
	s_delay_alu instid0(VALU_DEP_2)
	v_add_f64 v[1:2], v[1:2], v[15:16]
	s_and_not1_b32 exec_lo, exec_lo, s3
	s_cbranch_execnz .LBB50_193
; %bb.194:
	s_or_b32 exec_lo, exec_lo, s3
	v_mov_b32_e32 v7, 0
	ds_load_b128 v[7:10], v7 offset:720
	s_waitcnt lgkmcnt(0)
	v_mul_f64 v[11:12], v[1:2], v[9:10]
	v_mul_f64 v[15:16], v[3:4], v[9:10]
	s_delay_alu instid0(VALU_DEP_2) | instskip(NEXT) | instid1(VALU_DEP_2)
	v_fma_f64 v[9:10], v[3:4], v[7:8], -v[11:12]
	v_fma_f64 v[11:12], v[1:2], v[7:8], v[15:16]
	scratch_store_b128 off, v[9:12], off offset:720
.LBB50_195:
	s_or_b32 exec_lo, exec_lo, s2
	s_waitcnt_vscnt null, 0x0
	s_barrier
	buffer_gl0_inv
	scratch_load_b128 v[1:4], v189, off
	s_mov_b32 s2, exec_lo
	s_waitcnt vmcnt(0)
	ds_store_b128 v5, v[1:4]
	s_waitcnt lgkmcnt(0)
	s_barrier
	buffer_gl0_inv
	v_cmpx_gt_u32_e32 46, v148
	s_cbranch_execz .LBB50_199
; %bb.196:
	v_dual_mov_b32 v1, 0 :: v_dual_add_nc_u32 v8, 0x330, v13
	v_dual_mov_b32 v2, 0 :: v_dual_add_nc_u32 v7, -1, v148
	v_or_b32_e32 v9, 8, v14
	s_mov_b32 s3, 0
	s_delay_alu instid0(VALU_DEP_2)
	v_dual_mov_b32 v4, v2 :: v_dual_mov_b32 v3, v1
	.p2align	6
.LBB50_197:                             ; =>This Inner Loop Header: Depth=1
	scratch_load_b128 v[15:18], v9, off offset:-8
	ds_load_b128 v[19:22], v8
	v_add_nc_u32_e32 v7, 1, v7
	v_add_nc_u32_e32 v8, 16, v8
	;; [unrolled: 1-line block ×3, first 2 shown]
	s_delay_alu instid0(VALU_DEP_3) | instskip(SKIP_4) | instid1(VALU_DEP_2)
	v_cmp_lt_u32_e32 vcc_lo, 44, v7
	s_or_b32 s3, vcc_lo, s3
	s_waitcnt vmcnt(0) lgkmcnt(0)
	v_mul_f64 v[10:11], v[21:22], v[17:18]
	v_mul_f64 v[17:18], v[19:20], v[17:18]
	v_fma_f64 v[10:11], v[19:20], v[15:16], -v[10:11]
	s_delay_alu instid0(VALU_DEP_2) | instskip(NEXT) | instid1(VALU_DEP_2)
	v_fma_f64 v[15:16], v[21:22], v[15:16], v[17:18]
	v_add_f64 v[3:4], v[3:4], v[10:11]
	s_delay_alu instid0(VALU_DEP_2)
	v_add_f64 v[1:2], v[1:2], v[15:16]
	s_and_not1_b32 exec_lo, exec_lo, s3
	s_cbranch_execnz .LBB50_197
; %bb.198:
	s_or_b32 exec_lo, exec_lo, s3
	v_mov_b32_e32 v7, 0
	ds_load_b128 v[7:10], v7 offset:736
	s_waitcnt lgkmcnt(0)
	v_mul_f64 v[11:12], v[1:2], v[9:10]
	v_mul_f64 v[15:16], v[3:4], v[9:10]
	s_delay_alu instid0(VALU_DEP_2) | instskip(NEXT) | instid1(VALU_DEP_2)
	v_fma_f64 v[9:10], v[3:4], v[7:8], -v[11:12]
	v_fma_f64 v[11:12], v[1:2], v[7:8], v[15:16]
	scratch_store_b128 off, v[9:12], off offset:736
.LBB50_199:
	s_or_b32 exec_lo, exec_lo, s2
	s_waitcnt_vscnt null, 0x0
	s_barrier
	buffer_gl0_inv
	scratch_load_b128 v[1:4], v188, off
	s_mov_b32 s2, exec_lo
	s_waitcnt vmcnt(0)
	ds_store_b128 v5, v[1:4]
	s_waitcnt lgkmcnt(0)
	s_barrier
	buffer_gl0_inv
	v_cmpx_gt_u32_e32 47, v148
	s_cbranch_execz .LBB50_203
; %bb.200:
	v_dual_mov_b32 v1, 0 :: v_dual_add_nc_u32 v8, 0x330, v13
	v_dual_mov_b32 v2, 0 :: v_dual_add_nc_u32 v7, -1, v148
	v_or_b32_e32 v9, 8, v14
	s_mov_b32 s3, 0
	s_delay_alu instid0(VALU_DEP_2)
	v_dual_mov_b32 v4, v2 :: v_dual_mov_b32 v3, v1
	.p2align	6
.LBB50_201:                             ; =>This Inner Loop Header: Depth=1
	scratch_load_b128 v[15:18], v9, off offset:-8
	ds_load_b128 v[19:22], v8
	v_add_nc_u32_e32 v7, 1, v7
	v_add_nc_u32_e32 v8, 16, v8
	;; [unrolled: 1-line block ×3, first 2 shown]
	s_delay_alu instid0(VALU_DEP_3) | instskip(SKIP_4) | instid1(VALU_DEP_2)
	v_cmp_lt_u32_e32 vcc_lo, 45, v7
	s_or_b32 s3, vcc_lo, s3
	s_waitcnt vmcnt(0) lgkmcnt(0)
	v_mul_f64 v[10:11], v[21:22], v[17:18]
	v_mul_f64 v[17:18], v[19:20], v[17:18]
	v_fma_f64 v[10:11], v[19:20], v[15:16], -v[10:11]
	s_delay_alu instid0(VALU_DEP_2) | instskip(NEXT) | instid1(VALU_DEP_2)
	v_fma_f64 v[15:16], v[21:22], v[15:16], v[17:18]
	v_add_f64 v[3:4], v[3:4], v[10:11]
	s_delay_alu instid0(VALU_DEP_2)
	v_add_f64 v[1:2], v[1:2], v[15:16]
	s_and_not1_b32 exec_lo, exec_lo, s3
	s_cbranch_execnz .LBB50_201
; %bb.202:
	s_or_b32 exec_lo, exec_lo, s3
	v_mov_b32_e32 v7, 0
	ds_load_b128 v[7:10], v7 offset:752
	s_waitcnt lgkmcnt(0)
	v_mul_f64 v[11:12], v[1:2], v[9:10]
	v_mul_f64 v[15:16], v[3:4], v[9:10]
	s_delay_alu instid0(VALU_DEP_2) | instskip(NEXT) | instid1(VALU_DEP_2)
	v_fma_f64 v[9:10], v[3:4], v[7:8], -v[11:12]
	v_fma_f64 v[11:12], v[1:2], v[7:8], v[15:16]
	scratch_store_b128 off, v[9:12], off offset:752
.LBB50_203:
	s_or_b32 exec_lo, exec_lo, s2
	s_waitcnt_vscnt null, 0x0
	s_barrier
	buffer_gl0_inv
	scratch_load_b128 v[1:4], v187, off
	s_mov_b32 s2, exec_lo
	s_waitcnt vmcnt(0)
	ds_store_b128 v5, v[1:4]
	s_waitcnt lgkmcnt(0)
	s_barrier
	buffer_gl0_inv
	v_cmpx_gt_u32_e32 48, v148
	s_cbranch_execz .LBB50_207
; %bb.204:
	v_dual_mov_b32 v1, 0 :: v_dual_add_nc_u32 v8, 0x330, v13
	v_dual_mov_b32 v2, 0 :: v_dual_add_nc_u32 v7, -1, v148
	v_or_b32_e32 v9, 8, v14
	s_mov_b32 s3, 0
	s_delay_alu instid0(VALU_DEP_2)
	v_dual_mov_b32 v4, v2 :: v_dual_mov_b32 v3, v1
	.p2align	6
.LBB50_205:                             ; =>This Inner Loop Header: Depth=1
	scratch_load_b128 v[15:18], v9, off offset:-8
	ds_load_b128 v[19:22], v8
	v_add_nc_u32_e32 v7, 1, v7
	v_add_nc_u32_e32 v8, 16, v8
	;; [unrolled: 1-line block ×3, first 2 shown]
	s_delay_alu instid0(VALU_DEP_3) | instskip(SKIP_4) | instid1(VALU_DEP_2)
	v_cmp_lt_u32_e32 vcc_lo, 46, v7
	s_or_b32 s3, vcc_lo, s3
	s_waitcnt vmcnt(0) lgkmcnt(0)
	v_mul_f64 v[10:11], v[21:22], v[17:18]
	v_mul_f64 v[17:18], v[19:20], v[17:18]
	v_fma_f64 v[10:11], v[19:20], v[15:16], -v[10:11]
	s_delay_alu instid0(VALU_DEP_2) | instskip(NEXT) | instid1(VALU_DEP_2)
	v_fma_f64 v[15:16], v[21:22], v[15:16], v[17:18]
	v_add_f64 v[3:4], v[3:4], v[10:11]
	s_delay_alu instid0(VALU_DEP_2)
	v_add_f64 v[1:2], v[1:2], v[15:16]
	s_and_not1_b32 exec_lo, exec_lo, s3
	s_cbranch_execnz .LBB50_205
; %bb.206:
	s_or_b32 exec_lo, exec_lo, s3
	v_mov_b32_e32 v7, 0
	ds_load_b128 v[7:10], v7 offset:768
	s_waitcnt lgkmcnt(0)
	v_mul_f64 v[11:12], v[1:2], v[9:10]
	v_mul_f64 v[15:16], v[3:4], v[9:10]
	s_delay_alu instid0(VALU_DEP_2) | instskip(NEXT) | instid1(VALU_DEP_2)
	v_fma_f64 v[9:10], v[3:4], v[7:8], -v[11:12]
	v_fma_f64 v[11:12], v[1:2], v[7:8], v[15:16]
	scratch_store_b128 off, v[9:12], off offset:768
.LBB50_207:
	s_or_b32 exec_lo, exec_lo, s2
	s_waitcnt_vscnt null, 0x0
	s_barrier
	buffer_gl0_inv
	scratch_load_b128 v[1:4], v186, off
	s_mov_b32 s2, exec_lo
	s_waitcnt vmcnt(0)
	ds_store_b128 v5, v[1:4]
	s_waitcnt lgkmcnt(0)
	s_barrier
	buffer_gl0_inv
	v_cmpx_gt_u32_e32 49, v148
	s_cbranch_execz .LBB50_211
; %bb.208:
	v_dual_mov_b32 v1, 0 :: v_dual_add_nc_u32 v8, 0x330, v13
	v_dual_mov_b32 v2, 0 :: v_dual_add_nc_u32 v7, -1, v148
	v_or_b32_e32 v9, 8, v14
	s_mov_b32 s3, 0
	s_delay_alu instid0(VALU_DEP_2)
	v_dual_mov_b32 v4, v2 :: v_dual_mov_b32 v3, v1
	.p2align	6
.LBB50_209:                             ; =>This Inner Loop Header: Depth=1
	scratch_load_b128 v[10:13], v9, off offset:-8
	ds_load_b128 v[15:18], v8
	v_add_nc_u32_e32 v7, 1, v7
	v_add_nc_u32_e32 v8, 16, v8
	;; [unrolled: 1-line block ×3, first 2 shown]
	s_delay_alu instid0(VALU_DEP_3) | instskip(SKIP_4) | instid1(VALU_DEP_2)
	v_cmp_lt_u32_e32 vcc_lo, 47, v7
	s_or_b32 s3, vcc_lo, s3
	s_waitcnt vmcnt(0) lgkmcnt(0)
	v_mul_f64 v[19:20], v[17:18], v[12:13]
	v_mul_f64 v[12:13], v[15:16], v[12:13]
	v_fma_f64 v[15:16], v[15:16], v[10:11], -v[19:20]
	s_delay_alu instid0(VALU_DEP_2) | instskip(NEXT) | instid1(VALU_DEP_2)
	v_fma_f64 v[10:11], v[17:18], v[10:11], v[12:13]
	v_add_f64 v[3:4], v[3:4], v[15:16]
	s_delay_alu instid0(VALU_DEP_2)
	v_add_f64 v[1:2], v[1:2], v[10:11]
	s_and_not1_b32 exec_lo, exec_lo, s3
	s_cbranch_execnz .LBB50_209
; %bb.210:
	s_or_b32 exec_lo, exec_lo, s3
	v_mov_b32_e32 v7, 0
	ds_load_b128 v[7:10], v7 offset:784
	s_waitcnt lgkmcnt(0)
	v_mul_f64 v[11:12], v[1:2], v[9:10]
	v_mul_f64 v[15:16], v[3:4], v[9:10]
	s_delay_alu instid0(VALU_DEP_2) | instskip(NEXT) | instid1(VALU_DEP_2)
	v_fma_f64 v[9:10], v[3:4], v[7:8], -v[11:12]
	v_fma_f64 v[11:12], v[1:2], v[7:8], v[15:16]
	scratch_store_b128 off, v[9:12], off offset:784
.LBB50_211:
	s_or_b32 exec_lo, exec_lo, s2
	s_waitcnt_vscnt null, 0x0
	s_barrier
	buffer_gl0_inv
	scratch_load_b128 v[1:4], v185, off
	s_mov_b32 s2, exec_lo
	s_waitcnt vmcnt(0)
	ds_store_b128 v5, v[1:4]
	s_waitcnt lgkmcnt(0)
	s_barrier
	buffer_gl0_inv
	v_cmpx_ne_u32_e32 50, v148
	s_cbranch_execz .LBB50_215
; %bb.212:
	v_mov_b32_e32 v1, 0
	v_mov_b32_e32 v2, 0
	v_or_b32_e32 v7, 8, v14
	s_mov_b32 s3, 0
	s_delay_alu instid0(VALU_DEP_2)
	v_dual_mov_b32 v4, v2 :: v_dual_mov_b32 v3, v1
	.p2align	6
.LBB50_213:                             ; =>This Inner Loop Header: Depth=1
	scratch_load_b128 v[8:11], v7, off offset:-8
	ds_load_b128 v[12:15], v5
	v_add_nc_u32_e32 v6, 1, v6
	v_add_nc_u32_e32 v5, 16, v5
	;; [unrolled: 1-line block ×3, first 2 shown]
	s_delay_alu instid0(VALU_DEP_3) | instskip(SKIP_4) | instid1(VALU_DEP_2)
	v_cmp_lt_u32_e32 vcc_lo, 48, v6
	s_or_b32 s3, vcc_lo, s3
	s_waitcnt vmcnt(0) lgkmcnt(0)
	v_mul_f64 v[16:17], v[14:15], v[10:11]
	v_mul_f64 v[10:11], v[12:13], v[10:11]
	v_fma_f64 v[12:13], v[12:13], v[8:9], -v[16:17]
	s_delay_alu instid0(VALU_DEP_2) | instskip(NEXT) | instid1(VALU_DEP_2)
	v_fma_f64 v[8:9], v[14:15], v[8:9], v[10:11]
	v_add_f64 v[3:4], v[3:4], v[12:13]
	s_delay_alu instid0(VALU_DEP_2)
	v_add_f64 v[1:2], v[1:2], v[8:9]
	s_and_not1_b32 exec_lo, exec_lo, s3
	s_cbranch_execnz .LBB50_213
; %bb.214:
	s_or_b32 exec_lo, exec_lo, s3
	v_mov_b32_e32 v5, 0
	ds_load_b128 v[5:8], v5 offset:800
	s_waitcnt lgkmcnt(0)
	v_mul_f64 v[9:10], v[1:2], v[7:8]
	v_mul_f64 v[7:8], v[3:4], v[7:8]
	s_delay_alu instid0(VALU_DEP_2) | instskip(NEXT) | instid1(VALU_DEP_2)
	v_fma_f64 v[3:4], v[3:4], v[5:6], -v[9:10]
	v_fma_f64 v[5:6], v[1:2], v[5:6], v[7:8]
	scratch_store_b128 off, v[3:6], off offset:800
.LBB50_215:
	s_or_b32 exec_lo, exec_lo, s2
	s_mov_b32 s3, -1
	s_waitcnt_vscnt null, 0x0
	s_barrier
	buffer_gl0_inv
.LBB50_216:
	s_and_b32 vcc_lo, exec_lo, s3
	s_cbranch_vccz .LBB50_218
; %bb.217:
	s_lshl_b64 s[2:3], s[18:19], 2
	v_mov_b32_e32 v1, 0
	s_add_u32 s2, s6, s2
	s_addc_u32 s3, s7, s3
	global_load_b32 v1, v1, s[2:3]
	s_waitcnt vmcnt(0)
	v_cmp_ne_u32_e32 vcc_lo, 0, v1
	s_cbranch_vccz .LBB50_219
.LBB50_218:
	s_endpgm
.LBB50_219:
	v_lshl_add_u32 v199, v148, 4, 0x330
	s_mov_b32 s2, exec_lo
	v_cmpx_eq_u32_e32 50, v148
	s_cbranch_execz .LBB50_221
; %bb.220:
	scratch_load_b128 v[1:4], v186, off
	v_mov_b32_e32 v5, 0
	s_delay_alu instid0(VALU_DEP_1)
	v_mov_b32_e32 v6, v5
	v_mov_b32_e32 v7, v5
	v_mov_b32_e32 v8, v5
	scratch_store_b128 off, v[5:8], off offset:784
	s_waitcnt vmcnt(0)
	ds_store_b128 v199, v[1:4]
.LBB50_221:
	s_or_b32 exec_lo, exec_lo, s2
	s_waitcnt lgkmcnt(0)
	s_waitcnt_vscnt null, 0x0
	s_barrier
	buffer_gl0_inv
	s_clause 0x1
	scratch_load_b128 v[2:5], off, off offset:800
	scratch_load_b128 v[6:9], off, off offset:784
	v_mov_b32_e32 v1, 0
	s_mov_b32 s2, exec_lo
	ds_load_b128 v[10:13], v1 offset:1616
	s_waitcnt vmcnt(1) lgkmcnt(0)
	v_mul_f64 v[14:15], v[12:13], v[4:5]
	v_mul_f64 v[4:5], v[10:11], v[4:5]
	s_delay_alu instid0(VALU_DEP_2) | instskip(NEXT) | instid1(VALU_DEP_2)
	v_fma_f64 v[10:11], v[10:11], v[2:3], -v[14:15]
	v_fma_f64 v[2:3], v[12:13], v[2:3], v[4:5]
	s_delay_alu instid0(VALU_DEP_2) | instskip(NEXT) | instid1(VALU_DEP_2)
	v_add_f64 v[4:5], v[10:11], 0
	v_add_f64 v[10:11], v[2:3], 0
	s_waitcnt vmcnt(0)
	s_delay_alu instid0(VALU_DEP_2) | instskip(NEXT) | instid1(VALU_DEP_2)
	v_add_f64 v[2:3], v[6:7], -v[4:5]
	v_add_f64 v[4:5], v[8:9], -v[10:11]
	scratch_store_b128 off, v[2:5], off offset:784
	v_cmpx_lt_u32_e32 48, v148
	s_cbranch_execz .LBB50_223
; %bb.222:
	scratch_load_b128 v[5:8], v187, off
	v_mov_b32_e32 v2, v1
	v_mov_b32_e32 v3, v1
	;; [unrolled: 1-line block ×3, first 2 shown]
	scratch_store_b128 off, v[1:4], off offset:768
	s_waitcnt vmcnt(0)
	ds_store_b128 v199, v[5:8]
.LBB50_223:
	s_or_b32 exec_lo, exec_lo, s2
	s_waitcnt lgkmcnt(0)
	s_waitcnt_vscnt null, 0x0
	s_barrier
	buffer_gl0_inv
	s_clause 0x2
	scratch_load_b128 v[2:5], off, off offset:784
	scratch_load_b128 v[6:9], off, off offset:800
	;; [unrolled: 1-line block ×3, first 2 shown]
	ds_load_b128 v[14:17], v1 offset:1600
	ds_load_b128 v[18:21], v1 offset:1616
	s_mov_b32 s2, exec_lo
	s_waitcnt vmcnt(2) lgkmcnt(1)
	v_mul_f64 v[22:23], v[16:17], v[4:5]
	v_mul_f64 v[4:5], v[14:15], v[4:5]
	s_waitcnt vmcnt(1) lgkmcnt(0)
	v_mul_f64 v[24:25], v[18:19], v[8:9]
	v_mul_f64 v[8:9], v[20:21], v[8:9]
	s_delay_alu instid0(VALU_DEP_4) | instskip(NEXT) | instid1(VALU_DEP_4)
	v_fma_f64 v[14:15], v[14:15], v[2:3], -v[22:23]
	v_fma_f64 v[1:2], v[16:17], v[2:3], v[4:5]
	s_delay_alu instid0(VALU_DEP_4) | instskip(NEXT) | instid1(VALU_DEP_4)
	v_fma_f64 v[3:4], v[20:21], v[6:7], v[24:25]
	v_fma_f64 v[5:6], v[18:19], v[6:7], -v[8:9]
	s_delay_alu instid0(VALU_DEP_4) | instskip(NEXT) | instid1(VALU_DEP_4)
	v_add_f64 v[7:8], v[14:15], 0
	v_add_f64 v[1:2], v[1:2], 0
	s_delay_alu instid0(VALU_DEP_2) | instskip(NEXT) | instid1(VALU_DEP_2)
	v_add_f64 v[5:6], v[7:8], v[5:6]
	v_add_f64 v[3:4], v[1:2], v[3:4]
	s_waitcnt vmcnt(0)
	s_delay_alu instid0(VALU_DEP_2) | instskip(NEXT) | instid1(VALU_DEP_2)
	v_add_f64 v[1:2], v[10:11], -v[5:6]
	v_add_f64 v[3:4], v[12:13], -v[3:4]
	scratch_store_b128 off, v[1:4], off offset:768
	v_cmpx_lt_u32_e32 47, v148
	s_cbranch_execz .LBB50_225
; %bb.224:
	scratch_load_b128 v[1:4], v188, off
	v_mov_b32_e32 v5, 0
	s_delay_alu instid0(VALU_DEP_1)
	v_mov_b32_e32 v6, v5
	v_mov_b32_e32 v7, v5
	v_mov_b32_e32 v8, v5
	scratch_store_b128 off, v[5:8], off offset:752
	s_waitcnt vmcnt(0)
	ds_store_b128 v199, v[1:4]
.LBB50_225:
	s_or_b32 exec_lo, exec_lo, s2
	s_waitcnt lgkmcnt(0)
	s_waitcnt_vscnt null, 0x0
	s_barrier
	buffer_gl0_inv
	s_clause 0x3
	scratch_load_b128 v[2:5], off, off offset:768
	scratch_load_b128 v[6:9], off, off offset:784
	;; [unrolled: 1-line block ×4, first 2 shown]
	v_mov_b32_e32 v1, 0
	ds_load_b128 v[18:21], v1 offset:1584
	ds_load_b128 v[22:25], v1 offset:1600
	s_mov_b32 s2, exec_lo
	s_waitcnt vmcnt(3) lgkmcnt(1)
	v_mul_f64 v[26:27], v[20:21], v[4:5]
	v_mul_f64 v[4:5], v[18:19], v[4:5]
	s_waitcnt vmcnt(2) lgkmcnt(0)
	v_mul_f64 v[28:29], v[22:23], v[8:9]
	v_mul_f64 v[8:9], v[24:25], v[8:9]
	s_delay_alu instid0(VALU_DEP_4) | instskip(NEXT) | instid1(VALU_DEP_4)
	v_fma_f64 v[18:19], v[18:19], v[2:3], -v[26:27]
	v_fma_f64 v[20:21], v[20:21], v[2:3], v[4:5]
	ds_load_b128 v[2:5], v1 offset:1616
	v_fma_f64 v[24:25], v[24:25], v[6:7], v[28:29]
	v_fma_f64 v[6:7], v[22:23], v[6:7], -v[8:9]
	s_waitcnt vmcnt(1) lgkmcnt(0)
	v_mul_f64 v[26:27], v[2:3], v[12:13]
	v_mul_f64 v[12:13], v[4:5], v[12:13]
	v_add_f64 v[8:9], v[18:19], 0
	v_add_f64 v[18:19], v[20:21], 0
	s_delay_alu instid0(VALU_DEP_4) | instskip(NEXT) | instid1(VALU_DEP_4)
	v_fma_f64 v[4:5], v[4:5], v[10:11], v[26:27]
	v_fma_f64 v[2:3], v[2:3], v[10:11], -v[12:13]
	s_delay_alu instid0(VALU_DEP_4) | instskip(NEXT) | instid1(VALU_DEP_4)
	v_add_f64 v[6:7], v[8:9], v[6:7]
	v_add_f64 v[8:9], v[18:19], v[24:25]
	s_delay_alu instid0(VALU_DEP_2) | instskip(NEXT) | instid1(VALU_DEP_2)
	v_add_f64 v[2:3], v[6:7], v[2:3]
	v_add_f64 v[4:5], v[8:9], v[4:5]
	s_waitcnt vmcnt(0)
	s_delay_alu instid0(VALU_DEP_2) | instskip(NEXT) | instid1(VALU_DEP_2)
	v_add_f64 v[2:3], v[14:15], -v[2:3]
	v_add_f64 v[4:5], v[16:17], -v[4:5]
	scratch_store_b128 off, v[2:5], off offset:752
	v_cmpx_lt_u32_e32 46, v148
	s_cbranch_execz .LBB50_227
; %bb.226:
	scratch_load_b128 v[5:8], v189, off
	v_mov_b32_e32 v2, v1
	v_mov_b32_e32 v3, v1
	;; [unrolled: 1-line block ×3, first 2 shown]
	scratch_store_b128 off, v[1:4], off offset:736
	s_waitcnt vmcnt(0)
	ds_store_b128 v199, v[5:8]
.LBB50_227:
	s_or_b32 exec_lo, exec_lo, s2
	s_waitcnt lgkmcnt(0)
	s_waitcnt_vscnt null, 0x0
	s_barrier
	buffer_gl0_inv
	s_clause 0x4
	scratch_load_b128 v[2:5], off, off offset:752
	scratch_load_b128 v[6:9], off, off offset:768
	scratch_load_b128 v[10:13], off, off offset:784
	scratch_load_b128 v[14:17], off, off offset:800
	scratch_load_b128 v[18:21], off, off offset:736
	ds_load_b128 v[22:25], v1 offset:1568
	ds_load_b128 v[26:29], v1 offset:1584
	s_mov_b32 s2, exec_lo
	s_waitcnt vmcnt(4) lgkmcnt(1)
	v_mul_f64 v[30:31], v[24:25], v[4:5]
	v_mul_f64 v[4:5], v[22:23], v[4:5]
	s_waitcnt vmcnt(3) lgkmcnt(0)
	v_mul_f64 v[32:33], v[26:27], v[8:9]
	v_mul_f64 v[8:9], v[28:29], v[8:9]
	s_delay_alu instid0(VALU_DEP_4) | instskip(NEXT) | instid1(VALU_DEP_4)
	v_fma_f64 v[30:31], v[22:23], v[2:3], -v[30:31]
	v_fma_f64 v[34:35], v[24:25], v[2:3], v[4:5]
	ds_load_b128 v[2:5], v1 offset:1600
	ds_load_b128 v[22:25], v1 offset:1616
	v_fma_f64 v[28:29], v[28:29], v[6:7], v[32:33]
	v_fma_f64 v[6:7], v[26:27], v[6:7], -v[8:9]
	s_waitcnt vmcnt(2) lgkmcnt(1)
	v_mul_f64 v[36:37], v[2:3], v[12:13]
	v_mul_f64 v[12:13], v[4:5], v[12:13]
	v_add_f64 v[8:9], v[30:31], 0
	v_add_f64 v[26:27], v[34:35], 0
	s_waitcnt vmcnt(1) lgkmcnt(0)
	v_mul_f64 v[30:31], v[22:23], v[16:17]
	v_mul_f64 v[16:17], v[24:25], v[16:17]
	v_fma_f64 v[4:5], v[4:5], v[10:11], v[36:37]
	v_fma_f64 v[1:2], v[2:3], v[10:11], -v[12:13]
	v_add_f64 v[6:7], v[8:9], v[6:7]
	v_add_f64 v[8:9], v[26:27], v[28:29]
	v_fma_f64 v[10:11], v[24:25], v[14:15], v[30:31]
	v_fma_f64 v[12:13], v[22:23], v[14:15], -v[16:17]
	s_delay_alu instid0(VALU_DEP_4) | instskip(NEXT) | instid1(VALU_DEP_4)
	v_add_f64 v[1:2], v[6:7], v[1:2]
	v_add_f64 v[3:4], v[8:9], v[4:5]
	s_delay_alu instid0(VALU_DEP_2) | instskip(NEXT) | instid1(VALU_DEP_2)
	v_add_f64 v[1:2], v[1:2], v[12:13]
	v_add_f64 v[3:4], v[3:4], v[10:11]
	s_waitcnt vmcnt(0)
	s_delay_alu instid0(VALU_DEP_2) | instskip(NEXT) | instid1(VALU_DEP_2)
	v_add_f64 v[1:2], v[18:19], -v[1:2]
	v_add_f64 v[3:4], v[20:21], -v[3:4]
	scratch_store_b128 off, v[1:4], off offset:736
	v_cmpx_lt_u32_e32 45, v148
	s_cbranch_execz .LBB50_229
; %bb.228:
	scratch_load_b128 v[1:4], v190, off
	v_mov_b32_e32 v5, 0
	s_delay_alu instid0(VALU_DEP_1)
	v_mov_b32_e32 v6, v5
	v_mov_b32_e32 v7, v5
	;; [unrolled: 1-line block ×3, first 2 shown]
	scratch_store_b128 off, v[5:8], off offset:720
	s_waitcnt vmcnt(0)
	ds_store_b128 v199, v[1:4]
.LBB50_229:
	s_or_b32 exec_lo, exec_lo, s2
	s_waitcnt lgkmcnt(0)
	s_waitcnt_vscnt null, 0x0
	s_barrier
	buffer_gl0_inv
	s_clause 0x5
	scratch_load_b128 v[2:5], off, off offset:736
	scratch_load_b128 v[6:9], off, off offset:752
	;; [unrolled: 1-line block ×6, first 2 shown]
	v_mov_b32_e32 v1, 0
	ds_load_b128 v[26:29], v1 offset:1552
	ds_load_b128 v[30:33], v1 offset:1568
	s_mov_b32 s2, exec_lo
	s_waitcnt vmcnt(5) lgkmcnt(1)
	v_mul_f64 v[34:35], v[28:29], v[4:5]
	v_mul_f64 v[4:5], v[26:27], v[4:5]
	s_waitcnt vmcnt(4) lgkmcnt(0)
	v_mul_f64 v[36:37], v[30:31], v[8:9]
	v_mul_f64 v[8:9], v[32:33], v[8:9]
	s_delay_alu instid0(VALU_DEP_4) | instskip(NEXT) | instid1(VALU_DEP_4)
	v_fma_f64 v[34:35], v[26:27], v[2:3], -v[34:35]
	v_fma_f64 v[38:39], v[28:29], v[2:3], v[4:5]
	ds_load_b128 v[2:5], v1 offset:1584
	ds_load_b128 v[26:29], v1 offset:1600
	v_fma_f64 v[32:33], v[32:33], v[6:7], v[36:37]
	v_fma_f64 v[6:7], v[30:31], v[6:7], -v[8:9]
	s_waitcnt vmcnt(3) lgkmcnt(1)
	v_mul_f64 v[40:41], v[2:3], v[12:13]
	v_mul_f64 v[12:13], v[4:5], v[12:13]
	v_add_f64 v[8:9], v[34:35], 0
	v_add_f64 v[30:31], v[38:39], 0
	s_waitcnt vmcnt(2) lgkmcnt(0)
	v_mul_f64 v[34:35], v[26:27], v[16:17]
	v_mul_f64 v[16:17], v[28:29], v[16:17]
	v_fma_f64 v[36:37], v[4:5], v[10:11], v[40:41]
	v_fma_f64 v[10:11], v[2:3], v[10:11], -v[12:13]
	ds_load_b128 v[2:5], v1 offset:1616
	v_add_f64 v[6:7], v[8:9], v[6:7]
	v_add_f64 v[8:9], v[30:31], v[32:33]
	v_fma_f64 v[28:29], v[28:29], v[14:15], v[34:35]
	v_fma_f64 v[14:15], v[26:27], v[14:15], -v[16:17]
	s_waitcnt vmcnt(1) lgkmcnt(0)
	v_mul_f64 v[12:13], v[2:3], v[20:21]
	v_mul_f64 v[20:21], v[4:5], v[20:21]
	v_add_f64 v[6:7], v[6:7], v[10:11]
	v_add_f64 v[8:9], v[8:9], v[36:37]
	s_delay_alu instid0(VALU_DEP_4) | instskip(NEXT) | instid1(VALU_DEP_4)
	v_fma_f64 v[4:5], v[4:5], v[18:19], v[12:13]
	v_fma_f64 v[2:3], v[2:3], v[18:19], -v[20:21]
	s_delay_alu instid0(VALU_DEP_4) | instskip(NEXT) | instid1(VALU_DEP_4)
	v_add_f64 v[6:7], v[6:7], v[14:15]
	v_add_f64 v[8:9], v[8:9], v[28:29]
	s_delay_alu instid0(VALU_DEP_2) | instskip(NEXT) | instid1(VALU_DEP_2)
	v_add_f64 v[2:3], v[6:7], v[2:3]
	v_add_f64 v[4:5], v[8:9], v[4:5]
	s_waitcnt vmcnt(0)
	s_delay_alu instid0(VALU_DEP_2) | instskip(NEXT) | instid1(VALU_DEP_2)
	v_add_f64 v[2:3], v[22:23], -v[2:3]
	v_add_f64 v[4:5], v[24:25], -v[4:5]
	scratch_store_b128 off, v[2:5], off offset:720
	v_cmpx_lt_u32_e32 44, v148
	s_cbranch_execz .LBB50_231
; %bb.230:
	scratch_load_b128 v[5:8], v191, off
	v_mov_b32_e32 v2, v1
	v_mov_b32_e32 v3, v1
	;; [unrolled: 1-line block ×3, first 2 shown]
	scratch_store_b128 off, v[1:4], off offset:704
	s_waitcnt vmcnt(0)
	ds_store_b128 v199, v[5:8]
.LBB50_231:
	s_or_b32 exec_lo, exec_lo, s2
	s_waitcnt lgkmcnt(0)
	s_waitcnt_vscnt null, 0x0
	s_barrier
	buffer_gl0_inv
	s_clause 0x5
	scratch_load_b128 v[2:5], off, off offset:720
	scratch_load_b128 v[6:9], off, off offset:736
	;; [unrolled: 1-line block ×6, first 2 shown]
	ds_load_b128 v[26:29], v1 offset:1536
	ds_load_b128 v[34:37], v1 offset:1552
	scratch_load_b128 v[30:33], off, off offset:704
	s_mov_b32 s2, exec_lo
	s_waitcnt vmcnt(6) lgkmcnt(1)
	v_mul_f64 v[38:39], v[28:29], v[4:5]
	v_mul_f64 v[4:5], v[26:27], v[4:5]
	s_waitcnt vmcnt(5) lgkmcnt(0)
	v_mul_f64 v[40:41], v[34:35], v[8:9]
	v_mul_f64 v[8:9], v[36:37], v[8:9]
	s_delay_alu instid0(VALU_DEP_4) | instskip(NEXT) | instid1(VALU_DEP_4)
	v_fma_f64 v[38:39], v[26:27], v[2:3], -v[38:39]
	v_fma_f64 v[42:43], v[28:29], v[2:3], v[4:5]
	ds_load_b128 v[2:5], v1 offset:1568
	ds_load_b128 v[26:29], v1 offset:1584
	v_fma_f64 v[36:37], v[36:37], v[6:7], v[40:41]
	v_fma_f64 v[6:7], v[34:35], v[6:7], -v[8:9]
	s_waitcnt vmcnt(4) lgkmcnt(1)
	v_mul_f64 v[44:45], v[2:3], v[12:13]
	v_mul_f64 v[12:13], v[4:5], v[12:13]
	v_add_f64 v[8:9], v[38:39], 0
	v_add_f64 v[34:35], v[42:43], 0
	s_waitcnt vmcnt(3) lgkmcnt(0)
	v_mul_f64 v[38:39], v[26:27], v[16:17]
	v_mul_f64 v[16:17], v[28:29], v[16:17]
	v_fma_f64 v[40:41], v[4:5], v[10:11], v[44:45]
	v_fma_f64 v[10:11], v[2:3], v[10:11], -v[12:13]
	v_add_f64 v[12:13], v[8:9], v[6:7]
	v_add_f64 v[34:35], v[34:35], v[36:37]
	ds_load_b128 v[2:5], v1 offset:1600
	ds_load_b128 v[6:9], v1 offset:1616
	v_fma_f64 v[28:29], v[28:29], v[14:15], v[38:39]
	v_fma_f64 v[14:15], v[26:27], v[14:15], -v[16:17]
	s_waitcnt vmcnt(2) lgkmcnt(1)
	v_mul_f64 v[36:37], v[2:3], v[20:21]
	v_mul_f64 v[20:21], v[4:5], v[20:21]
	s_waitcnt vmcnt(1) lgkmcnt(0)
	v_mul_f64 v[16:17], v[6:7], v[24:25]
	v_mul_f64 v[24:25], v[8:9], v[24:25]
	v_add_f64 v[10:11], v[12:13], v[10:11]
	v_add_f64 v[12:13], v[34:35], v[40:41]
	v_fma_f64 v[4:5], v[4:5], v[18:19], v[36:37]
	v_fma_f64 v[1:2], v[2:3], v[18:19], -v[20:21]
	v_fma_f64 v[8:9], v[8:9], v[22:23], v[16:17]
	v_fma_f64 v[6:7], v[6:7], v[22:23], -v[24:25]
	v_add_f64 v[10:11], v[10:11], v[14:15]
	v_add_f64 v[12:13], v[12:13], v[28:29]
	s_delay_alu instid0(VALU_DEP_2) | instskip(NEXT) | instid1(VALU_DEP_2)
	v_add_f64 v[1:2], v[10:11], v[1:2]
	v_add_f64 v[3:4], v[12:13], v[4:5]
	s_delay_alu instid0(VALU_DEP_2) | instskip(NEXT) | instid1(VALU_DEP_2)
	v_add_f64 v[1:2], v[1:2], v[6:7]
	v_add_f64 v[3:4], v[3:4], v[8:9]
	s_waitcnt vmcnt(0)
	s_delay_alu instid0(VALU_DEP_2) | instskip(NEXT) | instid1(VALU_DEP_2)
	v_add_f64 v[1:2], v[30:31], -v[1:2]
	v_add_f64 v[3:4], v[32:33], -v[3:4]
	scratch_store_b128 off, v[1:4], off offset:704
	v_cmpx_lt_u32_e32 43, v148
	s_cbranch_execz .LBB50_233
; %bb.232:
	scratch_load_b128 v[1:4], v167, off
	v_mov_b32_e32 v5, 0
	s_delay_alu instid0(VALU_DEP_1)
	v_mov_b32_e32 v6, v5
	v_mov_b32_e32 v7, v5
	;; [unrolled: 1-line block ×3, first 2 shown]
	scratch_store_b128 off, v[5:8], off offset:688
	s_waitcnt vmcnt(0)
	ds_store_b128 v199, v[1:4]
.LBB50_233:
	s_or_b32 exec_lo, exec_lo, s2
	s_waitcnt lgkmcnt(0)
	s_waitcnt_vscnt null, 0x0
	s_barrier
	buffer_gl0_inv
	s_clause 0x6
	scratch_load_b128 v[2:5], off, off offset:704
	scratch_load_b128 v[6:9], off, off offset:720
	;; [unrolled: 1-line block ×7, first 2 shown]
	v_mov_b32_e32 v1, 0
	scratch_load_b128 v[34:37], off, off offset:688
	s_mov_b32 s2, exec_lo
	ds_load_b128 v[30:33], v1 offset:1520
	ds_load_b128 v[38:41], v1 offset:1536
	s_waitcnt vmcnt(7) lgkmcnt(1)
	v_mul_f64 v[42:43], v[32:33], v[4:5]
	v_mul_f64 v[4:5], v[30:31], v[4:5]
	s_waitcnt vmcnt(6) lgkmcnt(0)
	v_mul_f64 v[44:45], v[38:39], v[8:9]
	v_mul_f64 v[8:9], v[40:41], v[8:9]
	s_delay_alu instid0(VALU_DEP_4) | instskip(NEXT) | instid1(VALU_DEP_4)
	v_fma_f64 v[42:43], v[30:31], v[2:3], -v[42:43]
	v_fma_f64 v[154:155], v[32:33], v[2:3], v[4:5]
	ds_load_b128 v[2:5], v1 offset:1552
	ds_load_b128 v[30:33], v1 offset:1568
	v_fma_f64 v[40:41], v[40:41], v[6:7], v[44:45]
	v_fma_f64 v[6:7], v[38:39], v[6:7], -v[8:9]
	s_waitcnt vmcnt(5) lgkmcnt(1)
	v_mul_f64 v[156:157], v[2:3], v[12:13]
	v_mul_f64 v[12:13], v[4:5], v[12:13]
	v_add_f64 v[8:9], v[42:43], 0
	v_add_f64 v[38:39], v[154:155], 0
	s_waitcnt vmcnt(4) lgkmcnt(0)
	v_mul_f64 v[42:43], v[30:31], v[16:17]
	v_mul_f64 v[16:17], v[32:33], v[16:17]
	v_fma_f64 v[44:45], v[4:5], v[10:11], v[156:157]
	v_fma_f64 v[10:11], v[2:3], v[10:11], -v[12:13]
	v_add_f64 v[12:13], v[8:9], v[6:7]
	v_add_f64 v[38:39], v[38:39], v[40:41]
	ds_load_b128 v[2:5], v1 offset:1584
	ds_load_b128 v[6:9], v1 offset:1600
	v_fma_f64 v[32:33], v[32:33], v[14:15], v[42:43]
	v_fma_f64 v[14:15], v[30:31], v[14:15], -v[16:17]
	s_waitcnt vmcnt(3) lgkmcnt(1)
	v_mul_f64 v[40:41], v[2:3], v[20:21]
	v_mul_f64 v[20:21], v[4:5], v[20:21]
	s_waitcnt vmcnt(2) lgkmcnt(0)
	v_mul_f64 v[16:17], v[6:7], v[24:25]
	v_mul_f64 v[24:25], v[8:9], v[24:25]
	v_add_f64 v[10:11], v[12:13], v[10:11]
	v_add_f64 v[12:13], v[38:39], v[44:45]
	v_fma_f64 v[30:31], v[4:5], v[18:19], v[40:41]
	v_fma_f64 v[18:19], v[2:3], v[18:19], -v[20:21]
	ds_load_b128 v[2:5], v1 offset:1616
	v_fma_f64 v[8:9], v[8:9], v[22:23], v[16:17]
	v_fma_f64 v[6:7], v[6:7], v[22:23], -v[24:25]
	v_add_f64 v[10:11], v[10:11], v[14:15]
	v_add_f64 v[12:13], v[12:13], v[32:33]
	s_waitcnt vmcnt(1) lgkmcnt(0)
	v_mul_f64 v[14:15], v[2:3], v[28:29]
	v_mul_f64 v[20:21], v[4:5], v[28:29]
	s_delay_alu instid0(VALU_DEP_4) | instskip(NEXT) | instid1(VALU_DEP_4)
	v_add_f64 v[10:11], v[10:11], v[18:19]
	v_add_f64 v[12:13], v[12:13], v[30:31]
	s_delay_alu instid0(VALU_DEP_4) | instskip(NEXT) | instid1(VALU_DEP_4)
	v_fma_f64 v[4:5], v[4:5], v[26:27], v[14:15]
	v_fma_f64 v[2:3], v[2:3], v[26:27], -v[20:21]
	s_delay_alu instid0(VALU_DEP_4) | instskip(NEXT) | instid1(VALU_DEP_4)
	v_add_f64 v[6:7], v[10:11], v[6:7]
	v_add_f64 v[8:9], v[12:13], v[8:9]
	s_delay_alu instid0(VALU_DEP_2) | instskip(NEXT) | instid1(VALU_DEP_2)
	v_add_f64 v[2:3], v[6:7], v[2:3]
	v_add_f64 v[4:5], v[8:9], v[4:5]
	s_waitcnt vmcnt(0)
	s_delay_alu instid0(VALU_DEP_2) | instskip(NEXT) | instid1(VALU_DEP_2)
	v_add_f64 v[2:3], v[34:35], -v[2:3]
	v_add_f64 v[4:5], v[36:37], -v[4:5]
	scratch_store_b128 off, v[2:5], off offset:688
	v_cmpx_lt_u32_e32 42, v148
	s_cbranch_execz .LBB50_235
; %bb.234:
	scratch_load_b128 v[5:8], v170, off
	v_mov_b32_e32 v2, v1
	v_mov_b32_e32 v3, v1
	;; [unrolled: 1-line block ×3, first 2 shown]
	scratch_store_b128 off, v[1:4], off offset:672
	s_waitcnt vmcnt(0)
	ds_store_b128 v199, v[5:8]
.LBB50_235:
	s_or_b32 exec_lo, exec_lo, s2
	s_waitcnt lgkmcnt(0)
	s_waitcnt_vscnt null, 0x0
	s_barrier
	buffer_gl0_inv
	s_clause 0x7
	scratch_load_b128 v[2:5], off, off offset:688
	scratch_load_b128 v[6:9], off, off offset:704
	;; [unrolled: 1-line block ×8, first 2 shown]
	ds_load_b128 v[34:37], v1 offset:1504
	ds_load_b128 v[38:41], v1 offset:1520
	scratch_load_b128 v[42:45], off, off offset:672
	s_mov_b32 s2, exec_lo
	s_waitcnt vmcnt(8) lgkmcnt(1)
	v_mul_f64 v[154:155], v[36:37], v[4:5]
	v_mul_f64 v[4:5], v[34:35], v[4:5]
	s_waitcnt vmcnt(7) lgkmcnt(0)
	v_mul_f64 v[156:157], v[38:39], v[8:9]
	v_mul_f64 v[8:9], v[40:41], v[8:9]
	s_delay_alu instid0(VALU_DEP_4) | instskip(NEXT) | instid1(VALU_DEP_4)
	v_fma_f64 v[154:155], v[34:35], v[2:3], -v[154:155]
	v_fma_f64 v[158:159], v[36:37], v[2:3], v[4:5]
	ds_load_b128 v[2:5], v1 offset:1536
	ds_load_b128 v[34:37], v1 offset:1552
	v_fma_f64 v[40:41], v[40:41], v[6:7], v[156:157]
	v_fma_f64 v[6:7], v[38:39], v[6:7], -v[8:9]
	s_waitcnt vmcnt(6) lgkmcnt(1)
	v_mul_f64 v[160:161], v[2:3], v[12:13]
	v_mul_f64 v[12:13], v[4:5], v[12:13]
	v_add_f64 v[8:9], v[154:155], 0
	v_add_f64 v[38:39], v[158:159], 0
	s_waitcnt vmcnt(5) lgkmcnt(0)
	v_mul_f64 v[154:155], v[34:35], v[16:17]
	v_mul_f64 v[16:17], v[36:37], v[16:17]
	v_fma_f64 v[156:157], v[4:5], v[10:11], v[160:161]
	v_fma_f64 v[10:11], v[2:3], v[10:11], -v[12:13]
	v_add_f64 v[12:13], v[8:9], v[6:7]
	v_add_f64 v[38:39], v[38:39], v[40:41]
	ds_load_b128 v[2:5], v1 offset:1568
	ds_load_b128 v[6:9], v1 offset:1584
	v_fma_f64 v[36:37], v[36:37], v[14:15], v[154:155]
	v_fma_f64 v[14:15], v[34:35], v[14:15], -v[16:17]
	s_waitcnt vmcnt(4) lgkmcnt(1)
	v_mul_f64 v[40:41], v[2:3], v[20:21]
	v_mul_f64 v[20:21], v[4:5], v[20:21]
	s_waitcnt vmcnt(3) lgkmcnt(0)
	v_mul_f64 v[16:17], v[6:7], v[24:25]
	v_mul_f64 v[24:25], v[8:9], v[24:25]
	v_add_f64 v[10:11], v[12:13], v[10:11]
	v_add_f64 v[12:13], v[38:39], v[156:157]
	v_fma_f64 v[34:35], v[4:5], v[18:19], v[40:41]
	v_fma_f64 v[18:19], v[2:3], v[18:19], -v[20:21]
	v_fma_f64 v[8:9], v[8:9], v[22:23], v[16:17]
	v_fma_f64 v[6:7], v[6:7], v[22:23], -v[24:25]
	v_add_f64 v[14:15], v[10:11], v[14:15]
	v_add_f64 v[20:21], v[12:13], v[36:37]
	ds_load_b128 v[2:5], v1 offset:1600
	ds_load_b128 v[10:13], v1 offset:1616
	s_waitcnt vmcnt(2) lgkmcnt(1)
	v_mul_f64 v[36:37], v[2:3], v[28:29]
	v_mul_f64 v[28:29], v[4:5], v[28:29]
	v_add_f64 v[14:15], v[14:15], v[18:19]
	v_add_f64 v[16:17], v[20:21], v[34:35]
	s_waitcnt vmcnt(1) lgkmcnt(0)
	v_mul_f64 v[18:19], v[10:11], v[32:33]
	v_mul_f64 v[20:21], v[12:13], v[32:33]
	v_fma_f64 v[4:5], v[4:5], v[26:27], v[36:37]
	v_fma_f64 v[1:2], v[2:3], v[26:27], -v[28:29]
	v_add_f64 v[6:7], v[14:15], v[6:7]
	v_add_f64 v[8:9], v[16:17], v[8:9]
	v_fma_f64 v[12:13], v[12:13], v[30:31], v[18:19]
	v_fma_f64 v[10:11], v[10:11], v[30:31], -v[20:21]
	s_delay_alu instid0(VALU_DEP_4) | instskip(NEXT) | instid1(VALU_DEP_4)
	v_add_f64 v[1:2], v[6:7], v[1:2]
	v_add_f64 v[3:4], v[8:9], v[4:5]
	s_delay_alu instid0(VALU_DEP_2) | instskip(NEXT) | instid1(VALU_DEP_2)
	v_add_f64 v[1:2], v[1:2], v[10:11]
	v_add_f64 v[3:4], v[3:4], v[12:13]
	s_waitcnt vmcnt(0)
	s_delay_alu instid0(VALU_DEP_2) | instskip(NEXT) | instid1(VALU_DEP_2)
	v_add_f64 v[1:2], v[42:43], -v[1:2]
	v_add_f64 v[3:4], v[44:45], -v[3:4]
	scratch_store_b128 off, v[1:4], off offset:672
	v_cmpx_lt_u32_e32 41, v148
	s_cbranch_execz .LBB50_237
; %bb.236:
	scratch_load_b128 v[1:4], v171, off
	v_mov_b32_e32 v5, 0
	s_delay_alu instid0(VALU_DEP_1)
	v_mov_b32_e32 v6, v5
	v_mov_b32_e32 v7, v5
	;; [unrolled: 1-line block ×3, first 2 shown]
	scratch_store_b128 off, v[5:8], off offset:656
	s_waitcnt vmcnt(0)
	ds_store_b128 v199, v[1:4]
.LBB50_237:
	s_or_b32 exec_lo, exec_lo, s2
	s_waitcnt lgkmcnt(0)
	s_waitcnt_vscnt null, 0x0
	s_barrier
	buffer_gl0_inv
	s_clause 0x7
	scratch_load_b128 v[2:5], off, off offset:672
	scratch_load_b128 v[6:9], off, off offset:688
	;; [unrolled: 1-line block ×8, first 2 shown]
	v_mov_b32_e32 v1, 0
	s_mov_b32 s2, exec_lo
	ds_load_b128 v[34:37], v1 offset:1488
	s_clause 0x1
	scratch_load_b128 v[38:41], off, off offset:800
	scratch_load_b128 v[42:45], off, off offset:656
	ds_load_b128 v[154:157], v1 offset:1504
	s_waitcnt vmcnt(9) lgkmcnt(1)
	v_mul_f64 v[158:159], v[36:37], v[4:5]
	v_mul_f64 v[4:5], v[34:35], v[4:5]
	s_waitcnt vmcnt(8) lgkmcnt(0)
	v_mul_f64 v[160:161], v[154:155], v[8:9]
	v_mul_f64 v[8:9], v[156:157], v[8:9]
	s_delay_alu instid0(VALU_DEP_4) | instskip(NEXT) | instid1(VALU_DEP_4)
	v_fma_f64 v[158:159], v[34:35], v[2:3], -v[158:159]
	v_fma_f64 v[162:163], v[36:37], v[2:3], v[4:5]
	ds_load_b128 v[2:5], v1 offset:1520
	ds_load_b128 v[34:37], v1 offset:1536
	v_fma_f64 v[156:157], v[156:157], v[6:7], v[160:161]
	v_fma_f64 v[6:7], v[154:155], v[6:7], -v[8:9]
	s_waitcnt vmcnt(7) lgkmcnt(1)
	v_mul_f64 v[164:165], v[2:3], v[12:13]
	v_mul_f64 v[12:13], v[4:5], v[12:13]
	v_add_f64 v[8:9], v[158:159], 0
	v_add_f64 v[154:155], v[162:163], 0
	s_waitcnt vmcnt(6) lgkmcnt(0)
	v_mul_f64 v[158:159], v[34:35], v[16:17]
	v_mul_f64 v[16:17], v[36:37], v[16:17]
	v_fma_f64 v[160:161], v[4:5], v[10:11], v[164:165]
	v_fma_f64 v[10:11], v[2:3], v[10:11], -v[12:13]
	v_add_f64 v[12:13], v[8:9], v[6:7]
	v_add_f64 v[154:155], v[154:155], v[156:157]
	ds_load_b128 v[2:5], v1 offset:1552
	ds_load_b128 v[6:9], v1 offset:1568
	v_fma_f64 v[36:37], v[36:37], v[14:15], v[158:159]
	v_fma_f64 v[14:15], v[34:35], v[14:15], -v[16:17]
	s_waitcnt vmcnt(5) lgkmcnt(1)
	v_mul_f64 v[156:157], v[2:3], v[20:21]
	v_mul_f64 v[20:21], v[4:5], v[20:21]
	s_waitcnt vmcnt(4) lgkmcnt(0)
	v_mul_f64 v[16:17], v[6:7], v[24:25]
	v_mul_f64 v[24:25], v[8:9], v[24:25]
	v_add_f64 v[10:11], v[12:13], v[10:11]
	v_add_f64 v[12:13], v[154:155], v[160:161]
	v_fma_f64 v[34:35], v[4:5], v[18:19], v[156:157]
	v_fma_f64 v[18:19], v[2:3], v[18:19], -v[20:21]
	v_fma_f64 v[8:9], v[8:9], v[22:23], v[16:17]
	v_fma_f64 v[6:7], v[6:7], v[22:23], -v[24:25]
	v_add_f64 v[14:15], v[10:11], v[14:15]
	v_add_f64 v[20:21], v[12:13], v[36:37]
	ds_load_b128 v[2:5], v1 offset:1584
	ds_load_b128 v[10:13], v1 offset:1600
	s_waitcnt vmcnt(3) lgkmcnt(1)
	v_mul_f64 v[36:37], v[2:3], v[28:29]
	v_mul_f64 v[28:29], v[4:5], v[28:29]
	v_add_f64 v[14:15], v[14:15], v[18:19]
	v_add_f64 v[16:17], v[20:21], v[34:35]
	s_waitcnt vmcnt(2) lgkmcnt(0)
	v_mul_f64 v[18:19], v[10:11], v[32:33]
	v_mul_f64 v[20:21], v[12:13], v[32:33]
	v_fma_f64 v[22:23], v[4:5], v[26:27], v[36:37]
	v_fma_f64 v[24:25], v[2:3], v[26:27], -v[28:29]
	ds_load_b128 v[2:5], v1 offset:1616
	v_add_f64 v[6:7], v[14:15], v[6:7]
	v_add_f64 v[8:9], v[16:17], v[8:9]
	v_fma_f64 v[12:13], v[12:13], v[30:31], v[18:19]
	v_fma_f64 v[10:11], v[10:11], v[30:31], -v[20:21]
	s_waitcnt vmcnt(1) lgkmcnt(0)
	v_mul_f64 v[14:15], v[2:3], v[40:41]
	v_mul_f64 v[16:17], v[4:5], v[40:41]
	v_add_f64 v[6:7], v[6:7], v[24:25]
	v_add_f64 v[8:9], v[8:9], v[22:23]
	s_delay_alu instid0(VALU_DEP_4) | instskip(NEXT) | instid1(VALU_DEP_4)
	v_fma_f64 v[4:5], v[4:5], v[38:39], v[14:15]
	v_fma_f64 v[2:3], v[2:3], v[38:39], -v[16:17]
	s_delay_alu instid0(VALU_DEP_4) | instskip(NEXT) | instid1(VALU_DEP_4)
	v_add_f64 v[6:7], v[6:7], v[10:11]
	v_add_f64 v[8:9], v[8:9], v[12:13]
	s_delay_alu instid0(VALU_DEP_2) | instskip(NEXT) | instid1(VALU_DEP_2)
	v_add_f64 v[2:3], v[6:7], v[2:3]
	v_add_f64 v[4:5], v[8:9], v[4:5]
	s_waitcnt vmcnt(0)
	s_delay_alu instid0(VALU_DEP_2) | instskip(NEXT) | instid1(VALU_DEP_2)
	v_add_f64 v[2:3], v[42:43], -v[2:3]
	v_add_f64 v[4:5], v[44:45], -v[4:5]
	scratch_store_b128 off, v[2:5], off offset:656
	v_cmpx_lt_u32_e32 40, v148
	s_cbranch_execz .LBB50_239
; %bb.238:
	scratch_load_b128 v[5:8], v175, off
	v_mov_b32_e32 v2, v1
	v_mov_b32_e32 v3, v1
	;; [unrolled: 1-line block ×3, first 2 shown]
	scratch_store_b128 off, v[1:4], off offset:640
	s_waitcnt vmcnt(0)
	ds_store_b128 v199, v[5:8]
.LBB50_239:
	s_or_b32 exec_lo, exec_lo, s2
	s_waitcnt lgkmcnt(0)
	s_waitcnt_vscnt null, 0x0
	s_barrier
	buffer_gl0_inv
	s_clause 0x7
	scratch_load_b128 v[2:5], off, off offset:656
	scratch_load_b128 v[6:9], off, off offset:672
	;; [unrolled: 1-line block ×8, first 2 shown]
	ds_load_b128 v[34:37], v1 offset:1472
	ds_load_b128 v[42:45], v1 offset:1488
	s_clause 0x1
	scratch_load_b128 v[38:41], off, off offset:784
	scratch_load_b128 v[154:157], off, off offset:800
	s_mov_b32 s2, exec_lo
	s_waitcnt vmcnt(9) lgkmcnt(1)
	v_mul_f64 v[158:159], v[36:37], v[4:5]
	v_mul_f64 v[4:5], v[34:35], v[4:5]
	s_waitcnt vmcnt(8) lgkmcnt(0)
	v_mul_f64 v[160:161], v[42:43], v[8:9]
	v_mul_f64 v[8:9], v[44:45], v[8:9]
	s_delay_alu instid0(VALU_DEP_4) | instskip(NEXT) | instid1(VALU_DEP_4)
	v_fma_f64 v[34:35], v[34:35], v[2:3], -v[158:159]
	v_fma_f64 v[36:37], v[36:37], v[2:3], v[4:5]
	ds_load_b128 v[2:5], v1 offset:1504
	v_fma_f64 v[44:45], v[44:45], v[6:7], v[160:161]
	v_fma_f64 v[42:43], v[42:43], v[6:7], -v[8:9]
	ds_load_b128 v[6:9], v1 offset:1520
	s_waitcnt vmcnt(7) lgkmcnt(1)
	v_mul_f64 v[158:159], v[2:3], v[12:13]
	v_mul_f64 v[12:13], v[4:5], v[12:13]
	s_waitcnt vmcnt(6) lgkmcnt(0)
	v_mul_f64 v[160:161], v[6:7], v[16:17]
	v_mul_f64 v[16:17], v[8:9], v[16:17]
	v_add_f64 v[34:35], v[34:35], 0
	v_add_f64 v[36:37], v[36:37], 0
	v_fma_f64 v[158:159], v[4:5], v[10:11], v[158:159]
	v_fma_f64 v[162:163], v[2:3], v[10:11], -v[12:13]
	ds_load_b128 v[2:5], v1 offset:1536
	scratch_load_b128 v[10:13], off, off offset:640
	v_add_f64 v[34:35], v[34:35], v[42:43]
	v_add_f64 v[36:37], v[36:37], v[44:45]
	v_fma_f64 v[44:45], v[8:9], v[14:15], v[160:161]
	v_fma_f64 v[14:15], v[6:7], v[14:15], -v[16:17]
	ds_load_b128 v[6:9], v1 offset:1552
	s_waitcnt vmcnt(6) lgkmcnt(1)
	v_mul_f64 v[42:43], v[2:3], v[20:21]
	v_mul_f64 v[20:21], v[4:5], v[20:21]
	v_add_f64 v[16:17], v[34:35], v[162:163]
	v_add_f64 v[34:35], v[36:37], v[158:159]
	s_waitcnt vmcnt(5) lgkmcnt(0)
	v_mul_f64 v[36:37], v[6:7], v[24:25]
	v_mul_f64 v[24:25], v[8:9], v[24:25]
	v_fma_f64 v[42:43], v[4:5], v[18:19], v[42:43]
	v_fma_f64 v[18:19], v[2:3], v[18:19], -v[20:21]
	ds_load_b128 v[2:5], v1 offset:1568
	v_add_f64 v[14:15], v[16:17], v[14:15]
	v_add_f64 v[16:17], v[34:35], v[44:45]
	v_fma_f64 v[34:35], v[8:9], v[22:23], v[36:37]
	v_fma_f64 v[22:23], v[6:7], v[22:23], -v[24:25]
	ds_load_b128 v[6:9], v1 offset:1584
	s_waitcnt vmcnt(4) lgkmcnt(1)
	v_mul_f64 v[20:21], v[2:3], v[28:29]
	v_mul_f64 v[28:29], v[4:5], v[28:29]
	s_waitcnt vmcnt(3) lgkmcnt(0)
	v_mul_f64 v[24:25], v[8:9], v[32:33]
	v_add_f64 v[14:15], v[14:15], v[18:19]
	v_add_f64 v[16:17], v[16:17], v[42:43]
	v_mul_f64 v[18:19], v[6:7], v[32:33]
	v_fma_f64 v[20:21], v[4:5], v[26:27], v[20:21]
	v_fma_f64 v[26:27], v[2:3], v[26:27], -v[28:29]
	ds_load_b128 v[2:5], v1 offset:1600
	v_fma_f64 v[24:25], v[6:7], v[30:31], -v[24:25]
	v_add_f64 v[14:15], v[14:15], v[22:23]
	v_add_f64 v[16:17], v[16:17], v[34:35]
	v_fma_f64 v[18:19], v[8:9], v[30:31], v[18:19]
	ds_load_b128 v[6:9], v1 offset:1616
	s_waitcnt vmcnt(2) lgkmcnt(1)
	v_mul_f64 v[22:23], v[2:3], v[40:41]
	v_mul_f64 v[28:29], v[4:5], v[40:41]
	v_add_f64 v[14:15], v[14:15], v[26:27]
	v_add_f64 v[16:17], v[16:17], v[20:21]
	s_waitcnt vmcnt(1) lgkmcnt(0)
	v_mul_f64 v[20:21], v[6:7], v[156:157]
	v_mul_f64 v[26:27], v[8:9], v[156:157]
	v_fma_f64 v[4:5], v[4:5], v[38:39], v[22:23]
	v_fma_f64 v[1:2], v[2:3], v[38:39], -v[28:29]
	v_add_f64 v[14:15], v[14:15], v[24:25]
	v_add_f64 v[16:17], v[16:17], v[18:19]
	v_fma_f64 v[8:9], v[8:9], v[154:155], v[20:21]
	v_fma_f64 v[6:7], v[6:7], v[154:155], -v[26:27]
	s_delay_alu instid0(VALU_DEP_4) | instskip(NEXT) | instid1(VALU_DEP_4)
	v_add_f64 v[1:2], v[14:15], v[1:2]
	v_add_f64 v[3:4], v[16:17], v[4:5]
	s_delay_alu instid0(VALU_DEP_2) | instskip(NEXT) | instid1(VALU_DEP_2)
	v_add_f64 v[1:2], v[1:2], v[6:7]
	v_add_f64 v[3:4], v[3:4], v[8:9]
	s_waitcnt vmcnt(0)
	s_delay_alu instid0(VALU_DEP_2) | instskip(NEXT) | instid1(VALU_DEP_2)
	v_add_f64 v[1:2], v[10:11], -v[1:2]
	v_add_f64 v[3:4], v[12:13], -v[3:4]
	scratch_store_b128 off, v[1:4], off offset:640
	v_cmpx_lt_u32_e32 39, v148
	s_cbranch_execz .LBB50_241
; %bb.240:
	scratch_load_b128 v[1:4], v202, off
	v_mov_b32_e32 v5, 0
	s_delay_alu instid0(VALU_DEP_1)
	v_mov_b32_e32 v6, v5
	v_mov_b32_e32 v7, v5
	;; [unrolled: 1-line block ×3, first 2 shown]
	scratch_store_b128 off, v[5:8], off offset:624
	s_waitcnt vmcnt(0)
	ds_store_b128 v199, v[1:4]
.LBB50_241:
	s_or_b32 exec_lo, exec_lo, s2
	s_waitcnt lgkmcnt(0)
	s_waitcnt_vscnt null, 0x0
	s_barrier
	buffer_gl0_inv
	s_clause 0x7
	scratch_load_b128 v[2:5], off, off offset:640
	scratch_load_b128 v[6:9], off, off offset:656
	;; [unrolled: 1-line block ×8, first 2 shown]
	v_mov_b32_e32 v1, 0
	s_clause 0x1
	scratch_load_b128 v[38:41], off, off offset:768
	scratch_load_b128 v[154:157], off, off offset:784
	s_mov_b32 s2, exec_lo
	ds_load_b128 v[34:37], v1 offset:1456
	ds_load_b128 v[42:45], v1 offset:1472
	s_waitcnt vmcnt(9) lgkmcnt(1)
	v_mul_f64 v[158:159], v[36:37], v[4:5]
	v_mul_f64 v[4:5], v[34:35], v[4:5]
	s_waitcnt vmcnt(8) lgkmcnt(0)
	v_mul_f64 v[160:161], v[42:43], v[8:9]
	v_mul_f64 v[8:9], v[44:45], v[8:9]
	s_delay_alu instid0(VALU_DEP_4) | instskip(NEXT) | instid1(VALU_DEP_4)
	v_fma_f64 v[158:159], v[34:35], v[2:3], -v[158:159]
	v_fma_f64 v[162:163], v[36:37], v[2:3], v[4:5]
	ds_load_b128 v[2:5], v1 offset:1488
	scratch_load_b128 v[34:37], off, off offset:800
	v_fma_f64 v[44:45], v[44:45], v[6:7], v[160:161]
	v_fma_f64 v[42:43], v[42:43], v[6:7], -v[8:9]
	ds_load_b128 v[6:9], v1 offset:1504
	s_waitcnt vmcnt(8) lgkmcnt(1)
	v_mul_f64 v[164:165], v[2:3], v[12:13]
	v_mul_f64 v[12:13], v[4:5], v[12:13]
	v_add_f64 v[158:159], v[158:159], 0
	v_add_f64 v[160:161], v[162:163], 0
	s_waitcnt vmcnt(7) lgkmcnt(0)
	v_mul_f64 v[162:163], v[6:7], v[16:17]
	v_mul_f64 v[16:17], v[8:9], v[16:17]
	v_fma_f64 v[164:165], v[4:5], v[10:11], v[164:165]
	v_fma_f64 v[10:11], v[2:3], v[10:11], -v[12:13]
	ds_load_b128 v[2:5], v1 offset:1520
	v_add_f64 v[12:13], v[158:159], v[42:43]
	v_add_f64 v[42:43], v[160:161], v[44:45]
	v_fma_f64 v[158:159], v[8:9], v[14:15], v[162:163]
	v_fma_f64 v[14:15], v[6:7], v[14:15], -v[16:17]
	ds_load_b128 v[6:9], v1 offset:1536
	s_waitcnt vmcnt(6) lgkmcnt(1)
	v_mul_f64 v[44:45], v[2:3], v[20:21]
	v_mul_f64 v[20:21], v[4:5], v[20:21]
	s_waitcnt vmcnt(5) lgkmcnt(0)
	v_mul_f64 v[160:161], v[6:7], v[24:25]
	v_mul_f64 v[24:25], v[8:9], v[24:25]
	v_add_f64 v[16:17], v[12:13], v[10:11]
	v_add_f64 v[42:43], v[42:43], v[164:165]
	scratch_load_b128 v[10:13], off, off offset:624
	v_fma_f64 v[44:45], v[4:5], v[18:19], v[44:45]
	v_fma_f64 v[18:19], v[2:3], v[18:19], -v[20:21]
	ds_load_b128 v[2:5], v1 offset:1552
	v_add_f64 v[14:15], v[16:17], v[14:15]
	v_add_f64 v[16:17], v[42:43], v[158:159]
	v_fma_f64 v[42:43], v[8:9], v[22:23], v[160:161]
	v_fma_f64 v[22:23], v[6:7], v[22:23], -v[24:25]
	ds_load_b128 v[6:9], v1 offset:1568
	s_waitcnt vmcnt(5) lgkmcnt(1)
	v_mul_f64 v[20:21], v[2:3], v[28:29]
	v_mul_f64 v[28:29], v[4:5], v[28:29]
	s_waitcnt vmcnt(4) lgkmcnt(0)
	v_mul_f64 v[24:25], v[8:9], v[32:33]
	v_add_f64 v[14:15], v[14:15], v[18:19]
	v_add_f64 v[16:17], v[16:17], v[44:45]
	v_mul_f64 v[18:19], v[6:7], v[32:33]
	v_fma_f64 v[20:21], v[4:5], v[26:27], v[20:21]
	v_fma_f64 v[26:27], v[2:3], v[26:27], -v[28:29]
	ds_load_b128 v[2:5], v1 offset:1584
	v_fma_f64 v[24:25], v[6:7], v[30:31], -v[24:25]
	v_add_f64 v[14:15], v[14:15], v[22:23]
	v_add_f64 v[16:17], v[16:17], v[42:43]
	v_fma_f64 v[18:19], v[8:9], v[30:31], v[18:19]
	ds_load_b128 v[6:9], v1 offset:1600
	s_waitcnt vmcnt(3) lgkmcnt(1)
	v_mul_f64 v[22:23], v[2:3], v[40:41]
	v_mul_f64 v[28:29], v[4:5], v[40:41]
	v_add_f64 v[14:15], v[14:15], v[26:27]
	v_add_f64 v[16:17], v[16:17], v[20:21]
	s_waitcnt vmcnt(2) lgkmcnt(0)
	v_mul_f64 v[20:21], v[6:7], v[156:157]
	v_mul_f64 v[26:27], v[8:9], v[156:157]
	v_fma_f64 v[22:23], v[4:5], v[38:39], v[22:23]
	v_fma_f64 v[28:29], v[2:3], v[38:39], -v[28:29]
	ds_load_b128 v[2:5], v1 offset:1616
	v_add_f64 v[14:15], v[14:15], v[24:25]
	v_add_f64 v[16:17], v[16:17], v[18:19]
	v_fma_f64 v[8:9], v[8:9], v[154:155], v[20:21]
	v_fma_f64 v[6:7], v[6:7], v[154:155], -v[26:27]
	s_waitcnt vmcnt(1) lgkmcnt(0)
	v_mul_f64 v[18:19], v[2:3], v[36:37]
	v_mul_f64 v[24:25], v[4:5], v[36:37]
	v_add_f64 v[14:15], v[14:15], v[28:29]
	v_add_f64 v[16:17], v[16:17], v[22:23]
	s_delay_alu instid0(VALU_DEP_4) | instskip(NEXT) | instid1(VALU_DEP_4)
	v_fma_f64 v[4:5], v[4:5], v[34:35], v[18:19]
	v_fma_f64 v[2:3], v[2:3], v[34:35], -v[24:25]
	s_delay_alu instid0(VALU_DEP_4) | instskip(NEXT) | instid1(VALU_DEP_4)
	v_add_f64 v[6:7], v[14:15], v[6:7]
	v_add_f64 v[8:9], v[16:17], v[8:9]
	s_delay_alu instid0(VALU_DEP_2) | instskip(NEXT) | instid1(VALU_DEP_2)
	v_add_f64 v[2:3], v[6:7], v[2:3]
	v_add_f64 v[4:5], v[8:9], v[4:5]
	s_waitcnt vmcnt(0)
	s_delay_alu instid0(VALU_DEP_2) | instskip(NEXT) | instid1(VALU_DEP_2)
	v_add_f64 v[2:3], v[10:11], -v[2:3]
	v_add_f64 v[4:5], v[12:13], -v[4:5]
	scratch_store_b128 off, v[2:5], off offset:624
	v_cmpx_lt_u32_e32 38, v148
	s_cbranch_execz .LBB50_243
; %bb.242:
	scratch_load_b128 v[5:8], v203, off
	v_mov_b32_e32 v2, v1
	v_mov_b32_e32 v3, v1
	v_mov_b32_e32 v4, v1
	scratch_store_b128 off, v[1:4], off offset:608
	s_waitcnt vmcnt(0)
	ds_store_b128 v199, v[5:8]
.LBB50_243:
	s_or_b32 exec_lo, exec_lo, s2
	s_waitcnt lgkmcnt(0)
	s_waitcnt_vscnt null, 0x0
	s_barrier
	buffer_gl0_inv
	s_clause 0x7
	scratch_load_b128 v[2:5], off, off offset:624
	scratch_load_b128 v[6:9], off, off offset:640
	;; [unrolled: 1-line block ×8, first 2 shown]
	ds_load_b128 v[34:37], v1 offset:1440
	ds_load_b128 v[42:45], v1 offset:1456
	s_clause 0x1
	scratch_load_b128 v[38:41], off, off offset:752
	scratch_load_b128 v[154:157], off, off offset:768
	s_mov_b32 s2, exec_lo
	s_waitcnt vmcnt(9) lgkmcnt(1)
	v_mul_f64 v[158:159], v[36:37], v[4:5]
	v_mul_f64 v[4:5], v[34:35], v[4:5]
	s_waitcnt vmcnt(8) lgkmcnt(0)
	v_mul_f64 v[160:161], v[42:43], v[8:9]
	v_mul_f64 v[8:9], v[44:45], v[8:9]
	s_delay_alu instid0(VALU_DEP_4) | instskip(NEXT) | instid1(VALU_DEP_4)
	v_fma_f64 v[158:159], v[34:35], v[2:3], -v[158:159]
	v_fma_f64 v[162:163], v[36:37], v[2:3], v[4:5]
	scratch_load_b128 v[34:37], off, off offset:784
	ds_load_b128 v[2:5], v1 offset:1472
	v_fma_f64 v[160:161], v[44:45], v[6:7], v[160:161]
	v_fma_f64 v[212:213], v[42:43], v[6:7], -v[8:9]
	ds_load_b128 v[6:9], v1 offset:1488
	scratch_load_b128 v[42:45], off, off offset:800
	s_waitcnt vmcnt(9) lgkmcnt(1)
	v_mul_f64 v[164:165], v[2:3], v[12:13]
	v_mul_f64 v[12:13], v[4:5], v[12:13]
	s_waitcnt vmcnt(8) lgkmcnt(0)
	v_mul_f64 v[214:215], v[6:7], v[16:17]
	v_mul_f64 v[16:17], v[8:9], v[16:17]
	v_add_f64 v[158:159], v[158:159], 0
	v_add_f64 v[162:163], v[162:163], 0
	v_fma_f64 v[164:165], v[4:5], v[10:11], v[164:165]
	v_fma_f64 v[10:11], v[2:3], v[10:11], -v[12:13]
	ds_load_b128 v[2:5], v1 offset:1504
	v_add_f64 v[12:13], v[158:159], v[212:213]
	v_add_f64 v[158:159], v[162:163], v[160:161]
	v_fma_f64 v[162:163], v[8:9], v[14:15], v[214:215]
	v_fma_f64 v[14:15], v[6:7], v[14:15], -v[16:17]
	ds_load_b128 v[6:9], v1 offset:1520
	s_waitcnt vmcnt(7) lgkmcnt(1)
	v_mul_f64 v[160:161], v[2:3], v[20:21]
	v_mul_f64 v[20:21], v[4:5], v[20:21]
	s_waitcnt vmcnt(6) lgkmcnt(0)
	v_mul_f64 v[16:17], v[6:7], v[24:25]
	v_mul_f64 v[24:25], v[8:9], v[24:25]
	v_add_f64 v[10:11], v[12:13], v[10:11]
	v_add_f64 v[12:13], v[158:159], v[164:165]
	v_fma_f64 v[158:159], v[4:5], v[18:19], v[160:161]
	v_fma_f64 v[18:19], v[2:3], v[18:19], -v[20:21]
	ds_load_b128 v[2:5], v1 offset:1536
	v_fma_f64 v[16:17], v[8:9], v[22:23], v[16:17]
	v_fma_f64 v[22:23], v[6:7], v[22:23], -v[24:25]
	ds_load_b128 v[6:9], v1 offset:1552
	s_waitcnt vmcnt(5) lgkmcnt(1)
	v_mul_f64 v[160:161], v[2:3], v[28:29]
	v_mul_f64 v[28:29], v[4:5], v[28:29]
	v_add_f64 v[14:15], v[10:11], v[14:15]
	v_add_f64 v[20:21], v[12:13], v[162:163]
	scratch_load_b128 v[10:13], off, off offset:608
	s_waitcnt vmcnt(5) lgkmcnt(0)
	v_mul_f64 v[24:25], v[8:9], v[32:33]
	v_add_f64 v[14:15], v[14:15], v[18:19]
	v_add_f64 v[18:19], v[20:21], v[158:159]
	v_mul_f64 v[20:21], v[6:7], v[32:33]
	v_fma_f64 v[32:33], v[4:5], v[26:27], v[160:161]
	v_fma_f64 v[26:27], v[2:3], v[26:27], -v[28:29]
	ds_load_b128 v[2:5], v1 offset:1568
	v_fma_f64 v[24:25], v[6:7], v[30:31], -v[24:25]
	v_add_f64 v[14:15], v[14:15], v[22:23]
	v_add_f64 v[16:17], v[18:19], v[16:17]
	v_fma_f64 v[20:21], v[8:9], v[30:31], v[20:21]
	ds_load_b128 v[6:9], v1 offset:1584
	s_waitcnt vmcnt(4) lgkmcnt(1)
	v_mul_f64 v[18:19], v[2:3], v[40:41]
	v_mul_f64 v[22:23], v[4:5], v[40:41]
	s_waitcnt vmcnt(3) lgkmcnt(0)
	v_mul_f64 v[28:29], v[8:9], v[156:157]
	v_add_f64 v[14:15], v[14:15], v[26:27]
	v_add_f64 v[16:17], v[16:17], v[32:33]
	v_mul_f64 v[26:27], v[6:7], v[156:157]
	v_fma_f64 v[18:19], v[4:5], v[38:39], v[18:19]
	v_fma_f64 v[22:23], v[2:3], v[38:39], -v[22:23]
	ds_load_b128 v[2:5], v1 offset:1600
	v_fma_f64 v[28:29], v[6:7], v[154:155], -v[28:29]
	v_add_f64 v[14:15], v[14:15], v[24:25]
	v_add_f64 v[16:17], v[16:17], v[20:21]
	v_fma_f64 v[26:27], v[8:9], v[154:155], v[26:27]
	ds_load_b128 v[6:9], v1 offset:1616
	s_waitcnt vmcnt(2) lgkmcnt(1)
	v_mul_f64 v[20:21], v[2:3], v[36:37]
	v_mul_f64 v[24:25], v[4:5], v[36:37]
	v_add_f64 v[14:15], v[14:15], v[22:23]
	v_add_f64 v[16:17], v[16:17], v[18:19]
	s_waitcnt vmcnt(1) lgkmcnt(0)
	v_mul_f64 v[18:19], v[6:7], v[44:45]
	v_mul_f64 v[22:23], v[8:9], v[44:45]
	v_fma_f64 v[4:5], v[4:5], v[34:35], v[20:21]
	v_fma_f64 v[1:2], v[2:3], v[34:35], -v[24:25]
	v_add_f64 v[14:15], v[14:15], v[28:29]
	v_add_f64 v[16:17], v[16:17], v[26:27]
	v_fma_f64 v[8:9], v[8:9], v[42:43], v[18:19]
	v_fma_f64 v[6:7], v[6:7], v[42:43], -v[22:23]
	s_delay_alu instid0(VALU_DEP_4) | instskip(NEXT) | instid1(VALU_DEP_4)
	v_add_f64 v[1:2], v[14:15], v[1:2]
	v_add_f64 v[3:4], v[16:17], v[4:5]
	s_delay_alu instid0(VALU_DEP_2) | instskip(NEXT) | instid1(VALU_DEP_2)
	v_add_f64 v[1:2], v[1:2], v[6:7]
	v_add_f64 v[3:4], v[3:4], v[8:9]
	s_waitcnt vmcnt(0)
	s_delay_alu instid0(VALU_DEP_2) | instskip(NEXT) | instid1(VALU_DEP_2)
	v_add_f64 v[1:2], v[10:11], -v[1:2]
	v_add_f64 v[3:4], v[12:13], -v[3:4]
	scratch_store_b128 off, v[1:4], off offset:608
	v_cmpx_lt_u32_e32 37, v148
	s_cbranch_execz .LBB50_245
; %bb.244:
	scratch_load_b128 v[1:4], v204, off
	v_mov_b32_e32 v5, 0
	s_delay_alu instid0(VALU_DEP_1)
	v_mov_b32_e32 v6, v5
	v_mov_b32_e32 v7, v5
	;; [unrolled: 1-line block ×3, first 2 shown]
	scratch_store_b128 off, v[5:8], off offset:592
	s_waitcnt vmcnt(0)
	ds_store_b128 v199, v[1:4]
.LBB50_245:
	s_or_b32 exec_lo, exec_lo, s2
	s_waitcnt lgkmcnt(0)
	s_waitcnt_vscnt null, 0x0
	s_barrier
	buffer_gl0_inv
	s_clause 0x7
	scratch_load_b128 v[2:5], off, off offset:608
	scratch_load_b128 v[6:9], off, off offset:624
	;; [unrolled: 1-line block ×8, first 2 shown]
	v_mov_b32_e32 v1, 0
	s_mov_b32 s2, exec_lo
	ds_load_b128 v[34:37], v1 offset:1424
	s_clause 0x1
	scratch_load_b128 v[38:41], off, off offset:736
	scratch_load_b128 v[42:45], off, off offset:592
	ds_load_b128 v[154:157], v1 offset:1440
	scratch_load_b128 v[158:161], off, off offset:752
	s_waitcnt vmcnt(10) lgkmcnt(1)
	v_mul_f64 v[162:163], v[36:37], v[4:5]
	v_mul_f64 v[4:5], v[34:35], v[4:5]
	s_delay_alu instid0(VALU_DEP_2) | instskip(NEXT) | instid1(VALU_DEP_2)
	v_fma_f64 v[214:215], v[34:35], v[2:3], -v[162:163]
	v_fma_f64 v[216:217], v[36:37], v[2:3], v[4:5]
	scratch_load_b128 v[34:37], off, off offset:768
	ds_load_b128 v[2:5], v1 offset:1456
	s_waitcnt vmcnt(10) lgkmcnt(1)
	v_mul_f64 v[212:213], v[154:155], v[8:9]
	v_mul_f64 v[8:9], v[156:157], v[8:9]
	ds_load_b128 v[162:165], v1 offset:1472
	s_waitcnt vmcnt(9) lgkmcnt(1)
	v_mul_f64 v[218:219], v[2:3], v[12:13]
	v_mul_f64 v[12:13], v[4:5], v[12:13]
	v_fma_f64 v[156:157], v[156:157], v[6:7], v[212:213]
	v_fma_f64 v[154:155], v[154:155], v[6:7], -v[8:9]
	v_add_f64 v[212:213], v[214:215], 0
	v_add_f64 v[214:215], v[216:217], 0
	scratch_load_b128 v[6:9], off, off offset:784
	v_fma_f64 v[218:219], v[4:5], v[10:11], v[218:219]
	v_fma_f64 v[220:221], v[2:3], v[10:11], -v[12:13]
	scratch_load_b128 v[10:13], off, off offset:800
	ds_load_b128 v[2:5], v1 offset:1488
	s_waitcnt vmcnt(10) lgkmcnt(1)
	v_mul_f64 v[216:217], v[162:163], v[16:17]
	v_mul_f64 v[16:17], v[164:165], v[16:17]
	v_add_f64 v[212:213], v[212:213], v[154:155]
	v_add_f64 v[214:215], v[214:215], v[156:157]
	s_waitcnt vmcnt(9) lgkmcnt(0)
	v_mul_f64 v[222:223], v[2:3], v[20:21]
	v_mul_f64 v[20:21], v[4:5], v[20:21]
	ds_load_b128 v[154:157], v1 offset:1504
	v_fma_f64 v[164:165], v[164:165], v[14:15], v[216:217]
	v_fma_f64 v[14:15], v[162:163], v[14:15], -v[16:17]
	v_add_f64 v[16:17], v[212:213], v[220:221]
	v_add_f64 v[162:163], v[214:215], v[218:219]
	s_waitcnt vmcnt(8) lgkmcnt(0)
	v_mul_f64 v[212:213], v[154:155], v[24:25]
	v_mul_f64 v[24:25], v[156:157], v[24:25]
	v_fma_f64 v[214:215], v[4:5], v[18:19], v[222:223]
	v_fma_f64 v[18:19], v[2:3], v[18:19], -v[20:21]
	v_add_f64 v[20:21], v[16:17], v[14:15]
	v_add_f64 v[162:163], v[162:163], v[164:165]
	ds_load_b128 v[2:5], v1 offset:1520
	ds_load_b128 v[14:17], v1 offset:1536
	v_fma_f64 v[156:157], v[156:157], v[22:23], v[212:213]
	v_fma_f64 v[22:23], v[154:155], v[22:23], -v[24:25]
	s_waitcnt vmcnt(7) lgkmcnt(1)
	v_mul_f64 v[164:165], v[2:3], v[28:29]
	v_mul_f64 v[28:29], v[4:5], v[28:29]
	s_waitcnt vmcnt(6) lgkmcnt(0)
	v_mul_f64 v[24:25], v[14:15], v[32:33]
	v_mul_f64 v[32:33], v[16:17], v[32:33]
	v_add_f64 v[18:19], v[20:21], v[18:19]
	v_add_f64 v[20:21], v[162:163], v[214:215]
	v_fma_f64 v[154:155], v[4:5], v[26:27], v[164:165]
	v_fma_f64 v[26:27], v[2:3], v[26:27], -v[28:29]
	v_fma_f64 v[16:17], v[16:17], v[30:31], v[24:25]
	v_fma_f64 v[14:15], v[14:15], v[30:31], -v[32:33]
	v_add_f64 v[22:23], v[18:19], v[22:23]
	v_add_f64 v[28:29], v[20:21], v[156:157]
	ds_load_b128 v[2:5], v1 offset:1552
	ds_load_b128 v[18:21], v1 offset:1568
	s_waitcnt vmcnt(5) lgkmcnt(1)
	v_mul_f64 v[156:157], v[2:3], v[40:41]
	v_mul_f64 v[40:41], v[4:5], v[40:41]
	v_add_f64 v[22:23], v[22:23], v[26:27]
	v_add_f64 v[24:25], v[28:29], v[154:155]
	s_waitcnt vmcnt(3) lgkmcnt(0)
	v_mul_f64 v[26:27], v[18:19], v[160:161]
	v_mul_f64 v[28:29], v[20:21], v[160:161]
	v_fma_f64 v[30:31], v[4:5], v[38:39], v[156:157]
	v_fma_f64 v[32:33], v[2:3], v[38:39], -v[40:41]
	v_add_f64 v[22:23], v[22:23], v[14:15]
	v_add_f64 v[24:25], v[24:25], v[16:17]
	ds_load_b128 v[2:5], v1 offset:1584
	ds_load_b128 v[14:17], v1 offset:1600
	v_fma_f64 v[20:21], v[20:21], v[158:159], v[26:27]
	v_fma_f64 v[18:19], v[18:19], v[158:159], -v[28:29]
	s_waitcnt vmcnt(2) lgkmcnt(1)
	v_mul_f64 v[38:39], v[2:3], v[36:37]
	v_mul_f64 v[36:37], v[4:5], v[36:37]
	v_add_f64 v[22:23], v[22:23], v[32:33]
	v_add_f64 v[24:25], v[24:25], v[30:31]
	s_waitcnt vmcnt(1) lgkmcnt(0)
	v_mul_f64 v[26:27], v[14:15], v[8:9]
	v_mul_f64 v[8:9], v[16:17], v[8:9]
	v_fma_f64 v[28:29], v[4:5], v[34:35], v[38:39]
	v_fma_f64 v[30:31], v[2:3], v[34:35], -v[36:37]
	ds_load_b128 v[2:5], v1 offset:1616
	v_add_f64 v[18:19], v[22:23], v[18:19]
	v_add_f64 v[20:21], v[24:25], v[20:21]
	s_waitcnt vmcnt(0) lgkmcnt(0)
	v_mul_f64 v[22:23], v[2:3], v[12:13]
	v_mul_f64 v[12:13], v[4:5], v[12:13]
	v_fma_f64 v[16:17], v[16:17], v[6:7], v[26:27]
	v_fma_f64 v[6:7], v[14:15], v[6:7], -v[8:9]
	v_add_f64 v[8:9], v[18:19], v[30:31]
	v_add_f64 v[14:15], v[20:21], v[28:29]
	v_fma_f64 v[4:5], v[4:5], v[10:11], v[22:23]
	v_fma_f64 v[2:3], v[2:3], v[10:11], -v[12:13]
	s_delay_alu instid0(VALU_DEP_4) | instskip(NEXT) | instid1(VALU_DEP_4)
	v_add_f64 v[6:7], v[8:9], v[6:7]
	v_add_f64 v[8:9], v[14:15], v[16:17]
	s_delay_alu instid0(VALU_DEP_2) | instskip(NEXT) | instid1(VALU_DEP_2)
	v_add_f64 v[2:3], v[6:7], v[2:3]
	v_add_f64 v[4:5], v[8:9], v[4:5]
	s_delay_alu instid0(VALU_DEP_2) | instskip(NEXT) | instid1(VALU_DEP_2)
	v_add_f64 v[2:3], v[42:43], -v[2:3]
	v_add_f64 v[4:5], v[44:45], -v[4:5]
	scratch_store_b128 off, v[2:5], off offset:592
	v_cmpx_lt_u32_e32 36, v148
	s_cbranch_execz .LBB50_247
; %bb.246:
	scratch_load_b128 v[5:8], v205, off
	v_mov_b32_e32 v2, v1
	v_mov_b32_e32 v3, v1
	;; [unrolled: 1-line block ×3, first 2 shown]
	scratch_store_b128 off, v[1:4], off offset:576
	s_waitcnt vmcnt(0)
	ds_store_b128 v199, v[5:8]
.LBB50_247:
	s_or_b32 exec_lo, exec_lo, s2
	s_waitcnt lgkmcnt(0)
	s_waitcnt_vscnt null, 0x0
	s_barrier
	buffer_gl0_inv
	s_clause 0x8
	scratch_load_b128 v[2:5], off, off offset:592
	scratch_load_b128 v[6:9], off, off offset:608
	;; [unrolled: 1-line block ×9, first 2 shown]
	ds_load_b128 v[38:41], v1 offset:1408
	ds_load_b128 v[42:45], v1 offset:1424
	s_clause 0x1
	scratch_load_b128 v[154:157], off, off offset:576
	scratch_load_b128 v[158:161], off, off offset:736
	s_mov_b32 s2, exec_lo
	s_waitcnt vmcnt(10) lgkmcnt(1)
	v_mul_f64 v[162:163], v[40:41], v[4:5]
	v_mul_f64 v[4:5], v[38:39], v[4:5]
	s_waitcnt vmcnt(9) lgkmcnt(0)
	v_mul_f64 v[212:213], v[42:43], v[8:9]
	v_mul_f64 v[8:9], v[44:45], v[8:9]
	s_delay_alu instid0(VALU_DEP_4) | instskip(NEXT) | instid1(VALU_DEP_4)
	v_fma_f64 v[214:215], v[38:39], v[2:3], -v[162:163]
	v_fma_f64 v[216:217], v[40:41], v[2:3], v[4:5]
	ds_load_b128 v[2:5], v1 offset:1440
	ds_load_b128 v[162:165], v1 offset:1456
	scratch_load_b128 v[38:41], off, off offset:752
	v_fma_f64 v[44:45], v[44:45], v[6:7], v[212:213]
	v_fma_f64 v[42:43], v[42:43], v[6:7], -v[8:9]
	scratch_load_b128 v[6:9], off, off offset:768
	s_waitcnt vmcnt(10) lgkmcnt(1)
	v_mul_f64 v[218:219], v[2:3], v[12:13]
	v_mul_f64 v[12:13], v[4:5], v[12:13]
	v_add_f64 v[212:213], v[214:215], 0
	v_add_f64 v[214:215], v[216:217], 0
	s_waitcnt vmcnt(9) lgkmcnt(0)
	v_mul_f64 v[216:217], v[162:163], v[16:17]
	v_mul_f64 v[16:17], v[164:165], v[16:17]
	v_fma_f64 v[218:219], v[4:5], v[10:11], v[218:219]
	v_fma_f64 v[220:221], v[2:3], v[10:11], -v[12:13]
	ds_load_b128 v[2:5], v1 offset:1472
	scratch_load_b128 v[10:13], off, off offset:784
	v_add_f64 v[212:213], v[212:213], v[42:43]
	v_add_f64 v[214:215], v[214:215], v[44:45]
	ds_load_b128 v[42:45], v1 offset:1488
	v_fma_f64 v[164:165], v[164:165], v[14:15], v[216:217]
	v_fma_f64 v[162:163], v[162:163], v[14:15], -v[16:17]
	scratch_load_b128 v[14:17], off, off offset:800
	s_waitcnt vmcnt(10) lgkmcnt(1)
	v_mul_f64 v[222:223], v[2:3], v[20:21]
	v_mul_f64 v[20:21], v[4:5], v[20:21]
	s_waitcnt vmcnt(9) lgkmcnt(0)
	v_mul_f64 v[216:217], v[42:43], v[24:25]
	v_mul_f64 v[24:25], v[44:45], v[24:25]
	v_add_f64 v[212:213], v[212:213], v[220:221]
	v_add_f64 v[214:215], v[214:215], v[218:219]
	v_fma_f64 v[218:219], v[4:5], v[18:19], v[222:223]
	v_fma_f64 v[220:221], v[2:3], v[18:19], -v[20:21]
	ds_load_b128 v[2:5], v1 offset:1504
	ds_load_b128 v[18:21], v1 offset:1520
	v_fma_f64 v[44:45], v[44:45], v[22:23], v[216:217]
	v_fma_f64 v[22:23], v[42:43], v[22:23], -v[24:25]
	v_add_f64 v[162:163], v[212:213], v[162:163]
	v_add_f64 v[164:165], v[214:215], v[164:165]
	s_waitcnt vmcnt(8) lgkmcnt(1)
	v_mul_f64 v[212:213], v[2:3], v[28:29]
	v_mul_f64 v[28:29], v[4:5], v[28:29]
	s_delay_alu instid0(VALU_DEP_4) | instskip(NEXT) | instid1(VALU_DEP_4)
	v_add_f64 v[24:25], v[162:163], v[220:221]
	v_add_f64 v[42:43], v[164:165], v[218:219]
	s_waitcnt vmcnt(7) lgkmcnt(0)
	v_mul_f64 v[162:163], v[18:19], v[32:33]
	v_mul_f64 v[32:33], v[20:21], v[32:33]
	v_fma_f64 v[164:165], v[4:5], v[26:27], v[212:213]
	v_fma_f64 v[26:27], v[2:3], v[26:27], -v[28:29]
	v_add_f64 v[28:29], v[24:25], v[22:23]
	v_add_f64 v[42:43], v[42:43], v[44:45]
	ds_load_b128 v[2:5], v1 offset:1536
	ds_load_b128 v[22:25], v1 offset:1552
	v_fma_f64 v[20:21], v[20:21], v[30:31], v[162:163]
	v_fma_f64 v[18:19], v[18:19], v[30:31], -v[32:33]
	s_waitcnt vmcnt(6) lgkmcnt(1)
	v_mul_f64 v[44:45], v[2:3], v[36:37]
	v_mul_f64 v[36:37], v[4:5], v[36:37]
	s_waitcnt vmcnt(4) lgkmcnt(0)
	v_mul_f64 v[30:31], v[22:23], v[160:161]
	v_mul_f64 v[32:33], v[24:25], v[160:161]
	v_add_f64 v[26:27], v[28:29], v[26:27]
	v_add_f64 v[28:29], v[42:43], v[164:165]
	v_fma_f64 v[42:43], v[4:5], v[34:35], v[44:45]
	v_fma_f64 v[34:35], v[2:3], v[34:35], -v[36:37]
	v_fma_f64 v[24:25], v[24:25], v[158:159], v[30:31]
	v_fma_f64 v[22:23], v[22:23], v[158:159], -v[32:33]
	v_add_f64 v[26:27], v[26:27], v[18:19]
	v_add_f64 v[28:29], v[28:29], v[20:21]
	ds_load_b128 v[2:5], v1 offset:1568
	ds_load_b128 v[18:21], v1 offset:1584
	s_waitcnt vmcnt(3) lgkmcnt(1)
	v_mul_f64 v[36:37], v[2:3], v[40:41]
	v_mul_f64 v[40:41], v[4:5], v[40:41]
	s_waitcnt vmcnt(2) lgkmcnt(0)
	v_mul_f64 v[30:31], v[18:19], v[8:9]
	v_mul_f64 v[8:9], v[20:21], v[8:9]
	v_add_f64 v[26:27], v[26:27], v[34:35]
	v_add_f64 v[28:29], v[28:29], v[42:43]
	v_fma_f64 v[32:33], v[4:5], v[38:39], v[36:37]
	v_fma_f64 v[34:35], v[2:3], v[38:39], -v[40:41]
	v_fma_f64 v[20:21], v[20:21], v[6:7], v[30:31]
	v_fma_f64 v[6:7], v[18:19], v[6:7], -v[8:9]
	v_add_f64 v[26:27], v[26:27], v[22:23]
	v_add_f64 v[28:29], v[28:29], v[24:25]
	ds_load_b128 v[2:5], v1 offset:1600
	ds_load_b128 v[22:25], v1 offset:1616
	s_waitcnt vmcnt(1) lgkmcnt(1)
	v_mul_f64 v[36:37], v[2:3], v[12:13]
	v_mul_f64 v[12:13], v[4:5], v[12:13]
	v_add_f64 v[8:9], v[26:27], v[34:35]
	v_add_f64 v[18:19], v[28:29], v[32:33]
	s_waitcnt vmcnt(0) lgkmcnt(0)
	v_mul_f64 v[26:27], v[22:23], v[16:17]
	v_mul_f64 v[16:17], v[24:25], v[16:17]
	v_fma_f64 v[4:5], v[4:5], v[10:11], v[36:37]
	v_fma_f64 v[1:2], v[2:3], v[10:11], -v[12:13]
	v_add_f64 v[6:7], v[8:9], v[6:7]
	v_add_f64 v[8:9], v[18:19], v[20:21]
	v_fma_f64 v[10:11], v[24:25], v[14:15], v[26:27]
	v_fma_f64 v[12:13], v[22:23], v[14:15], -v[16:17]
	s_delay_alu instid0(VALU_DEP_4) | instskip(NEXT) | instid1(VALU_DEP_4)
	v_add_f64 v[1:2], v[6:7], v[1:2]
	v_add_f64 v[3:4], v[8:9], v[4:5]
	s_delay_alu instid0(VALU_DEP_2) | instskip(NEXT) | instid1(VALU_DEP_2)
	v_add_f64 v[1:2], v[1:2], v[12:13]
	v_add_f64 v[3:4], v[3:4], v[10:11]
	s_delay_alu instid0(VALU_DEP_2) | instskip(NEXT) | instid1(VALU_DEP_2)
	v_add_f64 v[1:2], v[154:155], -v[1:2]
	v_add_f64 v[3:4], v[156:157], -v[3:4]
	scratch_store_b128 off, v[1:4], off offset:576
	v_cmpx_lt_u32_e32 35, v148
	s_cbranch_execz .LBB50_249
; %bb.248:
	scratch_load_b128 v[1:4], v206, off
	v_mov_b32_e32 v5, 0
	s_delay_alu instid0(VALU_DEP_1)
	v_mov_b32_e32 v6, v5
	v_mov_b32_e32 v7, v5
	;; [unrolled: 1-line block ×3, first 2 shown]
	scratch_store_b128 off, v[5:8], off offset:560
	s_waitcnt vmcnt(0)
	ds_store_b128 v199, v[1:4]
.LBB50_249:
	s_or_b32 exec_lo, exec_lo, s2
	s_waitcnt lgkmcnt(0)
	s_waitcnt_vscnt null, 0x0
	s_barrier
	buffer_gl0_inv
	s_clause 0x7
	scratch_load_b128 v[2:5], off, off offset:576
	scratch_load_b128 v[6:9], off, off offset:592
	;; [unrolled: 1-line block ×8, first 2 shown]
	v_mov_b32_e32 v1, 0
	s_mov_b32 s2, exec_lo
	ds_load_b128 v[34:37], v1 offset:1392
	s_clause 0x1
	scratch_load_b128 v[38:41], off, off offset:704
	scratch_load_b128 v[42:45], off, off offset:560
	ds_load_b128 v[154:157], v1 offset:1408
	scratch_load_b128 v[158:161], off, off offset:720
	s_waitcnt vmcnt(10) lgkmcnt(1)
	v_mul_f64 v[162:163], v[36:37], v[4:5]
	v_mul_f64 v[4:5], v[34:35], v[4:5]
	s_delay_alu instid0(VALU_DEP_2) | instskip(NEXT) | instid1(VALU_DEP_2)
	v_fma_f64 v[214:215], v[34:35], v[2:3], -v[162:163]
	v_fma_f64 v[216:217], v[36:37], v[2:3], v[4:5]
	scratch_load_b128 v[34:37], off, off offset:736
	ds_load_b128 v[2:5], v1 offset:1424
	s_waitcnt vmcnt(10) lgkmcnt(1)
	v_mul_f64 v[212:213], v[154:155], v[8:9]
	v_mul_f64 v[8:9], v[156:157], v[8:9]
	ds_load_b128 v[162:165], v1 offset:1440
	s_waitcnt vmcnt(9) lgkmcnt(1)
	v_mul_f64 v[218:219], v[2:3], v[12:13]
	v_mul_f64 v[12:13], v[4:5], v[12:13]
	v_fma_f64 v[156:157], v[156:157], v[6:7], v[212:213]
	v_fma_f64 v[154:155], v[154:155], v[6:7], -v[8:9]
	v_add_f64 v[212:213], v[214:215], 0
	v_add_f64 v[214:215], v[216:217], 0
	scratch_load_b128 v[6:9], off, off offset:752
	v_fma_f64 v[218:219], v[4:5], v[10:11], v[218:219]
	v_fma_f64 v[220:221], v[2:3], v[10:11], -v[12:13]
	scratch_load_b128 v[10:13], off, off offset:768
	ds_load_b128 v[2:5], v1 offset:1456
	s_waitcnt vmcnt(10) lgkmcnt(1)
	v_mul_f64 v[216:217], v[162:163], v[16:17]
	v_mul_f64 v[16:17], v[164:165], v[16:17]
	v_add_f64 v[212:213], v[212:213], v[154:155]
	v_add_f64 v[214:215], v[214:215], v[156:157]
	s_waitcnt vmcnt(9) lgkmcnt(0)
	v_mul_f64 v[222:223], v[2:3], v[20:21]
	v_mul_f64 v[20:21], v[4:5], v[20:21]
	ds_load_b128 v[154:157], v1 offset:1472
	v_fma_f64 v[164:165], v[164:165], v[14:15], v[216:217]
	v_fma_f64 v[162:163], v[162:163], v[14:15], -v[16:17]
	scratch_load_b128 v[14:17], off, off offset:784
	v_add_f64 v[212:213], v[212:213], v[220:221]
	v_add_f64 v[214:215], v[214:215], v[218:219]
	v_fma_f64 v[218:219], v[4:5], v[18:19], v[222:223]
	v_fma_f64 v[220:221], v[2:3], v[18:19], -v[20:21]
	scratch_load_b128 v[18:21], off, off offset:800
	ds_load_b128 v[2:5], v1 offset:1488
	s_waitcnt vmcnt(10) lgkmcnt(1)
	v_mul_f64 v[216:217], v[154:155], v[24:25]
	v_mul_f64 v[24:25], v[156:157], v[24:25]
	s_waitcnt vmcnt(9) lgkmcnt(0)
	v_mul_f64 v[222:223], v[2:3], v[28:29]
	v_mul_f64 v[28:29], v[4:5], v[28:29]
	v_add_f64 v[212:213], v[212:213], v[162:163]
	v_add_f64 v[214:215], v[214:215], v[164:165]
	ds_load_b128 v[162:165], v1 offset:1504
	v_fma_f64 v[156:157], v[156:157], v[22:23], v[216:217]
	v_fma_f64 v[22:23], v[154:155], v[22:23], -v[24:25]
	v_add_f64 v[24:25], v[212:213], v[220:221]
	v_add_f64 v[154:155], v[214:215], v[218:219]
	s_waitcnt vmcnt(8) lgkmcnt(0)
	v_mul_f64 v[212:213], v[162:163], v[32:33]
	v_mul_f64 v[32:33], v[164:165], v[32:33]
	v_fma_f64 v[214:215], v[4:5], v[26:27], v[222:223]
	v_fma_f64 v[26:27], v[2:3], v[26:27], -v[28:29]
	v_add_f64 v[28:29], v[24:25], v[22:23]
	v_add_f64 v[154:155], v[154:155], v[156:157]
	ds_load_b128 v[2:5], v1 offset:1520
	ds_load_b128 v[22:25], v1 offset:1536
	v_fma_f64 v[164:165], v[164:165], v[30:31], v[212:213]
	v_fma_f64 v[30:31], v[162:163], v[30:31], -v[32:33]
	s_waitcnt vmcnt(7) lgkmcnt(1)
	v_mul_f64 v[156:157], v[2:3], v[40:41]
	v_mul_f64 v[40:41], v[4:5], v[40:41]
	s_waitcnt vmcnt(5) lgkmcnt(0)
	v_mul_f64 v[32:33], v[22:23], v[160:161]
	v_add_f64 v[26:27], v[28:29], v[26:27]
	v_add_f64 v[28:29], v[154:155], v[214:215]
	v_mul_f64 v[154:155], v[24:25], v[160:161]
	v_fma_f64 v[156:157], v[4:5], v[38:39], v[156:157]
	v_fma_f64 v[38:39], v[2:3], v[38:39], -v[40:41]
	v_fma_f64 v[24:25], v[24:25], v[158:159], v[32:33]
	v_add_f64 v[30:31], v[26:27], v[30:31]
	v_add_f64 v[40:41], v[28:29], v[164:165]
	ds_load_b128 v[2:5], v1 offset:1552
	ds_load_b128 v[26:29], v1 offset:1568
	v_fma_f64 v[22:23], v[22:23], v[158:159], -v[154:155]
	s_waitcnt vmcnt(4) lgkmcnt(1)
	v_mul_f64 v[160:161], v[2:3], v[36:37]
	v_mul_f64 v[36:37], v[4:5], v[36:37]
	v_add_f64 v[30:31], v[30:31], v[38:39]
	v_add_f64 v[32:33], v[40:41], v[156:157]
	s_waitcnt vmcnt(3) lgkmcnt(0)
	v_mul_f64 v[38:39], v[26:27], v[8:9]
	v_mul_f64 v[8:9], v[28:29], v[8:9]
	v_fma_f64 v[40:41], v[4:5], v[34:35], v[160:161]
	v_fma_f64 v[34:35], v[2:3], v[34:35], -v[36:37]
	v_add_f64 v[30:31], v[30:31], v[22:23]
	v_add_f64 v[32:33], v[32:33], v[24:25]
	ds_load_b128 v[2:5], v1 offset:1584
	ds_load_b128 v[22:25], v1 offset:1600
	v_fma_f64 v[28:29], v[28:29], v[6:7], v[38:39]
	v_fma_f64 v[6:7], v[26:27], v[6:7], -v[8:9]
	s_waitcnt vmcnt(2) lgkmcnt(1)
	v_mul_f64 v[36:37], v[2:3], v[12:13]
	v_mul_f64 v[12:13], v[4:5], v[12:13]
	v_add_f64 v[8:9], v[30:31], v[34:35]
	v_add_f64 v[26:27], v[32:33], v[40:41]
	s_waitcnt vmcnt(1) lgkmcnt(0)
	v_mul_f64 v[30:31], v[22:23], v[16:17]
	v_mul_f64 v[16:17], v[24:25], v[16:17]
	v_fma_f64 v[32:33], v[4:5], v[10:11], v[36:37]
	v_fma_f64 v[10:11], v[2:3], v[10:11], -v[12:13]
	ds_load_b128 v[2:5], v1 offset:1616
	v_add_f64 v[6:7], v[8:9], v[6:7]
	v_add_f64 v[8:9], v[26:27], v[28:29]
	v_fma_f64 v[24:25], v[24:25], v[14:15], v[30:31]
	v_fma_f64 v[14:15], v[22:23], v[14:15], -v[16:17]
	s_waitcnt vmcnt(0) lgkmcnt(0)
	v_mul_f64 v[12:13], v[2:3], v[20:21]
	v_mul_f64 v[20:21], v[4:5], v[20:21]
	v_add_f64 v[6:7], v[6:7], v[10:11]
	v_add_f64 v[8:9], v[8:9], v[32:33]
	s_delay_alu instid0(VALU_DEP_4) | instskip(NEXT) | instid1(VALU_DEP_4)
	v_fma_f64 v[4:5], v[4:5], v[18:19], v[12:13]
	v_fma_f64 v[2:3], v[2:3], v[18:19], -v[20:21]
	s_delay_alu instid0(VALU_DEP_4) | instskip(NEXT) | instid1(VALU_DEP_4)
	v_add_f64 v[6:7], v[6:7], v[14:15]
	v_add_f64 v[8:9], v[8:9], v[24:25]
	s_delay_alu instid0(VALU_DEP_2) | instskip(NEXT) | instid1(VALU_DEP_2)
	v_add_f64 v[2:3], v[6:7], v[2:3]
	v_add_f64 v[4:5], v[8:9], v[4:5]
	s_delay_alu instid0(VALU_DEP_2) | instskip(NEXT) | instid1(VALU_DEP_2)
	v_add_f64 v[2:3], v[42:43], -v[2:3]
	v_add_f64 v[4:5], v[44:45], -v[4:5]
	scratch_store_b128 off, v[2:5], off offset:560
	v_cmpx_lt_u32_e32 34, v148
	s_cbranch_execz .LBB50_251
; %bb.250:
	scratch_load_b128 v[5:8], v207, off
	v_mov_b32_e32 v2, v1
	v_mov_b32_e32 v3, v1
	;; [unrolled: 1-line block ×3, first 2 shown]
	scratch_store_b128 off, v[1:4], off offset:544
	s_waitcnt vmcnt(0)
	ds_store_b128 v199, v[5:8]
.LBB50_251:
	s_or_b32 exec_lo, exec_lo, s2
	s_waitcnt lgkmcnt(0)
	s_waitcnt_vscnt null, 0x0
	s_barrier
	buffer_gl0_inv
	s_clause 0x8
	scratch_load_b128 v[2:5], off, off offset:560
	scratch_load_b128 v[6:9], off, off offset:576
	;; [unrolled: 1-line block ×9, first 2 shown]
	ds_load_b128 v[38:41], v1 offset:1376
	ds_load_b128 v[42:45], v1 offset:1392
	s_clause 0x1
	scratch_load_b128 v[154:157], off, off offset:544
	scratch_load_b128 v[158:161], off, off offset:704
	s_mov_b32 s2, exec_lo
	s_waitcnt vmcnt(10) lgkmcnt(1)
	v_mul_f64 v[162:163], v[40:41], v[4:5]
	v_mul_f64 v[4:5], v[38:39], v[4:5]
	s_waitcnt vmcnt(9) lgkmcnt(0)
	v_mul_f64 v[212:213], v[42:43], v[8:9]
	v_mul_f64 v[8:9], v[44:45], v[8:9]
	s_delay_alu instid0(VALU_DEP_4) | instskip(NEXT) | instid1(VALU_DEP_4)
	v_fma_f64 v[214:215], v[38:39], v[2:3], -v[162:163]
	v_fma_f64 v[216:217], v[40:41], v[2:3], v[4:5]
	ds_load_b128 v[2:5], v1 offset:1408
	ds_load_b128 v[162:165], v1 offset:1424
	scratch_load_b128 v[38:41], off, off offset:720
	v_fma_f64 v[44:45], v[44:45], v[6:7], v[212:213]
	v_fma_f64 v[42:43], v[42:43], v[6:7], -v[8:9]
	scratch_load_b128 v[6:9], off, off offset:736
	s_waitcnt vmcnt(10) lgkmcnt(1)
	v_mul_f64 v[218:219], v[2:3], v[12:13]
	v_mul_f64 v[12:13], v[4:5], v[12:13]
	v_add_f64 v[212:213], v[214:215], 0
	v_add_f64 v[214:215], v[216:217], 0
	s_waitcnt vmcnt(9) lgkmcnt(0)
	v_mul_f64 v[216:217], v[162:163], v[16:17]
	v_mul_f64 v[16:17], v[164:165], v[16:17]
	v_fma_f64 v[218:219], v[4:5], v[10:11], v[218:219]
	v_fma_f64 v[220:221], v[2:3], v[10:11], -v[12:13]
	ds_load_b128 v[2:5], v1 offset:1440
	scratch_load_b128 v[10:13], off, off offset:752
	v_add_f64 v[212:213], v[212:213], v[42:43]
	v_add_f64 v[214:215], v[214:215], v[44:45]
	ds_load_b128 v[42:45], v1 offset:1456
	v_fma_f64 v[164:165], v[164:165], v[14:15], v[216:217]
	v_fma_f64 v[162:163], v[162:163], v[14:15], -v[16:17]
	scratch_load_b128 v[14:17], off, off offset:768
	s_waitcnt vmcnt(10) lgkmcnt(1)
	v_mul_f64 v[222:223], v[2:3], v[20:21]
	v_mul_f64 v[20:21], v[4:5], v[20:21]
	s_waitcnt vmcnt(9) lgkmcnt(0)
	v_mul_f64 v[216:217], v[42:43], v[24:25]
	v_mul_f64 v[24:25], v[44:45], v[24:25]
	v_add_f64 v[212:213], v[212:213], v[220:221]
	v_add_f64 v[214:215], v[214:215], v[218:219]
	v_fma_f64 v[218:219], v[4:5], v[18:19], v[222:223]
	v_fma_f64 v[220:221], v[2:3], v[18:19], -v[20:21]
	ds_load_b128 v[2:5], v1 offset:1472
	scratch_load_b128 v[18:21], off, off offset:784
	v_fma_f64 v[44:45], v[44:45], v[22:23], v[216:217]
	v_fma_f64 v[42:43], v[42:43], v[22:23], -v[24:25]
	scratch_load_b128 v[22:25], off, off offset:800
	v_add_f64 v[212:213], v[212:213], v[162:163]
	v_add_f64 v[214:215], v[214:215], v[164:165]
	ds_load_b128 v[162:165], v1 offset:1488
	s_waitcnt vmcnt(10) lgkmcnt(1)
	v_mul_f64 v[222:223], v[2:3], v[28:29]
	v_mul_f64 v[28:29], v[4:5], v[28:29]
	s_waitcnt vmcnt(9) lgkmcnt(0)
	v_mul_f64 v[216:217], v[162:163], v[32:33]
	v_mul_f64 v[32:33], v[164:165], v[32:33]
	v_add_f64 v[212:213], v[212:213], v[220:221]
	v_add_f64 v[214:215], v[214:215], v[218:219]
	v_fma_f64 v[218:219], v[4:5], v[26:27], v[222:223]
	v_fma_f64 v[220:221], v[2:3], v[26:27], -v[28:29]
	ds_load_b128 v[2:5], v1 offset:1504
	ds_load_b128 v[26:29], v1 offset:1520
	v_fma_f64 v[164:165], v[164:165], v[30:31], v[216:217]
	v_fma_f64 v[30:31], v[162:163], v[30:31], -v[32:33]
	v_add_f64 v[42:43], v[212:213], v[42:43]
	v_add_f64 v[44:45], v[214:215], v[44:45]
	s_waitcnt vmcnt(8) lgkmcnt(1)
	v_mul_f64 v[212:213], v[2:3], v[36:37]
	v_mul_f64 v[36:37], v[4:5], v[36:37]
	s_delay_alu instid0(VALU_DEP_4) | instskip(NEXT) | instid1(VALU_DEP_4)
	v_add_f64 v[32:33], v[42:43], v[220:221]
	v_add_f64 v[42:43], v[44:45], v[218:219]
	s_waitcnt vmcnt(6) lgkmcnt(0)
	v_mul_f64 v[44:45], v[26:27], v[160:161]
	v_mul_f64 v[160:161], v[28:29], v[160:161]
	v_fma_f64 v[162:163], v[4:5], v[34:35], v[212:213]
	v_fma_f64 v[34:35], v[2:3], v[34:35], -v[36:37]
	v_add_f64 v[36:37], v[32:33], v[30:31]
	v_add_f64 v[42:43], v[42:43], v[164:165]
	ds_load_b128 v[2:5], v1 offset:1536
	ds_load_b128 v[30:33], v1 offset:1552
	v_fma_f64 v[28:29], v[28:29], v[158:159], v[44:45]
	v_fma_f64 v[26:27], v[26:27], v[158:159], -v[160:161]
	s_waitcnt vmcnt(5) lgkmcnt(1)
	v_mul_f64 v[164:165], v[2:3], v[40:41]
	v_mul_f64 v[40:41], v[4:5], v[40:41]
	v_add_f64 v[34:35], v[36:37], v[34:35]
	v_add_f64 v[36:37], v[42:43], v[162:163]
	s_waitcnt vmcnt(4) lgkmcnt(0)
	v_mul_f64 v[42:43], v[30:31], v[8:9]
	v_mul_f64 v[8:9], v[32:33], v[8:9]
	v_fma_f64 v[44:45], v[4:5], v[38:39], v[164:165]
	v_fma_f64 v[38:39], v[2:3], v[38:39], -v[40:41]
	v_add_f64 v[34:35], v[34:35], v[26:27]
	v_add_f64 v[36:37], v[36:37], v[28:29]
	ds_load_b128 v[2:5], v1 offset:1568
	ds_load_b128 v[26:29], v1 offset:1584
	v_fma_f64 v[32:33], v[32:33], v[6:7], v[42:43]
	v_fma_f64 v[6:7], v[30:31], v[6:7], -v[8:9]
	s_waitcnt vmcnt(3) lgkmcnt(1)
	v_mul_f64 v[40:41], v[2:3], v[12:13]
	v_mul_f64 v[12:13], v[4:5], v[12:13]
	;; [unrolled: 16-line block ×3, first 2 shown]
	s_waitcnt vmcnt(0) lgkmcnt(0)
	v_mul_f64 v[16:17], v[6:7], v[24:25]
	v_mul_f64 v[24:25], v[8:9], v[24:25]
	v_add_f64 v[10:11], v[12:13], v[10:11]
	v_add_f64 v[12:13], v[30:31], v[36:37]
	v_fma_f64 v[4:5], v[4:5], v[18:19], v[32:33]
	v_fma_f64 v[1:2], v[2:3], v[18:19], -v[20:21]
	v_fma_f64 v[8:9], v[8:9], v[22:23], v[16:17]
	v_fma_f64 v[6:7], v[6:7], v[22:23], -v[24:25]
	v_add_f64 v[10:11], v[10:11], v[14:15]
	v_add_f64 v[12:13], v[12:13], v[28:29]
	s_delay_alu instid0(VALU_DEP_2) | instskip(NEXT) | instid1(VALU_DEP_2)
	v_add_f64 v[1:2], v[10:11], v[1:2]
	v_add_f64 v[3:4], v[12:13], v[4:5]
	s_delay_alu instid0(VALU_DEP_2) | instskip(NEXT) | instid1(VALU_DEP_2)
	;; [unrolled: 3-line block ×3, first 2 shown]
	v_add_f64 v[1:2], v[154:155], -v[1:2]
	v_add_f64 v[3:4], v[156:157], -v[3:4]
	scratch_store_b128 off, v[1:4], off offset:544
	v_cmpx_lt_u32_e32 33, v148
	s_cbranch_execz .LBB50_253
; %bb.252:
	scratch_load_b128 v[1:4], v208, off
	v_mov_b32_e32 v5, 0
	s_delay_alu instid0(VALU_DEP_1)
	v_mov_b32_e32 v6, v5
	v_mov_b32_e32 v7, v5
	;; [unrolled: 1-line block ×3, first 2 shown]
	scratch_store_b128 off, v[5:8], off offset:528
	s_waitcnt vmcnt(0)
	ds_store_b128 v199, v[1:4]
.LBB50_253:
	s_or_b32 exec_lo, exec_lo, s2
	s_waitcnt lgkmcnt(0)
	s_waitcnt_vscnt null, 0x0
	s_barrier
	buffer_gl0_inv
	s_clause 0x7
	scratch_load_b128 v[2:5], off, off offset:544
	scratch_load_b128 v[6:9], off, off offset:560
	;; [unrolled: 1-line block ×8, first 2 shown]
	v_mov_b32_e32 v1, 0
	s_mov_b32 s2, exec_lo
	ds_load_b128 v[34:37], v1 offset:1360
	s_clause 0x1
	scratch_load_b128 v[38:41], off, off offset:672
	scratch_load_b128 v[42:45], off, off offset:528
	ds_load_b128 v[154:157], v1 offset:1376
	scratch_load_b128 v[158:161], off, off offset:688
	s_waitcnt vmcnt(10) lgkmcnt(1)
	v_mul_f64 v[162:163], v[36:37], v[4:5]
	v_mul_f64 v[4:5], v[34:35], v[4:5]
	s_delay_alu instid0(VALU_DEP_2) | instskip(NEXT) | instid1(VALU_DEP_2)
	v_fma_f64 v[214:215], v[34:35], v[2:3], -v[162:163]
	v_fma_f64 v[216:217], v[36:37], v[2:3], v[4:5]
	scratch_load_b128 v[34:37], off, off offset:704
	ds_load_b128 v[2:5], v1 offset:1392
	s_waitcnt vmcnt(10) lgkmcnt(1)
	v_mul_f64 v[212:213], v[154:155], v[8:9]
	v_mul_f64 v[8:9], v[156:157], v[8:9]
	ds_load_b128 v[162:165], v1 offset:1408
	s_waitcnt vmcnt(9) lgkmcnt(1)
	v_mul_f64 v[218:219], v[2:3], v[12:13]
	v_mul_f64 v[12:13], v[4:5], v[12:13]
	v_fma_f64 v[156:157], v[156:157], v[6:7], v[212:213]
	v_fma_f64 v[154:155], v[154:155], v[6:7], -v[8:9]
	v_add_f64 v[212:213], v[214:215], 0
	v_add_f64 v[214:215], v[216:217], 0
	scratch_load_b128 v[6:9], off, off offset:720
	v_fma_f64 v[218:219], v[4:5], v[10:11], v[218:219]
	v_fma_f64 v[220:221], v[2:3], v[10:11], -v[12:13]
	scratch_load_b128 v[10:13], off, off offset:736
	ds_load_b128 v[2:5], v1 offset:1424
	s_waitcnt vmcnt(10) lgkmcnt(1)
	v_mul_f64 v[216:217], v[162:163], v[16:17]
	v_mul_f64 v[16:17], v[164:165], v[16:17]
	v_add_f64 v[212:213], v[212:213], v[154:155]
	v_add_f64 v[214:215], v[214:215], v[156:157]
	s_waitcnt vmcnt(9) lgkmcnt(0)
	v_mul_f64 v[222:223], v[2:3], v[20:21]
	v_mul_f64 v[20:21], v[4:5], v[20:21]
	ds_load_b128 v[154:157], v1 offset:1440
	v_fma_f64 v[164:165], v[164:165], v[14:15], v[216:217]
	v_fma_f64 v[162:163], v[162:163], v[14:15], -v[16:17]
	scratch_load_b128 v[14:17], off, off offset:752
	v_add_f64 v[212:213], v[212:213], v[220:221]
	v_add_f64 v[214:215], v[214:215], v[218:219]
	v_fma_f64 v[218:219], v[4:5], v[18:19], v[222:223]
	v_fma_f64 v[220:221], v[2:3], v[18:19], -v[20:21]
	scratch_load_b128 v[18:21], off, off offset:768
	ds_load_b128 v[2:5], v1 offset:1456
	s_waitcnt vmcnt(10) lgkmcnt(1)
	v_mul_f64 v[216:217], v[154:155], v[24:25]
	v_mul_f64 v[24:25], v[156:157], v[24:25]
	s_waitcnt vmcnt(9) lgkmcnt(0)
	v_mul_f64 v[222:223], v[2:3], v[28:29]
	v_mul_f64 v[28:29], v[4:5], v[28:29]
	v_add_f64 v[212:213], v[212:213], v[162:163]
	v_add_f64 v[214:215], v[214:215], v[164:165]
	ds_load_b128 v[162:165], v1 offset:1472
	v_fma_f64 v[156:157], v[156:157], v[22:23], v[216:217]
	v_fma_f64 v[154:155], v[154:155], v[22:23], -v[24:25]
	scratch_load_b128 v[22:25], off, off offset:784
	v_add_f64 v[212:213], v[212:213], v[220:221]
	v_add_f64 v[214:215], v[214:215], v[218:219]
	v_fma_f64 v[218:219], v[4:5], v[26:27], v[222:223]
	v_fma_f64 v[220:221], v[2:3], v[26:27], -v[28:29]
	scratch_load_b128 v[26:29], off, off offset:800
	ds_load_b128 v[2:5], v1 offset:1488
	s_waitcnt vmcnt(10) lgkmcnt(1)
	v_mul_f64 v[216:217], v[162:163], v[32:33]
	v_mul_f64 v[32:33], v[164:165], v[32:33]
	s_waitcnt vmcnt(9) lgkmcnt(0)
	v_mul_f64 v[222:223], v[2:3], v[40:41]
	v_mul_f64 v[40:41], v[4:5], v[40:41]
	v_add_f64 v[212:213], v[212:213], v[154:155]
	v_add_f64 v[214:215], v[214:215], v[156:157]
	ds_load_b128 v[154:157], v1 offset:1504
	v_fma_f64 v[164:165], v[164:165], v[30:31], v[216:217]
	v_fma_f64 v[30:31], v[162:163], v[30:31], -v[32:33]
	v_add_f64 v[32:33], v[212:213], v[220:221]
	v_add_f64 v[162:163], v[214:215], v[218:219]
	s_waitcnt vmcnt(7) lgkmcnt(0)
	v_mul_f64 v[212:213], v[154:155], v[160:161]
	v_mul_f64 v[160:161], v[156:157], v[160:161]
	v_fma_f64 v[214:215], v[4:5], v[38:39], v[222:223]
	v_fma_f64 v[38:39], v[2:3], v[38:39], -v[40:41]
	v_add_f64 v[40:41], v[32:33], v[30:31]
	v_add_f64 v[162:163], v[162:163], v[164:165]
	ds_load_b128 v[2:5], v1 offset:1520
	ds_load_b128 v[30:33], v1 offset:1536
	v_fma_f64 v[156:157], v[156:157], v[158:159], v[212:213]
	v_fma_f64 v[154:155], v[154:155], v[158:159], -v[160:161]
	s_waitcnt vmcnt(6) lgkmcnt(1)
	v_mul_f64 v[164:165], v[2:3], v[36:37]
	v_mul_f64 v[36:37], v[4:5], v[36:37]
	v_add_f64 v[38:39], v[40:41], v[38:39]
	v_add_f64 v[40:41], v[162:163], v[214:215]
	s_waitcnt vmcnt(5) lgkmcnt(0)
	v_mul_f64 v[158:159], v[30:31], v[8:9]
	v_mul_f64 v[8:9], v[32:33], v[8:9]
	v_fma_f64 v[160:161], v[4:5], v[34:35], v[164:165]
	v_fma_f64 v[162:163], v[2:3], v[34:35], -v[36:37]
	ds_load_b128 v[2:5], v1 offset:1552
	ds_load_b128 v[34:37], v1 offset:1568
	v_add_f64 v[38:39], v[38:39], v[154:155]
	v_add_f64 v[40:41], v[40:41], v[156:157]
	s_waitcnt vmcnt(4) lgkmcnt(1)
	v_mul_f64 v[154:155], v[2:3], v[12:13]
	v_mul_f64 v[12:13], v[4:5], v[12:13]
	v_fma_f64 v[32:33], v[32:33], v[6:7], v[158:159]
	v_fma_f64 v[6:7], v[30:31], v[6:7], -v[8:9]
	v_add_f64 v[8:9], v[38:39], v[162:163]
	v_add_f64 v[30:31], v[40:41], v[160:161]
	s_waitcnt vmcnt(3) lgkmcnt(0)
	v_mul_f64 v[38:39], v[34:35], v[16:17]
	v_mul_f64 v[16:17], v[36:37], v[16:17]
	v_fma_f64 v[40:41], v[4:5], v[10:11], v[154:155]
	v_fma_f64 v[10:11], v[2:3], v[10:11], -v[12:13]
	v_add_f64 v[12:13], v[8:9], v[6:7]
	v_add_f64 v[30:31], v[30:31], v[32:33]
	ds_load_b128 v[2:5], v1 offset:1584
	ds_load_b128 v[6:9], v1 offset:1600
	v_fma_f64 v[36:37], v[36:37], v[14:15], v[38:39]
	v_fma_f64 v[14:15], v[34:35], v[14:15], -v[16:17]
	s_waitcnt vmcnt(2) lgkmcnt(1)
	v_mul_f64 v[32:33], v[2:3], v[20:21]
	v_mul_f64 v[20:21], v[4:5], v[20:21]
	s_waitcnt vmcnt(1) lgkmcnt(0)
	v_mul_f64 v[16:17], v[6:7], v[24:25]
	v_mul_f64 v[24:25], v[8:9], v[24:25]
	v_add_f64 v[10:11], v[12:13], v[10:11]
	v_add_f64 v[12:13], v[30:31], v[40:41]
	v_fma_f64 v[30:31], v[4:5], v[18:19], v[32:33]
	v_fma_f64 v[18:19], v[2:3], v[18:19], -v[20:21]
	ds_load_b128 v[2:5], v1 offset:1616
	v_fma_f64 v[8:9], v[8:9], v[22:23], v[16:17]
	v_fma_f64 v[6:7], v[6:7], v[22:23], -v[24:25]
	v_add_f64 v[10:11], v[10:11], v[14:15]
	v_add_f64 v[12:13], v[12:13], v[36:37]
	s_waitcnt vmcnt(0) lgkmcnt(0)
	v_mul_f64 v[14:15], v[2:3], v[28:29]
	v_mul_f64 v[20:21], v[4:5], v[28:29]
	s_delay_alu instid0(VALU_DEP_4) | instskip(NEXT) | instid1(VALU_DEP_4)
	v_add_f64 v[10:11], v[10:11], v[18:19]
	v_add_f64 v[12:13], v[12:13], v[30:31]
	s_delay_alu instid0(VALU_DEP_4) | instskip(NEXT) | instid1(VALU_DEP_4)
	v_fma_f64 v[4:5], v[4:5], v[26:27], v[14:15]
	v_fma_f64 v[2:3], v[2:3], v[26:27], -v[20:21]
	s_delay_alu instid0(VALU_DEP_4) | instskip(NEXT) | instid1(VALU_DEP_4)
	v_add_f64 v[6:7], v[10:11], v[6:7]
	v_add_f64 v[8:9], v[12:13], v[8:9]
	s_delay_alu instid0(VALU_DEP_2) | instskip(NEXT) | instid1(VALU_DEP_2)
	v_add_f64 v[2:3], v[6:7], v[2:3]
	v_add_f64 v[4:5], v[8:9], v[4:5]
	s_delay_alu instid0(VALU_DEP_2) | instskip(NEXT) | instid1(VALU_DEP_2)
	v_add_f64 v[2:3], v[42:43], -v[2:3]
	v_add_f64 v[4:5], v[44:45], -v[4:5]
	scratch_store_b128 off, v[2:5], off offset:528
	v_cmpx_lt_u32_e32 32, v148
	s_cbranch_execz .LBB50_255
; %bb.254:
	scratch_load_b128 v[5:8], v209, off
	v_mov_b32_e32 v2, v1
	v_mov_b32_e32 v3, v1
	;; [unrolled: 1-line block ×3, first 2 shown]
	scratch_store_b128 off, v[1:4], off offset:512
	s_waitcnt vmcnt(0)
	ds_store_b128 v199, v[5:8]
.LBB50_255:
	s_or_b32 exec_lo, exec_lo, s2
	s_waitcnt lgkmcnt(0)
	s_waitcnt_vscnt null, 0x0
	s_barrier
	buffer_gl0_inv
	s_clause 0x8
	scratch_load_b128 v[2:5], off, off offset:528
	scratch_load_b128 v[6:9], off, off offset:544
	;; [unrolled: 1-line block ×9, first 2 shown]
	ds_load_b128 v[38:41], v1 offset:1344
	ds_load_b128 v[42:45], v1 offset:1360
	s_clause 0x1
	scratch_load_b128 v[154:157], off, off offset:512
	scratch_load_b128 v[158:161], off, off offset:672
	s_mov_b32 s2, exec_lo
	s_waitcnt vmcnt(10) lgkmcnt(1)
	v_mul_f64 v[162:163], v[40:41], v[4:5]
	v_mul_f64 v[4:5], v[38:39], v[4:5]
	s_waitcnt vmcnt(9) lgkmcnt(0)
	v_mul_f64 v[212:213], v[42:43], v[8:9]
	v_mul_f64 v[8:9], v[44:45], v[8:9]
	s_delay_alu instid0(VALU_DEP_4) | instskip(NEXT) | instid1(VALU_DEP_4)
	v_fma_f64 v[214:215], v[38:39], v[2:3], -v[162:163]
	v_fma_f64 v[216:217], v[40:41], v[2:3], v[4:5]
	ds_load_b128 v[2:5], v1 offset:1376
	ds_load_b128 v[162:165], v1 offset:1392
	scratch_load_b128 v[38:41], off, off offset:688
	v_fma_f64 v[44:45], v[44:45], v[6:7], v[212:213]
	v_fma_f64 v[42:43], v[42:43], v[6:7], -v[8:9]
	scratch_load_b128 v[6:9], off, off offset:704
	s_waitcnt vmcnt(10) lgkmcnt(1)
	v_mul_f64 v[218:219], v[2:3], v[12:13]
	v_mul_f64 v[12:13], v[4:5], v[12:13]
	v_add_f64 v[212:213], v[214:215], 0
	v_add_f64 v[214:215], v[216:217], 0
	s_waitcnt vmcnt(9) lgkmcnt(0)
	v_mul_f64 v[216:217], v[162:163], v[16:17]
	v_mul_f64 v[16:17], v[164:165], v[16:17]
	v_fma_f64 v[218:219], v[4:5], v[10:11], v[218:219]
	v_fma_f64 v[220:221], v[2:3], v[10:11], -v[12:13]
	ds_load_b128 v[2:5], v1 offset:1408
	scratch_load_b128 v[10:13], off, off offset:720
	v_add_f64 v[212:213], v[212:213], v[42:43]
	v_add_f64 v[214:215], v[214:215], v[44:45]
	ds_load_b128 v[42:45], v1 offset:1424
	v_fma_f64 v[164:165], v[164:165], v[14:15], v[216:217]
	v_fma_f64 v[162:163], v[162:163], v[14:15], -v[16:17]
	scratch_load_b128 v[14:17], off, off offset:736
	s_waitcnt vmcnt(10) lgkmcnt(1)
	v_mul_f64 v[222:223], v[2:3], v[20:21]
	v_mul_f64 v[20:21], v[4:5], v[20:21]
	s_waitcnt vmcnt(9) lgkmcnt(0)
	v_mul_f64 v[216:217], v[42:43], v[24:25]
	v_mul_f64 v[24:25], v[44:45], v[24:25]
	v_add_f64 v[212:213], v[212:213], v[220:221]
	v_add_f64 v[214:215], v[214:215], v[218:219]
	v_fma_f64 v[218:219], v[4:5], v[18:19], v[222:223]
	v_fma_f64 v[220:221], v[2:3], v[18:19], -v[20:21]
	ds_load_b128 v[2:5], v1 offset:1440
	scratch_load_b128 v[18:21], off, off offset:752
	v_fma_f64 v[44:45], v[44:45], v[22:23], v[216:217]
	v_fma_f64 v[42:43], v[42:43], v[22:23], -v[24:25]
	scratch_load_b128 v[22:25], off, off offset:768
	v_add_f64 v[212:213], v[212:213], v[162:163]
	v_add_f64 v[214:215], v[214:215], v[164:165]
	ds_load_b128 v[162:165], v1 offset:1456
	s_waitcnt vmcnt(10) lgkmcnt(1)
	v_mul_f64 v[222:223], v[2:3], v[28:29]
	v_mul_f64 v[28:29], v[4:5], v[28:29]
	s_waitcnt vmcnt(9) lgkmcnt(0)
	v_mul_f64 v[216:217], v[162:163], v[32:33]
	v_mul_f64 v[32:33], v[164:165], v[32:33]
	v_add_f64 v[212:213], v[212:213], v[220:221]
	v_add_f64 v[214:215], v[214:215], v[218:219]
	v_fma_f64 v[218:219], v[4:5], v[26:27], v[222:223]
	v_fma_f64 v[220:221], v[2:3], v[26:27], -v[28:29]
	ds_load_b128 v[2:5], v1 offset:1472
	scratch_load_b128 v[26:29], off, off offset:784
	v_fma_f64 v[164:165], v[164:165], v[30:31], v[216:217]
	v_fma_f64 v[162:163], v[162:163], v[30:31], -v[32:33]
	scratch_load_b128 v[30:33], off, off offset:800
	v_add_f64 v[212:213], v[212:213], v[42:43]
	v_add_f64 v[214:215], v[214:215], v[44:45]
	ds_load_b128 v[42:45], v1 offset:1488
	s_waitcnt vmcnt(10) lgkmcnt(1)
	v_mul_f64 v[222:223], v[2:3], v[36:37]
	v_mul_f64 v[36:37], v[4:5], v[36:37]
	s_waitcnt vmcnt(8) lgkmcnt(0)
	v_mul_f64 v[216:217], v[42:43], v[160:161]
	v_mul_f64 v[160:161], v[44:45], v[160:161]
	v_add_f64 v[212:213], v[212:213], v[220:221]
	v_add_f64 v[214:215], v[214:215], v[218:219]
	v_fma_f64 v[218:219], v[4:5], v[34:35], v[222:223]
	v_fma_f64 v[220:221], v[2:3], v[34:35], -v[36:37]
	ds_load_b128 v[2:5], v1 offset:1504
	ds_load_b128 v[34:37], v1 offset:1520
	v_fma_f64 v[44:45], v[44:45], v[158:159], v[216:217]
	v_fma_f64 v[42:43], v[42:43], v[158:159], -v[160:161]
	v_add_f64 v[162:163], v[212:213], v[162:163]
	v_add_f64 v[164:165], v[214:215], v[164:165]
	s_waitcnt vmcnt(7) lgkmcnt(1)
	v_mul_f64 v[212:213], v[2:3], v[40:41]
	v_mul_f64 v[40:41], v[4:5], v[40:41]
	s_delay_alu instid0(VALU_DEP_4) | instskip(NEXT) | instid1(VALU_DEP_4)
	v_add_f64 v[158:159], v[162:163], v[220:221]
	v_add_f64 v[160:161], v[164:165], v[218:219]
	s_waitcnt vmcnt(6) lgkmcnt(0)
	v_mul_f64 v[162:163], v[34:35], v[8:9]
	v_mul_f64 v[8:9], v[36:37], v[8:9]
	v_fma_f64 v[164:165], v[4:5], v[38:39], v[212:213]
	v_fma_f64 v[212:213], v[2:3], v[38:39], -v[40:41]
	ds_load_b128 v[2:5], v1 offset:1536
	ds_load_b128 v[38:41], v1 offset:1552
	v_add_f64 v[42:43], v[158:159], v[42:43]
	v_add_f64 v[44:45], v[160:161], v[44:45]
	v_fma_f64 v[36:37], v[36:37], v[6:7], v[162:163]
	s_waitcnt vmcnt(5) lgkmcnt(1)
	v_mul_f64 v[158:159], v[2:3], v[12:13]
	v_mul_f64 v[12:13], v[4:5], v[12:13]
	v_fma_f64 v[6:7], v[34:35], v[6:7], -v[8:9]
	v_add_f64 v[8:9], v[42:43], v[212:213]
	v_add_f64 v[34:35], v[44:45], v[164:165]
	s_waitcnt vmcnt(4) lgkmcnt(0)
	v_mul_f64 v[42:43], v[38:39], v[16:17]
	v_mul_f64 v[16:17], v[40:41], v[16:17]
	v_fma_f64 v[44:45], v[4:5], v[10:11], v[158:159]
	v_fma_f64 v[10:11], v[2:3], v[10:11], -v[12:13]
	v_add_f64 v[12:13], v[8:9], v[6:7]
	v_add_f64 v[34:35], v[34:35], v[36:37]
	ds_load_b128 v[2:5], v1 offset:1568
	ds_load_b128 v[6:9], v1 offset:1584
	v_fma_f64 v[40:41], v[40:41], v[14:15], v[42:43]
	v_fma_f64 v[14:15], v[38:39], v[14:15], -v[16:17]
	s_waitcnt vmcnt(3) lgkmcnt(1)
	v_mul_f64 v[36:37], v[2:3], v[20:21]
	v_mul_f64 v[20:21], v[4:5], v[20:21]
	s_waitcnt vmcnt(2) lgkmcnt(0)
	v_mul_f64 v[16:17], v[6:7], v[24:25]
	v_mul_f64 v[24:25], v[8:9], v[24:25]
	v_add_f64 v[10:11], v[12:13], v[10:11]
	v_add_f64 v[12:13], v[34:35], v[44:45]
	v_fma_f64 v[34:35], v[4:5], v[18:19], v[36:37]
	v_fma_f64 v[18:19], v[2:3], v[18:19], -v[20:21]
	v_fma_f64 v[8:9], v[8:9], v[22:23], v[16:17]
	v_fma_f64 v[6:7], v[6:7], v[22:23], -v[24:25]
	v_add_f64 v[14:15], v[10:11], v[14:15]
	v_add_f64 v[20:21], v[12:13], v[40:41]
	ds_load_b128 v[2:5], v1 offset:1600
	ds_load_b128 v[10:13], v1 offset:1616
	s_waitcnt vmcnt(1) lgkmcnt(1)
	v_mul_f64 v[36:37], v[2:3], v[28:29]
	v_mul_f64 v[28:29], v[4:5], v[28:29]
	v_add_f64 v[14:15], v[14:15], v[18:19]
	v_add_f64 v[16:17], v[20:21], v[34:35]
	s_waitcnt vmcnt(0) lgkmcnt(0)
	v_mul_f64 v[18:19], v[10:11], v[32:33]
	v_mul_f64 v[20:21], v[12:13], v[32:33]
	v_fma_f64 v[4:5], v[4:5], v[26:27], v[36:37]
	v_fma_f64 v[1:2], v[2:3], v[26:27], -v[28:29]
	v_add_f64 v[6:7], v[14:15], v[6:7]
	v_add_f64 v[8:9], v[16:17], v[8:9]
	v_fma_f64 v[12:13], v[12:13], v[30:31], v[18:19]
	v_fma_f64 v[10:11], v[10:11], v[30:31], -v[20:21]
	s_delay_alu instid0(VALU_DEP_4) | instskip(NEXT) | instid1(VALU_DEP_4)
	v_add_f64 v[1:2], v[6:7], v[1:2]
	v_add_f64 v[3:4], v[8:9], v[4:5]
	s_delay_alu instid0(VALU_DEP_2) | instskip(NEXT) | instid1(VALU_DEP_2)
	v_add_f64 v[1:2], v[1:2], v[10:11]
	v_add_f64 v[3:4], v[3:4], v[12:13]
	s_delay_alu instid0(VALU_DEP_2) | instskip(NEXT) | instid1(VALU_DEP_2)
	v_add_f64 v[1:2], v[154:155], -v[1:2]
	v_add_f64 v[3:4], v[156:157], -v[3:4]
	scratch_store_b128 off, v[1:4], off offset:512
	v_cmpx_lt_u32_e32 31, v148
	s_cbranch_execz .LBB50_257
; %bb.256:
	scratch_load_b128 v[1:4], v210, off
	v_mov_b32_e32 v5, 0
	s_delay_alu instid0(VALU_DEP_1)
	v_mov_b32_e32 v6, v5
	v_mov_b32_e32 v7, v5
	;; [unrolled: 1-line block ×3, first 2 shown]
	scratch_store_b128 off, v[5:8], off offset:496
	s_waitcnt vmcnt(0)
	ds_store_b128 v199, v[1:4]
.LBB50_257:
	s_or_b32 exec_lo, exec_lo, s2
	s_waitcnt lgkmcnt(0)
	s_waitcnt_vscnt null, 0x0
	s_barrier
	buffer_gl0_inv
	s_clause 0x7
	scratch_load_b128 v[2:5], off, off offset:512
	scratch_load_b128 v[6:9], off, off offset:528
	;; [unrolled: 1-line block ×8, first 2 shown]
	v_mov_b32_e32 v1, 0
	s_mov_b32 s2, exec_lo
	ds_load_b128 v[34:37], v1 offset:1328
	s_clause 0x1
	scratch_load_b128 v[38:41], off, off offset:640
	scratch_load_b128 v[42:45], off, off offset:496
	ds_load_b128 v[154:157], v1 offset:1344
	scratch_load_b128 v[158:161], off, off offset:656
	s_waitcnt vmcnt(10) lgkmcnt(1)
	v_mul_f64 v[162:163], v[36:37], v[4:5]
	v_mul_f64 v[4:5], v[34:35], v[4:5]
	s_delay_alu instid0(VALU_DEP_2) | instskip(NEXT) | instid1(VALU_DEP_2)
	v_fma_f64 v[214:215], v[34:35], v[2:3], -v[162:163]
	v_fma_f64 v[216:217], v[36:37], v[2:3], v[4:5]
	scratch_load_b128 v[34:37], off, off offset:672
	ds_load_b128 v[2:5], v1 offset:1360
	s_waitcnt vmcnt(10) lgkmcnt(1)
	v_mul_f64 v[212:213], v[154:155], v[8:9]
	v_mul_f64 v[8:9], v[156:157], v[8:9]
	ds_load_b128 v[162:165], v1 offset:1376
	s_waitcnt vmcnt(9) lgkmcnt(1)
	v_mul_f64 v[218:219], v[2:3], v[12:13]
	v_mul_f64 v[12:13], v[4:5], v[12:13]
	v_fma_f64 v[156:157], v[156:157], v[6:7], v[212:213]
	v_fma_f64 v[154:155], v[154:155], v[6:7], -v[8:9]
	v_add_f64 v[212:213], v[214:215], 0
	v_add_f64 v[214:215], v[216:217], 0
	scratch_load_b128 v[6:9], off, off offset:688
	v_fma_f64 v[218:219], v[4:5], v[10:11], v[218:219]
	v_fma_f64 v[220:221], v[2:3], v[10:11], -v[12:13]
	scratch_load_b128 v[10:13], off, off offset:704
	ds_load_b128 v[2:5], v1 offset:1392
	s_waitcnt vmcnt(10) lgkmcnt(1)
	v_mul_f64 v[216:217], v[162:163], v[16:17]
	v_mul_f64 v[16:17], v[164:165], v[16:17]
	v_add_f64 v[212:213], v[212:213], v[154:155]
	v_add_f64 v[214:215], v[214:215], v[156:157]
	s_waitcnt vmcnt(9) lgkmcnt(0)
	v_mul_f64 v[222:223], v[2:3], v[20:21]
	v_mul_f64 v[20:21], v[4:5], v[20:21]
	ds_load_b128 v[154:157], v1 offset:1408
	v_fma_f64 v[164:165], v[164:165], v[14:15], v[216:217]
	v_fma_f64 v[162:163], v[162:163], v[14:15], -v[16:17]
	scratch_load_b128 v[14:17], off, off offset:720
	v_add_f64 v[212:213], v[212:213], v[220:221]
	v_add_f64 v[214:215], v[214:215], v[218:219]
	v_fma_f64 v[218:219], v[4:5], v[18:19], v[222:223]
	v_fma_f64 v[220:221], v[2:3], v[18:19], -v[20:21]
	scratch_load_b128 v[18:21], off, off offset:736
	ds_load_b128 v[2:5], v1 offset:1424
	s_waitcnt vmcnt(10) lgkmcnt(1)
	v_mul_f64 v[216:217], v[154:155], v[24:25]
	v_mul_f64 v[24:25], v[156:157], v[24:25]
	s_waitcnt vmcnt(9) lgkmcnt(0)
	v_mul_f64 v[222:223], v[2:3], v[28:29]
	v_mul_f64 v[28:29], v[4:5], v[28:29]
	v_add_f64 v[212:213], v[212:213], v[162:163]
	v_add_f64 v[214:215], v[214:215], v[164:165]
	ds_load_b128 v[162:165], v1 offset:1440
	v_fma_f64 v[156:157], v[156:157], v[22:23], v[216:217]
	v_fma_f64 v[154:155], v[154:155], v[22:23], -v[24:25]
	scratch_load_b128 v[22:25], off, off offset:752
	v_add_f64 v[212:213], v[212:213], v[220:221]
	v_add_f64 v[214:215], v[214:215], v[218:219]
	v_fma_f64 v[218:219], v[4:5], v[26:27], v[222:223]
	v_fma_f64 v[220:221], v[2:3], v[26:27], -v[28:29]
	scratch_load_b128 v[26:29], off, off offset:768
	ds_load_b128 v[2:5], v1 offset:1456
	s_waitcnt vmcnt(10) lgkmcnt(1)
	v_mul_f64 v[216:217], v[162:163], v[32:33]
	v_mul_f64 v[32:33], v[164:165], v[32:33]
	s_waitcnt vmcnt(9) lgkmcnt(0)
	v_mul_f64 v[222:223], v[2:3], v[40:41]
	v_mul_f64 v[40:41], v[4:5], v[40:41]
	v_add_f64 v[212:213], v[212:213], v[154:155]
	v_add_f64 v[214:215], v[214:215], v[156:157]
	ds_load_b128 v[154:157], v1 offset:1472
	v_fma_f64 v[164:165], v[164:165], v[30:31], v[216:217]
	v_fma_f64 v[162:163], v[162:163], v[30:31], -v[32:33]
	scratch_load_b128 v[30:33], off, off offset:784
	v_add_f64 v[212:213], v[212:213], v[220:221]
	v_add_f64 v[214:215], v[214:215], v[218:219]
	v_fma_f64 v[220:221], v[4:5], v[38:39], v[222:223]
	v_fma_f64 v[222:223], v[2:3], v[38:39], -v[40:41]
	scratch_load_b128 v[38:41], off, off offset:800
	ds_load_b128 v[2:5], v1 offset:1488
	s_waitcnt vmcnt(9) lgkmcnt(1)
	v_mul_f64 v[216:217], v[154:155], v[160:161]
	v_mul_f64 v[218:219], v[156:157], v[160:161]
	v_add_f64 v[212:213], v[212:213], v[162:163]
	v_add_f64 v[164:165], v[214:215], v[164:165]
	ds_load_b128 v[160:163], v1 offset:1504
	v_fma_f64 v[156:157], v[156:157], v[158:159], v[216:217]
	v_fma_f64 v[154:155], v[154:155], v[158:159], -v[218:219]
	s_waitcnt vmcnt(8) lgkmcnt(1)
	v_mul_f64 v[214:215], v[2:3], v[36:37]
	v_mul_f64 v[36:37], v[4:5], v[36:37]
	v_add_f64 v[158:159], v[212:213], v[222:223]
	v_add_f64 v[164:165], v[164:165], v[220:221]
	s_delay_alu instid0(VALU_DEP_4) | instskip(NEXT) | instid1(VALU_DEP_4)
	v_fma_f64 v[214:215], v[4:5], v[34:35], v[214:215]
	v_fma_f64 v[216:217], v[2:3], v[34:35], -v[36:37]
	ds_load_b128 v[2:5], v1 offset:1520
	ds_load_b128 v[34:37], v1 offset:1536
	s_waitcnt vmcnt(7) lgkmcnt(2)
	v_mul_f64 v[212:213], v[160:161], v[8:9]
	v_mul_f64 v[8:9], v[162:163], v[8:9]
	v_add_f64 v[154:155], v[158:159], v[154:155]
	v_add_f64 v[156:157], v[164:165], v[156:157]
	s_waitcnt vmcnt(6) lgkmcnt(1)
	v_mul_f64 v[158:159], v[2:3], v[12:13]
	v_mul_f64 v[12:13], v[4:5], v[12:13]
	v_fma_f64 v[162:163], v[162:163], v[6:7], v[212:213]
	v_fma_f64 v[6:7], v[160:161], v[6:7], -v[8:9]
	v_add_f64 v[8:9], v[154:155], v[216:217]
	v_add_f64 v[154:155], v[156:157], v[214:215]
	s_waitcnt vmcnt(5) lgkmcnt(0)
	v_mul_f64 v[156:157], v[34:35], v[16:17]
	v_mul_f64 v[16:17], v[36:37], v[16:17]
	v_fma_f64 v[158:159], v[4:5], v[10:11], v[158:159]
	v_fma_f64 v[10:11], v[2:3], v[10:11], -v[12:13]
	v_add_f64 v[12:13], v[8:9], v[6:7]
	v_add_f64 v[154:155], v[154:155], v[162:163]
	ds_load_b128 v[2:5], v1 offset:1552
	ds_load_b128 v[6:9], v1 offset:1568
	v_fma_f64 v[36:37], v[36:37], v[14:15], v[156:157]
	v_fma_f64 v[14:15], v[34:35], v[14:15], -v[16:17]
	s_waitcnt vmcnt(4) lgkmcnt(1)
	v_mul_f64 v[160:161], v[2:3], v[20:21]
	v_mul_f64 v[20:21], v[4:5], v[20:21]
	s_waitcnt vmcnt(3) lgkmcnt(0)
	v_mul_f64 v[16:17], v[6:7], v[24:25]
	v_mul_f64 v[24:25], v[8:9], v[24:25]
	v_add_f64 v[10:11], v[12:13], v[10:11]
	v_add_f64 v[12:13], v[154:155], v[158:159]
	v_fma_f64 v[34:35], v[4:5], v[18:19], v[160:161]
	v_fma_f64 v[18:19], v[2:3], v[18:19], -v[20:21]
	v_fma_f64 v[8:9], v[8:9], v[22:23], v[16:17]
	v_fma_f64 v[6:7], v[6:7], v[22:23], -v[24:25]
	v_add_f64 v[14:15], v[10:11], v[14:15]
	v_add_f64 v[20:21], v[12:13], v[36:37]
	ds_load_b128 v[2:5], v1 offset:1584
	ds_load_b128 v[10:13], v1 offset:1600
	s_waitcnt vmcnt(2) lgkmcnt(1)
	v_mul_f64 v[36:37], v[2:3], v[28:29]
	v_mul_f64 v[28:29], v[4:5], v[28:29]
	v_add_f64 v[14:15], v[14:15], v[18:19]
	v_add_f64 v[16:17], v[20:21], v[34:35]
	s_waitcnt vmcnt(1) lgkmcnt(0)
	v_mul_f64 v[18:19], v[10:11], v[32:33]
	v_mul_f64 v[20:21], v[12:13], v[32:33]
	v_fma_f64 v[22:23], v[4:5], v[26:27], v[36:37]
	v_fma_f64 v[24:25], v[2:3], v[26:27], -v[28:29]
	ds_load_b128 v[2:5], v1 offset:1616
	v_add_f64 v[6:7], v[14:15], v[6:7]
	v_add_f64 v[8:9], v[16:17], v[8:9]
	v_fma_f64 v[12:13], v[12:13], v[30:31], v[18:19]
	v_fma_f64 v[10:11], v[10:11], v[30:31], -v[20:21]
	s_waitcnt vmcnt(0) lgkmcnt(0)
	v_mul_f64 v[14:15], v[2:3], v[40:41]
	v_mul_f64 v[16:17], v[4:5], v[40:41]
	v_add_f64 v[6:7], v[6:7], v[24:25]
	v_add_f64 v[8:9], v[8:9], v[22:23]
	s_delay_alu instid0(VALU_DEP_4) | instskip(NEXT) | instid1(VALU_DEP_4)
	v_fma_f64 v[4:5], v[4:5], v[38:39], v[14:15]
	v_fma_f64 v[2:3], v[2:3], v[38:39], -v[16:17]
	s_delay_alu instid0(VALU_DEP_4) | instskip(NEXT) | instid1(VALU_DEP_4)
	v_add_f64 v[6:7], v[6:7], v[10:11]
	v_add_f64 v[8:9], v[8:9], v[12:13]
	s_delay_alu instid0(VALU_DEP_2) | instskip(NEXT) | instid1(VALU_DEP_2)
	v_add_f64 v[2:3], v[6:7], v[2:3]
	v_add_f64 v[4:5], v[8:9], v[4:5]
	s_delay_alu instid0(VALU_DEP_2) | instskip(NEXT) | instid1(VALU_DEP_2)
	v_add_f64 v[2:3], v[42:43], -v[2:3]
	v_add_f64 v[4:5], v[44:45], -v[4:5]
	scratch_store_b128 off, v[2:5], off offset:496
	v_cmpx_lt_u32_e32 30, v148
	s_cbranch_execz .LBB50_259
; %bb.258:
	scratch_load_b128 v[5:8], v211, off
	v_mov_b32_e32 v2, v1
	v_mov_b32_e32 v3, v1
	;; [unrolled: 1-line block ×3, first 2 shown]
	scratch_store_b128 off, v[1:4], off offset:480
	s_waitcnt vmcnt(0)
	ds_store_b128 v199, v[5:8]
.LBB50_259:
	s_or_b32 exec_lo, exec_lo, s2
	s_waitcnt lgkmcnt(0)
	s_waitcnt_vscnt null, 0x0
	s_barrier
	buffer_gl0_inv
	s_clause 0x8
	scratch_load_b128 v[2:5], off, off offset:496
	scratch_load_b128 v[6:9], off, off offset:512
	;; [unrolled: 1-line block ×9, first 2 shown]
	ds_load_b128 v[38:41], v1 offset:1312
	ds_load_b128 v[42:45], v1 offset:1328
	s_clause 0x1
	scratch_load_b128 v[154:157], off, off offset:480
	scratch_load_b128 v[158:161], off, off offset:640
	s_mov_b32 s2, exec_lo
	s_waitcnt vmcnt(10) lgkmcnt(1)
	v_mul_f64 v[162:163], v[40:41], v[4:5]
	v_mul_f64 v[4:5], v[38:39], v[4:5]
	s_waitcnt vmcnt(9) lgkmcnt(0)
	v_mul_f64 v[212:213], v[42:43], v[8:9]
	v_mul_f64 v[8:9], v[44:45], v[8:9]
	s_delay_alu instid0(VALU_DEP_4) | instskip(NEXT) | instid1(VALU_DEP_4)
	v_fma_f64 v[214:215], v[38:39], v[2:3], -v[162:163]
	v_fma_f64 v[216:217], v[40:41], v[2:3], v[4:5]
	ds_load_b128 v[2:5], v1 offset:1344
	ds_load_b128 v[162:165], v1 offset:1360
	scratch_load_b128 v[38:41], off, off offset:656
	v_fma_f64 v[44:45], v[44:45], v[6:7], v[212:213]
	v_fma_f64 v[42:43], v[42:43], v[6:7], -v[8:9]
	scratch_load_b128 v[6:9], off, off offset:672
	s_waitcnt vmcnt(10) lgkmcnt(1)
	v_mul_f64 v[218:219], v[2:3], v[12:13]
	v_mul_f64 v[12:13], v[4:5], v[12:13]
	v_add_f64 v[212:213], v[214:215], 0
	v_add_f64 v[214:215], v[216:217], 0
	s_waitcnt vmcnt(9) lgkmcnt(0)
	v_mul_f64 v[216:217], v[162:163], v[16:17]
	v_mul_f64 v[16:17], v[164:165], v[16:17]
	v_fma_f64 v[218:219], v[4:5], v[10:11], v[218:219]
	v_fma_f64 v[220:221], v[2:3], v[10:11], -v[12:13]
	ds_load_b128 v[2:5], v1 offset:1376
	scratch_load_b128 v[10:13], off, off offset:688
	v_add_f64 v[212:213], v[212:213], v[42:43]
	v_add_f64 v[214:215], v[214:215], v[44:45]
	ds_load_b128 v[42:45], v1 offset:1392
	v_fma_f64 v[164:165], v[164:165], v[14:15], v[216:217]
	v_fma_f64 v[162:163], v[162:163], v[14:15], -v[16:17]
	scratch_load_b128 v[14:17], off, off offset:704
	s_waitcnt vmcnt(10) lgkmcnt(1)
	v_mul_f64 v[222:223], v[2:3], v[20:21]
	v_mul_f64 v[20:21], v[4:5], v[20:21]
	s_waitcnt vmcnt(9) lgkmcnt(0)
	v_mul_f64 v[216:217], v[42:43], v[24:25]
	v_mul_f64 v[24:25], v[44:45], v[24:25]
	v_add_f64 v[212:213], v[212:213], v[220:221]
	v_add_f64 v[214:215], v[214:215], v[218:219]
	v_fma_f64 v[218:219], v[4:5], v[18:19], v[222:223]
	v_fma_f64 v[220:221], v[2:3], v[18:19], -v[20:21]
	ds_load_b128 v[2:5], v1 offset:1408
	scratch_load_b128 v[18:21], off, off offset:720
	v_fma_f64 v[44:45], v[44:45], v[22:23], v[216:217]
	v_fma_f64 v[42:43], v[42:43], v[22:23], -v[24:25]
	scratch_load_b128 v[22:25], off, off offset:736
	v_add_f64 v[212:213], v[212:213], v[162:163]
	v_add_f64 v[214:215], v[214:215], v[164:165]
	ds_load_b128 v[162:165], v1 offset:1424
	s_waitcnt vmcnt(10) lgkmcnt(1)
	v_mul_f64 v[222:223], v[2:3], v[28:29]
	v_mul_f64 v[28:29], v[4:5], v[28:29]
	s_waitcnt vmcnt(9) lgkmcnt(0)
	v_mul_f64 v[216:217], v[162:163], v[32:33]
	v_mul_f64 v[32:33], v[164:165], v[32:33]
	v_add_f64 v[212:213], v[212:213], v[220:221]
	v_add_f64 v[214:215], v[214:215], v[218:219]
	v_fma_f64 v[218:219], v[4:5], v[26:27], v[222:223]
	v_fma_f64 v[220:221], v[2:3], v[26:27], -v[28:29]
	ds_load_b128 v[2:5], v1 offset:1440
	scratch_load_b128 v[26:29], off, off offset:752
	v_fma_f64 v[164:165], v[164:165], v[30:31], v[216:217]
	v_fma_f64 v[162:163], v[162:163], v[30:31], -v[32:33]
	scratch_load_b128 v[30:33], off, off offset:768
	v_add_f64 v[212:213], v[212:213], v[42:43]
	v_add_f64 v[214:215], v[214:215], v[44:45]
	ds_load_b128 v[42:45], v1 offset:1456
	s_waitcnt vmcnt(10) lgkmcnt(1)
	v_mul_f64 v[222:223], v[2:3], v[36:37]
	v_mul_f64 v[36:37], v[4:5], v[36:37]
	s_waitcnt vmcnt(8) lgkmcnt(0)
	v_mul_f64 v[216:217], v[42:43], v[160:161]
	v_add_f64 v[212:213], v[212:213], v[220:221]
	v_add_f64 v[214:215], v[214:215], v[218:219]
	v_mul_f64 v[218:219], v[44:45], v[160:161]
	v_fma_f64 v[220:221], v[4:5], v[34:35], v[222:223]
	v_fma_f64 v[222:223], v[2:3], v[34:35], -v[36:37]
	ds_load_b128 v[2:5], v1 offset:1472
	scratch_load_b128 v[34:37], off, off offset:784
	v_fma_f64 v[44:45], v[44:45], v[158:159], v[216:217]
	v_add_f64 v[212:213], v[212:213], v[162:163]
	v_add_f64 v[164:165], v[214:215], v[164:165]
	ds_load_b128 v[160:163], v1 offset:1488
	v_fma_f64 v[158:159], v[42:43], v[158:159], -v[218:219]
	s_waitcnt vmcnt(8) lgkmcnt(1)
	v_mul_f64 v[214:215], v[2:3], v[40:41]
	v_mul_f64 v[224:225], v[4:5], v[40:41]
	scratch_load_b128 v[40:43], off, off offset:800
	s_waitcnt vmcnt(8) lgkmcnt(0)
	v_mul_f64 v[216:217], v[160:161], v[8:9]
	v_mul_f64 v[8:9], v[162:163], v[8:9]
	v_add_f64 v[212:213], v[212:213], v[222:223]
	v_add_f64 v[164:165], v[164:165], v[220:221]
	v_fma_f64 v[218:219], v[4:5], v[38:39], v[214:215]
	v_fma_f64 v[38:39], v[2:3], v[38:39], -v[224:225]
	v_fma_f64 v[162:163], v[162:163], v[6:7], v[216:217]
	v_fma_f64 v[6:7], v[160:161], v[6:7], -v[8:9]
	v_add_f64 v[158:159], v[212:213], v[158:159]
	v_add_f64 v[44:45], v[164:165], v[44:45]
	ds_load_b128 v[2:5], v1 offset:1504
	ds_load_b128 v[212:215], v1 offset:1520
	s_waitcnt vmcnt(7) lgkmcnt(1)
	v_mul_f64 v[164:165], v[2:3], v[12:13]
	v_mul_f64 v[12:13], v[4:5], v[12:13]
	v_add_f64 v[8:9], v[158:159], v[38:39]
	v_add_f64 v[38:39], v[44:45], v[218:219]
	s_waitcnt vmcnt(6) lgkmcnt(0)
	v_mul_f64 v[44:45], v[212:213], v[16:17]
	v_mul_f64 v[16:17], v[214:215], v[16:17]
	v_fma_f64 v[158:159], v[4:5], v[10:11], v[164:165]
	v_fma_f64 v[10:11], v[2:3], v[10:11], -v[12:13]
	v_add_f64 v[12:13], v[8:9], v[6:7]
	v_add_f64 v[38:39], v[38:39], v[162:163]
	ds_load_b128 v[2:5], v1 offset:1536
	ds_load_b128 v[6:9], v1 offset:1552
	v_fma_f64 v[44:45], v[214:215], v[14:15], v[44:45]
	v_fma_f64 v[14:15], v[212:213], v[14:15], -v[16:17]
	s_waitcnt vmcnt(5) lgkmcnt(1)
	v_mul_f64 v[160:161], v[2:3], v[20:21]
	v_mul_f64 v[20:21], v[4:5], v[20:21]
	s_waitcnt vmcnt(4) lgkmcnt(0)
	v_mul_f64 v[16:17], v[6:7], v[24:25]
	v_mul_f64 v[24:25], v[8:9], v[24:25]
	v_add_f64 v[10:11], v[12:13], v[10:11]
	v_add_f64 v[12:13], v[38:39], v[158:159]
	v_fma_f64 v[38:39], v[4:5], v[18:19], v[160:161]
	v_fma_f64 v[18:19], v[2:3], v[18:19], -v[20:21]
	v_fma_f64 v[8:9], v[8:9], v[22:23], v[16:17]
	v_fma_f64 v[6:7], v[6:7], v[22:23], -v[24:25]
	v_add_f64 v[14:15], v[10:11], v[14:15]
	v_add_f64 v[20:21], v[12:13], v[44:45]
	ds_load_b128 v[2:5], v1 offset:1568
	ds_load_b128 v[10:13], v1 offset:1584
	s_waitcnt vmcnt(3) lgkmcnt(1)
	v_mul_f64 v[44:45], v[2:3], v[28:29]
	v_mul_f64 v[28:29], v[4:5], v[28:29]
	v_add_f64 v[14:15], v[14:15], v[18:19]
	v_add_f64 v[16:17], v[20:21], v[38:39]
	s_waitcnt vmcnt(2) lgkmcnt(0)
	v_mul_f64 v[18:19], v[10:11], v[32:33]
	v_mul_f64 v[20:21], v[12:13], v[32:33]
	v_fma_f64 v[22:23], v[4:5], v[26:27], v[44:45]
	v_fma_f64 v[24:25], v[2:3], v[26:27], -v[28:29]
	v_add_f64 v[14:15], v[14:15], v[6:7]
	v_add_f64 v[16:17], v[16:17], v[8:9]
	ds_load_b128 v[2:5], v1 offset:1600
	ds_load_b128 v[6:9], v1 offset:1616
	v_fma_f64 v[12:13], v[12:13], v[30:31], v[18:19]
	v_fma_f64 v[10:11], v[10:11], v[30:31], -v[20:21]
	s_waitcnt vmcnt(1) lgkmcnt(1)
	v_mul_f64 v[26:27], v[2:3], v[36:37]
	v_mul_f64 v[28:29], v[4:5], v[36:37]
	s_waitcnt vmcnt(0) lgkmcnt(0)
	v_mul_f64 v[18:19], v[6:7], v[42:43]
	v_add_f64 v[14:15], v[14:15], v[24:25]
	v_add_f64 v[16:17], v[16:17], v[22:23]
	v_mul_f64 v[20:21], v[8:9], v[42:43]
	v_fma_f64 v[4:5], v[4:5], v[34:35], v[26:27]
	v_fma_f64 v[1:2], v[2:3], v[34:35], -v[28:29]
	v_fma_f64 v[8:9], v[8:9], v[40:41], v[18:19]
	v_add_f64 v[10:11], v[14:15], v[10:11]
	v_add_f64 v[12:13], v[16:17], v[12:13]
	v_fma_f64 v[6:7], v[6:7], v[40:41], -v[20:21]
	s_delay_alu instid0(VALU_DEP_3) | instskip(NEXT) | instid1(VALU_DEP_3)
	v_add_f64 v[1:2], v[10:11], v[1:2]
	v_add_f64 v[3:4], v[12:13], v[4:5]
	s_delay_alu instid0(VALU_DEP_2) | instskip(NEXT) | instid1(VALU_DEP_2)
	v_add_f64 v[1:2], v[1:2], v[6:7]
	v_add_f64 v[3:4], v[3:4], v[8:9]
	s_delay_alu instid0(VALU_DEP_2) | instskip(NEXT) | instid1(VALU_DEP_2)
	v_add_f64 v[1:2], v[154:155], -v[1:2]
	v_add_f64 v[3:4], v[156:157], -v[3:4]
	scratch_store_b128 off, v[1:4], off offset:480
	v_cmpx_lt_u32_e32 29, v148
	s_cbranch_execz .LBB50_261
; %bb.260:
	scratch_load_b128 v[1:4], v166, off
	v_mov_b32_e32 v5, 0
	s_delay_alu instid0(VALU_DEP_1)
	v_mov_b32_e32 v6, v5
	v_mov_b32_e32 v7, v5
	;; [unrolled: 1-line block ×3, first 2 shown]
	scratch_store_b128 off, v[5:8], off offset:464
	s_waitcnt vmcnt(0)
	ds_store_b128 v199, v[1:4]
.LBB50_261:
	s_or_b32 exec_lo, exec_lo, s2
	s_waitcnt lgkmcnt(0)
	s_waitcnt_vscnt null, 0x0
	s_barrier
	buffer_gl0_inv
	s_clause 0x7
	scratch_load_b128 v[2:5], off, off offset:480
	scratch_load_b128 v[6:9], off, off offset:496
	;; [unrolled: 1-line block ×8, first 2 shown]
	v_mov_b32_e32 v1, 0
	s_mov_b32 s2, exec_lo
	ds_load_b128 v[34:37], v1 offset:1296
	s_clause 0x1
	scratch_load_b128 v[38:41], off, off offset:608
	scratch_load_b128 v[42:45], off, off offset:464
	ds_load_b128 v[154:157], v1 offset:1312
	scratch_load_b128 v[158:161], off, off offset:624
	s_waitcnt vmcnt(10) lgkmcnt(1)
	v_mul_f64 v[162:163], v[36:37], v[4:5]
	v_mul_f64 v[4:5], v[34:35], v[4:5]
	s_delay_alu instid0(VALU_DEP_2) | instskip(NEXT) | instid1(VALU_DEP_2)
	v_fma_f64 v[214:215], v[34:35], v[2:3], -v[162:163]
	v_fma_f64 v[216:217], v[36:37], v[2:3], v[4:5]
	scratch_load_b128 v[34:37], off, off offset:640
	ds_load_b128 v[2:5], v1 offset:1328
	s_waitcnt vmcnt(10) lgkmcnt(1)
	v_mul_f64 v[212:213], v[154:155], v[8:9]
	v_mul_f64 v[8:9], v[156:157], v[8:9]
	ds_load_b128 v[162:165], v1 offset:1344
	s_waitcnt vmcnt(9) lgkmcnt(1)
	v_mul_f64 v[218:219], v[2:3], v[12:13]
	v_mul_f64 v[12:13], v[4:5], v[12:13]
	v_fma_f64 v[156:157], v[156:157], v[6:7], v[212:213]
	v_fma_f64 v[154:155], v[154:155], v[6:7], -v[8:9]
	v_add_f64 v[212:213], v[214:215], 0
	v_add_f64 v[214:215], v[216:217], 0
	scratch_load_b128 v[6:9], off, off offset:656
	v_fma_f64 v[218:219], v[4:5], v[10:11], v[218:219]
	v_fma_f64 v[220:221], v[2:3], v[10:11], -v[12:13]
	scratch_load_b128 v[10:13], off, off offset:672
	ds_load_b128 v[2:5], v1 offset:1360
	s_waitcnt vmcnt(10) lgkmcnt(1)
	v_mul_f64 v[216:217], v[162:163], v[16:17]
	v_mul_f64 v[16:17], v[164:165], v[16:17]
	v_add_f64 v[212:213], v[212:213], v[154:155]
	v_add_f64 v[214:215], v[214:215], v[156:157]
	s_waitcnt vmcnt(9) lgkmcnt(0)
	v_mul_f64 v[222:223], v[2:3], v[20:21]
	v_mul_f64 v[20:21], v[4:5], v[20:21]
	ds_load_b128 v[154:157], v1 offset:1376
	v_fma_f64 v[164:165], v[164:165], v[14:15], v[216:217]
	v_fma_f64 v[162:163], v[162:163], v[14:15], -v[16:17]
	scratch_load_b128 v[14:17], off, off offset:688
	v_add_f64 v[212:213], v[212:213], v[220:221]
	v_add_f64 v[214:215], v[214:215], v[218:219]
	v_fma_f64 v[218:219], v[4:5], v[18:19], v[222:223]
	v_fma_f64 v[220:221], v[2:3], v[18:19], -v[20:21]
	scratch_load_b128 v[18:21], off, off offset:704
	ds_load_b128 v[2:5], v1 offset:1392
	s_waitcnt vmcnt(10) lgkmcnt(1)
	v_mul_f64 v[216:217], v[154:155], v[24:25]
	v_mul_f64 v[24:25], v[156:157], v[24:25]
	s_waitcnt vmcnt(9) lgkmcnt(0)
	v_mul_f64 v[222:223], v[2:3], v[28:29]
	v_mul_f64 v[28:29], v[4:5], v[28:29]
	v_add_f64 v[212:213], v[212:213], v[162:163]
	v_add_f64 v[214:215], v[214:215], v[164:165]
	ds_load_b128 v[162:165], v1 offset:1408
	v_fma_f64 v[156:157], v[156:157], v[22:23], v[216:217]
	v_fma_f64 v[154:155], v[154:155], v[22:23], -v[24:25]
	scratch_load_b128 v[22:25], off, off offset:720
	v_add_f64 v[212:213], v[212:213], v[220:221]
	v_add_f64 v[214:215], v[214:215], v[218:219]
	v_fma_f64 v[218:219], v[4:5], v[26:27], v[222:223]
	v_fma_f64 v[220:221], v[2:3], v[26:27], -v[28:29]
	scratch_load_b128 v[26:29], off, off offset:736
	ds_load_b128 v[2:5], v1 offset:1424
	s_waitcnt vmcnt(10) lgkmcnt(1)
	v_mul_f64 v[216:217], v[162:163], v[32:33]
	v_mul_f64 v[32:33], v[164:165], v[32:33]
	s_waitcnt vmcnt(9) lgkmcnt(0)
	v_mul_f64 v[222:223], v[2:3], v[40:41]
	v_mul_f64 v[40:41], v[4:5], v[40:41]
	v_add_f64 v[212:213], v[212:213], v[154:155]
	v_add_f64 v[214:215], v[214:215], v[156:157]
	ds_load_b128 v[154:157], v1 offset:1440
	v_fma_f64 v[164:165], v[164:165], v[30:31], v[216:217]
	v_fma_f64 v[162:163], v[162:163], v[30:31], -v[32:33]
	scratch_load_b128 v[30:33], off, off offset:752
	v_add_f64 v[212:213], v[212:213], v[220:221]
	v_add_f64 v[214:215], v[214:215], v[218:219]
	v_fma_f64 v[220:221], v[4:5], v[38:39], v[222:223]
	v_fma_f64 v[222:223], v[2:3], v[38:39], -v[40:41]
	scratch_load_b128 v[38:41], off, off offset:768
	ds_load_b128 v[2:5], v1 offset:1456
	s_waitcnt vmcnt(9) lgkmcnt(1)
	v_mul_f64 v[216:217], v[154:155], v[160:161]
	v_mul_f64 v[218:219], v[156:157], v[160:161]
	v_add_f64 v[212:213], v[212:213], v[162:163]
	v_add_f64 v[164:165], v[214:215], v[164:165]
	ds_load_b128 v[160:163], v1 offset:1472
	v_fma_f64 v[216:217], v[156:157], v[158:159], v[216:217]
	v_fma_f64 v[158:159], v[154:155], v[158:159], -v[218:219]
	scratch_load_b128 v[154:157], off, off offset:784
	s_waitcnt vmcnt(9) lgkmcnt(1)
	v_mul_f64 v[214:215], v[2:3], v[36:37]
	v_mul_f64 v[36:37], v[4:5], v[36:37]
	v_add_f64 v[212:213], v[212:213], v[222:223]
	v_add_f64 v[164:165], v[164:165], v[220:221]
	s_delay_alu instid0(VALU_DEP_4) | instskip(NEXT) | instid1(VALU_DEP_4)
	v_fma_f64 v[220:221], v[4:5], v[34:35], v[214:215]
	v_fma_f64 v[222:223], v[2:3], v[34:35], -v[36:37]
	scratch_load_b128 v[34:37], off, off offset:800
	ds_load_b128 v[2:5], v1 offset:1488
	s_waitcnt vmcnt(9) lgkmcnt(1)
	v_mul_f64 v[218:219], v[160:161], v[8:9]
	v_mul_f64 v[8:9], v[162:163], v[8:9]
	v_add_f64 v[158:159], v[212:213], v[158:159]
	v_add_f64 v[164:165], v[164:165], v[216:217]
	s_waitcnt vmcnt(8) lgkmcnt(0)
	v_mul_f64 v[216:217], v[2:3], v[12:13]
	v_mul_f64 v[12:13], v[4:5], v[12:13]
	ds_load_b128 v[212:215], v1 offset:1504
	v_fma_f64 v[162:163], v[162:163], v[6:7], v[218:219]
	v_fma_f64 v[6:7], v[160:161], v[6:7], -v[8:9]
	v_add_f64 v[8:9], v[158:159], v[222:223]
	v_add_f64 v[158:159], v[164:165], v[220:221]
	s_waitcnt vmcnt(7) lgkmcnt(0)
	v_mul_f64 v[160:161], v[212:213], v[16:17]
	v_mul_f64 v[16:17], v[214:215], v[16:17]
	v_fma_f64 v[164:165], v[4:5], v[10:11], v[216:217]
	v_fma_f64 v[10:11], v[2:3], v[10:11], -v[12:13]
	v_add_f64 v[12:13], v[8:9], v[6:7]
	v_add_f64 v[158:159], v[158:159], v[162:163]
	ds_load_b128 v[2:5], v1 offset:1520
	ds_load_b128 v[6:9], v1 offset:1536
	v_fma_f64 v[160:161], v[214:215], v[14:15], v[160:161]
	v_fma_f64 v[14:15], v[212:213], v[14:15], -v[16:17]
	s_waitcnt vmcnt(6) lgkmcnt(1)
	v_mul_f64 v[162:163], v[2:3], v[20:21]
	v_mul_f64 v[20:21], v[4:5], v[20:21]
	s_waitcnt vmcnt(5) lgkmcnt(0)
	v_mul_f64 v[16:17], v[6:7], v[24:25]
	v_mul_f64 v[24:25], v[8:9], v[24:25]
	v_add_f64 v[10:11], v[12:13], v[10:11]
	v_add_f64 v[12:13], v[158:159], v[164:165]
	v_fma_f64 v[158:159], v[4:5], v[18:19], v[162:163]
	v_fma_f64 v[18:19], v[2:3], v[18:19], -v[20:21]
	v_fma_f64 v[8:9], v[8:9], v[22:23], v[16:17]
	v_fma_f64 v[6:7], v[6:7], v[22:23], -v[24:25]
	v_add_f64 v[14:15], v[10:11], v[14:15]
	v_add_f64 v[20:21], v[12:13], v[160:161]
	ds_load_b128 v[2:5], v1 offset:1552
	ds_load_b128 v[10:13], v1 offset:1568
	s_waitcnt vmcnt(4) lgkmcnt(1)
	v_mul_f64 v[160:161], v[2:3], v[28:29]
	v_mul_f64 v[28:29], v[4:5], v[28:29]
	v_add_f64 v[14:15], v[14:15], v[18:19]
	v_add_f64 v[16:17], v[20:21], v[158:159]
	s_waitcnt vmcnt(3) lgkmcnt(0)
	v_mul_f64 v[18:19], v[10:11], v[32:33]
	v_mul_f64 v[20:21], v[12:13], v[32:33]
	v_fma_f64 v[22:23], v[4:5], v[26:27], v[160:161]
	v_fma_f64 v[24:25], v[2:3], v[26:27], -v[28:29]
	v_add_f64 v[14:15], v[14:15], v[6:7]
	v_add_f64 v[16:17], v[16:17], v[8:9]
	ds_load_b128 v[2:5], v1 offset:1584
	ds_load_b128 v[6:9], v1 offset:1600
	v_fma_f64 v[12:13], v[12:13], v[30:31], v[18:19]
	v_fma_f64 v[10:11], v[10:11], v[30:31], -v[20:21]
	s_waitcnt vmcnt(2) lgkmcnt(1)
	v_mul_f64 v[26:27], v[2:3], v[40:41]
	v_mul_f64 v[28:29], v[4:5], v[40:41]
	s_waitcnt vmcnt(1) lgkmcnt(0)
	v_mul_f64 v[18:19], v[6:7], v[156:157]
	v_mul_f64 v[20:21], v[8:9], v[156:157]
	v_add_f64 v[14:15], v[14:15], v[24:25]
	v_add_f64 v[16:17], v[16:17], v[22:23]
	v_fma_f64 v[22:23], v[4:5], v[38:39], v[26:27]
	v_fma_f64 v[24:25], v[2:3], v[38:39], -v[28:29]
	ds_load_b128 v[2:5], v1 offset:1616
	v_fma_f64 v[8:9], v[8:9], v[154:155], v[18:19]
	v_fma_f64 v[6:7], v[6:7], v[154:155], -v[20:21]
	v_add_f64 v[10:11], v[14:15], v[10:11]
	v_add_f64 v[12:13], v[16:17], v[12:13]
	s_waitcnt vmcnt(0) lgkmcnt(0)
	v_mul_f64 v[14:15], v[2:3], v[36:37]
	v_mul_f64 v[16:17], v[4:5], v[36:37]
	s_delay_alu instid0(VALU_DEP_4) | instskip(NEXT) | instid1(VALU_DEP_4)
	v_add_f64 v[10:11], v[10:11], v[24:25]
	v_add_f64 v[12:13], v[12:13], v[22:23]
	s_delay_alu instid0(VALU_DEP_4) | instskip(NEXT) | instid1(VALU_DEP_4)
	v_fma_f64 v[4:5], v[4:5], v[34:35], v[14:15]
	v_fma_f64 v[2:3], v[2:3], v[34:35], -v[16:17]
	s_delay_alu instid0(VALU_DEP_4) | instskip(NEXT) | instid1(VALU_DEP_4)
	v_add_f64 v[6:7], v[10:11], v[6:7]
	v_add_f64 v[8:9], v[12:13], v[8:9]
	s_delay_alu instid0(VALU_DEP_2) | instskip(NEXT) | instid1(VALU_DEP_2)
	v_add_f64 v[2:3], v[6:7], v[2:3]
	v_add_f64 v[4:5], v[8:9], v[4:5]
	s_delay_alu instid0(VALU_DEP_2) | instskip(NEXT) | instid1(VALU_DEP_2)
	v_add_f64 v[2:3], v[42:43], -v[2:3]
	v_add_f64 v[4:5], v[44:45], -v[4:5]
	scratch_store_b128 off, v[2:5], off offset:464
	v_cmpx_lt_u32_e32 28, v148
	s_cbranch_execz .LBB50_263
; %bb.262:
	scratch_load_b128 v[5:8], v168, off
	v_mov_b32_e32 v2, v1
	v_mov_b32_e32 v3, v1
	;; [unrolled: 1-line block ×3, first 2 shown]
	scratch_store_b128 off, v[1:4], off offset:448
	s_waitcnt vmcnt(0)
	ds_store_b128 v199, v[5:8]
.LBB50_263:
	s_or_b32 exec_lo, exec_lo, s2
	s_waitcnt lgkmcnt(0)
	s_waitcnt_vscnt null, 0x0
	s_barrier
	buffer_gl0_inv
	s_clause 0x8
	scratch_load_b128 v[2:5], off, off offset:464
	scratch_load_b128 v[6:9], off, off offset:480
	;; [unrolled: 1-line block ×9, first 2 shown]
	ds_load_b128 v[38:41], v1 offset:1280
	ds_load_b128 v[42:45], v1 offset:1296
	s_clause 0x1
	scratch_load_b128 v[154:157], off, off offset:448
	scratch_load_b128 v[158:161], off, off offset:608
	s_mov_b32 s2, exec_lo
	s_waitcnt vmcnt(10) lgkmcnt(1)
	v_mul_f64 v[162:163], v[40:41], v[4:5]
	v_mul_f64 v[4:5], v[38:39], v[4:5]
	s_waitcnt vmcnt(9) lgkmcnt(0)
	v_mul_f64 v[212:213], v[42:43], v[8:9]
	v_mul_f64 v[8:9], v[44:45], v[8:9]
	s_delay_alu instid0(VALU_DEP_4) | instskip(NEXT) | instid1(VALU_DEP_4)
	v_fma_f64 v[214:215], v[38:39], v[2:3], -v[162:163]
	v_fma_f64 v[216:217], v[40:41], v[2:3], v[4:5]
	ds_load_b128 v[2:5], v1 offset:1312
	ds_load_b128 v[162:165], v1 offset:1328
	scratch_load_b128 v[38:41], off, off offset:624
	v_fma_f64 v[44:45], v[44:45], v[6:7], v[212:213]
	v_fma_f64 v[42:43], v[42:43], v[6:7], -v[8:9]
	scratch_load_b128 v[6:9], off, off offset:640
	s_waitcnt vmcnt(10) lgkmcnt(1)
	v_mul_f64 v[218:219], v[2:3], v[12:13]
	v_mul_f64 v[12:13], v[4:5], v[12:13]
	v_add_f64 v[212:213], v[214:215], 0
	v_add_f64 v[214:215], v[216:217], 0
	s_waitcnt vmcnt(9) lgkmcnt(0)
	v_mul_f64 v[216:217], v[162:163], v[16:17]
	v_mul_f64 v[16:17], v[164:165], v[16:17]
	v_fma_f64 v[218:219], v[4:5], v[10:11], v[218:219]
	v_fma_f64 v[220:221], v[2:3], v[10:11], -v[12:13]
	ds_load_b128 v[2:5], v1 offset:1344
	scratch_load_b128 v[10:13], off, off offset:656
	v_add_f64 v[212:213], v[212:213], v[42:43]
	v_add_f64 v[214:215], v[214:215], v[44:45]
	ds_load_b128 v[42:45], v1 offset:1360
	v_fma_f64 v[164:165], v[164:165], v[14:15], v[216:217]
	v_fma_f64 v[162:163], v[162:163], v[14:15], -v[16:17]
	scratch_load_b128 v[14:17], off, off offset:672
	s_waitcnt vmcnt(10) lgkmcnt(1)
	v_mul_f64 v[222:223], v[2:3], v[20:21]
	v_mul_f64 v[20:21], v[4:5], v[20:21]
	s_waitcnt vmcnt(9) lgkmcnt(0)
	v_mul_f64 v[216:217], v[42:43], v[24:25]
	v_mul_f64 v[24:25], v[44:45], v[24:25]
	v_add_f64 v[212:213], v[212:213], v[220:221]
	v_add_f64 v[214:215], v[214:215], v[218:219]
	v_fma_f64 v[218:219], v[4:5], v[18:19], v[222:223]
	v_fma_f64 v[220:221], v[2:3], v[18:19], -v[20:21]
	ds_load_b128 v[2:5], v1 offset:1376
	scratch_load_b128 v[18:21], off, off offset:688
	v_fma_f64 v[44:45], v[44:45], v[22:23], v[216:217]
	v_fma_f64 v[42:43], v[42:43], v[22:23], -v[24:25]
	scratch_load_b128 v[22:25], off, off offset:704
	v_add_f64 v[212:213], v[212:213], v[162:163]
	v_add_f64 v[214:215], v[214:215], v[164:165]
	ds_load_b128 v[162:165], v1 offset:1392
	s_waitcnt vmcnt(10) lgkmcnt(1)
	v_mul_f64 v[222:223], v[2:3], v[28:29]
	v_mul_f64 v[28:29], v[4:5], v[28:29]
	s_waitcnt vmcnt(9) lgkmcnt(0)
	v_mul_f64 v[216:217], v[162:163], v[32:33]
	v_mul_f64 v[32:33], v[164:165], v[32:33]
	v_add_f64 v[212:213], v[212:213], v[220:221]
	v_add_f64 v[214:215], v[214:215], v[218:219]
	v_fma_f64 v[218:219], v[4:5], v[26:27], v[222:223]
	v_fma_f64 v[220:221], v[2:3], v[26:27], -v[28:29]
	ds_load_b128 v[2:5], v1 offset:1408
	scratch_load_b128 v[26:29], off, off offset:720
	v_fma_f64 v[164:165], v[164:165], v[30:31], v[216:217]
	v_fma_f64 v[162:163], v[162:163], v[30:31], -v[32:33]
	scratch_load_b128 v[30:33], off, off offset:736
	v_add_f64 v[212:213], v[212:213], v[42:43]
	v_add_f64 v[214:215], v[214:215], v[44:45]
	ds_load_b128 v[42:45], v1 offset:1424
	s_waitcnt vmcnt(10) lgkmcnt(1)
	v_mul_f64 v[222:223], v[2:3], v[36:37]
	v_mul_f64 v[36:37], v[4:5], v[36:37]
	s_waitcnt vmcnt(8) lgkmcnt(0)
	v_mul_f64 v[216:217], v[42:43], v[160:161]
	v_add_f64 v[212:213], v[212:213], v[220:221]
	v_add_f64 v[214:215], v[214:215], v[218:219]
	v_mul_f64 v[218:219], v[44:45], v[160:161]
	v_fma_f64 v[220:221], v[4:5], v[34:35], v[222:223]
	v_fma_f64 v[222:223], v[2:3], v[34:35], -v[36:37]
	ds_load_b128 v[2:5], v1 offset:1440
	scratch_load_b128 v[34:37], off, off offset:752
	v_fma_f64 v[44:45], v[44:45], v[158:159], v[216:217]
	v_add_f64 v[212:213], v[212:213], v[162:163]
	v_add_f64 v[164:165], v[214:215], v[164:165]
	ds_load_b128 v[160:163], v1 offset:1456
	v_fma_f64 v[158:159], v[42:43], v[158:159], -v[218:219]
	ds_load_b128 v[216:219], v1 offset:1488
	s_waitcnt vmcnt(8) lgkmcnt(2)
	v_mul_f64 v[214:215], v[2:3], v[40:41]
	v_mul_f64 v[224:225], v[4:5], v[40:41]
	scratch_load_b128 v[40:43], off, off offset:768
	v_add_f64 v[212:213], v[212:213], v[222:223]
	v_add_f64 v[164:165], v[164:165], v[220:221]
	s_waitcnt vmcnt(8) lgkmcnt(1)
	v_mul_f64 v[220:221], v[160:161], v[8:9]
	v_mul_f64 v[8:9], v[162:163], v[8:9]
	v_fma_f64 v[222:223], v[4:5], v[38:39], v[214:215]
	v_fma_f64 v[38:39], v[2:3], v[38:39], -v[224:225]
	ds_load_b128 v[2:5], v1 offset:1472
	v_add_f64 v[158:159], v[212:213], v[158:159]
	v_add_f64 v[44:45], v[164:165], v[44:45]
	scratch_load_b128 v[212:215], off, off offset:784
	v_fma_f64 v[162:163], v[162:163], v[6:7], v[220:221]
	s_waitcnt vmcnt(8) lgkmcnt(0)
	v_mul_f64 v[164:165], v[2:3], v[12:13]
	v_mul_f64 v[12:13], v[4:5], v[12:13]
	v_fma_f64 v[160:161], v[160:161], v[6:7], -v[8:9]
	scratch_load_b128 v[6:9], off, off offset:800
	v_add_f64 v[38:39], v[158:159], v[38:39]
	v_add_f64 v[44:45], v[44:45], v[222:223]
	s_waitcnt vmcnt(8)
	v_mul_f64 v[158:159], v[216:217], v[16:17]
	v_mul_f64 v[16:17], v[218:219], v[16:17]
	v_fma_f64 v[164:165], v[4:5], v[10:11], v[164:165]
	v_fma_f64 v[220:221], v[2:3], v[10:11], -v[12:13]
	ds_load_b128 v[2:5], v1 offset:1504
	ds_load_b128 v[10:13], v1 offset:1520
	v_add_f64 v[38:39], v[38:39], v[160:161]
	v_add_f64 v[44:45], v[44:45], v[162:163]
	s_waitcnt vmcnt(7) lgkmcnt(1)
	v_mul_f64 v[160:161], v[2:3], v[20:21]
	v_mul_f64 v[20:21], v[4:5], v[20:21]
	v_fma_f64 v[158:159], v[218:219], v[14:15], v[158:159]
	v_fma_f64 v[14:15], v[216:217], v[14:15], -v[16:17]
	v_add_f64 v[16:17], v[38:39], v[220:221]
	v_add_f64 v[38:39], v[44:45], v[164:165]
	s_waitcnt vmcnt(6) lgkmcnt(0)
	v_mul_f64 v[44:45], v[10:11], v[24:25]
	v_mul_f64 v[24:25], v[12:13], v[24:25]
	v_fma_f64 v[160:161], v[4:5], v[18:19], v[160:161]
	v_fma_f64 v[18:19], v[2:3], v[18:19], -v[20:21]
	v_add_f64 v[20:21], v[16:17], v[14:15]
	v_add_f64 v[38:39], v[38:39], v[158:159]
	ds_load_b128 v[2:5], v1 offset:1536
	ds_load_b128 v[14:17], v1 offset:1552
	v_fma_f64 v[12:13], v[12:13], v[22:23], v[44:45]
	v_fma_f64 v[10:11], v[10:11], v[22:23], -v[24:25]
	s_waitcnt vmcnt(5) lgkmcnt(1)
	v_mul_f64 v[158:159], v[2:3], v[28:29]
	v_mul_f64 v[28:29], v[4:5], v[28:29]
	s_waitcnt vmcnt(4) lgkmcnt(0)
	v_mul_f64 v[22:23], v[14:15], v[32:33]
	v_mul_f64 v[24:25], v[16:17], v[32:33]
	v_add_f64 v[18:19], v[20:21], v[18:19]
	v_add_f64 v[20:21], v[38:39], v[160:161]
	v_fma_f64 v[32:33], v[4:5], v[26:27], v[158:159]
	v_fma_f64 v[26:27], v[2:3], v[26:27], -v[28:29]
	v_fma_f64 v[16:17], v[16:17], v[30:31], v[22:23]
	v_fma_f64 v[14:15], v[14:15], v[30:31], -v[24:25]
	v_add_f64 v[18:19], v[18:19], v[10:11]
	v_add_f64 v[20:21], v[20:21], v[12:13]
	ds_load_b128 v[2:5], v1 offset:1568
	ds_load_b128 v[10:13], v1 offset:1584
	s_waitcnt vmcnt(3) lgkmcnt(1)
	v_mul_f64 v[28:29], v[2:3], v[36:37]
	v_mul_f64 v[36:37], v[4:5], v[36:37]
	s_waitcnt vmcnt(2) lgkmcnt(0)
	v_mul_f64 v[22:23], v[10:11], v[42:43]
	v_add_f64 v[18:19], v[18:19], v[26:27]
	v_add_f64 v[20:21], v[20:21], v[32:33]
	v_mul_f64 v[24:25], v[12:13], v[42:43]
	v_fma_f64 v[26:27], v[4:5], v[34:35], v[28:29]
	v_fma_f64 v[28:29], v[2:3], v[34:35], -v[36:37]
	v_fma_f64 v[12:13], v[12:13], v[40:41], v[22:23]
	v_add_f64 v[18:19], v[18:19], v[14:15]
	v_add_f64 v[20:21], v[20:21], v[16:17]
	ds_load_b128 v[2:5], v1 offset:1600
	ds_load_b128 v[14:17], v1 offset:1616
	v_fma_f64 v[10:11], v[10:11], v[40:41], -v[24:25]
	s_waitcnt vmcnt(1) lgkmcnt(1)
	v_mul_f64 v[30:31], v[2:3], v[214:215]
	v_mul_f64 v[32:33], v[4:5], v[214:215]
	s_waitcnt vmcnt(0) lgkmcnt(0)
	v_mul_f64 v[22:23], v[14:15], v[8:9]
	v_mul_f64 v[8:9], v[16:17], v[8:9]
	v_add_f64 v[18:19], v[18:19], v[28:29]
	v_add_f64 v[20:21], v[20:21], v[26:27]
	v_fma_f64 v[4:5], v[4:5], v[212:213], v[30:31]
	v_fma_f64 v[1:2], v[2:3], v[212:213], -v[32:33]
	v_fma_f64 v[16:17], v[16:17], v[6:7], v[22:23]
	v_fma_f64 v[6:7], v[14:15], v[6:7], -v[8:9]
	v_add_f64 v[10:11], v[18:19], v[10:11]
	v_add_f64 v[12:13], v[20:21], v[12:13]
	s_delay_alu instid0(VALU_DEP_2) | instskip(NEXT) | instid1(VALU_DEP_2)
	v_add_f64 v[1:2], v[10:11], v[1:2]
	v_add_f64 v[3:4], v[12:13], v[4:5]
	s_delay_alu instid0(VALU_DEP_2) | instskip(NEXT) | instid1(VALU_DEP_2)
	;; [unrolled: 3-line block ×3, first 2 shown]
	v_add_f64 v[1:2], v[154:155], -v[1:2]
	v_add_f64 v[3:4], v[156:157], -v[3:4]
	scratch_store_b128 off, v[1:4], off offset:448
	v_cmpx_lt_u32_e32 27, v148
	s_cbranch_execz .LBB50_265
; %bb.264:
	scratch_load_b128 v[1:4], v169, off
	v_mov_b32_e32 v5, 0
	s_delay_alu instid0(VALU_DEP_1)
	v_mov_b32_e32 v6, v5
	v_mov_b32_e32 v7, v5
	;; [unrolled: 1-line block ×3, first 2 shown]
	scratch_store_b128 off, v[5:8], off offset:432
	s_waitcnt vmcnt(0)
	ds_store_b128 v199, v[1:4]
.LBB50_265:
	s_or_b32 exec_lo, exec_lo, s2
	s_waitcnt lgkmcnt(0)
	s_waitcnt_vscnt null, 0x0
	s_barrier
	buffer_gl0_inv
	s_clause 0x7
	scratch_load_b128 v[2:5], off, off offset:448
	scratch_load_b128 v[6:9], off, off offset:464
	;; [unrolled: 1-line block ×8, first 2 shown]
	v_mov_b32_e32 v1, 0
	s_mov_b32 s2, exec_lo
	ds_load_b128 v[34:37], v1 offset:1264
	s_clause 0x1
	scratch_load_b128 v[38:41], off, off offset:576
	scratch_load_b128 v[42:45], off, off offset:432
	ds_load_b128 v[154:157], v1 offset:1280
	scratch_load_b128 v[158:161], off, off offset:592
	s_waitcnt vmcnt(10) lgkmcnt(1)
	v_mul_f64 v[162:163], v[36:37], v[4:5]
	v_mul_f64 v[4:5], v[34:35], v[4:5]
	s_delay_alu instid0(VALU_DEP_2) | instskip(NEXT) | instid1(VALU_DEP_2)
	v_fma_f64 v[214:215], v[34:35], v[2:3], -v[162:163]
	v_fma_f64 v[216:217], v[36:37], v[2:3], v[4:5]
	scratch_load_b128 v[34:37], off, off offset:608
	ds_load_b128 v[2:5], v1 offset:1296
	s_waitcnt vmcnt(10) lgkmcnt(1)
	v_mul_f64 v[212:213], v[154:155], v[8:9]
	v_mul_f64 v[8:9], v[156:157], v[8:9]
	ds_load_b128 v[162:165], v1 offset:1312
	s_waitcnt vmcnt(9) lgkmcnt(1)
	v_mul_f64 v[218:219], v[2:3], v[12:13]
	v_mul_f64 v[12:13], v[4:5], v[12:13]
	v_fma_f64 v[156:157], v[156:157], v[6:7], v[212:213]
	v_fma_f64 v[154:155], v[154:155], v[6:7], -v[8:9]
	v_add_f64 v[212:213], v[214:215], 0
	v_add_f64 v[214:215], v[216:217], 0
	scratch_load_b128 v[6:9], off, off offset:624
	v_fma_f64 v[218:219], v[4:5], v[10:11], v[218:219]
	v_fma_f64 v[220:221], v[2:3], v[10:11], -v[12:13]
	scratch_load_b128 v[10:13], off, off offset:640
	ds_load_b128 v[2:5], v1 offset:1328
	s_waitcnt vmcnt(10) lgkmcnt(1)
	v_mul_f64 v[216:217], v[162:163], v[16:17]
	v_mul_f64 v[16:17], v[164:165], v[16:17]
	v_add_f64 v[212:213], v[212:213], v[154:155]
	v_add_f64 v[214:215], v[214:215], v[156:157]
	s_waitcnt vmcnt(9) lgkmcnt(0)
	v_mul_f64 v[222:223], v[2:3], v[20:21]
	v_mul_f64 v[20:21], v[4:5], v[20:21]
	ds_load_b128 v[154:157], v1 offset:1344
	v_fma_f64 v[164:165], v[164:165], v[14:15], v[216:217]
	v_fma_f64 v[162:163], v[162:163], v[14:15], -v[16:17]
	scratch_load_b128 v[14:17], off, off offset:656
	v_add_f64 v[212:213], v[212:213], v[220:221]
	v_add_f64 v[214:215], v[214:215], v[218:219]
	v_fma_f64 v[218:219], v[4:5], v[18:19], v[222:223]
	v_fma_f64 v[220:221], v[2:3], v[18:19], -v[20:21]
	scratch_load_b128 v[18:21], off, off offset:672
	ds_load_b128 v[2:5], v1 offset:1360
	s_waitcnt vmcnt(10) lgkmcnt(1)
	v_mul_f64 v[216:217], v[154:155], v[24:25]
	v_mul_f64 v[24:25], v[156:157], v[24:25]
	s_waitcnt vmcnt(9) lgkmcnt(0)
	v_mul_f64 v[222:223], v[2:3], v[28:29]
	v_mul_f64 v[28:29], v[4:5], v[28:29]
	v_add_f64 v[212:213], v[212:213], v[162:163]
	v_add_f64 v[214:215], v[214:215], v[164:165]
	ds_load_b128 v[162:165], v1 offset:1376
	v_fma_f64 v[156:157], v[156:157], v[22:23], v[216:217]
	v_fma_f64 v[154:155], v[154:155], v[22:23], -v[24:25]
	scratch_load_b128 v[22:25], off, off offset:688
	v_add_f64 v[212:213], v[212:213], v[220:221]
	v_add_f64 v[214:215], v[214:215], v[218:219]
	v_fma_f64 v[218:219], v[4:5], v[26:27], v[222:223]
	v_fma_f64 v[220:221], v[2:3], v[26:27], -v[28:29]
	scratch_load_b128 v[26:29], off, off offset:704
	ds_load_b128 v[2:5], v1 offset:1392
	s_waitcnt vmcnt(10) lgkmcnt(1)
	v_mul_f64 v[216:217], v[162:163], v[32:33]
	v_mul_f64 v[32:33], v[164:165], v[32:33]
	s_waitcnt vmcnt(9) lgkmcnt(0)
	v_mul_f64 v[222:223], v[2:3], v[40:41]
	v_mul_f64 v[40:41], v[4:5], v[40:41]
	v_add_f64 v[212:213], v[212:213], v[154:155]
	v_add_f64 v[214:215], v[214:215], v[156:157]
	ds_load_b128 v[154:157], v1 offset:1408
	v_fma_f64 v[164:165], v[164:165], v[30:31], v[216:217]
	v_fma_f64 v[162:163], v[162:163], v[30:31], -v[32:33]
	scratch_load_b128 v[30:33], off, off offset:720
	v_add_f64 v[212:213], v[212:213], v[220:221]
	v_add_f64 v[214:215], v[214:215], v[218:219]
	v_fma_f64 v[220:221], v[4:5], v[38:39], v[222:223]
	v_fma_f64 v[222:223], v[2:3], v[38:39], -v[40:41]
	scratch_load_b128 v[38:41], off, off offset:736
	ds_load_b128 v[2:5], v1 offset:1424
	s_waitcnt vmcnt(9) lgkmcnt(1)
	v_mul_f64 v[216:217], v[154:155], v[160:161]
	v_mul_f64 v[218:219], v[156:157], v[160:161]
	v_add_f64 v[212:213], v[212:213], v[162:163]
	v_add_f64 v[164:165], v[214:215], v[164:165]
	ds_load_b128 v[160:163], v1 offset:1440
	v_fma_f64 v[216:217], v[156:157], v[158:159], v[216:217]
	v_fma_f64 v[158:159], v[154:155], v[158:159], -v[218:219]
	scratch_load_b128 v[154:157], off, off offset:752
	s_waitcnt vmcnt(9) lgkmcnt(1)
	v_mul_f64 v[214:215], v[2:3], v[36:37]
	v_mul_f64 v[36:37], v[4:5], v[36:37]
	v_add_f64 v[212:213], v[212:213], v[222:223]
	v_add_f64 v[164:165], v[164:165], v[220:221]
	s_delay_alu instid0(VALU_DEP_4) | instskip(NEXT) | instid1(VALU_DEP_4)
	v_fma_f64 v[220:221], v[4:5], v[34:35], v[214:215]
	v_fma_f64 v[222:223], v[2:3], v[34:35], -v[36:37]
	scratch_load_b128 v[34:37], off, off offset:768
	ds_load_b128 v[2:5], v1 offset:1456
	s_waitcnt vmcnt(9) lgkmcnt(1)
	v_mul_f64 v[218:219], v[160:161], v[8:9]
	v_mul_f64 v[8:9], v[162:163], v[8:9]
	v_add_f64 v[158:159], v[212:213], v[158:159]
	v_add_f64 v[164:165], v[164:165], v[216:217]
	s_waitcnt vmcnt(8) lgkmcnt(0)
	v_mul_f64 v[216:217], v[2:3], v[12:13]
	v_mul_f64 v[12:13], v[4:5], v[12:13]
	ds_load_b128 v[212:215], v1 offset:1472
	v_fma_f64 v[162:163], v[162:163], v[6:7], v[218:219]
	v_fma_f64 v[160:161], v[160:161], v[6:7], -v[8:9]
	scratch_load_b128 v[6:9], off, off offset:784
	v_add_f64 v[158:159], v[158:159], v[222:223]
	v_add_f64 v[164:165], v[164:165], v[220:221]
	v_fma_f64 v[216:217], v[4:5], v[10:11], v[216:217]
	v_fma_f64 v[220:221], v[2:3], v[10:11], -v[12:13]
	scratch_load_b128 v[10:13], off, off offset:800
	ds_load_b128 v[2:5], v1 offset:1488
	s_waitcnt vmcnt(9) lgkmcnt(1)
	v_mul_f64 v[218:219], v[212:213], v[16:17]
	v_mul_f64 v[16:17], v[214:215], v[16:17]
	v_add_f64 v[222:223], v[158:159], v[160:161]
	v_add_f64 v[162:163], v[164:165], v[162:163]
	s_waitcnt vmcnt(8) lgkmcnt(0)
	v_mul_f64 v[164:165], v[2:3], v[20:21]
	v_mul_f64 v[20:21], v[4:5], v[20:21]
	ds_load_b128 v[158:161], v1 offset:1504
	v_fma_f64 v[214:215], v[214:215], v[14:15], v[218:219]
	v_fma_f64 v[14:15], v[212:213], v[14:15], -v[16:17]
	s_waitcnt vmcnt(7) lgkmcnt(0)
	v_mul_f64 v[212:213], v[158:159], v[24:25]
	v_mul_f64 v[24:25], v[160:161], v[24:25]
	v_add_f64 v[16:17], v[222:223], v[220:221]
	v_add_f64 v[162:163], v[162:163], v[216:217]
	v_fma_f64 v[164:165], v[4:5], v[18:19], v[164:165]
	v_fma_f64 v[18:19], v[2:3], v[18:19], -v[20:21]
	v_fma_f64 v[160:161], v[160:161], v[22:23], v[212:213]
	v_fma_f64 v[22:23], v[158:159], v[22:23], -v[24:25]
	v_add_f64 v[20:21], v[16:17], v[14:15]
	v_add_f64 v[162:163], v[162:163], v[214:215]
	ds_load_b128 v[2:5], v1 offset:1520
	ds_load_b128 v[14:17], v1 offset:1536
	s_waitcnt vmcnt(6) lgkmcnt(1)
	v_mul_f64 v[214:215], v[2:3], v[28:29]
	v_mul_f64 v[28:29], v[4:5], v[28:29]
	s_waitcnt vmcnt(5) lgkmcnt(0)
	v_mul_f64 v[24:25], v[14:15], v[32:33]
	v_mul_f64 v[32:33], v[16:17], v[32:33]
	v_add_f64 v[18:19], v[20:21], v[18:19]
	v_add_f64 v[20:21], v[162:163], v[164:165]
	v_fma_f64 v[158:159], v[4:5], v[26:27], v[214:215]
	v_fma_f64 v[26:27], v[2:3], v[26:27], -v[28:29]
	v_fma_f64 v[16:17], v[16:17], v[30:31], v[24:25]
	v_fma_f64 v[14:15], v[14:15], v[30:31], -v[32:33]
	v_add_f64 v[22:23], v[18:19], v[22:23]
	v_add_f64 v[28:29], v[20:21], v[160:161]
	ds_load_b128 v[2:5], v1 offset:1552
	ds_load_b128 v[18:21], v1 offset:1568
	s_waitcnt vmcnt(4) lgkmcnt(1)
	v_mul_f64 v[160:161], v[2:3], v[40:41]
	v_mul_f64 v[40:41], v[4:5], v[40:41]
	v_add_f64 v[22:23], v[22:23], v[26:27]
	v_add_f64 v[24:25], v[28:29], v[158:159]
	s_waitcnt vmcnt(3) lgkmcnt(0)
	v_mul_f64 v[26:27], v[18:19], v[156:157]
	v_mul_f64 v[28:29], v[20:21], v[156:157]
	v_fma_f64 v[30:31], v[4:5], v[38:39], v[160:161]
	v_fma_f64 v[32:33], v[2:3], v[38:39], -v[40:41]
	v_add_f64 v[22:23], v[22:23], v[14:15]
	v_add_f64 v[24:25], v[24:25], v[16:17]
	ds_load_b128 v[2:5], v1 offset:1584
	ds_load_b128 v[14:17], v1 offset:1600
	v_fma_f64 v[20:21], v[20:21], v[154:155], v[26:27]
	v_fma_f64 v[18:19], v[18:19], v[154:155], -v[28:29]
	s_waitcnt vmcnt(2) lgkmcnt(1)
	v_mul_f64 v[38:39], v[2:3], v[36:37]
	v_mul_f64 v[36:37], v[4:5], v[36:37]
	s_waitcnt vmcnt(1) lgkmcnt(0)
	v_mul_f64 v[26:27], v[14:15], v[8:9]
	v_mul_f64 v[8:9], v[16:17], v[8:9]
	v_add_f64 v[22:23], v[22:23], v[32:33]
	v_add_f64 v[24:25], v[24:25], v[30:31]
	v_fma_f64 v[28:29], v[4:5], v[34:35], v[38:39]
	v_fma_f64 v[30:31], v[2:3], v[34:35], -v[36:37]
	ds_load_b128 v[2:5], v1 offset:1616
	v_fma_f64 v[16:17], v[16:17], v[6:7], v[26:27]
	v_fma_f64 v[6:7], v[14:15], v[6:7], -v[8:9]
	v_add_f64 v[18:19], v[22:23], v[18:19]
	v_add_f64 v[20:21], v[24:25], v[20:21]
	s_waitcnt vmcnt(0) lgkmcnt(0)
	v_mul_f64 v[22:23], v[2:3], v[12:13]
	v_mul_f64 v[12:13], v[4:5], v[12:13]
	s_delay_alu instid0(VALU_DEP_4) | instskip(NEXT) | instid1(VALU_DEP_4)
	v_add_f64 v[8:9], v[18:19], v[30:31]
	v_add_f64 v[14:15], v[20:21], v[28:29]
	s_delay_alu instid0(VALU_DEP_4) | instskip(NEXT) | instid1(VALU_DEP_4)
	v_fma_f64 v[4:5], v[4:5], v[10:11], v[22:23]
	v_fma_f64 v[2:3], v[2:3], v[10:11], -v[12:13]
	s_delay_alu instid0(VALU_DEP_4) | instskip(NEXT) | instid1(VALU_DEP_4)
	v_add_f64 v[6:7], v[8:9], v[6:7]
	v_add_f64 v[8:9], v[14:15], v[16:17]
	s_delay_alu instid0(VALU_DEP_2) | instskip(NEXT) | instid1(VALU_DEP_2)
	v_add_f64 v[2:3], v[6:7], v[2:3]
	v_add_f64 v[4:5], v[8:9], v[4:5]
	s_delay_alu instid0(VALU_DEP_2) | instskip(NEXT) | instid1(VALU_DEP_2)
	v_add_f64 v[2:3], v[42:43], -v[2:3]
	v_add_f64 v[4:5], v[44:45], -v[4:5]
	scratch_store_b128 off, v[2:5], off offset:432
	v_cmpx_lt_u32_e32 26, v148
	s_cbranch_execz .LBB50_267
; %bb.266:
	scratch_load_b128 v[5:8], v172, off
	v_mov_b32_e32 v2, v1
	v_mov_b32_e32 v3, v1
	;; [unrolled: 1-line block ×3, first 2 shown]
	scratch_store_b128 off, v[1:4], off offset:416
	s_waitcnt vmcnt(0)
	ds_store_b128 v199, v[5:8]
.LBB50_267:
	s_or_b32 exec_lo, exec_lo, s2
	s_waitcnt lgkmcnt(0)
	s_waitcnt_vscnt null, 0x0
	s_barrier
	buffer_gl0_inv
	s_clause 0x8
	scratch_load_b128 v[2:5], off, off offset:432
	scratch_load_b128 v[6:9], off, off offset:448
	;; [unrolled: 1-line block ×9, first 2 shown]
	ds_load_b128 v[38:41], v1 offset:1248
	ds_load_b128 v[42:45], v1 offset:1264
	s_clause 0x1
	scratch_load_b128 v[154:157], off, off offset:416
	scratch_load_b128 v[158:161], off, off offset:576
	s_mov_b32 s2, exec_lo
	s_waitcnt vmcnt(10) lgkmcnt(1)
	v_mul_f64 v[162:163], v[40:41], v[4:5]
	v_mul_f64 v[4:5], v[38:39], v[4:5]
	s_waitcnt vmcnt(9) lgkmcnt(0)
	v_mul_f64 v[212:213], v[42:43], v[8:9]
	v_mul_f64 v[8:9], v[44:45], v[8:9]
	s_delay_alu instid0(VALU_DEP_4) | instskip(NEXT) | instid1(VALU_DEP_4)
	v_fma_f64 v[214:215], v[38:39], v[2:3], -v[162:163]
	v_fma_f64 v[216:217], v[40:41], v[2:3], v[4:5]
	ds_load_b128 v[2:5], v1 offset:1280
	ds_load_b128 v[162:165], v1 offset:1296
	scratch_load_b128 v[38:41], off, off offset:592
	v_fma_f64 v[44:45], v[44:45], v[6:7], v[212:213]
	v_fma_f64 v[42:43], v[42:43], v[6:7], -v[8:9]
	scratch_load_b128 v[6:9], off, off offset:608
	s_waitcnt vmcnt(10) lgkmcnt(1)
	v_mul_f64 v[218:219], v[2:3], v[12:13]
	v_mul_f64 v[12:13], v[4:5], v[12:13]
	v_add_f64 v[212:213], v[214:215], 0
	v_add_f64 v[214:215], v[216:217], 0
	s_waitcnt vmcnt(9) lgkmcnt(0)
	v_mul_f64 v[216:217], v[162:163], v[16:17]
	v_mul_f64 v[16:17], v[164:165], v[16:17]
	v_fma_f64 v[218:219], v[4:5], v[10:11], v[218:219]
	v_fma_f64 v[220:221], v[2:3], v[10:11], -v[12:13]
	ds_load_b128 v[2:5], v1 offset:1312
	scratch_load_b128 v[10:13], off, off offset:624
	v_add_f64 v[212:213], v[212:213], v[42:43]
	v_add_f64 v[214:215], v[214:215], v[44:45]
	ds_load_b128 v[42:45], v1 offset:1328
	v_fma_f64 v[164:165], v[164:165], v[14:15], v[216:217]
	v_fma_f64 v[162:163], v[162:163], v[14:15], -v[16:17]
	scratch_load_b128 v[14:17], off, off offset:640
	s_waitcnt vmcnt(10) lgkmcnt(1)
	v_mul_f64 v[222:223], v[2:3], v[20:21]
	v_mul_f64 v[20:21], v[4:5], v[20:21]
	s_waitcnt vmcnt(9) lgkmcnt(0)
	v_mul_f64 v[216:217], v[42:43], v[24:25]
	v_mul_f64 v[24:25], v[44:45], v[24:25]
	v_add_f64 v[212:213], v[212:213], v[220:221]
	v_add_f64 v[214:215], v[214:215], v[218:219]
	v_fma_f64 v[218:219], v[4:5], v[18:19], v[222:223]
	v_fma_f64 v[220:221], v[2:3], v[18:19], -v[20:21]
	ds_load_b128 v[2:5], v1 offset:1344
	scratch_load_b128 v[18:21], off, off offset:656
	v_fma_f64 v[44:45], v[44:45], v[22:23], v[216:217]
	v_fma_f64 v[42:43], v[42:43], v[22:23], -v[24:25]
	scratch_load_b128 v[22:25], off, off offset:672
	v_add_f64 v[212:213], v[212:213], v[162:163]
	v_add_f64 v[214:215], v[214:215], v[164:165]
	ds_load_b128 v[162:165], v1 offset:1360
	s_waitcnt vmcnt(10) lgkmcnt(1)
	v_mul_f64 v[222:223], v[2:3], v[28:29]
	v_mul_f64 v[28:29], v[4:5], v[28:29]
	s_waitcnt vmcnt(9) lgkmcnt(0)
	v_mul_f64 v[216:217], v[162:163], v[32:33]
	v_mul_f64 v[32:33], v[164:165], v[32:33]
	v_add_f64 v[212:213], v[212:213], v[220:221]
	v_add_f64 v[214:215], v[214:215], v[218:219]
	v_fma_f64 v[218:219], v[4:5], v[26:27], v[222:223]
	v_fma_f64 v[220:221], v[2:3], v[26:27], -v[28:29]
	ds_load_b128 v[2:5], v1 offset:1376
	scratch_load_b128 v[26:29], off, off offset:688
	v_fma_f64 v[164:165], v[164:165], v[30:31], v[216:217]
	v_fma_f64 v[162:163], v[162:163], v[30:31], -v[32:33]
	scratch_load_b128 v[30:33], off, off offset:704
	v_add_f64 v[212:213], v[212:213], v[42:43]
	v_add_f64 v[214:215], v[214:215], v[44:45]
	ds_load_b128 v[42:45], v1 offset:1392
	s_waitcnt vmcnt(10) lgkmcnt(1)
	v_mul_f64 v[222:223], v[2:3], v[36:37]
	v_mul_f64 v[36:37], v[4:5], v[36:37]
	s_waitcnt vmcnt(8) lgkmcnt(0)
	v_mul_f64 v[216:217], v[42:43], v[160:161]
	v_add_f64 v[212:213], v[212:213], v[220:221]
	v_add_f64 v[214:215], v[214:215], v[218:219]
	v_mul_f64 v[218:219], v[44:45], v[160:161]
	v_fma_f64 v[220:221], v[4:5], v[34:35], v[222:223]
	v_fma_f64 v[222:223], v[2:3], v[34:35], -v[36:37]
	ds_load_b128 v[2:5], v1 offset:1408
	scratch_load_b128 v[34:37], off, off offset:720
	v_fma_f64 v[44:45], v[44:45], v[158:159], v[216:217]
	v_add_f64 v[212:213], v[212:213], v[162:163]
	v_add_f64 v[164:165], v[214:215], v[164:165]
	ds_load_b128 v[160:163], v1 offset:1424
	v_fma_f64 v[158:159], v[42:43], v[158:159], -v[218:219]
	ds_load_b128 v[216:219], v1 offset:1456
	s_waitcnt vmcnt(8) lgkmcnt(2)
	v_mul_f64 v[214:215], v[2:3], v[40:41]
	v_mul_f64 v[224:225], v[4:5], v[40:41]
	scratch_load_b128 v[40:43], off, off offset:736
	v_add_f64 v[212:213], v[212:213], v[222:223]
	v_add_f64 v[164:165], v[164:165], v[220:221]
	s_waitcnt vmcnt(8) lgkmcnt(1)
	v_mul_f64 v[220:221], v[160:161], v[8:9]
	v_mul_f64 v[8:9], v[162:163], v[8:9]
	v_fma_f64 v[222:223], v[4:5], v[38:39], v[214:215]
	v_fma_f64 v[38:39], v[2:3], v[38:39], -v[224:225]
	ds_load_b128 v[2:5], v1 offset:1440
	v_add_f64 v[158:159], v[212:213], v[158:159]
	v_add_f64 v[44:45], v[164:165], v[44:45]
	scratch_load_b128 v[212:215], off, off offset:752
	v_fma_f64 v[162:163], v[162:163], v[6:7], v[220:221]
	s_waitcnt vmcnt(8) lgkmcnt(0)
	v_mul_f64 v[164:165], v[2:3], v[12:13]
	v_mul_f64 v[12:13], v[4:5], v[12:13]
	v_fma_f64 v[160:161], v[160:161], v[6:7], -v[8:9]
	scratch_load_b128 v[6:9], off, off offset:768
	s_waitcnt vmcnt(8)
	v_mul_f64 v[220:221], v[216:217], v[16:17]
	v_mul_f64 v[16:17], v[218:219], v[16:17]
	v_add_f64 v[38:39], v[158:159], v[38:39]
	v_add_f64 v[44:45], v[44:45], v[222:223]
	v_fma_f64 v[164:165], v[4:5], v[10:11], v[164:165]
	v_fma_f64 v[222:223], v[2:3], v[10:11], -v[12:13]
	ds_load_b128 v[2:5], v1 offset:1472
	scratch_load_b128 v[10:13], off, off offset:784
	v_fma_f64 v[218:219], v[218:219], v[14:15], v[220:221]
	v_fma_f64 v[216:217], v[216:217], v[14:15], -v[16:17]
	scratch_load_b128 v[14:17], off, off offset:800
	v_add_f64 v[38:39], v[38:39], v[160:161]
	v_add_f64 v[44:45], v[44:45], v[162:163]
	ds_load_b128 v[158:161], v1 offset:1488
	s_waitcnt vmcnt(9) lgkmcnt(1)
	v_mul_f64 v[162:163], v[2:3], v[20:21]
	v_mul_f64 v[20:21], v[4:5], v[20:21]
	v_add_f64 v[38:39], v[38:39], v[222:223]
	v_add_f64 v[44:45], v[44:45], v[164:165]
	s_waitcnt vmcnt(8) lgkmcnt(0)
	v_mul_f64 v[164:165], v[158:159], v[24:25]
	v_mul_f64 v[24:25], v[160:161], v[24:25]
	v_fma_f64 v[162:163], v[4:5], v[18:19], v[162:163]
	v_fma_f64 v[220:221], v[2:3], v[18:19], -v[20:21]
	ds_load_b128 v[2:5], v1 offset:1504
	ds_load_b128 v[18:21], v1 offset:1520
	v_add_f64 v[38:39], v[38:39], v[216:217]
	v_add_f64 v[44:45], v[44:45], v[218:219]
	s_waitcnt vmcnt(7) lgkmcnt(1)
	v_mul_f64 v[216:217], v[2:3], v[28:29]
	v_mul_f64 v[28:29], v[4:5], v[28:29]
	v_fma_f64 v[160:161], v[160:161], v[22:23], v[164:165]
	v_fma_f64 v[22:23], v[158:159], v[22:23], -v[24:25]
	v_add_f64 v[24:25], v[38:39], v[220:221]
	v_add_f64 v[38:39], v[44:45], v[162:163]
	s_waitcnt vmcnt(6) lgkmcnt(0)
	v_mul_f64 v[44:45], v[18:19], v[32:33]
	v_mul_f64 v[32:33], v[20:21], v[32:33]
	v_fma_f64 v[158:159], v[4:5], v[26:27], v[216:217]
	v_fma_f64 v[26:27], v[2:3], v[26:27], -v[28:29]
	v_add_f64 v[28:29], v[24:25], v[22:23]
	v_add_f64 v[38:39], v[38:39], v[160:161]
	ds_load_b128 v[2:5], v1 offset:1536
	ds_load_b128 v[22:25], v1 offset:1552
	v_fma_f64 v[20:21], v[20:21], v[30:31], v[44:45]
	v_fma_f64 v[18:19], v[18:19], v[30:31], -v[32:33]
	s_waitcnt vmcnt(5) lgkmcnt(1)
	v_mul_f64 v[160:161], v[2:3], v[36:37]
	v_mul_f64 v[36:37], v[4:5], v[36:37]
	s_waitcnt vmcnt(4) lgkmcnt(0)
	v_mul_f64 v[30:31], v[22:23], v[42:43]
	v_add_f64 v[26:27], v[28:29], v[26:27]
	v_add_f64 v[28:29], v[38:39], v[158:159]
	v_mul_f64 v[32:33], v[24:25], v[42:43]
	v_fma_f64 v[38:39], v[4:5], v[34:35], v[160:161]
	v_fma_f64 v[34:35], v[2:3], v[34:35], -v[36:37]
	v_fma_f64 v[24:25], v[24:25], v[40:41], v[30:31]
	v_add_f64 v[26:27], v[26:27], v[18:19]
	v_add_f64 v[28:29], v[28:29], v[20:21]
	ds_load_b128 v[2:5], v1 offset:1568
	ds_load_b128 v[18:21], v1 offset:1584
	v_fma_f64 v[22:23], v[22:23], v[40:41], -v[32:33]
	s_waitcnt vmcnt(3) lgkmcnt(1)
	v_mul_f64 v[36:37], v[2:3], v[214:215]
	v_mul_f64 v[42:43], v[4:5], v[214:215]
	s_waitcnt vmcnt(2) lgkmcnt(0)
	v_mul_f64 v[30:31], v[18:19], v[8:9]
	v_mul_f64 v[8:9], v[20:21], v[8:9]
	v_add_f64 v[26:27], v[26:27], v[34:35]
	v_add_f64 v[28:29], v[28:29], v[38:39]
	v_fma_f64 v[32:33], v[4:5], v[212:213], v[36:37]
	v_fma_f64 v[34:35], v[2:3], v[212:213], -v[42:43]
	v_fma_f64 v[20:21], v[20:21], v[6:7], v[30:31]
	v_fma_f64 v[6:7], v[18:19], v[6:7], -v[8:9]
	v_add_f64 v[26:27], v[26:27], v[22:23]
	v_add_f64 v[28:29], v[28:29], v[24:25]
	ds_load_b128 v[2:5], v1 offset:1600
	ds_load_b128 v[22:25], v1 offset:1616
	s_waitcnt vmcnt(1) lgkmcnt(1)
	v_mul_f64 v[36:37], v[2:3], v[12:13]
	v_mul_f64 v[12:13], v[4:5], v[12:13]
	v_add_f64 v[8:9], v[26:27], v[34:35]
	v_add_f64 v[18:19], v[28:29], v[32:33]
	s_waitcnt vmcnt(0) lgkmcnt(0)
	v_mul_f64 v[26:27], v[22:23], v[16:17]
	v_mul_f64 v[16:17], v[24:25], v[16:17]
	v_fma_f64 v[4:5], v[4:5], v[10:11], v[36:37]
	v_fma_f64 v[1:2], v[2:3], v[10:11], -v[12:13]
	v_add_f64 v[6:7], v[8:9], v[6:7]
	v_add_f64 v[8:9], v[18:19], v[20:21]
	v_fma_f64 v[10:11], v[24:25], v[14:15], v[26:27]
	v_fma_f64 v[12:13], v[22:23], v[14:15], -v[16:17]
	s_delay_alu instid0(VALU_DEP_4) | instskip(NEXT) | instid1(VALU_DEP_4)
	v_add_f64 v[1:2], v[6:7], v[1:2]
	v_add_f64 v[3:4], v[8:9], v[4:5]
	s_delay_alu instid0(VALU_DEP_2) | instskip(NEXT) | instid1(VALU_DEP_2)
	v_add_f64 v[1:2], v[1:2], v[12:13]
	v_add_f64 v[3:4], v[3:4], v[10:11]
	s_delay_alu instid0(VALU_DEP_2) | instskip(NEXT) | instid1(VALU_DEP_2)
	v_add_f64 v[1:2], v[154:155], -v[1:2]
	v_add_f64 v[3:4], v[156:157], -v[3:4]
	scratch_store_b128 off, v[1:4], off offset:416
	v_cmpx_lt_u32_e32 25, v148
	s_cbranch_execz .LBB50_269
; %bb.268:
	scratch_load_b128 v[1:4], v173, off
	v_mov_b32_e32 v5, 0
	s_delay_alu instid0(VALU_DEP_1)
	v_mov_b32_e32 v6, v5
	v_mov_b32_e32 v7, v5
	;; [unrolled: 1-line block ×3, first 2 shown]
	scratch_store_b128 off, v[5:8], off offset:400
	s_waitcnt vmcnt(0)
	ds_store_b128 v199, v[1:4]
.LBB50_269:
	s_or_b32 exec_lo, exec_lo, s2
	s_waitcnt lgkmcnt(0)
	s_waitcnt_vscnt null, 0x0
	s_barrier
	buffer_gl0_inv
	s_clause 0x7
	scratch_load_b128 v[2:5], off, off offset:416
	scratch_load_b128 v[6:9], off, off offset:432
	;; [unrolled: 1-line block ×8, first 2 shown]
	v_mov_b32_e32 v1, 0
	s_mov_b32 s2, exec_lo
	ds_load_b128 v[34:37], v1 offset:1232
	s_clause 0x1
	scratch_load_b128 v[38:41], off, off offset:544
	scratch_load_b128 v[42:45], off, off offset:400
	ds_load_b128 v[154:157], v1 offset:1248
	scratch_load_b128 v[158:161], off, off offset:560
	s_waitcnt vmcnt(10) lgkmcnt(1)
	v_mul_f64 v[162:163], v[36:37], v[4:5]
	v_mul_f64 v[4:5], v[34:35], v[4:5]
	s_delay_alu instid0(VALU_DEP_2) | instskip(NEXT) | instid1(VALU_DEP_2)
	v_fma_f64 v[214:215], v[34:35], v[2:3], -v[162:163]
	v_fma_f64 v[216:217], v[36:37], v[2:3], v[4:5]
	scratch_load_b128 v[34:37], off, off offset:576
	ds_load_b128 v[2:5], v1 offset:1264
	s_waitcnt vmcnt(10) lgkmcnt(1)
	v_mul_f64 v[212:213], v[154:155], v[8:9]
	v_mul_f64 v[8:9], v[156:157], v[8:9]
	ds_load_b128 v[162:165], v1 offset:1280
	s_waitcnt vmcnt(9) lgkmcnt(1)
	v_mul_f64 v[218:219], v[2:3], v[12:13]
	v_mul_f64 v[12:13], v[4:5], v[12:13]
	v_fma_f64 v[156:157], v[156:157], v[6:7], v[212:213]
	v_fma_f64 v[154:155], v[154:155], v[6:7], -v[8:9]
	v_add_f64 v[212:213], v[214:215], 0
	v_add_f64 v[214:215], v[216:217], 0
	scratch_load_b128 v[6:9], off, off offset:592
	v_fma_f64 v[218:219], v[4:5], v[10:11], v[218:219]
	v_fma_f64 v[220:221], v[2:3], v[10:11], -v[12:13]
	scratch_load_b128 v[10:13], off, off offset:608
	ds_load_b128 v[2:5], v1 offset:1296
	s_waitcnt vmcnt(10) lgkmcnt(1)
	v_mul_f64 v[216:217], v[162:163], v[16:17]
	v_mul_f64 v[16:17], v[164:165], v[16:17]
	v_add_f64 v[212:213], v[212:213], v[154:155]
	v_add_f64 v[214:215], v[214:215], v[156:157]
	s_waitcnt vmcnt(9) lgkmcnt(0)
	v_mul_f64 v[222:223], v[2:3], v[20:21]
	v_mul_f64 v[20:21], v[4:5], v[20:21]
	ds_load_b128 v[154:157], v1 offset:1312
	v_fma_f64 v[164:165], v[164:165], v[14:15], v[216:217]
	v_fma_f64 v[162:163], v[162:163], v[14:15], -v[16:17]
	scratch_load_b128 v[14:17], off, off offset:624
	v_add_f64 v[212:213], v[212:213], v[220:221]
	v_add_f64 v[214:215], v[214:215], v[218:219]
	v_fma_f64 v[218:219], v[4:5], v[18:19], v[222:223]
	v_fma_f64 v[220:221], v[2:3], v[18:19], -v[20:21]
	scratch_load_b128 v[18:21], off, off offset:640
	ds_load_b128 v[2:5], v1 offset:1328
	s_waitcnt vmcnt(10) lgkmcnt(1)
	v_mul_f64 v[216:217], v[154:155], v[24:25]
	v_mul_f64 v[24:25], v[156:157], v[24:25]
	s_waitcnt vmcnt(9) lgkmcnt(0)
	v_mul_f64 v[222:223], v[2:3], v[28:29]
	v_mul_f64 v[28:29], v[4:5], v[28:29]
	v_add_f64 v[212:213], v[212:213], v[162:163]
	v_add_f64 v[214:215], v[214:215], v[164:165]
	ds_load_b128 v[162:165], v1 offset:1344
	v_fma_f64 v[156:157], v[156:157], v[22:23], v[216:217]
	v_fma_f64 v[154:155], v[154:155], v[22:23], -v[24:25]
	scratch_load_b128 v[22:25], off, off offset:656
	v_add_f64 v[212:213], v[212:213], v[220:221]
	v_add_f64 v[214:215], v[214:215], v[218:219]
	v_fma_f64 v[218:219], v[4:5], v[26:27], v[222:223]
	v_fma_f64 v[220:221], v[2:3], v[26:27], -v[28:29]
	scratch_load_b128 v[26:29], off, off offset:672
	ds_load_b128 v[2:5], v1 offset:1360
	s_waitcnt vmcnt(10) lgkmcnt(1)
	v_mul_f64 v[216:217], v[162:163], v[32:33]
	v_mul_f64 v[32:33], v[164:165], v[32:33]
	s_waitcnt vmcnt(9) lgkmcnt(0)
	v_mul_f64 v[222:223], v[2:3], v[40:41]
	v_mul_f64 v[40:41], v[4:5], v[40:41]
	v_add_f64 v[212:213], v[212:213], v[154:155]
	v_add_f64 v[214:215], v[214:215], v[156:157]
	ds_load_b128 v[154:157], v1 offset:1376
	v_fma_f64 v[164:165], v[164:165], v[30:31], v[216:217]
	v_fma_f64 v[162:163], v[162:163], v[30:31], -v[32:33]
	scratch_load_b128 v[30:33], off, off offset:688
	v_add_f64 v[212:213], v[212:213], v[220:221]
	v_add_f64 v[214:215], v[214:215], v[218:219]
	v_fma_f64 v[220:221], v[4:5], v[38:39], v[222:223]
	v_fma_f64 v[222:223], v[2:3], v[38:39], -v[40:41]
	scratch_load_b128 v[38:41], off, off offset:704
	ds_load_b128 v[2:5], v1 offset:1392
	s_waitcnt vmcnt(9) lgkmcnt(1)
	v_mul_f64 v[216:217], v[154:155], v[160:161]
	v_mul_f64 v[218:219], v[156:157], v[160:161]
	v_add_f64 v[212:213], v[212:213], v[162:163]
	v_add_f64 v[164:165], v[214:215], v[164:165]
	ds_load_b128 v[160:163], v1 offset:1408
	v_fma_f64 v[216:217], v[156:157], v[158:159], v[216:217]
	v_fma_f64 v[158:159], v[154:155], v[158:159], -v[218:219]
	scratch_load_b128 v[154:157], off, off offset:720
	s_waitcnt vmcnt(9) lgkmcnt(1)
	v_mul_f64 v[214:215], v[2:3], v[36:37]
	v_mul_f64 v[36:37], v[4:5], v[36:37]
	v_add_f64 v[212:213], v[212:213], v[222:223]
	v_add_f64 v[164:165], v[164:165], v[220:221]
	s_delay_alu instid0(VALU_DEP_4) | instskip(NEXT) | instid1(VALU_DEP_4)
	v_fma_f64 v[220:221], v[4:5], v[34:35], v[214:215]
	v_fma_f64 v[222:223], v[2:3], v[34:35], -v[36:37]
	scratch_load_b128 v[34:37], off, off offset:736
	ds_load_b128 v[2:5], v1 offset:1424
	s_waitcnt vmcnt(9) lgkmcnt(1)
	v_mul_f64 v[218:219], v[160:161], v[8:9]
	v_mul_f64 v[8:9], v[162:163], v[8:9]
	v_add_f64 v[158:159], v[212:213], v[158:159]
	v_add_f64 v[164:165], v[164:165], v[216:217]
	s_waitcnt vmcnt(8) lgkmcnt(0)
	v_mul_f64 v[216:217], v[2:3], v[12:13]
	v_mul_f64 v[12:13], v[4:5], v[12:13]
	ds_load_b128 v[212:215], v1 offset:1440
	v_fma_f64 v[162:163], v[162:163], v[6:7], v[218:219]
	v_fma_f64 v[160:161], v[160:161], v[6:7], -v[8:9]
	scratch_load_b128 v[6:9], off, off offset:752
	v_add_f64 v[158:159], v[158:159], v[222:223]
	v_add_f64 v[164:165], v[164:165], v[220:221]
	v_fma_f64 v[216:217], v[4:5], v[10:11], v[216:217]
	v_fma_f64 v[220:221], v[2:3], v[10:11], -v[12:13]
	scratch_load_b128 v[10:13], off, off offset:768
	ds_load_b128 v[2:5], v1 offset:1456
	s_waitcnt vmcnt(9) lgkmcnt(1)
	v_mul_f64 v[218:219], v[212:213], v[16:17]
	v_mul_f64 v[16:17], v[214:215], v[16:17]
	v_add_f64 v[222:223], v[158:159], v[160:161]
	v_add_f64 v[162:163], v[164:165], v[162:163]
	s_waitcnt vmcnt(8) lgkmcnt(0)
	v_mul_f64 v[164:165], v[2:3], v[20:21]
	v_mul_f64 v[20:21], v[4:5], v[20:21]
	ds_load_b128 v[158:161], v1 offset:1472
	v_fma_f64 v[214:215], v[214:215], v[14:15], v[218:219]
	v_fma_f64 v[212:213], v[212:213], v[14:15], -v[16:17]
	scratch_load_b128 v[14:17], off, off offset:784
	v_add_f64 v[218:219], v[222:223], v[220:221]
	v_add_f64 v[162:163], v[162:163], v[216:217]
	v_fma_f64 v[220:221], v[4:5], v[18:19], v[164:165]
	v_fma_f64 v[222:223], v[2:3], v[18:19], -v[20:21]
	scratch_load_b128 v[18:21], off, off offset:800
	ds_load_b128 v[2:5], v1 offset:1488
	s_waitcnt vmcnt(9) lgkmcnt(1)
	v_mul_f64 v[216:217], v[158:159], v[24:25]
	v_mul_f64 v[24:25], v[160:161], v[24:25]
	v_add_f64 v[212:213], v[218:219], v[212:213]
	v_add_f64 v[214:215], v[162:163], v[214:215]
	s_waitcnt vmcnt(8) lgkmcnt(0)
	v_mul_f64 v[218:219], v[2:3], v[28:29]
	v_mul_f64 v[28:29], v[4:5], v[28:29]
	ds_load_b128 v[162:165], v1 offset:1504
	v_fma_f64 v[160:161], v[160:161], v[22:23], v[216:217]
	v_fma_f64 v[22:23], v[158:159], v[22:23], -v[24:25]
	v_add_f64 v[24:25], v[212:213], v[222:223]
	v_add_f64 v[158:159], v[214:215], v[220:221]
	s_waitcnt vmcnt(7) lgkmcnt(0)
	v_mul_f64 v[212:213], v[162:163], v[32:33]
	v_mul_f64 v[32:33], v[164:165], v[32:33]
	v_fma_f64 v[214:215], v[4:5], v[26:27], v[218:219]
	v_fma_f64 v[26:27], v[2:3], v[26:27], -v[28:29]
	v_add_f64 v[28:29], v[24:25], v[22:23]
	v_add_f64 v[158:159], v[158:159], v[160:161]
	ds_load_b128 v[2:5], v1 offset:1520
	ds_load_b128 v[22:25], v1 offset:1536
	v_fma_f64 v[164:165], v[164:165], v[30:31], v[212:213]
	v_fma_f64 v[30:31], v[162:163], v[30:31], -v[32:33]
	s_waitcnt vmcnt(6) lgkmcnt(1)
	v_mul_f64 v[160:161], v[2:3], v[40:41]
	v_mul_f64 v[40:41], v[4:5], v[40:41]
	s_waitcnt vmcnt(5) lgkmcnt(0)
	v_mul_f64 v[32:33], v[22:23], v[156:157]
	v_mul_f64 v[156:157], v[24:25], v[156:157]
	v_add_f64 v[26:27], v[28:29], v[26:27]
	v_add_f64 v[28:29], v[158:159], v[214:215]
	v_fma_f64 v[158:159], v[4:5], v[38:39], v[160:161]
	v_fma_f64 v[38:39], v[2:3], v[38:39], -v[40:41]
	v_fma_f64 v[24:25], v[24:25], v[154:155], v[32:33]
	v_fma_f64 v[22:23], v[22:23], v[154:155], -v[156:157]
	v_add_f64 v[30:31], v[26:27], v[30:31]
	v_add_f64 v[40:41], v[28:29], v[164:165]
	ds_load_b128 v[2:5], v1 offset:1552
	ds_load_b128 v[26:29], v1 offset:1568
	s_waitcnt vmcnt(4) lgkmcnt(1)
	v_mul_f64 v[160:161], v[2:3], v[36:37]
	v_mul_f64 v[36:37], v[4:5], v[36:37]
	v_add_f64 v[30:31], v[30:31], v[38:39]
	v_add_f64 v[32:33], v[40:41], v[158:159]
	s_waitcnt vmcnt(3) lgkmcnt(0)
	v_mul_f64 v[38:39], v[26:27], v[8:9]
	v_mul_f64 v[8:9], v[28:29], v[8:9]
	v_fma_f64 v[40:41], v[4:5], v[34:35], v[160:161]
	v_fma_f64 v[34:35], v[2:3], v[34:35], -v[36:37]
	v_add_f64 v[30:31], v[30:31], v[22:23]
	v_add_f64 v[32:33], v[32:33], v[24:25]
	ds_load_b128 v[2:5], v1 offset:1584
	ds_load_b128 v[22:25], v1 offset:1600
	v_fma_f64 v[28:29], v[28:29], v[6:7], v[38:39]
	v_fma_f64 v[6:7], v[26:27], v[6:7], -v[8:9]
	s_waitcnt vmcnt(2) lgkmcnt(1)
	v_mul_f64 v[36:37], v[2:3], v[12:13]
	v_mul_f64 v[12:13], v[4:5], v[12:13]
	v_add_f64 v[8:9], v[30:31], v[34:35]
	v_add_f64 v[26:27], v[32:33], v[40:41]
	s_waitcnt vmcnt(1) lgkmcnt(0)
	v_mul_f64 v[30:31], v[22:23], v[16:17]
	v_mul_f64 v[16:17], v[24:25], v[16:17]
	v_fma_f64 v[32:33], v[4:5], v[10:11], v[36:37]
	v_fma_f64 v[10:11], v[2:3], v[10:11], -v[12:13]
	ds_load_b128 v[2:5], v1 offset:1616
	v_add_f64 v[6:7], v[8:9], v[6:7]
	v_add_f64 v[8:9], v[26:27], v[28:29]
	v_fma_f64 v[24:25], v[24:25], v[14:15], v[30:31]
	v_fma_f64 v[14:15], v[22:23], v[14:15], -v[16:17]
	s_waitcnt vmcnt(0) lgkmcnt(0)
	v_mul_f64 v[12:13], v[2:3], v[20:21]
	v_mul_f64 v[20:21], v[4:5], v[20:21]
	v_add_f64 v[6:7], v[6:7], v[10:11]
	v_add_f64 v[8:9], v[8:9], v[32:33]
	s_delay_alu instid0(VALU_DEP_4) | instskip(NEXT) | instid1(VALU_DEP_4)
	v_fma_f64 v[4:5], v[4:5], v[18:19], v[12:13]
	v_fma_f64 v[2:3], v[2:3], v[18:19], -v[20:21]
	s_delay_alu instid0(VALU_DEP_4) | instskip(NEXT) | instid1(VALU_DEP_4)
	v_add_f64 v[6:7], v[6:7], v[14:15]
	v_add_f64 v[8:9], v[8:9], v[24:25]
	s_delay_alu instid0(VALU_DEP_2) | instskip(NEXT) | instid1(VALU_DEP_2)
	v_add_f64 v[2:3], v[6:7], v[2:3]
	v_add_f64 v[4:5], v[8:9], v[4:5]
	s_delay_alu instid0(VALU_DEP_2) | instskip(NEXT) | instid1(VALU_DEP_2)
	v_add_f64 v[2:3], v[42:43], -v[2:3]
	v_add_f64 v[4:5], v[44:45], -v[4:5]
	scratch_store_b128 off, v[2:5], off offset:400
	v_cmpx_lt_u32_e32 24, v148
	s_cbranch_execz .LBB50_271
; %bb.270:
	scratch_load_b128 v[5:8], v174, off
	v_mov_b32_e32 v2, v1
	v_mov_b32_e32 v3, v1
	;; [unrolled: 1-line block ×3, first 2 shown]
	scratch_store_b128 off, v[1:4], off offset:384
	s_waitcnt vmcnt(0)
	ds_store_b128 v199, v[5:8]
.LBB50_271:
	s_or_b32 exec_lo, exec_lo, s2
	s_waitcnt lgkmcnt(0)
	s_waitcnt_vscnt null, 0x0
	s_barrier
	buffer_gl0_inv
	s_clause 0x8
	scratch_load_b128 v[2:5], off, off offset:400
	scratch_load_b128 v[6:9], off, off offset:416
	;; [unrolled: 1-line block ×9, first 2 shown]
	ds_load_b128 v[38:41], v1 offset:1216
	ds_load_b128 v[42:45], v1 offset:1232
	s_clause 0x1
	scratch_load_b128 v[154:157], off, off offset:384
	scratch_load_b128 v[158:161], off, off offset:544
	s_mov_b32 s2, exec_lo
	s_waitcnt vmcnt(10) lgkmcnt(1)
	v_mul_f64 v[162:163], v[40:41], v[4:5]
	v_mul_f64 v[4:5], v[38:39], v[4:5]
	s_waitcnt vmcnt(9) lgkmcnt(0)
	v_mul_f64 v[212:213], v[42:43], v[8:9]
	v_mul_f64 v[8:9], v[44:45], v[8:9]
	s_delay_alu instid0(VALU_DEP_4) | instskip(NEXT) | instid1(VALU_DEP_4)
	v_fma_f64 v[214:215], v[38:39], v[2:3], -v[162:163]
	v_fma_f64 v[216:217], v[40:41], v[2:3], v[4:5]
	ds_load_b128 v[2:5], v1 offset:1248
	ds_load_b128 v[162:165], v1 offset:1264
	scratch_load_b128 v[38:41], off, off offset:560
	v_fma_f64 v[44:45], v[44:45], v[6:7], v[212:213]
	v_fma_f64 v[42:43], v[42:43], v[6:7], -v[8:9]
	scratch_load_b128 v[6:9], off, off offset:576
	s_waitcnt vmcnt(10) lgkmcnt(1)
	v_mul_f64 v[218:219], v[2:3], v[12:13]
	v_mul_f64 v[12:13], v[4:5], v[12:13]
	v_add_f64 v[212:213], v[214:215], 0
	v_add_f64 v[214:215], v[216:217], 0
	s_waitcnt vmcnt(9) lgkmcnt(0)
	v_mul_f64 v[216:217], v[162:163], v[16:17]
	v_mul_f64 v[16:17], v[164:165], v[16:17]
	v_fma_f64 v[218:219], v[4:5], v[10:11], v[218:219]
	v_fma_f64 v[220:221], v[2:3], v[10:11], -v[12:13]
	ds_load_b128 v[2:5], v1 offset:1280
	scratch_load_b128 v[10:13], off, off offset:592
	v_add_f64 v[212:213], v[212:213], v[42:43]
	v_add_f64 v[214:215], v[214:215], v[44:45]
	ds_load_b128 v[42:45], v1 offset:1296
	v_fma_f64 v[164:165], v[164:165], v[14:15], v[216:217]
	v_fma_f64 v[162:163], v[162:163], v[14:15], -v[16:17]
	scratch_load_b128 v[14:17], off, off offset:608
	s_waitcnt vmcnt(10) lgkmcnt(1)
	v_mul_f64 v[222:223], v[2:3], v[20:21]
	v_mul_f64 v[20:21], v[4:5], v[20:21]
	s_waitcnt vmcnt(9) lgkmcnt(0)
	v_mul_f64 v[216:217], v[42:43], v[24:25]
	v_mul_f64 v[24:25], v[44:45], v[24:25]
	v_add_f64 v[212:213], v[212:213], v[220:221]
	v_add_f64 v[214:215], v[214:215], v[218:219]
	v_fma_f64 v[218:219], v[4:5], v[18:19], v[222:223]
	v_fma_f64 v[220:221], v[2:3], v[18:19], -v[20:21]
	ds_load_b128 v[2:5], v1 offset:1312
	scratch_load_b128 v[18:21], off, off offset:624
	v_fma_f64 v[44:45], v[44:45], v[22:23], v[216:217]
	v_fma_f64 v[42:43], v[42:43], v[22:23], -v[24:25]
	scratch_load_b128 v[22:25], off, off offset:640
	v_add_f64 v[212:213], v[212:213], v[162:163]
	v_add_f64 v[214:215], v[214:215], v[164:165]
	ds_load_b128 v[162:165], v1 offset:1328
	s_waitcnt vmcnt(10) lgkmcnt(1)
	v_mul_f64 v[222:223], v[2:3], v[28:29]
	v_mul_f64 v[28:29], v[4:5], v[28:29]
	s_waitcnt vmcnt(9) lgkmcnt(0)
	v_mul_f64 v[216:217], v[162:163], v[32:33]
	v_mul_f64 v[32:33], v[164:165], v[32:33]
	v_add_f64 v[212:213], v[212:213], v[220:221]
	v_add_f64 v[214:215], v[214:215], v[218:219]
	v_fma_f64 v[218:219], v[4:5], v[26:27], v[222:223]
	v_fma_f64 v[220:221], v[2:3], v[26:27], -v[28:29]
	ds_load_b128 v[2:5], v1 offset:1344
	scratch_load_b128 v[26:29], off, off offset:656
	v_fma_f64 v[164:165], v[164:165], v[30:31], v[216:217]
	v_fma_f64 v[162:163], v[162:163], v[30:31], -v[32:33]
	scratch_load_b128 v[30:33], off, off offset:672
	v_add_f64 v[212:213], v[212:213], v[42:43]
	v_add_f64 v[214:215], v[214:215], v[44:45]
	ds_load_b128 v[42:45], v1 offset:1360
	s_waitcnt vmcnt(10) lgkmcnt(1)
	v_mul_f64 v[222:223], v[2:3], v[36:37]
	v_mul_f64 v[36:37], v[4:5], v[36:37]
	s_waitcnt vmcnt(8) lgkmcnt(0)
	v_mul_f64 v[216:217], v[42:43], v[160:161]
	v_add_f64 v[212:213], v[212:213], v[220:221]
	v_add_f64 v[214:215], v[214:215], v[218:219]
	v_mul_f64 v[218:219], v[44:45], v[160:161]
	v_fma_f64 v[220:221], v[4:5], v[34:35], v[222:223]
	v_fma_f64 v[222:223], v[2:3], v[34:35], -v[36:37]
	ds_load_b128 v[2:5], v1 offset:1376
	scratch_load_b128 v[34:37], off, off offset:688
	v_fma_f64 v[44:45], v[44:45], v[158:159], v[216:217]
	v_add_f64 v[212:213], v[212:213], v[162:163]
	v_add_f64 v[164:165], v[214:215], v[164:165]
	ds_load_b128 v[160:163], v1 offset:1392
	v_fma_f64 v[158:159], v[42:43], v[158:159], -v[218:219]
	ds_load_b128 v[216:219], v1 offset:1424
	s_waitcnt vmcnt(8) lgkmcnt(2)
	v_mul_f64 v[214:215], v[2:3], v[40:41]
	v_mul_f64 v[224:225], v[4:5], v[40:41]
	scratch_load_b128 v[40:43], off, off offset:704
	v_add_f64 v[212:213], v[212:213], v[222:223]
	v_add_f64 v[164:165], v[164:165], v[220:221]
	s_waitcnt vmcnt(8) lgkmcnt(1)
	v_mul_f64 v[220:221], v[160:161], v[8:9]
	v_mul_f64 v[8:9], v[162:163], v[8:9]
	v_fma_f64 v[222:223], v[4:5], v[38:39], v[214:215]
	v_fma_f64 v[38:39], v[2:3], v[38:39], -v[224:225]
	ds_load_b128 v[2:5], v1 offset:1408
	v_add_f64 v[158:159], v[212:213], v[158:159]
	v_add_f64 v[44:45], v[164:165], v[44:45]
	scratch_load_b128 v[212:215], off, off offset:720
	v_fma_f64 v[162:163], v[162:163], v[6:7], v[220:221]
	s_waitcnt vmcnt(8) lgkmcnt(0)
	v_mul_f64 v[164:165], v[2:3], v[12:13]
	v_mul_f64 v[12:13], v[4:5], v[12:13]
	v_fma_f64 v[160:161], v[160:161], v[6:7], -v[8:9]
	scratch_load_b128 v[6:9], off, off offset:736
	s_waitcnt vmcnt(8)
	v_mul_f64 v[220:221], v[216:217], v[16:17]
	v_mul_f64 v[16:17], v[218:219], v[16:17]
	v_add_f64 v[38:39], v[158:159], v[38:39]
	v_add_f64 v[44:45], v[44:45], v[222:223]
	v_fma_f64 v[164:165], v[4:5], v[10:11], v[164:165]
	v_fma_f64 v[222:223], v[2:3], v[10:11], -v[12:13]
	ds_load_b128 v[2:5], v1 offset:1440
	scratch_load_b128 v[10:13], off, off offset:752
	v_fma_f64 v[218:219], v[218:219], v[14:15], v[220:221]
	v_fma_f64 v[216:217], v[216:217], v[14:15], -v[16:17]
	scratch_load_b128 v[14:17], off, off offset:768
	v_add_f64 v[38:39], v[38:39], v[160:161]
	v_add_f64 v[44:45], v[44:45], v[162:163]
	ds_load_b128 v[158:161], v1 offset:1456
	s_waitcnt vmcnt(9) lgkmcnt(1)
	v_mul_f64 v[162:163], v[2:3], v[20:21]
	v_mul_f64 v[20:21], v[4:5], v[20:21]
	s_waitcnt vmcnt(8) lgkmcnt(0)
	v_mul_f64 v[220:221], v[158:159], v[24:25]
	v_mul_f64 v[24:25], v[160:161], v[24:25]
	v_add_f64 v[38:39], v[38:39], v[222:223]
	v_add_f64 v[44:45], v[44:45], v[164:165]
	v_fma_f64 v[222:223], v[4:5], v[18:19], v[162:163]
	v_fma_f64 v[224:225], v[2:3], v[18:19], -v[20:21]
	ds_load_b128 v[2:5], v1 offset:1472
	ds_load_b128 v[162:165], v1 offset:1488
	scratch_load_b128 v[18:21], off, off offset:784
	v_fma_f64 v[160:161], v[160:161], v[22:23], v[220:221]
	v_fma_f64 v[158:159], v[158:159], v[22:23], -v[24:25]
	scratch_load_b128 v[22:25], off, off offset:800
	v_add_f64 v[38:39], v[38:39], v[216:217]
	v_add_f64 v[44:45], v[44:45], v[218:219]
	s_waitcnt vmcnt(9) lgkmcnt(1)
	v_mul_f64 v[216:217], v[2:3], v[28:29]
	v_mul_f64 v[28:29], v[4:5], v[28:29]
	s_waitcnt vmcnt(8) lgkmcnt(0)
	v_mul_f64 v[218:219], v[162:163], v[32:33]
	v_mul_f64 v[32:33], v[164:165], v[32:33]
	v_add_f64 v[38:39], v[38:39], v[224:225]
	v_add_f64 v[44:45], v[44:45], v[222:223]
	v_fma_f64 v[216:217], v[4:5], v[26:27], v[216:217]
	v_fma_f64 v[220:221], v[2:3], v[26:27], -v[28:29]
	ds_load_b128 v[2:5], v1 offset:1504
	ds_load_b128 v[26:29], v1 offset:1520
	v_add_f64 v[38:39], v[38:39], v[158:159]
	v_add_f64 v[44:45], v[44:45], v[160:161]
	s_waitcnt vmcnt(7) lgkmcnt(1)
	v_mul_f64 v[158:159], v[2:3], v[36:37]
	v_mul_f64 v[36:37], v[4:5], v[36:37]
	v_fma_f64 v[160:161], v[164:165], v[30:31], v[218:219]
	v_fma_f64 v[30:31], v[162:163], v[30:31], -v[32:33]
	v_add_f64 v[32:33], v[38:39], v[220:221]
	v_add_f64 v[38:39], v[44:45], v[216:217]
	s_waitcnt vmcnt(6) lgkmcnt(0)
	v_mul_f64 v[44:45], v[26:27], v[42:43]
	v_mul_f64 v[42:43], v[28:29], v[42:43]
	v_fma_f64 v[158:159], v[4:5], v[34:35], v[158:159]
	v_fma_f64 v[34:35], v[2:3], v[34:35], -v[36:37]
	v_add_f64 v[36:37], v[32:33], v[30:31]
	v_add_f64 v[38:39], v[38:39], v[160:161]
	ds_load_b128 v[2:5], v1 offset:1536
	ds_load_b128 v[30:33], v1 offset:1552
	v_fma_f64 v[28:29], v[28:29], v[40:41], v[44:45]
	v_fma_f64 v[26:27], v[26:27], v[40:41], -v[42:43]
	s_waitcnt vmcnt(5) lgkmcnt(1)
	v_mul_f64 v[160:161], v[2:3], v[214:215]
	v_mul_f64 v[162:163], v[4:5], v[214:215]
	v_add_f64 v[34:35], v[36:37], v[34:35]
	v_add_f64 v[36:37], v[38:39], v[158:159]
	s_waitcnt vmcnt(4) lgkmcnt(0)
	v_mul_f64 v[38:39], v[30:31], v[8:9]
	v_mul_f64 v[8:9], v[32:33], v[8:9]
	v_fma_f64 v[40:41], v[4:5], v[212:213], v[160:161]
	v_fma_f64 v[42:43], v[2:3], v[212:213], -v[162:163]
	v_add_f64 v[34:35], v[34:35], v[26:27]
	v_add_f64 v[36:37], v[36:37], v[28:29]
	ds_load_b128 v[2:5], v1 offset:1568
	ds_load_b128 v[26:29], v1 offset:1584
	v_fma_f64 v[32:33], v[32:33], v[6:7], v[38:39]
	v_fma_f64 v[6:7], v[30:31], v[6:7], -v[8:9]
	s_waitcnt vmcnt(3) lgkmcnt(1)
	v_mul_f64 v[44:45], v[2:3], v[12:13]
	v_mul_f64 v[12:13], v[4:5], v[12:13]
	v_add_f64 v[8:9], v[34:35], v[42:43]
	v_add_f64 v[30:31], v[36:37], v[40:41]
	s_waitcnt vmcnt(2) lgkmcnt(0)
	v_mul_f64 v[34:35], v[26:27], v[16:17]
	v_mul_f64 v[16:17], v[28:29], v[16:17]
	v_fma_f64 v[36:37], v[4:5], v[10:11], v[44:45]
	v_fma_f64 v[10:11], v[2:3], v[10:11], -v[12:13]
	v_add_f64 v[12:13], v[8:9], v[6:7]
	v_add_f64 v[30:31], v[30:31], v[32:33]
	ds_load_b128 v[2:5], v1 offset:1600
	ds_load_b128 v[6:9], v1 offset:1616
	v_fma_f64 v[28:29], v[28:29], v[14:15], v[34:35]
	v_fma_f64 v[14:15], v[26:27], v[14:15], -v[16:17]
	s_waitcnt vmcnt(1) lgkmcnt(1)
	v_mul_f64 v[32:33], v[2:3], v[20:21]
	v_mul_f64 v[20:21], v[4:5], v[20:21]
	s_waitcnt vmcnt(0) lgkmcnt(0)
	v_mul_f64 v[16:17], v[6:7], v[24:25]
	v_mul_f64 v[24:25], v[8:9], v[24:25]
	v_add_f64 v[10:11], v[12:13], v[10:11]
	v_add_f64 v[12:13], v[30:31], v[36:37]
	v_fma_f64 v[4:5], v[4:5], v[18:19], v[32:33]
	v_fma_f64 v[1:2], v[2:3], v[18:19], -v[20:21]
	v_fma_f64 v[8:9], v[8:9], v[22:23], v[16:17]
	v_fma_f64 v[6:7], v[6:7], v[22:23], -v[24:25]
	v_add_f64 v[10:11], v[10:11], v[14:15]
	v_add_f64 v[12:13], v[12:13], v[28:29]
	s_delay_alu instid0(VALU_DEP_2) | instskip(NEXT) | instid1(VALU_DEP_2)
	v_add_f64 v[1:2], v[10:11], v[1:2]
	v_add_f64 v[3:4], v[12:13], v[4:5]
	s_delay_alu instid0(VALU_DEP_2) | instskip(NEXT) | instid1(VALU_DEP_2)
	;; [unrolled: 3-line block ×3, first 2 shown]
	v_add_f64 v[1:2], v[154:155], -v[1:2]
	v_add_f64 v[3:4], v[156:157], -v[3:4]
	scratch_store_b128 off, v[1:4], off offset:384
	v_cmpx_lt_u32_e32 23, v148
	s_cbranch_execz .LBB50_273
; %bb.272:
	scratch_load_b128 v[1:4], v176, off
	v_mov_b32_e32 v5, 0
	s_delay_alu instid0(VALU_DEP_1)
	v_mov_b32_e32 v6, v5
	v_mov_b32_e32 v7, v5
	;; [unrolled: 1-line block ×3, first 2 shown]
	scratch_store_b128 off, v[5:8], off offset:368
	s_waitcnt vmcnt(0)
	ds_store_b128 v199, v[1:4]
.LBB50_273:
	s_or_b32 exec_lo, exec_lo, s2
	s_waitcnt lgkmcnt(0)
	s_waitcnt_vscnt null, 0x0
	s_barrier
	buffer_gl0_inv
	s_clause 0x7
	scratch_load_b128 v[2:5], off, off offset:384
	scratch_load_b128 v[6:9], off, off offset:400
	;; [unrolled: 1-line block ×8, first 2 shown]
	v_mov_b32_e32 v1, 0
	s_mov_b32 s2, exec_lo
	ds_load_b128 v[38:41], v1 offset:1200
	s_clause 0x1
	scratch_load_b128 v[34:37], off, off offset:512
	scratch_load_b128 v[42:45], off, off offset:368
	ds_load_b128 v[154:157], v1 offset:1216
	scratch_load_b128 v[158:161], off, off offset:528
	s_waitcnt vmcnt(10) lgkmcnt(1)
	v_mul_f64 v[162:163], v[40:41], v[4:5]
	v_mul_f64 v[4:5], v[38:39], v[4:5]
	s_delay_alu instid0(VALU_DEP_2) | instskip(NEXT) | instid1(VALU_DEP_2)
	v_fma_f64 v[214:215], v[38:39], v[2:3], -v[162:163]
	v_fma_f64 v[216:217], v[40:41], v[2:3], v[4:5]
	scratch_load_b128 v[38:41], off, off offset:544
	ds_load_b128 v[2:5], v1 offset:1232
	s_waitcnt vmcnt(10) lgkmcnt(1)
	v_mul_f64 v[212:213], v[154:155], v[8:9]
	v_mul_f64 v[8:9], v[156:157], v[8:9]
	ds_load_b128 v[162:165], v1 offset:1248
	s_waitcnt vmcnt(9) lgkmcnt(1)
	v_mul_f64 v[218:219], v[2:3], v[12:13]
	v_mul_f64 v[12:13], v[4:5], v[12:13]
	v_fma_f64 v[156:157], v[156:157], v[6:7], v[212:213]
	v_fma_f64 v[154:155], v[154:155], v[6:7], -v[8:9]
	v_add_f64 v[212:213], v[214:215], 0
	v_add_f64 v[214:215], v[216:217], 0
	scratch_load_b128 v[6:9], off, off offset:560
	v_fma_f64 v[218:219], v[4:5], v[10:11], v[218:219]
	v_fma_f64 v[220:221], v[2:3], v[10:11], -v[12:13]
	scratch_load_b128 v[10:13], off, off offset:576
	ds_load_b128 v[2:5], v1 offset:1264
	s_waitcnt vmcnt(10) lgkmcnt(1)
	v_mul_f64 v[216:217], v[162:163], v[16:17]
	v_mul_f64 v[16:17], v[164:165], v[16:17]
	v_add_f64 v[212:213], v[212:213], v[154:155]
	v_add_f64 v[214:215], v[214:215], v[156:157]
	s_waitcnt vmcnt(9) lgkmcnt(0)
	v_mul_f64 v[222:223], v[2:3], v[20:21]
	v_mul_f64 v[20:21], v[4:5], v[20:21]
	ds_load_b128 v[154:157], v1 offset:1280
	v_fma_f64 v[164:165], v[164:165], v[14:15], v[216:217]
	v_fma_f64 v[162:163], v[162:163], v[14:15], -v[16:17]
	scratch_load_b128 v[14:17], off, off offset:592
	v_add_f64 v[212:213], v[212:213], v[220:221]
	v_add_f64 v[214:215], v[214:215], v[218:219]
	v_fma_f64 v[218:219], v[4:5], v[18:19], v[222:223]
	v_fma_f64 v[220:221], v[2:3], v[18:19], -v[20:21]
	scratch_load_b128 v[18:21], off, off offset:608
	ds_load_b128 v[2:5], v1 offset:1296
	s_waitcnt vmcnt(10) lgkmcnt(1)
	v_mul_f64 v[216:217], v[154:155], v[24:25]
	v_mul_f64 v[24:25], v[156:157], v[24:25]
	s_waitcnt vmcnt(9) lgkmcnt(0)
	v_mul_f64 v[222:223], v[2:3], v[28:29]
	v_mul_f64 v[28:29], v[4:5], v[28:29]
	v_add_f64 v[212:213], v[212:213], v[162:163]
	v_add_f64 v[214:215], v[214:215], v[164:165]
	ds_load_b128 v[162:165], v1 offset:1312
	v_fma_f64 v[156:157], v[156:157], v[22:23], v[216:217]
	v_fma_f64 v[154:155], v[154:155], v[22:23], -v[24:25]
	scratch_load_b128 v[22:25], off, off offset:624
	v_add_f64 v[212:213], v[212:213], v[220:221]
	v_add_f64 v[214:215], v[214:215], v[218:219]
	v_fma_f64 v[218:219], v[4:5], v[26:27], v[222:223]
	v_fma_f64 v[220:221], v[2:3], v[26:27], -v[28:29]
	scratch_load_b128 v[26:29], off, off offset:640
	ds_load_b128 v[2:5], v1 offset:1328
	s_waitcnt vmcnt(10) lgkmcnt(1)
	v_mul_f64 v[216:217], v[162:163], v[32:33]
	v_mul_f64 v[32:33], v[164:165], v[32:33]
	s_waitcnt vmcnt(9) lgkmcnt(0)
	v_mul_f64 v[222:223], v[2:3], v[36:37]
	v_mul_f64 v[36:37], v[4:5], v[36:37]
	v_add_f64 v[212:213], v[212:213], v[154:155]
	v_add_f64 v[214:215], v[214:215], v[156:157]
	ds_load_b128 v[154:157], v1 offset:1344
	v_fma_f64 v[164:165], v[164:165], v[30:31], v[216:217]
	v_fma_f64 v[162:163], v[162:163], v[30:31], -v[32:33]
	scratch_load_b128 v[30:33], off, off offset:656
	v_add_f64 v[212:213], v[212:213], v[220:221]
	v_add_f64 v[214:215], v[214:215], v[218:219]
	v_fma_f64 v[220:221], v[4:5], v[34:35], v[222:223]
	v_fma_f64 v[222:223], v[2:3], v[34:35], -v[36:37]
	scratch_load_b128 v[34:37], off, off offset:672
	ds_load_b128 v[2:5], v1 offset:1360
	s_waitcnt vmcnt(9) lgkmcnt(1)
	v_mul_f64 v[216:217], v[154:155], v[160:161]
	v_mul_f64 v[218:219], v[156:157], v[160:161]
	v_add_f64 v[212:213], v[212:213], v[162:163]
	v_add_f64 v[164:165], v[214:215], v[164:165]
	ds_load_b128 v[160:163], v1 offset:1376
	v_fma_f64 v[216:217], v[156:157], v[158:159], v[216:217]
	v_fma_f64 v[158:159], v[154:155], v[158:159], -v[218:219]
	scratch_load_b128 v[154:157], off, off offset:688
	s_waitcnt vmcnt(9) lgkmcnt(1)
	v_mul_f64 v[214:215], v[2:3], v[40:41]
	v_mul_f64 v[40:41], v[4:5], v[40:41]
	v_add_f64 v[212:213], v[212:213], v[222:223]
	v_add_f64 v[164:165], v[164:165], v[220:221]
	s_delay_alu instid0(VALU_DEP_4) | instskip(NEXT) | instid1(VALU_DEP_4)
	v_fma_f64 v[220:221], v[4:5], v[38:39], v[214:215]
	v_fma_f64 v[222:223], v[2:3], v[38:39], -v[40:41]
	scratch_load_b128 v[38:41], off, off offset:704
	ds_load_b128 v[2:5], v1 offset:1392
	s_waitcnt vmcnt(9) lgkmcnt(1)
	v_mul_f64 v[218:219], v[160:161], v[8:9]
	v_mul_f64 v[8:9], v[162:163], v[8:9]
	v_add_f64 v[158:159], v[212:213], v[158:159]
	v_add_f64 v[164:165], v[164:165], v[216:217]
	s_waitcnt vmcnt(8) lgkmcnt(0)
	v_mul_f64 v[216:217], v[2:3], v[12:13]
	v_mul_f64 v[12:13], v[4:5], v[12:13]
	ds_load_b128 v[212:215], v1 offset:1408
	v_fma_f64 v[162:163], v[162:163], v[6:7], v[218:219]
	v_fma_f64 v[160:161], v[160:161], v[6:7], -v[8:9]
	scratch_load_b128 v[6:9], off, off offset:720
	v_add_f64 v[158:159], v[158:159], v[222:223]
	v_add_f64 v[164:165], v[164:165], v[220:221]
	v_fma_f64 v[216:217], v[4:5], v[10:11], v[216:217]
	v_fma_f64 v[220:221], v[2:3], v[10:11], -v[12:13]
	scratch_load_b128 v[10:13], off, off offset:736
	ds_load_b128 v[2:5], v1 offset:1424
	s_waitcnt vmcnt(9) lgkmcnt(1)
	v_mul_f64 v[218:219], v[212:213], v[16:17]
	v_mul_f64 v[16:17], v[214:215], v[16:17]
	v_add_f64 v[222:223], v[158:159], v[160:161]
	v_add_f64 v[162:163], v[164:165], v[162:163]
	s_waitcnt vmcnt(8) lgkmcnt(0)
	v_mul_f64 v[164:165], v[2:3], v[20:21]
	v_mul_f64 v[20:21], v[4:5], v[20:21]
	ds_load_b128 v[158:161], v1 offset:1440
	v_fma_f64 v[214:215], v[214:215], v[14:15], v[218:219]
	v_fma_f64 v[212:213], v[212:213], v[14:15], -v[16:17]
	scratch_load_b128 v[14:17], off, off offset:752
	v_add_f64 v[218:219], v[222:223], v[220:221]
	v_add_f64 v[162:163], v[162:163], v[216:217]
	;; [unrolled: 18-line block ×3, first 2 shown]
	v_fma_f64 v[218:219], v[4:5], v[26:27], v[218:219]
	v_fma_f64 v[220:221], v[2:3], v[26:27], -v[28:29]
	scratch_load_b128 v[26:29], off, off offset:800
	ds_load_b128 v[2:5], v1 offset:1488
	s_waitcnt vmcnt(9) lgkmcnt(1)
	v_mul_f64 v[216:217], v[162:163], v[32:33]
	v_mul_f64 v[32:33], v[164:165], v[32:33]
	s_waitcnt vmcnt(8) lgkmcnt(0)
	v_mul_f64 v[222:223], v[2:3], v[36:37]
	v_mul_f64 v[36:37], v[4:5], v[36:37]
	v_add_f64 v[212:213], v[212:213], v[158:159]
	v_add_f64 v[214:215], v[214:215], v[160:161]
	ds_load_b128 v[158:161], v1 offset:1504
	v_fma_f64 v[164:165], v[164:165], v[30:31], v[216:217]
	v_fma_f64 v[30:31], v[162:163], v[30:31], -v[32:33]
	v_add_f64 v[32:33], v[212:213], v[220:221]
	v_add_f64 v[162:163], v[214:215], v[218:219]
	s_waitcnt vmcnt(7) lgkmcnt(0)
	v_mul_f64 v[212:213], v[158:159], v[156:157]
	v_mul_f64 v[156:157], v[160:161], v[156:157]
	v_fma_f64 v[214:215], v[4:5], v[34:35], v[222:223]
	v_fma_f64 v[34:35], v[2:3], v[34:35], -v[36:37]
	v_add_f64 v[36:37], v[32:33], v[30:31]
	v_add_f64 v[162:163], v[162:163], v[164:165]
	ds_load_b128 v[2:5], v1 offset:1520
	ds_load_b128 v[30:33], v1 offset:1536
	v_fma_f64 v[160:161], v[160:161], v[154:155], v[212:213]
	v_fma_f64 v[154:155], v[158:159], v[154:155], -v[156:157]
	s_waitcnt vmcnt(6) lgkmcnt(1)
	v_mul_f64 v[164:165], v[2:3], v[40:41]
	v_mul_f64 v[40:41], v[4:5], v[40:41]
	s_waitcnt vmcnt(5) lgkmcnt(0)
	v_mul_f64 v[156:157], v[30:31], v[8:9]
	v_mul_f64 v[8:9], v[32:33], v[8:9]
	v_add_f64 v[34:35], v[36:37], v[34:35]
	v_add_f64 v[36:37], v[162:163], v[214:215]
	v_fma_f64 v[158:159], v[4:5], v[38:39], v[164:165]
	v_fma_f64 v[38:39], v[2:3], v[38:39], -v[40:41]
	v_fma_f64 v[32:33], v[32:33], v[6:7], v[156:157]
	v_fma_f64 v[6:7], v[30:31], v[6:7], -v[8:9]
	v_add_f64 v[40:41], v[34:35], v[154:155]
	v_add_f64 v[154:155], v[36:37], v[160:161]
	ds_load_b128 v[2:5], v1 offset:1552
	ds_load_b128 v[34:37], v1 offset:1568
	s_waitcnt vmcnt(4) lgkmcnt(1)
	v_mul_f64 v[160:161], v[2:3], v[12:13]
	v_mul_f64 v[12:13], v[4:5], v[12:13]
	v_add_f64 v[8:9], v[40:41], v[38:39]
	v_add_f64 v[30:31], v[154:155], v[158:159]
	s_waitcnt vmcnt(3) lgkmcnt(0)
	v_mul_f64 v[38:39], v[34:35], v[16:17]
	v_mul_f64 v[16:17], v[36:37], v[16:17]
	v_fma_f64 v[40:41], v[4:5], v[10:11], v[160:161]
	v_fma_f64 v[10:11], v[2:3], v[10:11], -v[12:13]
	v_add_f64 v[12:13], v[8:9], v[6:7]
	v_add_f64 v[30:31], v[30:31], v[32:33]
	ds_load_b128 v[2:5], v1 offset:1584
	ds_load_b128 v[6:9], v1 offset:1600
	v_fma_f64 v[36:37], v[36:37], v[14:15], v[38:39]
	v_fma_f64 v[14:15], v[34:35], v[14:15], -v[16:17]
	s_waitcnt vmcnt(2) lgkmcnt(1)
	v_mul_f64 v[32:33], v[2:3], v[20:21]
	v_mul_f64 v[20:21], v[4:5], v[20:21]
	s_waitcnt vmcnt(1) lgkmcnt(0)
	v_mul_f64 v[16:17], v[6:7], v[24:25]
	v_mul_f64 v[24:25], v[8:9], v[24:25]
	v_add_f64 v[10:11], v[12:13], v[10:11]
	v_add_f64 v[12:13], v[30:31], v[40:41]
	v_fma_f64 v[30:31], v[4:5], v[18:19], v[32:33]
	v_fma_f64 v[18:19], v[2:3], v[18:19], -v[20:21]
	ds_load_b128 v[2:5], v1 offset:1616
	v_fma_f64 v[8:9], v[8:9], v[22:23], v[16:17]
	v_fma_f64 v[6:7], v[6:7], v[22:23], -v[24:25]
	v_add_f64 v[10:11], v[10:11], v[14:15]
	v_add_f64 v[12:13], v[12:13], v[36:37]
	s_waitcnt vmcnt(0) lgkmcnt(0)
	v_mul_f64 v[14:15], v[2:3], v[28:29]
	v_mul_f64 v[20:21], v[4:5], v[28:29]
	s_delay_alu instid0(VALU_DEP_4) | instskip(NEXT) | instid1(VALU_DEP_4)
	v_add_f64 v[10:11], v[10:11], v[18:19]
	v_add_f64 v[12:13], v[12:13], v[30:31]
	s_delay_alu instid0(VALU_DEP_4) | instskip(NEXT) | instid1(VALU_DEP_4)
	v_fma_f64 v[4:5], v[4:5], v[26:27], v[14:15]
	v_fma_f64 v[2:3], v[2:3], v[26:27], -v[20:21]
	s_delay_alu instid0(VALU_DEP_4) | instskip(NEXT) | instid1(VALU_DEP_4)
	v_add_f64 v[6:7], v[10:11], v[6:7]
	v_add_f64 v[8:9], v[12:13], v[8:9]
	s_delay_alu instid0(VALU_DEP_2) | instskip(NEXT) | instid1(VALU_DEP_2)
	v_add_f64 v[2:3], v[6:7], v[2:3]
	v_add_f64 v[4:5], v[8:9], v[4:5]
	s_delay_alu instid0(VALU_DEP_2) | instskip(NEXT) | instid1(VALU_DEP_2)
	v_add_f64 v[2:3], v[42:43], -v[2:3]
	v_add_f64 v[4:5], v[44:45], -v[4:5]
	scratch_store_b128 off, v[2:5], off offset:368
	v_cmpx_lt_u32_e32 22, v148
	s_cbranch_execz .LBB50_275
; %bb.274:
	scratch_load_b128 v[5:8], v177, off
	v_mov_b32_e32 v2, v1
	v_mov_b32_e32 v3, v1
	;; [unrolled: 1-line block ×3, first 2 shown]
	scratch_store_b128 off, v[1:4], off offset:352
	s_waitcnt vmcnt(0)
	ds_store_b128 v199, v[5:8]
.LBB50_275:
	s_or_b32 exec_lo, exec_lo, s2
	s_waitcnt lgkmcnt(0)
	s_waitcnt_vscnt null, 0x0
	s_barrier
	buffer_gl0_inv
	s_clause 0x8
	scratch_load_b128 v[2:5], off, off offset:368
	scratch_load_b128 v[6:9], off, off offset:384
	;; [unrolled: 1-line block ×9, first 2 shown]
	ds_load_b128 v[42:45], v1 offset:1184
	ds_load_b128 v[38:41], v1 offset:1200
	s_clause 0x1
	scratch_load_b128 v[154:157], off, off offset:352
	scratch_load_b128 v[158:161], off, off offset:512
	s_mov_b32 s2, exec_lo
	s_waitcnt vmcnt(10) lgkmcnt(1)
	v_mul_f64 v[162:163], v[44:45], v[4:5]
	v_mul_f64 v[4:5], v[42:43], v[4:5]
	s_waitcnt vmcnt(9) lgkmcnt(0)
	v_mul_f64 v[212:213], v[38:39], v[8:9]
	v_mul_f64 v[8:9], v[40:41], v[8:9]
	s_delay_alu instid0(VALU_DEP_4) | instskip(NEXT) | instid1(VALU_DEP_4)
	v_fma_f64 v[214:215], v[42:43], v[2:3], -v[162:163]
	v_fma_f64 v[216:217], v[44:45], v[2:3], v[4:5]
	ds_load_b128 v[2:5], v1 offset:1216
	ds_load_b128 v[162:165], v1 offset:1232
	scratch_load_b128 v[42:45], off, off offset:528
	v_fma_f64 v[40:41], v[40:41], v[6:7], v[212:213]
	v_fma_f64 v[38:39], v[38:39], v[6:7], -v[8:9]
	scratch_load_b128 v[6:9], off, off offset:544
	s_waitcnt vmcnt(10) lgkmcnt(1)
	v_mul_f64 v[218:219], v[2:3], v[12:13]
	v_mul_f64 v[12:13], v[4:5], v[12:13]
	v_add_f64 v[212:213], v[214:215], 0
	v_add_f64 v[214:215], v[216:217], 0
	s_waitcnt vmcnt(9) lgkmcnt(0)
	v_mul_f64 v[216:217], v[162:163], v[16:17]
	v_mul_f64 v[16:17], v[164:165], v[16:17]
	v_fma_f64 v[218:219], v[4:5], v[10:11], v[218:219]
	v_fma_f64 v[220:221], v[2:3], v[10:11], -v[12:13]
	ds_load_b128 v[2:5], v1 offset:1248
	scratch_load_b128 v[10:13], off, off offset:560
	v_add_f64 v[212:213], v[212:213], v[38:39]
	v_add_f64 v[214:215], v[214:215], v[40:41]
	ds_load_b128 v[38:41], v1 offset:1264
	v_fma_f64 v[164:165], v[164:165], v[14:15], v[216:217]
	v_fma_f64 v[162:163], v[162:163], v[14:15], -v[16:17]
	scratch_load_b128 v[14:17], off, off offset:576
	s_waitcnt vmcnt(10) lgkmcnt(1)
	v_mul_f64 v[222:223], v[2:3], v[20:21]
	v_mul_f64 v[20:21], v[4:5], v[20:21]
	s_waitcnt vmcnt(9) lgkmcnt(0)
	v_mul_f64 v[216:217], v[38:39], v[24:25]
	v_mul_f64 v[24:25], v[40:41], v[24:25]
	v_add_f64 v[212:213], v[212:213], v[220:221]
	v_add_f64 v[214:215], v[214:215], v[218:219]
	v_fma_f64 v[218:219], v[4:5], v[18:19], v[222:223]
	v_fma_f64 v[220:221], v[2:3], v[18:19], -v[20:21]
	ds_load_b128 v[2:5], v1 offset:1280
	scratch_load_b128 v[18:21], off, off offset:592
	v_fma_f64 v[40:41], v[40:41], v[22:23], v[216:217]
	v_fma_f64 v[38:39], v[38:39], v[22:23], -v[24:25]
	scratch_load_b128 v[22:25], off, off offset:608
	v_add_f64 v[212:213], v[212:213], v[162:163]
	v_add_f64 v[214:215], v[214:215], v[164:165]
	ds_load_b128 v[162:165], v1 offset:1296
	s_waitcnt vmcnt(10) lgkmcnt(1)
	v_mul_f64 v[222:223], v[2:3], v[28:29]
	v_mul_f64 v[28:29], v[4:5], v[28:29]
	s_waitcnt vmcnt(9) lgkmcnt(0)
	v_mul_f64 v[216:217], v[162:163], v[32:33]
	v_mul_f64 v[32:33], v[164:165], v[32:33]
	v_add_f64 v[212:213], v[212:213], v[220:221]
	v_add_f64 v[214:215], v[214:215], v[218:219]
	v_fma_f64 v[218:219], v[4:5], v[26:27], v[222:223]
	v_fma_f64 v[220:221], v[2:3], v[26:27], -v[28:29]
	ds_load_b128 v[2:5], v1 offset:1312
	scratch_load_b128 v[26:29], off, off offset:624
	v_fma_f64 v[164:165], v[164:165], v[30:31], v[216:217]
	v_fma_f64 v[162:163], v[162:163], v[30:31], -v[32:33]
	scratch_load_b128 v[30:33], off, off offset:640
	v_add_f64 v[212:213], v[212:213], v[38:39]
	v_add_f64 v[214:215], v[214:215], v[40:41]
	ds_load_b128 v[38:41], v1 offset:1328
	s_waitcnt vmcnt(10) lgkmcnt(1)
	v_mul_f64 v[222:223], v[2:3], v[36:37]
	v_mul_f64 v[36:37], v[4:5], v[36:37]
	s_waitcnt vmcnt(8) lgkmcnt(0)
	v_mul_f64 v[216:217], v[38:39], v[160:161]
	v_add_f64 v[212:213], v[212:213], v[220:221]
	v_add_f64 v[214:215], v[214:215], v[218:219]
	v_mul_f64 v[218:219], v[40:41], v[160:161]
	v_fma_f64 v[220:221], v[4:5], v[34:35], v[222:223]
	v_fma_f64 v[222:223], v[2:3], v[34:35], -v[36:37]
	ds_load_b128 v[2:5], v1 offset:1344
	scratch_load_b128 v[34:37], off, off offset:656
	v_fma_f64 v[216:217], v[40:41], v[158:159], v[216:217]
	v_add_f64 v[212:213], v[212:213], v[162:163]
	v_add_f64 v[164:165], v[214:215], v[164:165]
	ds_load_b128 v[160:163], v1 offset:1360
	v_fma_f64 v[158:159], v[38:39], v[158:159], -v[218:219]
	scratch_load_b128 v[38:41], off, off offset:672
	s_waitcnt vmcnt(9) lgkmcnt(1)
	v_mul_f64 v[214:215], v[2:3], v[44:45]
	v_mul_f64 v[44:45], v[4:5], v[44:45]
	s_waitcnt vmcnt(8) lgkmcnt(0)
	v_mul_f64 v[218:219], v[160:161], v[8:9]
	v_mul_f64 v[8:9], v[162:163], v[8:9]
	v_add_f64 v[212:213], v[212:213], v[222:223]
	v_add_f64 v[164:165], v[164:165], v[220:221]
	v_fma_f64 v[220:221], v[4:5], v[42:43], v[214:215]
	v_fma_f64 v[222:223], v[2:3], v[42:43], -v[44:45]
	ds_load_b128 v[2:5], v1 offset:1376
	scratch_load_b128 v[42:45], off, off offset:688
	v_fma_f64 v[162:163], v[162:163], v[6:7], v[218:219]
	v_fma_f64 v[160:161], v[160:161], v[6:7], -v[8:9]
	scratch_load_b128 v[6:9], off, off offset:704
	v_add_f64 v[158:159], v[212:213], v[158:159]
	v_add_f64 v[164:165], v[164:165], v[216:217]
	ds_load_b128 v[212:215], v1 offset:1392
	s_waitcnt vmcnt(9) lgkmcnt(1)
	v_mul_f64 v[216:217], v[2:3], v[12:13]
	v_mul_f64 v[12:13], v[4:5], v[12:13]
	s_waitcnt vmcnt(8) lgkmcnt(0)
	v_mul_f64 v[218:219], v[212:213], v[16:17]
	v_mul_f64 v[16:17], v[214:215], v[16:17]
	v_add_f64 v[158:159], v[158:159], v[222:223]
	v_add_f64 v[164:165], v[164:165], v[220:221]
	v_fma_f64 v[216:217], v[4:5], v[10:11], v[216:217]
	v_fma_f64 v[220:221], v[2:3], v[10:11], -v[12:13]
	ds_load_b128 v[2:5], v1 offset:1408
	scratch_load_b128 v[10:13], off, off offset:720
	v_fma_f64 v[214:215], v[214:215], v[14:15], v[218:219]
	v_fma_f64 v[212:213], v[212:213], v[14:15], -v[16:17]
	scratch_load_b128 v[14:17], off, off offset:736
	v_add_f64 v[222:223], v[158:159], v[160:161]
	v_add_f64 v[162:163], v[164:165], v[162:163]
	ds_load_b128 v[158:161], v1 offset:1424
	s_waitcnt vmcnt(9) lgkmcnt(1)
	v_mul_f64 v[164:165], v[2:3], v[20:21]
	v_mul_f64 v[20:21], v[4:5], v[20:21]
	v_add_f64 v[218:219], v[222:223], v[220:221]
	v_add_f64 v[162:163], v[162:163], v[216:217]
	s_waitcnt vmcnt(8) lgkmcnt(0)
	v_mul_f64 v[216:217], v[158:159], v[24:25]
	v_mul_f64 v[24:25], v[160:161], v[24:25]
	v_fma_f64 v[220:221], v[4:5], v[18:19], v[164:165]
	v_fma_f64 v[222:223], v[2:3], v[18:19], -v[20:21]
	ds_load_b128 v[2:5], v1 offset:1440
	scratch_load_b128 v[18:21], off, off offset:752
	v_add_f64 v[212:213], v[218:219], v[212:213]
	v_add_f64 v[214:215], v[162:163], v[214:215]
	ds_load_b128 v[162:165], v1 offset:1456
	s_waitcnt vmcnt(8) lgkmcnt(1)
	v_mul_f64 v[218:219], v[2:3], v[28:29]
	v_mul_f64 v[28:29], v[4:5], v[28:29]
	v_fma_f64 v[160:161], v[160:161], v[22:23], v[216:217]
	v_fma_f64 v[158:159], v[158:159], v[22:23], -v[24:25]
	scratch_load_b128 v[22:25], off, off offset:768
	s_waitcnt vmcnt(8) lgkmcnt(0)
	v_mul_f64 v[216:217], v[162:163], v[32:33]
	v_mul_f64 v[32:33], v[164:165], v[32:33]
	v_add_f64 v[212:213], v[212:213], v[222:223]
	v_add_f64 v[214:215], v[214:215], v[220:221]
	v_fma_f64 v[218:219], v[4:5], v[26:27], v[218:219]
	v_fma_f64 v[220:221], v[2:3], v[26:27], -v[28:29]
	ds_load_b128 v[2:5], v1 offset:1472
	scratch_load_b128 v[26:29], off, off offset:784
	v_fma_f64 v[164:165], v[164:165], v[30:31], v[216:217]
	v_fma_f64 v[162:163], v[162:163], v[30:31], -v[32:33]
	scratch_load_b128 v[30:33], off, off offset:800
	v_add_f64 v[212:213], v[212:213], v[158:159]
	v_add_f64 v[214:215], v[214:215], v[160:161]
	ds_load_b128 v[158:161], v1 offset:1488
	s_waitcnt vmcnt(9) lgkmcnt(1)
	v_mul_f64 v[222:223], v[2:3], v[36:37]
	v_mul_f64 v[36:37], v[4:5], v[36:37]
	s_waitcnt vmcnt(8) lgkmcnt(0)
	v_mul_f64 v[216:217], v[158:159], v[40:41]
	v_mul_f64 v[40:41], v[160:161], v[40:41]
	v_add_f64 v[212:213], v[212:213], v[220:221]
	v_add_f64 v[214:215], v[214:215], v[218:219]
	v_fma_f64 v[218:219], v[4:5], v[34:35], v[222:223]
	v_fma_f64 v[220:221], v[2:3], v[34:35], -v[36:37]
	ds_load_b128 v[2:5], v1 offset:1504
	ds_load_b128 v[34:37], v1 offset:1520
	v_fma_f64 v[160:161], v[160:161], v[38:39], v[216:217]
	v_fma_f64 v[38:39], v[158:159], v[38:39], -v[40:41]
	v_add_f64 v[162:163], v[212:213], v[162:163]
	v_add_f64 v[164:165], v[214:215], v[164:165]
	s_waitcnt vmcnt(7) lgkmcnt(1)
	v_mul_f64 v[212:213], v[2:3], v[44:45]
	v_mul_f64 v[44:45], v[4:5], v[44:45]
	s_delay_alu instid0(VALU_DEP_4) | instskip(NEXT) | instid1(VALU_DEP_4)
	v_add_f64 v[40:41], v[162:163], v[220:221]
	v_add_f64 v[158:159], v[164:165], v[218:219]
	s_waitcnt vmcnt(6) lgkmcnt(0)
	v_mul_f64 v[162:163], v[34:35], v[8:9]
	v_mul_f64 v[8:9], v[36:37], v[8:9]
	v_fma_f64 v[164:165], v[4:5], v[42:43], v[212:213]
	v_fma_f64 v[42:43], v[2:3], v[42:43], -v[44:45]
	v_add_f64 v[44:45], v[40:41], v[38:39]
	v_add_f64 v[158:159], v[158:159], v[160:161]
	ds_load_b128 v[2:5], v1 offset:1536
	ds_load_b128 v[38:41], v1 offset:1552
	v_fma_f64 v[36:37], v[36:37], v[6:7], v[162:163]
	v_fma_f64 v[6:7], v[34:35], v[6:7], -v[8:9]
	s_waitcnt vmcnt(5) lgkmcnt(1)
	v_mul_f64 v[160:161], v[2:3], v[12:13]
	v_mul_f64 v[12:13], v[4:5], v[12:13]
	v_add_f64 v[8:9], v[44:45], v[42:43]
	v_add_f64 v[34:35], v[158:159], v[164:165]
	s_waitcnt vmcnt(4) lgkmcnt(0)
	v_mul_f64 v[42:43], v[38:39], v[16:17]
	v_mul_f64 v[16:17], v[40:41], v[16:17]
	v_fma_f64 v[44:45], v[4:5], v[10:11], v[160:161]
	v_fma_f64 v[10:11], v[2:3], v[10:11], -v[12:13]
	v_add_f64 v[12:13], v[8:9], v[6:7]
	v_add_f64 v[34:35], v[34:35], v[36:37]
	ds_load_b128 v[2:5], v1 offset:1568
	ds_load_b128 v[6:9], v1 offset:1584
	v_fma_f64 v[40:41], v[40:41], v[14:15], v[42:43]
	v_fma_f64 v[14:15], v[38:39], v[14:15], -v[16:17]
	s_waitcnt vmcnt(3) lgkmcnt(1)
	v_mul_f64 v[36:37], v[2:3], v[20:21]
	v_mul_f64 v[20:21], v[4:5], v[20:21]
	s_waitcnt vmcnt(2) lgkmcnt(0)
	v_mul_f64 v[16:17], v[6:7], v[24:25]
	v_mul_f64 v[24:25], v[8:9], v[24:25]
	v_add_f64 v[10:11], v[12:13], v[10:11]
	v_add_f64 v[12:13], v[34:35], v[44:45]
	v_fma_f64 v[34:35], v[4:5], v[18:19], v[36:37]
	v_fma_f64 v[18:19], v[2:3], v[18:19], -v[20:21]
	v_fma_f64 v[8:9], v[8:9], v[22:23], v[16:17]
	v_fma_f64 v[6:7], v[6:7], v[22:23], -v[24:25]
	v_add_f64 v[14:15], v[10:11], v[14:15]
	v_add_f64 v[20:21], v[12:13], v[40:41]
	ds_load_b128 v[2:5], v1 offset:1600
	ds_load_b128 v[10:13], v1 offset:1616
	s_waitcnt vmcnt(1) lgkmcnt(1)
	v_mul_f64 v[36:37], v[2:3], v[28:29]
	v_mul_f64 v[28:29], v[4:5], v[28:29]
	v_add_f64 v[14:15], v[14:15], v[18:19]
	v_add_f64 v[16:17], v[20:21], v[34:35]
	s_waitcnt vmcnt(0) lgkmcnt(0)
	v_mul_f64 v[18:19], v[10:11], v[32:33]
	v_mul_f64 v[20:21], v[12:13], v[32:33]
	v_fma_f64 v[4:5], v[4:5], v[26:27], v[36:37]
	v_fma_f64 v[1:2], v[2:3], v[26:27], -v[28:29]
	v_add_f64 v[6:7], v[14:15], v[6:7]
	v_add_f64 v[8:9], v[16:17], v[8:9]
	v_fma_f64 v[12:13], v[12:13], v[30:31], v[18:19]
	v_fma_f64 v[10:11], v[10:11], v[30:31], -v[20:21]
	s_delay_alu instid0(VALU_DEP_4) | instskip(NEXT) | instid1(VALU_DEP_4)
	v_add_f64 v[1:2], v[6:7], v[1:2]
	v_add_f64 v[3:4], v[8:9], v[4:5]
	s_delay_alu instid0(VALU_DEP_2) | instskip(NEXT) | instid1(VALU_DEP_2)
	v_add_f64 v[1:2], v[1:2], v[10:11]
	v_add_f64 v[3:4], v[3:4], v[12:13]
	s_delay_alu instid0(VALU_DEP_2) | instskip(NEXT) | instid1(VALU_DEP_2)
	v_add_f64 v[1:2], v[154:155], -v[1:2]
	v_add_f64 v[3:4], v[156:157], -v[3:4]
	scratch_store_b128 off, v[1:4], off offset:352
	v_cmpx_lt_u32_e32 21, v148
	s_cbranch_execz .LBB50_277
; %bb.276:
	scratch_load_b128 v[1:4], v178, off
	v_mov_b32_e32 v5, 0
	s_delay_alu instid0(VALU_DEP_1)
	v_mov_b32_e32 v6, v5
	v_mov_b32_e32 v7, v5
	;; [unrolled: 1-line block ×3, first 2 shown]
	scratch_store_b128 off, v[5:8], off offset:336
	s_waitcnt vmcnt(0)
	ds_store_b128 v199, v[1:4]
.LBB50_277:
	s_or_b32 exec_lo, exec_lo, s2
	s_waitcnt lgkmcnt(0)
	s_waitcnt_vscnt null, 0x0
	s_barrier
	buffer_gl0_inv
	s_clause 0x7
	scratch_load_b128 v[2:5], off, off offset:352
	scratch_load_b128 v[6:9], off, off offset:368
	;; [unrolled: 1-line block ×8, first 2 shown]
	v_mov_b32_e32 v1, 0
	s_mov_b32 s2, exec_lo
	ds_load_b128 v[38:41], v1 offset:1168
	s_clause 0x1
	scratch_load_b128 v[34:37], off, off offset:480
	scratch_load_b128 v[42:45], off, off offset:336
	ds_load_b128 v[154:157], v1 offset:1184
	scratch_load_b128 v[158:161], off, off offset:496
	s_waitcnt vmcnt(10) lgkmcnt(1)
	v_mul_f64 v[162:163], v[40:41], v[4:5]
	v_mul_f64 v[4:5], v[38:39], v[4:5]
	s_delay_alu instid0(VALU_DEP_2) | instskip(NEXT) | instid1(VALU_DEP_2)
	v_fma_f64 v[214:215], v[38:39], v[2:3], -v[162:163]
	v_fma_f64 v[216:217], v[40:41], v[2:3], v[4:5]
	scratch_load_b128 v[38:41], off, off offset:512
	ds_load_b128 v[2:5], v1 offset:1200
	s_waitcnt vmcnt(10) lgkmcnt(1)
	v_mul_f64 v[212:213], v[154:155], v[8:9]
	v_mul_f64 v[8:9], v[156:157], v[8:9]
	ds_load_b128 v[162:165], v1 offset:1216
	s_waitcnt vmcnt(9) lgkmcnt(1)
	v_mul_f64 v[218:219], v[2:3], v[12:13]
	v_mul_f64 v[12:13], v[4:5], v[12:13]
	v_fma_f64 v[156:157], v[156:157], v[6:7], v[212:213]
	v_fma_f64 v[154:155], v[154:155], v[6:7], -v[8:9]
	v_add_f64 v[212:213], v[214:215], 0
	v_add_f64 v[214:215], v[216:217], 0
	scratch_load_b128 v[6:9], off, off offset:528
	v_fma_f64 v[218:219], v[4:5], v[10:11], v[218:219]
	v_fma_f64 v[220:221], v[2:3], v[10:11], -v[12:13]
	scratch_load_b128 v[10:13], off, off offset:544
	ds_load_b128 v[2:5], v1 offset:1232
	s_waitcnt vmcnt(10) lgkmcnt(1)
	v_mul_f64 v[216:217], v[162:163], v[16:17]
	v_mul_f64 v[16:17], v[164:165], v[16:17]
	v_add_f64 v[212:213], v[212:213], v[154:155]
	v_add_f64 v[214:215], v[214:215], v[156:157]
	s_waitcnt vmcnt(9) lgkmcnt(0)
	v_mul_f64 v[222:223], v[2:3], v[20:21]
	v_mul_f64 v[20:21], v[4:5], v[20:21]
	ds_load_b128 v[154:157], v1 offset:1248
	v_fma_f64 v[164:165], v[164:165], v[14:15], v[216:217]
	v_fma_f64 v[162:163], v[162:163], v[14:15], -v[16:17]
	scratch_load_b128 v[14:17], off, off offset:560
	v_add_f64 v[212:213], v[212:213], v[220:221]
	v_add_f64 v[214:215], v[214:215], v[218:219]
	v_fma_f64 v[218:219], v[4:5], v[18:19], v[222:223]
	v_fma_f64 v[220:221], v[2:3], v[18:19], -v[20:21]
	scratch_load_b128 v[18:21], off, off offset:576
	ds_load_b128 v[2:5], v1 offset:1264
	s_waitcnt vmcnt(10) lgkmcnt(1)
	v_mul_f64 v[216:217], v[154:155], v[24:25]
	v_mul_f64 v[24:25], v[156:157], v[24:25]
	s_waitcnt vmcnt(9) lgkmcnt(0)
	v_mul_f64 v[222:223], v[2:3], v[28:29]
	v_mul_f64 v[28:29], v[4:5], v[28:29]
	v_add_f64 v[212:213], v[212:213], v[162:163]
	v_add_f64 v[214:215], v[214:215], v[164:165]
	ds_load_b128 v[162:165], v1 offset:1280
	v_fma_f64 v[156:157], v[156:157], v[22:23], v[216:217]
	v_fma_f64 v[154:155], v[154:155], v[22:23], -v[24:25]
	scratch_load_b128 v[22:25], off, off offset:592
	v_add_f64 v[212:213], v[212:213], v[220:221]
	v_add_f64 v[214:215], v[214:215], v[218:219]
	v_fma_f64 v[218:219], v[4:5], v[26:27], v[222:223]
	v_fma_f64 v[220:221], v[2:3], v[26:27], -v[28:29]
	scratch_load_b128 v[26:29], off, off offset:608
	ds_load_b128 v[2:5], v1 offset:1296
	s_waitcnt vmcnt(10) lgkmcnt(1)
	v_mul_f64 v[216:217], v[162:163], v[32:33]
	v_mul_f64 v[32:33], v[164:165], v[32:33]
	s_waitcnt vmcnt(9) lgkmcnt(0)
	v_mul_f64 v[222:223], v[2:3], v[36:37]
	v_mul_f64 v[36:37], v[4:5], v[36:37]
	v_add_f64 v[212:213], v[212:213], v[154:155]
	v_add_f64 v[214:215], v[214:215], v[156:157]
	ds_load_b128 v[154:157], v1 offset:1312
	v_fma_f64 v[164:165], v[164:165], v[30:31], v[216:217]
	v_fma_f64 v[162:163], v[162:163], v[30:31], -v[32:33]
	scratch_load_b128 v[30:33], off, off offset:624
	v_add_f64 v[212:213], v[212:213], v[220:221]
	v_add_f64 v[214:215], v[214:215], v[218:219]
	v_fma_f64 v[220:221], v[4:5], v[34:35], v[222:223]
	v_fma_f64 v[222:223], v[2:3], v[34:35], -v[36:37]
	scratch_load_b128 v[34:37], off, off offset:640
	ds_load_b128 v[2:5], v1 offset:1328
	s_waitcnt vmcnt(9) lgkmcnt(1)
	v_mul_f64 v[216:217], v[154:155], v[160:161]
	v_mul_f64 v[218:219], v[156:157], v[160:161]
	v_add_f64 v[212:213], v[212:213], v[162:163]
	v_add_f64 v[164:165], v[214:215], v[164:165]
	ds_load_b128 v[160:163], v1 offset:1344
	v_fma_f64 v[216:217], v[156:157], v[158:159], v[216:217]
	v_fma_f64 v[158:159], v[154:155], v[158:159], -v[218:219]
	scratch_load_b128 v[154:157], off, off offset:656
	s_waitcnt vmcnt(9) lgkmcnt(1)
	v_mul_f64 v[214:215], v[2:3], v[40:41]
	v_mul_f64 v[40:41], v[4:5], v[40:41]
	v_add_f64 v[212:213], v[212:213], v[222:223]
	v_add_f64 v[164:165], v[164:165], v[220:221]
	s_delay_alu instid0(VALU_DEP_4) | instskip(NEXT) | instid1(VALU_DEP_4)
	v_fma_f64 v[220:221], v[4:5], v[38:39], v[214:215]
	v_fma_f64 v[222:223], v[2:3], v[38:39], -v[40:41]
	scratch_load_b128 v[38:41], off, off offset:672
	ds_load_b128 v[2:5], v1 offset:1360
	s_waitcnt vmcnt(9) lgkmcnt(1)
	v_mul_f64 v[218:219], v[160:161], v[8:9]
	v_mul_f64 v[8:9], v[162:163], v[8:9]
	v_add_f64 v[158:159], v[212:213], v[158:159]
	v_add_f64 v[164:165], v[164:165], v[216:217]
	s_waitcnt vmcnt(8) lgkmcnt(0)
	v_mul_f64 v[216:217], v[2:3], v[12:13]
	v_mul_f64 v[12:13], v[4:5], v[12:13]
	ds_load_b128 v[212:215], v1 offset:1376
	v_fma_f64 v[162:163], v[162:163], v[6:7], v[218:219]
	v_fma_f64 v[160:161], v[160:161], v[6:7], -v[8:9]
	scratch_load_b128 v[6:9], off, off offset:688
	v_add_f64 v[158:159], v[158:159], v[222:223]
	v_add_f64 v[164:165], v[164:165], v[220:221]
	v_fma_f64 v[216:217], v[4:5], v[10:11], v[216:217]
	v_fma_f64 v[220:221], v[2:3], v[10:11], -v[12:13]
	scratch_load_b128 v[10:13], off, off offset:704
	ds_load_b128 v[2:5], v1 offset:1392
	s_waitcnt vmcnt(9) lgkmcnt(1)
	v_mul_f64 v[218:219], v[212:213], v[16:17]
	v_mul_f64 v[16:17], v[214:215], v[16:17]
	v_add_f64 v[222:223], v[158:159], v[160:161]
	v_add_f64 v[162:163], v[164:165], v[162:163]
	s_waitcnt vmcnt(8) lgkmcnt(0)
	v_mul_f64 v[164:165], v[2:3], v[20:21]
	v_mul_f64 v[20:21], v[4:5], v[20:21]
	ds_load_b128 v[158:161], v1 offset:1408
	v_fma_f64 v[214:215], v[214:215], v[14:15], v[218:219]
	v_fma_f64 v[212:213], v[212:213], v[14:15], -v[16:17]
	scratch_load_b128 v[14:17], off, off offset:720
	v_add_f64 v[218:219], v[222:223], v[220:221]
	v_add_f64 v[162:163], v[162:163], v[216:217]
	v_fma_f64 v[220:221], v[4:5], v[18:19], v[164:165]
	v_fma_f64 v[222:223], v[2:3], v[18:19], -v[20:21]
	scratch_load_b128 v[18:21], off, off offset:736
	ds_load_b128 v[2:5], v1 offset:1424
	s_waitcnt vmcnt(9) lgkmcnt(1)
	v_mul_f64 v[216:217], v[158:159], v[24:25]
	v_mul_f64 v[24:25], v[160:161], v[24:25]
	v_add_f64 v[212:213], v[218:219], v[212:213]
	v_add_f64 v[214:215], v[162:163], v[214:215]
	s_waitcnt vmcnt(8) lgkmcnt(0)
	v_mul_f64 v[218:219], v[2:3], v[28:29]
	v_mul_f64 v[28:29], v[4:5], v[28:29]
	ds_load_b128 v[162:165], v1 offset:1440
	v_fma_f64 v[160:161], v[160:161], v[22:23], v[216:217]
	v_fma_f64 v[158:159], v[158:159], v[22:23], -v[24:25]
	scratch_load_b128 v[22:25], off, off offset:752
	v_add_f64 v[212:213], v[212:213], v[222:223]
	v_add_f64 v[214:215], v[214:215], v[220:221]
	v_fma_f64 v[218:219], v[4:5], v[26:27], v[218:219]
	v_fma_f64 v[220:221], v[2:3], v[26:27], -v[28:29]
	scratch_load_b128 v[26:29], off, off offset:768
	ds_load_b128 v[2:5], v1 offset:1456
	s_waitcnt vmcnt(9) lgkmcnt(1)
	v_mul_f64 v[216:217], v[162:163], v[32:33]
	v_mul_f64 v[32:33], v[164:165], v[32:33]
	s_waitcnt vmcnt(8) lgkmcnt(0)
	v_mul_f64 v[222:223], v[2:3], v[36:37]
	v_mul_f64 v[36:37], v[4:5], v[36:37]
	v_add_f64 v[212:213], v[212:213], v[158:159]
	v_add_f64 v[214:215], v[214:215], v[160:161]
	ds_load_b128 v[158:161], v1 offset:1472
	v_fma_f64 v[164:165], v[164:165], v[30:31], v[216:217]
	v_fma_f64 v[162:163], v[162:163], v[30:31], -v[32:33]
	scratch_load_b128 v[30:33], off, off offset:784
	v_add_f64 v[212:213], v[212:213], v[220:221]
	v_add_f64 v[214:215], v[214:215], v[218:219]
	v_fma_f64 v[218:219], v[4:5], v[34:35], v[222:223]
	v_fma_f64 v[220:221], v[2:3], v[34:35], -v[36:37]
	scratch_load_b128 v[34:37], off, off offset:800
	ds_load_b128 v[2:5], v1 offset:1488
	s_waitcnt vmcnt(9) lgkmcnt(1)
	v_mul_f64 v[216:217], v[158:159], v[156:157]
	v_mul_f64 v[156:157], v[160:161], v[156:157]
	s_waitcnt vmcnt(8) lgkmcnt(0)
	v_mul_f64 v[222:223], v[2:3], v[40:41]
	v_mul_f64 v[40:41], v[4:5], v[40:41]
	v_add_f64 v[212:213], v[212:213], v[162:163]
	v_add_f64 v[214:215], v[214:215], v[164:165]
	ds_load_b128 v[162:165], v1 offset:1504
	v_fma_f64 v[160:161], v[160:161], v[154:155], v[216:217]
	v_fma_f64 v[154:155], v[158:159], v[154:155], -v[156:157]
	v_fma_f64 v[216:217], v[2:3], v[38:39], -v[40:41]
	v_add_f64 v[156:157], v[212:213], v[220:221]
	v_add_f64 v[158:159], v[214:215], v[218:219]
	s_waitcnt vmcnt(7) lgkmcnt(0)
	v_mul_f64 v[212:213], v[162:163], v[8:9]
	v_mul_f64 v[8:9], v[164:165], v[8:9]
	v_fma_f64 v[214:215], v[4:5], v[38:39], v[222:223]
	ds_load_b128 v[2:5], v1 offset:1520
	ds_load_b128 v[38:41], v1 offset:1536
	v_add_f64 v[154:155], v[156:157], v[154:155]
	v_add_f64 v[156:157], v[158:159], v[160:161]
	s_waitcnt vmcnt(6) lgkmcnt(1)
	v_mul_f64 v[158:159], v[2:3], v[12:13]
	v_mul_f64 v[12:13], v[4:5], v[12:13]
	v_fma_f64 v[160:161], v[164:165], v[6:7], v[212:213]
	v_fma_f64 v[6:7], v[162:163], v[6:7], -v[8:9]
	v_add_f64 v[8:9], v[154:155], v[216:217]
	v_add_f64 v[154:155], v[156:157], v[214:215]
	s_waitcnt vmcnt(5) lgkmcnt(0)
	v_mul_f64 v[156:157], v[38:39], v[16:17]
	v_mul_f64 v[16:17], v[40:41], v[16:17]
	v_fma_f64 v[158:159], v[4:5], v[10:11], v[158:159]
	v_fma_f64 v[10:11], v[2:3], v[10:11], -v[12:13]
	v_add_f64 v[12:13], v[8:9], v[6:7]
	v_add_f64 v[154:155], v[154:155], v[160:161]
	ds_load_b128 v[2:5], v1 offset:1552
	ds_load_b128 v[6:9], v1 offset:1568
	v_fma_f64 v[40:41], v[40:41], v[14:15], v[156:157]
	v_fma_f64 v[14:15], v[38:39], v[14:15], -v[16:17]
	s_waitcnt vmcnt(4) lgkmcnt(1)
	v_mul_f64 v[160:161], v[2:3], v[20:21]
	v_mul_f64 v[20:21], v[4:5], v[20:21]
	s_waitcnt vmcnt(3) lgkmcnt(0)
	v_mul_f64 v[16:17], v[6:7], v[24:25]
	v_mul_f64 v[24:25], v[8:9], v[24:25]
	v_add_f64 v[10:11], v[12:13], v[10:11]
	v_add_f64 v[12:13], v[154:155], v[158:159]
	v_fma_f64 v[38:39], v[4:5], v[18:19], v[160:161]
	v_fma_f64 v[18:19], v[2:3], v[18:19], -v[20:21]
	v_fma_f64 v[8:9], v[8:9], v[22:23], v[16:17]
	v_fma_f64 v[6:7], v[6:7], v[22:23], -v[24:25]
	v_add_f64 v[14:15], v[10:11], v[14:15]
	v_add_f64 v[20:21], v[12:13], v[40:41]
	ds_load_b128 v[2:5], v1 offset:1584
	ds_load_b128 v[10:13], v1 offset:1600
	s_waitcnt vmcnt(2) lgkmcnt(1)
	v_mul_f64 v[40:41], v[2:3], v[28:29]
	v_mul_f64 v[28:29], v[4:5], v[28:29]
	v_add_f64 v[14:15], v[14:15], v[18:19]
	v_add_f64 v[16:17], v[20:21], v[38:39]
	s_waitcnt vmcnt(1) lgkmcnt(0)
	v_mul_f64 v[18:19], v[10:11], v[32:33]
	v_mul_f64 v[20:21], v[12:13], v[32:33]
	v_fma_f64 v[22:23], v[4:5], v[26:27], v[40:41]
	v_fma_f64 v[24:25], v[2:3], v[26:27], -v[28:29]
	ds_load_b128 v[2:5], v1 offset:1616
	v_add_f64 v[6:7], v[14:15], v[6:7]
	v_add_f64 v[8:9], v[16:17], v[8:9]
	v_fma_f64 v[12:13], v[12:13], v[30:31], v[18:19]
	v_fma_f64 v[10:11], v[10:11], v[30:31], -v[20:21]
	s_waitcnt vmcnt(0) lgkmcnt(0)
	v_mul_f64 v[14:15], v[2:3], v[36:37]
	v_mul_f64 v[16:17], v[4:5], v[36:37]
	v_add_f64 v[6:7], v[6:7], v[24:25]
	v_add_f64 v[8:9], v[8:9], v[22:23]
	s_delay_alu instid0(VALU_DEP_4) | instskip(NEXT) | instid1(VALU_DEP_4)
	v_fma_f64 v[4:5], v[4:5], v[34:35], v[14:15]
	v_fma_f64 v[2:3], v[2:3], v[34:35], -v[16:17]
	s_delay_alu instid0(VALU_DEP_4) | instskip(NEXT) | instid1(VALU_DEP_4)
	v_add_f64 v[6:7], v[6:7], v[10:11]
	v_add_f64 v[8:9], v[8:9], v[12:13]
	s_delay_alu instid0(VALU_DEP_2) | instskip(NEXT) | instid1(VALU_DEP_2)
	v_add_f64 v[2:3], v[6:7], v[2:3]
	v_add_f64 v[4:5], v[8:9], v[4:5]
	s_delay_alu instid0(VALU_DEP_2) | instskip(NEXT) | instid1(VALU_DEP_2)
	v_add_f64 v[2:3], v[42:43], -v[2:3]
	v_add_f64 v[4:5], v[44:45], -v[4:5]
	scratch_store_b128 off, v[2:5], off offset:336
	v_cmpx_lt_u32_e32 20, v148
	s_cbranch_execz .LBB50_279
; %bb.278:
	scratch_load_b128 v[5:8], v179, off
	v_mov_b32_e32 v2, v1
	v_mov_b32_e32 v3, v1
	;; [unrolled: 1-line block ×3, first 2 shown]
	scratch_store_b128 off, v[1:4], off offset:320
	s_waitcnt vmcnt(0)
	ds_store_b128 v199, v[5:8]
.LBB50_279:
	s_or_b32 exec_lo, exec_lo, s2
	s_waitcnt lgkmcnt(0)
	s_waitcnt_vscnt null, 0x0
	s_barrier
	buffer_gl0_inv
	s_clause 0x8
	scratch_load_b128 v[2:5], off, off offset:336
	scratch_load_b128 v[6:9], off, off offset:352
	;; [unrolled: 1-line block ×9, first 2 shown]
	ds_load_b128 v[42:45], v1 offset:1152
	ds_load_b128 v[38:41], v1 offset:1168
	s_clause 0x1
	scratch_load_b128 v[154:157], off, off offset:320
	scratch_load_b128 v[158:161], off, off offset:480
	s_mov_b32 s2, exec_lo
	s_waitcnt vmcnt(10) lgkmcnt(1)
	v_mul_f64 v[162:163], v[44:45], v[4:5]
	v_mul_f64 v[4:5], v[42:43], v[4:5]
	s_waitcnt vmcnt(9) lgkmcnt(0)
	v_mul_f64 v[212:213], v[38:39], v[8:9]
	v_mul_f64 v[8:9], v[40:41], v[8:9]
	s_delay_alu instid0(VALU_DEP_4) | instskip(NEXT) | instid1(VALU_DEP_4)
	v_fma_f64 v[214:215], v[42:43], v[2:3], -v[162:163]
	v_fma_f64 v[216:217], v[44:45], v[2:3], v[4:5]
	ds_load_b128 v[2:5], v1 offset:1184
	ds_load_b128 v[162:165], v1 offset:1200
	scratch_load_b128 v[42:45], off, off offset:496
	v_fma_f64 v[40:41], v[40:41], v[6:7], v[212:213]
	v_fma_f64 v[38:39], v[38:39], v[6:7], -v[8:9]
	scratch_load_b128 v[6:9], off, off offset:512
	s_waitcnt vmcnt(10) lgkmcnt(1)
	v_mul_f64 v[218:219], v[2:3], v[12:13]
	v_mul_f64 v[12:13], v[4:5], v[12:13]
	v_add_f64 v[212:213], v[214:215], 0
	v_add_f64 v[214:215], v[216:217], 0
	s_waitcnt vmcnt(9) lgkmcnt(0)
	v_mul_f64 v[216:217], v[162:163], v[16:17]
	v_mul_f64 v[16:17], v[164:165], v[16:17]
	v_fma_f64 v[218:219], v[4:5], v[10:11], v[218:219]
	v_fma_f64 v[220:221], v[2:3], v[10:11], -v[12:13]
	ds_load_b128 v[2:5], v1 offset:1216
	scratch_load_b128 v[10:13], off, off offset:528
	v_add_f64 v[212:213], v[212:213], v[38:39]
	v_add_f64 v[214:215], v[214:215], v[40:41]
	ds_load_b128 v[38:41], v1 offset:1232
	v_fma_f64 v[164:165], v[164:165], v[14:15], v[216:217]
	v_fma_f64 v[162:163], v[162:163], v[14:15], -v[16:17]
	scratch_load_b128 v[14:17], off, off offset:544
	s_waitcnt vmcnt(10) lgkmcnt(1)
	v_mul_f64 v[222:223], v[2:3], v[20:21]
	v_mul_f64 v[20:21], v[4:5], v[20:21]
	s_waitcnt vmcnt(9) lgkmcnt(0)
	v_mul_f64 v[216:217], v[38:39], v[24:25]
	v_mul_f64 v[24:25], v[40:41], v[24:25]
	v_add_f64 v[212:213], v[212:213], v[220:221]
	v_add_f64 v[214:215], v[214:215], v[218:219]
	v_fma_f64 v[218:219], v[4:5], v[18:19], v[222:223]
	v_fma_f64 v[220:221], v[2:3], v[18:19], -v[20:21]
	ds_load_b128 v[2:5], v1 offset:1248
	scratch_load_b128 v[18:21], off, off offset:560
	v_fma_f64 v[40:41], v[40:41], v[22:23], v[216:217]
	v_fma_f64 v[38:39], v[38:39], v[22:23], -v[24:25]
	scratch_load_b128 v[22:25], off, off offset:576
	v_add_f64 v[212:213], v[212:213], v[162:163]
	v_add_f64 v[214:215], v[214:215], v[164:165]
	ds_load_b128 v[162:165], v1 offset:1264
	s_waitcnt vmcnt(10) lgkmcnt(1)
	v_mul_f64 v[222:223], v[2:3], v[28:29]
	v_mul_f64 v[28:29], v[4:5], v[28:29]
	s_waitcnt vmcnt(9) lgkmcnt(0)
	v_mul_f64 v[216:217], v[162:163], v[32:33]
	v_mul_f64 v[32:33], v[164:165], v[32:33]
	v_add_f64 v[212:213], v[212:213], v[220:221]
	v_add_f64 v[214:215], v[214:215], v[218:219]
	v_fma_f64 v[218:219], v[4:5], v[26:27], v[222:223]
	v_fma_f64 v[220:221], v[2:3], v[26:27], -v[28:29]
	ds_load_b128 v[2:5], v1 offset:1280
	scratch_load_b128 v[26:29], off, off offset:592
	v_fma_f64 v[164:165], v[164:165], v[30:31], v[216:217]
	v_fma_f64 v[162:163], v[162:163], v[30:31], -v[32:33]
	scratch_load_b128 v[30:33], off, off offset:608
	v_add_f64 v[212:213], v[212:213], v[38:39]
	v_add_f64 v[214:215], v[214:215], v[40:41]
	ds_load_b128 v[38:41], v1 offset:1296
	s_waitcnt vmcnt(10) lgkmcnt(1)
	v_mul_f64 v[222:223], v[2:3], v[36:37]
	v_mul_f64 v[36:37], v[4:5], v[36:37]
	s_waitcnt vmcnt(8) lgkmcnt(0)
	v_mul_f64 v[216:217], v[38:39], v[160:161]
	v_add_f64 v[212:213], v[212:213], v[220:221]
	v_add_f64 v[214:215], v[214:215], v[218:219]
	v_mul_f64 v[218:219], v[40:41], v[160:161]
	v_fma_f64 v[220:221], v[4:5], v[34:35], v[222:223]
	v_fma_f64 v[222:223], v[2:3], v[34:35], -v[36:37]
	ds_load_b128 v[2:5], v1 offset:1312
	scratch_load_b128 v[34:37], off, off offset:624
	v_fma_f64 v[216:217], v[40:41], v[158:159], v[216:217]
	v_add_f64 v[212:213], v[212:213], v[162:163]
	v_add_f64 v[164:165], v[214:215], v[164:165]
	ds_load_b128 v[160:163], v1 offset:1328
	v_fma_f64 v[158:159], v[38:39], v[158:159], -v[218:219]
	scratch_load_b128 v[38:41], off, off offset:640
	s_waitcnt vmcnt(9) lgkmcnt(1)
	v_mul_f64 v[214:215], v[2:3], v[44:45]
	v_mul_f64 v[44:45], v[4:5], v[44:45]
	s_waitcnt vmcnt(8) lgkmcnt(0)
	v_mul_f64 v[218:219], v[160:161], v[8:9]
	v_mul_f64 v[8:9], v[162:163], v[8:9]
	v_add_f64 v[212:213], v[212:213], v[222:223]
	v_add_f64 v[164:165], v[164:165], v[220:221]
	v_fma_f64 v[220:221], v[4:5], v[42:43], v[214:215]
	v_fma_f64 v[222:223], v[2:3], v[42:43], -v[44:45]
	ds_load_b128 v[2:5], v1 offset:1344
	scratch_load_b128 v[42:45], off, off offset:656
	v_fma_f64 v[162:163], v[162:163], v[6:7], v[218:219]
	v_fma_f64 v[160:161], v[160:161], v[6:7], -v[8:9]
	scratch_load_b128 v[6:9], off, off offset:672
	v_add_f64 v[158:159], v[212:213], v[158:159]
	v_add_f64 v[164:165], v[164:165], v[216:217]
	ds_load_b128 v[212:215], v1 offset:1360
	s_waitcnt vmcnt(9) lgkmcnt(1)
	v_mul_f64 v[216:217], v[2:3], v[12:13]
	v_mul_f64 v[12:13], v[4:5], v[12:13]
	s_waitcnt vmcnt(8) lgkmcnt(0)
	v_mul_f64 v[218:219], v[212:213], v[16:17]
	v_mul_f64 v[16:17], v[214:215], v[16:17]
	v_add_f64 v[158:159], v[158:159], v[222:223]
	v_add_f64 v[164:165], v[164:165], v[220:221]
	v_fma_f64 v[216:217], v[4:5], v[10:11], v[216:217]
	v_fma_f64 v[220:221], v[2:3], v[10:11], -v[12:13]
	ds_load_b128 v[2:5], v1 offset:1376
	scratch_load_b128 v[10:13], off, off offset:688
	v_fma_f64 v[214:215], v[214:215], v[14:15], v[218:219]
	v_fma_f64 v[212:213], v[212:213], v[14:15], -v[16:17]
	scratch_load_b128 v[14:17], off, off offset:704
	v_add_f64 v[222:223], v[158:159], v[160:161]
	v_add_f64 v[162:163], v[164:165], v[162:163]
	ds_load_b128 v[158:161], v1 offset:1392
	s_waitcnt vmcnt(9) lgkmcnt(1)
	v_mul_f64 v[164:165], v[2:3], v[20:21]
	v_mul_f64 v[20:21], v[4:5], v[20:21]
	v_add_f64 v[218:219], v[222:223], v[220:221]
	v_add_f64 v[162:163], v[162:163], v[216:217]
	s_waitcnt vmcnt(8) lgkmcnt(0)
	v_mul_f64 v[216:217], v[158:159], v[24:25]
	v_mul_f64 v[24:25], v[160:161], v[24:25]
	v_fma_f64 v[220:221], v[4:5], v[18:19], v[164:165]
	v_fma_f64 v[222:223], v[2:3], v[18:19], -v[20:21]
	ds_load_b128 v[2:5], v1 offset:1408
	scratch_load_b128 v[18:21], off, off offset:720
	v_add_f64 v[212:213], v[218:219], v[212:213]
	v_add_f64 v[214:215], v[162:163], v[214:215]
	ds_load_b128 v[162:165], v1 offset:1424
	s_waitcnt vmcnt(8) lgkmcnt(1)
	v_mul_f64 v[218:219], v[2:3], v[28:29]
	v_mul_f64 v[28:29], v[4:5], v[28:29]
	v_fma_f64 v[160:161], v[160:161], v[22:23], v[216:217]
	v_fma_f64 v[158:159], v[158:159], v[22:23], -v[24:25]
	scratch_load_b128 v[22:25], off, off offset:736
	s_waitcnt vmcnt(8) lgkmcnt(0)
	v_mul_f64 v[216:217], v[162:163], v[32:33]
	v_mul_f64 v[32:33], v[164:165], v[32:33]
	v_add_f64 v[212:213], v[212:213], v[222:223]
	v_add_f64 v[214:215], v[214:215], v[220:221]
	v_fma_f64 v[218:219], v[4:5], v[26:27], v[218:219]
	v_fma_f64 v[220:221], v[2:3], v[26:27], -v[28:29]
	ds_load_b128 v[2:5], v1 offset:1440
	scratch_load_b128 v[26:29], off, off offset:752
	v_fma_f64 v[164:165], v[164:165], v[30:31], v[216:217]
	v_fma_f64 v[162:163], v[162:163], v[30:31], -v[32:33]
	scratch_load_b128 v[30:33], off, off offset:768
	v_add_f64 v[212:213], v[212:213], v[158:159]
	v_add_f64 v[214:215], v[214:215], v[160:161]
	ds_load_b128 v[158:161], v1 offset:1456
	s_waitcnt vmcnt(9) lgkmcnt(1)
	v_mul_f64 v[222:223], v[2:3], v[36:37]
	v_mul_f64 v[36:37], v[4:5], v[36:37]
	s_waitcnt vmcnt(8) lgkmcnt(0)
	v_mul_f64 v[216:217], v[158:159], v[40:41]
	v_mul_f64 v[40:41], v[160:161], v[40:41]
	v_add_f64 v[212:213], v[212:213], v[220:221]
	v_add_f64 v[214:215], v[214:215], v[218:219]
	v_fma_f64 v[218:219], v[4:5], v[34:35], v[222:223]
	v_fma_f64 v[220:221], v[2:3], v[34:35], -v[36:37]
	ds_load_b128 v[2:5], v1 offset:1472
	scratch_load_b128 v[34:37], off, off offset:784
	v_fma_f64 v[160:161], v[160:161], v[38:39], v[216:217]
	v_fma_f64 v[158:159], v[158:159], v[38:39], -v[40:41]
	scratch_load_b128 v[38:41], off, off offset:800
	v_add_f64 v[212:213], v[212:213], v[162:163]
	v_add_f64 v[214:215], v[214:215], v[164:165]
	ds_load_b128 v[162:165], v1 offset:1488
	s_waitcnt vmcnt(9) lgkmcnt(1)
	v_mul_f64 v[222:223], v[2:3], v[44:45]
	v_mul_f64 v[44:45], v[4:5], v[44:45]
	s_waitcnt vmcnt(8) lgkmcnt(0)
	v_mul_f64 v[216:217], v[162:163], v[8:9]
	v_mul_f64 v[8:9], v[164:165], v[8:9]
	v_add_f64 v[212:213], v[212:213], v[220:221]
	v_add_f64 v[214:215], v[214:215], v[218:219]
	v_fma_f64 v[218:219], v[4:5], v[42:43], v[222:223]
	v_fma_f64 v[220:221], v[2:3], v[42:43], -v[44:45]
	ds_load_b128 v[2:5], v1 offset:1504
	ds_load_b128 v[42:45], v1 offset:1520
	v_fma_f64 v[164:165], v[164:165], v[6:7], v[216:217]
	v_fma_f64 v[6:7], v[162:163], v[6:7], -v[8:9]
	v_add_f64 v[158:159], v[212:213], v[158:159]
	v_add_f64 v[160:161], v[214:215], v[160:161]
	s_waitcnt vmcnt(7) lgkmcnt(1)
	v_mul_f64 v[212:213], v[2:3], v[12:13]
	v_mul_f64 v[12:13], v[4:5], v[12:13]
	s_delay_alu instid0(VALU_DEP_4) | instskip(NEXT) | instid1(VALU_DEP_4)
	v_add_f64 v[8:9], v[158:159], v[220:221]
	v_add_f64 v[158:159], v[160:161], v[218:219]
	s_waitcnt vmcnt(6) lgkmcnt(0)
	v_mul_f64 v[160:161], v[42:43], v[16:17]
	v_mul_f64 v[16:17], v[44:45], v[16:17]
	v_fma_f64 v[162:163], v[4:5], v[10:11], v[212:213]
	v_fma_f64 v[10:11], v[2:3], v[10:11], -v[12:13]
	v_add_f64 v[12:13], v[8:9], v[6:7]
	v_add_f64 v[158:159], v[158:159], v[164:165]
	ds_load_b128 v[2:5], v1 offset:1536
	ds_load_b128 v[6:9], v1 offset:1552
	v_fma_f64 v[44:45], v[44:45], v[14:15], v[160:161]
	v_fma_f64 v[14:15], v[42:43], v[14:15], -v[16:17]
	s_waitcnt vmcnt(5) lgkmcnt(1)
	v_mul_f64 v[164:165], v[2:3], v[20:21]
	v_mul_f64 v[20:21], v[4:5], v[20:21]
	s_waitcnt vmcnt(4) lgkmcnt(0)
	v_mul_f64 v[16:17], v[6:7], v[24:25]
	v_mul_f64 v[24:25], v[8:9], v[24:25]
	v_add_f64 v[10:11], v[12:13], v[10:11]
	v_add_f64 v[12:13], v[158:159], v[162:163]
	v_fma_f64 v[42:43], v[4:5], v[18:19], v[164:165]
	v_fma_f64 v[18:19], v[2:3], v[18:19], -v[20:21]
	v_fma_f64 v[8:9], v[8:9], v[22:23], v[16:17]
	v_fma_f64 v[6:7], v[6:7], v[22:23], -v[24:25]
	v_add_f64 v[14:15], v[10:11], v[14:15]
	v_add_f64 v[20:21], v[12:13], v[44:45]
	ds_load_b128 v[2:5], v1 offset:1568
	ds_load_b128 v[10:13], v1 offset:1584
	s_waitcnt vmcnt(3) lgkmcnt(1)
	v_mul_f64 v[44:45], v[2:3], v[28:29]
	v_mul_f64 v[28:29], v[4:5], v[28:29]
	v_add_f64 v[14:15], v[14:15], v[18:19]
	v_add_f64 v[16:17], v[20:21], v[42:43]
	s_waitcnt vmcnt(2) lgkmcnt(0)
	v_mul_f64 v[18:19], v[10:11], v[32:33]
	v_mul_f64 v[20:21], v[12:13], v[32:33]
	v_fma_f64 v[22:23], v[4:5], v[26:27], v[44:45]
	v_fma_f64 v[24:25], v[2:3], v[26:27], -v[28:29]
	v_add_f64 v[14:15], v[14:15], v[6:7]
	v_add_f64 v[16:17], v[16:17], v[8:9]
	ds_load_b128 v[2:5], v1 offset:1600
	ds_load_b128 v[6:9], v1 offset:1616
	v_fma_f64 v[12:13], v[12:13], v[30:31], v[18:19]
	v_fma_f64 v[10:11], v[10:11], v[30:31], -v[20:21]
	s_waitcnt vmcnt(1) lgkmcnt(1)
	v_mul_f64 v[26:27], v[2:3], v[36:37]
	v_mul_f64 v[28:29], v[4:5], v[36:37]
	s_waitcnt vmcnt(0) lgkmcnt(0)
	v_mul_f64 v[18:19], v[6:7], v[40:41]
	v_mul_f64 v[20:21], v[8:9], v[40:41]
	v_add_f64 v[14:15], v[14:15], v[24:25]
	v_add_f64 v[16:17], v[16:17], v[22:23]
	v_fma_f64 v[4:5], v[4:5], v[34:35], v[26:27]
	v_fma_f64 v[1:2], v[2:3], v[34:35], -v[28:29]
	v_fma_f64 v[8:9], v[8:9], v[38:39], v[18:19]
	v_fma_f64 v[6:7], v[6:7], v[38:39], -v[20:21]
	v_add_f64 v[10:11], v[14:15], v[10:11]
	v_add_f64 v[12:13], v[16:17], v[12:13]
	s_delay_alu instid0(VALU_DEP_2) | instskip(NEXT) | instid1(VALU_DEP_2)
	v_add_f64 v[1:2], v[10:11], v[1:2]
	v_add_f64 v[3:4], v[12:13], v[4:5]
	s_delay_alu instid0(VALU_DEP_2) | instskip(NEXT) | instid1(VALU_DEP_2)
	;; [unrolled: 3-line block ×3, first 2 shown]
	v_add_f64 v[1:2], v[154:155], -v[1:2]
	v_add_f64 v[3:4], v[156:157], -v[3:4]
	scratch_store_b128 off, v[1:4], off offset:320
	v_cmpx_lt_u32_e32 19, v148
	s_cbranch_execz .LBB50_281
; %bb.280:
	scratch_load_b128 v[1:4], v180, off
	v_mov_b32_e32 v5, 0
	s_delay_alu instid0(VALU_DEP_1)
	v_mov_b32_e32 v6, v5
	v_mov_b32_e32 v7, v5
	;; [unrolled: 1-line block ×3, first 2 shown]
	scratch_store_b128 off, v[5:8], off offset:304
	s_waitcnt vmcnt(0)
	ds_store_b128 v199, v[1:4]
.LBB50_281:
	s_or_b32 exec_lo, exec_lo, s2
	s_waitcnt lgkmcnt(0)
	s_waitcnt_vscnt null, 0x0
	s_barrier
	buffer_gl0_inv
	s_clause 0x7
	scratch_load_b128 v[2:5], off, off offset:320
	scratch_load_b128 v[6:9], off, off offset:336
	;; [unrolled: 1-line block ×8, first 2 shown]
	v_mov_b32_e32 v1, 0
	s_mov_b32 s2, exec_lo
	ds_load_b128 v[38:41], v1 offset:1136
	s_clause 0x1
	scratch_load_b128 v[34:37], off, off offset:448
	scratch_load_b128 v[42:45], off, off offset:304
	ds_load_b128 v[154:157], v1 offset:1152
	scratch_load_b128 v[158:161], off, off offset:464
	s_waitcnt vmcnt(10) lgkmcnt(1)
	v_mul_f64 v[162:163], v[40:41], v[4:5]
	v_mul_f64 v[4:5], v[38:39], v[4:5]
	s_delay_alu instid0(VALU_DEP_2) | instskip(NEXT) | instid1(VALU_DEP_2)
	v_fma_f64 v[214:215], v[38:39], v[2:3], -v[162:163]
	v_fma_f64 v[216:217], v[40:41], v[2:3], v[4:5]
	scratch_load_b128 v[38:41], off, off offset:480
	ds_load_b128 v[2:5], v1 offset:1168
	s_waitcnt vmcnt(10) lgkmcnt(1)
	v_mul_f64 v[212:213], v[154:155], v[8:9]
	v_mul_f64 v[8:9], v[156:157], v[8:9]
	ds_load_b128 v[162:165], v1 offset:1184
	s_waitcnt vmcnt(9) lgkmcnt(1)
	v_mul_f64 v[218:219], v[2:3], v[12:13]
	v_mul_f64 v[12:13], v[4:5], v[12:13]
	v_fma_f64 v[156:157], v[156:157], v[6:7], v[212:213]
	v_fma_f64 v[154:155], v[154:155], v[6:7], -v[8:9]
	v_add_f64 v[212:213], v[214:215], 0
	v_add_f64 v[214:215], v[216:217], 0
	scratch_load_b128 v[6:9], off, off offset:496
	v_fma_f64 v[218:219], v[4:5], v[10:11], v[218:219]
	v_fma_f64 v[220:221], v[2:3], v[10:11], -v[12:13]
	scratch_load_b128 v[10:13], off, off offset:512
	ds_load_b128 v[2:5], v1 offset:1200
	s_waitcnt vmcnt(10) lgkmcnt(1)
	v_mul_f64 v[216:217], v[162:163], v[16:17]
	v_mul_f64 v[16:17], v[164:165], v[16:17]
	v_add_f64 v[212:213], v[212:213], v[154:155]
	v_add_f64 v[214:215], v[214:215], v[156:157]
	s_waitcnt vmcnt(9) lgkmcnt(0)
	v_mul_f64 v[222:223], v[2:3], v[20:21]
	v_mul_f64 v[20:21], v[4:5], v[20:21]
	ds_load_b128 v[154:157], v1 offset:1216
	v_fma_f64 v[164:165], v[164:165], v[14:15], v[216:217]
	v_fma_f64 v[162:163], v[162:163], v[14:15], -v[16:17]
	scratch_load_b128 v[14:17], off, off offset:528
	v_add_f64 v[212:213], v[212:213], v[220:221]
	v_add_f64 v[214:215], v[214:215], v[218:219]
	v_fma_f64 v[218:219], v[4:5], v[18:19], v[222:223]
	v_fma_f64 v[220:221], v[2:3], v[18:19], -v[20:21]
	scratch_load_b128 v[18:21], off, off offset:544
	ds_load_b128 v[2:5], v1 offset:1232
	s_waitcnt vmcnt(10) lgkmcnt(1)
	v_mul_f64 v[216:217], v[154:155], v[24:25]
	v_mul_f64 v[24:25], v[156:157], v[24:25]
	s_waitcnt vmcnt(9) lgkmcnt(0)
	v_mul_f64 v[222:223], v[2:3], v[28:29]
	v_mul_f64 v[28:29], v[4:5], v[28:29]
	v_add_f64 v[212:213], v[212:213], v[162:163]
	v_add_f64 v[214:215], v[214:215], v[164:165]
	ds_load_b128 v[162:165], v1 offset:1248
	v_fma_f64 v[156:157], v[156:157], v[22:23], v[216:217]
	v_fma_f64 v[154:155], v[154:155], v[22:23], -v[24:25]
	scratch_load_b128 v[22:25], off, off offset:560
	v_add_f64 v[212:213], v[212:213], v[220:221]
	v_add_f64 v[214:215], v[214:215], v[218:219]
	v_fma_f64 v[218:219], v[4:5], v[26:27], v[222:223]
	v_fma_f64 v[220:221], v[2:3], v[26:27], -v[28:29]
	scratch_load_b128 v[26:29], off, off offset:576
	ds_load_b128 v[2:5], v1 offset:1264
	s_waitcnt vmcnt(10) lgkmcnt(1)
	v_mul_f64 v[216:217], v[162:163], v[32:33]
	v_mul_f64 v[32:33], v[164:165], v[32:33]
	s_waitcnt vmcnt(9) lgkmcnt(0)
	v_mul_f64 v[222:223], v[2:3], v[36:37]
	v_mul_f64 v[36:37], v[4:5], v[36:37]
	v_add_f64 v[212:213], v[212:213], v[154:155]
	v_add_f64 v[214:215], v[214:215], v[156:157]
	ds_load_b128 v[154:157], v1 offset:1280
	v_fma_f64 v[164:165], v[164:165], v[30:31], v[216:217]
	v_fma_f64 v[162:163], v[162:163], v[30:31], -v[32:33]
	scratch_load_b128 v[30:33], off, off offset:592
	v_add_f64 v[212:213], v[212:213], v[220:221]
	v_add_f64 v[214:215], v[214:215], v[218:219]
	v_fma_f64 v[220:221], v[4:5], v[34:35], v[222:223]
	v_fma_f64 v[222:223], v[2:3], v[34:35], -v[36:37]
	scratch_load_b128 v[34:37], off, off offset:608
	ds_load_b128 v[2:5], v1 offset:1296
	s_waitcnt vmcnt(9) lgkmcnt(1)
	v_mul_f64 v[216:217], v[154:155], v[160:161]
	v_mul_f64 v[218:219], v[156:157], v[160:161]
	v_add_f64 v[212:213], v[212:213], v[162:163]
	v_add_f64 v[164:165], v[214:215], v[164:165]
	ds_load_b128 v[160:163], v1 offset:1312
	v_fma_f64 v[216:217], v[156:157], v[158:159], v[216:217]
	v_fma_f64 v[158:159], v[154:155], v[158:159], -v[218:219]
	scratch_load_b128 v[154:157], off, off offset:624
	s_waitcnt vmcnt(9) lgkmcnt(1)
	v_mul_f64 v[214:215], v[2:3], v[40:41]
	v_mul_f64 v[40:41], v[4:5], v[40:41]
	v_add_f64 v[212:213], v[212:213], v[222:223]
	v_add_f64 v[164:165], v[164:165], v[220:221]
	s_delay_alu instid0(VALU_DEP_4) | instskip(NEXT) | instid1(VALU_DEP_4)
	v_fma_f64 v[220:221], v[4:5], v[38:39], v[214:215]
	v_fma_f64 v[222:223], v[2:3], v[38:39], -v[40:41]
	scratch_load_b128 v[38:41], off, off offset:640
	ds_load_b128 v[2:5], v1 offset:1328
	s_waitcnt vmcnt(9) lgkmcnt(1)
	v_mul_f64 v[218:219], v[160:161], v[8:9]
	v_mul_f64 v[8:9], v[162:163], v[8:9]
	v_add_f64 v[158:159], v[212:213], v[158:159]
	v_add_f64 v[164:165], v[164:165], v[216:217]
	s_waitcnt vmcnt(8) lgkmcnt(0)
	v_mul_f64 v[216:217], v[2:3], v[12:13]
	v_mul_f64 v[12:13], v[4:5], v[12:13]
	ds_load_b128 v[212:215], v1 offset:1344
	v_fma_f64 v[162:163], v[162:163], v[6:7], v[218:219]
	v_fma_f64 v[160:161], v[160:161], v[6:7], -v[8:9]
	scratch_load_b128 v[6:9], off, off offset:656
	v_add_f64 v[158:159], v[158:159], v[222:223]
	v_add_f64 v[164:165], v[164:165], v[220:221]
	v_fma_f64 v[216:217], v[4:5], v[10:11], v[216:217]
	v_fma_f64 v[220:221], v[2:3], v[10:11], -v[12:13]
	scratch_load_b128 v[10:13], off, off offset:672
	ds_load_b128 v[2:5], v1 offset:1360
	s_waitcnt vmcnt(9) lgkmcnt(1)
	v_mul_f64 v[218:219], v[212:213], v[16:17]
	v_mul_f64 v[16:17], v[214:215], v[16:17]
	v_add_f64 v[222:223], v[158:159], v[160:161]
	v_add_f64 v[162:163], v[164:165], v[162:163]
	s_waitcnt vmcnt(8) lgkmcnt(0)
	v_mul_f64 v[164:165], v[2:3], v[20:21]
	v_mul_f64 v[20:21], v[4:5], v[20:21]
	ds_load_b128 v[158:161], v1 offset:1376
	v_fma_f64 v[214:215], v[214:215], v[14:15], v[218:219]
	v_fma_f64 v[212:213], v[212:213], v[14:15], -v[16:17]
	scratch_load_b128 v[14:17], off, off offset:688
	v_add_f64 v[218:219], v[222:223], v[220:221]
	v_add_f64 v[162:163], v[162:163], v[216:217]
	;; [unrolled: 18-line block ×3, first 2 shown]
	v_fma_f64 v[218:219], v[4:5], v[26:27], v[218:219]
	v_fma_f64 v[220:221], v[2:3], v[26:27], -v[28:29]
	scratch_load_b128 v[26:29], off, off offset:736
	ds_load_b128 v[2:5], v1 offset:1424
	s_waitcnt vmcnt(9) lgkmcnt(1)
	v_mul_f64 v[216:217], v[162:163], v[32:33]
	v_mul_f64 v[32:33], v[164:165], v[32:33]
	s_waitcnt vmcnt(8) lgkmcnt(0)
	v_mul_f64 v[222:223], v[2:3], v[36:37]
	v_mul_f64 v[36:37], v[4:5], v[36:37]
	v_add_f64 v[212:213], v[212:213], v[158:159]
	v_add_f64 v[214:215], v[214:215], v[160:161]
	ds_load_b128 v[158:161], v1 offset:1440
	v_fma_f64 v[164:165], v[164:165], v[30:31], v[216:217]
	v_fma_f64 v[162:163], v[162:163], v[30:31], -v[32:33]
	scratch_load_b128 v[30:33], off, off offset:752
	v_add_f64 v[212:213], v[212:213], v[220:221]
	v_add_f64 v[214:215], v[214:215], v[218:219]
	v_fma_f64 v[218:219], v[4:5], v[34:35], v[222:223]
	v_fma_f64 v[220:221], v[2:3], v[34:35], -v[36:37]
	scratch_load_b128 v[34:37], off, off offset:768
	ds_load_b128 v[2:5], v1 offset:1456
	s_waitcnt vmcnt(9) lgkmcnt(1)
	v_mul_f64 v[216:217], v[158:159], v[156:157]
	v_mul_f64 v[156:157], v[160:161], v[156:157]
	s_waitcnt vmcnt(8) lgkmcnt(0)
	v_mul_f64 v[222:223], v[2:3], v[40:41]
	v_mul_f64 v[40:41], v[4:5], v[40:41]
	v_add_f64 v[212:213], v[212:213], v[162:163]
	v_add_f64 v[214:215], v[214:215], v[164:165]
	ds_load_b128 v[162:165], v1 offset:1472
	v_fma_f64 v[160:161], v[160:161], v[154:155], v[216:217]
	v_fma_f64 v[158:159], v[158:159], v[154:155], -v[156:157]
	scratch_load_b128 v[154:157], off, off offset:784
	v_add_f64 v[212:213], v[212:213], v[220:221]
	v_add_f64 v[214:215], v[214:215], v[218:219]
	v_fma_f64 v[218:219], v[4:5], v[38:39], v[222:223]
	v_fma_f64 v[220:221], v[2:3], v[38:39], -v[40:41]
	scratch_load_b128 v[38:41], off, off offset:800
	ds_load_b128 v[2:5], v1 offset:1488
	s_waitcnt vmcnt(9) lgkmcnt(1)
	v_mul_f64 v[216:217], v[162:163], v[8:9]
	v_mul_f64 v[8:9], v[164:165], v[8:9]
	s_waitcnt vmcnt(8) lgkmcnt(0)
	v_mul_f64 v[222:223], v[2:3], v[12:13]
	v_mul_f64 v[12:13], v[4:5], v[12:13]
	v_add_f64 v[212:213], v[212:213], v[158:159]
	v_add_f64 v[214:215], v[214:215], v[160:161]
	ds_load_b128 v[158:161], v1 offset:1504
	v_fma_f64 v[164:165], v[164:165], v[6:7], v[216:217]
	v_fma_f64 v[6:7], v[162:163], v[6:7], -v[8:9]
	v_add_f64 v[8:9], v[212:213], v[220:221]
	v_add_f64 v[162:163], v[214:215], v[218:219]
	s_waitcnt vmcnt(7) lgkmcnt(0)
	v_mul_f64 v[212:213], v[158:159], v[16:17]
	v_mul_f64 v[16:17], v[160:161], v[16:17]
	v_fma_f64 v[214:215], v[4:5], v[10:11], v[222:223]
	v_fma_f64 v[10:11], v[2:3], v[10:11], -v[12:13]
	v_add_f64 v[12:13], v[8:9], v[6:7]
	v_add_f64 v[162:163], v[162:163], v[164:165]
	ds_load_b128 v[2:5], v1 offset:1520
	ds_load_b128 v[6:9], v1 offset:1536
	v_fma_f64 v[160:161], v[160:161], v[14:15], v[212:213]
	v_fma_f64 v[14:15], v[158:159], v[14:15], -v[16:17]
	s_waitcnt vmcnt(6) lgkmcnt(1)
	v_mul_f64 v[164:165], v[2:3], v[20:21]
	v_mul_f64 v[20:21], v[4:5], v[20:21]
	s_waitcnt vmcnt(5) lgkmcnt(0)
	v_mul_f64 v[16:17], v[6:7], v[24:25]
	v_mul_f64 v[24:25], v[8:9], v[24:25]
	v_add_f64 v[10:11], v[12:13], v[10:11]
	v_add_f64 v[12:13], v[162:163], v[214:215]
	v_fma_f64 v[158:159], v[4:5], v[18:19], v[164:165]
	v_fma_f64 v[18:19], v[2:3], v[18:19], -v[20:21]
	v_fma_f64 v[8:9], v[8:9], v[22:23], v[16:17]
	v_fma_f64 v[6:7], v[6:7], v[22:23], -v[24:25]
	v_add_f64 v[14:15], v[10:11], v[14:15]
	v_add_f64 v[20:21], v[12:13], v[160:161]
	ds_load_b128 v[2:5], v1 offset:1552
	ds_load_b128 v[10:13], v1 offset:1568
	s_waitcnt vmcnt(4) lgkmcnt(1)
	v_mul_f64 v[160:161], v[2:3], v[28:29]
	v_mul_f64 v[28:29], v[4:5], v[28:29]
	v_add_f64 v[14:15], v[14:15], v[18:19]
	v_add_f64 v[16:17], v[20:21], v[158:159]
	s_waitcnt vmcnt(3) lgkmcnt(0)
	v_mul_f64 v[18:19], v[10:11], v[32:33]
	v_mul_f64 v[20:21], v[12:13], v[32:33]
	v_fma_f64 v[22:23], v[4:5], v[26:27], v[160:161]
	v_fma_f64 v[24:25], v[2:3], v[26:27], -v[28:29]
	v_add_f64 v[14:15], v[14:15], v[6:7]
	v_add_f64 v[16:17], v[16:17], v[8:9]
	ds_load_b128 v[2:5], v1 offset:1584
	ds_load_b128 v[6:9], v1 offset:1600
	v_fma_f64 v[12:13], v[12:13], v[30:31], v[18:19]
	v_fma_f64 v[10:11], v[10:11], v[30:31], -v[20:21]
	s_waitcnt vmcnt(2) lgkmcnt(1)
	v_mul_f64 v[26:27], v[2:3], v[36:37]
	v_mul_f64 v[28:29], v[4:5], v[36:37]
	s_waitcnt vmcnt(1) lgkmcnt(0)
	v_mul_f64 v[18:19], v[6:7], v[156:157]
	v_mul_f64 v[20:21], v[8:9], v[156:157]
	v_add_f64 v[14:15], v[14:15], v[24:25]
	v_add_f64 v[16:17], v[16:17], v[22:23]
	v_fma_f64 v[22:23], v[4:5], v[34:35], v[26:27]
	v_fma_f64 v[24:25], v[2:3], v[34:35], -v[28:29]
	ds_load_b128 v[2:5], v1 offset:1616
	v_fma_f64 v[8:9], v[8:9], v[154:155], v[18:19]
	v_fma_f64 v[6:7], v[6:7], v[154:155], -v[20:21]
	v_add_f64 v[10:11], v[14:15], v[10:11]
	v_add_f64 v[12:13], v[16:17], v[12:13]
	s_waitcnt vmcnt(0) lgkmcnt(0)
	v_mul_f64 v[14:15], v[2:3], v[40:41]
	v_mul_f64 v[16:17], v[4:5], v[40:41]
	s_delay_alu instid0(VALU_DEP_4) | instskip(NEXT) | instid1(VALU_DEP_4)
	v_add_f64 v[10:11], v[10:11], v[24:25]
	v_add_f64 v[12:13], v[12:13], v[22:23]
	s_delay_alu instid0(VALU_DEP_4) | instskip(NEXT) | instid1(VALU_DEP_4)
	v_fma_f64 v[4:5], v[4:5], v[38:39], v[14:15]
	v_fma_f64 v[2:3], v[2:3], v[38:39], -v[16:17]
	s_delay_alu instid0(VALU_DEP_4) | instskip(NEXT) | instid1(VALU_DEP_4)
	v_add_f64 v[6:7], v[10:11], v[6:7]
	v_add_f64 v[8:9], v[12:13], v[8:9]
	s_delay_alu instid0(VALU_DEP_2) | instskip(NEXT) | instid1(VALU_DEP_2)
	v_add_f64 v[2:3], v[6:7], v[2:3]
	v_add_f64 v[4:5], v[8:9], v[4:5]
	s_delay_alu instid0(VALU_DEP_2) | instskip(NEXT) | instid1(VALU_DEP_2)
	v_add_f64 v[2:3], v[42:43], -v[2:3]
	v_add_f64 v[4:5], v[44:45], -v[4:5]
	scratch_store_b128 off, v[2:5], off offset:304
	v_cmpx_lt_u32_e32 18, v148
	s_cbranch_execz .LBB50_283
; %bb.282:
	scratch_load_b128 v[5:8], v181, off
	v_mov_b32_e32 v2, v1
	v_mov_b32_e32 v3, v1
	;; [unrolled: 1-line block ×3, first 2 shown]
	scratch_store_b128 off, v[1:4], off offset:288
	s_waitcnt vmcnt(0)
	ds_store_b128 v199, v[5:8]
.LBB50_283:
	s_or_b32 exec_lo, exec_lo, s2
	s_waitcnt lgkmcnt(0)
	s_waitcnt_vscnt null, 0x0
	s_barrier
	buffer_gl0_inv
	s_clause 0x8
	scratch_load_b128 v[2:5], off, off offset:304
	scratch_load_b128 v[6:9], off, off offset:320
	;; [unrolled: 1-line block ×9, first 2 shown]
	ds_load_b128 v[42:45], v1 offset:1120
	ds_load_b128 v[38:41], v1 offset:1136
	s_clause 0x1
	scratch_load_b128 v[154:157], off, off offset:288
	scratch_load_b128 v[158:161], off, off offset:448
	s_mov_b32 s2, exec_lo
	s_waitcnt vmcnt(10) lgkmcnt(1)
	v_mul_f64 v[162:163], v[44:45], v[4:5]
	v_mul_f64 v[4:5], v[42:43], v[4:5]
	s_waitcnt vmcnt(9) lgkmcnt(0)
	v_mul_f64 v[212:213], v[38:39], v[8:9]
	v_mul_f64 v[8:9], v[40:41], v[8:9]
	s_delay_alu instid0(VALU_DEP_4) | instskip(NEXT) | instid1(VALU_DEP_4)
	v_fma_f64 v[214:215], v[42:43], v[2:3], -v[162:163]
	v_fma_f64 v[216:217], v[44:45], v[2:3], v[4:5]
	ds_load_b128 v[2:5], v1 offset:1152
	ds_load_b128 v[162:165], v1 offset:1168
	scratch_load_b128 v[42:45], off, off offset:464
	v_fma_f64 v[40:41], v[40:41], v[6:7], v[212:213]
	v_fma_f64 v[38:39], v[38:39], v[6:7], -v[8:9]
	scratch_load_b128 v[6:9], off, off offset:480
	s_waitcnt vmcnt(10) lgkmcnt(1)
	v_mul_f64 v[218:219], v[2:3], v[12:13]
	v_mul_f64 v[12:13], v[4:5], v[12:13]
	v_add_f64 v[212:213], v[214:215], 0
	v_add_f64 v[214:215], v[216:217], 0
	s_waitcnt vmcnt(9) lgkmcnt(0)
	v_mul_f64 v[216:217], v[162:163], v[16:17]
	v_mul_f64 v[16:17], v[164:165], v[16:17]
	v_fma_f64 v[218:219], v[4:5], v[10:11], v[218:219]
	v_fma_f64 v[220:221], v[2:3], v[10:11], -v[12:13]
	ds_load_b128 v[2:5], v1 offset:1184
	scratch_load_b128 v[10:13], off, off offset:496
	v_add_f64 v[212:213], v[212:213], v[38:39]
	v_add_f64 v[214:215], v[214:215], v[40:41]
	ds_load_b128 v[38:41], v1 offset:1200
	v_fma_f64 v[164:165], v[164:165], v[14:15], v[216:217]
	v_fma_f64 v[162:163], v[162:163], v[14:15], -v[16:17]
	scratch_load_b128 v[14:17], off, off offset:512
	s_waitcnt vmcnt(10) lgkmcnt(1)
	v_mul_f64 v[222:223], v[2:3], v[20:21]
	v_mul_f64 v[20:21], v[4:5], v[20:21]
	s_waitcnt vmcnt(9) lgkmcnt(0)
	v_mul_f64 v[216:217], v[38:39], v[24:25]
	v_mul_f64 v[24:25], v[40:41], v[24:25]
	v_add_f64 v[212:213], v[212:213], v[220:221]
	v_add_f64 v[214:215], v[214:215], v[218:219]
	v_fma_f64 v[218:219], v[4:5], v[18:19], v[222:223]
	v_fma_f64 v[220:221], v[2:3], v[18:19], -v[20:21]
	ds_load_b128 v[2:5], v1 offset:1216
	scratch_load_b128 v[18:21], off, off offset:528
	v_fma_f64 v[40:41], v[40:41], v[22:23], v[216:217]
	v_fma_f64 v[38:39], v[38:39], v[22:23], -v[24:25]
	scratch_load_b128 v[22:25], off, off offset:544
	v_add_f64 v[212:213], v[212:213], v[162:163]
	v_add_f64 v[214:215], v[214:215], v[164:165]
	ds_load_b128 v[162:165], v1 offset:1232
	s_waitcnt vmcnt(10) lgkmcnt(1)
	v_mul_f64 v[222:223], v[2:3], v[28:29]
	v_mul_f64 v[28:29], v[4:5], v[28:29]
	s_waitcnt vmcnt(9) lgkmcnt(0)
	v_mul_f64 v[216:217], v[162:163], v[32:33]
	v_mul_f64 v[32:33], v[164:165], v[32:33]
	v_add_f64 v[212:213], v[212:213], v[220:221]
	v_add_f64 v[214:215], v[214:215], v[218:219]
	v_fma_f64 v[218:219], v[4:5], v[26:27], v[222:223]
	v_fma_f64 v[220:221], v[2:3], v[26:27], -v[28:29]
	ds_load_b128 v[2:5], v1 offset:1248
	scratch_load_b128 v[26:29], off, off offset:560
	v_fma_f64 v[164:165], v[164:165], v[30:31], v[216:217]
	v_fma_f64 v[162:163], v[162:163], v[30:31], -v[32:33]
	scratch_load_b128 v[30:33], off, off offset:576
	v_add_f64 v[212:213], v[212:213], v[38:39]
	v_add_f64 v[214:215], v[214:215], v[40:41]
	ds_load_b128 v[38:41], v1 offset:1264
	s_waitcnt vmcnt(10) lgkmcnt(1)
	v_mul_f64 v[222:223], v[2:3], v[36:37]
	v_mul_f64 v[36:37], v[4:5], v[36:37]
	s_waitcnt vmcnt(8) lgkmcnt(0)
	v_mul_f64 v[216:217], v[38:39], v[160:161]
	v_add_f64 v[212:213], v[212:213], v[220:221]
	v_add_f64 v[214:215], v[214:215], v[218:219]
	v_mul_f64 v[218:219], v[40:41], v[160:161]
	v_fma_f64 v[220:221], v[4:5], v[34:35], v[222:223]
	v_fma_f64 v[222:223], v[2:3], v[34:35], -v[36:37]
	ds_load_b128 v[2:5], v1 offset:1280
	scratch_load_b128 v[34:37], off, off offset:592
	v_fma_f64 v[216:217], v[40:41], v[158:159], v[216:217]
	v_add_f64 v[212:213], v[212:213], v[162:163]
	v_add_f64 v[164:165], v[214:215], v[164:165]
	ds_load_b128 v[160:163], v1 offset:1296
	v_fma_f64 v[158:159], v[38:39], v[158:159], -v[218:219]
	scratch_load_b128 v[38:41], off, off offset:608
	s_waitcnt vmcnt(9) lgkmcnt(1)
	v_mul_f64 v[214:215], v[2:3], v[44:45]
	v_mul_f64 v[44:45], v[4:5], v[44:45]
	s_waitcnt vmcnt(8) lgkmcnt(0)
	v_mul_f64 v[218:219], v[160:161], v[8:9]
	v_mul_f64 v[8:9], v[162:163], v[8:9]
	v_add_f64 v[212:213], v[212:213], v[222:223]
	v_add_f64 v[164:165], v[164:165], v[220:221]
	v_fma_f64 v[220:221], v[4:5], v[42:43], v[214:215]
	v_fma_f64 v[222:223], v[2:3], v[42:43], -v[44:45]
	ds_load_b128 v[2:5], v1 offset:1312
	scratch_load_b128 v[42:45], off, off offset:624
	v_fma_f64 v[162:163], v[162:163], v[6:7], v[218:219]
	v_fma_f64 v[160:161], v[160:161], v[6:7], -v[8:9]
	scratch_load_b128 v[6:9], off, off offset:640
	v_add_f64 v[158:159], v[212:213], v[158:159]
	v_add_f64 v[164:165], v[164:165], v[216:217]
	ds_load_b128 v[212:215], v1 offset:1328
	s_waitcnt vmcnt(9) lgkmcnt(1)
	v_mul_f64 v[216:217], v[2:3], v[12:13]
	v_mul_f64 v[12:13], v[4:5], v[12:13]
	s_waitcnt vmcnt(8) lgkmcnt(0)
	v_mul_f64 v[218:219], v[212:213], v[16:17]
	v_mul_f64 v[16:17], v[214:215], v[16:17]
	v_add_f64 v[158:159], v[158:159], v[222:223]
	v_add_f64 v[164:165], v[164:165], v[220:221]
	v_fma_f64 v[216:217], v[4:5], v[10:11], v[216:217]
	v_fma_f64 v[220:221], v[2:3], v[10:11], -v[12:13]
	ds_load_b128 v[2:5], v1 offset:1344
	scratch_load_b128 v[10:13], off, off offset:656
	v_fma_f64 v[214:215], v[214:215], v[14:15], v[218:219]
	v_fma_f64 v[212:213], v[212:213], v[14:15], -v[16:17]
	scratch_load_b128 v[14:17], off, off offset:672
	v_add_f64 v[222:223], v[158:159], v[160:161]
	v_add_f64 v[162:163], v[164:165], v[162:163]
	ds_load_b128 v[158:161], v1 offset:1360
	s_waitcnt vmcnt(9) lgkmcnt(1)
	v_mul_f64 v[164:165], v[2:3], v[20:21]
	v_mul_f64 v[20:21], v[4:5], v[20:21]
	v_add_f64 v[218:219], v[222:223], v[220:221]
	v_add_f64 v[162:163], v[162:163], v[216:217]
	s_waitcnt vmcnt(8) lgkmcnt(0)
	v_mul_f64 v[216:217], v[158:159], v[24:25]
	v_mul_f64 v[24:25], v[160:161], v[24:25]
	v_fma_f64 v[220:221], v[4:5], v[18:19], v[164:165]
	v_fma_f64 v[222:223], v[2:3], v[18:19], -v[20:21]
	ds_load_b128 v[2:5], v1 offset:1376
	scratch_load_b128 v[18:21], off, off offset:688
	v_add_f64 v[212:213], v[218:219], v[212:213]
	v_add_f64 v[214:215], v[162:163], v[214:215]
	ds_load_b128 v[162:165], v1 offset:1392
	s_waitcnt vmcnt(8) lgkmcnt(1)
	v_mul_f64 v[218:219], v[2:3], v[28:29]
	v_mul_f64 v[28:29], v[4:5], v[28:29]
	v_fma_f64 v[160:161], v[160:161], v[22:23], v[216:217]
	v_fma_f64 v[158:159], v[158:159], v[22:23], -v[24:25]
	scratch_load_b128 v[22:25], off, off offset:704
	s_waitcnt vmcnt(8) lgkmcnt(0)
	v_mul_f64 v[216:217], v[162:163], v[32:33]
	v_mul_f64 v[32:33], v[164:165], v[32:33]
	v_add_f64 v[212:213], v[212:213], v[222:223]
	v_add_f64 v[214:215], v[214:215], v[220:221]
	v_fma_f64 v[218:219], v[4:5], v[26:27], v[218:219]
	v_fma_f64 v[220:221], v[2:3], v[26:27], -v[28:29]
	ds_load_b128 v[2:5], v1 offset:1408
	scratch_load_b128 v[26:29], off, off offset:720
	v_fma_f64 v[164:165], v[164:165], v[30:31], v[216:217]
	v_fma_f64 v[162:163], v[162:163], v[30:31], -v[32:33]
	scratch_load_b128 v[30:33], off, off offset:736
	v_add_f64 v[212:213], v[212:213], v[158:159]
	v_add_f64 v[214:215], v[214:215], v[160:161]
	ds_load_b128 v[158:161], v1 offset:1424
	s_waitcnt vmcnt(9) lgkmcnt(1)
	v_mul_f64 v[222:223], v[2:3], v[36:37]
	v_mul_f64 v[36:37], v[4:5], v[36:37]
	s_waitcnt vmcnt(8) lgkmcnt(0)
	v_mul_f64 v[216:217], v[158:159], v[40:41]
	v_mul_f64 v[40:41], v[160:161], v[40:41]
	v_add_f64 v[212:213], v[212:213], v[220:221]
	v_add_f64 v[214:215], v[214:215], v[218:219]
	v_fma_f64 v[218:219], v[4:5], v[34:35], v[222:223]
	v_fma_f64 v[220:221], v[2:3], v[34:35], -v[36:37]
	ds_load_b128 v[2:5], v1 offset:1440
	scratch_load_b128 v[34:37], off, off offset:752
	v_fma_f64 v[160:161], v[160:161], v[38:39], v[216:217]
	v_fma_f64 v[158:159], v[158:159], v[38:39], -v[40:41]
	scratch_load_b128 v[38:41], off, off offset:768
	v_add_f64 v[212:213], v[212:213], v[162:163]
	v_add_f64 v[214:215], v[214:215], v[164:165]
	ds_load_b128 v[162:165], v1 offset:1456
	s_waitcnt vmcnt(9) lgkmcnt(1)
	v_mul_f64 v[222:223], v[2:3], v[44:45]
	v_mul_f64 v[44:45], v[4:5], v[44:45]
	;; [unrolled: 18-line block ×3, first 2 shown]
	s_waitcnt vmcnt(8) lgkmcnt(0)
	v_mul_f64 v[216:217], v[158:159], v[16:17]
	v_mul_f64 v[16:17], v[160:161], v[16:17]
	v_add_f64 v[212:213], v[212:213], v[220:221]
	v_add_f64 v[214:215], v[214:215], v[218:219]
	v_fma_f64 v[218:219], v[4:5], v[10:11], v[222:223]
	v_fma_f64 v[220:221], v[2:3], v[10:11], -v[12:13]
	ds_load_b128 v[2:5], v1 offset:1504
	ds_load_b128 v[10:13], v1 offset:1520
	v_fma_f64 v[160:161], v[160:161], v[14:15], v[216:217]
	v_fma_f64 v[14:15], v[158:159], v[14:15], -v[16:17]
	v_add_f64 v[162:163], v[212:213], v[162:163]
	v_add_f64 v[164:165], v[214:215], v[164:165]
	s_waitcnt vmcnt(7) lgkmcnt(1)
	v_mul_f64 v[212:213], v[2:3], v[20:21]
	v_mul_f64 v[20:21], v[4:5], v[20:21]
	s_delay_alu instid0(VALU_DEP_4) | instskip(NEXT) | instid1(VALU_DEP_4)
	v_add_f64 v[16:17], v[162:163], v[220:221]
	v_add_f64 v[158:159], v[164:165], v[218:219]
	s_waitcnt vmcnt(6) lgkmcnt(0)
	v_mul_f64 v[162:163], v[10:11], v[24:25]
	v_mul_f64 v[24:25], v[12:13], v[24:25]
	v_fma_f64 v[164:165], v[4:5], v[18:19], v[212:213]
	v_fma_f64 v[18:19], v[2:3], v[18:19], -v[20:21]
	v_add_f64 v[20:21], v[16:17], v[14:15]
	v_add_f64 v[158:159], v[158:159], v[160:161]
	ds_load_b128 v[2:5], v1 offset:1536
	ds_load_b128 v[14:17], v1 offset:1552
	v_fma_f64 v[12:13], v[12:13], v[22:23], v[162:163]
	v_fma_f64 v[10:11], v[10:11], v[22:23], -v[24:25]
	s_waitcnt vmcnt(5) lgkmcnt(1)
	v_mul_f64 v[160:161], v[2:3], v[28:29]
	v_mul_f64 v[28:29], v[4:5], v[28:29]
	s_waitcnt vmcnt(4) lgkmcnt(0)
	v_mul_f64 v[22:23], v[14:15], v[32:33]
	v_mul_f64 v[24:25], v[16:17], v[32:33]
	v_add_f64 v[18:19], v[20:21], v[18:19]
	v_add_f64 v[20:21], v[158:159], v[164:165]
	v_fma_f64 v[32:33], v[4:5], v[26:27], v[160:161]
	v_fma_f64 v[26:27], v[2:3], v[26:27], -v[28:29]
	v_fma_f64 v[16:17], v[16:17], v[30:31], v[22:23]
	v_fma_f64 v[14:15], v[14:15], v[30:31], -v[24:25]
	v_add_f64 v[18:19], v[18:19], v[10:11]
	v_add_f64 v[20:21], v[20:21], v[12:13]
	ds_load_b128 v[2:5], v1 offset:1568
	ds_load_b128 v[10:13], v1 offset:1584
	s_waitcnt vmcnt(3) lgkmcnt(1)
	v_mul_f64 v[28:29], v[2:3], v[36:37]
	v_mul_f64 v[36:37], v[4:5], v[36:37]
	s_waitcnt vmcnt(2) lgkmcnt(0)
	v_mul_f64 v[22:23], v[10:11], v[40:41]
	v_mul_f64 v[24:25], v[12:13], v[40:41]
	v_add_f64 v[18:19], v[18:19], v[26:27]
	v_add_f64 v[20:21], v[20:21], v[32:33]
	v_fma_f64 v[26:27], v[4:5], v[34:35], v[28:29]
	v_fma_f64 v[28:29], v[2:3], v[34:35], -v[36:37]
	v_fma_f64 v[12:13], v[12:13], v[38:39], v[22:23]
	v_fma_f64 v[10:11], v[10:11], v[38:39], -v[24:25]
	v_add_f64 v[18:19], v[18:19], v[14:15]
	v_add_f64 v[20:21], v[20:21], v[16:17]
	ds_load_b128 v[2:5], v1 offset:1600
	ds_load_b128 v[14:17], v1 offset:1616
	s_waitcnt vmcnt(1) lgkmcnt(1)
	v_mul_f64 v[30:31], v[2:3], v[44:45]
	v_mul_f64 v[32:33], v[4:5], v[44:45]
	s_waitcnt vmcnt(0) lgkmcnt(0)
	v_mul_f64 v[22:23], v[14:15], v[8:9]
	v_mul_f64 v[8:9], v[16:17], v[8:9]
	v_add_f64 v[18:19], v[18:19], v[28:29]
	v_add_f64 v[20:21], v[20:21], v[26:27]
	v_fma_f64 v[4:5], v[4:5], v[42:43], v[30:31]
	v_fma_f64 v[1:2], v[2:3], v[42:43], -v[32:33]
	v_fma_f64 v[16:17], v[16:17], v[6:7], v[22:23]
	v_fma_f64 v[6:7], v[14:15], v[6:7], -v[8:9]
	v_add_f64 v[10:11], v[18:19], v[10:11]
	v_add_f64 v[12:13], v[20:21], v[12:13]
	s_delay_alu instid0(VALU_DEP_2) | instskip(NEXT) | instid1(VALU_DEP_2)
	v_add_f64 v[1:2], v[10:11], v[1:2]
	v_add_f64 v[3:4], v[12:13], v[4:5]
	s_delay_alu instid0(VALU_DEP_2) | instskip(NEXT) | instid1(VALU_DEP_2)
	;; [unrolled: 3-line block ×3, first 2 shown]
	v_add_f64 v[1:2], v[154:155], -v[1:2]
	v_add_f64 v[3:4], v[156:157], -v[3:4]
	scratch_store_b128 off, v[1:4], off offset:288
	v_cmpx_lt_u32_e32 17, v148
	s_cbranch_execz .LBB50_285
; %bb.284:
	scratch_load_b128 v[1:4], v182, off
	v_mov_b32_e32 v5, 0
	s_delay_alu instid0(VALU_DEP_1)
	v_mov_b32_e32 v6, v5
	v_mov_b32_e32 v7, v5
	;; [unrolled: 1-line block ×3, first 2 shown]
	scratch_store_b128 off, v[5:8], off offset:272
	s_waitcnt vmcnt(0)
	ds_store_b128 v199, v[1:4]
.LBB50_285:
	s_or_b32 exec_lo, exec_lo, s2
	s_waitcnt lgkmcnt(0)
	s_waitcnt_vscnt null, 0x0
	s_barrier
	buffer_gl0_inv
	s_clause 0x7
	scratch_load_b128 v[2:5], off, off offset:288
	scratch_load_b128 v[6:9], off, off offset:304
	;; [unrolled: 1-line block ×8, first 2 shown]
	v_mov_b32_e32 v1, 0
	s_mov_b32 s2, exec_lo
	ds_load_b128 v[38:41], v1 offset:1104
	s_clause 0x1
	scratch_load_b128 v[34:37], off, off offset:416
	scratch_load_b128 v[42:45], off, off offset:272
	ds_load_b128 v[154:157], v1 offset:1120
	scratch_load_b128 v[158:161], off, off offset:432
	s_waitcnt vmcnt(10) lgkmcnt(1)
	v_mul_f64 v[162:163], v[40:41], v[4:5]
	v_mul_f64 v[4:5], v[38:39], v[4:5]
	s_delay_alu instid0(VALU_DEP_2) | instskip(NEXT) | instid1(VALU_DEP_2)
	v_fma_f64 v[214:215], v[38:39], v[2:3], -v[162:163]
	v_fma_f64 v[216:217], v[40:41], v[2:3], v[4:5]
	scratch_load_b128 v[38:41], off, off offset:448
	ds_load_b128 v[2:5], v1 offset:1136
	s_waitcnt vmcnt(10) lgkmcnt(1)
	v_mul_f64 v[212:213], v[154:155], v[8:9]
	v_mul_f64 v[8:9], v[156:157], v[8:9]
	ds_load_b128 v[162:165], v1 offset:1152
	s_waitcnt vmcnt(9) lgkmcnt(1)
	v_mul_f64 v[218:219], v[2:3], v[12:13]
	v_mul_f64 v[12:13], v[4:5], v[12:13]
	v_fma_f64 v[156:157], v[156:157], v[6:7], v[212:213]
	v_fma_f64 v[154:155], v[154:155], v[6:7], -v[8:9]
	v_add_f64 v[212:213], v[214:215], 0
	v_add_f64 v[214:215], v[216:217], 0
	scratch_load_b128 v[6:9], off, off offset:464
	v_fma_f64 v[218:219], v[4:5], v[10:11], v[218:219]
	v_fma_f64 v[220:221], v[2:3], v[10:11], -v[12:13]
	scratch_load_b128 v[10:13], off, off offset:480
	ds_load_b128 v[2:5], v1 offset:1168
	s_waitcnt vmcnt(10) lgkmcnt(1)
	v_mul_f64 v[216:217], v[162:163], v[16:17]
	v_mul_f64 v[16:17], v[164:165], v[16:17]
	v_add_f64 v[212:213], v[212:213], v[154:155]
	v_add_f64 v[214:215], v[214:215], v[156:157]
	s_waitcnt vmcnt(9) lgkmcnt(0)
	v_mul_f64 v[222:223], v[2:3], v[20:21]
	v_mul_f64 v[20:21], v[4:5], v[20:21]
	ds_load_b128 v[154:157], v1 offset:1184
	v_fma_f64 v[164:165], v[164:165], v[14:15], v[216:217]
	v_fma_f64 v[162:163], v[162:163], v[14:15], -v[16:17]
	scratch_load_b128 v[14:17], off, off offset:496
	v_add_f64 v[212:213], v[212:213], v[220:221]
	v_add_f64 v[214:215], v[214:215], v[218:219]
	v_fma_f64 v[218:219], v[4:5], v[18:19], v[222:223]
	v_fma_f64 v[220:221], v[2:3], v[18:19], -v[20:21]
	scratch_load_b128 v[18:21], off, off offset:512
	ds_load_b128 v[2:5], v1 offset:1200
	s_waitcnt vmcnt(10) lgkmcnt(1)
	v_mul_f64 v[216:217], v[154:155], v[24:25]
	v_mul_f64 v[24:25], v[156:157], v[24:25]
	s_waitcnt vmcnt(9) lgkmcnt(0)
	v_mul_f64 v[222:223], v[2:3], v[28:29]
	v_mul_f64 v[28:29], v[4:5], v[28:29]
	v_add_f64 v[212:213], v[212:213], v[162:163]
	v_add_f64 v[214:215], v[214:215], v[164:165]
	ds_load_b128 v[162:165], v1 offset:1216
	v_fma_f64 v[156:157], v[156:157], v[22:23], v[216:217]
	v_fma_f64 v[154:155], v[154:155], v[22:23], -v[24:25]
	scratch_load_b128 v[22:25], off, off offset:528
	v_add_f64 v[212:213], v[212:213], v[220:221]
	v_add_f64 v[214:215], v[214:215], v[218:219]
	v_fma_f64 v[218:219], v[4:5], v[26:27], v[222:223]
	v_fma_f64 v[220:221], v[2:3], v[26:27], -v[28:29]
	scratch_load_b128 v[26:29], off, off offset:544
	ds_load_b128 v[2:5], v1 offset:1232
	s_waitcnt vmcnt(10) lgkmcnt(1)
	v_mul_f64 v[216:217], v[162:163], v[32:33]
	v_mul_f64 v[32:33], v[164:165], v[32:33]
	s_waitcnt vmcnt(9) lgkmcnt(0)
	v_mul_f64 v[222:223], v[2:3], v[36:37]
	v_mul_f64 v[36:37], v[4:5], v[36:37]
	v_add_f64 v[212:213], v[212:213], v[154:155]
	v_add_f64 v[214:215], v[214:215], v[156:157]
	ds_load_b128 v[154:157], v1 offset:1248
	v_fma_f64 v[164:165], v[164:165], v[30:31], v[216:217]
	v_fma_f64 v[162:163], v[162:163], v[30:31], -v[32:33]
	scratch_load_b128 v[30:33], off, off offset:560
	v_add_f64 v[212:213], v[212:213], v[220:221]
	v_add_f64 v[214:215], v[214:215], v[218:219]
	v_fma_f64 v[220:221], v[4:5], v[34:35], v[222:223]
	v_fma_f64 v[222:223], v[2:3], v[34:35], -v[36:37]
	scratch_load_b128 v[34:37], off, off offset:576
	ds_load_b128 v[2:5], v1 offset:1264
	s_waitcnt vmcnt(9) lgkmcnt(1)
	v_mul_f64 v[216:217], v[154:155], v[160:161]
	v_mul_f64 v[218:219], v[156:157], v[160:161]
	v_add_f64 v[212:213], v[212:213], v[162:163]
	v_add_f64 v[164:165], v[214:215], v[164:165]
	ds_load_b128 v[160:163], v1 offset:1280
	v_fma_f64 v[216:217], v[156:157], v[158:159], v[216:217]
	v_fma_f64 v[158:159], v[154:155], v[158:159], -v[218:219]
	scratch_load_b128 v[154:157], off, off offset:592
	s_waitcnt vmcnt(9) lgkmcnt(1)
	v_mul_f64 v[214:215], v[2:3], v[40:41]
	v_mul_f64 v[40:41], v[4:5], v[40:41]
	v_add_f64 v[212:213], v[212:213], v[222:223]
	v_add_f64 v[164:165], v[164:165], v[220:221]
	s_delay_alu instid0(VALU_DEP_4) | instskip(NEXT) | instid1(VALU_DEP_4)
	v_fma_f64 v[220:221], v[4:5], v[38:39], v[214:215]
	v_fma_f64 v[222:223], v[2:3], v[38:39], -v[40:41]
	scratch_load_b128 v[38:41], off, off offset:608
	ds_load_b128 v[2:5], v1 offset:1296
	s_waitcnt vmcnt(9) lgkmcnt(1)
	v_mul_f64 v[218:219], v[160:161], v[8:9]
	v_mul_f64 v[8:9], v[162:163], v[8:9]
	v_add_f64 v[158:159], v[212:213], v[158:159]
	v_add_f64 v[164:165], v[164:165], v[216:217]
	s_waitcnt vmcnt(8) lgkmcnt(0)
	v_mul_f64 v[216:217], v[2:3], v[12:13]
	v_mul_f64 v[12:13], v[4:5], v[12:13]
	ds_load_b128 v[212:215], v1 offset:1312
	v_fma_f64 v[162:163], v[162:163], v[6:7], v[218:219]
	v_fma_f64 v[160:161], v[160:161], v[6:7], -v[8:9]
	scratch_load_b128 v[6:9], off, off offset:624
	v_add_f64 v[158:159], v[158:159], v[222:223]
	v_add_f64 v[164:165], v[164:165], v[220:221]
	v_fma_f64 v[216:217], v[4:5], v[10:11], v[216:217]
	v_fma_f64 v[220:221], v[2:3], v[10:11], -v[12:13]
	scratch_load_b128 v[10:13], off, off offset:640
	ds_load_b128 v[2:5], v1 offset:1328
	s_waitcnt vmcnt(9) lgkmcnt(1)
	v_mul_f64 v[218:219], v[212:213], v[16:17]
	v_mul_f64 v[16:17], v[214:215], v[16:17]
	v_add_f64 v[222:223], v[158:159], v[160:161]
	v_add_f64 v[162:163], v[164:165], v[162:163]
	s_waitcnt vmcnt(8) lgkmcnt(0)
	v_mul_f64 v[164:165], v[2:3], v[20:21]
	v_mul_f64 v[20:21], v[4:5], v[20:21]
	ds_load_b128 v[158:161], v1 offset:1344
	v_fma_f64 v[214:215], v[214:215], v[14:15], v[218:219]
	v_fma_f64 v[212:213], v[212:213], v[14:15], -v[16:17]
	scratch_load_b128 v[14:17], off, off offset:656
	v_add_f64 v[218:219], v[222:223], v[220:221]
	v_add_f64 v[162:163], v[162:163], v[216:217]
	;; [unrolled: 18-line block ×3, first 2 shown]
	v_fma_f64 v[218:219], v[4:5], v[26:27], v[218:219]
	v_fma_f64 v[220:221], v[2:3], v[26:27], -v[28:29]
	scratch_load_b128 v[26:29], off, off offset:704
	ds_load_b128 v[2:5], v1 offset:1392
	s_waitcnt vmcnt(9) lgkmcnt(1)
	v_mul_f64 v[216:217], v[162:163], v[32:33]
	v_mul_f64 v[32:33], v[164:165], v[32:33]
	s_waitcnt vmcnt(8) lgkmcnt(0)
	v_mul_f64 v[222:223], v[2:3], v[36:37]
	v_mul_f64 v[36:37], v[4:5], v[36:37]
	v_add_f64 v[212:213], v[212:213], v[158:159]
	v_add_f64 v[214:215], v[214:215], v[160:161]
	ds_load_b128 v[158:161], v1 offset:1408
	v_fma_f64 v[164:165], v[164:165], v[30:31], v[216:217]
	v_fma_f64 v[162:163], v[162:163], v[30:31], -v[32:33]
	scratch_load_b128 v[30:33], off, off offset:720
	v_add_f64 v[212:213], v[212:213], v[220:221]
	v_add_f64 v[214:215], v[214:215], v[218:219]
	v_fma_f64 v[218:219], v[4:5], v[34:35], v[222:223]
	v_fma_f64 v[220:221], v[2:3], v[34:35], -v[36:37]
	scratch_load_b128 v[34:37], off, off offset:736
	ds_load_b128 v[2:5], v1 offset:1424
	s_waitcnt vmcnt(9) lgkmcnt(1)
	v_mul_f64 v[216:217], v[158:159], v[156:157]
	v_mul_f64 v[156:157], v[160:161], v[156:157]
	s_waitcnt vmcnt(8) lgkmcnt(0)
	v_mul_f64 v[222:223], v[2:3], v[40:41]
	v_mul_f64 v[40:41], v[4:5], v[40:41]
	v_add_f64 v[212:213], v[212:213], v[162:163]
	v_add_f64 v[214:215], v[214:215], v[164:165]
	ds_load_b128 v[162:165], v1 offset:1440
	v_fma_f64 v[160:161], v[160:161], v[154:155], v[216:217]
	v_fma_f64 v[158:159], v[158:159], v[154:155], -v[156:157]
	scratch_load_b128 v[154:157], off, off offset:752
	v_add_f64 v[212:213], v[212:213], v[220:221]
	v_add_f64 v[214:215], v[214:215], v[218:219]
	;; [unrolled: 18-line block ×3, first 2 shown]
	v_fma_f64 v[218:219], v[4:5], v[10:11], v[222:223]
	v_fma_f64 v[220:221], v[2:3], v[10:11], -v[12:13]
	scratch_load_b128 v[10:13], off, off offset:800
	ds_load_b128 v[2:5], v1 offset:1488
	s_waitcnt vmcnt(9) lgkmcnt(1)
	v_mul_f64 v[216:217], v[158:159], v[16:17]
	v_mul_f64 v[16:17], v[160:161], v[16:17]
	s_waitcnt vmcnt(8) lgkmcnt(0)
	v_mul_f64 v[222:223], v[2:3], v[20:21]
	v_mul_f64 v[20:21], v[4:5], v[20:21]
	v_add_f64 v[212:213], v[212:213], v[162:163]
	v_add_f64 v[214:215], v[214:215], v[164:165]
	ds_load_b128 v[162:165], v1 offset:1504
	v_fma_f64 v[160:161], v[160:161], v[14:15], v[216:217]
	v_fma_f64 v[14:15], v[158:159], v[14:15], -v[16:17]
	v_add_f64 v[16:17], v[212:213], v[220:221]
	v_add_f64 v[158:159], v[214:215], v[218:219]
	s_waitcnt vmcnt(7) lgkmcnt(0)
	v_mul_f64 v[212:213], v[162:163], v[24:25]
	v_mul_f64 v[24:25], v[164:165], v[24:25]
	v_fma_f64 v[214:215], v[4:5], v[18:19], v[222:223]
	v_fma_f64 v[18:19], v[2:3], v[18:19], -v[20:21]
	v_add_f64 v[20:21], v[16:17], v[14:15]
	v_add_f64 v[158:159], v[158:159], v[160:161]
	ds_load_b128 v[2:5], v1 offset:1520
	ds_load_b128 v[14:17], v1 offset:1536
	v_fma_f64 v[164:165], v[164:165], v[22:23], v[212:213]
	v_fma_f64 v[22:23], v[162:163], v[22:23], -v[24:25]
	s_waitcnt vmcnt(6) lgkmcnt(1)
	v_mul_f64 v[160:161], v[2:3], v[28:29]
	v_mul_f64 v[28:29], v[4:5], v[28:29]
	s_waitcnt vmcnt(5) lgkmcnt(0)
	v_mul_f64 v[24:25], v[14:15], v[32:33]
	v_mul_f64 v[32:33], v[16:17], v[32:33]
	v_add_f64 v[18:19], v[20:21], v[18:19]
	v_add_f64 v[20:21], v[158:159], v[214:215]
	v_fma_f64 v[158:159], v[4:5], v[26:27], v[160:161]
	v_fma_f64 v[26:27], v[2:3], v[26:27], -v[28:29]
	v_fma_f64 v[16:17], v[16:17], v[30:31], v[24:25]
	v_fma_f64 v[14:15], v[14:15], v[30:31], -v[32:33]
	v_add_f64 v[22:23], v[18:19], v[22:23]
	v_add_f64 v[28:29], v[20:21], v[164:165]
	ds_load_b128 v[2:5], v1 offset:1552
	ds_load_b128 v[18:21], v1 offset:1568
	s_waitcnt vmcnt(4) lgkmcnt(1)
	v_mul_f64 v[160:161], v[2:3], v[36:37]
	v_mul_f64 v[36:37], v[4:5], v[36:37]
	v_add_f64 v[22:23], v[22:23], v[26:27]
	v_add_f64 v[24:25], v[28:29], v[158:159]
	s_waitcnt vmcnt(3) lgkmcnt(0)
	v_mul_f64 v[26:27], v[18:19], v[156:157]
	v_mul_f64 v[28:29], v[20:21], v[156:157]
	v_fma_f64 v[30:31], v[4:5], v[34:35], v[160:161]
	v_fma_f64 v[32:33], v[2:3], v[34:35], -v[36:37]
	v_add_f64 v[22:23], v[22:23], v[14:15]
	v_add_f64 v[24:25], v[24:25], v[16:17]
	ds_load_b128 v[2:5], v1 offset:1584
	ds_load_b128 v[14:17], v1 offset:1600
	v_fma_f64 v[20:21], v[20:21], v[154:155], v[26:27]
	v_fma_f64 v[18:19], v[18:19], v[154:155], -v[28:29]
	s_waitcnt vmcnt(2) lgkmcnt(1)
	v_mul_f64 v[34:35], v[2:3], v[40:41]
	v_mul_f64 v[36:37], v[4:5], v[40:41]
	s_waitcnt vmcnt(1) lgkmcnt(0)
	v_mul_f64 v[26:27], v[14:15], v[8:9]
	v_mul_f64 v[8:9], v[16:17], v[8:9]
	v_add_f64 v[22:23], v[22:23], v[32:33]
	v_add_f64 v[24:25], v[24:25], v[30:31]
	v_fma_f64 v[28:29], v[4:5], v[38:39], v[34:35]
	v_fma_f64 v[30:31], v[2:3], v[38:39], -v[36:37]
	ds_load_b128 v[2:5], v1 offset:1616
	v_fma_f64 v[16:17], v[16:17], v[6:7], v[26:27]
	v_fma_f64 v[6:7], v[14:15], v[6:7], -v[8:9]
	v_add_f64 v[18:19], v[22:23], v[18:19]
	v_add_f64 v[20:21], v[24:25], v[20:21]
	s_waitcnt vmcnt(0) lgkmcnt(0)
	v_mul_f64 v[22:23], v[2:3], v[12:13]
	v_mul_f64 v[12:13], v[4:5], v[12:13]
	s_delay_alu instid0(VALU_DEP_4) | instskip(NEXT) | instid1(VALU_DEP_4)
	v_add_f64 v[8:9], v[18:19], v[30:31]
	v_add_f64 v[14:15], v[20:21], v[28:29]
	s_delay_alu instid0(VALU_DEP_4) | instskip(NEXT) | instid1(VALU_DEP_4)
	v_fma_f64 v[4:5], v[4:5], v[10:11], v[22:23]
	v_fma_f64 v[2:3], v[2:3], v[10:11], -v[12:13]
	s_delay_alu instid0(VALU_DEP_4) | instskip(NEXT) | instid1(VALU_DEP_4)
	v_add_f64 v[6:7], v[8:9], v[6:7]
	v_add_f64 v[8:9], v[14:15], v[16:17]
	s_delay_alu instid0(VALU_DEP_2) | instskip(NEXT) | instid1(VALU_DEP_2)
	v_add_f64 v[2:3], v[6:7], v[2:3]
	v_add_f64 v[4:5], v[8:9], v[4:5]
	s_delay_alu instid0(VALU_DEP_2) | instskip(NEXT) | instid1(VALU_DEP_2)
	v_add_f64 v[2:3], v[42:43], -v[2:3]
	v_add_f64 v[4:5], v[44:45], -v[4:5]
	scratch_store_b128 off, v[2:5], off offset:272
	v_cmpx_lt_u32_e32 16, v148
	s_cbranch_execz .LBB50_287
; %bb.286:
	scratch_load_b128 v[5:8], v183, off
	v_mov_b32_e32 v2, v1
	v_mov_b32_e32 v3, v1
	;; [unrolled: 1-line block ×3, first 2 shown]
	scratch_store_b128 off, v[1:4], off offset:256
	s_waitcnt vmcnt(0)
	ds_store_b128 v199, v[5:8]
.LBB50_287:
	s_or_b32 exec_lo, exec_lo, s2
	s_waitcnt lgkmcnt(0)
	s_waitcnt_vscnt null, 0x0
	s_barrier
	buffer_gl0_inv
	s_clause 0x8
	scratch_load_b128 v[2:5], off, off offset:272
	scratch_load_b128 v[6:9], off, off offset:288
	scratch_load_b128 v[10:13], off, off offset:304
	scratch_load_b128 v[14:17], off, off offset:320
	scratch_load_b128 v[18:21], off, off offset:336
	scratch_load_b128 v[22:25], off, off offset:352
	scratch_load_b128 v[26:29], off, off offset:368
	scratch_load_b128 v[30:33], off, off offset:384
	scratch_load_b128 v[34:37], off, off offset:400
	ds_load_b128 v[42:45], v1 offset:1088
	ds_load_b128 v[38:41], v1 offset:1104
	s_clause 0x1
	scratch_load_b128 v[154:157], off, off offset:256
	scratch_load_b128 v[158:161], off, off offset:416
	s_mov_b32 s2, exec_lo
	s_waitcnt vmcnt(10) lgkmcnt(1)
	v_mul_f64 v[162:163], v[44:45], v[4:5]
	v_mul_f64 v[4:5], v[42:43], v[4:5]
	s_waitcnt vmcnt(9) lgkmcnt(0)
	v_mul_f64 v[212:213], v[38:39], v[8:9]
	v_mul_f64 v[8:9], v[40:41], v[8:9]
	s_delay_alu instid0(VALU_DEP_4) | instskip(NEXT) | instid1(VALU_DEP_4)
	v_fma_f64 v[214:215], v[42:43], v[2:3], -v[162:163]
	v_fma_f64 v[216:217], v[44:45], v[2:3], v[4:5]
	ds_load_b128 v[2:5], v1 offset:1120
	ds_load_b128 v[162:165], v1 offset:1136
	scratch_load_b128 v[42:45], off, off offset:432
	v_fma_f64 v[40:41], v[40:41], v[6:7], v[212:213]
	v_fma_f64 v[38:39], v[38:39], v[6:7], -v[8:9]
	scratch_load_b128 v[6:9], off, off offset:448
	s_waitcnt vmcnt(10) lgkmcnt(1)
	v_mul_f64 v[218:219], v[2:3], v[12:13]
	v_mul_f64 v[12:13], v[4:5], v[12:13]
	v_add_f64 v[212:213], v[214:215], 0
	v_add_f64 v[214:215], v[216:217], 0
	s_waitcnt vmcnt(9) lgkmcnt(0)
	v_mul_f64 v[216:217], v[162:163], v[16:17]
	v_mul_f64 v[16:17], v[164:165], v[16:17]
	v_fma_f64 v[218:219], v[4:5], v[10:11], v[218:219]
	v_fma_f64 v[220:221], v[2:3], v[10:11], -v[12:13]
	ds_load_b128 v[2:5], v1 offset:1152
	scratch_load_b128 v[10:13], off, off offset:464
	v_add_f64 v[212:213], v[212:213], v[38:39]
	v_add_f64 v[214:215], v[214:215], v[40:41]
	ds_load_b128 v[38:41], v1 offset:1168
	v_fma_f64 v[164:165], v[164:165], v[14:15], v[216:217]
	v_fma_f64 v[162:163], v[162:163], v[14:15], -v[16:17]
	scratch_load_b128 v[14:17], off, off offset:480
	s_waitcnt vmcnt(10) lgkmcnt(1)
	v_mul_f64 v[222:223], v[2:3], v[20:21]
	v_mul_f64 v[20:21], v[4:5], v[20:21]
	s_waitcnt vmcnt(9) lgkmcnt(0)
	v_mul_f64 v[216:217], v[38:39], v[24:25]
	v_mul_f64 v[24:25], v[40:41], v[24:25]
	v_add_f64 v[212:213], v[212:213], v[220:221]
	v_add_f64 v[214:215], v[214:215], v[218:219]
	v_fma_f64 v[218:219], v[4:5], v[18:19], v[222:223]
	v_fma_f64 v[220:221], v[2:3], v[18:19], -v[20:21]
	ds_load_b128 v[2:5], v1 offset:1184
	scratch_load_b128 v[18:21], off, off offset:496
	v_fma_f64 v[40:41], v[40:41], v[22:23], v[216:217]
	v_fma_f64 v[38:39], v[38:39], v[22:23], -v[24:25]
	scratch_load_b128 v[22:25], off, off offset:512
	v_add_f64 v[212:213], v[212:213], v[162:163]
	v_add_f64 v[214:215], v[214:215], v[164:165]
	ds_load_b128 v[162:165], v1 offset:1200
	s_waitcnt vmcnt(10) lgkmcnt(1)
	v_mul_f64 v[222:223], v[2:3], v[28:29]
	v_mul_f64 v[28:29], v[4:5], v[28:29]
	s_waitcnt vmcnt(9) lgkmcnt(0)
	v_mul_f64 v[216:217], v[162:163], v[32:33]
	v_mul_f64 v[32:33], v[164:165], v[32:33]
	v_add_f64 v[212:213], v[212:213], v[220:221]
	v_add_f64 v[214:215], v[214:215], v[218:219]
	v_fma_f64 v[218:219], v[4:5], v[26:27], v[222:223]
	v_fma_f64 v[220:221], v[2:3], v[26:27], -v[28:29]
	ds_load_b128 v[2:5], v1 offset:1216
	scratch_load_b128 v[26:29], off, off offset:528
	v_fma_f64 v[164:165], v[164:165], v[30:31], v[216:217]
	v_fma_f64 v[162:163], v[162:163], v[30:31], -v[32:33]
	scratch_load_b128 v[30:33], off, off offset:544
	v_add_f64 v[212:213], v[212:213], v[38:39]
	v_add_f64 v[214:215], v[214:215], v[40:41]
	ds_load_b128 v[38:41], v1 offset:1232
	s_waitcnt vmcnt(10) lgkmcnt(1)
	v_mul_f64 v[222:223], v[2:3], v[36:37]
	v_mul_f64 v[36:37], v[4:5], v[36:37]
	s_waitcnt vmcnt(8) lgkmcnt(0)
	v_mul_f64 v[216:217], v[38:39], v[160:161]
	v_add_f64 v[212:213], v[212:213], v[220:221]
	v_add_f64 v[214:215], v[214:215], v[218:219]
	v_mul_f64 v[218:219], v[40:41], v[160:161]
	v_fma_f64 v[220:221], v[4:5], v[34:35], v[222:223]
	v_fma_f64 v[222:223], v[2:3], v[34:35], -v[36:37]
	ds_load_b128 v[2:5], v1 offset:1248
	scratch_load_b128 v[34:37], off, off offset:560
	v_fma_f64 v[216:217], v[40:41], v[158:159], v[216:217]
	v_add_f64 v[212:213], v[212:213], v[162:163]
	v_add_f64 v[164:165], v[214:215], v[164:165]
	ds_load_b128 v[160:163], v1 offset:1264
	v_fma_f64 v[158:159], v[38:39], v[158:159], -v[218:219]
	scratch_load_b128 v[38:41], off, off offset:576
	s_waitcnt vmcnt(9) lgkmcnt(1)
	v_mul_f64 v[214:215], v[2:3], v[44:45]
	v_mul_f64 v[44:45], v[4:5], v[44:45]
	s_waitcnt vmcnt(8) lgkmcnt(0)
	v_mul_f64 v[218:219], v[160:161], v[8:9]
	v_mul_f64 v[8:9], v[162:163], v[8:9]
	v_add_f64 v[212:213], v[212:213], v[222:223]
	v_add_f64 v[164:165], v[164:165], v[220:221]
	v_fma_f64 v[220:221], v[4:5], v[42:43], v[214:215]
	v_fma_f64 v[222:223], v[2:3], v[42:43], -v[44:45]
	ds_load_b128 v[2:5], v1 offset:1280
	scratch_load_b128 v[42:45], off, off offset:592
	v_fma_f64 v[162:163], v[162:163], v[6:7], v[218:219]
	v_fma_f64 v[160:161], v[160:161], v[6:7], -v[8:9]
	scratch_load_b128 v[6:9], off, off offset:608
	v_add_f64 v[158:159], v[212:213], v[158:159]
	v_add_f64 v[164:165], v[164:165], v[216:217]
	ds_load_b128 v[212:215], v1 offset:1296
	s_waitcnt vmcnt(9) lgkmcnt(1)
	v_mul_f64 v[216:217], v[2:3], v[12:13]
	v_mul_f64 v[12:13], v[4:5], v[12:13]
	s_waitcnt vmcnt(8) lgkmcnt(0)
	v_mul_f64 v[218:219], v[212:213], v[16:17]
	v_mul_f64 v[16:17], v[214:215], v[16:17]
	v_add_f64 v[158:159], v[158:159], v[222:223]
	v_add_f64 v[164:165], v[164:165], v[220:221]
	v_fma_f64 v[216:217], v[4:5], v[10:11], v[216:217]
	v_fma_f64 v[220:221], v[2:3], v[10:11], -v[12:13]
	ds_load_b128 v[2:5], v1 offset:1312
	scratch_load_b128 v[10:13], off, off offset:624
	v_fma_f64 v[214:215], v[214:215], v[14:15], v[218:219]
	v_fma_f64 v[212:213], v[212:213], v[14:15], -v[16:17]
	scratch_load_b128 v[14:17], off, off offset:640
	v_add_f64 v[222:223], v[158:159], v[160:161]
	v_add_f64 v[162:163], v[164:165], v[162:163]
	ds_load_b128 v[158:161], v1 offset:1328
	s_waitcnt vmcnt(9) lgkmcnt(1)
	v_mul_f64 v[164:165], v[2:3], v[20:21]
	v_mul_f64 v[20:21], v[4:5], v[20:21]
	v_add_f64 v[218:219], v[222:223], v[220:221]
	v_add_f64 v[162:163], v[162:163], v[216:217]
	s_waitcnt vmcnt(8) lgkmcnt(0)
	v_mul_f64 v[216:217], v[158:159], v[24:25]
	v_mul_f64 v[24:25], v[160:161], v[24:25]
	v_fma_f64 v[220:221], v[4:5], v[18:19], v[164:165]
	v_fma_f64 v[222:223], v[2:3], v[18:19], -v[20:21]
	ds_load_b128 v[2:5], v1 offset:1344
	scratch_load_b128 v[18:21], off, off offset:656
	v_add_f64 v[212:213], v[218:219], v[212:213]
	v_add_f64 v[214:215], v[162:163], v[214:215]
	ds_load_b128 v[162:165], v1 offset:1360
	s_waitcnt vmcnt(8) lgkmcnt(1)
	v_mul_f64 v[218:219], v[2:3], v[28:29]
	v_mul_f64 v[28:29], v[4:5], v[28:29]
	v_fma_f64 v[160:161], v[160:161], v[22:23], v[216:217]
	v_fma_f64 v[158:159], v[158:159], v[22:23], -v[24:25]
	scratch_load_b128 v[22:25], off, off offset:672
	s_waitcnt vmcnt(8) lgkmcnt(0)
	v_mul_f64 v[216:217], v[162:163], v[32:33]
	v_mul_f64 v[32:33], v[164:165], v[32:33]
	v_add_f64 v[212:213], v[212:213], v[222:223]
	v_add_f64 v[214:215], v[214:215], v[220:221]
	v_fma_f64 v[218:219], v[4:5], v[26:27], v[218:219]
	v_fma_f64 v[220:221], v[2:3], v[26:27], -v[28:29]
	ds_load_b128 v[2:5], v1 offset:1376
	scratch_load_b128 v[26:29], off, off offset:688
	v_fma_f64 v[164:165], v[164:165], v[30:31], v[216:217]
	v_fma_f64 v[162:163], v[162:163], v[30:31], -v[32:33]
	scratch_load_b128 v[30:33], off, off offset:704
	v_add_f64 v[212:213], v[212:213], v[158:159]
	v_add_f64 v[214:215], v[214:215], v[160:161]
	ds_load_b128 v[158:161], v1 offset:1392
	s_waitcnt vmcnt(9) lgkmcnt(1)
	v_mul_f64 v[222:223], v[2:3], v[36:37]
	v_mul_f64 v[36:37], v[4:5], v[36:37]
	s_waitcnt vmcnt(8) lgkmcnt(0)
	v_mul_f64 v[216:217], v[158:159], v[40:41]
	v_mul_f64 v[40:41], v[160:161], v[40:41]
	v_add_f64 v[212:213], v[212:213], v[220:221]
	v_add_f64 v[214:215], v[214:215], v[218:219]
	v_fma_f64 v[218:219], v[4:5], v[34:35], v[222:223]
	v_fma_f64 v[220:221], v[2:3], v[34:35], -v[36:37]
	ds_load_b128 v[2:5], v1 offset:1408
	scratch_load_b128 v[34:37], off, off offset:720
	v_fma_f64 v[160:161], v[160:161], v[38:39], v[216:217]
	v_fma_f64 v[158:159], v[158:159], v[38:39], -v[40:41]
	scratch_load_b128 v[38:41], off, off offset:736
	v_add_f64 v[212:213], v[212:213], v[162:163]
	v_add_f64 v[214:215], v[214:215], v[164:165]
	ds_load_b128 v[162:165], v1 offset:1424
	s_waitcnt vmcnt(9) lgkmcnt(1)
	v_mul_f64 v[222:223], v[2:3], v[44:45]
	v_mul_f64 v[44:45], v[4:5], v[44:45]
	;; [unrolled: 18-line block ×4, first 2 shown]
	s_waitcnt vmcnt(8) lgkmcnt(0)
	v_mul_f64 v[216:217], v[162:163], v[24:25]
	v_mul_f64 v[24:25], v[164:165], v[24:25]
	v_add_f64 v[212:213], v[212:213], v[220:221]
	v_add_f64 v[214:215], v[214:215], v[218:219]
	v_fma_f64 v[218:219], v[4:5], v[18:19], v[222:223]
	v_fma_f64 v[220:221], v[2:3], v[18:19], -v[20:21]
	ds_load_b128 v[2:5], v1 offset:1504
	ds_load_b128 v[18:21], v1 offset:1520
	v_fma_f64 v[164:165], v[164:165], v[22:23], v[216:217]
	v_fma_f64 v[22:23], v[162:163], v[22:23], -v[24:25]
	v_add_f64 v[158:159], v[212:213], v[158:159]
	v_add_f64 v[160:161], v[214:215], v[160:161]
	s_waitcnt vmcnt(7) lgkmcnt(1)
	v_mul_f64 v[212:213], v[2:3], v[28:29]
	v_mul_f64 v[28:29], v[4:5], v[28:29]
	s_delay_alu instid0(VALU_DEP_4) | instskip(NEXT) | instid1(VALU_DEP_4)
	v_add_f64 v[24:25], v[158:159], v[220:221]
	v_add_f64 v[158:159], v[160:161], v[218:219]
	s_waitcnt vmcnt(6) lgkmcnt(0)
	v_mul_f64 v[160:161], v[18:19], v[32:33]
	v_mul_f64 v[32:33], v[20:21], v[32:33]
	v_fma_f64 v[162:163], v[4:5], v[26:27], v[212:213]
	v_fma_f64 v[26:27], v[2:3], v[26:27], -v[28:29]
	v_add_f64 v[28:29], v[24:25], v[22:23]
	v_add_f64 v[158:159], v[158:159], v[164:165]
	ds_load_b128 v[2:5], v1 offset:1536
	ds_load_b128 v[22:25], v1 offset:1552
	v_fma_f64 v[20:21], v[20:21], v[30:31], v[160:161]
	v_fma_f64 v[18:19], v[18:19], v[30:31], -v[32:33]
	s_waitcnt vmcnt(5) lgkmcnt(1)
	v_mul_f64 v[164:165], v[2:3], v[36:37]
	v_mul_f64 v[36:37], v[4:5], v[36:37]
	s_waitcnt vmcnt(4) lgkmcnt(0)
	v_mul_f64 v[30:31], v[22:23], v[40:41]
	v_mul_f64 v[32:33], v[24:25], v[40:41]
	v_add_f64 v[26:27], v[28:29], v[26:27]
	v_add_f64 v[28:29], v[158:159], v[162:163]
	v_fma_f64 v[40:41], v[4:5], v[34:35], v[164:165]
	v_fma_f64 v[34:35], v[2:3], v[34:35], -v[36:37]
	v_fma_f64 v[24:25], v[24:25], v[38:39], v[30:31]
	v_fma_f64 v[22:23], v[22:23], v[38:39], -v[32:33]
	v_add_f64 v[26:27], v[26:27], v[18:19]
	v_add_f64 v[28:29], v[28:29], v[20:21]
	ds_load_b128 v[2:5], v1 offset:1568
	ds_load_b128 v[18:21], v1 offset:1584
	s_waitcnt vmcnt(3) lgkmcnt(1)
	v_mul_f64 v[36:37], v[2:3], v[44:45]
	v_mul_f64 v[44:45], v[4:5], v[44:45]
	s_waitcnt vmcnt(2) lgkmcnt(0)
	v_mul_f64 v[30:31], v[18:19], v[8:9]
	v_mul_f64 v[8:9], v[20:21], v[8:9]
	v_add_f64 v[26:27], v[26:27], v[34:35]
	v_add_f64 v[28:29], v[28:29], v[40:41]
	v_fma_f64 v[32:33], v[4:5], v[42:43], v[36:37]
	v_fma_f64 v[34:35], v[2:3], v[42:43], -v[44:45]
	v_fma_f64 v[20:21], v[20:21], v[6:7], v[30:31]
	v_fma_f64 v[6:7], v[18:19], v[6:7], -v[8:9]
	v_add_f64 v[26:27], v[26:27], v[22:23]
	v_add_f64 v[28:29], v[28:29], v[24:25]
	ds_load_b128 v[2:5], v1 offset:1600
	ds_load_b128 v[22:25], v1 offset:1616
	s_waitcnt vmcnt(1) lgkmcnt(1)
	v_mul_f64 v[36:37], v[2:3], v[12:13]
	v_mul_f64 v[12:13], v[4:5], v[12:13]
	v_add_f64 v[8:9], v[26:27], v[34:35]
	v_add_f64 v[18:19], v[28:29], v[32:33]
	s_waitcnt vmcnt(0) lgkmcnt(0)
	v_mul_f64 v[26:27], v[22:23], v[16:17]
	v_mul_f64 v[16:17], v[24:25], v[16:17]
	v_fma_f64 v[4:5], v[4:5], v[10:11], v[36:37]
	v_fma_f64 v[1:2], v[2:3], v[10:11], -v[12:13]
	v_add_f64 v[6:7], v[8:9], v[6:7]
	v_add_f64 v[8:9], v[18:19], v[20:21]
	v_fma_f64 v[10:11], v[24:25], v[14:15], v[26:27]
	v_fma_f64 v[12:13], v[22:23], v[14:15], -v[16:17]
	s_delay_alu instid0(VALU_DEP_4) | instskip(NEXT) | instid1(VALU_DEP_4)
	v_add_f64 v[1:2], v[6:7], v[1:2]
	v_add_f64 v[3:4], v[8:9], v[4:5]
	s_delay_alu instid0(VALU_DEP_2) | instskip(NEXT) | instid1(VALU_DEP_2)
	v_add_f64 v[1:2], v[1:2], v[12:13]
	v_add_f64 v[3:4], v[3:4], v[10:11]
	s_delay_alu instid0(VALU_DEP_2) | instskip(NEXT) | instid1(VALU_DEP_2)
	v_add_f64 v[1:2], v[154:155], -v[1:2]
	v_add_f64 v[3:4], v[156:157], -v[3:4]
	scratch_store_b128 off, v[1:4], off offset:256
	v_cmpx_lt_u32_e32 15, v148
	s_cbranch_execz .LBB50_289
; %bb.288:
	scratch_load_b128 v[1:4], v184, off
	v_mov_b32_e32 v5, 0
	s_delay_alu instid0(VALU_DEP_1)
	v_mov_b32_e32 v6, v5
	v_mov_b32_e32 v7, v5
	;; [unrolled: 1-line block ×3, first 2 shown]
	scratch_store_b128 off, v[5:8], off offset:240
	s_waitcnt vmcnt(0)
	ds_store_b128 v199, v[1:4]
.LBB50_289:
	s_or_b32 exec_lo, exec_lo, s2
	s_waitcnt lgkmcnt(0)
	s_waitcnt_vscnt null, 0x0
	s_barrier
	buffer_gl0_inv
	s_clause 0x7
	scratch_load_b128 v[2:5], off, off offset:256
	scratch_load_b128 v[6:9], off, off offset:272
	;; [unrolled: 1-line block ×8, first 2 shown]
	v_mov_b32_e32 v1, 0
	s_mov_b32 s2, exec_lo
	ds_load_b128 v[38:41], v1 offset:1072
	s_clause 0x1
	scratch_load_b128 v[34:37], off, off offset:384
	scratch_load_b128 v[42:45], off, off offset:240
	ds_load_b128 v[154:157], v1 offset:1088
	scratch_load_b128 v[158:161], off, off offset:400
	s_waitcnt vmcnt(10) lgkmcnt(1)
	v_mul_f64 v[162:163], v[40:41], v[4:5]
	v_mul_f64 v[4:5], v[38:39], v[4:5]
	s_delay_alu instid0(VALU_DEP_2) | instskip(NEXT) | instid1(VALU_DEP_2)
	v_fma_f64 v[214:215], v[38:39], v[2:3], -v[162:163]
	v_fma_f64 v[216:217], v[40:41], v[2:3], v[4:5]
	scratch_load_b128 v[38:41], off, off offset:416
	ds_load_b128 v[2:5], v1 offset:1104
	s_waitcnt vmcnt(10) lgkmcnt(1)
	v_mul_f64 v[212:213], v[154:155], v[8:9]
	v_mul_f64 v[8:9], v[156:157], v[8:9]
	ds_load_b128 v[162:165], v1 offset:1120
	s_waitcnt vmcnt(9) lgkmcnt(1)
	v_mul_f64 v[218:219], v[2:3], v[12:13]
	v_mul_f64 v[12:13], v[4:5], v[12:13]
	v_fma_f64 v[156:157], v[156:157], v[6:7], v[212:213]
	v_fma_f64 v[154:155], v[154:155], v[6:7], -v[8:9]
	v_add_f64 v[212:213], v[214:215], 0
	v_add_f64 v[214:215], v[216:217], 0
	scratch_load_b128 v[6:9], off, off offset:432
	v_fma_f64 v[218:219], v[4:5], v[10:11], v[218:219]
	v_fma_f64 v[220:221], v[2:3], v[10:11], -v[12:13]
	scratch_load_b128 v[10:13], off, off offset:448
	ds_load_b128 v[2:5], v1 offset:1136
	s_waitcnt vmcnt(10) lgkmcnt(1)
	v_mul_f64 v[216:217], v[162:163], v[16:17]
	v_mul_f64 v[16:17], v[164:165], v[16:17]
	v_add_f64 v[212:213], v[212:213], v[154:155]
	v_add_f64 v[214:215], v[214:215], v[156:157]
	s_waitcnt vmcnt(9) lgkmcnt(0)
	v_mul_f64 v[222:223], v[2:3], v[20:21]
	v_mul_f64 v[20:21], v[4:5], v[20:21]
	ds_load_b128 v[154:157], v1 offset:1152
	v_fma_f64 v[164:165], v[164:165], v[14:15], v[216:217]
	v_fma_f64 v[162:163], v[162:163], v[14:15], -v[16:17]
	scratch_load_b128 v[14:17], off, off offset:464
	v_add_f64 v[212:213], v[212:213], v[220:221]
	v_add_f64 v[214:215], v[214:215], v[218:219]
	v_fma_f64 v[218:219], v[4:5], v[18:19], v[222:223]
	v_fma_f64 v[220:221], v[2:3], v[18:19], -v[20:21]
	scratch_load_b128 v[18:21], off, off offset:480
	ds_load_b128 v[2:5], v1 offset:1168
	s_waitcnt vmcnt(10) lgkmcnt(1)
	v_mul_f64 v[216:217], v[154:155], v[24:25]
	v_mul_f64 v[24:25], v[156:157], v[24:25]
	s_waitcnt vmcnt(9) lgkmcnt(0)
	v_mul_f64 v[222:223], v[2:3], v[28:29]
	v_mul_f64 v[28:29], v[4:5], v[28:29]
	v_add_f64 v[212:213], v[212:213], v[162:163]
	v_add_f64 v[214:215], v[214:215], v[164:165]
	ds_load_b128 v[162:165], v1 offset:1184
	v_fma_f64 v[156:157], v[156:157], v[22:23], v[216:217]
	v_fma_f64 v[154:155], v[154:155], v[22:23], -v[24:25]
	scratch_load_b128 v[22:25], off, off offset:496
	v_add_f64 v[212:213], v[212:213], v[220:221]
	v_add_f64 v[214:215], v[214:215], v[218:219]
	v_fma_f64 v[218:219], v[4:5], v[26:27], v[222:223]
	v_fma_f64 v[220:221], v[2:3], v[26:27], -v[28:29]
	scratch_load_b128 v[26:29], off, off offset:512
	ds_load_b128 v[2:5], v1 offset:1200
	s_waitcnt vmcnt(10) lgkmcnt(1)
	v_mul_f64 v[216:217], v[162:163], v[32:33]
	v_mul_f64 v[32:33], v[164:165], v[32:33]
	s_waitcnt vmcnt(9) lgkmcnt(0)
	v_mul_f64 v[222:223], v[2:3], v[36:37]
	v_mul_f64 v[36:37], v[4:5], v[36:37]
	v_add_f64 v[212:213], v[212:213], v[154:155]
	v_add_f64 v[214:215], v[214:215], v[156:157]
	ds_load_b128 v[154:157], v1 offset:1216
	v_fma_f64 v[164:165], v[164:165], v[30:31], v[216:217]
	v_fma_f64 v[162:163], v[162:163], v[30:31], -v[32:33]
	scratch_load_b128 v[30:33], off, off offset:528
	v_add_f64 v[212:213], v[212:213], v[220:221]
	v_add_f64 v[214:215], v[214:215], v[218:219]
	v_fma_f64 v[220:221], v[4:5], v[34:35], v[222:223]
	v_fma_f64 v[222:223], v[2:3], v[34:35], -v[36:37]
	scratch_load_b128 v[34:37], off, off offset:544
	ds_load_b128 v[2:5], v1 offset:1232
	s_waitcnt vmcnt(9) lgkmcnt(1)
	v_mul_f64 v[216:217], v[154:155], v[160:161]
	v_mul_f64 v[218:219], v[156:157], v[160:161]
	v_add_f64 v[212:213], v[212:213], v[162:163]
	v_add_f64 v[164:165], v[214:215], v[164:165]
	ds_load_b128 v[160:163], v1 offset:1248
	v_fma_f64 v[216:217], v[156:157], v[158:159], v[216:217]
	v_fma_f64 v[158:159], v[154:155], v[158:159], -v[218:219]
	scratch_load_b128 v[154:157], off, off offset:560
	s_waitcnt vmcnt(9) lgkmcnt(1)
	v_mul_f64 v[214:215], v[2:3], v[40:41]
	v_mul_f64 v[40:41], v[4:5], v[40:41]
	v_add_f64 v[212:213], v[212:213], v[222:223]
	v_add_f64 v[164:165], v[164:165], v[220:221]
	s_delay_alu instid0(VALU_DEP_4) | instskip(NEXT) | instid1(VALU_DEP_4)
	v_fma_f64 v[220:221], v[4:5], v[38:39], v[214:215]
	v_fma_f64 v[222:223], v[2:3], v[38:39], -v[40:41]
	scratch_load_b128 v[38:41], off, off offset:576
	ds_load_b128 v[2:5], v1 offset:1264
	s_waitcnt vmcnt(9) lgkmcnt(1)
	v_mul_f64 v[218:219], v[160:161], v[8:9]
	v_mul_f64 v[8:9], v[162:163], v[8:9]
	v_add_f64 v[158:159], v[212:213], v[158:159]
	v_add_f64 v[164:165], v[164:165], v[216:217]
	s_waitcnt vmcnt(8) lgkmcnt(0)
	v_mul_f64 v[216:217], v[2:3], v[12:13]
	v_mul_f64 v[12:13], v[4:5], v[12:13]
	ds_load_b128 v[212:215], v1 offset:1280
	v_fma_f64 v[162:163], v[162:163], v[6:7], v[218:219]
	v_fma_f64 v[160:161], v[160:161], v[6:7], -v[8:9]
	scratch_load_b128 v[6:9], off, off offset:592
	v_add_f64 v[158:159], v[158:159], v[222:223]
	v_add_f64 v[164:165], v[164:165], v[220:221]
	v_fma_f64 v[216:217], v[4:5], v[10:11], v[216:217]
	v_fma_f64 v[220:221], v[2:3], v[10:11], -v[12:13]
	scratch_load_b128 v[10:13], off, off offset:608
	ds_load_b128 v[2:5], v1 offset:1296
	s_waitcnt vmcnt(9) lgkmcnt(1)
	v_mul_f64 v[218:219], v[212:213], v[16:17]
	v_mul_f64 v[16:17], v[214:215], v[16:17]
	v_add_f64 v[222:223], v[158:159], v[160:161]
	v_add_f64 v[162:163], v[164:165], v[162:163]
	s_waitcnt vmcnt(8) lgkmcnt(0)
	v_mul_f64 v[164:165], v[2:3], v[20:21]
	v_mul_f64 v[20:21], v[4:5], v[20:21]
	ds_load_b128 v[158:161], v1 offset:1312
	v_fma_f64 v[214:215], v[214:215], v[14:15], v[218:219]
	v_fma_f64 v[212:213], v[212:213], v[14:15], -v[16:17]
	scratch_load_b128 v[14:17], off, off offset:624
	v_add_f64 v[218:219], v[222:223], v[220:221]
	v_add_f64 v[162:163], v[162:163], v[216:217]
	;; [unrolled: 18-line block ×3, first 2 shown]
	v_fma_f64 v[218:219], v[4:5], v[26:27], v[218:219]
	v_fma_f64 v[220:221], v[2:3], v[26:27], -v[28:29]
	scratch_load_b128 v[26:29], off, off offset:672
	ds_load_b128 v[2:5], v1 offset:1360
	s_waitcnt vmcnt(9) lgkmcnt(1)
	v_mul_f64 v[216:217], v[162:163], v[32:33]
	v_mul_f64 v[32:33], v[164:165], v[32:33]
	s_waitcnt vmcnt(8) lgkmcnt(0)
	v_mul_f64 v[222:223], v[2:3], v[36:37]
	v_mul_f64 v[36:37], v[4:5], v[36:37]
	v_add_f64 v[212:213], v[212:213], v[158:159]
	v_add_f64 v[214:215], v[214:215], v[160:161]
	ds_load_b128 v[158:161], v1 offset:1376
	v_fma_f64 v[164:165], v[164:165], v[30:31], v[216:217]
	v_fma_f64 v[162:163], v[162:163], v[30:31], -v[32:33]
	scratch_load_b128 v[30:33], off, off offset:688
	v_add_f64 v[212:213], v[212:213], v[220:221]
	v_add_f64 v[214:215], v[214:215], v[218:219]
	v_fma_f64 v[218:219], v[4:5], v[34:35], v[222:223]
	v_fma_f64 v[220:221], v[2:3], v[34:35], -v[36:37]
	scratch_load_b128 v[34:37], off, off offset:704
	ds_load_b128 v[2:5], v1 offset:1392
	s_waitcnt vmcnt(9) lgkmcnt(1)
	v_mul_f64 v[216:217], v[158:159], v[156:157]
	v_mul_f64 v[156:157], v[160:161], v[156:157]
	s_waitcnt vmcnt(8) lgkmcnt(0)
	v_mul_f64 v[222:223], v[2:3], v[40:41]
	v_mul_f64 v[40:41], v[4:5], v[40:41]
	v_add_f64 v[212:213], v[212:213], v[162:163]
	v_add_f64 v[214:215], v[214:215], v[164:165]
	ds_load_b128 v[162:165], v1 offset:1408
	v_fma_f64 v[160:161], v[160:161], v[154:155], v[216:217]
	v_fma_f64 v[158:159], v[158:159], v[154:155], -v[156:157]
	scratch_load_b128 v[154:157], off, off offset:720
	v_add_f64 v[212:213], v[212:213], v[220:221]
	v_add_f64 v[214:215], v[214:215], v[218:219]
	;; [unrolled: 18-line block ×4, first 2 shown]
	v_fma_f64 v[218:219], v[4:5], v[18:19], v[222:223]
	v_fma_f64 v[220:221], v[2:3], v[18:19], -v[20:21]
	scratch_load_b128 v[18:21], off, off offset:800
	ds_load_b128 v[2:5], v1 offset:1488
	s_waitcnt vmcnt(9) lgkmcnt(1)
	v_mul_f64 v[216:217], v[162:163], v[24:25]
	v_mul_f64 v[24:25], v[164:165], v[24:25]
	s_waitcnt vmcnt(8) lgkmcnt(0)
	v_mul_f64 v[222:223], v[2:3], v[28:29]
	v_mul_f64 v[28:29], v[4:5], v[28:29]
	v_add_f64 v[212:213], v[212:213], v[158:159]
	v_add_f64 v[214:215], v[214:215], v[160:161]
	ds_load_b128 v[158:161], v1 offset:1504
	v_fma_f64 v[164:165], v[164:165], v[22:23], v[216:217]
	v_fma_f64 v[22:23], v[162:163], v[22:23], -v[24:25]
	v_add_f64 v[24:25], v[212:213], v[220:221]
	v_add_f64 v[162:163], v[214:215], v[218:219]
	s_waitcnt vmcnt(7) lgkmcnt(0)
	v_mul_f64 v[212:213], v[158:159], v[32:33]
	v_mul_f64 v[32:33], v[160:161], v[32:33]
	v_fma_f64 v[214:215], v[4:5], v[26:27], v[222:223]
	v_fma_f64 v[26:27], v[2:3], v[26:27], -v[28:29]
	v_add_f64 v[28:29], v[24:25], v[22:23]
	v_add_f64 v[162:163], v[162:163], v[164:165]
	ds_load_b128 v[2:5], v1 offset:1520
	ds_load_b128 v[22:25], v1 offset:1536
	v_fma_f64 v[160:161], v[160:161], v[30:31], v[212:213]
	v_fma_f64 v[30:31], v[158:159], v[30:31], -v[32:33]
	s_waitcnt vmcnt(6) lgkmcnt(1)
	v_mul_f64 v[164:165], v[2:3], v[36:37]
	v_mul_f64 v[36:37], v[4:5], v[36:37]
	s_waitcnt vmcnt(5) lgkmcnt(0)
	v_mul_f64 v[32:33], v[22:23], v[156:157]
	v_mul_f64 v[156:157], v[24:25], v[156:157]
	v_add_f64 v[26:27], v[28:29], v[26:27]
	v_add_f64 v[28:29], v[162:163], v[214:215]
	v_fma_f64 v[158:159], v[4:5], v[34:35], v[164:165]
	v_fma_f64 v[34:35], v[2:3], v[34:35], -v[36:37]
	v_fma_f64 v[24:25], v[24:25], v[154:155], v[32:33]
	v_fma_f64 v[22:23], v[22:23], v[154:155], -v[156:157]
	v_add_f64 v[30:31], v[26:27], v[30:31]
	v_add_f64 v[36:37], v[28:29], v[160:161]
	ds_load_b128 v[2:5], v1 offset:1552
	ds_load_b128 v[26:29], v1 offset:1568
	s_waitcnt vmcnt(4) lgkmcnt(1)
	v_mul_f64 v[160:161], v[2:3], v[40:41]
	v_mul_f64 v[40:41], v[4:5], v[40:41]
	v_add_f64 v[30:31], v[30:31], v[34:35]
	v_add_f64 v[32:33], v[36:37], v[158:159]
	s_waitcnt vmcnt(3) lgkmcnt(0)
	v_mul_f64 v[34:35], v[26:27], v[8:9]
	v_mul_f64 v[8:9], v[28:29], v[8:9]
	v_fma_f64 v[36:37], v[4:5], v[38:39], v[160:161]
	v_fma_f64 v[38:39], v[2:3], v[38:39], -v[40:41]
	v_add_f64 v[30:31], v[30:31], v[22:23]
	v_add_f64 v[32:33], v[32:33], v[24:25]
	ds_load_b128 v[2:5], v1 offset:1584
	ds_load_b128 v[22:25], v1 offset:1600
	v_fma_f64 v[28:29], v[28:29], v[6:7], v[34:35]
	v_fma_f64 v[6:7], v[26:27], v[6:7], -v[8:9]
	s_waitcnt vmcnt(2) lgkmcnt(1)
	v_mul_f64 v[40:41], v[2:3], v[12:13]
	v_mul_f64 v[12:13], v[4:5], v[12:13]
	v_add_f64 v[8:9], v[30:31], v[38:39]
	v_add_f64 v[26:27], v[32:33], v[36:37]
	s_waitcnt vmcnt(1) lgkmcnt(0)
	v_mul_f64 v[30:31], v[22:23], v[16:17]
	v_mul_f64 v[16:17], v[24:25], v[16:17]
	v_fma_f64 v[32:33], v[4:5], v[10:11], v[40:41]
	v_fma_f64 v[10:11], v[2:3], v[10:11], -v[12:13]
	ds_load_b128 v[2:5], v1 offset:1616
	v_add_f64 v[6:7], v[8:9], v[6:7]
	v_add_f64 v[8:9], v[26:27], v[28:29]
	v_fma_f64 v[24:25], v[24:25], v[14:15], v[30:31]
	v_fma_f64 v[14:15], v[22:23], v[14:15], -v[16:17]
	s_waitcnt vmcnt(0) lgkmcnt(0)
	v_mul_f64 v[12:13], v[2:3], v[20:21]
	v_mul_f64 v[20:21], v[4:5], v[20:21]
	v_add_f64 v[6:7], v[6:7], v[10:11]
	v_add_f64 v[8:9], v[8:9], v[32:33]
	s_delay_alu instid0(VALU_DEP_4) | instskip(NEXT) | instid1(VALU_DEP_4)
	v_fma_f64 v[4:5], v[4:5], v[18:19], v[12:13]
	v_fma_f64 v[2:3], v[2:3], v[18:19], -v[20:21]
	s_delay_alu instid0(VALU_DEP_4) | instskip(NEXT) | instid1(VALU_DEP_4)
	v_add_f64 v[6:7], v[6:7], v[14:15]
	v_add_f64 v[8:9], v[8:9], v[24:25]
	s_delay_alu instid0(VALU_DEP_2) | instskip(NEXT) | instid1(VALU_DEP_2)
	v_add_f64 v[2:3], v[6:7], v[2:3]
	v_add_f64 v[4:5], v[8:9], v[4:5]
	s_delay_alu instid0(VALU_DEP_2) | instskip(NEXT) | instid1(VALU_DEP_2)
	v_add_f64 v[2:3], v[42:43], -v[2:3]
	v_add_f64 v[4:5], v[44:45], -v[4:5]
	scratch_store_b128 off, v[2:5], off offset:240
	v_cmpx_lt_u32_e32 14, v148
	s_cbranch_execz .LBB50_291
; %bb.290:
	scratch_load_b128 v[5:8], v200, off
	v_mov_b32_e32 v2, v1
	v_mov_b32_e32 v3, v1
	;; [unrolled: 1-line block ×3, first 2 shown]
	scratch_store_b128 off, v[1:4], off offset:224
	s_waitcnt vmcnt(0)
	ds_store_b128 v199, v[5:8]
.LBB50_291:
	s_or_b32 exec_lo, exec_lo, s2
	s_waitcnt lgkmcnt(0)
	s_waitcnt_vscnt null, 0x0
	s_barrier
	buffer_gl0_inv
	s_clause 0x8
	scratch_load_b128 v[2:5], off, off offset:240
	scratch_load_b128 v[6:9], off, off offset:256
	;; [unrolled: 1-line block ×9, first 2 shown]
	ds_load_b128 v[42:45], v1 offset:1056
	ds_load_b128 v[38:41], v1 offset:1072
	s_clause 0x1
	scratch_load_b128 v[154:157], off, off offset:224
	scratch_load_b128 v[158:161], off, off offset:384
	s_mov_b32 s2, exec_lo
	s_waitcnt vmcnt(10) lgkmcnt(1)
	v_mul_f64 v[162:163], v[44:45], v[4:5]
	v_mul_f64 v[4:5], v[42:43], v[4:5]
	s_waitcnt vmcnt(9) lgkmcnt(0)
	v_mul_f64 v[212:213], v[38:39], v[8:9]
	v_mul_f64 v[8:9], v[40:41], v[8:9]
	s_delay_alu instid0(VALU_DEP_4) | instskip(NEXT) | instid1(VALU_DEP_4)
	v_fma_f64 v[214:215], v[42:43], v[2:3], -v[162:163]
	v_fma_f64 v[216:217], v[44:45], v[2:3], v[4:5]
	ds_load_b128 v[2:5], v1 offset:1088
	ds_load_b128 v[162:165], v1 offset:1104
	scratch_load_b128 v[42:45], off, off offset:400
	v_fma_f64 v[40:41], v[40:41], v[6:7], v[212:213]
	v_fma_f64 v[38:39], v[38:39], v[6:7], -v[8:9]
	scratch_load_b128 v[6:9], off, off offset:416
	s_waitcnt vmcnt(10) lgkmcnt(1)
	v_mul_f64 v[218:219], v[2:3], v[12:13]
	v_mul_f64 v[12:13], v[4:5], v[12:13]
	v_add_f64 v[212:213], v[214:215], 0
	v_add_f64 v[214:215], v[216:217], 0
	s_waitcnt vmcnt(9) lgkmcnt(0)
	v_mul_f64 v[216:217], v[162:163], v[16:17]
	v_mul_f64 v[16:17], v[164:165], v[16:17]
	v_fma_f64 v[218:219], v[4:5], v[10:11], v[218:219]
	v_fma_f64 v[220:221], v[2:3], v[10:11], -v[12:13]
	ds_load_b128 v[2:5], v1 offset:1120
	scratch_load_b128 v[10:13], off, off offset:432
	v_add_f64 v[212:213], v[212:213], v[38:39]
	v_add_f64 v[214:215], v[214:215], v[40:41]
	ds_load_b128 v[38:41], v1 offset:1136
	v_fma_f64 v[164:165], v[164:165], v[14:15], v[216:217]
	v_fma_f64 v[162:163], v[162:163], v[14:15], -v[16:17]
	scratch_load_b128 v[14:17], off, off offset:448
	s_waitcnt vmcnt(10) lgkmcnt(1)
	v_mul_f64 v[222:223], v[2:3], v[20:21]
	v_mul_f64 v[20:21], v[4:5], v[20:21]
	s_waitcnt vmcnt(9) lgkmcnt(0)
	v_mul_f64 v[216:217], v[38:39], v[24:25]
	v_mul_f64 v[24:25], v[40:41], v[24:25]
	v_add_f64 v[212:213], v[212:213], v[220:221]
	v_add_f64 v[214:215], v[214:215], v[218:219]
	v_fma_f64 v[218:219], v[4:5], v[18:19], v[222:223]
	v_fma_f64 v[220:221], v[2:3], v[18:19], -v[20:21]
	ds_load_b128 v[2:5], v1 offset:1152
	scratch_load_b128 v[18:21], off, off offset:464
	v_fma_f64 v[40:41], v[40:41], v[22:23], v[216:217]
	v_fma_f64 v[38:39], v[38:39], v[22:23], -v[24:25]
	scratch_load_b128 v[22:25], off, off offset:480
	v_add_f64 v[212:213], v[212:213], v[162:163]
	v_add_f64 v[214:215], v[214:215], v[164:165]
	ds_load_b128 v[162:165], v1 offset:1168
	s_waitcnt vmcnt(10) lgkmcnt(1)
	v_mul_f64 v[222:223], v[2:3], v[28:29]
	v_mul_f64 v[28:29], v[4:5], v[28:29]
	s_waitcnt vmcnt(9) lgkmcnt(0)
	v_mul_f64 v[216:217], v[162:163], v[32:33]
	v_mul_f64 v[32:33], v[164:165], v[32:33]
	v_add_f64 v[212:213], v[212:213], v[220:221]
	v_add_f64 v[214:215], v[214:215], v[218:219]
	v_fma_f64 v[218:219], v[4:5], v[26:27], v[222:223]
	v_fma_f64 v[220:221], v[2:3], v[26:27], -v[28:29]
	ds_load_b128 v[2:5], v1 offset:1184
	scratch_load_b128 v[26:29], off, off offset:496
	v_fma_f64 v[164:165], v[164:165], v[30:31], v[216:217]
	v_fma_f64 v[162:163], v[162:163], v[30:31], -v[32:33]
	scratch_load_b128 v[30:33], off, off offset:512
	v_add_f64 v[212:213], v[212:213], v[38:39]
	v_add_f64 v[214:215], v[214:215], v[40:41]
	ds_load_b128 v[38:41], v1 offset:1200
	s_waitcnt vmcnt(10) lgkmcnt(1)
	v_mul_f64 v[222:223], v[2:3], v[36:37]
	v_mul_f64 v[36:37], v[4:5], v[36:37]
	s_waitcnt vmcnt(8) lgkmcnt(0)
	v_mul_f64 v[216:217], v[38:39], v[160:161]
	v_add_f64 v[212:213], v[212:213], v[220:221]
	v_add_f64 v[214:215], v[214:215], v[218:219]
	v_mul_f64 v[218:219], v[40:41], v[160:161]
	v_fma_f64 v[220:221], v[4:5], v[34:35], v[222:223]
	v_fma_f64 v[222:223], v[2:3], v[34:35], -v[36:37]
	ds_load_b128 v[2:5], v1 offset:1216
	scratch_load_b128 v[34:37], off, off offset:528
	v_fma_f64 v[216:217], v[40:41], v[158:159], v[216:217]
	v_add_f64 v[212:213], v[212:213], v[162:163]
	v_add_f64 v[164:165], v[214:215], v[164:165]
	ds_load_b128 v[160:163], v1 offset:1232
	v_fma_f64 v[158:159], v[38:39], v[158:159], -v[218:219]
	scratch_load_b128 v[38:41], off, off offset:544
	s_waitcnt vmcnt(9) lgkmcnt(1)
	v_mul_f64 v[214:215], v[2:3], v[44:45]
	v_mul_f64 v[44:45], v[4:5], v[44:45]
	s_waitcnt vmcnt(8) lgkmcnt(0)
	v_mul_f64 v[218:219], v[160:161], v[8:9]
	v_mul_f64 v[8:9], v[162:163], v[8:9]
	v_add_f64 v[212:213], v[212:213], v[222:223]
	v_add_f64 v[164:165], v[164:165], v[220:221]
	v_fma_f64 v[220:221], v[4:5], v[42:43], v[214:215]
	v_fma_f64 v[222:223], v[2:3], v[42:43], -v[44:45]
	ds_load_b128 v[2:5], v1 offset:1248
	scratch_load_b128 v[42:45], off, off offset:560
	v_fma_f64 v[162:163], v[162:163], v[6:7], v[218:219]
	v_fma_f64 v[160:161], v[160:161], v[6:7], -v[8:9]
	scratch_load_b128 v[6:9], off, off offset:576
	v_add_f64 v[158:159], v[212:213], v[158:159]
	v_add_f64 v[164:165], v[164:165], v[216:217]
	ds_load_b128 v[212:215], v1 offset:1264
	s_waitcnt vmcnt(9) lgkmcnt(1)
	v_mul_f64 v[216:217], v[2:3], v[12:13]
	v_mul_f64 v[12:13], v[4:5], v[12:13]
	s_waitcnt vmcnt(8) lgkmcnt(0)
	v_mul_f64 v[218:219], v[212:213], v[16:17]
	v_mul_f64 v[16:17], v[214:215], v[16:17]
	v_add_f64 v[158:159], v[158:159], v[222:223]
	v_add_f64 v[164:165], v[164:165], v[220:221]
	v_fma_f64 v[216:217], v[4:5], v[10:11], v[216:217]
	v_fma_f64 v[220:221], v[2:3], v[10:11], -v[12:13]
	ds_load_b128 v[2:5], v1 offset:1280
	scratch_load_b128 v[10:13], off, off offset:592
	v_fma_f64 v[214:215], v[214:215], v[14:15], v[218:219]
	v_fma_f64 v[212:213], v[212:213], v[14:15], -v[16:17]
	scratch_load_b128 v[14:17], off, off offset:608
	v_add_f64 v[222:223], v[158:159], v[160:161]
	v_add_f64 v[162:163], v[164:165], v[162:163]
	ds_load_b128 v[158:161], v1 offset:1296
	s_waitcnt vmcnt(9) lgkmcnt(1)
	v_mul_f64 v[164:165], v[2:3], v[20:21]
	v_mul_f64 v[20:21], v[4:5], v[20:21]
	v_add_f64 v[218:219], v[222:223], v[220:221]
	v_add_f64 v[162:163], v[162:163], v[216:217]
	s_waitcnt vmcnt(8) lgkmcnt(0)
	v_mul_f64 v[216:217], v[158:159], v[24:25]
	v_mul_f64 v[24:25], v[160:161], v[24:25]
	v_fma_f64 v[220:221], v[4:5], v[18:19], v[164:165]
	v_fma_f64 v[222:223], v[2:3], v[18:19], -v[20:21]
	ds_load_b128 v[2:5], v1 offset:1312
	scratch_load_b128 v[18:21], off, off offset:624
	v_add_f64 v[212:213], v[218:219], v[212:213]
	v_add_f64 v[214:215], v[162:163], v[214:215]
	ds_load_b128 v[162:165], v1 offset:1328
	s_waitcnt vmcnt(8) lgkmcnt(1)
	v_mul_f64 v[218:219], v[2:3], v[28:29]
	v_mul_f64 v[28:29], v[4:5], v[28:29]
	v_fma_f64 v[160:161], v[160:161], v[22:23], v[216:217]
	v_fma_f64 v[158:159], v[158:159], v[22:23], -v[24:25]
	scratch_load_b128 v[22:25], off, off offset:640
	s_waitcnt vmcnt(8) lgkmcnt(0)
	v_mul_f64 v[216:217], v[162:163], v[32:33]
	v_mul_f64 v[32:33], v[164:165], v[32:33]
	v_add_f64 v[212:213], v[212:213], v[222:223]
	v_add_f64 v[214:215], v[214:215], v[220:221]
	v_fma_f64 v[218:219], v[4:5], v[26:27], v[218:219]
	v_fma_f64 v[220:221], v[2:3], v[26:27], -v[28:29]
	ds_load_b128 v[2:5], v1 offset:1344
	scratch_load_b128 v[26:29], off, off offset:656
	v_fma_f64 v[164:165], v[164:165], v[30:31], v[216:217]
	v_fma_f64 v[162:163], v[162:163], v[30:31], -v[32:33]
	scratch_load_b128 v[30:33], off, off offset:672
	v_add_f64 v[212:213], v[212:213], v[158:159]
	v_add_f64 v[214:215], v[214:215], v[160:161]
	ds_load_b128 v[158:161], v1 offset:1360
	s_waitcnt vmcnt(9) lgkmcnt(1)
	v_mul_f64 v[222:223], v[2:3], v[36:37]
	v_mul_f64 v[36:37], v[4:5], v[36:37]
	s_waitcnt vmcnt(8) lgkmcnt(0)
	v_mul_f64 v[216:217], v[158:159], v[40:41]
	v_mul_f64 v[40:41], v[160:161], v[40:41]
	v_add_f64 v[212:213], v[212:213], v[220:221]
	v_add_f64 v[214:215], v[214:215], v[218:219]
	v_fma_f64 v[218:219], v[4:5], v[34:35], v[222:223]
	v_fma_f64 v[220:221], v[2:3], v[34:35], -v[36:37]
	ds_load_b128 v[2:5], v1 offset:1376
	scratch_load_b128 v[34:37], off, off offset:688
	v_fma_f64 v[160:161], v[160:161], v[38:39], v[216:217]
	v_fma_f64 v[158:159], v[158:159], v[38:39], -v[40:41]
	scratch_load_b128 v[38:41], off, off offset:704
	v_add_f64 v[212:213], v[212:213], v[162:163]
	v_add_f64 v[214:215], v[214:215], v[164:165]
	ds_load_b128 v[162:165], v1 offset:1392
	s_waitcnt vmcnt(9) lgkmcnt(1)
	v_mul_f64 v[222:223], v[2:3], v[44:45]
	v_mul_f64 v[44:45], v[4:5], v[44:45]
	;; [unrolled: 18-line block ×5, first 2 shown]
	s_waitcnt vmcnt(8) lgkmcnt(0)
	v_mul_f64 v[216:217], v[158:159], v[32:33]
	v_mul_f64 v[32:33], v[160:161], v[32:33]
	v_add_f64 v[212:213], v[212:213], v[220:221]
	v_add_f64 v[214:215], v[214:215], v[218:219]
	v_fma_f64 v[218:219], v[4:5], v[26:27], v[222:223]
	v_fma_f64 v[220:221], v[2:3], v[26:27], -v[28:29]
	ds_load_b128 v[2:5], v1 offset:1504
	ds_load_b128 v[26:29], v1 offset:1520
	v_fma_f64 v[160:161], v[160:161], v[30:31], v[216:217]
	v_fma_f64 v[30:31], v[158:159], v[30:31], -v[32:33]
	v_add_f64 v[162:163], v[212:213], v[162:163]
	v_add_f64 v[164:165], v[214:215], v[164:165]
	s_waitcnt vmcnt(7) lgkmcnt(1)
	v_mul_f64 v[212:213], v[2:3], v[36:37]
	v_mul_f64 v[36:37], v[4:5], v[36:37]
	s_delay_alu instid0(VALU_DEP_4) | instskip(NEXT) | instid1(VALU_DEP_4)
	v_add_f64 v[32:33], v[162:163], v[220:221]
	v_add_f64 v[158:159], v[164:165], v[218:219]
	s_waitcnt vmcnt(6) lgkmcnt(0)
	v_mul_f64 v[162:163], v[26:27], v[40:41]
	v_mul_f64 v[40:41], v[28:29], v[40:41]
	v_fma_f64 v[164:165], v[4:5], v[34:35], v[212:213]
	v_fma_f64 v[34:35], v[2:3], v[34:35], -v[36:37]
	v_add_f64 v[36:37], v[32:33], v[30:31]
	v_add_f64 v[158:159], v[158:159], v[160:161]
	ds_load_b128 v[2:5], v1 offset:1536
	ds_load_b128 v[30:33], v1 offset:1552
	v_fma_f64 v[28:29], v[28:29], v[38:39], v[162:163]
	v_fma_f64 v[26:27], v[26:27], v[38:39], -v[40:41]
	s_waitcnt vmcnt(5) lgkmcnt(1)
	v_mul_f64 v[160:161], v[2:3], v[44:45]
	v_mul_f64 v[44:45], v[4:5], v[44:45]
	s_waitcnt vmcnt(4) lgkmcnt(0)
	v_mul_f64 v[38:39], v[30:31], v[8:9]
	v_mul_f64 v[8:9], v[32:33], v[8:9]
	v_add_f64 v[34:35], v[36:37], v[34:35]
	v_add_f64 v[36:37], v[158:159], v[164:165]
	v_fma_f64 v[40:41], v[4:5], v[42:43], v[160:161]
	v_fma_f64 v[42:43], v[2:3], v[42:43], -v[44:45]
	v_fma_f64 v[32:33], v[32:33], v[6:7], v[38:39]
	v_fma_f64 v[6:7], v[30:31], v[6:7], -v[8:9]
	v_add_f64 v[34:35], v[34:35], v[26:27]
	v_add_f64 v[36:37], v[36:37], v[28:29]
	ds_load_b128 v[2:5], v1 offset:1568
	ds_load_b128 v[26:29], v1 offset:1584
	s_waitcnt vmcnt(3) lgkmcnt(1)
	v_mul_f64 v[44:45], v[2:3], v[12:13]
	v_mul_f64 v[12:13], v[4:5], v[12:13]
	v_add_f64 v[8:9], v[34:35], v[42:43]
	v_add_f64 v[30:31], v[36:37], v[40:41]
	s_waitcnt vmcnt(2) lgkmcnt(0)
	v_mul_f64 v[34:35], v[26:27], v[16:17]
	v_mul_f64 v[16:17], v[28:29], v[16:17]
	v_fma_f64 v[36:37], v[4:5], v[10:11], v[44:45]
	v_fma_f64 v[10:11], v[2:3], v[10:11], -v[12:13]
	v_add_f64 v[12:13], v[8:9], v[6:7]
	v_add_f64 v[30:31], v[30:31], v[32:33]
	ds_load_b128 v[2:5], v1 offset:1600
	ds_load_b128 v[6:9], v1 offset:1616
	v_fma_f64 v[28:29], v[28:29], v[14:15], v[34:35]
	v_fma_f64 v[14:15], v[26:27], v[14:15], -v[16:17]
	s_waitcnt vmcnt(1) lgkmcnt(1)
	v_mul_f64 v[32:33], v[2:3], v[20:21]
	v_mul_f64 v[20:21], v[4:5], v[20:21]
	s_waitcnt vmcnt(0) lgkmcnt(0)
	v_mul_f64 v[16:17], v[6:7], v[24:25]
	v_mul_f64 v[24:25], v[8:9], v[24:25]
	v_add_f64 v[10:11], v[12:13], v[10:11]
	v_add_f64 v[12:13], v[30:31], v[36:37]
	v_fma_f64 v[4:5], v[4:5], v[18:19], v[32:33]
	v_fma_f64 v[1:2], v[2:3], v[18:19], -v[20:21]
	v_fma_f64 v[8:9], v[8:9], v[22:23], v[16:17]
	v_fma_f64 v[6:7], v[6:7], v[22:23], -v[24:25]
	v_add_f64 v[10:11], v[10:11], v[14:15]
	v_add_f64 v[12:13], v[12:13], v[28:29]
	s_delay_alu instid0(VALU_DEP_2) | instskip(NEXT) | instid1(VALU_DEP_2)
	v_add_f64 v[1:2], v[10:11], v[1:2]
	v_add_f64 v[3:4], v[12:13], v[4:5]
	s_delay_alu instid0(VALU_DEP_2) | instskip(NEXT) | instid1(VALU_DEP_2)
	;; [unrolled: 3-line block ×3, first 2 shown]
	v_add_f64 v[1:2], v[154:155], -v[1:2]
	v_add_f64 v[3:4], v[156:157], -v[3:4]
	scratch_store_b128 off, v[1:4], off offset:224
	v_cmpx_lt_u32_e32 13, v148
	s_cbranch_execz .LBB50_293
; %bb.292:
	scratch_load_b128 v[1:4], v201, off
	v_mov_b32_e32 v5, 0
	s_delay_alu instid0(VALU_DEP_1)
	v_mov_b32_e32 v6, v5
	v_mov_b32_e32 v7, v5
	;; [unrolled: 1-line block ×3, first 2 shown]
	scratch_store_b128 off, v[5:8], off offset:208
	s_waitcnt vmcnt(0)
	ds_store_b128 v199, v[1:4]
.LBB50_293:
	s_or_b32 exec_lo, exec_lo, s2
	s_waitcnt lgkmcnt(0)
	s_waitcnt_vscnt null, 0x0
	s_barrier
	buffer_gl0_inv
	s_clause 0x7
	scratch_load_b128 v[2:5], off, off offset:224
	scratch_load_b128 v[6:9], off, off offset:240
	;; [unrolled: 1-line block ×8, first 2 shown]
	v_mov_b32_e32 v1, 0
	s_mov_b32 s2, exec_lo
	ds_load_b128 v[38:41], v1 offset:1040
	s_clause 0x1
	scratch_load_b128 v[34:37], off, off offset:352
	scratch_load_b128 v[42:45], off, off offset:208
	ds_load_b128 v[154:157], v1 offset:1056
	scratch_load_b128 v[158:161], off, off offset:368
	s_waitcnt vmcnt(10) lgkmcnt(1)
	v_mul_f64 v[162:163], v[40:41], v[4:5]
	v_mul_f64 v[4:5], v[38:39], v[4:5]
	s_delay_alu instid0(VALU_DEP_2) | instskip(NEXT) | instid1(VALU_DEP_2)
	v_fma_f64 v[214:215], v[38:39], v[2:3], -v[162:163]
	v_fma_f64 v[216:217], v[40:41], v[2:3], v[4:5]
	scratch_load_b128 v[38:41], off, off offset:384
	ds_load_b128 v[2:5], v1 offset:1072
	s_waitcnt vmcnt(10) lgkmcnt(1)
	v_mul_f64 v[212:213], v[154:155], v[8:9]
	v_mul_f64 v[8:9], v[156:157], v[8:9]
	ds_load_b128 v[162:165], v1 offset:1088
	s_waitcnt vmcnt(9) lgkmcnt(1)
	v_mul_f64 v[218:219], v[2:3], v[12:13]
	v_mul_f64 v[12:13], v[4:5], v[12:13]
	v_fma_f64 v[156:157], v[156:157], v[6:7], v[212:213]
	v_fma_f64 v[154:155], v[154:155], v[6:7], -v[8:9]
	v_add_f64 v[212:213], v[214:215], 0
	v_add_f64 v[214:215], v[216:217], 0
	scratch_load_b128 v[6:9], off, off offset:400
	v_fma_f64 v[218:219], v[4:5], v[10:11], v[218:219]
	v_fma_f64 v[220:221], v[2:3], v[10:11], -v[12:13]
	scratch_load_b128 v[10:13], off, off offset:416
	ds_load_b128 v[2:5], v1 offset:1104
	s_waitcnt vmcnt(10) lgkmcnt(1)
	v_mul_f64 v[216:217], v[162:163], v[16:17]
	v_mul_f64 v[16:17], v[164:165], v[16:17]
	v_add_f64 v[212:213], v[212:213], v[154:155]
	v_add_f64 v[214:215], v[214:215], v[156:157]
	s_waitcnt vmcnt(9) lgkmcnt(0)
	v_mul_f64 v[222:223], v[2:3], v[20:21]
	v_mul_f64 v[20:21], v[4:5], v[20:21]
	ds_load_b128 v[154:157], v1 offset:1120
	v_fma_f64 v[164:165], v[164:165], v[14:15], v[216:217]
	v_fma_f64 v[162:163], v[162:163], v[14:15], -v[16:17]
	scratch_load_b128 v[14:17], off, off offset:432
	v_add_f64 v[212:213], v[212:213], v[220:221]
	v_add_f64 v[214:215], v[214:215], v[218:219]
	v_fma_f64 v[218:219], v[4:5], v[18:19], v[222:223]
	v_fma_f64 v[220:221], v[2:3], v[18:19], -v[20:21]
	scratch_load_b128 v[18:21], off, off offset:448
	ds_load_b128 v[2:5], v1 offset:1136
	s_waitcnt vmcnt(10) lgkmcnt(1)
	v_mul_f64 v[216:217], v[154:155], v[24:25]
	v_mul_f64 v[24:25], v[156:157], v[24:25]
	s_waitcnt vmcnt(9) lgkmcnt(0)
	v_mul_f64 v[222:223], v[2:3], v[28:29]
	v_mul_f64 v[28:29], v[4:5], v[28:29]
	v_add_f64 v[212:213], v[212:213], v[162:163]
	v_add_f64 v[214:215], v[214:215], v[164:165]
	ds_load_b128 v[162:165], v1 offset:1152
	v_fma_f64 v[156:157], v[156:157], v[22:23], v[216:217]
	v_fma_f64 v[154:155], v[154:155], v[22:23], -v[24:25]
	scratch_load_b128 v[22:25], off, off offset:464
	v_add_f64 v[212:213], v[212:213], v[220:221]
	v_add_f64 v[214:215], v[214:215], v[218:219]
	v_fma_f64 v[218:219], v[4:5], v[26:27], v[222:223]
	v_fma_f64 v[220:221], v[2:3], v[26:27], -v[28:29]
	scratch_load_b128 v[26:29], off, off offset:480
	ds_load_b128 v[2:5], v1 offset:1168
	s_waitcnt vmcnt(10) lgkmcnt(1)
	v_mul_f64 v[216:217], v[162:163], v[32:33]
	v_mul_f64 v[32:33], v[164:165], v[32:33]
	s_waitcnt vmcnt(9) lgkmcnt(0)
	v_mul_f64 v[222:223], v[2:3], v[36:37]
	v_mul_f64 v[36:37], v[4:5], v[36:37]
	v_add_f64 v[212:213], v[212:213], v[154:155]
	v_add_f64 v[214:215], v[214:215], v[156:157]
	ds_load_b128 v[154:157], v1 offset:1184
	v_fma_f64 v[164:165], v[164:165], v[30:31], v[216:217]
	v_fma_f64 v[162:163], v[162:163], v[30:31], -v[32:33]
	scratch_load_b128 v[30:33], off, off offset:496
	v_add_f64 v[212:213], v[212:213], v[220:221]
	v_add_f64 v[214:215], v[214:215], v[218:219]
	v_fma_f64 v[220:221], v[4:5], v[34:35], v[222:223]
	v_fma_f64 v[222:223], v[2:3], v[34:35], -v[36:37]
	scratch_load_b128 v[34:37], off, off offset:512
	ds_load_b128 v[2:5], v1 offset:1200
	s_waitcnt vmcnt(9) lgkmcnt(1)
	v_mul_f64 v[216:217], v[154:155], v[160:161]
	v_mul_f64 v[218:219], v[156:157], v[160:161]
	v_add_f64 v[212:213], v[212:213], v[162:163]
	v_add_f64 v[164:165], v[214:215], v[164:165]
	ds_load_b128 v[160:163], v1 offset:1216
	v_fma_f64 v[216:217], v[156:157], v[158:159], v[216:217]
	v_fma_f64 v[158:159], v[154:155], v[158:159], -v[218:219]
	scratch_load_b128 v[154:157], off, off offset:528
	s_waitcnt vmcnt(9) lgkmcnt(1)
	v_mul_f64 v[214:215], v[2:3], v[40:41]
	v_mul_f64 v[40:41], v[4:5], v[40:41]
	v_add_f64 v[212:213], v[212:213], v[222:223]
	v_add_f64 v[164:165], v[164:165], v[220:221]
	s_delay_alu instid0(VALU_DEP_4) | instskip(NEXT) | instid1(VALU_DEP_4)
	v_fma_f64 v[220:221], v[4:5], v[38:39], v[214:215]
	v_fma_f64 v[222:223], v[2:3], v[38:39], -v[40:41]
	scratch_load_b128 v[38:41], off, off offset:544
	ds_load_b128 v[2:5], v1 offset:1232
	s_waitcnt vmcnt(9) lgkmcnt(1)
	v_mul_f64 v[218:219], v[160:161], v[8:9]
	v_mul_f64 v[8:9], v[162:163], v[8:9]
	v_add_f64 v[158:159], v[212:213], v[158:159]
	v_add_f64 v[164:165], v[164:165], v[216:217]
	s_waitcnt vmcnt(8) lgkmcnt(0)
	v_mul_f64 v[216:217], v[2:3], v[12:13]
	v_mul_f64 v[12:13], v[4:5], v[12:13]
	ds_load_b128 v[212:215], v1 offset:1248
	v_fma_f64 v[162:163], v[162:163], v[6:7], v[218:219]
	v_fma_f64 v[160:161], v[160:161], v[6:7], -v[8:9]
	scratch_load_b128 v[6:9], off, off offset:560
	v_add_f64 v[158:159], v[158:159], v[222:223]
	v_add_f64 v[164:165], v[164:165], v[220:221]
	v_fma_f64 v[216:217], v[4:5], v[10:11], v[216:217]
	v_fma_f64 v[220:221], v[2:3], v[10:11], -v[12:13]
	scratch_load_b128 v[10:13], off, off offset:576
	ds_load_b128 v[2:5], v1 offset:1264
	s_waitcnt vmcnt(9) lgkmcnt(1)
	v_mul_f64 v[218:219], v[212:213], v[16:17]
	v_mul_f64 v[16:17], v[214:215], v[16:17]
	v_add_f64 v[222:223], v[158:159], v[160:161]
	v_add_f64 v[162:163], v[164:165], v[162:163]
	s_waitcnt vmcnt(8) lgkmcnt(0)
	v_mul_f64 v[164:165], v[2:3], v[20:21]
	v_mul_f64 v[20:21], v[4:5], v[20:21]
	ds_load_b128 v[158:161], v1 offset:1280
	v_fma_f64 v[214:215], v[214:215], v[14:15], v[218:219]
	v_fma_f64 v[212:213], v[212:213], v[14:15], -v[16:17]
	scratch_load_b128 v[14:17], off, off offset:592
	v_add_f64 v[218:219], v[222:223], v[220:221]
	v_add_f64 v[162:163], v[162:163], v[216:217]
	;; [unrolled: 18-line block ×3, first 2 shown]
	v_fma_f64 v[218:219], v[4:5], v[26:27], v[218:219]
	v_fma_f64 v[220:221], v[2:3], v[26:27], -v[28:29]
	scratch_load_b128 v[26:29], off, off offset:640
	ds_load_b128 v[2:5], v1 offset:1328
	s_waitcnt vmcnt(9) lgkmcnt(1)
	v_mul_f64 v[216:217], v[162:163], v[32:33]
	v_mul_f64 v[32:33], v[164:165], v[32:33]
	s_waitcnt vmcnt(8) lgkmcnt(0)
	v_mul_f64 v[222:223], v[2:3], v[36:37]
	v_mul_f64 v[36:37], v[4:5], v[36:37]
	v_add_f64 v[212:213], v[212:213], v[158:159]
	v_add_f64 v[214:215], v[214:215], v[160:161]
	ds_load_b128 v[158:161], v1 offset:1344
	v_fma_f64 v[164:165], v[164:165], v[30:31], v[216:217]
	v_fma_f64 v[162:163], v[162:163], v[30:31], -v[32:33]
	scratch_load_b128 v[30:33], off, off offset:656
	v_add_f64 v[212:213], v[212:213], v[220:221]
	v_add_f64 v[214:215], v[214:215], v[218:219]
	v_fma_f64 v[218:219], v[4:5], v[34:35], v[222:223]
	v_fma_f64 v[220:221], v[2:3], v[34:35], -v[36:37]
	scratch_load_b128 v[34:37], off, off offset:672
	ds_load_b128 v[2:5], v1 offset:1360
	s_waitcnt vmcnt(9) lgkmcnt(1)
	v_mul_f64 v[216:217], v[158:159], v[156:157]
	v_mul_f64 v[156:157], v[160:161], v[156:157]
	s_waitcnt vmcnt(8) lgkmcnt(0)
	v_mul_f64 v[222:223], v[2:3], v[40:41]
	v_mul_f64 v[40:41], v[4:5], v[40:41]
	v_add_f64 v[212:213], v[212:213], v[162:163]
	v_add_f64 v[214:215], v[214:215], v[164:165]
	ds_load_b128 v[162:165], v1 offset:1376
	v_fma_f64 v[160:161], v[160:161], v[154:155], v[216:217]
	v_fma_f64 v[158:159], v[158:159], v[154:155], -v[156:157]
	scratch_load_b128 v[154:157], off, off offset:688
	v_add_f64 v[212:213], v[212:213], v[220:221]
	v_add_f64 v[214:215], v[214:215], v[218:219]
	;; [unrolled: 18-line block ×5, first 2 shown]
	v_fma_f64 v[218:219], v[4:5], v[26:27], v[222:223]
	v_fma_f64 v[220:221], v[2:3], v[26:27], -v[28:29]
	scratch_load_b128 v[26:29], off, off offset:800
	ds_load_b128 v[2:5], v1 offset:1488
	s_waitcnt vmcnt(9) lgkmcnt(1)
	v_mul_f64 v[216:217], v[158:159], v[32:33]
	v_mul_f64 v[32:33], v[160:161], v[32:33]
	s_waitcnt vmcnt(8) lgkmcnt(0)
	v_mul_f64 v[222:223], v[2:3], v[36:37]
	v_mul_f64 v[36:37], v[4:5], v[36:37]
	v_add_f64 v[212:213], v[212:213], v[162:163]
	v_add_f64 v[214:215], v[214:215], v[164:165]
	ds_load_b128 v[162:165], v1 offset:1504
	v_fma_f64 v[160:161], v[160:161], v[30:31], v[216:217]
	v_fma_f64 v[30:31], v[158:159], v[30:31], -v[32:33]
	v_add_f64 v[32:33], v[212:213], v[220:221]
	v_add_f64 v[158:159], v[214:215], v[218:219]
	s_waitcnt vmcnt(7) lgkmcnt(0)
	v_mul_f64 v[212:213], v[162:163], v[156:157]
	v_mul_f64 v[156:157], v[164:165], v[156:157]
	v_fma_f64 v[214:215], v[4:5], v[34:35], v[222:223]
	v_fma_f64 v[34:35], v[2:3], v[34:35], -v[36:37]
	v_add_f64 v[36:37], v[32:33], v[30:31]
	v_add_f64 v[158:159], v[158:159], v[160:161]
	ds_load_b128 v[2:5], v1 offset:1520
	ds_load_b128 v[30:33], v1 offset:1536
	v_fma_f64 v[164:165], v[164:165], v[154:155], v[212:213]
	v_fma_f64 v[154:155], v[162:163], v[154:155], -v[156:157]
	s_waitcnt vmcnt(6) lgkmcnt(1)
	v_mul_f64 v[160:161], v[2:3], v[40:41]
	v_mul_f64 v[40:41], v[4:5], v[40:41]
	s_waitcnt vmcnt(5) lgkmcnt(0)
	v_mul_f64 v[156:157], v[30:31], v[8:9]
	v_mul_f64 v[8:9], v[32:33], v[8:9]
	v_add_f64 v[34:35], v[36:37], v[34:35]
	v_add_f64 v[36:37], v[158:159], v[214:215]
	v_fma_f64 v[158:159], v[4:5], v[38:39], v[160:161]
	v_fma_f64 v[38:39], v[2:3], v[38:39], -v[40:41]
	v_fma_f64 v[32:33], v[32:33], v[6:7], v[156:157]
	v_fma_f64 v[6:7], v[30:31], v[6:7], -v[8:9]
	v_add_f64 v[40:41], v[34:35], v[154:155]
	v_add_f64 v[154:155], v[36:37], v[164:165]
	ds_load_b128 v[2:5], v1 offset:1552
	ds_load_b128 v[34:37], v1 offset:1568
	s_waitcnt vmcnt(4) lgkmcnt(1)
	v_mul_f64 v[160:161], v[2:3], v[12:13]
	v_mul_f64 v[12:13], v[4:5], v[12:13]
	v_add_f64 v[8:9], v[40:41], v[38:39]
	v_add_f64 v[30:31], v[154:155], v[158:159]
	s_waitcnt vmcnt(3) lgkmcnt(0)
	v_mul_f64 v[38:39], v[34:35], v[16:17]
	v_mul_f64 v[16:17], v[36:37], v[16:17]
	v_fma_f64 v[40:41], v[4:5], v[10:11], v[160:161]
	v_fma_f64 v[10:11], v[2:3], v[10:11], -v[12:13]
	v_add_f64 v[12:13], v[8:9], v[6:7]
	v_add_f64 v[30:31], v[30:31], v[32:33]
	ds_load_b128 v[2:5], v1 offset:1584
	ds_load_b128 v[6:9], v1 offset:1600
	v_fma_f64 v[36:37], v[36:37], v[14:15], v[38:39]
	v_fma_f64 v[14:15], v[34:35], v[14:15], -v[16:17]
	s_waitcnt vmcnt(2) lgkmcnt(1)
	v_mul_f64 v[32:33], v[2:3], v[20:21]
	v_mul_f64 v[20:21], v[4:5], v[20:21]
	s_waitcnt vmcnt(1) lgkmcnt(0)
	v_mul_f64 v[16:17], v[6:7], v[24:25]
	v_mul_f64 v[24:25], v[8:9], v[24:25]
	v_add_f64 v[10:11], v[12:13], v[10:11]
	v_add_f64 v[12:13], v[30:31], v[40:41]
	v_fma_f64 v[30:31], v[4:5], v[18:19], v[32:33]
	v_fma_f64 v[18:19], v[2:3], v[18:19], -v[20:21]
	ds_load_b128 v[2:5], v1 offset:1616
	v_fma_f64 v[8:9], v[8:9], v[22:23], v[16:17]
	v_fma_f64 v[6:7], v[6:7], v[22:23], -v[24:25]
	v_add_f64 v[10:11], v[10:11], v[14:15]
	v_add_f64 v[12:13], v[12:13], v[36:37]
	s_waitcnt vmcnt(0) lgkmcnt(0)
	v_mul_f64 v[14:15], v[2:3], v[28:29]
	v_mul_f64 v[20:21], v[4:5], v[28:29]
	s_delay_alu instid0(VALU_DEP_4) | instskip(NEXT) | instid1(VALU_DEP_4)
	v_add_f64 v[10:11], v[10:11], v[18:19]
	v_add_f64 v[12:13], v[12:13], v[30:31]
	s_delay_alu instid0(VALU_DEP_4) | instskip(NEXT) | instid1(VALU_DEP_4)
	v_fma_f64 v[4:5], v[4:5], v[26:27], v[14:15]
	v_fma_f64 v[2:3], v[2:3], v[26:27], -v[20:21]
	s_delay_alu instid0(VALU_DEP_4) | instskip(NEXT) | instid1(VALU_DEP_4)
	v_add_f64 v[6:7], v[10:11], v[6:7]
	v_add_f64 v[8:9], v[12:13], v[8:9]
	s_delay_alu instid0(VALU_DEP_2) | instskip(NEXT) | instid1(VALU_DEP_2)
	v_add_f64 v[2:3], v[6:7], v[2:3]
	v_add_f64 v[4:5], v[8:9], v[4:5]
	s_delay_alu instid0(VALU_DEP_2) | instskip(NEXT) | instid1(VALU_DEP_2)
	v_add_f64 v[2:3], v[42:43], -v[2:3]
	v_add_f64 v[4:5], v[44:45], -v[4:5]
	scratch_store_b128 off, v[2:5], off offset:208
	v_cmpx_lt_u32_e32 12, v148
	s_cbranch_execz .LBB50_295
; %bb.294:
	scratch_load_b128 v[5:8], v255, off
	v_mov_b32_e32 v2, v1
	v_mov_b32_e32 v3, v1
	;; [unrolled: 1-line block ×3, first 2 shown]
	scratch_store_b128 off, v[1:4], off offset:192
	s_waitcnt vmcnt(0)
	ds_store_b128 v199, v[5:8]
.LBB50_295:
	s_or_b32 exec_lo, exec_lo, s2
	s_waitcnt lgkmcnt(0)
	s_waitcnt_vscnt null, 0x0
	s_barrier
	buffer_gl0_inv
	s_clause 0x8
	scratch_load_b128 v[2:5], off, off offset:208
	scratch_load_b128 v[6:9], off, off offset:224
	;; [unrolled: 1-line block ×9, first 2 shown]
	ds_load_b128 v[42:45], v1 offset:1024
	ds_load_b128 v[38:41], v1 offset:1040
	s_clause 0x1
	scratch_load_b128 v[154:157], off, off offset:192
	scratch_load_b128 v[158:161], off, off offset:352
	s_mov_b32 s2, exec_lo
	s_waitcnt vmcnt(10) lgkmcnt(1)
	v_mul_f64 v[162:163], v[44:45], v[4:5]
	v_mul_f64 v[4:5], v[42:43], v[4:5]
	s_waitcnt vmcnt(9) lgkmcnt(0)
	v_mul_f64 v[212:213], v[38:39], v[8:9]
	v_mul_f64 v[8:9], v[40:41], v[8:9]
	s_delay_alu instid0(VALU_DEP_4) | instskip(NEXT) | instid1(VALU_DEP_4)
	v_fma_f64 v[214:215], v[42:43], v[2:3], -v[162:163]
	v_fma_f64 v[216:217], v[44:45], v[2:3], v[4:5]
	ds_load_b128 v[2:5], v1 offset:1056
	ds_load_b128 v[162:165], v1 offset:1072
	scratch_load_b128 v[42:45], off, off offset:368
	v_fma_f64 v[40:41], v[40:41], v[6:7], v[212:213]
	v_fma_f64 v[38:39], v[38:39], v[6:7], -v[8:9]
	scratch_load_b128 v[6:9], off, off offset:384
	s_waitcnt vmcnt(10) lgkmcnt(1)
	v_mul_f64 v[218:219], v[2:3], v[12:13]
	v_mul_f64 v[12:13], v[4:5], v[12:13]
	v_add_f64 v[212:213], v[214:215], 0
	v_add_f64 v[214:215], v[216:217], 0
	s_waitcnt vmcnt(9) lgkmcnt(0)
	v_mul_f64 v[216:217], v[162:163], v[16:17]
	v_mul_f64 v[16:17], v[164:165], v[16:17]
	v_fma_f64 v[218:219], v[4:5], v[10:11], v[218:219]
	v_fma_f64 v[220:221], v[2:3], v[10:11], -v[12:13]
	ds_load_b128 v[2:5], v1 offset:1088
	scratch_load_b128 v[10:13], off, off offset:400
	v_add_f64 v[212:213], v[212:213], v[38:39]
	v_add_f64 v[214:215], v[214:215], v[40:41]
	ds_load_b128 v[38:41], v1 offset:1104
	v_fma_f64 v[164:165], v[164:165], v[14:15], v[216:217]
	v_fma_f64 v[162:163], v[162:163], v[14:15], -v[16:17]
	scratch_load_b128 v[14:17], off, off offset:416
	s_waitcnt vmcnt(10) lgkmcnt(1)
	v_mul_f64 v[222:223], v[2:3], v[20:21]
	v_mul_f64 v[20:21], v[4:5], v[20:21]
	s_waitcnt vmcnt(9) lgkmcnt(0)
	v_mul_f64 v[216:217], v[38:39], v[24:25]
	v_mul_f64 v[24:25], v[40:41], v[24:25]
	v_add_f64 v[212:213], v[212:213], v[220:221]
	v_add_f64 v[214:215], v[214:215], v[218:219]
	v_fma_f64 v[218:219], v[4:5], v[18:19], v[222:223]
	v_fma_f64 v[220:221], v[2:3], v[18:19], -v[20:21]
	ds_load_b128 v[2:5], v1 offset:1120
	scratch_load_b128 v[18:21], off, off offset:432
	v_fma_f64 v[40:41], v[40:41], v[22:23], v[216:217]
	v_fma_f64 v[38:39], v[38:39], v[22:23], -v[24:25]
	scratch_load_b128 v[22:25], off, off offset:448
	v_add_f64 v[212:213], v[212:213], v[162:163]
	v_add_f64 v[214:215], v[214:215], v[164:165]
	ds_load_b128 v[162:165], v1 offset:1136
	s_waitcnt vmcnt(10) lgkmcnt(1)
	v_mul_f64 v[222:223], v[2:3], v[28:29]
	v_mul_f64 v[28:29], v[4:5], v[28:29]
	s_waitcnt vmcnt(9) lgkmcnt(0)
	v_mul_f64 v[216:217], v[162:163], v[32:33]
	v_mul_f64 v[32:33], v[164:165], v[32:33]
	v_add_f64 v[212:213], v[212:213], v[220:221]
	v_add_f64 v[214:215], v[214:215], v[218:219]
	v_fma_f64 v[218:219], v[4:5], v[26:27], v[222:223]
	v_fma_f64 v[220:221], v[2:3], v[26:27], -v[28:29]
	ds_load_b128 v[2:5], v1 offset:1152
	scratch_load_b128 v[26:29], off, off offset:464
	v_fma_f64 v[164:165], v[164:165], v[30:31], v[216:217]
	v_fma_f64 v[162:163], v[162:163], v[30:31], -v[32:33]
	scratch_load_b128 v[30:33], off, off offset:480
	v_add_f64 v[212:213], v[212:213], v[38:39]
	v_add_f64 v[214:215], v[214:215], v[40:41]
	ds_load_b128 v[38:41], v1 offset:1168
	s_waitcnt vmcnt(10) lgkmcnt(1)
	v_mul_f64 v[222:223], v[2:3], v[36:37]
	v_mul_f64 v[36:37], v[4:5], v[36:37]
	s_waitcnt vmcnt(8) lgkmcnt(0)
	v_mul_f64 v[216:217], v[38:39], v[160:161]
	v_add_f64 v[212:213], v[212:213], v[220:221]
	v_add_f64 v[214:215], v[214:215], v[218:219]
	v_mul_f64 v[218:219], v[40:41], v[160:161]
	v_fma_f64 v[220:221], v[4:5], v[34:35], v[222:223]
	v_fma_f64 v[222:223], v[2:3], v[34:35], -v[36:37]
	ds_load_b128 v[2:5], v1 offset:1184
	scratch_load_b128 v[34:37], off, off offset:496
	v_fma_f64 v[216:217], v[40:41], v[158:159], v[216:217]
	v_add_f64 v[212:213], v[212:213], v[162:163]
	v_add_f64 v[164:165], v[214:215], v[164:165]
	ds_load_b128 v[160:163], v1 offset:1200
	v_fma_f64 v[158:159], v[38:39], v[158:159], -v[218:219]
	scratch_load_b128 v[38:41], off, off offset:512
	s_waitcnt vmcnt(9) lgkmcnt(1)
	v_mul_f64 v[214:215], v[2:3], v[44:45]
	v_mul_f64 v[44:45], v[4:5], v[44:45]
	s_waitcnt vmcnt(8) lgkmcnt(0)
	v_mul_f64 v[218:219], v[160:161], v[8:9]
	v_mul_f64 v[8:9], v[162:163], v[8:9]
	v_add_f64 v[212:213], v[212:213], v[222:223]
	v_add_f64 v[164:165], v[164:165], v[220:221]
	v_fma_f64 v[220:221], v[4:5], v[42:43], v[214:215]
	v_fma_f64 v[222:223], v[2:3], v[42:43], -v[44:45]
	ds_load_b128 v[2:5], v1 offset:1216
	scratch_load_b128 v[42:45], off, off offset:528
	v_fma_f64 v[162:163], v[162:163], v[6:7], v[218:219]
	v_fma_f64 v[160:161], v[160:161], v[6:7], -v[8:9]
	scratch_load_b128 v[6:9], off, off offset:544
	v_add_f64 v[158:159], v[212:213], v[158:159]
	v_add_f64 v[164:165], v[164:165], v[216:217]
	ds_load_b128 v[212:215], v1 offset:1232
	s_waitcnt vmcnt(9) lgkmcnt(1)
	v_mul_f64 v[216:217], v[2:3], v[12:13]
	v_mul_f64 v[12:13], v[4:5], v[12:13]
	s_waitcnt vmcnt(8) lgkmcnt(0)
	v_mul_f64 v[218:219], v[212:213], v[16:17]
	v_mul_f64 v[16:17], v[214:215], v[16:17]
	v_add_f64 v[158:159], v[158:159], v[222:223]
	v_add_f64 v[164:165], v[164:165], v[220:221]
	v_fma_f64 v[216:217], v[4:5], v[10:11], v[216:217]
	v_fma_f64 v[220:221], v[2:3], v[10:11], -v[12:13]
	ds_load_b128 v[2:5], v1 offset:1248
	scratch_load_b128 v[10:13], off, off offset:560
	v_fma_f64 v[214:215], v[214:215], v[14:15], v[218:219]
	v_fma_f64 v[212:213], v[212:213], v[14:15], -v[16:17]
	scratch_load_b128 v[14:17], off, off offset:576
	v_add_f64 v[222:223], v[158:159], v[160:161]
	v_add_f64 v[162:163], v[164:165], v[162:163]
	ds_load_b128 v[158:161], v1 offset:1264
	s_waitcnt vmcnt(9) lgkmcnt(1)
	v_mul_f64 v[164:165], v[2:3], v[20:21]
	v_mul_f64 v[20:21], v[4:5], v[20:21]
	v_add_f64 v[218:219], v[222:223], v[220:221]
	v_add_f64 v[162:163], v[162:163], v[216:217]
	s_waitcnt vmcnt(8) lgkmcnt(0)
	v_mul_f64 v[216:217], v[158:159], v[24:25]
	v_mul_f64 v[24:25], v[160:161], v[24:25]
	v_fma_f64 v[220:221], v[4:5], v[18:19], v[164:165]
	v_fma_f64 v[222:223], v[2:3], v[18:19], -v[20:21]
	ds_load_b128 v[2:5], v1 offset:1280
	scratch_load_b128 v[18:21], off, off offset:592
	v_add_f64 v[212:213], v[218:219], v[212:213]
	v_add_f64 v[214:215], v[162:163], v[214:215]
	ds_load_b128 v[162:165], v1 offset:1296
	s_waitcnt vmcnt(8) lgkmcnt(1)
	v_mul_f64 v[218:219], v[2:3], v[28:29]
	v_mul_f64 v[28:29], v[4:5], v[28:29]
	v_fma_f64 v[160:161], v[160:161], v[22:23], v[216:217]
	v_fma_f64 v[158:159], v[158:159], v[22:23], -v[24:25]
	scratch_load_b128 v[22:25], off, off offset:608
	s_waitcnt vmcnt(8) lgkmcnt(0)
	v_mul_f64 v[216:217], v[162:163], v[32:33]
	v_mul_f64 v[32:33], v[164:165], v[32:33]
	v_add_f64 v[212:213], v[212:213], v[222:223]
	v_add_f64 v[214:215], v[214:215], v[220:221]
	v_fma_f64 v[218:219], v[4:5], v[26:27], v[218:219]
	v_fma_f64 v[220:221], v[2:3], v[26:27], -v[28:29]
	ds_load_b128 v[2:5], v1 offset:1312
	scratch_load_b128 v[26:29], off, off offset:624
	v_fma_f64 v[164:165], v[164:165], v[30:31], v[216:217]
	v_fma_f64 v[162:163], v[162:163], v[30:31], -v[32:33]
	scratch_load_b128 v[30:33], off, off offset:640
	v_add_f64 v[212:213], v[212:213], v[158:159]
	v_add_f64 v[214:215], v[214:215], v[160:161]
	ds_load_b128 v[158:161], v1 offset:1328
	s_waitcnt vmcnt(9) lgkmcnt(1)
	v_mul_f64 v[222:223], v[2:3], v[36:37]
	v_mul_f64 v[36:37], v[4:5], v[36:37]
	s_waitcnt vmcnt(8) lgkmcnt(0)
	v_mul_f64 v[216:217], v[158:159], v[40:41]
	v_mul_f64 v[40:41], v[160:161], v[40:41]
	v_add_f64 v[212:213], v[212:213], v[220:221]
	v_add_f64 v[214:215], v[214:215], v[218:219]
	v_fma_f64 v[218:219], v[4:5], v[34:35], v[222:223]
	v_fma_f64 v[220:221], v[2:3], v[34:35], -v[36:37]
	ds_load_b128 v[2:5], v1 offset:1344
	scratch_load_b128 v[34:37], off, off offset:656
	v_fma_f64 v[160:161], v[160:161], v[38:39], v[216:217]
	v_fma_f64 v[158:159], v[158:159], v[38:39], -v[40:41]
	scratch_load_b128 v[38:41], off, off offset:672
	v_add_f64 v[212:213], v[212:213], v[162:163]
	v_add_f64 v[214:215], v[214:215], v[164:165]
	ds_load_b128 v[162:165], v1 offset:1360
	s_waitcnt vmcnt(9) lgkmcnt(1)
	v_mul_f64 v[222:223], v[2:3], v[44:45]
	v_mul_f64 v[44:45], v[4:5], v[44:45]
	;; [unrolled: 18-line block ×6, first 2 shown]
	s_waitcnt vmcnt(8) lgkmcnt(0)
	v_mul_f64 v[216:217], v[162:163], v[40:41]
	v_mul_f64 v[40:41], v[164:165], v[40:41]
	v_add_f64 v[212:213], v[212:213], v[220:221]
	v_add_f64 v[214:215], v[214:215], v[218:219]
	v_fma_f64 v[218:219], v[4:5], v[34:35], v[222:223]
	v_fma_f64 v[220:221], v[2:3], v[34:35], -v[36:37]
	ds_load_b128 v[2:5], v1 offset:1504
	ds_load_b128 v[34:37], v1 offset:1520
	v_fma_f64 v[164:165], v[164:165], v[38:39], v[216:217]
	v_fma_f64 v[38:39], v[162:163], v[38:39], -v[40:41]
	v_add_f64 v[158:159], v[212:213], v[158:159]
	v_add_f64 v[160:161], v[214:215], v[160:161]
	s_waitcnt vmcnt(7) lgkmcnt(1)
	v_mul_f64 v[212:213], v[2:3], v[44:45]
	v_mul_f64 v[44:45], v[4:5], v[44:45]
	s_delay_alu instid0(VALU_DEP_4) | instskip(NEXT) | instid1(VALU_DEP_4)
	v_add_f64 v[40:41], v[158:159], v[220:221]
	v_add_f64 v[158:159], v[160:161], v[218:219]
	s_waitcnt vmcnt(6) lgkmcnt(0)
	v_mul_f64 v[160:161], v[34:35], v[8:9]
	v_mul_f64 v[8:9], v[36:37], v[8:9]
	v_fma_f64 v[162:163], v[4:5], v[42:43], v[212:213]
	v_fma_f64 v[42:43], v[2:3], v[42:43], -v[44:45]
	v_add_f64 v[44:45], v[40:41], v[38:39]
	v_add_f64 v[158:159], v[158:159], v[164:165]
	ds_load_b128 v[2:5], v1 offset:1536
	ds_load_b128 v[38:41], v1 offset:1552
	v_fma_f64 v[36:37], v[36:37], v[6:7], v[160:161]
	v_fma_f64 v[6:7], v[34:35], v[6:7], -v[8:9]
	s_waitcnt vmcnt(5) lgkmcnt(1)
	v_mul_f64 v[164:165], v[2:3], v[12:13]
	v_mul_f64 v[12:13], v[4:5], v[12:13]
	v_add_f64 v[8:9], v[44:45], v[42:43]
	v_add_f64 v[34:35], v[158:159], v[162:163]
	s_waitcnt vmcnt(4) lgkmcnt(0)
	v_mul_f64 v[42:43], v[38:39], v[16:17]
	v_mul_f64 v[16:17], v[40:41], v[16:17]
	v_fma_f64 v[44:45], v[4:5], v[10:11], v[164:165]
	v_fma_f64 v[10:11], v[2:3], v[10:11], -v[12:13]
	v_add_f64 v[12:13], v[8:9], v[6:7]
	v_add_f64 v[34:35], v[34:35], v[36:37]
	ds_load_b128 v[2:5], v1 offset:1568
	ds_load_b128 v[6:9], v1 offset:1584
	v_fma_f64 v[40:41], v[40:41], v[14:15], v[42:43]
	v_fma_f64 v[14:15], v[38:39], v[14:15], -v[16:17]
	s_waitcnt vmcnt(3) lgkmcnt(1)
	v_mul_f64 v[36:37], v[2:3], v[20:21]
	v_mul_f64 v[20:21], v[4:5], v[20:21]
	s_waitcnt vmcnt(2) lgkmcnt(0)
	v_mul_f64 v[16:17], v[6:7], v[24:25]
	v_mul_f64 v[24:25], v[8:9], v[24:25]
	v_add_f64 v[10:11], v[12:13], v[10:11]
	v_add_f64 v[12:13], v[34:35], v[44:45]
	v_fma_f64 v[34:35], v[4:5], v[18:19], v[36:37]
	v_fma_f64 v[18:19], v[2:3], v[18:19], -v[20:21]
	v_fma_f64 v[8:9], v[8:9], v[22:23], v[16:17]
	v_fma_f64 v[6:7], v[6:7], v[22:23], -v[24:25]
	v_add_f64 v[14:15], v[10:11], v[14:15]
	v_add_f64 v[20:21], v[12:13], v[40:41]
	ds_load_b128 v[2:5], v1 offset:1600
	ds_load_b128 v[10:13], v1 offset:1616
	s_waitcnt vmcnt(1) lgkmcnt(1)
	v_mul_f64 v[36:37], v[2:3], v[28:29]
	v_mul_f64 v[28:29], v[4:5], v[28:29]
	v_add_f64 v[14:15], v[14:15], v[18:19]
	v_add_f64 v[16:17], v[20:21], v[34:35]
	s_waitcnt vmcnt(0) lgkmcnt(0)
	v_mul_f64 v[18:19], v[10:11], v[32:33]
	v_mul_f64 v[20:21], v[12:13], v[32:33]
	v_fma_f64 v[4:5], v[4:5], v[26:27], v[36:37]
	v_fma_f64 v[1:2], v[2:3], v[26:27], -v[28:29]
	v_add_f64 v[6:7], v[14:15], v[6:7]
	v_add_f64 v[8:9], v[16:17], v[8:9]
	v_fma_f64 v[12:13], v[12:13], v[30:31], v[18:19]
	v_fma_f64 v[10:11], v[10:11], v[30:31], -v[20:21]
	s_delay_alu instid0(VALU_DEP_4) | instskip(NEXT) | instid1(VALU_DEP_4)
	v_add_f64 v[1:2], v[6:7], v[1:2]
	v_add_f64 v[3:4], v[8:9], v[4:5]
	s_delay_alu instid0(VALU_DEP_2) | instskip(NEXT) | instid1(VALU_DEP_2)
	v_add_f64 v[1:2], v[1:2], v[10:11]
	v_add_f64 v[3:4], v[3:4], v[12:13]
	s_delay_alu instid0(VALU_DEP_2) | instskip(NEXT) | instid1(VALU_DEP_2)
	v_add_f64 v[1:2], v[154:155], -v[1:2]
	v_add_f64 v[3:4], v[156:157], -v[3:4]
	scratch_store_b128 off, v[1:4], off offset:192
	v_cmpx_lt_u32_e32 11, v148
	s_cbranch_execz .LBB50_297
; %bb.296:
	scratch_load_b128 v[1:4], v152, off
	v_mov_b32_e32 v5, 0
	s_delay_alu instid0(VALU_DEP_1)
	v_mov_b32_e32 v6, v5
	v_mov_b32_e32 v7, v5
	;; [unrolled: 1-line block ×3, first 2 shown]
	scratch_store_b128 off, v[5:8], off offset:176
	s_waitcnt vmcnt(0)
	ds_store_b128 v199, v[1:4]
.LBB50_297:
	s_or_b32 exec_lo, exec_lo, s2
	s_waitcnt lgkmcnt(0)
	s_waitcnt_vscnt null, 0x0
	s_barrier
	buffer_gl0_inv
	s_clause 0x7
	scratch_load_b128 v[2:5], off, off offset:192
	scratch_load_b128 v[6:9], off, off offset:208
	;; [unrolled: 1-line block ×8, first 2 shown]
	v_mov_b32_e32 v1, 0
	s_mov_b32 s2, exec_lo
	ds_load_b128 v[38:41], v1 offset:1008
	s_clause 0x1
	scratch_load_b128 v[34:37], off, off offset:320
	scratch_load_b128 v[42:45], off, off offset:176
	ds_load_b128 v[154:157], v1 offset:1024
	scratch_load_b128 v[158:161], off, off offset:336
	s_waitcnt vmcnt(10) lgkmcnt(1)
	v_mul_f64 v[162:163], v[40:41], v[4:5]
	v_mul_f64 v[4:5], v[38:39], v[4:5]
	s_delay_alu instid0(VALU_DEP_2) | instskip(NEXT) | instid1(VALU_DEP_2)
	v_fma_f64 v[214:215], v[38:39], v[2:3], -v[162:163]
	v_fma_f64 v[216:217], v[40:41], v[2:3], v[4:5]
	scratch_load_b128 v[38:41], off, off offset:352
	ds_load_b128 v[2:5], v1 offset:1040
	s_waitcnt vmcnt(10) lgkmcnt(1)
	v_mul_f64 v[212:213], v[154:155], v[8:9]
	v_mul_f64 v[8:9], v[156:157], v[8:9]
	ds_load_b128 v[162:165], v1 offset:1056
	s_waitcnt vmcnt(9) lgkmcnt(1)
	v_mul_f64 v[218:219], v[2:3], v[12:13]
	v_mul_f64 v[12:13], v[4:5], v[12:13]
	v_fma_f64 v[156:157], v[156:157], v[6:7], v[212:213]
	v_fma_f64 v[154:155], v[154:155], v[6:7], -v[8:9]
	v_add_f64 v[212:213], v[214:215], 0
	v_add_f64 v[214:215], v[216:217], 0
	scratch_load_b128 v[6:9], off, off offset:368
	v_fma_f64 v[218:219], v[4:5], v[10:11], v[218:219]
	v_fma_f64 v[220:221], v[2:3], v[10:11], -v[12:13]
	scratch_load_b128 v[10:13], off, off offset:384
	ds_load_b128 v[2:5], v1 offset:1072
	s_waitcnt vmcnt(10) lgkmcnt(1)
	v_mul_f64 v[216:217], v[162:163], v[16:17]
	v_mul_f64 v[16:17], v[164:165], v[16:17]
	v_add_f64 v[212:213], v[212:213], v[154:155]
	v_add_f64 v[214:215], v[214:215], v[156:157]
	s_waitcnt vmcnt(9) lgkmcnt(0)
	v_mul_f64 v[222:223], v[2:3], v[20:21]
	v_mul_f64 v[20:21], v[4:5], v[20:21]
	ds_load_b128 v[154:157], v1 offset:1088
	v_fma_f64 v[164:165], v[164:165], v[14:15], v[216:217]
	v_fma_f64 v[162:163], v[162:163], v[14:15], -v[16:17]
	scratch_load_b128 v[14:17], off, off offset:400
	v_add_f64 v[212:213], v[212:213], v[220:221]
	v_add_f64 v[214:215], v[214:215], v[218:219]
	v_fma_f64 v[218:219], v[4:5], v[18:19], v[222:223]
	v_fma_f64 v[220:221], v[2:3], v[18:19], -v[20:21]
	scratch_load_b128 v[18:21], off, off offset:416
	ds_load_b128 v[2:5], v1 offset:1104
	s_waitcnt vmcnt(10) lgkmcnt(1)
	v_mul_f64 v[216:217], v[154:155], v[24:25]
	v_mul_f64 v[24:25], v[156:157], v[24:25]
	s_waitcnt vmcnt(9) lgkmcnt(0)
	v_mul_f64 v[222:223], v[2:3], v[28:29]
	v_mul_f64 v[28:29], v[4:5], v[28:29]
	v_add_f64 v[212:213], v[212:213], v[162:163]
	v_add_f64 v[214:215], v[214:215], v[164:165]
	ds_load_b128 v[162:165], v1 offset:1120
	v_fma_f64 v[156:157], v[156:157], v[22:23], v[216:217]
	v_fma_f64 v[154:155], v[154:155], v[22:23], -v[24:25]
	scratch_load_b128 v[22:25], off, off offset:432
	v_add_f64 v[212:213], v[212:213], v[220:221]
	v_add_f64 v[214:215], v[214:215], v[218:219]
	v_fma_f64 v[218:219], v[4:5], v[26:27], v[222:223]
	v_fma_f64 v[220:221], v[2:3], v[26:27], -v[28:29]
	scratch_load_b128 v[26:29], off, off offset:448
	ds_load_b128 v[2:5], v1 offset:1136
	s_waitcnt vmcnt(10) lgkmcnt(1)
	v_mul_f64 v[216:217], v[162:163], v[32:33]
	v_mul_f64 v[32:33], v[164:165], v[32:33]
	s_waitcnt vmcnt(9) lgkmcnt(0)
	v_mul_f64 v[222:223], v[2:3], v[36:37]
	v_mul_f64 v[36:37], v[4:5], v[36:37]
	v_add_f64 v[212:213], v[212:213], v[154:155]
	v_add_f64 v[214:215], v[214:215], v[156:157]
	ds_load_b128 v[154:157], v1 offset:1152
	v_fma_f64 v[164:165], v[164:165], v[30:31], v[216:217]
	v_fma_f64 v[162:163], v[162:163], v[30:31], -v[32:33]
	scratch_load_b128 v[30:33], off, off offset:464
	v_add_f64 v[212:213], v[212:213], v[220:221]
	v_add_f64 v[214:215], v[214:215], v[218:219]
	v_fma_f64 v[220:221], v[4:5], v[34:35], v[222:223]
	v_fma_f64 v[222:223], v[2:3], v[34:35], -v[36:37]
	scratch_load_b128 v[34:37], off, off offset:480
	ds_load_b128 v[2:5], v1 offset:1168
	s_waitcnt vmcnt(9) lgkmcnt(1)
	v_mul_f64 v[216:217], v[154:155], v[160:161]
	v_mul_f64 v[218:219], v[156:157], v[160:161]
	v_add_f64 v[212:213], v[212:213], v[162:163]
	v_add_f64 v[164:165], v[214:215], v[164:165]
	ds_load_b128 v[160:163], v1 offset:1184
	v_fma_f64 v[216:217], v[156:157], v[158:159], v[216:217]
	v_fma_f64 v[158:159], v[154:155], v[158:159], -v[218:219]
	scratch_load_b128 v[154:157], off, off offset:496
	s_waitcnt vmcnt(9) lgkmcnt(1)
	v_mul_f64 v[214:215], v[2:3], v[40:41]
	v_mul_f64 v[40:41], v[4:5], v[40:41]
	v_add_f64 v[212:213], v[212:213], v[222:223]
	v_add_f64 v[164:165], v[164:165], v[220:221]
	s_delay_alu instid0(VALU_DEP_4) | instskip(NEXT) | instid1(VALU_DEP_4)
	v_fma_f64 v[220:221], v[4:5], v[38:39], v[214:215]
	v_fma_f64 v[222:223], v[2:3], v[38:39], -v[40:41]
	scratch_load_b128 v[38:41], off, off offset:512
	ds_load_b128 v[2:5], v1 offset:1200
	s_waitcnt vmcnt(9) lgkmcnt(1)
	v_mul_f64 v[218:219], v[160:161], v[8:9]
	v_mul_f64 v[8:9], v[162:163], v[8:9]
	v_add_f64 v[158:159], v[212:213], v[158:159]
	v_add_f64 v[164:165], v[164:165], v[216:217]
	s_waitcnt vmcnt(8) lgkmcnt(0)
	v_mul_f64 v[216:217], v[2:3], v[12:13]
	v_mul_f64 v[12:13], v[4:5], v[12:13]
	ds_load_b128 v[212:215], v1 offset:1216
	v_fma_f64 v[162:163], v[162:163], v[6:7], v[218:219]
	v_fma_f64 v[160:161], v[160:161], v[6:7], -v[8:9]
	scratch_load_b128 v[6:9], off, off offset:528
	v_add_f64 v[158:159], v[158:159], v[222:223]
	v_add_f64 v[164:165], v[164:165], v[220:221]
	v_fma_f64 v[216:217], v[4:5], v[10:11], v[216:217]
	v_fma_f64 v[220:221], v[2:3], v[10:11], -v[12:13]
	scratch_load_b128 v[10:13], off, off offset:544
	ds_load_b128 v[2:5], v1 offset:1232
	s_waitcnt vmcnt(9) lgkmcnt(1)
	v_mul_f64 v[218:219], v[212:213], v[16:17]
	v_mul_f64 v[16:17], v[214:215], v[16:17]
	v_add_f64 v[222:223], v[158:159], v[160:161]
	v_add_f64 v[162:163], v[164:165], v[162:163]
	s_waitcnt vmcnt(8) lgkmcnt(0)
	v_mul_f64 v[164:165], v[2:3], v[20:21]
	v_mul_f64 v[20:21], v[4:5], v[20:21]
	ds_load_b128 v[158:161], v1 offset:1248
	v_fma_f64 v[214:215], v[214:215], v[14:15], v[218:219]
	v_fma_f64 v[212:213], v[212:213], v[14:15], -v[16:17]
	scratch_load_b128 v[14:17], off, off offset:560
	v_add_f64 v[218:219], v[222:223], v[220:221]
	v_add_f64 v[162:163], v[162:163], v[216:217]
	;; [unrolled: 18-line block ×3, first 2 shown]
	v_fma_f64 v[218:219], v[4:5], v[26:27], v[218:219]
	v_fma_f64 v[220:221], v[2:3], v[26:27], -v[28:29]
	scratch_load_b128 v[26:29], off, off offset:608
	ds_load_b128 v[2:5], v1 offset:1296
	s_waitcnt vmcnt(9) lgkmcnt(1)
	v_mul_f64 v[216:217], v[162:163], v[32:33]
	v_mul_f64 v[32:33], v[164:165], v[32:33]
	s_waitcnt vmcnt(8) lgkmcnt(0)
	v_mul_f64 v[222:223], v[2:3], v[36:37]
	v_mul_f64 v[36:37], v[4:5], v[36:37]
	v_add_f64 v[212:213], v[212:213], v[158:159]
	v_add_f64 v[214:215], v[214:215], v[160:161]
	ds_load_b128 v[158:161], v1 offset:1312
	v_fma_f64 v[164:165], v[164:165], v[30:31], v[216:217]
	v_fma_f64 v[162:163], v[162:163], v[30:31], -v[32:33]
	scratch_load_b128 v[30:33], off, off offset:624
	v_add_f64 v[212:213], v[212:213], v[220:221]
	v_add_f64 v[214:215], v[214:215], v[218:219]
	v_fma_f64 v[218:219], v[4:5], v[34:35], v[222:223]
	v_fma_f64 v[220:221], v[2:3], v[34:35], -v[36:37]
	scratch_load_b128 v[34:37], off, off offset:640
	ds_load_b128 v[2:5], v1 offset:1328
	s_waitcnt vmcnt(9) lgkmcnt(1)
	v_mul_f64 v[216:217], v[158:159], v[156:157]
	v_mul_f64 v[156:157], v[160:161], v[156:157]
	s_waitcnt vmcnt(8) lgkmcnt(0)
	v_mul_f64 v[222:223], v[2:3], v[40:41]
	v_mul_f64 v[40:41], v[4:5], v[40:41]
	v_add_f64 v[212:213], v[212:213], v[162:163]
	v_add_f64 v[214:215], v[214:215], v[164:165]
	ds_load_b128 v[162:165], v1 offset:1344
	v_fma_f64 v[160:161], v[160:161], v[154:155], v[216:217]
	v_fma_f64 v[158:159], v[158:159], v[154:155], -v[156:157]
	scratch_load_b128 v[154:157], off, off offset:656
	v_add_f64 v[212:213], v[212:213], v[220:221]
	v_add_f64 v[214:215], v[214:215], v[218:219]
	;; [unrolled: 18-line block ×6, first 2 shown]
	v_fma_f64 v[220:221], v[4:5], v[34:35], v[222:223]
	v_fma_f64 v[222:223], v[2:3], v[34:35], -v[36:37]
	scratch_load_b128 v[34:37], off, off offset:800
	ds_load_b128 v[2:5], v1 offset:1488
	s_waitcnt vmcnt(9) lgkmcnt(1)
	v_mul_f64 v[216:217], v[162:163], v[156:157]
	v_mul_f64 v[218:219], v[164:165], v[156:157]
	v_add_f64 v[212:213], v[212:213], v[158:159]
	v_add_f64 v[160:161], v[214:215], v[160:161]
	s_waitcnt vmcnt(8) lgkmcnt(0)
	v_mul_f64 v[214:215], v[2:3], v[40:41]
	v_mul_f64 v[40:41], v[4:5], v[40:41]
	ds_load_b128 v[156:159], v1 offset:1504
	v_fma_f64 v[164:165], v[164:165], v[154:155], v[216:217]
	v_fma_f64 v[154:155], v[162:163], v[154:155], -v[218:219]
	v_add_f64 v[162:163], v[212:213], v[222:223]
	v_add_f64 v[160:161], v[160:161], v[220:221]
	s_waitcnt vmcnt(7) lgkmcnt(0)
	v_mul_f64 v[212:213], v[156:157], v[8:9]
	v_mul_f64 v[8:9], v[158:159], v[8:9]
	v_fma_f64 v[214:215], v[4:5], v[38:39], v[214:215]
	v_fma_f64 v[216:217], v[2:3], v[38:39], -v[40:41]
	ds_load_b128 v[2:5], v1 offset:1520
	ds_load_b128 v[38:41], v1 offset:1536
	v_add_f64 v[154:155], v[162:163], v[154:155]
	v_add_f64 v[160:161], v[160:161], v[164:165]
	s_waitcnt vmcnt(6) lgkmcnt(1)
	v_mul_f64 v[162:163], v[2:3], v[12:13]
	v_mul_f64 v[12:13], v[4:5], v[12:13]
	v_fma_f64 v[158:159], v[158:159], v[6:7], v[212:213]
	v_fma_f64 v[6:7], v[156:157], v[6:7], -v[8:9]
	s_waitcnt vmcnt(5) lgkmcnt(0)
	v_mul_f64 v[156:157], v[38:39], v[16:17]
	v_mul_f64 v[16:17], v[40:41], v[16:17]
	v_add_f64 v[8:9], v[154:155], v[216:217]
	v_add_f64 v[154:155], v[160:161], v[214:215]
	v_fma_f64 v[160:161], v[4:5], v[10:11], v[162:163]
	v_fma_f64 v[10:11], v[2:3], v[10:11], -v[12:13]
	v_fma_f64 v[40:41], v[40:41], v[14:15], v[156:157]
	v_fma_f64 v[14:15], v[38:39], v[14:15], -v[16:17]
	v_add_f64 v[12:13], v[8:9], v[6:7]
	v_add_f64 v[154:155], v[154:155], v[158:159]
	ds_load_b128 v[2:5], v1 offset:1552
	ds_load_b128 v[6:9], v1 offset:1568
	s_waitcnt vmcnt(4) lgkmcnt(1)
	v_mul_f64 v[158:159], v[2:3], v[20:21]
	v_mul_f64 v[20:21], v[4:5], v[20:21]
	s_waitcnt vmcnt(3) lgkmcnt(0)
	v_mul_f64 v[16:17], v[6:7], v[24:25]
	v_mul_f64 v[24:25], v[8:9], v[24:25]
	v_add_f64 v[10:11], v[12:13], v[10:11]
	v_add_f64 v[12:13], v[154:155], v[160:161]
	v_fma_f64 v[38:39], v[4:5], v[18:19], v[158:159]
	v_fma_f64 v[18:19], v[2:3], v[18:19], -v[20:21]
	v_fma_f64 v[8:9], v[8:9], v[22:23], v[16:17]
	v_fma_f64 v[6:7], v[6:7], v[22:23], -v[24:25]
	v_add_f64 v[14:15], v[10:11], v[14:15]
	v_add_f64 v[20:21], v[12:13], v[40:41]
	ds_load_b128 v[2:5], v1 offset:1584
	ds_load_b128 v[10:13], v1 offset:1600
	s_waitcnt vmcnt(2) lgkmcnt(1)
	v_mul_f64 v[40:41], v[2:3], v[28:29]
	v_mul_f64 v[28:29], v[4:5], v[28:29]
	v_add_f64 v[14:15], v[14:15], v[18:19]
	v_add_f64 v[16:17], v[20:21], v[38:39]
	s_waitcnt vmcnt(1) lgkmcnt(0)
	v_mul_f64 v[18:19], v[10:11], v[32:33]
	v_mul_f64 v[20:21], v[12:13], v[32:33]
	v_fma_f64 v[22:23], v[4:5], v[26:27], v[40:41]
	v_fma_f64 v[24:25], v[2:3], v[26:27], -v[28:29]
	ds_load_b128 v[2:5], v1 offset:1616
	v_add_f64 v[6:7], v[14:15], v[6:7]
	v_add_f64 v[8:9], v[16:17], v[8:9]
	v_fma_f64 v[12:13], v[12:13], v[30:31], v[18:19]
	v_fma_f64 v[10:11], v[10:11], v[30:31], -v[20:21]
	s_waitcnt vmcnt(0) lgkmcnt(0)
	v_mul_f64 v[14:15], v[2:3], v[36:37]
	v_mul_f64 v[16:17], v[4:5], v[36:37]
	v_add_f64 v[6:7], v[6:7], v[24:25]
	v_add_f64 v[8:9], v[8:9], v[22:23]
	s_delay_alu instid0(VALU_DEP_4) | instskip(NEXT) | instid1(VALU_DEP_4)
	v_fma_f64 v[4:5], v[4:5], v[34:35], v[14:15]
	v_fma_f64 v[2:3], v[2:3], v[34:35], -v[16:17]
	s_delay_alu instid0(VALU_DEP_4) | instskip(NEXT) | instid1(VALU_DEP_4)
	v_add_f64 v[6:7], v[6:7], v[10:11]
	v_add_f64 v[8:9], v[8:9], v[12:13]
	s_delay_alu instid0(VALU_DEP_2) | instskip(NEXT) | instid1(VALU_DEP_2)
	v_add_f64 v[2:3], v[6:7], v[2:3]
	v_add_f64 v[4:5], v[8:9], v[4:5]
	s_delay_alu instid0(VALU_DEP_2) | instskip(NEXT) | instid1(VALU_DEP_2)
	v_add_f64 v[2:3], v[42:43], -v[2:3]
	v_add_f64 v[4:5], v[44:45], -v[4:5]
	scratch_store_b128 off, v[2:5], off offset:176
	v_cmpx_lt_u32_e32 10, v148
	s_cbranch_execz .LBB50_299
; %bb.298:
	scratch_load_b128 v[5:8], v149, off
	v_mov_b32_e32 v2, v1
	v_mov_b32_e32 v3, v1
	;; [unrolled: 1-line block ×3, first 2 shown]
	scratch_store_b128 off, v[1:4], off offset:160
	s_waitcnt vmcnt(0)
	ds_store_b128 v199, v[5:8]
.LBB50_299:
	s_or_b32 exec_lo, exec_lo, s2
	s_waitcnt lgkmcnt(0)
	s_waitcnt_vscnt null, 0x0
	s_barrier
	buffer_gl0_inv
	s_clause 0x8
	scratch_load_b128 v[2:5], off, off offset:176
	scratch_load_b128 v[6:9], off, off offset:192
	;; [unrolled: 1-line block ×9, first 2 shown]
	ds_load_b128 v[42:45], v1 offset:992
	ds_load_b128 v[38:41], v1 offset:1008
	s_clause 0x1
	scratch_load_b128 v[154:157], off, off offset:160
	scratch_load_b128 v[158:161], off, off offset:320
	s_mov_b32 s2, exec_lo
	s_waitcnt vmcnt(10) lgkmcnt(1)
	v_mul_f64 v[162:163], v[44:45], v[4:5]
	v_mul_f64 v[4:5], v[42:43], v[4:5]
	s_waitcnt vmcnt(9) lgkmcnt(0)
	v_mul_f64 v[212:213], v[38:39], v[8:9]
	v_mul_f64 v[8:9], v[40:41], v[8:9]
	s_delay_alu instid0(VALU_DEP_4) | instskip(NEXT) | instid1(VALU_DEP_4)
	v_fma_f64 v[214:215], v[42:43], v[2:3], -v[162:163]
	v_fma_f64 v[216:217], v[44:45], v[2:3], v[4:5]
	ds_load_b128 v[2:5], v1 offset:1024
	ds_load_b128 v[162:165], v1 offset:1040
	scratch_load_b128 v[42:45], off, off offset:336
	v_fma_f64 v[40:41], v[40:41], v[6:7], v[212:213]
	v_fma_f64 v[38:39], v[38:39], v[6:7], -v[8:9]
	scratch_load_b128 v[6:9], off, off offset:352
	s_waitcnt vmcnt(10) lgkmcnt(1)
	v_mul_f64 v[218:219], v[2:3], v[12:13]
	v_mul_f64 v[12:13], v[4:5], v[12:13]
	v_add_f64 v[212:213], v[214:215], 0
	v_add_f64 v[214:215], v[216:217], 0
	s_waitcnt vmcnt(9) lgkmcnt(0)
	v_mul_f64 v[216:217], v[162:163], v[16:17]
	v_mul_f64 v[16:17], v[164:165], v[16:17]
	v_fma_f64 v[218:219], v[4:5], v[10:11], v[218:219]
	v_fma_f64 v[220:221], v[2:3], v[10:11], -v[12:13]
	ds_load_b128 v[2:5], v1 offset:1056
	scratch_load_b128 v[10:13], off, off offset:368
	v_add_f64 v[212:213], v[212:213], v[38:39]
	v_add_f64 v[214:215], v[214:215], v[40:41]
	ds_load_b128 v[38:41], v1 offset:1072
	v_fma_f64 v[164:165], v[164:165], v[14:15], v[216:217]
	v_fma_f64 v[162:163], v[162:163], v[14:15], -v[16:17]
	scratch_load_b128 v[14:17], off, off offset:384
	s_waitcnt vmcnt(10) lgkmcnt(1)
	v_mul_f64 v[222:223], v[2:3], v[20:21]
	v_mul_f64 v[20:21], v[4:5], v[20:21]
	s_waitcnt vmcnt(9) lgkmcnt(0)
	v_mul_f64 v[216:217], v[38:39], v[24:25]
	v_mul_f64 v[24:25], v[40:41], v[24:25]
	v_add_f64 v[212:213], v[212:213], v[220:221]
	v_add_f64 v[214:215], v[214:215], v[218:219]
	v_fma_f64 v[218:219], v[4:5], v[18:19], v[222:223]
	v_fma_f64 v[220:221], v[2:3], v[18:19], -v[20:21]
	ds_load_b128 v[2:5], v1 offset:1088
	scratch_load_b128 v[18:21], off, off offset:400
	v_fma_f64 v[40:41], v[40:41], v[22:23], v[216:217]
	v_fma_f64 v[38:39], v[38:39], v[22:23], -v[24:25]
	scratch_load_b128 v[22:25], off, off offset:416
	v_add_f64 v[212:213], v[212:213], v[162:163]
	v_add_f64 v[214:215], v[214:215], v[164:165]
	ds_load_b128 v[162:165], v1 offset:1104
	s_waitcnt vmcnt(10) lgkmcnt(1)
	v_mul_f64 v[222:223], v[2:3], v[28:29]
	v_mul_f64 v[28:29], v[4:5], v[28:29]
	s_waitcnt vmcnt(9) lgkmcnt(0)
	v_mul_f64 v[216:217], v[162:163], v[32:33]
	v_mul_f64 v[32:33], v[164:165], v[32:33]
	v_add_f64 v[212:213], v[212:213], v[220:221]
	v_add_f64 v[214:215], v[214:215], v[218:219]
	v_fma_f64 v[218:219], v[4:5], v[26:27], v[222:223]
	v_fma_f64 v[220:221], v[2:3], v[26:27], -v[28:29]
	ds_load_b128 v[2:5], v1 offset:1120
	scratch_load_b128 v[26:29], off, off offset:432
	v_fma_f64 v[164:165], v[164:165], v[30:31], v[216:217]
	v_fma_f64 v[162:163], v[162:163], v[30:31], -v[32:33]
	scratch_load_b128 v[30:33], off, off offset:448
	v_add_f64 v[212:213], v[212:213], v[38:39]
	v_add_f64 v[214:215], v[214:215], v[40:41]
	ds_load_b128 v[38:41], v1 offset:1136
	s_waitcnt vmcnt(10) lgkmcnt(1)
	v_mul_f64 v[222:223], v[2:3], v[36:37]
	v_mul_f64 v[36:37], v[4:5], v[36:37]
	s_waitcnt vmcnt(8) lgkmcnt(0)
	v_mul_f64 v[216:217], v[38:39], v[160:161]
	v_add_f64 v[212:213], v[212:213], v[220:221]
	v_add_f64 v[214:215], v[214:215], v[218:219]
	v_mul_f64 v[218:219], v[40:41], v[160:161]
	v_fma_f64 v[220:221], v[4:5], v[34:35], v[222:223]
	v_fma_f64 v[222:223], v[2:3], v[34:35], -v[36:37]
	ds_load_b128 v[2:5], v1 offset:1152
	scratch_load_b128 v[34:37], off, off offset:464
	v_fma_f64 v[216:217], v[40:41], v[158:159], v[216:217]
	v_add_f64 v[212:213], v[212:213], v[162:163]
	v_add_f64 v[164:165], v[214:215], v[164:165]
	ds_load_b128 v[160:163], v1 offset:1168
	v_fma_f64 v[158:159], v[38:39], v[158:159], -v[218:219]
	scratch_load_b128 v[38:41], off, off offset:480
	s_waitcnt vmcnt(9) lgkmcnt(1)
	v_mul_f64 v[214:215], v[2:3], v[44:45]
	v_mul_f64 v[44:45], v[4:5], v[44:45]
	s_waitcnt vmcnt(8) lgkmcnt(0)
	v_mul_f64 v[218:219], v[160:161], v[8:9]
	v_mul_f64 v[8:9], v[162:163], v[8:9]
	v_add_f64 v[212:213], v[212:213], v[222:223]
	v_add_f64 v[164:165], v[164:165], v[220:221]
	v_fma_f64 v[220:221], v[4:5], v[42:43], v[214:215]
	v_fma_f64 v[222:223], v[2:3], v[42:43], -v[44:45]
	ds_load_b128 v[2:5], v1 offset:1184
	scratch_load_b128 v[42:45], off, off offset:496
	v_fma_f64 v[162:163], v[162:163], v[6:7], v[218:219]
	v_fma_f64 v[160:161], v[160:161], v[6:7], -v[8:9]
	scratch_load_b128 v[6:9], off, off offset:512
	v_add_f64 v[158:159], v[212:213], v[158:159]
	v_add_f64 v[164:165], v[164:165], v[216:217]
	ds_load_b128 v[212:215], v1 offset:1200
	s_waitcnt vmcnt(9) lgkmcnt(1)
	v_mul_f64 v[216:217], v[2:3], v[12:13]
	v_mul_f64 v[12:13], v[4:5], v[12:13]
	s_waitcnt vmcnt(8) lgkmcnt(0)
	v_mul_f64 v[218:219], v[212:213], v[16:17]
	v_mul_f64 v[16:17], v[214:215], v[16:17]
	v_add_f64 v[158:159], v[158:159], v[222:223]
	v_add_f64 v[164:165], v[164:165], v[220:221]
	v_fma_f64 v[216:217], v[4:5], v[10:11], v[216:217]
	v_fma_f64 v[220:221], v[2:3], v[10:11], -v[12:13]
	ds_load_b128 v[2:5], v1 offset:1216
	scratch_load_b128 v[10:13], off, off offset:528
	v_fma_f64 v[214:215], v[214:215], v[14:15], v[218:219]
	v_fma_f64 v[212:213], v[212:213], v[14:15], -v[16:17]
	scratch_load_b128 v[14:17], off, off offset:544
	v_add_f64 v[222:223], v[158:159], v[160:161]
	v_add_f64 v[162:163], v[164:165], v[162:163]
	ds_load_b128 v[158:161], v1 offset:1232
	s_waitcnt vmcnt(9) lgkmcnt(1)
	v_mul_f64 v[164:165], v[2:3], v[20:21]
	v_mul_f64 v[20:21], v[4:5], v[20:21]
	v_add_f64 v[218:219], v[222:223], v[220:221]
	v_add_f64 v[162:163], v[162:163], v[216:217]
	s_waitcnt vmcnt(8) lgkmcnt(0)
	v_mul_f64 v[216:217], v[158:159], v[24:25]
	v_mul_f64 v[24:25], v[160:161], v[24:25]
	v_fma_f64 v[220:221], v[4:5], v[18:19], v[164:165]
	v_fma_f64 v[222:223], v[2:3], v[18:19], -v[20:21]
	ds_load_b128 v[2:5], v1 offset:1248
	scratch_load_b128 v[18:21], off, off offset:560
	v_add_f64 v[212:213], v[218:219], v[212:213]
	v_add_f64 v[214:215], v[162:163], v[214:215]
	ds_load_b128 v[162:165], v1 offset:1264
	s_waitcnt vmcnt(8) lgkmcnt(1)
	v_mul_f64 v[218:219], v[2:3], v[28:29]
	v_mul_f64 v[28:29], v[4:5], v[28:29]
	v_fma_f64 v[160:161], v[160:161], v[22:23], v[216:217]
	v_fma_f64 v[158:159], v[158:159], v[22:23], -v[24:25]
	scratch_load_b128 v[22:25], off, off offset:576
	s_waitcnt vmcnt(8) lgkmcnt(0)
	v_mul_f64 v[216:217], v[162:163], v[32:33]
	v_mul_f64 v[32:33], v[164:165], v[32:33]
	v_add_f64 v[212:213], v[212:213], v[222:223]
	v_add_f64 v[214:215], v[214:215], v[220:221]
	v_fma_f64 v[218:219], v[4:5], v[26:27], v[218:219]
	v_fma_f64 v[220:221], v[2:3], v[26:27], -v[28:29]
	ds_load_b128 v[2:5], v1 offset:1280
	scratch_load_b128 v[26:29], off, off offset:592
	v_fma_f64 v[164:165], v[164:165], v[30:31], v[216:217]
	v_fma_f64 v[162:163], v[162:163], v[30:31], -v[32:33]
	scratch_load_b128 v[30:33], off, off offset:608
	v_add_f64 v[212:213], v[212:213], v[158:159]
	v_add_f64 v[214:215], v[214:215], v[160:161]
	ds_load_b128 v[158:161], v1 offset:1296
	s_waitcnt vmcnt(9) lgkmcnt(1)
	v_mul_f64 v[222:223], v[2:3], v[36:37]
	v_mul_f64 v[36:37], v[4:5], v[36:37]
	s_waitcnt vmcnt(8) lgkmcnt(0)
	v_mul_f64 v[216:217], v[158:159], v[40:41]
	v_mul_f64 v[40:41], v[160:161], v[40:41]
	v_add_f64 v[212:213], v[212:213], v[220:221]
	v_add_f64 v[214:215], v[214:215], v[218:219]
	v_fma_f64 v[218:219], v[4:5], v[34:35], v[222:223]
	v_fma_f64 v[220:221], v[2:3], v[34:35], -v[36:37]
	ds_load_b128 v[2:5], v1 offset:1312
	scratch_load_b128 v[34:37], off, off offset:624
	v_fma_f64 v[160:161], v[160:161], v[38:39], v[216:217]
	v_fma_f64 v[158:159], v[158:159], v[38:39], -v[40:41]
	scratch_load_b128 v[38:41], off, off offset:640
	v_add_f64 v[212:213], v[212:213], v[162:163]
	v_add_f64 v[214:215], v[214:215], v[164:165]
	ds_load_b128 v[162:165], v1 offset:1328
	s_waitcnt vmcnt(9) lgkmcnt(1)
	v_mul_f64 v[222:223], v[2:3], v[44:45]
	v_mul_f64 v[44:45], v[4:5], v[44:45]
	s_waitcnt vmcnt(8) lgkmcnt(0)
	v_mul_f64 v[216:217], v[162:163], v[8:9]
	v_mul_f64 v[8:9], v[164:165], v[8:9]
	v_add_f64 v[212:213], v[212:213], v[220:221]
	v_add_f64 v[214:215], v[214:215], v[218:219]
	v_fma_f64 v[218:219], v[4:5], v[42:43], v[222:223]
	v_fma_f64 v[220:221], v[2:3], v[42:43], -v[44:45]
	ds_load_b128 v[2:5], v1 offset:1344
	scratch_load_b128 v[42:45], off, off offset:656
	v_fma_f64 v[164:165], v[164:165], v[6:7], v[216:217]
	v_fma_f64 v[162:163], v[162:163], v[6:7], -v[8:9]
	scratch_load_b128 v[6:9], off, off offset:672
	v_add_f64 v[212:213], v[212:213], v[158:159]
	v_add_f64 v[214:215], v[214:215], v[160:161]
	ds_load_b128 v[158:161], v1 offset:1360
	s_waitcnt vmcnt(9) lgkmcnt(1)
	v_mul_f64 v[222:223], v[2:3], v[12:13]
	v_mul_f64 v[12:13], v[4:5], v[12:13]
	s_waitcnt vmcnt(8) lgkmcnt(0)
	v_mul_f64 v[216:217], v[158:159], v[16:17]
	v_mul_f64 v[16:17], v[160:161], v[16:17]
	v_add_f64 v[212:213], v[212:213], v[220:221]
	v_add_f64 v[214:215], v[214:215], v[218:219]
	v_fma_f64 v[218:219], v[4:5], v[10:11], v[222:223]
	v_fma_f64 v[220:221], v[2:3], v[10:11], -v[12:13]
	ds_load_b128 v[2:5], v1 offset:1376
	scratch_load_b128 v[10:13], off, off offset:688
	v_fma_f64 v[160:161], v[160:161], v[14:15], v[216:217]
	v_fma_f64 v[158:159], v[158:159], v[14:15], -v[16:17]
	scratch_load_b128 v[14:17], off, off offset:704
	v_add_f64 v[212:213], v[212:213], v[162:163]
	v_add_f64 v[214:215], v[214:215], v[164:165]
	ds_load_b128 v[162:165], v1 offset:1392
	s_waitcnt vmcnt(9) lgkmcnt(1)
	v_mul_f64 v[222:223], v[2:3], v[20:21]
	v_mul_f64 v[20:21], v[4:5], v[20:21]
	s_waitcnt vmcnt(8) lgkmcnt(0)
	v_mul_f64 v[216:217], v[162:163], v[24:25]
	v_mul_f64 v[24:25], v[164:165], v[24:25]
	v_add_f64 v[212:213], v[212:213], v[220:221]
	v_add_f64 v[214:215], v[214:215], v[218:219]
	v_fma_f64 v[218:219], v[4:5], v[18:19], v[222:223]
	v_fma_f64 v[220:221], v[2:3], v[18:19], -v[20:21]
	ds_load_b128 v[2:5], v1 offset:1408
	scratch_load_b128 v[18:21], off, off offset:720
	v_fma_f64 v[164:165], v[164:165], v[22:23], v[216:217]
	v_fma_f64 v[162:163], v[162:163], v[22:23], -v[24:25]
	scratch_load_b128 v[22:25], off, off offset:736
	v_add_f64 v[212:213], v[212:213], v[158:159]
	v_add_f64 v[214:215], v[214:215], v[160:161]
	ds_load_b128 v[158:161], v1 offset:1424
	s_waitcnt vmcnt(9) lgkmcnt(1)
	v_mul_f64 v[222:223], v[2:3], v[28:29]
	v_mul_f64 v[28:29], v[4:5], v[28:29]
	s_waitcnt vmcnt(8) lgkmcnt(0)
	v_mul_f64 v[216:217], v[158:159], v[32:33]
	v_mul_f64 v[32:33], v[160:161], v[32:33]
	v_add_f64 v[212:213], v[212:213], v[220:221]
	v_add_f64 v[214:215], v[214:215], v[218:219]
	v_fma_f64 v[218:219], v[4:5], v[26:27], v[222:223]
	v_fma_f64 v[220:221], v[2:3], v[26:27], -v[28:29]
	ds_load_b128 v[2:5], v1 offset:1440
	scratch_load_b128 v[26:29], off, off offset:752
	v_fma_f64 v[160:161], v[160:161], v[30:31], v[216:217]
	v_fma_f64 v[158:159], v[158:159], v[30:31], -v[32:33]
	scratch_load_b128 v[30:33], off, off offset:768
	v_add_f64 v[212:213], v[212:213], v[162:163]
	v_add_f64 v[214:215], v[214:215], v[164:165]
	ds_load_b128 v[162:165], v1 offset:1456
	s_waitcnt vmcnt(9) lgkmcnt(1)
	v_mul_f64 v[222:223], v[2:3], v[36:37]
	v_mul_f64 v[36:37], v[4:5], v[36:37]
	s_waitcnt vmcnt(8) lgkmcnt(0)
	v_mul_f64 v[216:217], v[162:163], v[40:41]
	v_mul_f64 v[40:41], v[164:165], v[40:41]
	v_add_f64 v[212:213], v[212:213], v[220:221]
	v_add_f64 v[214:215], v[214:215], v[218:219]
	v_fma_f64 v[218:219], v[4:5], v[34:35], v[222:223]
	v_fma_f64 v[220:221], v[2:3], v[34:35], -v[36:37]
	ds_load_b128 v[2:5], v1 offset:1472
	scratch_load_b128 v[34:37], off, off offset:784
	v_fma_f64 v[164:165], v[164:165], v[38:39], v[216:217]
	v_fma_f64 v[162:163], v[162:163], v[38:39], -v[40:41]
	scratch_load_b128 v[38:41], off, off offset:800
	v_add_f64 v[212:213], v[212:213], v[158:159]
	v_add_f64 v[214:215], v[214:215], v[160:161]
	ds_load_b128 v[158:161], v1 offset:1488
	s_waitcnt vmcnt(9) lgkmcnt(1)
	v_mul_f64 v[222:223], v[2:3], v[44:45]
	v_mul_f64 v[44:45], v[4:5], v[44:45]
	s_waitcnt vmcnt(8) lgkmcnt(0)
	v_mul_f64 v[216:217], v[158:159], v[8:9]
	v_mul_f64 v[8:9], v[160:161], v[8:9]
	v_add_f64 v[212:213], v[212:213], v[220:221]
	v_add_f64 v[214:215], v[214:215], v[218:219]
	v_fma_f64 v[218:219], v[4:5], v[42:43], v[222:223]
	v_fma_f64 v[220:221], v[2:3], v[42:43], -v[44:45]
	ds_load_b128 v[2:5], v1 offset:1504
	ds_load_b128 v[42:45], v1 offset:1520
	v_fma_f64 v[160:161], v[160:161], v[6:7], v[216:217]
	v_fma_f64 v[6:7], v[158:159], v[6:7], -v[8:9]
	v_add_f64 v[162:163], v[212:213], v[162:163]
	v_add_f64 v[164:165], v[214:215], v[164:165]
	s_waitcnt vmcnt(7) lgkmcnt(1)
	v_mul_f64 v[212:213], v[2:3], v[12:13]
	v_mul_f64 v[12:13], v[4:5], v[12:13]
	s_delay_alu instid0(VALU_DEP_4) | instskip(NEXT) | instid1(VALU_DEP_4)
	v_add_f64 v[8:9], v[162:163], v[220:221]
	v_add_f64 v[158:159], v[164:165], v[218:219]
	s_waitcnt vmcnt(6) lgkmcnt(0)
	v_mul_f64 v[162:163], v[42:43], v[16:17]
	v_mul_f64 v[16:17], v[44:45], v[16:17]
	v_fma_f64 v[164:165], v[4:5], v[10:11], v[212:213]
	v_fma_f64 v[10:11], v[2:3], v[10:11], -v[12:13]
	v_add_f64 v[12:13], v[8:9], v[6:7]
	v_add_f64 v[158:159], v[158:159], v[160:161]
	ds_load_b128 v[2:5], v1 offset:1536
	ds_load_b128 v[6:9], v1 offset:1552
	v_fma_f64 v[44:45], v[44:45], v[14:15], v[162:163]
	v_fma_f64 v[14:15], v[42:43], v[14:15], -v[16:17]
	s_waitcnt vmcnt(5) lgkmcnt(1)
	v_mul_f64 v[160:161], v[2:3], v[20:21]
	v_mul_f64 v[20:21], v[4:5], v[20:21]
	s_waitcnt vmcnt(4) lgkmcnt(0)
	v_mul_f64 v[16:17], v[6:7], v[24:25]
	v_mul_f64 v[24:25], v[8:9], v[24:25]
	v_add_f64 v[10:11], v[12:13], v[10:11]
	v_add_f64 v[12:13], v[158:159], v[164:165]
	v_fma_f64 v[42:43], v[4:5], v[18:19], v[160:161]
	v_fma_f64 v[18:19], v[2:3], v[18:19], -v[20:21]
	v_fma_f64 v[8:9], v[8:9], v[22:23], v[16:17]
	v_fma_f64 v[6:7], v[6:7], v[22:23], -v[24:25]
	v_add_f64 v[14:15], v[10:11], v[14:15]
	v_add_f64 v[20:21], v[12:13], v[44:45]
	ds_load_b128 v[2:5], v1 offset:1568
	ds_load_b128 v[10:13], v1 offset:1584
	s_waitcnt vmcnt(3) lgkmcnt(1)
	v_mul_f64 v[44:45], v[2:3], v[28:29]
	v_mul_f64 v[28:29], v[4:5], v[28:29]
	v_add_f64 v[14:15], v[14:15], v[18:19]
	v_add_f64 v[16:17], v[20:21], v[42:43]
	s_waitcnt vmcnt(2) lgkmcnt(0)
	v_mul_f64 v[18:19], v[10:11], v[32:33]
	v_mul_f64 v[20:21], v[12:13], v[32:33]
	v_fma_f64 v[22:23], v[4:5], v[26:27], v[44:45]
	v_fma_f64 v[24:25], v[2:3], v[26:27], -v[28:29]
	v_add_f64 v[14:15], v[14:15], v[6:7]
	v_add_f64 v[16:17], v[16:17], v[8:9]
	ds_load_b128 v[2:5], v1 offset:1600
	ds_load_b128 v[6:9], v1 offset:1616
	v_fma_f64 v[12:13], v[12:13], v[30:31], v[18:19]
	v_fma_f64 v[10:11], v[10:11], v[30:31], -v[20:21]
	s_waitcnt vmcnt(1) lgkmcnt(1)
	v_mul_f64 v[26:27], v[2:3], v[36:37]
	v_mul_f64 v[28:29], v[4:5], v[36:37]
	s_waitcnt vmcnt(0) lgkmcnt(0)
	v_mul_f64 v[18:19], v[6:7], v[40:41]
	v_mul_f64 v[20:21], v[8:9], v[40:41]
	v_add_f64 v[14:15], v[14:15], v[24:25]
	v_add_f64 v[16:17], v[16:17], v[22:23]
	v_fma_f64 v[4:5], v[4:5], v[34:35], v[26:27]
	v_fma_f64 v[1:2], v[2:3], v[34:35], -v[28:29]
	v_fma_f64 v[8:9], v[8:9], v[38:39], v[18:19]
	v_fma_f64 v[6:7], v[6:7], v[38:39], -v[20:21]
	v_add_f64 v[10:11], v[14:15], v[10:11]
	v_add_f64 v[12:13], v[16:17], v[12:13]
	s_delay_alu instid0(VALU_DEP_2) | instskip(NEXT) | instid1(VALU_DEP_2)
	v_add_f64 v[1:2], v[10:11], v[1:2]
	v_add_f64 v[3:4], v[12:13], v[4:5]
	s_delay_alu instid0(VALU_DEP_2) | instskip(NEXT) | instid1(VALU_DEP_2)
	;; [unrolled: 3-line block ×3, first 2 shown]
	v_add_f64 v[1:2], v[154:155], -v[1:2]
	v_add_f64 v[3:4], v[156:157], -v[3:4]
	scratch_store_b128 off, v[1:4], off offset:160
	v_cmpx_lt_u32_e32 9, v148
	s_cbranch_execz .LBB50_301
; %bb.300:
	scratch_load_b128 v[1:4], v150, off
	v_mov_b32_e32 v5, 0
	s_delay_alu instid0(VALU_DEP_1)
	v_mov_b32_e32 v6, v5
	v_mov_b32_e32 v7, v5
	;; [unrolled: 1-line block ×3, first 2 shown]
	scratch_store_b128 off, v[5:8], off offset:144
	s_waitcnt vmcnt(0)
	ds_store_b128 v199, v[1:4]
.LBB50_301:
	s_or_b32 exec_lo, exec_lo, s2
	s_waitcnt lgkmcnt(0)
	s_waitcnt_vscnt null, 0x0
	s_barrier
	buffer_gl0_inv
	s_clause 0x7
	scratch_load_b128 v[2:5], off, off offset:160
	scratch_load_b128 v[6:9], off, off offset:176
	;; [unrolled: 1-line block ×8, first 2 shown]
	v_mov_b32_e32 v1, 0
	s_mov_b32 s2, exec_lo
	ds_load_b128 v[38:41], v1 offset:976
	s_clause 0x1
	scratch_load_b128 v[34:37], off, off offset:288
	scratch_load_b128 v[42:45], off, off offset:144
	ds_load_b128 v[154:157], v1 offset:992
	scratch_load_b128 v[158:161], off, off offset:304
	s_waitcnt vmcnt(10) lgkmcnt(1)
	v_mul_f64 v[162:163], v[40:41], v[4:5]
	v_mul_f64 v[4:5], v[38:39], v[4:5]
	s_delay_alu instid0(VALU_DEP_2) | instskip(NEXT) | instid1(VALU_DEP_2)
	v_fma_f64 v[214:215], v[38:39], v[2:3], -v[162:163]
	v_fma_f64 v[216:217], v[40:41], v[2:3], v[4:5]
	scratch_load_b128 v[38:41], off, off offset:320
	ds_load_b128 v[2:5], v1 offset:1008
	s_waitcnt vmcnt(10) lgkmcnt(1)
	v_mul_f64 v[212:213], v[154:155], v[8:9]
	v_mul_f64 v[8:9], v[156:157], v[8:9]
	ds_load_b128 v[162:165], v1 offset:1024
	s_waitcnt vmcnt(9) lgkmcnt(1)
	v_mul_f64 v[218:219], v[2:3], v[12:13]
	v_mul_f64 v[12:13], v[4:5], v[12:13]
	v_fma_f64 v[156:157], v[156:157], v[6:7], v[212:213]
	v_fma_f64 v[154:155], v[154:155], v[6:7], -v[8:9]
	v_add_f64 v[212:213], v[214:215], 0
	v_add_f64 v[214:215], v[216:217], 0
	scratch_load_b128 v[6:9], off, off offset:336
	v_fma_f64 v[218:219], v[4:5], v[10:11], v[218:219]
	v_fma_f64 v[220:221], v[2:3], v[10:11], -v[12:13]
	scratch_load_b128 v[10:13], off, off offset:352
	ds_load_b128 v[2:5], v1 offset:1040
	s_waitcnt vmcnt(10) lgkmcnt(1)
	v_mul_f64 v[216:217], v[162:163], v[16:17]
	v_mul_f64 v[16:17], v[164:165], v[16:17]
	v_add_f64 v[212:213], v[212:213], v[154:155]
	v_add_f64 v[214:215], v[214:215], v[156:157]
	s_waitcnt vmcnt(9) lgkmcnt(0)
	v_mul_f64 v[222:223], v[2:3], v[20:21]
	v_mul_f64 v[20:21], v[4:5], v[20:21]
	ds_load_b128 v[154:157], v1 offset:1056
	v_fma_f64 v[164:165], v[164:165], v[14:15], v[216:217]
	v_fma_f64 v[162:163], v[162:163], v[14:15], -v[16:17]
	scratch_load_b128 v[14:17], off, off offset:368
	v_add_f64 v[212:213], v[212:213], v[220:221]
	v_add_f64 v[214:215], v[214:215], v[218:219]
	v_fma_f64 v[218:219], v[4:5], v[18:19], v[222:223]
	v_fma_f64 v[220:221], v[2:3], v[18:19], -v[20:21]
	scratch_load_b128 v[18:21], off, off offset:384
	ds_load_b128 v[2:5], v1 offset:1072
	s_waitcnt vmcnt(10) lgkmcnt(1)
	v_mul_f64 v[216:217], v[154:155], v[24:25]
	v_mul_f64 v[24:25], v[156:157], v[24:25]
	s_waitcnt vmcnt(9) lgkmcnt(0)
	v_mul_f64 v[222:223], v[2:3], v[28:29]
	v_mul_f64 v[28:29], v[4:5], v[28:29]
	v_add_f64 v[212:213], v[212:213], v[162:163]
	v_add_f64 v[214:215], v[214:215], v[164:165]
	ds_load_b128 v[162:165], v1 offset:1088
	v_fma_f64 v[156:157], v[156:157], v[22:23], v[216:217]
	v_fma_f64 v[154:155], v[154:155], v[22:23], -v[24:25]
	scratch_load_b128 v[22:25], off, off offset:400
	v_add_f64 v[212:213], v[212:213], v[220:221]
	v_add_f64 v[214:215], v[214:215], v[218:219]
	v_fma_f64 v[218:219], v[4:5], v[26:27], v[222:223]
	v_fma_f64 v[220:221], v[2:3], v[26:27], -v[28:29]
	scratch_load_b128 v[26:29], off, off offset:416
	ds_load_b128 v[2:5], v1 offset:1104
	s_waitcnt vmcnt(10) lgkmcnt(1)
	v_mul_f64 v[216:217], v[162:163], v[32:33]
	v_mul_f64 v[32:33], v[164:165], v[32:33]
	s_waitcnt vmcnt(9) lgkmcnt(0)
	v_mul_f64 v[222:223], v[2:3], v[36:37]
	v_mul_f64 v[36:37], v[4:5], v[36:37]
	v_add_f64 v[212:213], v[212:213], v[154:155]
	v_add_f64 v[214:215], v[214:215], v[156:157]
	ds_load_b128 v[154:157], v1 offset:1120
	v_fma_f64 v[164:165], v[164:165], v[30:31], v[216:217]
	v_fma_f64 v[162:163], v[162:163], v[30:31], -v[32:33]
	scratch_load_b128 v[30:33], off, off offset:432
	v_add_f64 v[212:213], v[212:213], v[220:221]
	v_add_f64 v[214:215], v[214:215], v[218:219]
	v_fma_f64 v[220:221], v[4:5], v[34:35], v[222:223]
	v_fma_f64 v[222:223], v[2:3], v[34:35], -v[36:37]
	scratch_load_b128 v[34:37], off, off offset:448
	ds_load_b128 v[2:5], v1 offset:1136
	s_waitcnt vmcnt(9) lgkmcnt(1)
	v_mul_f64 v[216:217], v[154:155], v[160:161]
	v_mul_f64 v[218:219], v[156:157], v[160:161]
	v_add_f64 v[212:213], v[212:213], v[162:163]
	v_add_f64 v[164:165], v[214:215], v[164:165]
	ds_load_b128 v[160:163], v1 offset:1152
	v_fma_f64 v[216:217], v[156:157], v[158:159], v[216:217]
	v_fma_f64 v[158:159], v[154:155], v[158:159], -v[218:219]
	scratch_load_b128 v[154:157], off, off offset:464
	s_waitcnt vmcnt(9) lgkmcnt(1)
	v_mul_f64 v[214:215], v[2:3], v[40:41]
	v_mul_f64 v[40:41], v[4:5], v[40:41]
	v_add_f64 v[212:213], v[212:213], v[222:223]
	v_add_f64 v[164:165], v[164:165], v[220:221]
	s_delay_alu instid0(VALU_DEP_4) | instskip(NEXT) | instid1(VALU_DEP_4)
	v_fma_f64 v[220:221], v[4:5], v[38:39], v[214:215]
	v_fma_f64 v[222:223], v[2:3], v[38:39], -v[40:41]
	scratch_load_b128 v[38:41], off, off offset:480
	ds_load_b128 v[2:5], v1 offset:1168
	s_waitcnt vmcnt(9) lgkmcnt(1)
	v_mul_f64 v[218:219], v[160:161], v[8:9]
	v_mul_f64 v[8:9], v[162:163], v[8:9]
	v_add_f64 v[158:159], v[212:213], v[158:159]
	v_add_f64 v[164:165], v[164:165], v[216:217]
	s_waitcnt vmcnt(8) lgkmcnt(0)
	v_mul_f64 v[216:217], v[2:3], v[12:13]
	v_mul_f64 v[12:13], v[4:5], v[12:13]
	ds_load_b128 v[212:215], v1 offset:1184
	v_fma_f64 v[162:163], v[162:163], v[6:7], v[218:219]
	v_fma_f64 v[160:161], v[160:161], v[6:7], -v[8:9]
	scratch_load_b128 v[6:9], off, off offset:496
	v_add_f64 v[158:159], v[158:159], v[222:223]
	v_add_f64 v[164:165], v[164:165], v[220:221]
	v_fma_f64 v[216:217], v[4:5], v[10:11], v[216:217]
	v_fma_f64 v[220:221], v[2:3], v[10:11], -v[12:13]
	scratch_load_b128 v[10:13], off, off offset:512
	ds_load_b128 v[2:5], v1 offset:1200
	s_waitcnt vmcnt(9) lgkmcnt(1)
	v_mul_f64 v[218:219], v[212:213], v[16:17]
	v_mul_f64 v[16:17], v[214:215], v[16:17]
	v_add_f64 v[222:223], v[158:159], v[160:161]
	v_add_f64 v[162:163], v[164:165], v[162:163]
	s_waitcnt vmcnt(8) lgkmcnt(0)
	v_mul_f64 v[164:165], v[2:3], v[20:21]
	v_mul_f64 v[20:21], v[4:5], v[20:21]
	ds_load_b128 v[158:161], v1 offset:1216
	v_fma_f64 v[214:215], v[214:215], v[14:15], v[218:219]
	v_fma_f64 v[212:213], v[212:213], v[14:15], -v[16:17]
	scratch_load_b128 v[14:17], off, off offset:528
	v_add_f64 v[218:219], v[222:223], v[220:221]
	v_add_f64 v[162:163], v[162:163], v[216:217]
	;; [unrolled: 18-line block ×3, first 2 shown]
	v_fma_f64 v[218:219], v[4:5], v[26:27], v[218:219]
	v_fma_f64 v[220:221], v[2:3], v[26:27], -v[28:29]
	scratch_load_b128 v[26:29], off, off offset:576
	ds_load_b128 v[2:5], v1 offset:1264
	s_waitcnt vmcnt(9) lgkmcnt(1)
	v_mul_f64 v[216:217], v[162:163], v[32:33]
	v_mul_f64 v[32:33], v[164:165], v[32:33]
	s_waitcnt vmcnt(8) lgkmcnt(0)
	v_mul_f64 v[222:223], v[2:3], v[36:37]
	v_mul_f64 v[36:37], v[4:5], v[36:37]
	v_add_f64 v[212:213], v[212:213], v[158:159]
	v_add_f64 v[214:215], v[214:215], v[160:161]
	ds_load_b128 v[158:161], v1 offset:1280
	v_fma_f64 v[164:165], v[164:165], v[30:31], v[216:217]
	v_fma_f64 v[162:163], v[162:163], v[30:31], -v[32:33]
	scratch_load_b128 v[30:33], off, off offset:592
	v_add_f64 v[212:213], v[212:213], v[220:221]
	v_add_f64 v[214:215], v[214:215], v[218:219]
	v_fma_f64 v[218:219], v[4:5], v[34:35], v[222:223]
	v_fma_f64 v[220:221], v[2:3], v[34:35], -v[36:37]
	scratch_load_b128 v[34:37], off, off offset:608
	ds_load_b128 v[2:5], v1 offset:1296
	s_waitcnt vmcnt(9) lgkmcnt(1)
	v_mul_f64 v[216:217], v[158:159], v[156:157]
	v_mul_f64 v[156:157], v[160:161], v[156:157]
	s_waitcnt vmcnt(8) lgkmcnt(0)
	v_mul_f64 v[222:223], v[2:3], v[40:41]
	v_mul_f64 v[40:41], v[4:5], v[40:41]
	v_add_f64 v[212:213], v[212:213], v[162:163]
	v_add_f64 v[214:215], v[214:215], v[164:165]
	ds_load_b128 v[162:165], v1 offset:1312
	v_fma_f64 v[160:161], v[160:161], v[154:155], v[216:217]
	v_fma_f64 v[158:159], v[158:159], v[154:155], -v[156:157]
	scratch_load_b128 v[154:157], off, off offset:624
	v_add_f64 v[212:213], v[212:213], v[220:221]
	v_add_f64 v[214:215], v[214:215], v[218:219]
	v_fma_f64 v[218:219], v[4:5], v[38:39], v[222:223]
	v_fma_f64 v[220:221], v[2:3], v[38:39], -v[40:41]
	scratch_load_b128 v[38:41], off, off offset:640
	ds_load_b128 v[2:5], v1 offset:1328
	s_waitcnt vmcnt(9) lgkmcnt(1)
	v_mul_f64 v[216:217], v[162:163], v[8:9]
	v_mul_f64 v[8:9], v[164:165], v[8:9]
	s_waitcnt vmcnt(8) lgkmcnt(0)
	v_mul_f64 v[222:223], v[2:3], v[12:13]
	v_mul_f64 v[12:13], v[4:5], v[12:13]
	v_add_f64 v[212:213], v[212:213], v[158:159]
	v_add_f64 v[214:215], v[214:215], v[160:161]
	ds_load_b128 v[158:161], v1 offset:1344
	v_fma_f64 v[164:165], v[164:165], v[6:7], v[216:217]
	v_fma_f64 v[162:163], v[162:163], v[6:7], -v[8:9]
	scratch_load_b128 v[6:9], off, off offset:656
	v_add_f64 v[212:213], v[212:213], v[220:221]
	v_add_f64 v[214:215], v[214:215], v[218:219]
	v_fma_f64 v[218:219], v[4:5], v[10:11], v[222:223]
	v_fma_f64 v[220:221], v[2:3], v[10:11], -v[12:13]
	scratch_load_b128 v[10:13], off, off offset:672
	ds_load_b128 v[2:5], v1 offset:1360
	s_waitcnt vmcnt(9) lgkmcnt(1)
	v_mul_f64 v[216:217], v[158:159], v[16:17]
	v_mul_f64 v[16:17], v[160:161], v[16:17]
	s_waitcnt vmcnt(8) lgkmcnt(0)
	v_mul_f64 v[222:223], v[2:3], v[20:21]
	v_mul_f64 v[20:21], v[4:5], v[20:21]
	v_add_f64 v[212:213], v[212:213], v[162:163]
	v_add_f64 v[214:215], v[214:215], v[164:165]
	ds_load_b128 v[162:165], v1 offset:1376
	v_fma_f64 v[160:161], v[160:161], v[14:15], v[216:217]
	v_fma_f64 v[158:159], v[158:159], v[14:15], -v[16:17]
	scratch_load_b128 v[14:17], off, off offset:688
	v_add_f64 v[212:213], v[212:213], v[220:221]
	v_add_f64 v[214:215], v[214:215], v[218:219]
	v_fma_f64 v[218:219], v[4:5], v[18:19], v[222:223]
	v_fma_f64 v[220:221], v[2:3], v[18:19], -v[20:21]
	scratch_load_b128 v[18:21], off, off offset:704
	ds_load_b128 v[2:5], v1 offset:1392
	s_waitcnt vmcnt(9) lgkmcnt(1)
	v_mul_f64 v[216:217], v[162:163], v[24:25]
	v_mul_f64 v[24:25], v[164:165], v[24:25]
	s_waitcnt vmcnt(8) lgkmcnt(0)
	v_mul_f64 v[222:223], v[2:3], v[28:29]
	v_mul_f64 v[28:29], v[4:5], v[28:29]
	v_add_f64 v[212:213], v[212:213], v[158:159]
	v_add_f64 v[214:215], v[214:215], v[160:161]
	ds_load_b128 v[158:161], v1 offset:1408
	v_fma_f64 v[164:165], v[164:165], v[22:23], v[216:217]
	v_fma_f64 v[162:163], v[162:163], v[22:23], -v[24:25]
	scratch_load_b128 v[22:25], off, off offset:720
	v_add_f64 v[212:213], v[212:213], v[220:221]
	v_add_f64 v[214:215], v[214:215], v[218:219]
	v_fma_f64 v[218:219], v[4:5], v[26:27], v[222:223]
	v_fma_f64 v[220:221], v[2:3], v[26:27], -v[28:29]
	scratch_load_b128 v[26:29], off, off offset:736
	ds_load_b128 v[2:5], v1 offset:1424
	s_waitcnt vmcnt(9) lgkmcnt(1)
	v_mul_f64 v[216:217], v[158:159], v[32:33]
	v_mul_f64 v[32:33], v[160:161], v[32:33]
	s_waitcnt vmcnt(8) lgkmcnt(0)
	v_mul_f64 v[222:223], v[2:3], v[36:37]
	v_mul_f64 v[36:37], v[4:5], v[36:37]
	v_add_f64 v[212:213], v[212:213], v[162:163]
	v_add_f64 v[214:215], v[214:215], v[164:165]
	ds_load_b128 v[162:165], v1 offset:1440
	v_fma_f64 v[160:161], v[160:161], v[30:31], v[216:217]
	v_fma_f64 v[158:159], v[158:159], v[30:31], -v[32:33]
	scratch_load_b128 v[30:33], off, off offset:752
	v_add_f64 v[212:213], v[212:213], v[220:221]
	v_add_f64 v[214:215], v[214:215], v[218:219]
	v_fma_f64 v[220:221], v[4:5], v[34:35], v[222:223]
	v_fma_f64 v[222:223], v[2:3], v[34:35], -v[36:37]
	scratch_load_b128 v[34:37], off, off offset:768
	ds_load_b128 v[2:5], v1 offset:1456
	s_waitcnt vmcnt(9) lgkmcnt(1)
	v_mul_f64 v[216:217], v[162:163], v[156:157]
	v_mul_f64 v[218:219], v[164:165], v[156:157]
	v_add_f64 v[212:213], v[212:213], v[158:159]
	v_add_f64 v[160:161], v[214:215], v[160:161]
	s_waitcnt vmcnt(8) lgkmcnt(0)
	v_mul_f64 v[214:215], v[2:3], v[40:41]
	v_mul_f64 v[40:41], v[4:5], v[40:41]
	ds_load_b128 v[156:159], v1 offset:1472
	v_fma_f64 v[164:165], v[164:165], v[154:155], v[216:217]
	v_fma_f64 v[154:155], v[162:163], v[154:155], -v[218:219]
	v_add_f64 v[212:213], v[212:213], v[222:223]
	v_add_f64 v[216:217], v[160:161], v[220:221]
	scratch_load_b128 v[160:163], off, off offset:784
	v_fma_f64 v[220:221], v[4:5], v[38:39], v[214:215]
	v_fma_f64 v[222:223], v[2:3], v[38:39], -v[40:41]
	scratch_load_b128 v[38:41], off, off offset:800
	ds_load_b128 v[2:5], v1 offset:1488
	s_waitcnt vmcnt(9) lgkmcnt(1)
	v_mul_f64 v[218:219], v[156:157], v[8:9]
	v_mul_f64 v[8:9], v[158:159], v[8:9]
	v_add_f64 v[154:155], v[212:213], v[154:155]
	v_add_f64 v[164:165], v[216:217], v[164:165]
	s_waitcnt vmcnt(8) lgkmcnt(0)
	v_mul_f64 v[216:217], v[2:3], v[12:13]
	v_mul_f64 v[12:13], v[4:5], v[12:13]
	ds_load_b128 v[212:215], v1 offset:1504
	v_fma_f64 v[158:159], v[158:159], v[6:7], v[218:219]
	v_fma_f64 v[6:7], v[156:157], v[6:7], -v[8:9]
	s_waitcnt vmcnt(7) lgkmcnt(0)
	v_mul_f64 v[156:157], v[212:213], v[16:17]
	v_mul_f64 v[16:17], v[214:215], v[16:17]
	v_add_f64 v[8:9], v[154:155], v[222:223]
	v_add_f64 v[154:155], v[164:165], v[220:221]
	v_fma_f64 v[164:165], v[4:5], v[10:11], v[216:217]
	v_fma_f64 v[10:11], v[2:3], v[10:11], -v[12:13]
	v_fma_f64 v[156:157], v[214:215], v[14:15], v[156:157]
	v_fma_f64 v[14:15], v[212:213], v[14:15], -v[16:17]
	v_add_f64 v[12:13], v[8:9], v[6:7]
	v_add_f64 v[154:155], v[154:155], v[158:159]
	ds_load_b128 v[2:5], v1 offset:1520
	ds_load_b128 v[6:9], v1 offset:1536
	s_waitcnt vmcnt(6) lgkmcnt(1)
	v_mul_f64 v[158:159], v[2:3], v[20:21]
	v_mul_f64 v[20:21], v[4:5], v[20:21]
	s_waitcnt vmcnt(5) lgkmcnt(0)
	v_mul_f64 v[16:17], v[6:7], v[24:25]
	v_mul_f64 v[24:25], v[8:9], v[24:25]
	v_add_f64 v[10:11], v[12:13], v[10:11]
	v_add_f64 v[12:13], v[154:155], v[164:165]
	v_fma_f64 v[154:155], v[4:5], v[18:19], v[158:159]
	v_fma_f64 v[18:19], v[2:3], v[18:19], -v[20:21]
	v_fma_f64 v[8:9], v[8:9], v[22:23], v[16:17]
	v_fma_f64 v[6:7], v[6:7], v[22:23], -v[24:25]
	v_add_f64 v[14:15], v[10:11], v[14:15]
	v_add_f64 v[20:21], v[12:13], v[156:157]
	ds_load_b128 v[2:5], v1 offset:1552
	ds_load_b128 v[10:13], v1 offset:1568
	s_waitcnt vmcnt(4) lgkmcnt(1)
	v_mul_f64 v[156:157], v[2:3], v[28:29]
	v_mul_f64 v[28:29], v[4:5], v[28:29]
	v_add_f64 v[14:15], v[14:15], v[18:19]
	v_add_f64 v[16:17], v[20:21], v[154:155]
	s_waitcnt vmcnt(3) lgkmcnt(0)
	v_mul_f64 v[18:19], v[10:11], v[32:33]
	v_mul_f64 v[20:21], v[12:13], v[32:33]
	v_fma_f64 v[22:23], v[4:5], v[26:27], v[156:157]
	v_fma_f64 v[24:25], v[2:3], v[26:27], -v[28:29]
	v_add_f64 v[14:15], v[14:15], v[6:7]
	v_add_f64 v[16:17], v[16:17], v[8:9]
	ds_load_b128 v[2:5], v1 offset:1584
	ds_load_b128 v[6:9], v1 offset:1600
	v_fma_f64 v[12:13], v[12:13], v[30:31], v[18:19]
	v_fma_f64 v[10:11], v[10:11], v[30:31], -v[20:21]
	s_waitcnt vmcnt(2) lgkmcnt(1)
	v_mul_f64 v[26:27], v[2:3], v[36:37]
	v_mul_f64 v[28:29], v[4:5], v[36:37]
	v_add_f64 v[14:15], v[14:15], v[24:25]
	v_add_f64 v[16:17], v[16:17], v[22:23]
	s_waitcnt vmcnt(1) lgkmcnt(0)
	v_mul_f64 v[18:19], v[6:7], v[162:163]
	v_mul_f64 v[20:21], v[8:9], v[162:163]
	v_fma_f64 v[22:23], v[4:5], v[34:35], v[26:27]
	v_fma_f64 v[24:25], v[2:3], v[34:35], -v[28:29]
	ds_load_b128 v[2:5], v1 offset:1616
	v_add_f64 v[10:11], v[14:15], v[10:11]
	v_add_f64 v[12:13], v[16:17], v[12:13]
	s_waitcnt vmcnt(0) lgkmcnt(0)
	v_mul_f64 v[14:15], v[2:3], v[40:41]
	v_mul_f64 v[16:17], v[4:5], v[40:41]
	v_fma_f64 v[8:9], v[8:9], v[160:161], v[18:19]
	v_fma_f64 v[6:7], v[6:7], v[160:161], -v[20:21]
	v_add_f64 v[10:11], v[10:11], v[24:25]
	v_add_f64 v[12:13], v[12:13], v[22:23]
	v_fma_f64 v[4:5], v[4:5], v[38:39], v[14:15]
	v_fma_f64 v[2:3], v[2:3], v[38:39], -v[16:17]
	s_delay_alu instid0(VALU_DEP_4) | instskip(NEXT) | instid1(VALU_DEP_4)
	v_add_f64 v[6:7], v[10:11], v[6:7]
	v_add_f64 v[8:9], v[12:13], v[8:9]
	s_delay_alu instid0(VALU_DEP_2) | instskip(NEXT) | instid1(VALU_DEP_2)
	v_add_f64 v[2:3], v[6:7], v[2:3]
	v_add_f64 v[4:5], v[8:9], v[4:5]
	s_delay_alu instid0(VALU_DEP_2) | instskip(NEXT) | instid1(VALU_DEP_2)
	v_add_f64 v[2:3], v[42:43], -v[2:3]
	v_add_f64 v[4:5], v[44:45], -v[4:5]
	scratch_store_b128 off, v[2:5], off offset:144
	v_cmpx_lt_u32_e32 8, v148
	s_cbranch_execz .LBB50_303
; %bb.302:
	scratch_load_b128 v[5:8], v151, off
	v_mov_b32_e32 v2, v1
	v_mov_b32_e32 v3, v1
	;; [unrolled: 1-line block ×3, first 2 shown]
	scratch_store_b128 off, v[1:4], off offset:128
	s_waitcnt vmcnt(0)
	ds_store_b128 v199, v[5:8]
.LBB50_303:
	s_or_b32 exec_lo, exec_lo, s2
	s_waitcnt lgkmcnt(0)
	s_waitcnt_vscnt null, 0x0
	s_barrier
	buffer_gl0_inv
	s_clause 0x8
	scratch_load_b128 v[2:5], off, off offset:144
	scratch_load_b128 v[6:9], off, off offset:160
	;; [unrolled: 1-line block ×9, first 2 shown]
	ds_load_b128 v[42:45], v1 offset:960
	ds_load_b128 v[38:41], v1 offset:976
	s_clause 0x1
	scratch_load_b128 v[154:157], off, off offset:128
	scratch_load_b128 v[158:161], off, off offset:288
	s_mov_b32 s2, exec_lo
	s_waitcnt vmcnt(10) lgkmcnt(1)
	v_mul_f64 v[162:163], v[44:45], v[4:5]
	v_mul_f64 v[4:5], v[42:43], v[4:5]
	s_waitcnt vmcnt(9) lgkmcnt(0)
	v_mul_f64 v[212:213], v[38:39], v[8:9]
	v_mul_f64 v[8:9], v[40:41], v[8:9]
	s_delay_alu instid0(VALU_DEP_4) | instskip(NEXT) | instid1(VALU_DEP_4)
	v_fma_f64 v[214:215], v[42:43], v[2:3], -v[162:163]
	v_fma_f64 v[216:217], v[44:45], v[2:3], v[4:5]
	ds_load_b128 v[2:5], v1 offset:992
	ds_load_b128 v[162:165], v1 offset:1008
	scratch_load_b128 v[42:45], off, off offset:304
	v_fma_f64 v[40:41], v[40:41], v[6:7], v[212:213]
	v_fma_f64 v[38:39], v[38:39], v[6:7], -v[8:9]
	scratch_load_b128 v[6:9], off, off offset:320
	s_waitcnt vmcnt(10) lgkmcnt(1)
	v_mul_f64 v[218:219], v[2:3], v[12:13]
	v_mul_f64 v[12:13], v[4:5], v[12:13]
	v_add_f64 v[212:213], v[214:215], 0
	v_add_f64 v[214:215], v[216:217], 0
	s_waitcnt vmcnt(9) lgkmcnt(0)
	v_mul_f64 v[216:217], v[162:163], v[16:17]
	v_mul_f64 v[16:17], v[164:165], v[16:17]
	v_fma_f64 v[218:219], v[4:5], v[10:11], v[218:219]
	v_fma_f64 v[220:221], v[2:3], v[10:11], -v[12:13]
	ds_load_b128 v[2:5], v1 offset:1024
	scratch_load_b128 v[10:13], off, off offset:336
	v_add_f64 v[212:213], v[212:213], v[38:39]
	v_add_f64 v[214:215], v[214:215], v[40:41]
	ds_load_b128 v[38:41], v1 offset:1040
	v_fma_f64 v[164:165], v[164:165], v[14:15], v[216:217]
	v_fma_f64 v[162:163], v[162:163], v[14:15], -v[16:17]
	scratch_load_b128 v[14:17], off, off offset:352
	s_waitcnt vmcnt(10) lgkmcnt(1)
	v_mul_f64 v[222:223], v[2:3], v[20:21]
	v_mul_f64 v[20:21], v[4:5], v[20:21]
	s_waitcnt vmcnt(9) lgkmcnt(0)
	v_mul_f64 v[216:217], v[38:39], v[24:25]
	v_mul_f64 v[24:25], v[40:41], v[24:25]
	v_add_f64 v[212:213], v[212:213], v[220:221]
	v_add_f64 v[214:215], v[214:215], v[218:219]
	v_fma_f64 v[218:219], v[4:5], v[18:19], v[222:223]
	v_fma_f64 v[220:221], v[2:3], v[18:19], -v[20:21]
	ds_load_b128 v[2:5], v1 offset:1056
	scratch_load_b128 v[18:21], off, off offset:368
	v_fma_f64 v[40:41], v[40:41], v[22:23], v[216:217]
	v_fma_f64 v[38:39], v[38:39], v[22:23], -v[24:25]
	scratch_load_b128 v[22:25], off, off offset:384
	v_add_f64 v[212:213], v[212:213], v[162:163]
	v_add_f64 v[214:215], v[214:215], v[164:165]
	ds_load_b128 v[162:165], v1 offset:1072
	s_waitcnt vmcnt(10) lgkmcnt(1)
	v_mul_f64 v[222:223], v[2:3], v[28:29]
	v_mul_f64 v[28:29], v[4:5], v[28:29]
	s_waitcnt vmcnt(9) lgkmcnt(0)
	v_mul_f64 v[216:217], v[162:163], v[32:33]
	v_mul_f64 v[32:33], v[164:165], v[32:33]
	v_add_f64 v[212:213], v[212:213], v[220:221]
	v_add_f64 v[214:215], v[214:215], v[218:219]
	v_fma_f64 v[218:219], v[4:5], v[26:27], v[222:223]
	v_fma_f64 v[220:221], v[2:3], v[26:27], -v[28:29]
	ds_load_b128 v[2:5], v1 offset:1088
	scratch_load_b128 v[26:29], off, off offset:400
	v_fma_f64 v[164:165], v[164:165], v[30:31], v[216:217]
	v_fma_f64 v[162:163], v[162:163], v[30:31], -v[32:33]
	scratch_load_b128 v[30:33], off, off offset:416
	v_add_f64 v[212:213], v[212:213], v[38:39]
	v_add_f64 v[214:215], v[214:215], v[40:41]
	ds_load_b128 v[38:41], v1 offset:1104
	s_waitcnt vmcnt(10) lgkmcnt(1)
	v_mul_f64 v[222:223], v[2:3], v[36:37]
	v_mul_f64 v[36:37], v[4:5], v[36:37]
	s_waitcnt vmcnt(8) lgkmcnt(0)
	v_mul_f64 v[216:217], v[38:39], v[160:161]
	v_add_f64 v[212:213], v[212:213], v[220:221]
	v_add_f64 v[214:215], v[214:215], v[218:219]
	v_mul_f64 v[218:219], v[40:41], v[160:161]
	v_fma_f64 v[220:221], v[4:5], v[34:35], v[222:223]
	v_fma_f64 v[222:223], v[2:3], v[34:35], -v[36:37]
	ds_load_b128 v[2:5], v1 offset:1120
	scratch_load_b128 v[34:37], off, off offset:432
	v_fma_f64 v[216:217], v[40:41], v[158:159], v[216:217]
	v_add_f64 v[212:213], v[212:213], v[162:163]
	v_add_f64 v[164:165], v[214:215], v[164:165]
	ds_load_b128 v[160:163], v1 offset:1136
	v_fma_f64 v[158:159], v[38:39], v[158:159], -v[218:219]
	scratch_load_b128 v[38:41], off, off offset:448
	s_waitcnt vmcnt(9) lgkmcnt(1)
	v_mul_f64 v[214:215], v[2:3], v[44:45]
	v_mul_f64 v[44:45], v[4:5], v[44:45]
	s_waitcnt vmcnt(8) lgkmcnt(0)
	v_mul_f64 v[218:219], v[160:161], v[8:9]
	v_mul_f64 v[8:9], v[162:163], v[8:9]
	v_add_f64 v[212:213], v[212:213], v[222:223]
	v_add_f64 v[164:165], v[164:165], v[220:221]
	v_fma_f64 v[220:221], v[4:5], v[42:43], v[214:215]
	v_fma_f64 v[222:223], v[2:3], v[42:43], -v[44:45]
	ds_load_b128 v[2:5], v1 offset:1152
	scratch_load_b128 v[42:45], off, off offset:464
	v_fma_f64 v[162:163], v[162:163], v[6:7], v[218:219]
	v_fma_f64 v[160:161], v[160:161], v[6:7], -v[8:9]
	scratch_load_b128 v[6:9], off, off offset:480
	v_add_f64 v[158:159], v[212:213], v[158:159]
	v_add_f64 v[164:165], v[164:165], v[216:217]
	ds_load_b128 v[212:215], v1 offset:1168
	s_waitcnt vmcnt(9) lgkmcnt(1)
	v_mul_f64 v[216:217], v[2:3], v[12:13]
	v_mul_f64 v[12:13], v[4:5], v[12:13]
	s_waitcnt vmcnt(8) lgkmcnt(0)
	v_mul_f64 v[218:219], v[212:213], v[16:17]
	v_mul_f64 v[16:17], v[214:215], v[16:17]
	v_add_f64 v[158:159], v[158:159], v[222:223]
	v_add_f64 v[164:165], v[164:165], v[220:221]
	v_fma_f64 v[216:217], v[4:5], v[10:11], v[216:217]
	v_fma_f64 v[220:221], v[2:3], v[10:11], -v[12:13]
	ds_load_b128 v[2:5], v1 offset:1184
	scratch_load_b128 v[10:13], off, off offset:496
	v_fma_f64 v[214:215], v[214:215], v[14:15], v[218:219]
	v_fma_f64 v[212:213], v[212:213], v[14:15], -v[16:17]
	scratch_load_b128 v[14:17], off, off offset:512
	v_add_f64 v[222:223], v[158:159], v[160:161]
	v_add_f64 v[162:163], v[164:165], v[162:163]
	ds_load_b128 v[158:161], v1 offset:1200
	s_waitcnt vmcnt(9) lgkmcnt(1)
	v_mul_f64 v[164:165], v[2:3], v[20:21]
	v_mul_f64 v[20:21], v[4:5], v[20:21]
	v_add_f64 v[218:219], v[222:223], v[220:221]
	v_add_f64 v[162:163], v[162:163], v[216:217]
	s_waitcnt vmcnt(8) lgkmcnt(0)
	v_mul_f64 v[216:217], v[158:159], v[24:25]
	v_mul_f64 v[24:25], v[160:161], v[24:25]
	v_fma_f64 v[220:221], v[4:5], v[18:19], v[164:165]
	v_fma_f64 v[222:223], v[2:3], v[18:19], -v[20:21]
	ds_load_b128 v[2:5], v1 offset:1216
	scratch_load_b128 v[18:21], off, off offset:528
	v_add_f64 v[212:213], v[218:219], v[212:213]
	v_add_f64 v[214:215], v[162:163], v[214:215]
	ds_load_b128 v[162:165], v1 offset:1232
	s_waitcnt vmcnt(8) lgkmcnt(1)
	v_mul_f64 v[218:219], v[2:3], v[28:29]
	v_mul_f64 v[28:29], v[4:5], v[28:29]
	v_fma_f64 v[160:161], v[160:161], v[22:23], v[216:217]
	v_fma_f64 v[158:159], v[158:159], v[22:23], -v[24:25]
	scratch_load_b128 v[22:25], off, off offset:544
	s_waitcnt vmcnt(8) lgkmcnt(0)
	v_mul_f64 v[216:217], v[162:163], v[32:33]
	v_mul_f64 v[32:33], v[164:165], v[32:33]
	v_add_f64 v[212:213], v[212:213], v[222:223]
	v_add_f64 v[214:215], v[214:215], v[220:221]
	v_fma_f64 v[218:219], v[4:5], v[26:27], v[218:219]
	v_fma_f64 v[220:221], v[2:3], v[26:27], -v[28:29]
	ds_load_b128 v[2:5], v1 offset:1248
	scratch_load_b128 v[26:29], off, off offset:560
	v_fma_f64 v[164:165], v[164:165], v[30:31], v[216:217]
	v_fma_f64 v[162:163], v[162:163], v[30:31], -v[32:33]
	scratch_load_b128 v[30:33], off, off offset:576
	v_add_f64 v[212:213], v[212:213], v[158:159]
	v_add_f64 v[214:215], v[214:215], v[160:161]
	ds_load_b128 v[158:161], v1 offset:1264
	s_waitcnt vmcnt(9) lgkmcnt(1)
	v_mul_f64 v[222:223], v[2:3], v[36:37]
	v_mul_f64 v[36:37], v[4:5], v[36:37]
	s_waitcnt vmcnt(8) lgkmcnt(0)
	v_mul_f64 v[216:217], v[158:159], v[40:41]
	v_mul_f64 v[40:41], v[160:161], v[40:41]
	v_add_f64 v[212:213], v[212:213], v[220:221]
	v_add_f64 v[214:215], v[214:215], v[218:219]
	v_fma_f64 v[218:219], v[4:5], v[34:35], v[222:223]
	v_fma_f64 v[220:221], v[2:3], v[34:35], -v[36:37]
	ds_load_b128 v[2:5], v1 offset:1280
	scratch_load_b128 v[34:37], off, off offset:592
	v_fma_f64 v[160:161], v[160:161], v[38:39], v[216:217]
	v_fma_f64 v[158:159], v[158:159], v[38:39], -v[40:41]
	scratch_load_b128 v[38:41], off, off offset:608
	v_add_f64 v[212:213], v[212:213], v[162:163]
	v_add_f64 v[214:215], v[214:215], v[164:165]
	ds_load_b128 v[162:165], v1 offset:1296
	s_waitcnt vmcnt(9) lgkmcnt(1)
	v_mul_f64 v[222:223], v[2:3], v[44:45]
	v_mul_f64 v[44:45], v[4:5], v[44:45]
	;; [unrolled: 18-line block ×8, first 2 shown]
	s_waitcnt vmcnt(8) lgkmcnt(0)
	v_mul_f64 v[216:217], v[162:163], v[16:17]
	v_mul_f64 v[16:17], v[164:165], v[16:17]
	v_add_f64 v[212:213], v[212:213], v[220:221]
	v_add_f64 v[214:215], v[214:215], v[218:219]
	v_fma_f64 v[218:219], v[4:5], v[10:11], v[222:223]
	v_fma_f64 v[220:221], v[2:3], v[10:11], -v[12:13]
	ds_load_b128 v[2:5], v1 offset:1504
	ds_load_b128 v[10:13], v1 offset:1520
	v_fma_f64 v[164:165], v[164:165], v[14:15], v[216:217]
	v_fma_f64 v[14:15], v[162:163], v[14:15], -v[16:17]
	v_add_f64 v[158:159], v[212:213], v[158:159]
	v_add_f64 v[160:161], v[214:215], v[160:161]
	s_waitcnt vmcnt(7) lgkmcnt(1)
	v_mul_f64 v[212:213], v[2:3], v[20:21]
	v_mul_f64 v[20:21], v[4:5], v[20:21]
	s_delay_alu instid0(VALU_DEP_4) | instskip(NEXT) | instid1(VALU_DEP_4)
	v_add_f64 v[16:17], v[158:159], v[220:221]
	v_add_f64 v[158:159], v[160:161], v[218:219]
	s_waitcnt vmcnt(6) lgkmcnt(0)
	v_mul_f64 v[160:161], v[10:11], v[24:25]
	v_mul_f64 v[24:25], v[12:13], v[24:25]
	v_fma_f64 v[162:163], v[4:5], v[18:19], v[212:213]
	v_fma_f64 v[18:19], v[2:3], v[18:19], -v[20:21]
	v_add_f64 v[20:21], v[16:17], v[14:15]
	v_add_f64 v[158:159], v[158:159], v[164:165]
	ds_load_b128 v[2:5], v1 offset:1536
	ds_load_b128 v[14:17], v1 offset:1552
	v_fma_f64 v[12:13], v[12:13], v[22:23], v[160:161]
	v_fma_f64 v[10:11], v[10:11], v[22:23], -v[24:25]
	s_waitcnt vmcnt(5) lgkmcnt(1)
	v_mul_f64 v[164:165], v[2:3], v[28:29]
	v_mul_f64 v[28:29], v[4:5], v[28:29]
	s_waitcnt vmcnt(4) lgkmcnt(0)
	v_mul_f64 v[22:23], v[14:15], v[32:33]
	v_mul_f64 v[24:25], v[16:17], v[32:33]
	v_add_f64 v[18:19], v[20:21], v[18:19]
	v_add_f64 v[20:21], v[158:159], v[162:163]
	v_fma_f64 v[32:33], v[4:5], v[26:27], v[164:165]
	v_fma_f64 v[26:27], v[2:3], v[26:27], -v[28:29]
	v_fma_f64 v[16:17], v[16:17], v[30:31], v[22:23]
	v_fma_f64 v[14:15], v[14:15], v[30:31], -v[24:25]
	v_add_f64 v[18:19], v[18:19], v[10:11]
	v_add_f64 v[20:21], v[20:21], v[12:13]
	ds_load_b128 v[2:5], v1 offset:1568
	ds_load_b128 v[10:13], v1 offset:1584
	s_waitcnt vmcnt(3) lgkmcnt(1)
	v_mul_f64 v[28:29], v[2:3], v[36:37]
	v_mul_f64 v[36:37], v[4:5], v[36:37]
	s_waitcnt vmcnt(2) lgkmcnt(0)
	v_mul_f64 v[22:23], v[10:11], v[40:41]
	v_mul_f64 v[24:25], v[12:13], v[40:41]
	v_add_f64 v[18:19], v[18:19], v[26:27]
	v_add_f64 v[20:21], v[20:21], v[32:33]
	v_fma_f64 v[26:27], v[4:5], v[34:35], v[28:29]
	v_fma_f64 v[28:29], v[2:3], v[34:35], -v[36:37]
	v_fma_f64 v[12:13], v[12:13], v[38:39], v[22:23]
	v_fma_f64 v[10:11], v[10:11], v[38:39], -v[24:25]
	v_add_f64 v[18:19], v[18:19], v[14:15]
	v_add_f64 v[20:21], v[20:21], v[16:17]
	ds_load_b128 v[2:5], v1 offset:1600
	ds_load_b128 v[14:17], v1 offset:1616
	s_waitcnt vmcnt(1) lgkmcnt(1)
	v_mul_f64 v[30:31], v[2:3], v[44:45]
	v_mul_f64 v[32:33], v[4:5], v[44:45]
	s_waitcnt vmcnt(0) lgkmcnt(0)
	v_mul_f64 v[22:23], v[14:15], v[8:9]
	v_mul_f64 v[8:9], v[16:17], v[8:9]
	v_add_f64 v[18:19], v[18:19], v[28:29]
	v_add_f64 v[20:21], v[20:21], v[26:27]
	v_fma_f64 v[4:5], v[4:5], v[42:43], v[30:31]
	v_fma_f64 v[1:2], v[2:3], v[42:43], -v[32:33]
	v_fma_f64 v[16:17], v[16:17], v[6:7], v[22:23]
	v_fma_f64 v[6:7], v[14:15], v[6:7], -v[8:9]
	v_add_f64 v[10:11], v[18:19], v[10:11]
	v_add_f64 v[12:13], v[20:21], v[12:13]
	s_delay_alu instid0(VALU_DEP_2) | instskip(NEXT) | instid1(VALU_DEP_2)
	v_add_f64 v[1:2], v[10:11], v[1:2]
	v_add_f64 v[3:4], v[12:13], v[4:5]
	s_delay_alu instid0(VALU_DEP_2) | instskip(NEXT) | instid1(VALU_DEP_2)
	;; [unrolled: 3-line block ×3, first 2 shown]
	v_add_f64 v[1:2], v[154:155], -v[1:2]
	v_add_f64 v[3:4], v[156:157], -v[3:4]
	scratch_store_b128 off, v[1:4], off offset:128
	v_cmpx_lt_u32_e32 7, v148
	s_cbranch_execz .LBB50_305
; %bb.304:
	scratch_load_b128 v[1:4], v153, off
	v_mov_b32_e32 v5, 0
	s_delay_alu instid0(VALU_DEP_1)
	v_mov_b32_e32 v6, v5
	v_mov_b32_e32 v7, v5
	;; [unrolled: 1-line block ×3, first 2 shown]
	scratch_store_b128 off, v[5:8], off offset:112
	s_waitcnt vmcnt(0)
	ds_store_b128 v199, v[1:4]
.LBB50_305:
	s_or_b32 exec_lo, exec_lo, s2
	s_waitcnt lgkmcnt(0)
	s_waitcnt_vscnt null, 0x0
	s_barrier
	buffer_gl0_inv
	s_clause 0x7
	scratch_load_b128 v[2:5], off, off offset:128
	scratch_load_b128 v[6:9], off, off offset:144
	;; [unrolled: 1-line block ×8, first 2 shown]
	v_mov_b32_e32 v1, 0
	s_mov_b32 s2, exec_lo
	ds_load_b128 v[38:41], v1 offset:944
	s_clause 0x1
	scratch_load_b128 v[34:37], off, off offset:256
	scratch_load_b128 v[42:45], off, off offset:112
	ds_load_b128 v[154:157], v1 offset:960
	scratch_load_b128 v[158:161], off, off offset:272
	s_waitcnt vmcnt(10) lgkmcnt(1)
	v_mul_f64 v[162:163], v[40:41], v[4:5]
	v_mul_f64 v[4:5], v[38:39], v[4:5]
	s_delay_alu instid0(VALU_DEP_2) | instskip(NEXT) | instid1(VALU_DEP_2)
	v_fma_f64 v[214:215], v[38:39], v[2:3], -v[162:163]
	v_fma_f64 v[216:217], v[40:41], v[2:3], v[4:5]
	scratch_load_b128 v[38:41], off, off offset:288
	ds_load_b128 v[2:5], v1 offset:976
	s_waitcnt vmcnt(10) lgkmcnt(1)
	v_mul_f64 v[212:213], v[154:155], v[8:9]
	v_mul_f64 v[8:9], v[156:157], v[8:9]
	ds_load_b128 v[162:165], v1 offset:992
	s_waitcnt vmcnt(9) lgkmcnt(1)
	v_mul_f64 v[218:219], v[2:3], v[12:13]
	v_mul_f64 v[12:13], v[4:5], v[12:13]
	v_fma_f64 v[156:157], v[156:157], v[6:7], v[212:213]
	v_fma_f64 v[154:155], v[154:155], v[6:7], -v[8:9]
	v_add_f64 v[212:213], v[214:215], 0
	v_add_f64 v[214:215], v[216:217], 0
	scratch_load_b128 v[6:9], off, off offset:304
	v_fma_f64 v[218:219], v[4:5], v[10:11], v[218:219]
	v_fma_f64 v[220:221], v[2:3], v[10:11], -v[12:13]
	scratch_load_b128 v[10:13], off, off offset:320
	ds_load_b128 v[2:5], v1 offset:1008
	s_waitcnt vmcnt(10) lgkmcnt(1)
	v_mul_f64 v[216:217], v[162:163], v[16:17]
	v_mul_f64 v[16:17], v[164:165], v[16:17]
	v_add_f64 v[212:213], v[212:213], v[154:155]
	v_add_f64 v[214:215], v[214:215], v[156:157]
	s_waitcnt vmcnt(9) lgkmcnt(0)
	v_mul_f64 v[222:223], v[2:3], v[20:21]
	v_mul_f64 v[20:21], v[4:5], v[20:21]
	ds_load_b128 v[154:157], v1 offset:1024
	v_fma_f64 v[164:165], v[164:165], v[14:15], v[216:217]
	v_fma_f64 v[162:163], v[162:163], v[14:15], -v[16:17]
	scratch_load_b128 v[14:17], off, off offset:336
	v_add_f64 v[212:213], v[212:213], v[220:221]
	v_add_f64 v[214:215], v[214:215], v[218:219]
	v_fma_f64 v[218:219], v[4:5], v[18:19], v[222:223]
	v_fma_f64 v[220:221], v[2:3], v[18:19], -v[20:21]
	scratch_load_b128 v[18:21], off, off offset:352
	ds_load_b128 v[2:5], v1 offset:1040
	s_waitcnt vmcnt(10) lgkmcnt(1)
	v_mul_f64 v[216:217], v[154:155], v[24:25]
	v_mul_f64 v[24:25], v[156:157], v[24:25]
	s_waitcnt vmcnt(9) lgkmcnt(0)
	v_mul_f64 v[222:223], v[2:3], v[28:29]
	v_mul_f64 v[28:29], v[4:5], v[28:29]
	v_add_f64 v[212:213], v[212:213], v[162:163]
	v_add_f64 v[214:215], v[214:215], v[164:165]
	ds_load_b128 v[162:165], v1 offset:1056
	v_fma_f64 v[156:157], v[156:157], v[22:23], v[216:217]
	v_fma_f64 v[154:155], v[154:155], v[22:23], -v[24:25]
	scratch_load_b128 v[22:25], off, off offset:368
	v_add_f64 v[212:213], v[212:213], v[220:221]
	v_add_f64 v[214:215], v[214:215], v[218:219]
	v_fma_f64 v[218:219], v[4:5], v[26:27], v[222:223]
	v_fma_f64 v[220:221], v[2:3], v[26:27], -v[28:29]
	scratch_load_b128 v[26:29], off, off offset:384
	ds_load_b128 v[2:5], v1 offset:1072
	s_waitcnt vmcnt(10) lgkmcnt(1)
	v_mul_f64 v[216:217], v[162:163], v[32:33]
	v_mul_f64 v[32:33], v[164:165], v[32:33]
	s_waitcnt vmcnt(9) lgkmcnt(0)
	v_mul_f64 v[222:223], v[2:3], v[36:37]
	v_mul_f64 v[36:37], v[4:5], v[36:37]
	v_add_f64 v[212:213], v[212:213], v[154:155]
	v_add_f64 v[214:215], v[214:215], v[156:157]
	ds_load_b128 v[154:157], v1 offset:1088
	v_fma_f64 v[164:165], v[164:165], v[30:31], v[216:217]
	v_fma_f64 v[162:163], v[162:163], v[30:31], -v[32:33]
	scratch_load_b128 v[30:33], off, off offset:400
	v_add_f64 v[212:213], v[212:213], v[220:221]
	v_add_f64 v[214:215], v[214:215], v[218:219]
	v_fma_f64 v[220:221], v[4:5], v[34:35], v[222:223]
	v_fma_f64 v[222:223], v[2:3], v[34:35], -v[36:37]
	scratch_load_b128 v[34:37], off, off offset:416
	ds_load_b128 v[2:5], v1 offset:1104
	s_waitcnt vmcnt(9) lgkmcnt(1)
	v_mul_f64 v[216:217], v[154:155], v[160:161]
	v_mul_f64 v[218:219], v[156:157], v[160:161]
	v_add_f64 v[212:213], v[212:213], v[162:163]
	v_add_f64 v[164:165], v[214:215], v[164:165]
	ds_load_b128 v[160:163], v1 offset:1120
	v_fma_f64 v[216:217], v[156:157], v[158:159], v[216:217]
	v_fma_f64 v[158:159], v[154:155], v[158:159], -v[218:219]
	scratch_load_b128 v[154:157], off, off offset:432
	s_waitcnt vmcnt(9) lgkmcnt(1)
	v_mul_f64 v[214:215], v[2:3], v[40:41]
	v_mul_f64 v[40:41], v[4:5], v[40:41]
	v_add_f64 v[212:213], v[212:213], v[222:223]
	v_add_f64 v[164:165], v[164:165], v[220:221]
	s_delay_alu instid0(VALU_DEP_4) | instskip(NEXT) | instid1(VALU_DEP_4)
	v_fma_f64 v[220:221], v[4:5], v[38:39], v[214:215]
	v_fma_f64 v[222:223], v[2:3], v[38:39], -v[40:41]
	scratch_load_b128 v[38:41], off, off offset:448
	ds_load_b128 v[2:5], v1 offset:1136
	s_waitcnt vmcnt(9) lgkmcnt(1)
	v_mul_f64 v[218:219], v[160:161], v[8:9]
	v_mul_f64 v[8:9], v[162:163], v[8:9]
	v_add_f64 v[158:159], v[212:213], v[158:159]
	v_add_f64 v[164:165], v[164:165], v[216:217]
	s_waitcnt vmcnt(8) lgkmcnt(0)
	v_mul_f64 v[216:217], v[2:3], v[12:13]
	v_mul_f64 v[12:13], v[4:5], v[12:13]
	ds_load_b128 v[212:215], v1 offset:1152
	v_fma_f64 v[162:163], v[162:163], v[6:7], v[218:219]
	v_fma_f64 v[160:161], v[160:161], v[6:7], -v[8:9]
	scratch_load_b128 v[6:9], off, off offset:464
	v_add_f64 v[158:159], v[158:159], v[222:223]
	v_add_f64 v[164:165], v[164:165], v[220:221]
	v_fma_f64 v[216:217], v[4:5], v[10:11], v[216:217]
	v_fma_f64 v[220:221], v[2:3], v[10:11], -v[12:13]
	scratch_load_b128 v[10:13], off, off offset:480
	ds_load_b128 v[2:5], v1 offset:1168
	s_waitcnt vmcnt(9) lgkmcnt(1)
	v_mul_f64 v[218:219], v[212:213], v[16:17]
	v_mul_f64 v[16:17], v[214:215], v[16:17]
	v_add_f64 v[222:223], v[158:159], v[160:161]
	v_add_f64 v[162:163], v[164:165], v[162:163]
	s_waitcnt vmcnt(8) lgkmcnt(0)
	v_mul_f64 v[164:165], v[2:3], v[20:21]
	v_mul_f64 v[20:21], v[4:5], v[20:21]
	ds_load_b128 v[158:161], v1 offset:1184
	v_fma_f64 v[214:215], v[214:215], v[14:15], v[218:219]
	v_fma_f64 v[212:213], v[212:213], v[14:15], -v[16:17]
	scratch_load_b128 v[14:17], off, off offset:496
	v_add_f64 v[218:219], v[222:223], v[220:221]
	v_add_f64 v[162:163], v[162:163], v[216:217]
	;; [unrolled: 18-line block ×3, first 2 shown]
	v_fma_f64 v[218:219], v[4:5], v[26:27], v[218:219]
	v_fma_f64 v[220:221], v[2:3], v[26:27], -v[28:29]
	scratch_load_b128 v[26:29], off, off offset:544
	ds_load_b128 v[2:5], v1 offset:1232
	s_waitcnt vmcnt(9) lgkmcnt(1)
	v_mul_f64 v[216:217], v[162:163], v[32:33]
	v_mul_f64 v[32:33], v[164:165], v[32:33]
	s_waitcnt vmcnt(8) lgkmcnt(0)
	v_mul_f64 v[222:223], v[2:3], v[36:37]
	v_mul_f64 v[36:37], v[4:5], v[36:37]
	v_add_f64 v[212:213], v[212:213], v[158:159]
	v_add_f64 v[214:215], v[214:215], v[160:161]
	ds_load_b128 v[158:161], v1 offset:1248
	v_fma_f64 v[164:165], v[164:165], v[30:31], v[216:217]
	v_fma_f64 v[162:163], v[162:163], v[30:31], -v[32:33]
	scratch_load_b128 v[30:33], off, off offset:560
	v_add_f64 v[212:213], v[212:213], v[220:221]
	v_add_f64 v[214:215], v[214:215], v[218:219]
	v_fma_f64 v[218:219], v[4:5], v[34:35], v[222:223]
	v_fma_f64 v[220:221], v[2:3], v[34:35], -v[36:37]
	scratch_load_b128 v[34:37], off, off offset:576
	ds_load_b128 v[2:5], v1 offset:1264
	s_waitcnt vmcnt(9) lgkmcnt(1)
	v_mul_f64 v[216:217], v[158:159], v[156:157]
	v_mul_f64 v[156:157], v[160:161], v[156:157]
	s_waitcnt vmcnt(8) lgkmcnt(0)
	v_mul_f64 v[222:223], v[2:3], v[40:41]
	v_mul_f64 v[40:41], v[4:5], v[40:41]
	v_add_f64 v[212:213], v[212:213], v[162:163]
	v_add_f64 v[214:215], v[214:215], v[164:165]
	ds_load_b128 v[162:165], v1 offset:1280
	v_fma_f64 v[160:161], v[160:161], v[154:155], v[216:217]
	v_fma_f64 v[158:159], v[158:159], v[154:155], -v[156:157]
	scratch_load_b128 v[154:157], off, off offset:592
	v_add_f64 v[212:213], v[212:213], v[220:221]
	v_add_f64 v[214:215], v[214:215], v[218:219]
	;; [unrolled: 18-line block ×6, first 2 shown]
	v_fma_f64 v[220:221], v[4:5], v[34:35], v[222:223]
	v_fma_f64 v[222:223], v[2:3], v[34:35], -v[36:37]
	scratch_load_b128 v[34:37], off, off offset:736
	ds_load_b128 v[2:5], v1 offset:1424
	s_waitcnt vmcnt(9) lgkmcnt(1)
	v_mul_f64 v[216:217], v[162:163], v[156:157]
	v_mul_f64 v[218:219], v[164:165], v[156:157]
	v_add_f64 v[212:213], v[212:213], v[158:159]
	v_add_f64 v[160:161], v[214:215], v[160:161]
	s_waitcnt vmcnt(8) lgkmcnt(0)
	v_mul_f64 v[214:215], v[2:3], v[40:41]
	v_mul_f64 v[40:41], v[4:5], v[40:41]
	ds_load_b128 v[156:159], v1 offset:1440
	v_fma_f64 v[164:165], v[164:165], v[154:155], v[216:217]
	v_fma_f64 v[154:155], v[162:163], v[154:155], -v[218:219]
	v_add_f64 v[212:213], v[212:213], v[222:223]
	v_add_f64 v[216:217], v[160:161], v[220:221]
	scratch_load_b128 v[160:163], off, off offset:752
	v_fma_f64 v[220:221], v[4:5], v[38:39], v[214:215]
	v_fma_f64 v[222:223], v[2:3], v[38:39], -v[40:41]
	scratch_load_b128 v[38:41], off, off offset:768
	ds_load_b128 v[2:5], v1 offset:1456
	s_waitcnt vmcnt(9) lgkmcnt(1)
	v_mul_f64 v[218:219], v[156:157], v[8:9]
	v_mul_f64 v[8:9], v[158:159], v[8:9]
	v_add_f64 v[154:155], v[212:213], v[154:155]
	v_add_f64 v[164:165], v[216:217], v[164:165]
	s_waitcnt vmcnt(8) lgkmcnt(0)
	v_mul_f64 v[216:217], v[2:3], v[12:13]
	v_mul_f64 v[12:13], v[4:5], v[12:13]
	ds_load_b128 v[212:215], v1 offset:1472
	v_fma_f64 v[158:159], v[158:159], v[6:7], v[218:219]
	v_fma_f64 v[156:157], v[156:157], v[6:7], -v[8:9]
	scratch_load_b128 v[6:9], off, off offset:784
	v_add_f64 v[154:155], v[154:155], v[222:223]
	v_add_f64 v[164:165], v[164:165], v[220:221]
	v_fma_f64 v[216:217], v[4:5], v[10:11], v[216:217]
	v_fma_f64 v[220:221], v[2:3], v[10:11], -v[12:13]
	scratch_load_b128 v[10:13], off, off offset:800
	ds_load_b128 v[2:5], v1 offset:1488
	s_waitcnt vmcnt(9) lgkmcnt(1)
	v_mul_f64 v[218:219], v[212:213], v[16:17]
	v_mul_f64 v[16:17], v[214:215], v[16:17]
	v_add_f64 v[222:223], v[154:155], v[156:157]
	v_add_f64 v[158:159], v[164:165], v[158:159]
	s_waitcnt vmcnt(8) lgkmcnt(0)
	v_mul_f64 v[164:165], v[2:3], v[20:21]
	v_mul_f64 v[20:21], v[4:5], v[20:21]
	ds_load_b128 v[154:157], v1 offset:1504
	v_fma_f64 v[214:215], v[214:215], v[14:15], v[218:219]
	v_fma_f64 v[14:15], v[212:213], v[14:15], -v[16:17]
	s_waitcnt vmcnt(7) lgkmcnt(0)
	v_mul_f64 v[212:213], v[154:155], v[24:25]
	v_mul_f64 v[24:25], v[156:157], v[24:25]
	v_add_f64 v[16:17], v[222:223], v[220:221]
	v_add_f64 v[158:159], v[158:159], v[216:217]
	v_fma_f64 v[164:165], v[4:5], v[18:19], v[164:165]
	v_fma_f64 v[18:19], v[2:3], v[18:19], -v[20:21]
	v_fma_f64 v[156:157], v[156:157], v[22:23], v[212:213]
	v_fma_f64 v[22:23], v[154:155], v[22:23], -v[24:25]
	v_add_f64 v[20:21], v[16:17], v[14:15]
	v_add_f64 v[158:159], v[158:159], v[214:215]
	ds_load_b128 v[2:5], v1 offset:1520
	ds_load_b128 v[14:17], v1 offset:1536
	s_waitcnt vmcnt(6) lgkmcnt(1)
	v_mul_f64 v[214:215], v[2:3], v[28:29]
	v_mul_f64 v[28:29], v[4:5], v[28:29]
	s_waitcnt vmcnt(5) lgkmcnt(0)
	v_mul_f64 v[24:25], v[14:15], v[32:33]
	v_mul_f64 v[32:33], v[16:17], v[32:33]
	v_add_f64 v[18:19], v[20:21], v[18:19]
	v_add_f64 v[20:21], v[158:159], v[164:165]
	v_fma_f64 v[154:155], v[4:5], v[26:27], v[214:215]
	v_fma_f64 v[26:27], v[2:3], v[26:27], -v[28:29]
	v_fma_f64 v[16:17], v[16:17], v[30:31], v[24:25]
	v_fma_f64 v[14:15], v[14:15], v[30:31], -v[32:33]
	v_add_f64 v[22:23], v[18:19], v[22:23]
	v_add_f64 v[28:29], v[20:21], v[156:157]
	ds_load_b128 v[2:5], v1 offset:1552
	ds_load_b128 v[18:21], v1 offset:1568
	s_waitcnt vmcnt(4) lgkmcnt(1)
	v_mul_f64 v[156:157], v[2:3], v[36:37]
	v_mul_f64 v[36:37], v[4:5], v[36:37]
	v_add_f64 v[22:23], v[22:23], v[26:27]
	v_add_f64 v[24:25], v[28:29], v[154:155]
	s_waitcnt vmcnt(3) lgkmcnt(0)
	v_mul_f64 v[26:27], v[18:19], v[162:163]
	v_mul_f64 v[28:29], v[20:21], v[162:163]
	v_fma_f64 v[30:31], v[4:5], v[34:35], v[156:157]
	v_fma_f64 v[32:33], v[2:3], v[34:35], -v[36:37]
	v_add_f64 v[22:23], v[22:23], v[14:15]
	v_add_f64 v[24:25], v[24:25], v[16:17]
	ds_load_b128 v[2:5], v1 offset:1584
	ds_load_b128 v[14:17], v1 offset:1600
	v_fma_f64 v[20:21], v[20:21], v[160:161], v[26:27]
	v_fma_f64 v[18:19], v[18:19], v[160:161], -v[28:29]
	s_waitcnt vmcnt(2) lgkmcnt(1)
	v_mul_f64 v[34:35], v[2:3], v[40:41]
	v_mul_f64 v[36:37], v[4:5], v[40:41]
	s_waitcnt vmcnt(1) lgkmcnt(0)
	v_mul_f64 v[26:27], v[14:15], v[8:9]
	v_mul_f64 v[8:9], v[16:17], v[8:9]
	v_add_f64 v[22:23], v[22:23], v[32:33]
	v_add_f64 v[24:25], v[24:25], v[30:31]
	v_fma_f64 v[28:29], v[4:5], v[38:39], v[34:35]
	v_fma_f64 v[30:31], v[2:3], v[38:39], -v[36:37]
	ds_load_b128 v[2:5], v1 offset:1616
	v_fma_f64 v[16:17], v[16:17], v[6:7], v[26:27]
	v_fma_f64 v[6:7], v[14:15], v[6:7], -v[8:9]
	v_add_f64 v[18:19], v[22:23], v[18:19]
	v_add_f64 v[20:21], v[24:25], v[20:21]
	s_waitcnt vmcnt(0) lgkmcnt(0)
	v_mul_f64 v[22:23], v[2:3], v[12:13]
	v_mul_f64 v[12:13], v[4:5], v[12:13]
	s_delay_alu instid0(VALU_DEP_4) | instskip(NEXT) | instid1(VALU_DEP_4)
	v_add_f64 v[8:9], v[18:19], v[30:31]
	v_add_f64 v[14:15], v[20:21], v[28:29]
	s_delay_alu instid0(VALU_DEP_4) | instskip(NEXT) | instid1(VALU_DEP_4)
	v_fma_f64 v[4:5], v[4:5], v[10:11], v[22:23]
	v_fma_f64 v[2:3], v[2:3], v[10:11], -v[12:13]
	s_delay_alu instid0(VALU_DEP_4) | instskip(NEXT) | instid1(VALU_DEP_4)
	v_add_f64 v[6:7], v[8:9], v[6:7]
	v_add_f64 v[8:9], v[14:15], v[16:17]
	s_delay_alu instid0(VALU_DEP_2) | instskip(NEXT) | instid1(VALU_DEP_2)
	v_add_f64 v[2:3], v[6:7], v[2:3]
	v_add_f64 v[4:5], v[8:9], v[4:5]
	s_delay_alu instid0(VALU_DEP_2) | instskip(NEXT) | instid1(VALU_DEP_2)
	v_add_f64 v[2:3], v[42:43], -v[2:3]
	v_add_f64 v[4:5], v[44:45], -v[4:5]
	scratch_store_b128 off, v[2:5], off offset:112
	v_cmpx_lt_u32_e32 6, v148
	s_cbranch_execz .LBB50_307
; %bb.306:
	scratch_load_b128 v[5:8], v193, off
	v_mov_b32_e32 v2, v1
	v_mov_b32_e32 v3, v1
	;; [unrolled: 1-line block ×3, first 2 shown]
	scratch_store_b128 off, v[1:4], off offset:96
	s_waitcnt vmcnt(0)
	ds_store_b128 v199, v[5:8]
.LBB50_307:
	s_or_b32 exec_lo, exec_lo, s2
	s_waitcnt lgkmcnt(0)
	s_waitcnt_vscnt null, 0x0
	s_barrier
	buffer_gl0_inv
	s_clause 0x8
	scratch_load_b128 v[2:5], off, off offset:112
	scratch_load_b128 v[6:9], off, off offset:128
	;; [unrolled: 1-line block ×9, first 2 shown]
	ds_load_b128 v[42:45], v1 offset:928
	ds_load_b128 v[38:41], v1 offset:944
	s_clause 0x1
	scratch_load_b128 v[154:157], off, off offset:96
	scratch_load_b128 v[158:161], off, off offset:256
	s_mov_b32 s2, exec_lo
	s_waitcnt vmcnt(10) lgkmcnt(1)
	v_mul_f64 v[162:163], v[44:45], v[4:5]
	v_mul_f64 v[4:5], v[42:43], v[4:5]
	s_waitcnt vmcnt(9) lgkmcnt(0)
	v_mul_f64 v[212:213], v[38:39], v[8:9]
	v_mul_f64 v[8:9], v[40:41], v[8:9]
	s_delay_alu instid0(VALU_DEP_4) | instskip(NEXT) | instid1(VALU_DEP_4)
	v_fma_f64 v[214:215], v[42:43], v[2:3], -v[162:163]
	v_fma_f64 v[216:217], v[44:45], v[2:3], v[4:5]
	ds_load_b128 v[2:5], v1 offset:960
	ds_load_b128 v[162:165], v1 offset:976
	scratch_load_b128 v[42:45], off, off offset:272
	v_fma_f64 v[40:41], v[40:41], v[6:7], v[212:213]
	v_fma_f64 v[38:39], v[38:39], v[6:7], -v[8:9]
	scratch_load_b128 v[6:9], off, off offset:288
	s_waitcnt vmcnt(10) lgkmcnt(1)
	v_mul_f64 v[218:219], v[2:3], v[12:13]
	v_mul_f64 v[12:13], v[4:5], v[12:13]
	v_add_f64 v[212:213], v[214:215], 0
	v_add_f64 v[214:215], v[216:217], 0
	s_waitcnt vmcnt(9) lgkmcnt(0)
	v_mul_f64 v[216:217], v[162:163], v[16:17]
	v_mul_f64 v[16:17], v[164:165], v[16:17]
	v_fma_f64 v[218:219], v[4:5], v[10:11], v[218:219]
	v_fma_f64 v[220:221], v[2:3], v[10:11], -v[12:13]
	ds_load_b128 v[2:5], v1 offset:992
	scratch_load_b128 v[10:13], off, off offset:304
	v_add_f64 v[212:213], v[212:213], v[38:39]
	v_add_f64 v[214:215], v[214:215], v[40:41]
	ds_load_b128 v[38:41], v1 offset:1008
	v_fma_f64 v[164:165], v[164:165], v[14:15], v[216:217]
	v_fma_f64 v[162:163], v[162:163], v[14:15], -v[16:17]
	scratch_load_b128 v[14:17], off, off offset:320
	s_waitcnt vmcnt(10) lgkmcnt(1)
	v_mul_f64 v[222:223], v[2:3], v[20:21]
	v_mul_f64 v[20:21], v[4:5], v[20:21]
	s_waitcnt vmcnt(9) lgkmcnt(0)
	v_mul_f64 v[216:217], v[38:39], v[24:25]
	v_mul_f64 v[24:25], v[40:41], v[24:25]
	v_add_f64 v[212:213], v[212:213], v[220:221]
	v_add_f64 v[214:215], v[214:215], v[218:219]
	v_fma_f64 v[218:219], v[4:5], v[18:19], v[222:223]
	v_fma_f64 v[220:221], v[2:3], v[18:19], -v[20:21]
	ds_load_b128 v[2:5], v1 offset:1024
	scratch_load_b128 v[18:21], off, off offset:336
	v_fma_f64 v[40:41], v[40:41], v[22:23], v[216:217]
	v_fma_f64 v[38:39], v[38:39], v[22:23], -v[24:25]
	scratch_load_b128 v[22:25], off, off offset:352
	v_add_f64 v[212:213], v[212:213], v[162:163]
	v_add_f64 v[214:215], v[214:215], v[164:165]
	ds_load_b128 v[162:165], v1 offset:1040
	s_waitcnt vmcnt(10) lgkmcnt(1)
	v_mul_f64 v[222:223], v[2:3], v[28:29]
	v_mul_f64 v[28:29], v[4:5], v[28:29]
	s_waitcnt vmcnt(9) lgkmcnt(0)
	v_mul_f64 v[216:217], v[162:163], v[32:33]
	v_mul_f64 v[32:33], v[164:165], v[32:33]
	v_add_f64 v[212:213], v[212:213], v[220:221]
	v_add_f64 v[214:215], v[214:215], v[218:219]
	v_fma_f64 v[218:219], v[4:5], v[26:27], v[222:223]
	v_fma_f64 v[220:221], v[2:3], v[26:27], -v[28:29]
	ds_load_b128 v[2:5], v1 offset:1056
	scratch_load_b128 v[26:29], off, off offset:368
	v_fma_f64 v[164:165], v[164:165], v[30:31], v[216:217]
	v_fma_f64 v[162:163], v[162:163], v[30:31], -v[32:33]
	scratch_load_b128 v[30:33], off, off offset:384
	v_add_f64 v[212:213], v[212:213], v[38:39]
	v_add_f64 v[214:215], v[214:215], v[40:41]
	ds_load_b128 v[38:41], v1 offset:1072
	s_waitcnt vmcnt(10) lgkmcnt(1)
	v_mul_f64 v[222:223], v[2:3], v[36:37]
	v_mul_f64 v[36:37], v[4:5], v[36:37]
	s_waitcnt vmcnt(8) lgkmcnt(0)
	v_mul_f64 v[216:217], v[38:39], v[160:161]
	v_add_f64 v[212:213], v[212:213], v[220:221]
	v_add_f64 v[214:215], v[214:215], v[218:219]
	v_mul_f64 v[218:219], v[40:41], v[160:161]
	v_fma_f64 v[220:221], v[4:5], v[34:35], v[222:223]
	v_fma_f64 v[222:223], v[2:3], v[34:35], -v[36:37]
	ds_load_b128 v[2:5], v1 offset:1088
	scratch_load_b128 v[34:37], off, off offset:400
	v_fma_f64 v[216:217], v[40:41], v[158:159], v[216:217]
	v_add_f64 v[212:213], v[212:213], v[162:163]
	v_add_f64 v[164:165], v[214:215], v[164:165]
	ds_load_b128 v[160:163], v1 offset:1104
	v_fma_f64 v[158:159], v[38:39], v[158:159], -v[218:219]
	scratch_load_b128 v[38:41], off, off offset:416
	s_waitcnt vmcnt(9) lgkmcnt(1)
	v_mul_f64 v[214:215], v[2:3], v[44:45]
	v_mul_f64 v[44:45], v[4:5], v[44:45]
	s_waitcnt vmcnt(8) lgkmcnt(0)
	v_mul_f64 v[218:219], v[160:161], v[8:9]
	v_mul_f64 v[8:9], v[162:163], v[8:9]
	v_add_f64 v[212:213], v[212:213], v[222:223]
	v_add_f64 v[164:165], v[164:165], v[220:221]
	v_fma_f64 v[220:221], v[4:5], v[42:43], v[214:215]
	v_fma_f64 v[222:223], v[2:3], v[42:43], -v[44:45]
	ds_load_b128 v[2:5], v1 offset:1120
	scratch_load_b128 v[42:45], off, off offset:432
	v_fma_f64 v[162:163], v[162:163], v[6:7], v[218:219]
	v_fma_f64 v[160:161], v[160:161], v[6:7], -v[8:9]
	scratch_load_b128 v[6:9], off, off offset:448
	v_add_f64 v[158:159], v[212:213], v[158:159]
	v_add_f64 v[164:165], v[164:165], v[216:217]
	ds_load_b128 v[212:215], v1 offset:1136
	s_waitcnt vmcnt(9) lgkmcnt(1)
	v_mul_f64 v[216:217], v[2:3], v[12:13]
	v_mul_f64 v[12:13], v[4:5], v[12:13]
	s_waitcnt vmcnt(8) lgkmcnt(0)
	v_mul_f64 v[218:219], v[212:213], v[16:17]
	v_mul_f64 v[16:17], v[214:215], v[16:17]
	v_add_f64 v[158:159], v[158:159], v[222:223]
	v_add_f64 v[164:165], v[164:165], v[220:221]
	v_fma_f64 v[216:217], v[4:5], v[10:11], v[216:217]
	v_fma_f64 v[220:221], v[2:3], v[10:11], -v[12:13]
	ds_load_b128 v[2:5], v1 offset:1152
	scratch_load_b128 v[10:13], off, off offset:464
	v_fma_f64 v[214:215], v[214:215], v[14:15], v[218:219]
	v_fma_f64 v[212:213], v[212:213], v[14:15], -v[16:17]
	scratch_load_b128 v[14:17], off, off offset:480
	v_add_f64 v[222:223], v[158:159], v[160:161]
	v_add_f64 v[162:163], v[164:165], v[162:163]
	ds_load_b128 v[158:161], v1 offset:1168
	s_waitcnt vmcnt(9) lgkmcnt(1)
	v_mul_f64 v[164:165], v[2:3], v[20:21]
	v_mul_f64 v[20:21], v[4:5], v[20:21]
	v_add_f64 v[218:219], v[222:223], v[220:221]
	v_add_f64 v[162:163], v[162:163], v[216:217]
	s_waitcnt vmcnt(8) lgkmcnt(0)
	v_mul_f64 v[216:217], v[158:159], v[24:25]
	v_mul_f64 v[24:25], v[160:161], v[24:25]
	v_fma_f64 v[220:221], v[4:5], v[18:19], v[164:165]
	v_fma_f64 v[222:223], v[2:3], v[18:19], -v[20:21]
	ds_load_b128 v[2:5], v1 offset:1184
	scratch_load_b128 v[18:21], off, off offset:496
	v_add_f64 v[212:213], v[218:219], v[212:213]
	v_add_f64 v[214:215], v[162:163], v[214:215]
	ds_load_b128 v[162:165], v1 offset:1200
	s_waitcnt vmcnt(8) lgkmcnt(1)
	v_mul_f64 v[218:219], v[2:3], v[28:29]
	v_mul_f64 v[28:29], v[4:5], v[28:29]
	v_fma_f64 v[160:161], v[160:161], v[22:23], v[216:217]
	v_fma_f64 v[158:159], v[158:159], v[22:23], -v[24:25]
	scratch_load_b128 v[22:25], off, off offset:512
	s_waitcnt vmcnt(8) lgkmcnt(0)
	v_mul_f64 v[216:217], v[162:163], v[32:33]
	v_mul_f64 v[32:33], v[164:165], v[32:33]
	v_add_f64 v[212:213], v[212:213], v[222:223]
	v_add_f64 v[214:215], v[214:215], v[220:221]
	v_fma_f64 v[218:219], v[4:5], v[26:27], v[218:219]
	v_fma_f64 v[220:221], v[2:3], v[26:27], -v[28:29]
	ds_load_b128 v[2:5], v1 offset:1216
	scratch_load_b128 v[26:29], off, off offset:528
	v_fma_f64 v[164:165], v[164:165], v[30:31], v[216:217]
	v_fma_f64 v[162:163], v[162:163], v[30:31], -v[32:33]
	scratch_load_b128 v[30:33], off, off offset:544
	v_add_f64 v[212:213], v[212:213], v[158:159]
	v_add_f64 v[214:215], v[214:215], v[160:161]
	ds_load_b128 v[158:161], v1 offset:1232
	s_waitcnt vmcnt(9) lgkmcnt(1)
	v_mul_f64 v[222:223], v[2:3], v[36:37]
	v_mul_f64 v[36:37], v[4:5], v[36:37]
	s_waitcnt vmcnt(8) lgkmcnt(0)
	v_mul_f64 v[216:217], v[158:159], v[40:41]
	v_mul_f64 v[40:41], v[160:161], v[40:41]
	v_add_f64 v[212:213], v[212:213], v[220:221]
	v_add_f64 v[214:215], v[214:215], v[218:219]
	v_fma_f64 v[218:219], v[4:5], v[34:35], v[222:223]
	v_fma_f64 v[220:221], v[2:3], v[34:35], -v[36:37]
	ds_load_b128 v[2:5], v1 offset:1248
	scratch_load_b128 v[34:37], off, off offset:560
	v_fma_f64 v[160:161], v[160:161], v[38:39], v[216:217]
	v_fma_f64 v[158:159], v[158:159], v[38:39], -v[40:41]
	scratch_load_b128 v[38:41], off, off offset:576
	v_add_f64 v[212:213], v[212:213], v[162:163]
	v_add_f64 v[214:215], v[214:215], v[164:165]
	ds_load_b128 v[162:165], v1 offset:1264
	s_waitcnt vmcnt(9) lgkmcnt(1)
	v_mul_f64 v[222:223], v[2:3], v[44:45]
	v_mul_f64 v[44:45], v[4:5], v[44:45]
	s_waitcnt vmcnt(8) lgkmcnt(0)
	v_mul_f64 v[216:217], v[162:163], v[8:9]
	v_mul_f64 v[8:9], v[164:165], v[8:9]
	v_add_f64 v[212:213], v[212:213], v[220:221]
	v_add_f64 v[214:215], v[214:215], v[218:219]
	v_fma_f64 v[218:219], v[4:5], v[42:43], v[222:223]
	v_fma_f64 v[220:221], v[2:3], v[42:43], -v[44:45]
	ds_load_b128 v[2:5], v1 offset:1280
	scratch_load_b128 v[42:45], off, off offset:592
	v_fma_f64 v[164:165], v[164:165], v[6:7], v[216:217]
	v_fma_f64 v[162:163], v[162:163], v[6:7], -v[8:9]
	scratch_load_b128 v[6:9], off, off offset:608
	v_add_f64 v[212:213], v[212:213], v[158:159]
	v_add_f64 v[214:215], v[214:215], v[160:161]
	ds_load_b128 v[158:161], v1 offset:1296
	s_waitcnt vmcnt(9) lgkmcnt(1)
	v_mul_f64 v[222:223], v[2:3], v[12:13]
	v_mul_f64 v[12:13], v[4:5], v[12:13]
	s_waitcnt vmcnt(8) lgkmcnt(0)
	v_mul_f64 v[216:217], v[158:159], v[16:17]
	v_mul_f64 v[16:17], v[160:161], v[16:17]
	v_add_f64 v[212:213], v[212:213], v[220:221]
	v_add_f64 v[214:215], v[214:215], v[218:219]
	v_fma_f64 v[218:219], v[4:5], v[10:11], v[222:223]
	v_fma_f64 v[220:221], v[2:3], v[10:11], -v[12:13]
	ds_load_b128 v[2:5], v1 offset:1312
	scratch_load_b128 v[10:13], off, off offset:624
	v_fma_f64 v[160:161], v[160:161], v[14:15], v[216:217]
	v_fma_f64 v[158:159], v[158:159], v[14:15], -v[16:17]
	scratch_load_b128 v[14:17], off, off offset:640
	v_add_f64 v[212:213], v[212:213], v[162:163]
	v_add_f64 v[214:215], v[214:215], v[164:165]
	ds_load_b128 v[162:165], v1 offset:1328
	s_waitcnt vmcnt(9) lgkmcnt(1)
	v_mul_f64 v[222:223], v[2:3], v[20:21]
	v_mul_f64 v[20:21], v[4:5], v[20:21]
	s_waitcnt vmcnt(8) lgkmcnt(0)
	v_mul_f64 v[216:217], v[162:163], v[24:25]
	v_mul_f64 v[24:25], v[164:165], v[24:25]
	v_add_f64 v[212:213], v[212:213], v[220:221]
	v_add_f64 v[214:215], v[214:215], v[218:219]
	v_fma_f64 v[218:219], v[4:5], v[18:19], v[222:223]
	v_fma_f64 v[220:221], v[2:3], v[18:19], -v[20:21]
	ds_load_b128 v[2:5], v1 offset:1344
	scratch_load_b128 v[18:21], off, off offset:656
	v_fma_f64 v[164:165], v[164:165], v[22:23], v[216:217]
	v_fma_f64 v[162:163], v[162:163], v[22:23], -v[24:25]
	scratch_load_b128 v[22:25], off, off offset:672
	v_add_f64 v[212:213], v[212:213], v[158:159]
	v_add_f64 v[214:215], v[214:215], v[160:161]
	ds_load_b128 v[158:161], v1 offset:1360
	s_waitcnt vmcnt(9) lgkmcnt(1)
	v_mul_f64 v[222:223], v[2:3], v[28:29]
	v_mul_f64 v[28:29], v[4:5], v[28:29]
	s_waitcnt vmcnt(8) lgkmcnt(0)
	v_mul_f64 v[216:217], v[158:159], v[32:33]
	v_mul_f64 v[32:33], v[160:161], v[32:33]
	v_add_f64 v[212:213], v[212:213], v[220:221]
	v_add_f64 v[214:215], v[214:215], v[218:219]
	v_fma_f64 v[218:219], v[4:5], v[26:27], v[222:223]
	v_fma_f64 v[220:221], v[2:3], v[26:27], -v[28:29]
	ds_load_b128 v[2:5], v1 offset:1376
	scratch_load_b128 v[26:29], off, off offset:688
	v_fma_f64 v[160:161], v[160:161], v[30:31], v[216:217]
	v_fma_f64 v[158:159], v[158:159], v[30:31], -v[32:33]
	scratch_load_b128 v[30:33], off, off offset:704
	v_add_f64 v[212:213], v[212:213], v[162:163]
	v_add_f64 v[214:215], v[214:215], v[164:165]
	ds_load_b128 v[162:165], v1 offset:1392
	s_waitcnt vmcnt(9) lgkmcnt(1)
	v_mul_f64 v[222:223], v[2:3], v[36:37]
	v_mul_f64 v[36:37], v[4:5], v[36:37]
	s_waitcnt vmcnt(8) lgkmcnt(0)
	v_mul_f64 v[216:217], v[162:163], v[40:41]
	v_mul_f64 v[40:41], v[164:165], v[40:41]
	v_add_f64 v[212:213], v[212:213], v[220:221]
	v_add_f64 v[214:215], v[214:215], v[218:219]
	v_fma_f64 v[218:219], v[4:5], v[34:35], v[222:223]
	v_fma_f64 v[220:221], v[2:3], v[34:35], -v[36:37]
	ds_load_b128 v[2:5], v1 offset:1408
	scratch_load_b128 v[34:37], off, off offset:720
	v_fma_f64 v[164:165], v[164:165], v[38:39], v[216:217]
	v_fma_f64 v[162:163], v[162:163], v[38:39], -v[40:41]
	scratch_load_b128 v[38:41], off, off offset:736
	v_add_f64 v[212:213], v[212:213], v[158:159]
	v_add_f64 v[214:215], v[214:215], v[160:161]
	ds_load_b128 v[158:161], v1 offset:1424
	s_waitcnt vmcnt(9) lgkmcnt(1)
	v_mul_f64 v[222:223], v[2:3], v[44:45]
	v_mul_f64 v[44:45], v[4:5], v[44:45]
	s_waitcnt vmcnt(8) lgkmcnt(0)
	v_mul_f64 v[216:217], v[158:159], v[8:9]
	v_mul_f64 v[8:9], v[160:161], v[8:9]
	v_add_f64 v[212:213], v[212:213], v[220:221]
	v_add_f64 v[214:215], v[214:215], v[218:219]
	v_fma_f64 v[218:219], v[4:5], v[42:43], v[222:223]
	v_fma_f64 v[220:221], v[2:3], v[42:43], -v[44:45]
	ds_load_b128 v[2:5], v1 offset:1440
	scratch_load_b128 v[42:45], off, off offset:752
	v_fma_f64 v[160:161], v[160:161], v[6:7], v[216:217]
	v_fma_f64 v[158:159], v[158:159], v[6:7], -v[8:9]
	scratch_load_b128 v[6:9], off, off offset:768
	v_add_f64 v[212:213], v[212:213], v[162:163]
	v_add_f64 v[214:215], v[214:215], v[164:165]
	ds_load_b128 v[162:165], v1 offset:1456
	s_waitcnt vmcnt(9) lgkmcnt(1)
	v_mul_f64 v[222:223], v[2:3], v[12:13]
	v_mul_f64 v[12:13], v[4:5], v[12:13]
	s_waitcnt vmcnt(8) lgkmcnt(0)
	v_mul_f64 v[216:217], v[162:163], v[16:17]
	v_mul_f64 v[16:17], v[164:165], v[16:17]
	v_add_f64 v[212:213], v[212:213], v[220:221]
	v_add_f64 v[214:215], v[214:215], v[218:219]
	v_fma_f64 v[218:219], v[4:5], v[10:11], v[222:223]
	v_fma_f64 v[220:221], v[2:3], v[10:11], -v[12:13]
	ds_load_b128 v[2:5], v1 offset:1472
	scratch_load_b128 v[10:13], off, off offset:784
	v_fma_f64 v[164:165], v[164:165], v[14:15], v[216:217]
	v_fma_f64 v[162:163], v[162:163], v[14:15], -v[16:17]
	scratch_load_b128 v[14:17], off, off offset:800
	v_add_f64 v[212:213], v[212:213], v[158:159]
	v_add_f64 v[214:215], v[214:215], v[160:161]
	ds_load_b128 v[158:161], v1 offset:1488
	s_waitcnt vmcnt(9) lgkmcnt(1)
	v_mul_f64 v[222:223], v[2:3], v[20:21]
	v_mul_f64 v[20:21], v[4:5], v[20:21]
	s_waitcnt vmcnt(8) lgkmcnt(0)
	v_mul_f64 v[216:217], v[158:159], v[24:25]
	v_mul_f64 v[24:25], v[160:161], v[24:25]
	v_add_f64 v[212:213], v[212:213], v[220:221]
	v_add_f64 v[214:215], v[214:215], v[218:219]
	v_fma_f64 v[218:219], v[4:5], v[18:19], v[222:223]
	v_fma_f64 v[220:221], v[2:3], v[18:19], -v[20:21]
	ds_load_b128 v[2:5], v1 offset:1504
	ds_load_b128 v[18:21], v1 offset:1520
	v_fma_f64 v[160:161], v[160:161], v[22:23], v[216:217]
	v_fma_f64 v[22:23], v[158:159], v[22:23], -v[24:25]
	v_add_f64 v[162:163], v[212:213], v[162:163]
	v_add_f64 v[164:165], v[214:215], v[164:165]
	s_waitcnt vmcnt(7) lgkmcnt(1)
	v_mul_f64 v[212:213], v[2:3], v[28:29]
	v_mul_f64 v[28:29], v[4:5], v[28:29]
	s_delay_alu instid0(VALU_DEP_4) | instskip(NEXT) | instid1(VALU_DEP_4)
	v_add_f64 v[24:25], v[162:163], v[220:221]
	v_add_f64 v[158:159], v[164:165], v[218:219]
	s_waitcnt vmcnt(6) lgkmcnt(0)
	v_mul_f64 v[162:163], v[18:19], v[32:33]
	v_mul_f64 v[32:33], v[20:21], v[32:33]
	v_fma_f64 v[164:165], v[4:5], v[26:27], v[212:213]
	v_fma_f64 v[26:27], v[2:3], v[26:27], -v[28:29]
	v_add_f64 v[28:29], v[24:25], v[22:23]
	v_add_f64 v[158:159], v[158:159], v[160:161]
	ds_load_b128 v[2:5], v1 offset:1536
	ds_load_b128 v[22:25], v1 offset:1552
	v_fma_f64 v[20:21], v[20:21], v[30:31], v[162:163]
	v_fma_f64 v[18:19], v[18:19], v[30:31], -v[32:33]
	s_waitcnt vmcnt(5) lgkmcnt(1)
	v_mul_f64 v[160:161], v[2:3], v[36:37]
	v_mul_f64 v[36:37], v[4:5], v[36:37]
	s_waitcnt vmcnt(4) lgkmcnt(0)
	v_mul_f64 v[30:31], v[22:23], v[40:41]
	v_mul_f64 v[32:33], v[24:25], v[40:41]
	v_add_f64 v[26:27], v[28:29], v[26:27]
	v_add_f64 v[28:29], v[158:159], v[164:165]
	v_fma_f64 v[40:41], v[4:5], v[34:35], v[160:161]
	v_fma_f64 v[34:35], v[2:3], v[34:35], -v[36:37]
	v_fma_f64 v[24:25], v[24:25], v[38:39], v[30:31]
	v_fma_f64 v[22:23], v[22:23], v[38:39], -v[32:33]
	v_add_f64 v[26:27], v[26:27], v[18:19]
	v_add_f64 v[28:29], v[28:29], v[20:21]
	ds_load_b128 v[2:5], v1 offset:1568
	ds_load_b128 v[18:21], v1 offset:1584
	s_waitcnt vmcnt(3) lgkmcnt(1)
	v_mul_f64 v[36:37], v[2:3], v[44:45]
	v_mul_f64 v[44:45], v[4:5], v[44:45]
	s_waitcnt vmcnt(2) lgkmcnt(0)
	v_mul_f64 v[30:31], v[18:19], v[8:9]
	v_mul_f64 v[8:9], v[20:21], v[8:9]
	v_add_f64 v[26:27], v[26:27], v[34:35]
	v_add_f64 v[28:29], v[28:29], v[40:41]
	v_fma_f64 v[32:33], v[4:5], v[42:43], v[36:37]
	v_fma_f64 v[34:35], v[2:3], v[42:43], -v[44:45]
	v_fma_f64 v[20:21], v[20:21], v[6:7], v[30:31]
	v_fma_f64 v[6:7], v[18:19], v[6:7], -v[8:9]
	v_add_f64 v[26:27], v[26:27], v[22:23]
	v_add_f64 v[28:29], v[28:29], v[24:25]
	ds_load_b128 v[2:5], v1 offset:1600
	ds_load_b128 v[22:25], v1 offset:1616
	s_waitcnt vmcnt(1) lgkmcnt(1)
	v_mul_f64 v[36:37], v[2:3], v[12:13]
	v_mul_f64 v[12:13], v[4:5], v[12:13]
	v_add_f64 v[8:9], v[26:27], v[34:35]
	v_add_f64 v[18:19], v[28:29], v[32:33]
	s_waitcnt vmcnt(0) lgkmcnt(0)
	v_mul_f64 v[26:27], v[22:23], v[16:17]
	v_mul_f64 v[16:17], v[24:25], v[16:17]
	v_fma_f64 v[4:5], v[4:5], v[10:11], v[36:37]
	v_fma_f64 v[1:2], v[2:3], v[10:11], -v[12:13]
	v_add_f64 v[6:7], v[8:9], v[6:7]
	v_add_f64 v[8:9], v[18:19], v[20:21]
	v_fma_f64 v[10:11], v[24:25], v[14:15], v[26:27]
	v_fma_f64 v[12:13], v[22:23], v[14:15], -v[16:17]
	s_delay_alu instid0(VALU_DEP_4) | instskip(NEXT) | instid1(VALU_DEP_4)
	v_add_f64 v[1:2], v[6:7], v[1:2]
	v_add_f64 v[3:4], v[8:9], v[4:5]
	s_delay_alu instid0(VALU_DEP_2) | instskip(NEXT) | instid1(VALU_DEP_2)
	v_add_f64 v[1:2], v[1:2], v[12:13]
	v_add_f64 v[3:4], v[3:4], v[10:11]
	s_delay_alu instid0(VALU_DEP_2) | instskip(NEXT) | instid1(VALU_DEP_2)
	v_add_f64 v[1:2], v[154:155], -v[1:2]
	v_add_f64 v[3:4], v[156:157], -v[3:4]
	scratch_store_b128 off, v[1:4], off offset:96
	v_cmpx_lt_u32_e32 5, v148
	s_cbranch_execz .LBB50_309
; %bb.308:
	scratch_load_b128 v[1:4], v194, off
	v_mov_b32_e32 v5, 0
	s_delay_alu instid0(VALU_DEP_1)
	v_mov_b32_e32 v6, v5
	v_mov_b32_e32 v7, v5
	;; [unrolled: 1-line block ×3, first 2 shown]
	scratch_store_b128 off, v[5:8], off offset:80
	s_waitcnt vmcnt(0)
	ds_store_b128 v199, v[1:4]
.LBB50_309:
	s_or_b32 exec_lo, exec_lo, s2
	s_waitcnt lgkmcnt(0)
	s_waitcnt_vscnt null, 0x0
	s_barrier
	buffer_gl0_inv
	s_clause 0x7
	scratch_load_b128 v[2:5], off, off offset:96
	scratch_load_b128 v[6:9], off, off offset:112
	;; [unrolled: 1-line block ×8, first 2 shown]
	v_mov_b32_e32 v1, 0
	s_mov_b32 s2, exec_lo
	ds_load_b128 v[38:41], v1 offset:912
	s_clause 0x1
	scratch_load_b128 v[34:37], off, off offset:224
	scratch_load_b128 v[42:45], off, off offset:80
	ds_load_b128 v[154:157], v1 offset:928
	scratch_load_b128 v[158:161], off, off offset:240
	s_waitcnt vmcnt(10) lgkmcnt(1)
	v_mul_f64 v[162:163], v[40:41], v[4:5]
	v_mul_f64 v[4:5], v[38:39], v[4:5]
	s_delay_alu instid0(VALU_DEP_2) | instskip(NEXT) | instid1(VALU_DEP_2)
	v_fma_f64 v[214:215], v[38:39], v[2:3], -v[162:163]
	v_fma_f64 v[216:217], v[40:41], v[2:3], v[4:5]
	scratch_load_b128 v[38:41], off, off offset:256
	ds_load_b128 v[2:5], v1 offset:944
	s_waitcnt vmcnt(10) lgkmcnt(1)
	v_mul_f64 v[212:213], v[154:155], v[8:9]
	v_mul_f64 v[8:9], v[156:157], v[8:9]
	ds_load_b128 v[162:165], v1 offset:960
	s_waitcnt vmcnt(9) lgkmcnt(1)
	v_mul_f64 v[218:219], v[2:3], v[12:13]
	v_mul_f64 v[12:13], v[4:5], v[12:13]
	v_fma_f64 v[156:157], v[156:157], v[6:7], v[212:213]
	v_fma_f64 v[154:155], v[154:155], v[6:7], -v[8:9]
	v_add_f64 v[212:213], v[214:215], 0
	v_add_f64 v[214:215], v[216:217], 0
	scratch_load_b128 v[6:9], off, off offset:272
	v_fma_f64 v[218:219], v[4:5], v[10:11], v[218:219]
	v_fma_f64 v[220:221], v[2:3], v[10:11], -v[12:13]
	scratch_load_b128 v[10:13], off, off offset:288
	ds_load_b128 v[2:5], v1 offset:976
	s_waitcnt vmcnt(10) lgkmcnt(1)
	v_mul_f64 v[216:217], v[162:163], v[16:17]
	v_mul_f64 v[16:17], v[164:165], v[16:17]
	v_add_f64 v[212:213], v[212:213], v[154:155]
	v_add_f64 v[214:215], v[214:215], v[156:157]
	s_waitcnt vmcnt(9) lgkmcnt(0)
	v_mul_f64 v[222:223], v[2:3], v[20:21]
	v_mul_f64 v[20:21], v[4:5], v[20:21]
	ds_load_b128 v[154:157], v1 offset:992
	v_fma_f64 v[164:165], v[164:165], v[14:15], v[216:217]
	v_fma_f64 v[162:163], v[162:163], v[14:15], -v[16:17]
	scratch_load_b128 v[14:17], off, off offset:304
	v_add_f64 v[212:213], v[212:213], v[220:221]
	v_add_f64 v[214:215], v[214:215], v[218:219]
	v_fma_f64 v[218:219], v[4:5], v[18:19], v[222:223]
	v_fma_f64 v[220:221], v[2:3], v[18:19], -v[20:21]
	scratch_load_b128 v[18:21], off, off offset:320
	ds_load_b128 v[2:5], v1 offset:1008
	s_waitcnt vmcnt(10) lgkmcnt(1)
	v_mul_f64 v[216:217], v[154:155], v[24:25]
	v_mul_f64 v[24:25], v[156:157], v[24:25]
	s_waitcnt vmcnt(9) lgkmcnt(0)
	v_mul_f64 v[222:223], v[2:3], v[28:29]
	v_mul_f64 v[28:29], v[4:5], v[28:29]
	v_add_f64 v[212:213], v[212:213], v[162:163]
	v_add_f64 v[214:215], v[214:215], v[164:165]
	ds_load_b128 v[162:165], v1 offset:1024
	v_fma_f64 v[156:157], v[156:157], v[22:23], v[216:217]
	v_fma_f64 v[154:155], v[154:155], v[22:23], -v[24:25]
	scratch_load_b128 v[22:25], off, off offset:336
	v_add_f64 v[212:213], v[212:213], v[220:221]
	v_add_f64 v[214:215], v[214:215], v[218:219]
	v_fma_f64 v[218:219], v[4:5], v[26:27], v[222:223]
	v_fma_f64 v[220:221], v[2:3], v[26:27], -v[28:29]
	scratch_load_b128 v[26:29], off, off offset:352
	ds_load_b128 v[2:5], v1 offset:1040
	s_waitcnt vmcnt(10) lgkmcnt(1)
	v_mul_f64 v[216:217], v[162:163], v[32:33]
	v_mul_f64 v[32:33], v[164:165], v[32:33]
	s_waitcnt vmcnt(9) lgkmcnt(0)
	v_mul_f64 v[222:223], v[2:3], v[36:37]
	v_mul_f64 v[36:37], v[4:5], v[36:37]
	v_add_f64 v[212:213], v[212:213], v[154:155]
	v_add_f64 v[214:215], v[214:215], v[156:157]
	ds_load_b128 v[154:157], v1 offset:1056
	v_fma_f64 v[164:165], v[164:165], v[30:31], v[216:217]
	v_fma_f64 v[162:163], v[162:163], v[30:31], -v[32:33]
	scratch_load_b128 v[30:33], off, off offset:368
	v_add_f64 v[212:213], v[212:213], v[220:221]
	v_add_f64 v[214:215], v[214:215], v[218:219]
	v_fma_f64 v[220:221], v[4:5], v[34:35], v[222:223]
	v_fma_f64 v[222:223], v[2:3], v[34:35], -v[36:37]
	scratch_load_b128 v[34:37], off, off offset:384
	ds_load_b128 v[2:5], v1 offset:1072
	s_waitcnt vmcnt(9) lgkmcnt(1)
	v_mul_f64 v[216:217], v[154:155], v[160:161]
	v_mul_f64 v[218:219], v[156:157], v[160:161]
	v_add_f64 v[212:213], v[212:213], v[162:163]
	v_add_f64 v[164:165], v[214:215], v[164:165]
	ds_load_b128 v[160:163], v1 offset:1088
	v_fma_f64 v[216:217], v[156:157], v[158:159], v[216:217]
	v_fma_f64 v[158:159], v[154:155], v[158:159], -v[218:219]
	scratch_load_b128 v[154:157], off, off offset:400
	s_waitcnt vmcnt(9) lgkmcnt(1)
	v_mul_f64 v[214:215], v[2:3], v[40:41]
	v_mul_f64 v[40:41], v[4:5], v[40:41]
	v_add_f64 v[212:213], v[212:213], v[222:223]
	v_add_f64 v[164:165], v[164:165], v[220:221]
	s_delay_alu instid0(VALU_DEP_4) | instskip(NEXT) | instid1(VALU_DEP_4)
	v_fma_f64 v[220:221], v[4:5], v[38:39], v[214:215]
	v_fma_f64 v[222:223], v[2:3], v[38:39], -v[40:41]
	scratch_load_b128 v[38:41], off, off offset:416
	ds_load_b128 v[2:5], v1 offset:1104
	s_waitcnt vmcnt(9) lgkmcnt(1)
	v_mul_f64 v[218:219], v[160:161], v[8:9]
	v_mul_f64 v[8:9], v[162:163], v[8:9]
	v_add_f64 v[158:159], v[212:213], v[158:159]
	v_add_f64 v[164:165], v[164:165], v[216:217]
	s_waitcnt vmcnt(8) lgkmcnt(0)
	v_mul_f64 v[216:217], v[2:3], v[12:13]
	v_mul_f64 v[12:13], v[4:5], v[12:13]
	ds_load_b128 v[212:215], v1 offset:1120
	v_fma_f64 v[162:163], v[162:163], v[6:7], v[218:219]
	v_fma_f64 v[160:161], v[160:161], v[6:7], -v[8:9]
	scratch_load_b128 v[6:9], off, off offset:432
	v_add_f64 v[158:159], v[158:159], v[222:223]
	v_add_f64 v[164:165], v[164:165], v[220:221]
	v_fma_f64 v[216:217], v[4:5], v[10:11], v[216:217]
	v_fma_f64 v[220:221], v[2:3], v[10:11], -v[12:13]
	scratch_load_b128 v[10:13], off, off offset:448
	ds_load_b128 v[2:5], v1 offset:1136
	s_waitcnt vmcnt(9) lgkmcnt(1)
	v_mul_f64 v[218:219], v[212:213], v[16:17]
	v_mul_f64 v[16:17], v[214:215], v[16:17]
	v_add_f64 v[222:223], v[158:159], v[160:161]
	v_add_f64 v[162:163], v[164:165], v[162:163]
	s_waitcnt vmcnt(8) lgkmcnt(0)
	v_mul_f64 v[164:165], v[2:3], v[20:21]
	v_mul_f64 v[20:21], v[4:5], v[20:21]
	ds_load_b128 v[158:161], v1 offset:1152
	v_fma_f64 v[214:215], v[214:215], v[14:15], v[218:219]
	v_fma_f64 v[212:213], v[212:213], v[14:15], -v[16:17]
	scratch_load_b128 v[14:17], off, off offset:464
	v_add_f64 v[218:219], v[222:223], v[220:221]
	v_add_f64 v[162:163], v[162:163], v[216:217]
	;; [unrolled: 18-line block ×3, first 2 shown]
	v_fma_f64 v[218:219], v[4:5], v[26:27], v[218:219]
	v_fma_f64 v[220:221], v[2:3], v[26:27], -v[28:29]
	scratch_load_b128 v[26:29], off, off offset:512
	ds_load_b128 v[2:5], v1 offset:1200
	s_waitcnt vmcnt(9) lgkmcnt(1)
	v_mul_f64 v[216:217], v[162:163], v[32:33]
	v_mul_f64 v[32:33], v[164:165], v[32:33]
	s_waitcnt vmcnt(8) lgkmcnt(0)
	v_mul_f64 v[222:223], v[2:3], v[36:37]
	v_mul_f64 v[36:37], v[4:5], v[36:37]
	v_add_f64 v[212:213], v[212:213], v[158:159]
	v_add_f64 v[214:215], v[214:215], v[160:161]
	ds_load_b128 v[158:161], v1 offset:1216
	v_fma_f64 v[164:165], v[164:165], v[30:31], v[216:217]
	v_fma_f64 v[162:163], v[162:163], v[30:31], -v[32:33]
	scratch_load_b128 v[30:33], off, off offset:528
	v_add_f64 v[212:213], v[212:213], v[220:221]
	v_add_f64 v[214:215], v[214:215], v[218:219]
	v_fma_f64 v[218:219], v[4:5], v[34:35], v[222:223]
	v_fma_f64 v[220:221], v[2:3], v[34:35], -v[36:37]
	scratch_load_b128 v[34:37], off, off offset:544
	ds_load_b128 v[2:5], v1 offset:1232
	s_waitcnt vmcnt(9) lgkmcnt(1)
	v_mul_f64 v[216:217], v[158:159], v[156:157]
	v_mul_f64 v[156:157], v[160:161], v[156:157]
	s_waitcnt vmcnt(8) lgkmcnt(0)
	v_mul_f64 v[222:223], v[2:3], v[40:41]
	v_mul_f64 v[40:41], v[4:5], v[40:41]
	v_add_f64 v[212:213], v[212:213], v[162:163]
	v_add_f64 v[214:215], v[214:215], v[164:165]
	ds_load_b128 v[162:165], v1 offset:1248
	v_fma_f64 v[160:161], v[160:161], v[154:155], v[216:217]
	v_fma_f64 v[158:159], v[158:159], v[154:155], -v[156:157]
	scratch_load_b128 v[154:157], off, off offset:560
	v_add_f64 v[212:213], v[212:213], v[220:221]
	v_add_f64 v[214:215], v[214:215], v[218:219]
	v_fma_f64 v[218:219], v[4:5], v[38:39], v[222:223]
	v_fma_f64 v[220:221], v[2:3], v[38:39], -v[40:41]
	scratch_load_b128 v[38:41], off, off offset:576
	ds_load_b128 v[2:5], v1 offset:1264
	s_waitcnt vmcnt(9) lgkmcnt(1)
	v_mul_f64 v[216:217], v[162:163], v[8:9]
	v_mul_f64 v[8:9], v[164:165], v[8:9]
	s_waitcnt vmcnt(8) lgkmcnt(0)
	v_mul_f64 v[222:223], v[2:3], v[12:13]
	v_mul_f64 v[12:13], v[4:5], v[12:13]
	v_add_f64 v[212:213], v[212:213], v[158:159]
	v_add_f64 v[214:215], v[214:215], v[160:161]
	ds_load_b128 v[158:161], v1 offset:1280
	v_fma_f64 v[164:165], v[164:165], v[6:7], v[216:217]
	v_fma_f64 v[162:163], v[162:163], v[6:7], -v[8:9]
	scratch_load_b128 v[6:9], off, off offset:592
	v_add_f64 v[212:213], v[212:213], v[220:221]
	v_add_f64 v[214:215], v[214:215], v[218:219]
	v_fma_f64 v[218:219], v[4:5], v[10:11], v[222:223]
	v_fma_f64 v[220:221], v[2:3], v[10:11], -v[12:13]
	scratch_load_b128 v[10:13], off, off offset:608
	ds_load_b128 v[2:5], v1 offset:1296
	s_waitcnt vmcnt(9) lgkmcnt(1)
	v_mul_f64 v[216:217], v[158:159], v[16:17]
	v_mul_f64 v[16:17], v[160:161], v[16:17]
	s_waitcnt vmcnt(8) lgkmcnt(0)
	v_mul_f64 v[222:223], v[2:3], v[20:21]
	v_mul_f64 v[20:21], v[4:5], v[20:21]
	v_add_f64 v[212:213], v[212:213], v[162:163]
	v_add_f64 v[214:215], v[214:215], v[164:165]
	ds_load_b128 v[162:165], v1 offset:1312
	v_fma_f64 v[160:161], v[160:161], v[14:15], v[216:217]
	v_fma_f64 v[158:159], v[158:159], v[14:15], -v[16:17]
	scratch_load_b128 v[14:17], off, off offset:624
	v_add_f64 v[212:213], v[212:213], v[220:221]
	v_add_f64 v[214:215], v[214:215], v[218:219]
	v_fma_f64 v[218:219], v[4:5], v[18:19], v[222:223]
	v_fma_f64 v[220:221], v[2:3], v[18:19], -v[20:21]
	scratch_load_b128 v[18:21], off, off offset:640
	ds_load_b128 v[2:5], v1 offset:1328
	s_waitcnt vmcnt(9) lgkmcnt(1)
	v_mul_f64 v[216:217], v[162:163], v[24:25]
	v_mul_f64 v[24:25], v[164:165], v[24:25]
	s_waitcnt vmcnt(8) lgkmcnt(0)
	v_mul_f64 v[222:223], v[2:3], v[28:29]
	v_mul_f64 v[28:29], v[4:5], v[28:29]
	v_add_f64 v[212:213], v[212:213], v[158:159]
	v_add_f64 v[214:215], v[214:215], v[160:161]
	ds_load_b128 v[158:161], v1 offset:1344
	v_fma_f64 v[164:165], v[164:165], v[22:23], v[216:217]
	v_fma_f64 v[162:163], v[162:163], v[22:23], -v[24:25]
	scratch_load_b128 v[22:25], off, off offset:656
	v_add_f64 v[212:213], v[212:213], v[220:221]
	v_add_f64 v[214:215], v[214:215], v[218:219]
	v_fma_f64 v[218:219], v[4:5], v[26:27], v[222:223]
	v_fma_f64 v[220:221], v[2:3], v[26:27], -v[28:29]
	scratch_load_b128 v[26:29], off, off offset:672
	ds_load_b128 v[2:5], v1 offset:1360
	s_waitcnt vmcnt(9) lgkmcnt(1)
	v_mul_f64 v[216:217], v[158:159], v[32:33]
	v_mul_f64 v[32:33], v[160:161], v[32:33]
	s_waitcnt vmcnt(8) lgkmcnt(0)
	v_mul_f64 v[222:223], v[2:3], v[36:37]
	v_mul_f64 v[36:37], v[4:5], v[36:37]
	v_add_f64 v[212:213], v[212:213], v[162:163]
	v_add_f64 v[214:215], v[214:215], v[164:165]
	ds_load_b128 v[162:165], v1 offset:1376
	v_fma_f64 v[160:161], v[160:161], v[30:31], v[216:217]
	v_fma_f64 v[158:159], v[158:159], v[30:31], -v[32:33]
	scratch_load_b128 v[30:33], off, off offset:688
	v_add_f64 v[212:213], v[212:213], v[220:221]
	v_add_f64 v[214:215], v[214:215], v[218:219]
	v_fma_f64 v[220:221], v[4:5], v[34:35], v[222:223]
	v_fma_f64 v[222:223], v[2:3], v[34:35], -v[36:37]
	scratch_load_b128 v[34:37], off, off offset:704
	ds_load_b128 v[2:5], v1 offset:1392
	s_waitcnt vmcnt(9) lgkmcnt(1)
	v_mul_f64 v[216:217], v[162:163], v[156:157]
	v_mul_f64 v[218:219], v[164:165], v[156:157]
	v_add_f64 v[212:213], v[212:213], v[158:159]
	v_add_f64 v[160:161], v[214:215], v[160:161]
	s_waitcnt vmcnt(8) lgkmcnt(0)
	v_mul_f64 v[214:215], v[2:3], v[40:41]
	v_mul_f64 v[40:41], v[4:5], v[40:41]
	ds_load_b128 v[156:159], v1 offset:1408
	v_fma_f64 v[164:165], v[164:165], v[154:155], v[216:217]
	v_fma_f64 v[154:155], v[162:163], v[154:155], -v[218:219]
	v_add_f64 v[212:213], v[212:213], v[222:223]
	v_add_f64 v[216:217], v[160:161], v[220:221]
	scratch_load_b128 v[160:163], off, off offset:720
	v_fma_f64 v[220:221], v[4:5], v[38:39], v[214:215]
	v_fma_f64 v[222:223], v[2:3], v[38:39], -v[40:41]
	scratch_load_b128 v[38:41], off, off offset:736
	ds_load_b128 v[2:5], v1 offset:1424
	s_waitcnt vmcnt(9) lgkmcnt(1)
	v_mul_f64 v[218:219], v[156:157], v[8:9]
	v_mul_f64 v[8:9], v[158:159], v[8:9]
	v_add_f64 v[154:155], v[212:213], v[154:155]
	v_add_f64 v[164:165], v[216:217], v[164:165]
	s_waitcnt vmcnt(8) lgkmcnt(0)
	v_mul_f64 v[216:217], v[2:3], v[12:13]
	v_mul_f64 v[12:13], v[4:5], v[12:13]
	ds_load_b128 v[212:215], v1 offset:1440
	v_fma_f64 v[158:159], v[158:159], v[6:7], v[218:219]
	v_fma_f64 v[156:157], v[156:157], v[6:7], -v[8:9]
	scratch_load_b128 v[6:9], off, off offset:752
	v_add_f64 v[154:155], v[154:155], v[222:223]
	v_add_f64 v[164:165], v[164:165], v[220:221]
	v_fma_f64 v[216:217], v[4:5], v[10:11], v[216:217]
	v_fma_f64 v[220:221], v[2:3], v[10:11], -v[12:13]
	scratch_load_b128 v[10:13], off, off offset:768
	ds_load_b128 v[2:5], v1 offset:1456
	s_waitcnt vmcnt(9) lgkmcnt(1)
	v_mul_f64 v[218:219], v[212:213], v[16:17]
	v_mul_f64 v[16:17], v[214:215], v[16:17]
	v_add_f64 v[222:223], v[154:155], v[156:157]
	v_add_f64 v[158:159], v[164:165], v[158:159]
	s_waitcnt vmcnt(8) lgkmcnt(0)
	v_mul_f64 v[164:165], v[2:3], v[20:21]
	v_mul_f64 v[20:21], v[4:5], v[20:21]
	ds_load_b128 v[154:157], v1 offset:1472
	v_fma_f64 v[214:215], v[214:215], v[14:15], v[218:219]
	v_fma_f64 v[212:213], v[212:213], v[14:15], -v[16:17]
	scratch_load_b128 v[14:17], off, off offset:784
	v_add_f64 v[218:219], v[222:223], v[220:221]
	v_add_f64 v[158:159], v[158:159], v[216:217]
	v_fma_f64 v[164:165], v[4:5], v[18:19], v[164:165]
	v_fma_f64 v[220:221], v[2:3], v[18:19], -v[20:21]
	scratch_load_b128 v[18:21], off, off offset:800
	ds_load_b128 v[2:5], v1 offset:1488
	s_waitcnt vmcnt(9) lgkmcnt(1)
	v_mul_f64 v[216:217], v[154:155], v[24:25]
	v_mul_f64 v[24:25], v[156:157], v[24:25]
	s_waitcnt vmcnt(8) lgkmcnt(0)
	v_mul_f64 v[222:223], v[2:3], v[28:29]
	v_mul_f64 v[28:29], v[4:5], v[28:29]
	v_add_f64 v[218:219], v[218:219], v[212:213]
	v_add_f64 v[158:159], v[158:159], v[214:215]
	ds_load_b128 v[212:215], v1 offset:1504
	v_fma_f64 v[156:157], v[156:157], v[22:23], v[216:217]
	v_fma_f64 v[22:23], v[154:155], v[22:23], -v[24:25]
	v_add_f64 v[24:25], v[218:219], v[220:221]
	v_add_f64 v[154:155], v[158:159], v[164:165]
	s_waitcnt vmcnt(7) lgkmcnt(0)
	v_mul_f64 v[158:159], v[212:213], v[32:33]
	v_mul_f64 v[32:33], v[214:215], v[32:33]
	v_fma_f64 v[164:165], v[4:5], v[26:27], v[222:223]
	v_fma_f64 v[26:27], v[2:3], v[26:27], -v[28:29]
	v_add_f64 v[28:29], v[24:25], v[22:23]
	v_add_f64 v[154:155], v[154:155], v[156:157]
	ds_load_b128 v[2:5], v1 offset:1520
	ds_load_b128 v[22:25], v1 offset:1536
	v_fma_f64 v[158:159], v[214:215], v[30:31], v[158:159]
	v_fma_f64 v[30:31], v[212:213], v[30:31], -v[32:33]
	s_waitcnt vmcnt(6) lgkmcnt(1)
	v_mul_f64 v[156:157], v[2:3], v[36:37]
	v_mul_f64 v[36:37], v[4:5], v[36:37]
	v_add_f64 v[26:27], v[28:29], v[26:27]
	v_add_f64 v[28:29], v[154:155], v[164:165]
	s_waitcnt vmcnt(5) lgkmcnt(0)
	v_mul_f64 v[32:33], v[22:23], v[162:163]
	v_mul_f64 v[154:155], v[24:25], v[162:163]
	v_fma_f64 v[156:157], v[4:5], v[34:35], v[156:157]
	v_fma_f64 v[34:35], v[2:3], v[34:35], -v[36:37]
	v_add_f64 v[30:31], v[26:27], v[30:31]
	v_add_f64 v[36:37], v[28:29], v[158:159]
	ds_load_b128 v[2:5], v1 offset:1552
	ds_load_b128 v[26:29], v1 offset:1568
	v_fma_f64 v[24:25], v[24:25], v[160:161], v[32:33]
	v_fma_f64 v[22:23], v[22:23], v[160:161], -v[154:155]
	s_waitcnt vmcnt(4) lgkmcnt(1)
	v_mul_f64 v[158:159], v[2:3], v[40:41]
	v_mul_f64 v[40:41], v[4:5], v[40:41]
	;; [unrolled: 16-line block ×3, first 2 shown]
	v_add_f64 v[8:9], v[30:31], v[38:39]
	v_add_f64 v[26:27], v[32:33], v[36:37]
	s_waitcnt vmcnt(1) lgkmcnt(0)
	v_mul_f64 v[30:31], v[22:23], v[16:17]
	v_mul_f64 v[16:17], v[24:25], v[16:17]
	v_fma_f64 v[32:33], v[4:5], v[10:11], v[40:41]
	v_fma_f64 v[10:11], v[2:3], v[10:11], -v[12:13]
	ds_load_b128 v[2:5], v1 offset:1616
	v_add_f64 v[6:7], v[8:9], v[6:7]
	v_add_f64 v[8:9], v[26:27], v[28:29]
	v_fma_f64 v[24:25], v[24:25], v[14:15], v[30:31]
	v_fma_f64 v[14:15], v[22:23], v[14:15], -v[16:17]
	s_waitcnt vmcnt(0) lgkmcnt(0)
	v_mul_f64 v[12:13], v[2:3], v[20:21]
	v_mul_f64 v[20:21], v[4:5], v[20:21]
	v_add_f64 v[6:7], v[6:7], v[10:11]
	v_add_f64 v[8:9], v[8:9], v[32:33]
	s_delay_alu instid0(VALU_DEP_4) | instskip(NEXT) | instid1(VALU_DEP_4)
	v_fma_f64 v[4:5], v[4:5], v[18:19], v[12:13]
	v_fma_f64 v[2:3], v[2:3], v[18:19], -v[20:21]
	s_delay_alu instid0(VALU_DEP_4) | instskip(NEXT) | instid1(VALU_DEP_4)
	v_add_f64 v[6:7], v[6:7], v[14:15]
	v_add_f64 v[8:9], v[8:9], v[24:25]
	s_delay_alu instid0(VALU_DEP_2) | instskip(NEXT) | instid1(VALU_DEP_2)
	v_add_f64 v[2:3], v[6:7], v[2:3]
	v_add_f64 v[4:5], v[8:9], v[4:5]
	s_delay_alu instid0(VALU_DEP_2) | instskip(NEXT) | instid1(VALU_DEP_2)
	v_add_f64 v[2:3], v[42:43], -v[2:3]
	v_add_f64 v[4:5], v[44:45], -v[4:5]
	scratch_store_b128 off, v[2:5], off offset:80
	v_cmpx_lt_u32_e32 4, v148
	s_cbranch_execz .LBB50_311
; %bb.310:
	scratch_load_b128 v[5:8], v195, off
	v_mov_b32_e32 v2, v1
	v_mov_b32_e32 v3, v1
	;; [unrolled: 1-line block ×3, first 2 shown]
	scratch_store_b128 off, v[1:4], off offset:64
	s_waitcnt vmcnt(0)
	ds_store_b128 v199, v[5:8]
.LBB50_311:
	s_or_b32 exec_lo, exec_lo, s2
	s_waitcnt lgkmcnt(0)
	s_waitcnt_vscnt null, 0x0
	s_barrier
	buffer_gl0_inv
	s_clause 0x8
	scratch_load_b128 v[2:5], off, off offset:80
	scratch_load_b128 v[6:9], off, off offset:96
	;; [unrolled: 1-line block ×9, first 2 shown]
	ds_load_b128 v[42:45], v1 offset:896
	ds_load_b128 v[38:41], v1 offset:912
	s_clause 0x1
	scratch_load_b128 v[154:157], off, off offset:64
	scratch_load_b128 v[158:161], off, off offset:224
	s_mov_b32 s2, exec_lo
	s_waitcnt vmcnt(10) lgkmcnt(1)
	v_mul_f64 v[162:163], v[44:45], v[4:5]
	v_mul_f64 v[4:5], v[42:43], v[4:5]
	s_waitcnt vmcnt(9) lgkmcnt(0)
	v_mul_f64 v[212:213], v[38:39], v[8:9]
	v_mul_f64 v[8:9], v[40:41], v[8:9]
	s_delay_alu instid0(VALU_DEP_4) | instskip(NEXT) | instid1(VALU_DEP_4)
	v_fma_f64 v[214:215], v[42:43], v[2:3], -v[162:163]
	v_fma_f64 v[216:217], v[44:45], v[2:3], v[4:5]
	ds_load_b128 v[2:5], v1 offset:928
	ds_load_b128 v[162:165], v1 offset:944
	scratch_load_b128 v[42:45], off, off offset:240
	v_fma_f64 v[40:41], v[40:41], v[6:7], v[212:213]
	v_fma_f64 v[38:39], v[38:39], v[6:7], -v[8:9]
	scratch_load_b128 v[6:9], off, off offset:256
	s_waitcnt vmcnt(10) lgkmcnt(1)
	v_mul_f64 v[218:219], v[2:3], v[12:13]
	v_mul_f64 v[12:13], v[4:5], v[12:13]
	v_add_f64 v[212:213], v[214:215], 0
	v_add_f64 v[214:215], v[216:217], 0
	s_waitcnt vmcnt(9) lgkmcnt(0)
	v_mul_f64 v[216:217], v[162:163], v[16:17]
	v_mul_f64 v[16:17], v[164:165], v[16:17]
	v_fma_f64 v[218:219], v[4:5], v[10:11], v[218:219]
	v_fma_f64 v[220:221], v[2:3], v[10:11], -v[12:13]
	ds_load_b128 v[2:5], v1 offset:960
	scratch_load_b128 v[10:13], off, off offset:272
	v_add_f64 v[212:213], v[212:213], v[38:39]
	v_add_f64 v[214:215], v[214:215], v[40:41]
	ds_load_b128 v[38:41], v1 offset:976
	v_fma_f64 v[164:165], v[164:165], v[14:15], v[216:217]
	v_fma_f64 v[162:163], v[162:163], v[14:15], -v[16:17]
	scratch_load_b128 v[14:17], off, off offset:288
	s_waitcnt vmcnt(10) lgkmcnt(1)
	v_mul_f64 v[222:223], v[2:3], v[20:21]
	v_mul_f64 v[20:21], v[4:5], v[20:21]
	s_waitcnt vmcnt(9) lgkmcnt(0)
	v_mul_f64 v[216:217], v[38:39], v[24:25]
	v_mul_f64 v[24:25], v[40:41], v[24:25]
	v_add_f64 v[212:213], v[212:213], v[220:221]
	v_add_f64 v[214:215], v[214:215], v[218:219]
	v_fma_f64 v[218:219], v[4:5], v[18:19], v[222:223]
	v_fma_f64 v[220:221], v[2:3], v[18:19], -v[20:21]
	ds_load_b128 v[2:5], v1 offset:992
	scratch_load_b128 v[18:21], off, off offset:304
	v_fma_f64 v[40:41], v[40:41], v[22:23], v[216:217]
	v_fma_f64 v[38:39], v[38:39], v[22:23], -v[24:25]
	scratch_load_b128 v[22:25], off, off offset:320
	v_add_f64 v[212:213], v[212:213], v[162:163]
	v_add_f64 v[214:215], v[214:215], v[164:165]
	ds_load_b128 v[162:165], v1 offset:1008
	s_waitcnt vmcnt(10) lgkmcnt(1)
	v_mul_f64 v[222:223], v[2:3], v[28:29]
	v_mul_f64 v[28:29], v[4:5], v[28:29]
	s_waitcnt vmcnt(9) lgkmcnt(0)
	v_mul_f64 v[216:217], v[162:163], v[32:33]
	v_mul_f64 v[32:33], v[164:165], v[32:33]
	v_add_f64 v[212:213], v[212:213], v[220:221]
	v_add_f64 v[214:215], v[214:215], v[218:219]
	v_fma_f64 v[218:219], v[4:5], v[26:27], v[222:223]
	v_fma_f64 v[220:221], v[2:3], v[26:27], -v[28:29]
	ds_load_b128 v[2:5], v1 offset:1024
	scratch_load_b128 v[26:29], off, off offset:336
	v_fma_f64 v[164:165], v[164:165], v[30:31], v[216:217]
	v_fma_f64 v[162:163], v[162:163], v[30:31], -v[32:33]
	scratch_load_b128 v[30:33], off, off offset:352
	v_add_f64 v[212:213], v[212:213], v[38:39]
	v_add_f64 v[214:215], v[214:215], v[40:41]
	ds_load_b128 v[38:41], v1 offset:1040
	s_waitcnt vmcnt(10) lgkmcnt(1)
	v_mul_f64 v[222:223], v[2:3], v[36:37]
	v_mul_f64 v[36:37], v[4:5], v[36:37]
	s_waitcnt vmcnt(8) lgkmcnt(0)
	v_mul_f64 v[216:217], v[38:39], v[160:161]
	v_add_f64 v[212:213], v[212:213], v[220:221]
	v_add_f64 v[214:215], v[214:215], v[218:219]
	v_mul_f64 v[218:219], v[40:41], v[160:161]
	v_fma_f64 v[220:221], v[4:5], v[34:35], v[222:223]
	v_fma_f64 v[222:223], v[2:3], v[34:35], -v[36:37]
	ds_load_b128 v[2:5], v1 offset:1056
	scratch_load_b128 v[34:37], off, off offset:368
	v_fma_f64 v[216:217], v[40:41], v[158:159], v[216:217]
	v_add_f64 v[212:213], v[212:213], v[162:163]
	v_add_f64 v[164:165], v[214:215], v[164:165]
	ds_load_b128 v[160:163], v1 offset:1072
	v_fma_f64 v[158:159], v[38:39], v[158:159], -v[218:219]
	scratch_load_b128 v[38:41], off, off offset:384
	s_waitcnt vmcnt(9) lgkmcnt(1)
	v_mul_f64 v[214:215], v[2:3], v[44:45]
	v_mul_f64 v[44:45], v[4:5], v[44:45]
	s_waitcnt vmcnt(8) lgkmcnt(0)
	v_mul_f64 v[218:219], v[160:161], v[8:9]
	v_mul_f64 v[8:9], v[162:163], v[8:9]
	v_add_f64 v[212:213], v[212:213], v[222:223]
	v_add_f64 v[164:165], v[164:165], v[220:221]
	v_fma_f64 v[220:221], v[4:5], v[42:43], v[214:215]
	v_fma_f64 v[222:223], v[2:3], v[42:43], -v[44:45]
	ds_load_b128 v[2:5], v1 offset:1088
	scratch_load_b128 v[42:45], off, off offset:400
	v_fma_f64 v[162:163], v[162:163], v[6:7], v[218:219]
	v_fma_f64 v[160:161], v[160:161], v[6:7], -v[8:9]
	scratch_load_b128 v[6:9], off, off offset:416
	v_add_f64 v[158:159], v[212:213], v[158:159]
	v_add_f64 v[164:165], v[164:165], v[216:217]
	ds_load_b128 v[212:215], v1 offset:1104
	s_waitcnt vmcnt(9) lgkmcnt(1)
	v_mul_f64 v[216:217], v[2:3], v[12:13]
	v_mul_f64 v[12:13], v[4:5], v[12:13]
	s_waitcnt vmcnt(8) lgkmcnt(0)
	v_mul_f64 v[218:219], v[212:213], v[16:17]
	v_mul_f64 v[16:17], v[214:215], v[16:17]
	v_add_f64 v[158:159], v[158:159], v[222:223]
	v_add_f64 v[164:165], v[164:165], v[220:221]
	v_fma_f64 v[216:217], v[4:5], v[10:11], v[216:217]
	v_fma_f64 v[220:221], v[2:3], v[10:11], -v[12:13]
	ds_load_b128 v[2:5], v1 offset:1120
	scratch_load_b128 v[10:13], off, off offset:432
	v_fma_f64 v[214:215], v[214:215], v[14:15], v[218:219]
	v_fma_f64 v[212:213], v[212:213], v[14:15], -v[16:17]
	scratch_load_b128 v[14:17], off, off offset:448
	v_add_f64 v[222:223], v[158:159], v[160:161]
	v_add_f64 v[162:163], v[164:165], v[162:163]
	ds_load_b128 v[158:161], v1 offset:1136
	s_waitcnt vmcnt(9) lgkmcnt(1)
	v_mul_f64 v[164:165], v[2:3], v[20:21]
	v_mul_f64 v[20:21], v[4:5], v[20:21]
	v_add_f64 v[218:219], v[222:223], v[220:221]
	v_add_f64 v[162:163], v[162:163], v[216:217]
	s_waitcnt vmcnt(8) lgkmcnt(0)
	v_mul_f64 v[216:217], v[158:159], v[24:25]
	v_mul_f64 v[24:25], v[160:161], v[24:25]
	v_fma_f64 v[220:221], v[4:5], v[18:19], v[164:165]
	v_fma_f64 v[222:223], v[2:3], v[18:19], -v[20:21]
	ds_load_b128 v[2:5], v1 offset:1152
	scratch_load_b128 v[18:21], off, off offset:464
	v_add_f64 v[212:213], v[218:219], v[212:213]
	v_add_f64 v[214:215], v[162:163], v[214:215]
	ds_load_b128 v[162:165], v1 offset:1168
	s_waitcnt vmcnt(8) lgkmcnt(1)
	v_mul_f64 v[218:219], v[2:3], v[28:29]
	v_mul_f64 v[28:29], v[4:5], v[28:29]
	v_fma_f64 v[160:161], v[160:161], v[22:23], v[216:217]
	v_fma_f64 v[158:159], v[158:159], v[22:23], -v[24:25]
	scratch_load_b128 v[22:25], off, off offset:480
	s_waitcnt vmcnt(8) lgkmcnt(0)
	v_mul_f64 v[216:217], v[162:163], v[32:33]
	v_mul_f64 v[32:33], v[164:165], v[32:33]
	v_add_f64 v[212:213], v[212:213], v[222:223]
	v_add_f64 v[214:215], v[214:215], v[220:221]
	v_fma_f64 v[218:219], v[4:5], v[26:27], v[218:219]
	v_fma_f64 v[220:221], v[2:3], v[26:27], -v[28:29]
	ds_load_b128 v[2:5], v1 offset:1184
	scratch_load_b128 v[26:29], off, off offset:496
	v_fma_f64 v[164:165], v[164:165], v[30:31], v[216:217]
	v_fma_f64 v[162:163], v[162:163], v[30:31], -v[32:33]
	scratch_load_b128 v[30:33], off, off offset:512
	v_add_f64 v[212:213], v[212:213], v[158:159]
	v_add_f64 v[214:215], v[214:215], v[160:161]
	ds_load_b128 v[158:161], v1 offset:1200
	s_waitcnt vmcnt(9) lgkmcnt(1)
	v_mul_f64 v[222:223], v[2:3], v[36:37]
	v_mul_f64 v[36:37], v[4:5], v[36:37]
	s_waitcnt vmcnt(8) lgkmcnt(0)
	v_mul_f64 v[216:217], v[158:159], v[40:41]
	v_mul_f64 v[40:41], v[160:161], v[40:41]
	v_add_f64 v[212:213], v[212:213], v[220:221]
	v_add_f64 v[214:215], v[214:215], v[218:219]
	v_fma_f64 v[218:219], v[4:5], v[34:35], v[222:223]
	v_fma_f64 v[220:221], v[2:3], v[34:35], -v[36:37]
	ds_load_b128 v[2:5], v1 offset:1216
	scratch_load_b128 v[34:37], off, off offset:528
	v_fma_f64 v[160:161], v[160:161], v[38:39], v[216:217]
	v_fma_f64 v[158:159], v[158:159], v[38:39], -v[40:41]
	scratch_load_b128 v[38:41], off, off offset:544
	v_add_f64 v[212:213], v[212:213], v[162:163]
	v_add_f64 v[214:215], v[214:215], v[164:165]
	ds_load_b128 v[162:165], v1 offset:1232
	s_waitcnt vmcnt(9) lgkmcnt(1)
	v_mul_f64 v[222:223], v[2:3], v[44:45]
	v_mul_f64 v[44:45], v[4:5], v[44:45]
	;; [unrolled: 18-line block ×10, first 2 shown]
	s_waitcnt vmcnt(8) lgkmcnt(0)
	v_mul_f64 v[216:217], v[162:163], v[32:33]
	v_mul_f64 v[32:33], v[164:165], v[32:33]
	v_add_f64 v[212:213], v[212:213], v[220:221]
	v_add_f64 v[214:215], v[214:215], v[218:219]
	v_fma_f64 v[218:219], v[4:5], v[26:27], v[222:223]
	v_fma_f64 v[220:221], v[2:3], v[26:27], -v[28:29]
	ds_load_b128 v[2:5], v1 offset:1504
	ds_load_b128 v[26:29], v1 offset:1520
	v_fma_f64 v[164:165], v[164:165], v[30:31], v[216:217]
	v_fma_f64 v[30:31], v[162:163], v[30:31], -v[32:33]
	v_add_f64 v[158:159], v[212:213], v[158:159]
	v_add_f64 v[160:161], v[214:215], v[160:161]
	s_waitcnt vmcnt(7) lgkmcnt(1)
	v_mul_f64 v[212:213], v[2:3], v[36:37]
	v_mul_f64 v[36:37], v[4:5], v[36:37]
	s_delay_alu instid0(VALU_DEP_4) | instskip(NEXT) | instid1(VALU_DEP_4)
	v_add_f64 v[32:33], v[158:159], v[220:221]
	v_add_f64 v[158:159], v[160:161], v[218:219]
	s_waitcnt vmcnt(6) lgkmcnt(0)
	v_mul_f64 v[160:161], v[26:27], v[40:41]
	v_mul_f64 v[40:41], v[28:29], v[40:41]
	v_fma_f64 v[162:163], v[4:5], v[34:35], v[212:213]
	v_fma_f64 v[34:35], v[2:3], v[34:35], -v[36:37]
	v_add_f64 v[36:37], v[32:33], v[30:31]
	v_add_f64 v[158:159], v[158:159], v[164:165]
	ds_load_b128 v[2:5], v1 offset:1536
	ds_load_b128 v[30:33], v1 offset:1552
	v_fma_f64 v[28:29], v[28:29], v[38:39], v[160:161]
	v_fma_f64 v[26:27], v[26:27], v[38:39], -v[40:41]
	s_waitcnt vmcnt(5) lgkmcnt(1)
	v_mul_f64 v[164:165], v[2:3], v[44:45]
	v_mul_f64 v[44:45], v[4:5], v[44:45]
	s_waitcnt vmcnt(4) lgkmcnt(0)
	v_mul_f64 v[38:39], v[30:31], v[8:9]
	v_mul_f64 v[8:9], v[32:33], v[8:9]
	v_add_f64 v[34:35], v[36:37], v[34:35]
	v_add_f64 v[36:37], v[158:159], v[162:163]
	v_fma_f64 v[40:41], v[4:5], v[42:43], v[164:165]
	v_fma_f64 v[42:43], v[2:3], v[42:43], -v[44:45]
	v_fma_f64 v[32:33], v[32:33], v[6:7], v[38:39]
	v_fma_f64 v[6:7], v[30:31], v[6:7], -v[8:9]
	v_add_f64 v[34:35], v[34:35], v[26:27]
	v_add_f64 v[36:37], v[36:37], v[28:29]
	ds_load_b128 v[2:5], v1 offset:1568
	ds_load_b128 v[26:29], v1 offset:1584
	s_waitcnt vmcnt(3) lgkmcnt(1)
	v_mul_f64 v[44:45], v[2:3], v[12:13]
	v_mul_f64 v[12:13], v[4:5], v[12:13]
	v_add_f64 v[8:9], v[34:35], v[42:43]
	v_add_f64 v[30:31], v[36:37], v[40:41]
	s_waitcnt vmcnt(2) lgkmcnt(0)
	v_mul_f64 v[34:35], v[26:27], v[16:17]
	v_mul_f64 v[16:17], v[28:29], v[16:17]
	v_fma_f64 v[36:37], v[4:5], v[10:11], v[44:45]
	v_fma_f64 v[10:11], v[2:3], v[10:11], -v[12:13]
	v_add_f64 v[12:13], v[8:9], v[6:7]
	v_add_f64 v[30:31], v[30:31], v[32:33]
	ds_load_b128 v[2:5], v1 offset:1600
	ds_load_b128 v[6:9], v1 offset:1616
	v_fma_f64 v[28:29], v[28:29], v[14:15], v[34:35]
	v_fma_f64 v[14:15], v[26:27], v[14:15], -v[16:17]
	s_waitcnt vmcnt(1) lgkmcnt(1)
	v_mul_f64 v[32:33], v[2:3], v[20:21]
	v_mul_f64 v[20:21], v[4:5], v[20:21]
	s_waitcnt vmcnt(0) lgkmcnt(0)
	v_mul_f64 v[16:17], v[6:7], v[24:25]
	v_mul_f64 v[24:25], v[8:9], v[24:25]
	v_add_f64 v[10:11], v[12:13], v[10:11]
	v_add_f64 v[12:13], v[30:31], v[36:37]
	v_fma_f64 v[4:5], v[4:5], v[18:19], v[32:33]
	v_fma_f64 v[1:2], v[2:3], v[18:19], -v[20:21]
	v_fma_f64 v[8:9], v[8:9], v[22:23], v[16:17]
	v_fma_f64 v[6:7], v[6:7], v[22:23], -v[24:25]
	v_add_f64 v[10:11], v[10:11], v[14:15]
	v_add_f64 v[12:13], v[12:13], v[28:29]
	s_delay_alu instid0(VALU_DEP_2) | instskip(NEXT) | instid1(VALU_DEP_2)
	v_add_f64 v[1:2], v[10:11], v[1:2]
	v_add_f64 v[3:4], v[12:13], v[4:5]
	s_delay_alu instid0(VALU_DEP_2) | instskip(NEXT) | instid1(VALU_DEP_2)
	;; [unrolled: 3-line block ×3, first 2 shown]
	v_add_f64 v[1:2], v[154:155], -v[1:2]
	v_add_f64 v[3:4], v[156:157], -v[3:4]
	scratch_store_b128 off, v[1:4], off offset:64
	v_cmpx_lt_u32_e32 3, v148
	s_cbranch_execz .LBB50_313
; %bb.312:
	scratch_load_b128 v[1:4], v196, off
	v_mov_b32_e32 v5, 0
	s_delay_alu instid0(VALU_DEP_1)
	v_mov_b32_e32 v6, v5
	v_mov_b32_e32 v7, v5
	v_mov_b32_e32 v8, v5
	scratch_store_b128 off, v[5:8], off offset:48
	s_waitcnt vmcnt(0)
	ds_store_b128 v199, v[1:4]
.LBB50_313:
	s_or_b32 exec_lo, exec_lo, s2
	s_waitcnt lgkmcnt(0)
	s_waitcnt_vscnt null, 0x0
	s_barrier
	buffer_gl0_inv
	s_clause 0x7
	scratch_load_b128 v[2:5], off, off offset:64
	scratch_load_b128 v[6:9], off, off offset:80
	;; [unrolled: 1-line block ×8, first 2 shown]
	v_mov_b32_e32 v1, 0
	s_mov_b32 s2, exec_lo
	ds_load_b128 v[38:41], v1 offset:880
	s_clause 0x1
	scratch_load_b128 v[34:37], off, off offset:192
	scratch_load_b128 v[42:45], off, off offset:48
	ds_load_b128 v[154:157], v1 offset:896
	scratch_load_b128 v[158:161], off, off offset:208
	s_waitcnt vmcnt(10) lgkmcnt(1)
	v_mul_f64 v[162:163], v[40:41], v[4:5]
	v_mul_f64 v[4:5], v[38:39], v[4:5]
	s_delay_alu instid0(VALU_DEP_2) | instskip(NEXT) | instid1(VALU_DEP_2)
	v_fma_f64 v[214:215], v[38:39], v[2:3], -v[162:163]
	v_fma_f64 v[216:217], v[40:41], v[2:3], v[4:5]
	scratch_load_b128 v[38:41], off, off offset:224
	ds_load_b128 v[2:5], v1 offset:912
	s_waitcnt vmcnt(10) lgkmcnt(1)
	v_mul_f64 v[212:213], v[154:155], v[8:9]
	v_mul_f64 v[8:9], v[156:157], v[8:9]
	ds_load_b128 v[162:165], v1 offset:928
	s_waitcnt vmcnt(9) lgkmcnt(1)
	v_mul_f64 v[218:219], v[2:3], v[12:13]
	v_mul_f64 v[12:13], v[4:5], v[12:13]
	v_fma_f64 v[156:157], v[156:157], v[6:7], v[212:213]
	v_fma_f64 v[154:155], v[154:155], v[6:7], -v[8:9]
	v_add_f64 v[212:213], v[214:215], 0
	v_add_f64 v[214:215], v[216:217], 0
	scratch_load_b128 v[6:9], off, off offset:240
	v_fma_f64 v[218:219], v[4:5], v[10:11], v[218:219]
	v_fma_f64 v[220:221], v[2:3], v[10:11], -v[12:13]
	scratch_load_b128 v[10:13], off, off offset:256
	ds_load_b128 v[2:5], v1 offset:944
	s_waitcnt vmcnt(10) lgkmcnt(1)
	v_mul_f64 v[216:217], v[162:163], v[16:17]
	v_mul_f64 v[16:17], v[164:165], v[16:17]
	v_add_f64 v[212:213], v[212:213], v[154:155]
	v_add_f64 v[214:215], v[214:215], v[156:157]
	s_waitcnt vmcnt(9) lgkmcnt(0)
	v_mul_f64 v[222:223], v[2:3], v[20:21]
	v_mul_f64 v[20:21], v[4:5], v[20:21]
	ds_load_b128 v[154:157], v1 offset:960
	v_fma_f64 v[164:165], v[164:165], v[14:15], v[216:217]
	v_fma_f64 v[162:163], v[162:163], v[14:15], -v[16:17]
	scratch_load_b128 v[14:17], off, off offset:272
	v_add_f64 v[212:213], v[212:213], v[220:221]
	v_add_f64 v[214:215], v[214:215], v[218:219]
	v_fma_f64 v[218:219], v[4:5], v[18:19], v[222:223]
	v_fma_f64 v[220:221], v[2:3], v[18:19], -v[20:21]
	scratch_load_b128 v[18:21], off, off offset:288
	ds_load_b128 v[2:5], v1 offset:976
	s_waitcnt vmcnt(10) lgkmcnt(1)
	v_mul_f64 v[216:217], v[154:155], v[24:25]
	v_mul_f64 v[24:25], v[156:157], v[24:25]
	s_waitcnt vmcnt(9) lgkmcnt(0)
	v_mul_f64 v[222:223], v[2:3], v[28:29]
	v_mul_f64 v[28:29], v[4:5], v[28:29]
	v_add_f64 v[212:213], v[212:213], v[162:163]
	v_add_f64 v[214:215], v[214:215], v[164:165]
	ds_load_b128 v[162:165], v1 offset:992
	v_fma_f64 v[156:157], v[156:157], v[22:23], v[216:217]
	v_fma_f64 v[154:155], v[154:155], v[22:23], -v[24:25]
	scratch_load_b128 v[22:25], off, off offset:304
	v_add_f64 v[212:213], v[212:213], v[220:221]
	v_add_f64 v[214:215], v[214:215], v[218:219]
	v_fma_f64 v[218:219], v[4:5], v[26:27], v[222:223]
	v_fma_f64 v[220:221], v[2:3], v[26:27], -v[28:29]
	scratch_load_b128 v[26:29], off, off offset:320
	ds_load_b128 v[2:5], v1 offset:1008
	s_waitcnt vmcnt(10) lgkmcnt(1)
	v_mul_f64 v[216:217], v[162:163], v[32:33]
	v_mul_f64 v[32:33], v[164:165], v[32:33]
	s_waitcnt vmcnt(9) lgkmcnt(0)
	v_mul_f64 v[222:223], v[2:3], v[36:37]
	v_mul_f64 v[36:37], v[4:5], v[36:37]
	v_add_f64 v[212:213], v[212:213], v[154:155]
	v_add_f64 v[214:215], v[214:215], v[156:157]
	ds_load_b128 v[154:157], v1 offset:1024
	v_fma_f64 v[164:165], v[164:165], v[30:31], v[216:217]
	v_fma_f64 v[162:163], v[162:163], v[30:31], -v[32:33]
	scratch_load_b128 v[30:33], off, off offset:336
	v_add_f64 v[212:213], v[212:213], v[220:221]
	v_add_f64 v[214:215], v[214:215], v[218:219]
	v_fma_f64 v[220:221], v[4:5], v[34:35], v[222:223]
	v_fma_f64 v[222:223], v[2:3], v[34:35], -v[36:37]
	scratch_load_b128 v[34:37], off, off offset:352
	ds_load_b128 v[2:5], v1 offset:1040
	s_waitcnt vmcnt(9) lgkmcnt(1)
	v_mul_f64 v[216:217], v[154:155], v[160:161]
	v_mul_f64 v[218:219], v[156:157], v[160:161]
	v_add_f64 v[212:213], v[212:213], v[162:163]
	v_add_f64 v[164:165], v[214:215], v[164:165]
	ds_load_b128 v[160:163], v1 offset:1056
	v_fma_f64 v[216:217], v[156:157], v[158:159], v[216:217]
	v_fma_f64 v[158:159], v[154:155], v[158:159], -v[218:219]
	scratch_load_b128 v[154:157], off, off offset:368
	s_waitcnt vmcnt(9) lgkmcnt(1)
	v_mul_f64 v[214:215], v[2:3], v[40:41]
	v_mul_f64 v[40:41], v[4:5], v[40:41]
	v_add_f64 v[212:213], v[212:213], v[222:223]
	v_add_f64 v[164:165], v[164:165], v[220:221]
	s_delay_alu instid0(VALU_DEP_4) | instskip(NEXT) | instid1(VALU_DEP_4)
	v_fma_f64 v[220:221], v[4:5], v[38:39], v[214:215]
	v_fma_f64 v[222:223], v[2:3], v[38:39], -v[40:41]
	scratch_load_b128 v[38:41], off, off offset:384
	ds_load_b128 v[2:5], v1 offset:1072
	s_waitcnt vmcnt(9) lgkmcnt(1)
	v_mul_f64 v[218:219], v[160:161], v[8:9]
	v_mul_f64 v[8:9], v[162:163], v[8:9]
	v_add_f64 v[158:159], v[212:213], v[158:159]
	v_add_f64 v[164:165], v[164:165], v[216:217]
	s_waitcnt vmcnt(8) lgkmcnt(0)
	v_mul_f64 v[216:217], v[2:3], v[12:13]
	v_mul_f64 v[12:13], v[4:5], v[12:13]
	ds_load_b128 v[212:215], v1 offset:1088
	v_fma_f64 v[162:163], v[162:163], v[6:7], v[218:219]
	v_fma_f64 v[160:161], v[160:161], v[6:7], -v[8:9]
	scratch_load_b128 v[6:9], off, off offset:400
	v_add_f64 v[158:159], v[158:159], v[222:223]
	v_add_f64 v[164:165], v[164:165], v[220:221]
	v_fma_f64 v[216:217], v[4:5], v[10:11], v[216:217]
	v_fma_f64 v[220:221], v[2:3], v[10:11], -v[12:13]
	scratch_load_b128 v[10:13], off, off offset:416
	ds_load_b128 v[2:5], v1 offset:1104
	s_waitcnt vmcnt(9) lgkmcnt(1)
	v_mul_f64 v[218:219], v[212:213], v[16:17]
	v_mul_f64 v[16:17], v[214:215], v[16:17]
	v_add_f64 v[222:223], v[158:159], v[160:161]
	v_add_f64 v[162:163], v[164:165], v[162:163]
	s_waitcnt vmcnt(8) lgkmcnt(0)
	v_mul_f64 v[164:165], v[2:3], v[20:21]
	v_mul_f64 v[20:21], v[4:5], v[20:21]
	ds_load_b128 v[158:161], v1 offset:1120
	v_fma_f64 v[214:215], v[214:215], v[14:15], v[218:219]
	v_fma_f64 v[212:213], v[212:213], v[14:15], -v[16:17]
	scratch_load_b128 v[14:17], off, off offset:432
	v_add_f64 v[218:219], v[222:223], v[220:221]
	v_add_f64 v[162:163], v[162:163], v[216:217]
	v_fma_f64 v[220:221], v[4:5], v[18:19], v[164:165]
	v_fma_f64 v[222:223], v[2:3], v[18:19], -v[20:21]
	scratch_load_b128 v[18:21], off, off offset:448
	ds_load_b128 v[2:5], v1 offset:1136
	s_waitcnt vmcnt(9) lgkmcnt(1)
	v_mul_f64 v[216:217], v[158:159], v[24:25]
	v_mul_f64 v[24:25], v[160:161], v[24:25]
	v_add_f64 v[212:213], v[218:219], v[212:213]
	v_add_f64 v[214:215], v[162:163], v[214:215]
	s_waitcnt vmcnt(8) lgkmcnt(0)
	v_mul_f64 v[218:219], v[2:3], v[28:29]
	v_mul_f64 v[28:29], v[4:5], v[28:29]
	ds_load_b128 v[162:165], v1 offset:1152
	v_fma_f64 v[160:161], v[160:161], v[22:23], v[216:217]
	v_fma_f64 v[158:159], v[158:159], v[22:23], -v[24:25]
	scratch_load_b128 v[22:25], off, off offset:464
	v_add_f64 v[212:213], v[212:213], v[222:223]
	v_add_f64 v[214:215], v[214:215], v[220:221]
	v_fma_f64 v[218:219], v[4:5], v[26:27], v[218:219]
	v_fma_f64 v[220:221], v[2:3], v[26:27], -v[28:29]
	scratch_load_b128 v[26:29], off, off offset:480
	ds_load_b128 v[2:5], v1 offset:1168
	s_waitcnt vmcnt(9) lgkmcnt(1)
	v_mul_f64 v[216:217], v[162:163], v[32:33]
	v_mul_f64 v[32:33], v[164:165], v[32:33]
	s_waitcnt vmcnt(8) lgkmcnt(0)
	v_mul_f64 v[222:223], v[2:3], v[36:37]
	v_mul_f64 v[36:37], v[4:5], v[36:37]
	v_add_f64 v[212:213], v[212:213], v[158:159]
	v_add_f64 v[214:215], v[214:215], v[160:161]
	ds_load_b128 v[158:161], v1 offset:1184
	v_fma_f64 v[164:165], v[164:165], v[30:31], v[216:217]
	v_fma_f64 v[162:163], v[162:163], v[30:31], -v[32:33]
	scratch_load_b128 v[30:33], off, off offset:496
	v_add_f64 v[212:213], v[212:213], v[220:221]
	v_add_f64 v[214:215], v[214:215], v[218:219]
	v_fma_f64 v[218:219], v[4:5], v[34:35], v[222:223]
	v_fma_f64 v[220:221], v[2:3], v[34:35], -v[36:37]
	scratch_load_b128 v[34:37], off, off offset:512
	ds_load_b128 v[2:5], v1 offset:1200
	s_waitcnt vmcnt(9) lgkmcnt(1)
	v_mul_f64 v[216:217], v[158:159], v[156:157]
	v_mul_f64 v[156:157], v[160:161], v[156:157]
	s_waitcnt vmcnt(8) lgkmcnt(0)
	v_mul_f64 v[222:223], v[2:3], v[40:41]
	v_mul_f64 v[40:41], v[4:5], v[40:41]
	v_add_f64 v[212:213], v[212:213], v[162:163]
	v_add_f64 v[214:215], v[214:215], v[164:165]
	ds_load_b128 v[162:165], v1 offset:1216
	v_fma_f64 v[160:161], v[160:161], v[154:155], v[216:217]
	v_fma_f64 v[158:159], v[158:159], v[154:155], -v[156:157]
	scratch_load_b128 v[154:157], off, off offset:528
	v_add_f64 v[212:213], v[212:213], v[220:221]
	v_add_f64 v[214:215], v[214:215], v[218:219]
	;; [unrolled: 18-line block ×6, first 2 shown]
	v_fma_f64 v[220:221], v[4:5], v[34:35], v[222:223]
	v_fma_f64 v[222:223], v[2:3], v[34:35], -v[36:37]
	scratch_load_b128 v[34:37], off, off offset:672
	ds_load_b128 v[2:5], v1 offset:1360
	s_waitcnt vmcnt(9) lgkmcnt(1)
	v_mul_f64 v[216:217], v[162:163], v[156:157]
	v_mul_f64 v[218:219], v[164:165], v[156:157]
	v_add_f64 v[212:213], v[212:213], v[158:159]
	v_add_f64 v[160:161], v[214:215], v[160:161]
	s_waitcnt vmcnt(8) lgkmcnt(0)
	v_mul_f64 v[214:215], v[2:3], v[40:41]
	v_mul_f64 v[40:41], v[4:5], v[40:41]
	ds_load_b128 v[156:159], v1 offset:1376
	v_fma_f64 v[164:165], v[164:165], v[154:155], v[216:217]
	v_fma_f64 v[154:155], v[162:163], v[154:155], -v[218:219]
	v_add_f64 v[212:213], v[212:213], v[222:223]
	v_add_f64 v[216:217], v[160:161], v[220:221]
	scratch_load_b128 v[160:163], off, off offset:688
	v_fma_f64 v[220:221], v[4:5], v[38:39], v[214:215]
	v_fma_f64 v[222:223], v[2:3], v[38:39], -v[40:41]
	scratch_load_b128 v[38:41], off, off offset:704
	ds_load_b128 v[2:5], v1 offset:1392
	s_waitcnt vmcnt(9) lgkmcnt(1)
	v_mul_f64 v[218:219], v[156:157], v[8:9]
	v_mul_f64 v[8:9], v[158:159], v[8:9]
	v_add_f64 v[154:155], v[212:213], v[154:155]
	v_add_f64 v[164:165], v[216:217], v[164:165]
	s_waitcnt vmcnt(8) lgkmcnt(0)
	v_mul_f64 v[216:217], v[2:3], v[12:13]
	v_mul_f64 v[12:13], v[4:5], v[12:13]
	ds_load_b128 v[212:215], v1 offset:1408
	v_fma_f64 v[158:159], v[158:159], v[6:7], v[218:219]
	v_fma_f64 v[156:157], v[156:157], v[6:7], -v[8:9]
	scratch_load_b128 v[6:9], off, off offset:720
	v_add_f64 v[154:155], v[154:155], v[222:223]
	v_add_f64 v[164:165], v[164:165], v[220:221]
	v_fma_f64 v[216:217], v[4:5], v[10:11], v[216:217]
	v_fma_f64 v[220:221], v[2:3], v[10:11], -v[12:13]
	scratch_load_b128 v[10:13], off, off offset:736
	ds_load_b128 v[2:5], v1 offset:1424
	s_waitcnt vmcnt(9) lgkmcnt(1)
	v_mul_f64 v[218:219], v[212:213], v[16:17]
	v_mul_f64 v[16:17], v[214:215], v[16:17]
	v_add_f64 v[222:223], v[154:155], v[156:157]
	v_add_f64 v[158:159], v[164:165], v[158:159]
	s_waitcnt vmcnt(8) lgkmcnt(0)
	v_mul_f64 v[164:165], v[2:3], v[20:21]
	v_mul_f64 v[20:21], v[4:5], v[20:21]
	ds_load_b128 v[154:157], v1 offset:1440
	v_fma_f64 v[214:215], v[214:215], v[14:15], v[218:219]
	v_fma_f64 v[212:213], v[212:213], v[14:15], -v[16:17]
	scratch_load_b128 v[14:17], off, off offset:752
	v_add_f64 v[218:219], v[222:223], v[220:221]
	v_add_f64 v[158:159], v[158:159], v[216:217]
	v_fma_f64 v[164:165], v[4:5], v[18:19], v[164:165]
	v_fma_f64 v[220:221], v[2:3], v[18:19], -v[20:21]
	scratch_load_b128 v[18:21], off, off offset:768
	ds_load_b128 v[2:5], v1 offset:1456
	s_waitcnt vmcnt(9) lgkmcnt(1)
	v_mul_f64 v[216:217], v[154:155], v[24:25]
	v_mul_f64 v[24:25], v[156:157], v[24:25]
	s_waitcnt vmcnt(8) lgkmcnt(0)
	v_mul_f64 v[222:223], v[2:3], v[28:29]
	v_mul_f64 v[28:29], v[4:5], v[28:29]
	v_add_f64 v[218:219], v[218:219], v[212:213]
	v_add_f64 v[158:159], v[158:159], v[214:215]
	ds_load_b128 v[212:215], v1 offset:1472
	v_fma_f64 v[156:157], v[156:157], v[22:23], v[216:217]
	v_fma_f64 v[154:155], v[154:155], v[22:23], -v[24:25]
	scratch_load_b128 v[22:25], off, off offset:784
	v_add_f64 v[216:217], v[218:219], v[220:221]
	v_add_f64 v[158:159], v[158:159], v[164:165]
	v_fma_f64 v[218:219], v[4:5], v[26:27], v[222:223]
	v_fma_f64 v[220:221], v[2:3], v[26:27], -v[28:29]
	scratch_load_b128 v[26:29], off, off offset:800
	ds_load_b128 v[2:5], v1 offset:1488
	s_waitcnt vmcnt(9) lgkmcnt(1)
	v_mul_f64 v[164:165], v[212:213], v[32:33]
	v_mul_f64 v[32:33], v[214:215], v[32:33]
	s_waitcnt vmcnt(8) lgkmcnt(0)
	v_mul_f64 v[222:223], v[2:3], v[36:37]
	v_mul_f64 v[36:37], v[4:5], v[36:37]
	v_add_f64 v[216:217], v[216:217], v[154:155]
	v_add_f64 v[158:159], v[158:159], v[156:157]
	ds_load_b128 v[154:157], v1 offset:1504
	v_fma_f64 v[164:165], v[214:215], v[30:31], v[164:165]
	v_fma_f64 v[30:31], v[212:213], v[30:31], -v[32:33]
	v_fma_f64 v[214:215], v[4:5], v[34:35], v[222:223]
	v_fma_f64 v[34:35], v[2:3], v[34:35], -v[36:37]
	v_add_f64 v[32:33], v[216:217], v[220:221]
	v_add_f64 v[158:159], v[158:159], v[218:219]
	s_waitcnt vmcnt(7) lgkmcnt(0)
	v_mul_f64 v[212:213], v[154:155], v[162:163]
	v_mul_f64 v[162:163], v[156:157], v[162:163]
	s_delay_alu instid0(VALU_DEP_4) | instskip(NEXT) | instid1(VALU_DEP_4)
	v_add_f64 v[36:37], v[32:33], v[30:31]
	v_add_f64 v[158:159], v[158:159], v[164:165]
	ds_load_b128 v[2:5], v1 offset:1520
	ds_load_b128 v[30:33], v1 offset:1536
	v_fma_f64 v[156:157], v[156:157], v[160:161], v[212:213]
	v_fma_f64 v[154:155], v[154:155], v[160:161], -v[162:163]
	s_waitcnt vmcnt(6) lgkmcnt(1)
	v_mul_f64 v[164:165], v[2:3], v[40:41]
	v_mul_f64 v[40:41], v[4:5], v[40:41]
	v_add_f64 v[34:35], v[36:37], v[34:35]
	v_add_f64 v[36:37], v[158:159], v[214:215]
	s_waitcnt vmcnt(5) lgkmcnt(0)
	v_mul_f64 v[158:159], v[30:31], v[8:9]
	v_mul_f64 v[8:9], v[32:33], v[8:9]
	v_fma_f64 v[160:161], v[4:5], v[38:39], v[164:165]
	v_fma_f64 v[38:39], v[2:3], v[38:39], -v[40:41]
	v_add_f64 v[40:41], v[34:35], v[154:155]
	v_add_f64 v[154:155], v[36:37], v[156:157]
	ds_load_b128 v[2:5], v1 offset:1552
	ds_load_b128 v[34:37], v1 offset:1568
	v_fma_f64 v[32:33], v[32:33], v[6:7], v[158:159]
	v_fma_f64 v[6:7], v[30:31], v[6:7], -v[8:9]
	s_waitcnt vmcnt(4) lgkmcnt(1)
	v_mul_f64 v[156:157], v[2:3], v[12:13]
	v_mul_f64 v[12:13], v[4:5], v[12:13]
	v_add_f64 v[8:9], v[40:41], v[38:39]
	v_add_f64 v[30:31], v[154:155], v[160:161]
	s_waitcnt vmcnt(3) lgkmcnt(0)
	v_mul_f64 v[38:39], v[34:35], v[16:17]
	v_mul_f64 v[16:17], v[36:37], v[16:17]
	v_fma_f64 v[40:41], v[4:5], v[10:11], v[156:157]
	v_fma_f64 v[10:11], v[2:3], v[10:11], -v[12:13]
	v_add_f64 v[12:13], v[8:9], v[6:7]
	v_add_f64 v[30:31], v[30:31], v[32:33]
	ds_load_b128 v[2:5], v1 offset:1584
	ds_load_b128 v[6:9], v1 offset:1600
	v_fma_f64 v[36:37], v[36:37], v[14:15], v[38:39]
	v_fma_f64 v[14:15], v[34:35], v[14:15], -v[16:17]
	s_waitcnt vmcnt(2) lgkmcnt(1)
	v_mul_f64 v[32:33], v[2:3], v[20:21]
	v_mul_f64 v[20:21], v[4:5], v[20:21]
	s_waitcnt vmcnt(1) lgkmcnt(0)
	v_mul_f64 v[16:17], v[6:7], v[24:25]
	v_mul_f64 v[24:25], v[8:9], v[24:25]
	v_add_f64 v[10:11], v[12:13], v[10:11]
	v_add_f64 v[12:13], v[30:31], v[40:41]
	v_fma_f64 v[30:31], v[4:5], v[18:19], v[32:33]
	v_fma_f64 v[18:19], v[2:3], v[18:19], -v[20:21]
	ds_load_b128 v[2:5], v1 offset:1616
	v_fma_f64 v[8:9], v[8:9], v[22:23], v[16:17]
	v_fma_f64 v[6:7], v[6:7], v[22:23], -v[24:25]
	v_add_f64 v[10:11], v[10:11], v[14:15]
	v_add_f64 v[12:13], v[12:13], v[36:37]
	s_waitcnt vmcnt(0) lgkmcnt(0)
	v_mul_f64 v[14:15], v[2:3], v[28:29]
	v_mul_f64 v[20:21], v[4:5], v[28:29]
	s_delay_alu instid0(VALU_DEP_4) | instskip(NEXT) | instid1(VALU_DEP_4)
	v_add_f64 v[10:11], v[10:11], v[18:19]
	v_add_f64 v[12:13], v[12:13], v[30:31]
	s_delay_alu instid0(VALU_DEP_4) | instskip(NEXT) | instid1(VALU_DEP_4)
	v_fma_f64 v[4:5], v[4:5], v[26:27], v[14:15]
	v_fma_f64 v[2:3], v[2:3], v[26:27], -v[20:21]
	s_delay_alu instid0(VALU_DEP_4) | instskip(NEXT) | instid1(VALU_DEP_4)
	v_add_f64 v[6:7], v[10:11], v[6:7]
	v_add_f64 v[8:9], v[12:13], v[8:9]
	s_delay_alu instid0(VALU_DEP_2) | instskip(NEXT) | instid1(VALU_DEP_2)
	v_add_f64 v[2:3], v[6:7], v[2:3]
	v_add_f64 v[4:5], v[8:9], v[4:5]
	s_delay_alu instid0(VALU_DEP_2) | instskip(NEXT) | instid1(VALU_DEP_2)
	v_add_f64 v[2:3], v[42:43], -v[2:3]
	v_add_f64 v[4:5], v[44:45], -v[4:5]
	scratch_store_b128 off, v[2:5], off offset:48
	v_cmpx_lt_u32_e32 2, v148
	s_cbranch_execz .LBB50_315
; %bb.314:
	scratch_load_b128 v[5:8], v197, off
	v_mov_b32_e32 v2, v1
	v_mov_b32_e32 v3, v1
	;; [unrolled: 1-line block ×3, first 2 shown]
	scratch_store_b128 off, v[1:4], off offset:32
	s_waitcnt vmcnt(0)
	ds_store_b128 v199, v[5:8]
.LBB50_315:
	s_or_b32 exec_lo, exec_lo, s2
	s_waitcnt lgkmcnt(0)
	s_waitcnt_vscnt null, 0x0
	s_barrier
	buffer_gl0_inv
	s_clause 0x8
	scratch_load_b128 v[2:5], off, off offset:48
	scratch_load_b128 v[6:9], off, off offset:64
	;; [unrolled: 1-line block ×9, first 2 shown]
	ds_load_b128 v[42:45], v1 offset:864
	ds_load_b128 v[38:41], v1 offset:880
	s_clause 0x1
	scratch_load_b128 v[154:157], off, off offset:32
	scratch_load_b128 v[158:161], off, off offset:192
	s_mov_b32 s2, exec_lo
	s_waitcnt vmcnt(10) lgkmcnt(1)
	v_mul_f64 v[162:163], v[44:45], v[4:5]
	v_mul_f64 v[4:5], v[42:43], v[4:5]
	s_waitcnt vmcnt(9) lgkmcnt(0)
	v_mul_f64 v[212:213], v[38:39], v[8:9]
	v_mul_f64 v[8:9], v[40:41], v[8:9]
	s_delay_alu instid0(VALU_DEP_4) | instskip(NEXT) | instid1(VALU_DEP_4)
	v_fma_f64 v[214:215], v[42:43], v[2:3], -v[162:163]
	v_fma_f64 v[216:217], v[44:45], v[2:3], v[4:5]
	ds_load_b128 v[2:5], v1 offset:896
	ds_load_b128 v[162:165], v1 offset:912
	scratch_load_b128 v[42:45], off, off offset:208
	v_fma_f64 v[40:41], v[40:41], v[6:7], v[212:213]
	v_fma_f64 v[38:39], v[38:39], v[6:7], -v[8:9]
	scratch_load_b128 v[6:9], off, off offset:224
	s_waitcnt vmcnt(10) lgkmcnt(1)
	v_mul_f64 v[218:219], v[2:3], v[12:13]
	v_mul_f64 v[12:13], v[4:5], v[12:13]
	v_add_f64 v[212:213], v[214:215], 0
	v_add_f64 v[214:215], v[216:217], 0
	s_waitcnt vmcnt(9) lgkmcnt(0)
	v_mul_f64 v[216:217], v[162:163], v[16:17]
	v_mul_f64 v[16:17], v[164:165], v[16:17]
	v_fma_f64 v[218:219], v[4:5], v[10:11], v[218:219]
	v_fma_f64 v[220:221], v[2:3], v[10:11], -v[12:13]
	ds_load_b128 v[2:5], v1 offset:928
	scratch_load_b128 v[10:13], off, off offset:240
	v_add_f64 v[212:213], v[212:213], v[38:39]
	v_add_f64 v[214:215], v[214:215], v[40:41]
	ds_load_b128 v[38:41], v1 offset:944
	v_fma_f64 v[164:165], v[164:165], v[14:15], v[216:217]
	v_fma_f64 v[162:163], v[162:163], v[14:15], -v[16:17]
	scratch_load_b128 v[14:17], off, off offset:256
	s_waitcnt vmcnt(10) lgkmcnt(1)
	v_mul_f64 v[222:223], v[2:3], v[20:21]
	v_mul_f64 v[20:21], v[4:5], v[20:21]
	s_waitcnt vmcnt(9) lgkmcnt(0)
	v_mul_f64 v[216:217], v[38:39], v[24:25]
	v_mul_f64 v[24:25], v[40:41], v[24:25]
	v_add_f64 v[212:213], v[212:213], v[220:221]
	v_add_f64 v[214:215], v[214:215], v[218:219]
	v_fma_f64 v[218:219], v[4:5], v[18:19], v[222:223]
	v_fma_f64 v[220:221], v[2:3], v[18:19], -v[20:21]
	ds_load_b128 v[2:5], v1 offset:960
	scratch_load_b128 v[18:21], off, off offset:272
	v_fma_f64 v[40:41], v[40:41], v[22:23], v[216:217]
	v_fma_f64 v[38:39], v[38:39], v[22:23], -v[24:25]
	scratch_load_b128 v[22:25], off, off offset:288
	v_add_f64 v[212:213], v[212:213], v[162:163]
	v_add_f64 v[214:215], v[214:215], v[164:165]
	ds_load_b128 v[162:165], v1 offset:976
	s_waitcnt vmcnt(10) lgkmcnt(1)
	v_mul_f64 v[222:223], v[2:3], v[28:29]
	v_mul_f64 v[28:29], v[4:5], v[28:29]
	s_waitcnt vmcnt(9) lgkmcnt(0)
	v_mul_f64 v[216:217], v[162:163], v[32:33]
	v_mul_f64 v[32:33], v[164:165], v[32:33]
	v_add_f64 v[212:213], v[212:213], v[220:221]
	v_add_f64 v[214:215], v[214:215], v[218:219]
	v_fma_f64 v[218:219], v[4:5], v[26:27], v[222:223]
	v_fma_f64 v[220:221], v[2:3], v[26:27], -v[28:29]
	ds_load_b128 v[2:5], v1 offset:992
	scratch_load_b128 v[26:29], off, off offset:304
	v_fma_f64 v[164:165], v[164:165], v[30:31], v[216:217]
	v_fma_f64 v[162:163], v[162:163], v[30:31], -v[32:33]
	scratch_load_b128 v[30:33], off, off offset:320
	v_add_f64 v[212:213], v[212:213], v[38:39]
	v_add_f64 v[214:215], v[214:215], v[40:41]
	ds_load_b128 v[38:41], v1 offset:1008
	s_waitcnt vmcnt(10) lgkmcnt(1)
	v_mul_f64 v[222:223], v[2:3], v[36:37]
	v_mul_f64 v[36:37], v[4:5], v[36:37]
	s_waitcnt vmcnt(8) lgkmcnt(0)
	v_mul_f64 v[216:217], v[38:39], v[160:161]
	v_add_f64 v[212:213], v[212:213], v[220:221]
	v_add_f64 v[214:215], v[214:215], v[218:219]
	v_mul_f64 v[218:219], v[40:41], v[160:161]
	v_fma_f64 v[220:221], v[4:5], v[34:35], v[222:223]
	v_fma_f64 v[222:223], v[2:3], v[34:35], -v[36:37]
	ds_load_b128 v[2:5], v1 offset:1024
	scratch_load_b128 v[34:37], off, off offset:336
	v_fma_f64 v[216:217], v[40:41], v[158:159], v[216:217]
	v_add_f64 v[212:213], v[212:213], v[162:163]
	v_add_f64 v[164:165], v[214:215], v[164:165]
	ds_load_b128 v[160:163], v1 offset:1040
	v_fma_f64 v[158:159], v[38:39], v[158:159], -v[218:219]
	scratch_load_b128 v[38:41], off, off offset:352
	s_waitcnt vmcnt(9) lgkmcnt(1)
	v_mul_f64 v[214:215], v[2:3], v[44:45]
	v_mul_f64 v[44:45], v[4:5], v[44:45]
	s_waitcnt vmcnt(8) lgkmcnt(0)
	v_mul_f64 v[218:219], v[160:161], v[8:9]
	v_mul_f64 v[8:9], v[162:163], v[8:9]
	v_add_f64 v[212:213], v[212:213], v[222:223]
	v_add_f64 v[164:165], v[164:165], v[220:221]
	v_fma_f64 v[220:221], v[4:5], v[42:43], v[214:215]
	v_fma_f64 v[222:223], v[2:3], v[42:43], -v[44:45]
	ds_load_b128 v[2:5], v1 offset:1056
	scratch_load_b128 v[42:45], off, off offset:368
	v_fma_f64 v[162:163], v[162:163], v[6:7], v[218:219]
	v_fma_f64 v[160:161], v[160:161], v[6:7], -v[8:9]
	scratch_load_b128 v[6:9], off, off offset:384
	v_add_f64 v[158:159], v[212:213], v[158:159]
	v_add_f64 v[164:165], v[164:165], v[216:217]
	ds_load_b128 v[212:215], v1 offset:1072
	s_waitcnt vmcnt(9) lgkmcnt(1)
	v_mul_f64 v[216:217], v[2:3], v[12:13]
	v_mul_f64 v[12:13], v[4:5], v[12:13]
	s_waitcnt vmcnt(8) lgkmcnt(0)
	v_mul_f64 v[218:219], v[212:213], v[16:17]
	v_mul_f64 v[16:17], v[214:215], v[16:17]
	v_add_f64 v[158:159], v[158:159], v[222:223]
	v_add_f64 v[164:165], v[164:165], v[220:221]
	v_fma_f64 v[216:217], v[4:5], v[10:11], v[216:217]
	v_fma_f64 v[220:221], v[2:3], v[10:11], -v[12:13]
	ds_load_b128 v[2:5], v1 offset:1088
	scratch_load_b128 v[10:13], off, off offset:400
	v_fma_f64 v[214:215], v[214:215], v[14:15], v[218:219]
	v_fma_f64 v[212:213], v[212:213], v[14:15], -v[16:17]
	scratch_load_b128 v[14:17], off, off offset:416
	v_add_f64 v[222:223], v[158:159], v[160:161]
	v_add_f64 v[162:163], v[164:165], v[162:163]
	ds_load_b128 v[158:161], v1 offset:1104
	s_waitcnt vmcnt(9) lgkmcnt(1)
	v_mul_f64 v[164:165], v[2:3], v[20:21]
	v_mul_f64 v[20:21], v[4:5], v[20:21]
	v_add_f64 v[218:219], v[222:223], v[220:221]
	v_add_f64 v[162:163], v[162:163], v[216:217]
	s_waitcnt vmcnt(8) lgkmcnt(0)
	v_mul_f64 v[216:217], v[158:159], v[24:25]
	v_mul_f64 v[24:25], v[160:161], v[24:25]
	v_fma_f64 v[220:221], v[4:5], v[18:19], v[164:165]
	v_fma_f64 v[222:223], v[2:3], v[18:19], -v[20:21]
	ds_load_b128 v[2:5], v1 offset:1120
	scratch_load_b128 v[18:21], off, off offset:432
	v_add_f64 v[212:213], v[218:219], v[212:213]
	v_add_f64 v[214:215], v[162:163], v[214:215]
	ds_load_b128 v[162:165], v1 offset:1136
	s_waitcnt vmcnt(8) lgkmcnt(1)
	v_mul_f64 v[218:219], v[2:3], v[28:29]
	v_mul_f64 v[28:29], v[4:5], v[28:29]
	v_fma_f64 v[160:161], v[160:161], v[22:23], v[216:217]
	v_fma_f64 v[158:159], v[158:159], v[22:23], -v[24:25]
	scratch_load_b128 v[22:25], off, off offset:448
	s_waitcnt vmcnt(8) lgkmcnt(0)
	v_mul_f64 v[216:217], v[162:163], v[32:33]
	v_mul_f64 v[32:33], v[164:165], v[32:33]
	v_add_f64 v[212:213], v[212:213], v[222:223]
	v_add_f64 v[214:215], v[214:215], v[220:221]
	v_fma_f64 v[218:219], v[4:5], v[26:27], v[218:219]
	v_fma_f64 v[220:221], v[2:3], v[26:27], -v[28:29]
	ds_load_b128 v[2:5], v1 offset:1152
	scratch_load_b128 v[26:29], off, off offset:464
	v_fma_f64 v[164:165], v[164:165], v[30:31], v[216:217]
	v_fma_f64 v[162:163], v[162:163], v[30:31], -v[32:33]
	scratch_load_b128 v[30:33], off, off offset:480
	v_add_f64 v[212:213], v[212:213], v[158:159]
	v_add_f64 v[214:215], v[214:215], v[160:161]
	ds_load_b128 v[158:161], v1 offset:1168
	s_waitcnt vmcnt(9) lgkmcnt(1)
	v_mul_f64 v[222:223], v[2:3], v[36:37]
	v_mul_f64 v[36:37], v[4:5], v[36:37]
	s_waitcnt vmcnt(8) lgkmcnt(0)
	v_mul_f64 v[216:217], v[158:159], v[40:41]
	v_mul_f64 v[40:41], v[160:161], v[40:41]
	v_add_f64 v[212:213], v[212:213], v[220:221]
	v_add_f64 v[214:215], v[214:215], v[218:219]
	v_fma_f64 v[218:219], v[4:5], v[34:35], v[222:223]
	v_fma_f64 v[220:221], v[2:3], v[34:35], -v[36:37]
	ds_load_b128 v[2:5], v1 offset:1184
	scratch_load_b128 v[34:37], off, off offset:496
	v_fma_f64 v[160:161], v[160:161], v[38:39], v[216:217]
	v_fma_f64 v[158:159], v[158:159], v[38:39], -v[40:41]
	scratch_load_b128 v[38:41], off, off offset:512
	v_add_f64 v[212:213], v[212:213], v[162:163]
	v_add_f64 v[214:215], v[214:215], v[164:165]
	ds_load_b128 v[162:165], v1 offset:1200
	s_waitcnt vmcnt(9) lgkmcnt(1)
	v_mul_f64 v[222:223], v[2:3], v[44:45]
	v_mul_f64 v[44:45], v[4:5], v[44:45]
	;; [unrolled: 18-line block ×11, first 2 shown]
	s_waitcnt vmcnt(8) lgkmcnt(0)
	v_mul_f64 v[216:217], v[158:159], v[40:41]
	v_mul_f64 v[40:41], v[160:161], v[40:41]
	v_add_f64 v[212:213], v[212:213], v[220:221]
	v_add_f64 v[214:215], v[214:215], v[218:219]
	v_fma_f64 v[218:219], v[4:5], v[34:35], v[222:223]
	v_fma_f64 v[220:221], v[2:3], v[34:35], -v[36:37]
	ds_load_b128 v[2:5], v1 offset:1504
	ds_load_b128 v[34:37], v1 offset:1520
	v_fma_f64 v[160:161], v[160:161], v[38:39], v[216:217]
	v_fma_f64 v[38:39], v[158:159], v[38:39], -v[40:41]
	v_add_f64 v[162:163], v[212:213], v[162:163]
	v_add_f64 v[164:165], v[214:215], v[164:165]
	s_waitcnt vmcnt(7) lgkmcnt(1)
	v_mul_f64 v[212:213], v[2:3], v[44:45]
	v_mul_f64 v[44:45], v[4:5], v[44:45]
	s_delay_alu instid0(VALU_DEP_4) | instskip(NEXT) | instid1(VALU_DEP_4)
	v_add_f64 v[40:41], v[162:163], v[220:221]
	v_add_f64 v[158:159], v[164:165], v[218:219]
	s_waitcnt vmcnt(6) lgkmcnt(0)
	v_mul_f64 v[162:163], v[34:35], v[8:9]
	v_mul_f64 v[8:9], v[36:37], v[8:9]
	v_fma_f64 v[164:165], v[4:5], v[42:43], v[212:213]
	v_fma_f64 v[42:43], v[2:3], v[42:43], -v[44:45]
	v_add_f64 v[44:45], v[40:41], v[38:39]
	v_add_f64 v[158:159], v[158:159], v[160:161]
	ds_load_b128 v[2:5], v1 offset:1536
	ds_load_b128 v[38:41], v1 offset:1552
	v_fma_f64 v[36:37], v[36:37], v[6:7], v[162:163]
	v_fma_f64 v[6:7], v[34:35], v[6:7], -v[8:9]
	s_waitcnt vmcnt(5) lgkmcnt(1)
	v_mul_f64 v[160:161], v[2:3], v[12:13]
	v_mul_f64 v[12:13], v[4:5], v[12:13]
	v_add_f64 v[8:9], v[44:45], v[42:43]
	v_add_f64 v[34:35], v[158:159], v[164:165]
	s_waitcnt vmcnt(4) lgkmcnt(0)
	v_mul_f64 v[42:43], v[38:39], v[16:17]
	v_mul_f64 v[16:17], v[40:41], v[16:17]
	v_fma_f64 v[44:45], v[4:5], v[10:11], v[160:161]
	v_fma_f64 v[10:11], v[2:3], v[10:11], -v[12:13]
	v_add_f64 v[12:13], v[8:9], v[6:7]
	v_add_f64 v[34:35], v[34:35], v[36:37]
	ds_load_b128 v[2:5], v1 offset:1568
	ds_load_b128 v[6:9], v1 offset:1584
	v_fma_f64 v[40:41], v[40:41], v[14:15], v[42:43]
	v_fma_f64 v[14:15], v[38:39], v[14:15], -v[16:17]
	s_waitcnt vmcnt(3) lgkmcnt(1)
	v_mul_f64 v[36:37], v[2:3], v[20:21]
	v_mul_f64 v[20:21], v[4:5], v[20:21]
	s_waitcnt vmcnt(2) lgkmcnt(0)
	v_mul_f64 v[16:17], v[6:7], v[24:25]
	v_mul_f64 v[24:25], v[8:9], v[24:25]
	v_add_f64 v[10:11], v[12:13], v[10:11]
	v_add_f64 v[12:13], v[34:35], v[44:45]
	v_fma_f64 v[34:35], v[4:5], v[18:19], v[36:37]
	v_fma_f64 v[18:19], v[2:3], v[18:19], -v[20:21]
	v_fma_f64 v[8:9], v[8:9], v[22:23], v[16:17]
	v_fma_f64 v[6:7], v[6:7], v[22:23], -v[24:25]
	v_add_f64 v[14:15], v[10:11], v[14:15]
	v_add_f64 v[20:21], v[12:13], v[40:41]
	ds_load_b128 v[2:5], v1 offset:1600
	ds_load_b128 v[10:13], v1 offset:1616
	s_waitcnt vmcnt(1) lgkmcnt(1)
	v_mul_f64 v[36:37], v[2:3], v[28:29]
	v_mul_f64 v[28:29], v[4:5], v[28:29]
	v_add_f64 v[14:15], v[14:15], v[18:19]
	v_add_f64 v[16:17], v[20:21], v[34:35]
	s_waitcnt vmcnt(0) lgkmcnt(0)
	v_mul_f64 v[18:19], v[10:11], v[32:33]
	v_mul_f64 v[20:21], v[12:13], v[32:33]
	v_fma_f64 v[4:5], v[4:5], v[26:27], v[36:37]
	v_fma_f64 v[1:2], v[2:3], v[26:27], -v[28:29]
	v_add_f64 v[6:7], v[14:15], v[6:7]
	v_add_f64 v[8:9], v[16:17], v[8:9]
	v_fma_f64 v[12:13], v[12:13], v[30:31], v[18:19]
	v_fma_f64 v[10:11], v[10:11], v[30:31], -v[20:21]
	s_delay_alu instid0(VALU_DEP_4) | instskip(NEXT) | instid1(VALU_DEP_4)
	v_add_f64 v[1:2], v[6:7], v[1:2]
	v_add_f64 v[3:4], v[8:9], v[4:5]
	s_delay_alu instid0(VALU_DEP_2) | instskip(NEXT) | instid1(VALU_DEP_2)
	v_add_f64 v[1:2], v[1:2], v[10:11]
	v_add_f64 v[3:4], v[3:4], v[12:13]
	s_delay_alu instid0(VALU_DEP_2) | instskip(NEXT) | instid1(VALU_DEP_2)
	v_add_f64 v[1:2], v[154:155], -v[1:2]
	v_add_f64 v[3:4], v[156:157], -v[3:4]
	scratch_store_b128 off, v[1:4], off offset:32
	v_cmpx_lt_u32_e32 1, v148
	s_cbranch_execz .LBB50_317
; %bb.316:
	scratch_load_b128 v[1:4], v198, off
	v_mov_b32_e32 v5, 0
	s_delay_alu instid0(VALU_DEP_1)
	v_mov_b32_e32 v6, v5
	v_mov_b32_e32 v7, v5
	;; [unrolled: 1-line block ×3, first 2 shown]
	scratch_store_b128 off, v[5:8], off offset:16
	s_waitcnt vmcnt(0)
	ds_store_b128 v199, v[1:4]
.LBB50_317:
	s_or_b32 exec_lo, exec_lo, s2
	s_waitcnt lgkmcnt(0)
	s_waitcnt_vscnt null, 0x0
	s_barrier
	buffer_gl0_inv
	s_clause 0x7
	scratch_load_b128 v[2:5], off, off offset:32
	scratch_load_b128 v[6:9], off, off offset:48
	;; [unrolled: 1-line block ×8, first 2 shown]
	v_mov_b32_e32 v1, 0
	s_mov_b32 s2, exec_lo
	ds_load_b128 v[38:41], v1 offset:848
	s_clause 0x1
	scratch_load_b128 v[34:37], off, off offset:160
	scratch_load_b128 v[42:45], off, off offset:16
	ds_load_b128 v[154:157], v1 offset:864
	scratch_load_b128 v[158:161], off, off offset:176
	s_waitcnt vmcnt(10) lgkmcnt(1)
	v_mul_f64 v[162:163], v[40:41], v[4:5]
	v_mul_f64 v[4:5], v[38:39], v[4:5]
	s_delay_alu instid0(VALU_DEP_2) | instskip(NEXT) | instid1(VALU_DEP_2)
	v_fma_f64 v[214:215], v[38:39], v[2:3], -v[162:163]
	v_fma_f64 v[216:217], v[40:41], v[2:3], v[4:5]
	scratch_load_b128 v[38:41], off, off offset:192
	ds_load_b128 v[2:5], v1 offset:880
	s_waitcnt vmcnt(10) lgkmcnt(1)
	v_mul_f64 v[212:213], v[154:155], v[8:9]
	v_mul_f64 v[8:9], v[156:157], v[8:9]
	ds_load_b128 v[162:165], v1 offset:896
	s_waitcnt vmcnt(9) lgkmcnt(1)
	v_mul_f64 v[218:219], v[2:3], v[12:13]
	v_mul_f64 v[12:13], v[4:5], v[12:13]
	v_fma_f64 v[156:157], v[156:157], v[6:7], v[212:213]
	v_fma_f64 v[154:155], v[154:155], v[6:7], -v[8:9]
	v_add_f64 v[212:213], v[214:215], 0
	v_add_f64 v[214:215], v[216:217], 0
	scratch_load_b128 v[6:9], off, off offset:208
	v_fma_f64 v[218:219], v[4:5], v[10:11], v[218:219]
	v_fma_f64 v[220:221], v[2:3], v[10:11], -v[12:13]
	scratch_load_b128 v[10:13], off, off offset:224
	ds_load_b128 v[2:5], v1 offset:912
	s_waitcnt vmcnt(10) lgkmcnt(1)
	v_mul_f64 v[216:217], v[162:163], v[16:17]
	v_mul_f64 v[16:17], v[164:165], v[16:17]
	v_add_f64 v[212:213], v[212:213], v[154:155]
	v_add_f64 v[214:215], v[214:215], v[156:157]
	s_waitcnt vmcnt(9) lgkmcnt(0)
	v_mul_f64 v[222:223], v[2:3], v[20:21]
	v_mul_f64 v[20:21], v[4:5], v[20:21]
	ds_load_b128 v[154:157], v1 offset:928
	v_fma_f64 v[164:165], v[164:165], v[14:15], v[216:217]
	v_fma_f64 v[162:163], v[162:163], v[14:15], -v[16:17]
	scratch_load_b128 v[14:17], off, off offset:240
	v_add_f64 v[212:213], v[212:213], v[220:221]
	v_add_f64 v[214:215], v[214:215], v[218:219]
	v_fma_f64 v[218:219], v[4:5], v[18:19], v[222:223]
	v_fma_f64 v[220:221], v[2:3], v[18:19], -v[20:21]
	scratch_load_b128 v[18:21], off, off offset:256
	ds_load_b128 v[2:5], v1 offset:944
	s_waitcnt vmcnt(10) lgkmcnt(1)
	v_mul_f64 v[216:217], v[154:155], v[24:25]
	v_mul_f64 v[24:25], v[156:157], v[24:25]
	s_waitcnt vmcnt(9) lgkmcnt(0)
	v_mul_f64 v[222:223], v[2:3], v[28:29]
	v_mul_f64 v[28:29], v[4:5], v[28:29]
	v_add_f64 v[212:213], v[212:213], v[162:163]
	v_add_f64 v[214:215], v[214:215], v[164:165]
	ds_load_b128 v[162:165], v1 offset:960
	v_fma_f64 v[156:157], v[156:157], v[22:23], v[216:217]
	v_fma_f64 v[154:155], v[154:155], v[22:23], -v[24:25]
	scratch_load_b128 v[22:25], off, off offset:272
	v_add_f64 v[212:213], v[212:213], v[220:221]
	v_add_f64 v[214:215], v[214:215], v[218:219]
	v_fma_f64 v[218:219], v[4:5], v[26:27], v[222:223]
	v_fma_f64 v[220:221], v[2:3], v[26:27], -v[28:29]
	scratch_load_b128 v[26:29], off, off offset:288
	ds_load_b128 v[2:5], v1 offset:976
	s_waitcnt vmcnt(10) lgkmcnt(1)
	v_mul_f64 v[216:217], v[162:163], v[32:33]
	v_mul_f64 v[32:33], v[164:165], v[32:33]
	s_waitcnt vmcnt(9) lgkmcnt(0)
	v_mul_f64 v[222:223], v[2:3], v[36:37]
	v_mul_f64 v[36:37], v[4:5], v[36:37]
	v_add_f64 v[212:213], v[212:213], v[154:155]
	v_add_f64 v[214:215], v[214:215], v[156:157]
	ds_load_b128 v[154:157], v1 offset:992
	v_fma_f64 v[164:165], v[164:165], v[30:31], v[216:217]
	v_fma_f64 v[162:163], v[162:163], v[30:31], -v[32:33]
	scratch_load_b128 v[30:33], off, off offset:304
	v_add_f64 v[212:213], v[212:213], v[220:221]
	v_add_f64 v[214:215], v[214:215], v[218:219]
	v_fma_f64 v[220:221], v[4:5], v[34:35], v[222:223]
	v_fma_f64 v[222:223], v[2:3], v[34:35], -v[36:37]
	scratch_load_b128 v[34:37], off, off offset:320
	ds_load_b128 v[2:5], v1 offset:1008
	s_waitcnt vmcnt(9) lgkmcnt(1)
	v_mul_f64 v[216:217], v[154:155], v[160:161]
	v_mul_f64 v[218:219], v[156:157], v[160:161]
	v_add_f64 v[212:213], v[212:213], v[162:163]
	v_add_f64 v[164:165], v[214:215], v[164:165]
	ds_load_b128 v[160:163], v1 offset:1024
	v_fma_f64 v[216:217], v[156:157], v[158:159], v[216:217]
	v_fma_f64 v[158:159], v[154:155], v[158:159], -v[218:219]
	scratch_load_b128 v[154:157], off, off offset:336
	s_waitcnt vmcnt(9) lgkmcnt(1)
	v_mul_f64 v[214:215], v[2:3], v[40:41]
	v_mul_f64 v[40:41], v[4:5], v[40:41]
	v_add_f64 v[212:213], v[212:213], v[222:223]
	v_add_f64 v[164:165], v[164:165], v[220:221]
	s_delay_alu instid0(VALU_DEP_4) | instskip(NEXT) | instid1(VALU_DEP_4)
	v_fma_f64 v[220:221], v[4:5], v[38:39], v[214:215]
	v_fma_f64 v[222:223], v[2:3], v[38:39], -v[40:41]
	scratch_load_b128 v[38:41], off, off offset:352
	ds_load_b128 v[2:5], v1 offset:1040
	s_waitcnt vmcnt(9) lgkmcnt(1)
	v_mul_f64 v[218:219], v[160:161], v[8:9]
	v_mul_f64 v[8:9], v[162:163], v[8:9]
	v_add_f64 v[158:159], v[212:213], v[158:159]
	v_add_f64 v[164:165], v[164:165], v[216:217]
	s_waitcnt vmcnt(8) lgkmcnt(0)
	v_mul_f64 v[216:217], v[2:3], v[12:13]
	v_mul_f64 v[12:13], v[4:5], v[12:13]
	ds_load_b128 v[212:215], v1 offset:1056
	v_fma_f64 v[162:163], v[162:163], v[6:7], v[218:219]
	v_fma_f64 v[160:161], v[160:161], v[6:7], -v[8:9]
	scratch_load_b128 v[6:9], off, off offset:368
	v_add_f64 v[158:159], v[158:159], v[222:223]
	v_add_f64 v[164:165], v[164:165], v[220:221]
	v_fma_f64 v[216:217], v[4:5], v[10:11], v[216:217]
	v_fma_f64 v[220:221], v[2:3], v[10:11], -v[12:13]
	scratch_load_b128 v[10:13], off, off offset:384
	ds_load_b128 v[2:5], v1 offset:1072
	s_waitcnt vmcnt(9) lgkmcnt(1)
	v_mul_f64 v[218:219], v[212:213], v[16:17]
	v_mul_f64 v[16:17], v[214:215], v[16:17]
	v_add_f64 v[222:223], v[158:159], v[160:161]
	v_add_f64 v[162:163], v[164:165], v[162:163]
	s_waitcnt vmcnt(8) lgkmcnt(0)
	v_mul_f64 v[164:165], v[2:3], v[20:21]
	v_mul_f64 v[20:21], v[4:5], v[20:21]
	ds_load_b128 v[158:161], v1 offset:1088
	v_fma_f64 v[214:215], v[214:215], v[14:15], v[218:219]
	v_fma_f64 v[212:213], v[212:213], v[14:15], -v[16:17]
	scratch_load_b128 v[14:17], off, off offset:400
	v_add_f64 v[218:219], v[222:223], v[220:221]
	v_add_f64 v[162:163], v[162:163], v[216:217]
	;; [unrolled: 18-line block ×3, first 2 shown]
	v_fma_f64 v[218:219], v[4:5], v[26:27], v[218:219]
	v_fma_f64 v[220:221], v[2:3], v[26:27], -v[28:29]
	scratch_load_b128 v[26:29], off, off offset:448
	ds_load_b128 v[2:5], v1 offset:1136
	s_waitcnt vmcnt(9) lgkmcnt(1)
	v_mul_f64 v[216:217], v[162:163], v[32:33]
	v_mul_f64 v[32:33], v[164:165], v[32:33]
	s_waitcnt vmcnt(8) lgkmcnt(0)
	v_mul_f64 v[222:223], v[2:3], v[36:37]
	v_mul_f64 v[36:37], v[4:5], v[36:37]
	v_add_f64 v[212:213], v[212:213], v[158:159]
	v_add_f64 v[214:215], v[214:215], v[160:161]
	ds_load_b128 v[158:161], v1 offset:1152
	v_fma_f64 v[164:165], v[164:165], v[30:31], v[216:217]
	v_fma_f64 v[162:163], v[162:163], v[30:31], -v[32:33]
	scratch_load_b128 v[30:33], off, off offset:464
	v_add_f64 v[212:213], v[212:213], v[220:221]
	v_add_f64 v[214:215], v[214:215], v[218:219]
	v_fma_f64 v[218:219], v[4:5], v[34:35], v[222:223]
	v_fma_f64 v[220:221], v[2:3], v[34:35], -v[36:37]
	scratch_load_b128 v[34:37], off, off offset:480
	ds_load_b128 v[2:5], v1 offset:1168
	s_waitcnt vmcnt(9) lgkmcnt(1)
	v_mul_f64 v[216:217], v[158:159], v[156:157]
	v_mul_f64 v[156:157], v[160:161], v[156:157]
	s_waitcnt vmcnt(8) lgkmcnt(0)
	v_mul_f64 v[222:223], v[2:3], v[40:41]
	v_mul_f64 v[40:41], v[4:5], v[40:41]
	v_add_f64 v[212:213], v[212:213], v[162:163]
	v_add_f64 v[214:215], v[214:215], v[164:165]
	ds_load_b128 v[162:165], v1 offset:1184
	v_fma_f64 v[160:161], v[160:161], v[154:155], v[216:217]
	v_fma_f64 v[158:159], v[158:159], v[154:155], -v[156:157]
	scratch_load_b128 v[154:157], off, off offset:496
	v_add_f64 v[212:213], v[212:213], v[220:221]
	v_add_f64 v[214:215], v[214:215], v[218:219]
	;; [unrolled: 18-line block ×6, first 2 shown]
	v_fma_f64 v[220:221], v[4:5], v[34:35], v[222:223]
	v_fma_f64 v[222:223], v[2:3], v[34:35], -v[36:37]
	scratch_load_b128 v[34:37], off, off offset:640
	ds_load_b128 v[2:5], v1 offset:1328
	s_waitcnt vmcnt(9) lgkmcnt(1)
	v_mul_f64 v[216:217], v[162:163], v[156:157]
	v_mul_f64 v[218:219], v[164:165], v[156:157]
	v_add_f64 v[212:213], v[212:213], v[158:159]
	v_add_f64 v[160:161], v[214:215], v[160:161]
	s_waitcnt vmcnt(8) lgkmcnt(0)
	v_mul_f64 v[214:215], v[2:3], v[40:41]
	v_mul_f64 v[40:41], v[4:5], v[40:41]
	ds_load_b128 v[156:159], v1 offset:1344
	v_fma_f64 v[164:165], v[164:165], v[154:155], v[216:217]
	v_fma_f64 v[154:155], v[162:163], v[154:155], -v[218:219]
	v_add_f64 v[212:213], v[212:213], v[222:223]
	v_add_f64 v[216:217], v[160:161], v[220:221]
	scratch_load_b128 v[160:163], off, off offset:656
	v_fma_f64 v[220:221], v[4:5], v[38:39], v[214:215]
	v_fma_f64 v[222:223], v[2:3], v[38:39], -v[40:41]
	scratch_load_b128 v[38:41], off, off offset:672
	ds_load_b128 v[2:5], v1 offset:1360
	s_waitcnt vmcnt(9) lgkmcnt(1)
	v_mul_f64 v[218:219], v[156:157], v[8:9]
	v_mul_f64 v[8:9], v[158:159], v[8:9]
	v_add_f64 v[154:155], v[212:213], v[154:155]
	v_add_f64 v[164:165], v[216:217], v[164:165]
	s_waitcnt vmcnt(8) lgkmcnt(0)
	v_mul_f64 v[216:217], v[2:3], v[12:13]
	v_mul_f64 v[12:13], v[4:5], v[12:13]
	ds_load_b128 v[212:215], v1 offset:1376
	v_fma_f64 v[158:159], v[158:159], v[6:7], v[218:219]
	v_fma_f64 v[156:157], v[156:157], v[6:7], -v[8:9]
	scratch_load_b128 v[6:9], off, off offset:688
	v_add_f64 v[154:155], v[154:155], v[222:223]
	v_add_f64 v[164:165], v[164:165], v[220:221]
	v_fma_f64 v[216:217], v[4:5], v[10:11], v[216:217]
	v_fma_f64 v[220:221], v[2:3], v[10:11], -v[12:13]
	scratch_load_b128 v[10:13], off, off offset:704
	ds_load_b128 v[2:5], v1 offset:1392
	s_waitcnt vmcnt(9) lgkmcnt(1)
	v_mul_f64 v[218:219], v[212:213], v[16:17]
	v_mul_f64 v[16:17], v[214:215], v[16:17]
	v_add_f64 v[222:223], v[154:155], v[156:157]
	v_add_f64 v[158:159], v[164:165], v[158:159]
	s_waitcnt vmcnt(8) lgkmcnt(0)
	v_mul_f64 v[164:165], v[2:3], v[20:21]
	v_mul_f64 v[20:21], v[4:5], v[20:21]
	ds_load_b128 v[154:157], v1 offset:1408
	v_fma_f64 v[214:215], v[214:215], v[14:15], v[218:219]
	v_fma_f64 v[212:213], v[212:213], v[14:15], -v[16:17]
	scratch_load_b128 v[14:17], off, off offset:720
	v_add_f64 v[218:219], v[222:223], v[220:221]
	v_add_f64 v[158:159], v[158:159], v[216:217]
	v_fma_f64 v[164:165], v[4:5], v[18:19], v[164:165]
	v_fma_f64 v[220:221], v[2:3], v[18:19], -v[20:21]
	scratch_load_b128 v[18:21], off, off offset:736
	ds_load_b128 v[2:5], v1 offset:1424
	s_waitcnt vmcnt(9) lgkmcnt(1)
	v_mul_f64 v[216:217], v[154:155], v[24:25]
	v_mul_f64 v[24:25], v[156:157], v[24:25]
	s_waitcnt vmcnt(8) lgkmcnt(0)
	v_mul_f64 v[222:223], v[2:3], v[28:29]
	v_mul_f64 v[28:29], v[4:5], v[28:29]
	v_add_f64 v[218:219], v[218:219], v[212:213]
	v_add_f64 v[158:159], v[158:159], v[214:215]
	ds_load_b128 v[212:215], v1 offset:1440
	v_fma_f64 v[156:157], v[156:157], v[22:23], v[216:217]
	v_fma_f64 v[154:155], v[154:155], v[22:23], -v[24:25]
	scratch_load_b128 v[22:25], off, off offset:752
	v_add_f64 v[216:217], v[218:219], v[220:221]
	v_add_f64 v[158:159], v[158:159], v[164:165]
	v_fma_f64 v[218:219], v[4:5], v[26:27], v[222:223]
	v_fma_f64 v[220:221], v[2:3], v[26:27], -v[28:29]
	scratch_load_b128 v[26:29], off, off offset:768
	ds_load_b128 v[2:5], v1 offset:1456
	s_waitcnt vmcnt(9) lgkmcnt(1)
	v_mul_f64 v[164:165], v[212:213], v[32:33]
	v_mul_f64 v[32:33], v[214:215], v[32:33]
	s_waitcnt vmcnt(8) lgkmcnt(0)
	v_mul_f64 v[222:223], v[2:3], v[36:37]
	v_mul_f64 v[36:37], v[4:5], v[36:37]
	v_add_f64 v[216:217], v[216:217], v[154:155]
	v_add_f64 v[158:159], v[158:159], v[156:157]
	ds_load_b128 v[154:157], v1 offset:1472
	v_fma_f64 v[164:165], v[214:215], v[30:31], v[164:165]
	v_fma_f64 v[212:213], v[212:213], v[30:31], -v[32:33]
	scratch_load_b128 v[30:33], off, off offset:784
	v_add_f64 v[214:215], v[216:217], v[220:221]
	v_add_f64 v[158:159], v[158:159], v[218:219]
	v_fma_f64 v[220:221], v[4:5], v[34:35], v[222:223]
	v_fma_f64 v[222:223], v[2:3], v[34:35], -v[36:37]
	scratch_load_b128 v[34:37], off, off offset:800
	ds_load_b128 v[2:5], v1 offset:1488
	s_waitcnt vmcnt(9) lgkmcnt(1)
	v_mul_f64 v[216:217], v[154:155], v[162:163]
	v_mul_f64 v[218:219], v[156:157], v[162:163]
	v_add_f64 v[212:213], v[214:215], v[212:213]
	v_add_f64 v[158:159], v[158:159], v[164:165]
	s_waitcnt vmcnt(8) lgkmcnt(0)
	v_mul_f64 v[214:215], v[2:3], v[40:41]
	v_mul_f64 v[40:41], v[4:5], v[40:41]
	ds_load_b128 v[162:165], v1 offset:1504
	v_fma_f64 v[156:157], v[156:157], v[160:161], v[216:217]
	v_fma_f64 v[154:155], v[154:155], v[160:161], -v[218:219]
	v_add_f64 v[160:161], v[212:213], v[222:223]
	v_add_f64 v[158:159], v[158:159], v[220:221]
	s_waitcnt vmcnt(7) lgkmcnt(0)
	v_mul_f64 v[212:213], v[162:163], v[8:9]
	v_mul_f64 v[8:9], v[164:165], v[8:9]
	v_fma_f64 v[214:215], v[4:5], v[38:39], v[214:215]
	v_fma_f64 v[216:217], v[2:3], v[38:39], -v[40:41]
	ds_load_b128 v[2:5], v1 offset:1520
	ds_load_b128 v[38:41], v1 offset:1536
	v_add_f64 v[154:155], v[160:161], v[154:155]
	v_add_f64 v[156:157], v[158:159], v[156:157]
	s_waitcnt vmcnt(6) lgkmcnt(1)
	v_mul_f64 v[158:159], v[2:3], v[12:13]
	v_mul_f64 v[12:13], v[4:5], v[12:13]
	v_fma_f64 v[160:161], v[164:165], v[6:7], v[212:213]
	v_fma_f64 v[6:7], v[162:163], v[6:7], -v[8:9]
	v_add_f64 v[8:9], v[154:155], v[216:217]
	v_add_f64 v[154:155], v[156:157], v[214:215]
	s_waitcnt vmcnt(5) lgkmcnt(0)
	v_mul_f64 v[156:157], v[38:39], v[16:17]
	v_mul_f64 v[16:17], v[40:41], v[16:17]
	v_fma_f64 v[158:159], v[4:5], v[10:11], v[158:159]
	v_fma_f64 v[10:11], v[2:3], v[10:11], -v[12:13]
	v_add_f64 v[12:13], v[8:9], v[6:7]
	v_add_f64 v[154:155], v[154:155], v[160:161]
	ds_load_b128 v[2:5], v1 offset:1552
	ds_load_b128 v[6:9], v1 offset:1568
	v_fma_f64 v[40:41], v[40:41], v[14:15], v[156:157]
	v_fma_f64 v[14:15], v[38:39], v[14:15], -v[16:17]
	s_waitcnt vmcnt(4) lgkmcnt(1)
	v_mul_f64 v[160:161], v[2:3], v[20:21]
	v_mul_f64 v[20:21], v[4:5], v[20:21]
	s_waitcnt vmcnt(3) lgkmcnt(0)
	v_mul_f64 v[16:17], v[6:7], v[24:25]
	v_mul_f64 v[24:25], v[8:9], v[24:25]
	v_add_f64 v[10:11], v[12:13], v[10:11]
	v_add_f64 v[12:13], v[154:155], v[158:159]
	v_fma_f64 v[38:39], v[4:5], v[18:19], v[160:161]
	v_fma_f64 v[18:19], v[2:3], v[18:19], -v[20:21]
	v_fma_f64 v[8:9], v[8:9], v[22:23], v[16:17]
	v_fma_f64 v[6:7], v[6:7], v[22:23], -v[24:25]
	v_add_f64 v[14:15], v[10:11], v[14:15]
	v_add_f64 v[20:21], v[12:13], v[40:41]
	ds_load_b128 v[2:5], v1 offset:1584
	ds_load_b128 v[10:13], v1 offset:1600
	s_waitcnt vmcnt(2) lgkmcnt(1)
	v_mul_f64 v[40:41], v[2:3], v[28:29]
	v_mul_f64 v[28:29], v[4:5], v[28:29]
	v_add_f64 v[14:15], v[14:15], v[18:19]
	v_add_f64 v[16:17], v[20:21], v[38:39]
	s_waitcnt vmcnt(1) lgkmcnt(0)
	v_mul_f64 v[18:19], v[10:11], v[32:33]
	v_mul_f64 v[20:21], v[12:13], v[32:33]
	v_fma_f64 v[22:23], v[4:5], v[26:27], v[40:41]
	v_fma_f64 v[24:25], v[2:3], v[26:27], -v[28:29]
	ds_load_b128 v[2:5], v1 offset:1616
	v_add_f64 v[6:7], v[14:15], v[6:7]
	v_add_f64 v[8:9], v[16:17], v[8:9]
	v_fma_f64 v[12:13], v[12:13], v[30:31], v[18:19]
	v_fma_f64 v[10:11], v[10:11], v[30:31], -v[20:21]
	s_waitcnt vmcnt(0) lgkmcnt(0)
	v_mul_f64 v[14:15], v[2:3], v[36:37]
	v_mul_f64 v[16:17], v[4:5], v[36:37]
	v_add_f64 v[6:7], v[6:7], v[24:25]
	v_add_f64 v[8:9], v[8:9], v[22:23]
	s_delay_alu instid0(VALU_DEP_4) | instskip(NEXT) | instid1(VALU_DEP_4)
	v_fma_f64 v[4:5], v[4:5], v[34:35], v[14:15]
	v_fma_f64 v[2:3], v[2:3], v[34:35], -v[16:17]
	s_delay_alu instid0(VALU_DEP_4) | instskip(NEXT) | instid1(VALU_DEP_4)
	v_add_f64 v[6:7], v[6:7], v[10:11]
	v_add_f64 v[8:9], v[8:9], v[12:13]
	s_delay_alu instid0(VALU_DEP_2) | instskip(NEXT) | instid1(VALU_DEP_2)
	v_add_f64 v[2:3], v[6:7], v[2:3]
	v_add_f64 v[4:5], v[8:9], v[4:5]
	s_delay_alu instid0(VALU_DEP_2) | instskip(NEXT) | instid1(VALU_DEP_2)
	v_add_f64 v[2:3], v[42:43], -v[2:3]
	v_add_f64 v[4:5], v[44:45], -v[4:5]
	scratch_store_b128 off, v[2:5], off offset:16
	v_cmpx_ne_u32_e32 0, v148
	s_cbranch_execz .LBB50_319
; %bb.318:
	scratch_load_b128 v[5:8], off, off
	v_mov_b32_e32 v2, v1
	v_mov_b32_e32 v3, v1
	;; [unrolled: 1-line block ×3, first 2 shown]
	scratch_store_b128 off, v[1:4], off
	s_waitcnt vmcnt(0)
	ds_store_b128 v199, v[5:8]
.LBB50_319:
	s_or_b32 exec_lo, exec_lo, s2
	s_waitcnt lgkmcnt(0)
	s_waitcnt_vscnt null, 0x0
	s_barrier
	buffer_gl0_inv
	s_clause 0x8
	scratch_load_b128 v[2:5], off, off offset:16
	scratch_load_b128 v[6:9], off, off offset:32
	;; [unrolled: 1-line block ×9, first 2 shown]
	ds_load_b128 v[42:45], v1 offset:832
	ds_load_b128 v[38:41], v1 offset:848
	s_clause 0x1
	scratch_load_b128 v[154:157], off, off
	scratch_load_b128 v[158:161], off, off offset:160
	s_and_b32 vcc_lo, exec_lo, s20
	s_waitcnt vmcnt(10) lgkmcnt(1)
	v_mul_f64 v[162:163], v[44:45], v[4:5]
	v_mul_f64 v[4:5], v[42:43], v[4:5]
	s_waitcnt vmcnt(9) lgkmcnt(0)
	v_mul_f64 v[212:213], v[38:39], v[8:9]
	v_mul_f64 v[8:9], v[40:41], v[8:9]
	s_delay_alu instid0(VALU_DEP_4) | instskip(NEXT) | instid1(VALU_DEP_4)
	v_fma_f64 v[214:215], v[42:43], v[2:3], -v[162:163]
	v_fma_f64 v[216:217], v[44:45], v[2:3], v[4:5]
	ds_load_b128 v[2:5], v1 offset:864
	ds_load_b128 v[162:165], v1 offset:880
	scratch_load_b128 v[42:45], off, off offset:176
	v_fma_f64 v[40:41], v[40:41], v[6:7], v[212:213]
	v_fma_f64 v[38:39], v[38:39], v[6:7], -v[8:9]
	scratch_load_b128 v[6:9], off, off offset:192
	s_waitcnt vmcnt(10) lgkmcnt(1)
	v_mul_f64 v[218:219], v[2:3], v[12:13]
	v_mul_f64 v[12:13], v[4:5], v[12:13]
	v_add_f64 v[212:213], v[214:215], 0
	v_add_f64 v[214:215], v[216:217], 0
	s_waitcnt vmcnt(9) lgkmcnt(0)
	v_mul_f64 v[216:217], v[162:163], v[16:17]
	v_mul_f64 v[16:17], v[164:165], v[16:17]
	v_fma_f64 v[218:219], v[4:5], v[10:11], v[218:219]
	v_fma_f64 v[220:221], v[2:3], v[10:11], -v[12:13]
	ds_load_b128 v[2:5], v1 offset:896
	scratch_load_b128 v[10:13], off, off offset:208
	v_add_f64 v[212:213], v[212:213], v[38:39]
	v_add_f64 v[214:215], v[214:215], v[40:41]
	ds_load_b128 v[38:41], v1 offset:912
	v_fma_f64 v[164:165], v[164:165], v[14:15], v[216:217]
	v_fma_f64 v[162:163], v[162:163], v[14:15], -v[16:17]
	scratch_load_b128 v[14:17], off, off offset:224
	s_waitcnt vmcnt(10) lgkmcnt(1)
	v_mul_f64 v[222:223], v[2:3], v[20:21]
	v_mul_f64 v[20:21], v[4:5], v[20:21]
	s_waitcnt vmcnt(9) lgkmcnt(0)
	v_mul_f64 v[216:217], v[38:39], v[24:25]
	v_mul_f64 v[24:25], v[40:41], v[24:25]
	v_add_f64 v[212:213], v[212:213], v[220:221]
	v_add_f64 v[214:215], v[214:215], v[218:219]
	v_fma_f64 v[218:219], v[4:5], v[18:19], v[222:223]
	v_fma_f64 v[220:221], v[2:3], v[18:19], -v[20:21]
	ds_load_b128 v[2:5], v1 offset:928
	scratch_load_b128 v[18:21], off, off offset:240
	v_fma_f64 v[40:41], v[40:41], v[22:23], v[216:217]
	v_fma_f64 v[38:39], v[38:39], v[22:23], -v[24:25]
	scratch_load_b128 v[22:25], off, off offset:256
	v_add_f64 v[212:213], v[212:213], v[162:163]
	v_add_f64 v[214:215], v[214:215], v[164:165]
	ds_load_b128 v[162:165], v1 offset:944
	s_waitcnt vmcnt(10) lgkmcnt(1)
	v_mul_f64 v[222:223], v[2:3], v[28:29]
	v_mul_f64 v[28:29], v[4:5], v[28:29]
	s_waitcnt vmcnt(9) lgkmcnt(0)
	v_mul_f64 v[216:217], v[162:163], v[32:33]
	v_mul_f64 v[32:33], v[164:165], v[32:33]
	v_add_f64 v[212:213], v[212:213], v[220:221]
	v_add_f64 v[214:215], v[214:215], v[218:219]
	v_fma_f64 v[218:219], v[4:5], v[26:27], v[222:223]
	v_fma_f64 v[220:221], v[2:3], v[26:27], -v[28:29]
	ds_load_b128 v[2:5], v1 offset:960
	scratch_load_b128 v[26:29], off, off offset:272
	v_fma_f64 v[164:165], v[164:165], v[30:31], v[216:217]
	v_fma_f64 v[162:163], v[162:163], v[30:31], -v[32:33]
	scratch_load_b128 v[30:33], off, off offset:288
	v_add_f64 v[212:213], v[212:213], v[38:39]
	v_add_f64 v[214:215], v[214:215], v[40:41]
	ds_load_b128 v[38:41], v1 offset:976
	s_waitcnt vmcnt(10) lgkmcnt(1)
	v_mul_f64 v[222:223], v[2:3], v[36:37]
	v_mul_f64 v[36:37], v[4:5], v[36:37]
	s_waitcnt vmcnt(8) lgkmcnt(0)
	v_mul_f64 v[216:217], v[38:39], v[160:161]
	v_add_f64 v[212:213], v[212:213], v[220:221]
	v_add_f64 v[214:215], v[214:215], v[218:219]
	v_mul_f64 v[218:219], v[40:41], v[160:161]
	v_fma_f64 v[220:221], v[4:5], v[34:35], v[222:223]
	v_fma_f64 v[222:223], v[2:3], v[34:35], -v[36:37]
	ds_load_b128 v[2:5], v1 offset:992
	scratch_load_b128 v[34:37], off, off offset:304
	v_fma_f64 v[216:217], v[40:41], v[158:159], v[216:217]
	v_add_f64 v[212:213], v[212:213], v[162:163]
	v_add_f64 v[164:165], v[214:215], v[164:165]
	ds_load_b128 v[160:163], v1 offset:1008
	v_fma_f64 v[158:159], v[38:39], v[158:159], -v[218:219]
	scratch_load_b128 v[38:41], off, off offset:320
	s_waitcnt vmcnt(9) lgkmcnt(1)
	v_mul_f64 v[214:215], v[2:3], v[44:45]
	v_mul_f64 v[44:45], v[4:5], v[44:45]
	s_waitcnt vmcnt(8) lgkmcnt(0)
	v_mul_f64 v[218:219], v[160:161], v[8:9]
	v_mul_f64 v[8:9], v[162:163], v[8:9]
	v_add_f64 v[212:213], v[212:213], v[222:223]
	v_add_f64 v[164:165], v[164:165], v[220:221]
	v_fma_f64 v[220:221], v[4:5], v[42:43], v[214:215]
	v_fma_f64 v[222:223], v[2:3], v[42:43], -v[44:45]
	ds_load_b128 v[2:5], v1 offset:1024
	scratch_load_b128 v[42:45], off, off offset:336
	v_fma_f64 v[162:163], v[162:163], v[6:7], v[218:219]
	v_fma_f64 v[160:161], v[160:161], v[6:7], -v[8:9]
	scratch_load_b128 v[6:9], off, off offset:352
	v_add_f64 v[158:159], v[212:213], v[158:159]
	v_add_f64 v[164:165], v[164:165], v[216:217]
	ds_load_b128 v[212:215], v1 offset:1040
	s_waitcnt vmcnt(9) lgkmcnt(1)
	v_mul_f64 v[216:217], v[2:3], v[12:13]
	v_mul_f64 v[12:13], v[4:5], v[12:13]
	s_waitcnt vmcnt(8) lgkmcnt(0)
	v_mul_f64 v[218:219], v[212:213], v[16:17]
	v_mul_f64 v[16:17], v[214:215], v[16:17]
	v_add_f64 v[158:159], v[158:159], v[222:223]
	v_add_f64 v[164:165], v[164:165], v[220:221]
	v_fma_f64 v[216:217], v[4:5], v[10:11], v[216:217]
	v_fma_f64 v[220:221], v[2:3], v[10:11], -v[12:13]
	ds_load_b128 v[2:5], v1 offset:1056
	scratch_load_b128 v[10:13], off, off offset:368
	v_fma_f64 v[214:215], v[214:215], v[14:15], v[218:219]
	v_fma_f64 v[212:213], v[212:213], v[14:15], -v[16:17]
	scratch_load_b128 v[14:17], off, off offset:384
	v_add_f64 v[222:223], v[158:159], v[160:161]
	v_add_f64 v[162:163], v[164:165], v[162:163]
	ds_load_b128 v[158:161], v1 offset:1072
	s_waitcnt vmcnt(9) lgkmcnt(1)
	v_mul_f64 v[164:165], v[2:3], v[20:21]
	v_mul_f64 v[20:21], v[4:5], v[20:21]
	v_add_f64 v[218:219], v[222:223], v[220:221]
	v_add_f64 v[162:163], v[162:163], v[216:217]
	s_waitcnt vmcnt(8) lgkmcnt(0)
	v_mul_f64 v[216:217], v[158:159], v[24:25]
	v_mul_f64 v[24:25], v[160:161], v[24:25]
	v_fma_f64 v[220:221], v[4:5], v[18:19], v[164:165]
	v_fma_f64 v[222:223], v[2:3], v[18:19], -v[20:21]
	ds_load_b128 v[2:5], v1 offset:1088
	scratch_load_b128 v[18:21], off, off offset:400
	v_add_f64 v[212:213], v[218:219], v[212:213]
	v_add_f64 v[214:215], v[162:163], v[214:215]
	ds_load_b128 v[162:165], v1 offset:1104
	s_waitcnt vmcnt(8) lgkmcnt(1)
	v_mul_f64 v[218:219], v[2:3], v[28:29]
	v_mul_f64 v[28:29], v[4:5], v[28:29]
	v_fma_f64 v[160:161], v[160:161], v[22:23], v[216:217]
	v_fma_f64 v[158:159], v[158:159], v[22:23], -v[24:25]
	scratch_load_b128 v[22:25], off, off offset:416
	s_waitcnt vmcnt(8) lgkmcnt(0)
	v_mul_f64 v[216:217], v[162:163], v[32:33]
	v_mul_f64 v[32:33], v[164:165], v[32:33]
	v_add_f64 v[212:213], v[212:213], v[222:223]
	v_add_f64 v[214:215], v[214:215], v[220:221]
	v_fma_f64 v[218:219], v[4:5], v[26:27], v[218:219]
	v_fma_f64 v[220:221], v[2:3], v[26:27], -v[28:29]
	ds_load_b128 v[2:5], v1 offset:1120
	scratch_load_b128 v[26:29], off, off offset:432
	v_fma_f64 v[164:165], v[164:165], v[30:31], v[216:217]
	v_fma_f64 v[162:163], v[162:163], v[30:31], -v[32:33]
	scratch_load_b128 v[30:33], off, off offset:448
	v_add_f64 v[212:213], v[212:213], v[158:159]
	v_add_f64 v[214:215], v[214:215], v[160:161]
	ds_load_b128 v[158:161], v1 offset:1136
	s_waitcnt vmcnt(9) lgkmcnt(1)
	v_mul_f64 v[222:223], v[2:3], v[36:37]
	v_mul_f64 v[36:37], v[4:5], v[36:37]
	s_waitcnt vmcnt(8) lgkmcnt(0)
	v_mul_f64 v[216:217], v[158:159], v[40:41]
	v_mul_f64 v[40:41], v[160:161], v[40:41]
	v_add_f64 v[212:213], v[212:213], v[220:221]
	v_add_f64 v[214:215], v[214:215], v[218:219]
	v_fma_f64 v[218:219], v[4:5], v[34:35], v[222:223]
	v_fma_f64 v[220:221], v[2:3], v[34:35], -v[36:37]
	ds_load_b128 v[2:5], v1 offset:1152
	scratch_load_b128 v[34:37], off, off offset:464
	v_fma_f64 v[160:161], v[160:161], v[38:39], v[216:217]
	v_fma_f64 v[158:159], v[158:159], v[38:39], -v[40:41]
	scratch_load_b128 v[38:41], off, off offset:480
	v_add_f64 v[212:213], v[212:213], v[162:163]
	v_add_f64 v[214:215], v[214:215], v[164:165]
	ds_load_b128 v[162:165], v1 offset:1168
	s_waitcnt vmcnt(9) lgkmcnt(1)
	v_mul_f64 v[222:223], v[2:3], v[44:45]
	v_mul_f64 v[44:45], v[4:5], v[44:45]
	;; [unrolled: 18-line block ×12, first 2 shown]
	s_waitcnt vmcnt(8) lgkmcnt(0)
	v_mul_f64 v[216:217], v[162:163], v[8:9]
	v_mul_f64 v[8:9], v[164:165], v[8:9]
	v_add_f64 v[212:213], v[212:213], v[220:221]
	v_add_f64 v[214:215], v[214:215], v[218:219]
	v_fma_f64 v[218:219], v[4:5], v[42:43], v[222:223]
	v_fma_f64 v[220:221], v[2:3], v[42:43], -v[44:45]
	ds_load_b128 v[2:5], v1 offset:1504
	ds_load_b128 v[42:45], v1 offset:1520
	v_fma_f64 v[164:165], v[164:165], v[6:7], v[216:217]
	v_fma_f64 v[6:7], v[162:163], v[6:7], -v[8:9]
	v_add_f64 v[158:159], v[212:213], v[158:159]
	v_add_f64 v[160:161], v[214:215], v[160:161]
	s_waitcnt vmcnt(7) lgkmcnt(1)
	v_mul_f64 v[212:213], v[2:3], v[12:13]
	v_mul_f64 v[12:13], v[4:5], v[12:13]
	s_delay_alu instid0(VALU_DEP_4) | instskip(NEXT) | instid1(VALU_DEP_4)
	v_add_f64 v[8:9], v[158:159], v[220:221]
	v_add_f64 v[158:159], v[160:161], v[218:219]
	s_waitcnt vmcnt(6) lgkmcnt(0)
	v_mul_f64 v[160:161], v[42:43], v[16:17]
	v_mul_f64 v[16:17], v[44:45], v[16:17]
	v_fma_f64 v[162:163], v[4:5], v[10:11], v[212:213]
	v_fma_f64 v[10:11], v[2:3], v[10:11], -v[12:13]
	v_add_f64 v[12:13], v[8:9], v[6:7]
	v_add_f64 v[158:159], v[158:159], v[164:165]
	ds_load_b128 v[2:5], v1 offset:1536
	ds_load_b128 v[6:9], v1 offset:1552
	v_fma_f64 v[44:45], v[44:45], v[14:15], v[160:161]
	v_fma_f64 v[14:15], v[42:43], v[14:15], -v[16:17]
	s_waitcnt vmcnt(5) lgkmcnt(1)
	v_mul_f64 v[164:165], v[2:3], v[20:21]
	v_mul_f64 v[20:21], v[4:5], v[20:21]
	s_waitcnt vmcnt(4) lgkmcnt(0)
	v_mul_f64 v[16:17], v[6:7], v[24:25]
	v_mul_f64 v[24:25], v[8:9], v[24:25]
	v_add_f64 v[10:11], v[12:13], v[10:11]
	v_add_f64 v[12:13], v[158:159], v[162:163]
	v_fma_f64 v[42:43], v[4:5], v[18:19], v[164:165]
	v_fma_f64 v[18:19], v[2:3], v[18:19], -v[20:21]
	v_fma_f64 v[8:9], v[8:9], v[22:23], v[16:17]
	v_fma_f64 v[6:7], v[6:7], v[22:23], -v[24:25]
	v_add_f64 v[14:15], v[10:11], v[14:15]
	v_add_f64 v[20:21], v[12:13], v[44:45]
	ds_load_b128 v[2:5], v1 offset:1568
	ds_load_b128 v[10:13], v1 offset:1584
	s_waitcnt vmcnt(3) lgkmcnt(1)
	v_mul_f64 v[44:45], v[2:3], v[28:29]
	v_mul_f64 v[28:29], v[4:5], v[28:29]
	v_add_f64 v[14:15], v[14:15], v[18:19]
	v_add_f64 v[16:17], v[20:21], v[42:43]
	s_waitcnt vmcnt(2) lgkmcnt(0)
	v_mul_f64 v[18:19], v[10:11], v[32:33]
	v_mul_f64 v[20:21], v[12:13], v[32:33]
	v_fma_f64 v[22:23], v[4:5], v[26:27], v[44:45]
	v_fma_f64 v[24:25], v[2:3], v[26:27], -v[28:29]
	v_add_f64 v[14:15], v[14:15], v[6:7]
	v_add_f64 v[16:17], v[16:17], v[8:9]
	ds_load_b128 v[2:5], v1 offset:1600
	ds_load_b128 v[6:9], v1 offset:1616
	v_fma_f64 v[12:13], v[12:13], v[30:31], v[18:19]
	v_fma_f64 v[10:11], v[10:11], v[30:31], -v[20:21]
	s_waitcnt vmcnt(1) lgkmcnt(1)
	v_mul_f64 v[26:27], v[2:3], v[36:37]
	v_mul_f64 v[28:29], v[4:5], v[36:37]
	s_waitcnt vmcnt(0) lgkmcnt(0)
	v_mul_f64 v[18:19], v[6:7], v[40:41]
	v_mul_f64 v[20:21], v[8:9], v[40:41]
	v_add_f64 v[14:15], v[14:15], v[24:25]
	v_add_f64 v[16:17], v[16:17], v[22:23]
	v_fma_f64 v[4:5], v[4:5], v[34:35], v[26:27]
	v_fma_f64 v[1:2], v[2:3], v[34:35], -v[28:29]
	v_fma_f64 v[8:9], v[8:9], v[38:39], v[18:19]
	v_fma_f64 v[6:7], v[6:7], v[38:39], -v[20:21]
	v_add_f64 v[10:11], v[14:15], v[10:11]
	v_add_f64 v[12:13], v[16:17], v[12:13]
	s_delay_alu instid0(VALU_DEP_2) | instskip(NEXT) | instid1(VALU_DEP_2)
	v_add_f64 v[1:2], v[10:11], v[1:2]
	v_add_f64 v[3:4], v[12:13], v[4:5]
	s_delay_alu instid0(VALU_DEP_2) | instskip(NEXT) | instid1(VALU_DEP_2)
	v_add_f64 v[1:2], v[1:2], v[6:7]
	v_add_f64 v[3:4], v[3:4], v[8:9]
	s_delay_alu instid0(VALU_DEP_2) | instskip(NEXT) | instid1(VALU_DEP_2)
	v_add_f64 v[1:2], v[154:155], -v[1:2]
	v_add_f64 v[3:4], v[156:157], -v[3:4]
	scratch_store_b128 off, v[1:4], off
	s_cbranch_vccz .LBB50_421
; %bb.320:
	v_dual_mov_b32 v1, s16 :: v_dual_mov_b32 v2, s17
	s_load_b64 s[0:1], s[0:1], 0x4
	flat_load_b32 v1, v[1:2] offset:196
	v_bfe_u32 v2, v0, 10, 10
	v_bfe_u32 v0, v0, 20, 10
	s_waitcnt lgkmcnt(0)
	s_lshr_b32 s0, s0, 16
	s_delay_alu instid0(VALU_DEP_2) | instskip(SKIP_1) | instid1(SALU_CYCLE_1)
	v_mul_u32_u24_e32 v2, s1, v2
	s_mul_i32 s0, s0, s1
	v_mul_u32_u24_e32 v3, s0, v148
	s_mov_b32 s0, exec_lo
	s_delay_alu instid0(VALU_DEP_1) | instskip(NEXT) | instid1(VALU_DEP_1)
	v_add3_u32 v0, v3, v2, v0
	v_lshl_add_u32 v0, v0, 4, 0x668
	s_waitcnt vmcnt(0)
	v_cmpx_ne_u32_e32 50, v1
	s_cbranch_execz .LBB50_322
; %bb.321:
	v_lshl_add_u32 v9, v1, 4, 0
	s_clause 0x1
	scratch_load_b128 v[1:4], v186, off
	scratch_load_b128 v[5:8], v9, off offset:-16
	s_waitcnt vmcnt(1)
	ds_store_2addr_b64 v0, v[1:2], v[3:4] offset1:1
	s_waitcnt vmcnt(0)
	s_clause 0x1
	scratch_store_b128 v186, v[5:8], off
	scratch_store_b128 v9, v[1:4], off offset:-16
.LBB50_322:
	s_or_b32 exec_lo, exec_lo, s0
	v_dual_mov_b32 v1, s16 :: v_dual_mov_b32 v2, s17
	s_mov_b32 s0, exec_lo
	flat_load_b32 v1, v[1:2] offset:192
	s_waitcnt vmcnt(0) lgkmcnt(0)
	v_cmpx_ne_u32_e32 49, v1
	s_cbranch_execz .LBB50_324
; %bb.323:
	v_lshl_add_u32 v9, v1, 4, 0
	s_clause 0x1
	scratch_load_b128 v[1:4], v187, off
	scratch_load_b128 v[5:8], v9, off offset:-16
	s_waitcnt vmcnt(1)
	ds_store_2addr_b64 v0, v[1:2], v[3:4] offset1:1
	s_waitcnt vmcnt(0)
	s_clause 0x1
	scratch_store_b128 v187, v[5:8], off
	scratch_store_b128 v9, v[1:4], off offset:-16
.LBB50_324:
	s_or_b32 exec_lo, exec_lo, s0
	v_dual_mov_b32 v1, s16 :: v_dual_mov_b32 v2, s17
	s_mov_b32 s0, exec_lo
	flat_load_b32 v1, v[1:2] offset:188
	s_waitcnt vmcnt(0) lgkmcnt(0)
	;; [unrolled: 19-line block ×48, first 2 shown]
	v_cmpx_ne_u32_e32 2, v1
	s_cbranch_execz .LBB50_418
; %bb.417:
	v_lshl_add_u32 v9, v1, 4, 0
	s_clause 0x1
	scratch_load_b128 v[1:4], v198, off
	scratch_load_b128 v[5:8], v9, off offset:-16
	s_waitcnt vmcnt(1)
	ds_store_2addr_b64 v0, v[1:2], v[3:4] offset1:1
	s_waitcnt vmcnt(0)
	s_clause 0x1
	scratch_store_b128 v198, v[5:8], off
	scratch_store_b128 v9, v[1:4], off offset:-16
.LBB50_418:
	s_or_b32 exec_lo, exec_lo, s0
	v_dual_mov_b32 v1, s16 :: v_dual_mov_b32 v2, s17
	s_mov_b32 s0, exec_lo
	flat_load_b32 v1, v[1:2]
	s_waitcnt vmcnt(0) lgkmcnt(0)
	v_cmpx_ne_u32_e32 1, v1
	s_cbranch_execz .LBB50_420
; %bb.419:
	v_lshl_add_u32 v9, v1, 4, 0
	scratch_load_b128 v[1:4], off, off
	scratch_load_b128 v[5:8], v9, off offset:-16
	s_waitcnt vmcnt(1)
	ds_store_2addr_b64 v0, v[1:2], v[3:4] offset1:1
	s_waitcnt vmcnt(0)
	scratch_store_b128 off, v[5:8], off
	scratch_store_b128 v9, v[1:4], off offset:-16
.LBB50_420:
	s_or_b32 exec_lo, exec_lo, s0
.LBB50_421:
	scratch_load_b128 v[0:3], off, off
	s_clause 0x19
	scratch_load_b128 v[4:7], v198, off
	scratch_load_b128 v[8:11], v197, off
	;; [unrolled: 1-line block ×26, first 2 shown]
	s_waitcnt vmcnt(26)
	global_store_b128 v[46:47], v[0:3], off
	s_clause 0x1
	scratch_load_b128 v[0:3], v169, off
	scratch_load_b128 v[44:47], v168, off
	s_waitcnt vmcnt(27)
	global_store_b128 v[48:49], v[4:7], off
	s_clause 0x1
	scratch_load_b128 v[4:7], v166, off
	scratch_load_b128 v[244:247], v211, off
	;; [unrolled: 5-line block ×12, first 2 shown]
	s_waitcnt vmcnt(38)
	global_store_b128 v[70:71], v[152:155], off
	s_waitcnt vmcnt(37)
	global_store_b128 v[72:73], v[156:159], off
	;; [unrolled: 2-line block ×39, first 2 shown]
	s_endpgm
	.section	.rodata,"a",@progbits
	.p2align	6, 0x0
	.amdhsa_kernel _ZN9rocsolver6v33100L18getri_kernel_smallILi51E19rocblas_complex_numIdEPS3_EEvT1_iilPiilS6_bb
		.amdhsa_group_segment_fixed_size 2664
		.amdhsa_private_segment_fixed_size 832
		.amdhsa_kernarg_size 60
		.amdhsa_user_sgpr_count 15
		.amdhsa_user_sgpr_dispatch_ptr 1
		.amdhsa_user_sgpr_queue_ptr 0
		.amdhsa_user_sgpr_kernarg_segment_ptr 1
		.amdhsa_user_sgpr_dispatch_id 0
		.amdhsa_user_sgpr_private_segment_size 0
		.amdhsa_wavefront_size32 1
		.amdhsa_uses_dynamic_stack 0
		.amdhsa_enable_private_segment 1
		.amdhsa_system_sgpr_workgroup_id_x 1
		.amdhsa_system_sgpr_workgroup_id_y 0
		.amdhsa_system_sgpr_workgroup_id_z 0
		.amdhsa_system_sgpr_workgroup_info 0
		.amdhsa_system_vgpr_workitem_id 2
		.amdhsa_next_free_vgpr 256
		.amdhsa_next_free_sgpr 57
		.amdhsa_reserve_vcc 1
		.amdhsa_float_round_mode_32 0
		.amdhsa_float_round_mode_16_64 0
		.amdhsa_float_denorm_mode_32 3
		.amdhsa_float_denorm_mode_16_64 3
		.amdhsa_dx10_clamp 1
		.amdhsa_ieee_mode 1
		.amdhsa_fp16_overflow 0
		.amdhsa_workgroup_processor_mode 1
		.amdhsa_memory_ordered 1
		.amdhsa_forward_progress 0
		.amdhsa_shared_vgpr_count 0
		.amdhsa_exception_fp_ieee_invalid_op 0
		.amdhsa_exception_fp_denorm_src 0
		.amdhsa_exception_fp_ieee_div_zero 0
		.amdhsa_exception_fp_ieee_overflow 0
		.amdhsa_exception_fp_ieee_underflow 0
		.amdhsa_exception_fp_ieee_inexact 0
		.amdhsa_exception_int_div_zero 0
	.end_amdhsa_kernel
	.section	.text._ZN9rocsolver6v33100L18getri_kernel_smallILi51E19rocblas_complex_numIdEPS3_EEvT1_iilPiilS6_bb,"axG",@progbits,_ZN9rocsolver6v33100L18getri_kernel_smallILi51E19rocblas_complex_numIdEPS3_EEvT1_iilPiilS6_bb,comdat
.Lfunc_end50:
	.size	_ZN9rocsolver6v33100L18getri_kernel_smallILi51E19rocblas_complex_numIdEPS3_EEvT1_iilPiilS6_bb, .Lfunc_end50-_ZN9rocsolver6v33100L18getri_kernel_smallILi51E19rocblas_complex_numIdEPS3_EEvT1_iilPiilS6_bb
                                        ; -- End function
	.section	.AMDGPU.csdata,"",@progbits
; Kernel info:
; codeLenInByte = 118332
; NumSgprs: 59
; NumVgprs: 256
; ScratchSize: 832
; MemoryBound: 0
; FloatMode: 240
; IeeeMode: 1
; LDSByteSize: 2664 bytes/workgroup (compile time only)
; SGPRBlocks: 7
; VGPRBlocks: 31
; NumSGPRsForWavesPerEU: 59
; NumVGPRsForWavesPerEU: 256
; Occupancy: 5
; WaveLimiterHint : 1
; COMPUTE_PGM_RSRC2:SCRATCH_EN: 1
; COMPUTE_PGM_RSRC2:USER_SGPR: 15
; COMPUTE_PGM_RSRC2:TRAP_HANDLER: 0
; COMPUTE_PGM_RSRC2:TGID_X_EN: 1
; COMPUTE_PGM_RSRC2:TGID_Y_EN: 0
; COMPUTE_PGM_RSRC2:TGID_Z_EN: 0
; COMPUTE_PGM_RSRC2:TIDIG_COMP_CNT: 2
	.section	.text._ZN9rocsolver6v33100L18getri_kernel_smallILi52E19rocblas_complex_numIdEPS3_EEvT1_iilPiilS6_bb,"axG",@progbits,_ZN9rocsolver6v33100L18getri_kernel_smallILi52E19rocblas_complex_numIdEPS3_EEvT1_iilPiilS6_bb,comdat
	.globl	_ZN9rocsolver6v33100L18getri_kernel_smallILi52E19rocblas_complex_numIdEPS3_EEvT1_iilPiilS6_bb ; -- Begin function _ZN9rocsolver6v33100L18getri_kernel_smallILi52E19rocblas_complex_numIdEPS3_EEvT1_iilPiilS6_bb
	.p2align	8
	.type	_ZN9rocsolver6v33100L18getri_kernel_smallILi52E19rocblas_complex_numIdEPS3_EEvT1_iilPiilS6_bb,@function
_ZN9rocsolver6v33100L18getri_kernel_smallILi52E19rocblas_complex_numIdEPS3_EEvT1_iilPiilS6_bb: ; @_ZN9rocsolver6v33100L18getri_kernel_smallILi52E19rocblas_complex_numIdEPS3_EEvT1_iilPiilS6_bb
; %bb.0:
	v_and_b32_e32 v150, 0x3ff, v0
	s_mov_b32 s4, exec_lo
	s_delay_alu instid0(VALU_DEP_1)
	v_cmpx_gt_u32_e32 52, v150
	s_cbranch_execz .LBB51_222
; %bb.1:
	s_mov_b32 s18, s15
	s_clause 0x2
	s_load_b32 s21, s[2:3], 0x38
	s_load_b128 s[12:15], s[2:3], 0x10
	s_load_b128 s[4:7], s[2:3], 0x28
                                        ; implicit-def: $sgpr16_sgpr17
	s_waitcnt lgkmcnt(0)
	s_bitcmp1_b32 s21, 8
	s_cselect_b32 s20, -1, 0
	s_bfe_u32 s8, s21, 0x10008
	s_ashr_i32 s19, s18, 31
	s_cmp_eq_u32 s8, 0
	s_cbranch_scc1 .LBB51_3
; %bb.2:
	s_load_b32 s8, s[2:3], 0x20
	s_mul_i32 s5, s18, s5
	s_mul_hi_u32 s9, s18, s4
	s_mul_i32 s10, s19, s4
	s_add_i32 s5, s9, s5
	s_mul_i32 s4, s18, s4
	s_add_i32 s5, s5, s10
	s_delay_alu instid0(SALU_CYCLE_1)
	s_lshl_b64 s[4:5], s[4:5], 2
	s_waitcnt lgkmcnt(0)
	s_ashr_i32 s9, s8, 31
	s_add_u32 s10, s14, s4
	s_addc_u32 s11, s15, s5
	s_lshl_b64 s[4:5], s[8:9], 2
	s_delay_alu instid0(SALU_CYCLE_1)
	s_add_u32 s16, s10, s4
	s_addc_u32 s17, s11, s5
.LBB51_3:
	s_load_b128 s[8:11], s[2:3], 0x0
	s_mul_i32 s2, s18, s13
	s_mul_hi_u32 s3, s18, s12
	s_mul_i32 s4, s19, s12
	s_add_i32 s3, s3, s2
	s_mul_i32 s2, s18, s12
	s_add_i32 s3, s3, s4
	v_lshlrev_b32_e32 v13, 4, v150
	s_lshl_b64 s[2:3], s[2:3], 4
	s_movk_i32 s12, 0xd0
	s_movk_i32 s13, 0xe0
	;; [unrolled: 1-line block ×11, first 2 shown]
	s_waitcnt lgkmcnt(0)
	v_add3_u32 v5, s11, s11, v150
	s_ashr_i32 s5, s10, 31
	s_mov_b32 s4, s10
	s_add_u32 s8, s8, s2
	s_addc_u32 s9, s9, s3
	v_add_nc_u32_e32 v7, s11, v5
	s_lshl_b64 s[2:3], s[4:5], 4
	v_ashrrev_i32_e32 v6, 31, v5
	s_add_u32 s2, s8, s2
	s_addc_u32 s3, s9, s3
	v_add_nc_u32_e32 v9, s11, v7
	v_add_co_u32 v46, s8, s2, v13
	v_ashrrev_i32_e32 v8, 31, v7
	s_mov_b32 s4, s11
	s_delay_alu instid0(VALU_DEP_3) | instskip(SKIP_3) | instid1(VALU_DEP_3)
	v_add_nc_u32_e32 v14, s11, v9
	s_ashr_i32 s5, s11, 31
	v_add_co_ci_u32_e64 v47, null, s3, 0, s8
	v_lshlrev_b64 v[11:12], 4, v[5:6]
	v_add_nc_u32_e32 v18, s11, v14
	s_lshl_b64 s[4:5], s[4:5], 4
	v_ashrrev_i32_e32 v10, 31, v9
	v_add_co_u32 v48, vcc_lo, v46, s4
	s_delay_alu instid0(VALU_DEP_3) | instskip(SKIP_3) | instid1(VALU_DEP_4)
	v_add_nc_u32_e32 v22, s11, v18
	v_lshlrev_b64 v[16:17], 4, v[7:8]
	v_ashrrev_i32_e32 v15, 31, v14
	v_add_co_ci_u32_e32 v49, vcc_lo, s5, v47, vcc_lo
	v_add_nc_u32_e32 v26, s11, v22
	v_add_co_u32 v50, vcc_lo, s2, v11
	v_lshlrev_b64 v[20:21], 4, v[9:10]
	v_ashrrev_i32_e32 v19, 31, v18
	s_delay_alu instid0(VALU_DEP_4) | instskip(SKIP_2) | instid1(VALU_DEP_3)
	v_add_nc_u32_e32 v30, s11, v26
	v_add_co_ci_u32_e32 v51, vcc_lo, s3, v12, vcc_lo
	v_add_co_u32 v52, vcc_lo, s2, v16
	v_add_nc_u32_e32 v34, s11, v30
	v_lshlrev_b64 v[24:25], 4, v[14:15]
	v_ashrrev_i32_e32 v23, 31, v22
	v_add_co_ci_u32_e32 v53, vcc_lo, s3, v17, vcc_lo
	s_delay_alu instid0(VALU_DEP_4) | instskip(SKIP_3) | instid1(VALU_DEP_4)
	v_add_nc_u32_e32 v38, s11, v34
	v_add_co_u32 v54, vcc_lo, s2, v20
	v_lshlrev_b64 v[28:29], 4, v[18:19]
	v_ashrrev_i32_e32 v27, 31, v26
	v_add_nc_u32_e32 v42, s11, v38
	v_add_co_ci_u32_e32 v55, vcc_lo, s3, v21, vcc_lo
	v_add_co_u32 v56, vcc_lo, s2, v24
	v_lshlrev_b64 v[32:33], 4, v[22:23]
	v_ashrrev_i32_e32 v31, 31, v30
	v_add_co_ci_u32_e32 v57, vcc_lo, s3, v25, vcc_lo
	v_add_nc_u32_e32 v70, s11, v42
	v_add_co_u32 v58, vcc_lo, s2, v28
	v_lshlrev_b64 v[36:37], 4, v[26:27]
	v_ashrrev_i32_e32 v35, 31, v34
	v_add_co_ci_u32_e32 v59, vcc_lo, s3, v29, vcc_lo
	v_add_co_u32 v60, vcc_lo, s2, v32
	v_lshlrev_b64 v[40:41], 4, v[30:31]
	v_ashrrev_i32_e32 v39, 31, v38
	v_add_nc_u32_e32 v72, s11, v70
	v_add_co_ci_u32_e32 v61, vcc_lo, s3, v33, vcc_lo
	v_add_co_u32 v62, vcc_lo, s2, v36
	v_lshlrev_b64 v[44:45], 4, v[34:35]
	v_ashrrev_i32_e32 v43, 31, v42
	v_add_co_ci_u32_e32 v63, vcc_lo, s3, v37, vcc_lo
	v_add_co_u32 v64, vcc_lo, s2, v40
	v_lshlrev_b64 v[68:69], 4, v[38:39]
	v_add_nc_u32_e32 v76, s11, v72
	v_add_co_ci_u32_e32 v65, vcc_lo, s3, v41, vcc_lo
	v_add_co_u32 v66, vcc_lo, s2, v44
	v_lshlrev_b64 v[74:75], 4, v[42:43]
	v_ashrrev_i32_e32 v71, 31, v70
	v_add_co_ci_u32_e32 v67, vcc_lo, s3, v45, vcc_lo
	v_add_nc_u32_e32 v80, s11, v76
	v_add_co_u32 v68, vcc_lo, s2, v68
	v_ashrrev_i32_e32 v73, 31, v72
	s_clause 0x3
	global_load_b128 v[1:4], v13, s[2:3]
	global_load_b128 v[5:8], v[48:49], off
	global_load_b128 v[9:12], v[50:51], off
	;; [unrolled: 1-line block ×3, first 2 shown]
	v_add_co_ci_u32_e32 v69, vcc_lo, s3, v69, vcc_lo
	v_lshlrev_b64 v[78:79], 4, v[70:71]
	s_clause 0x1
	global_load_b128 v[18:21], v[54:55], off
	global_load_b128 v[22:25], v[56:57], off
	v_add_co_u32 v70, vcc_lo, s2, v74
	v_ashrrev_i32_e32 v77, 31, v76
	s_clause 0x1
	global_load_b128 v[26:29], v[58:59], off
	global_load_b128 v[30:33], v[60:61], off
	v_add_nc_u32_e32 v82, s11, v80
	s_clause 0x1
	global_load_b128 v[34:37], v[62:63], off
	global_load_b128 v[38:41], v[64:65], off
	v_add_co_ci_u32_e32 v71, vcc_lo, s3, v75, vcc_lo
	v_lshlrev_b64 v[74:75], 4, v[72:73]
	s_clause 0x1
	global_load_b128 v[42:45], v[66:67], off
	global_load_b128 v[134:137], v[68:69], off
	v_add_co_u32 v72, vcc_lo, s2, v78
	v_lshlrev_b64 v[76:77], 4, v[76:77]
	v_ashrrev_i32_e32 v81, 31, v80
	v_add_nc_u32_e32 v84, s11, v82
	v_add_co_ci_u32_e32 v73, vcc_lo, s3, v79, vcc_lo
	v_add_co_u32 v74, vcc_lo, s2, v74
	v_ashrrev_i32_e32 v83, 31, v82
	v_add_co_ci_u32_e32 v75, vcc_lo, s3, v75, vcc_lo
	v_lshlrev_b64 v[78:79], 4, v[80:81]
	s_clause 0x1
	global_load_b128 v[138:141], v[70:71], off
	global_load_b128 v[142:145], v[72:73], off
	v_add_co_u32 v76, vcc_lo, s2, v76
	v_ashrrev_i32_e32 v85, 31, v84
	v_add_co_ci_u32_e32 v77, vcc_lo, s3, v77, vcc_lo
	v_lshlrev_b64 v[80:81], 4, v[82:83]
	v_add_co_u32 v78, vcc_lo, s2, v78
	s_delay_alu instid0(VALU_DEP_4)
	v_lshlrev_b64 v[82:83], 4, v[84:85]
	s_clause 0x1
	global_load_b128 v[146:149], v[74:75], off
	global_load_b128 v[151:154], v[76:77], off
	v_add_co_ci_u32_e32 v79, vcc_lo, s3, v79, vcc_lo
	v_add_co_u32 v80, vcc_lo, s2, v80
	v_add_co_ci_u32_e32 v81, vcc_lo, s3, v81, vcc_lo
	v_add_co_u32 v82, vcc_lo, s2, v82
	v_add_co_ci_u32_e32 v83, vcc_lo, s3, v83, vcc_lo
	s_clause 0x2
	global_load_b128 v[155:158], v[78:79], off
	global_load_b128 v[159:162], v[80:81], off
	;; [unrolled: 1-line block ×3, first 2 shown]
	v_add_nc_u32_e32 v86, s11, v84
	s_movk_i32 s4, 0x70
	s_movk_i32 s5, 0x80
	;; [unrolled: 1-line block ×4, first 2 shown]
	v_add_nc_u32_e32 v88, s11, v86
	v_ashrrev_i32_e32 v87, 31, v86
	s_movk_i32 s10, 0xb0
	s_movk_i32 s29, 0x180
	;; [unrolled: 1-line block ×3, first 2 shown]
	v_add_nc_u32_e32 v90, s11, v88
	v_ashrrev_i32_e32 v89, 31, v88
	v_lshlrev_b64 v[84:85], 4, v[86:87]
	s_movk_i32 s31, 0x1a0
	s_movk_i32 s33, 0x1b0
	v_add_nc_u32_e32 v92, s11, v90
	v_ashrrev_i32_e32 v91, 31, v90
	v_lshlrev_b64 v[86:87], 4, v[88:89]
	v_add_co_u32 v84, vcc_lo, s2, v84
	s_delay_alu instid0(VALU_DEP_4) | instskip(SKIP_3) | instid1(VALU_DEP_4)
	v_add_nc_u32_e32 v94, s11, v92
	v_ashrrev_i32_e32 v93, 31, v92
	v_lshlrev_b64 v[88:89], 4, v[90:91]
	v_add_co_ci_u32_e32 v85, vcc_lo, s3, v85, vcc_lo
	v_add_nc_u32_e32 v96, s11, v94
	v_ashrrev_i32_e32 v95, 31, v94
	v_add_co_u32 v86, vcc_lo, s2, v86
	v_lshlrev_b64 v[90:91], 4, v[92:93]
	s_delay_alu instid0(VALU_DEP_4) | instskip(SKIP_3) | instid1(VALU_DEP_4)
	v_add_nc_u32_e32 v98, s11, v96
	v_ashrrev_i32_e32 v97, 31, v96
	v_add_co_ci_u32_e32 v87, vcc_lo, s3, v87, vcc_lo
	v_add_co_u32 v88, vcc_lo, s2, v88
	v_add_nc_u32_e32 v100, s11, v98
	v_lshlrev_b64 v[92:93], 4, v[94:95]
	v_ashrrev_i32_e32 v99, 31, v98
	v_add_co_ci_u32_e32 v89, vcc_lo, s3, v89, vcc_lo
	s_delay_alu instid0(VALU_DEP_4) | instskip(SKIP_3) | instid1(VALU_DEP_4)
	v_add_nc_u32_e32 v102, s11, v100
	v_add_co_u32 v90, vcc_lo, s2, v90
	v_lshlrev_b64 v[94:95], 4, v[96:97]
	v_ashrrev_i32_e32 v101, 31, v100
	v_add_nc_u32_e32 v104, s11, v102
	v_add_co_ci_u32_e32 v91, vcc_lo, s3, v91, vcc_lo
	v_add_co_u32 v92, vcc_lo, s2, v92
	s_delay_alu instid0(VALU_DEP_3) | instskip(SKIP_3) | instid1(VALU_DEP_4)
	v_add_nc_u32_e32 v106, s11, v104
	v_lshlrev_b64 v[96:97], 4, v[98:99]
	v_ashrrev_i32_e32 v103, 31, v102
	v_add_co_ci_u32_e32 v93, vcc_lo, s3, v93, vcc_lo
	v_add_nc_u32_e32 v108, s11, v106
	v_add_co_u32 v94, vcc_lo, s2, v94
	v_lshlrev_b64 v[98:99], 4, v[100:101]
	v_ashrrev_i32_e32 v105, 31, v104
	s_delay_alu instid0(VALU_DEP_4) | instskip(SKIP_2) | instid1(VALU_DEP_3)
	v_add_nc_u32_e32 v110, s11, v108
	v_add_co_ci_u32_e32 v95, vcc_lo, s3, v95, vcc_lo
	v_add_co_u32 v96, vcc_lo, s2, v96
	v_add_nc_u32_e32 v112, s11, v110
	v_lshlrev_b64 v[100:101], 4, v[102:103]
	v_ashrrev_i32_e32 v107, 31, v106
	v_add_co_ci_u32_e32 v97, vcc_lo, s3, v97, vcc_lo
	s_delay_alu instid0(VALU_DEP_4) | instskip(SKIP_3) | instid1(VALU_DEP_4)
	v_add_nc_u32_e32 v114, s11, v112
	v_add_co_u32 v98, vcc_lo, s2, v98
	v_lshlrev_b64 v[102:103], 4, v[104:105]
	v_ashrrev_i32_e32 v109, 31, v108
	v_add_nc_u32_e32 v116, s11, v114
	v_add_co_ci_u32_e32 v99, vcc_lo, s3, v99, vcc_lo
	v_add_co_u32 v100, vcc_lo, s2, v100
	s_delay_alu instid0(VALU_DEP_3) | instskip(SKIP_3) | instid1(VALU_DEP_4)
	v_add_nc_u32_e32 v118, s11, v116
	v_lshlrev_b64 v[104:105], 4, v[106:107]
	v_add_co_ci_u32_e32 v101, vcc_lo, s3, v101, vcc_lo
	v_add_co_u32 v102, vcc_lo, s2, v102
	v_add_nc_u32_e32 v120, s11, v118
	v_lshlrev_b64 v[106:107], 4, v[108:109]
	v_ashrrev_i32_e32 v111, 31, v110
	v_add_co_ci_u32_e32 v103, vcc_lo, s3, v103, vcc_lo
	s_delay_alu instid0(VALU_DEP_4) | instskip(SKIP_2) | instid1(VALU_DEP_3)
	v_add_nc_u32_e32 v122, s11, v120
	v_add_co_u32 v104, vcc_lo, s2, v104
	v_add_co_ci_u32_e32 v105, vcc_lo, s3, v105, vcc_lo
	v_add_nc_u32_e32 v124, s11, v122
	v_lshlrev_b64 v[110:111], 4, v[110:111]
	v_ashrrev_i32_e32 v113, 31, v112
	v_add_co_u32 v108, vcc_lo, s2, v106
	s_delay_alu instid0(VALU_DEP_4) | instskip(SKIP_3) | instid1(VALU_DEP_4)
	v_add_nc_u32_e32 v126, s11, v124
	v_add_co_ci_u32_e32 v109, vcc_lo, s3, v107, vcc_lo
	v_ashrrev_i32_e32 v115, 31, v114
	v_lshlrev_b64 v[112:113], 4, v[112:113]
	v_add_nc_u32_e32 v128, s11, v126
	v_add_co_u32 v110, vcc_lo, s2, v110
	v_ashrrev_i32_e32 v117, 31, v116
	v_add_co_ci_u32_e32 v111, vcc_lo, s3, v111, vcc_lo
	s_delay_alu instid0(VALU_DEP_4)
	v_add_nc_u32_e32 v130, s11, v128
	v_lshlrev_b64 v[114:115], 4, v[114:115]
	v_ashrrev_i32_e32 v119, 31, v118
	v_lshlrev_b64 v[116:117], 4, v[116:117]
	v_ashrrev_i32_e32 v121, 31, v120
	v_add_nc_u32_e32 v132, s11, v130
	v_ashrrev_i32_e32 v123, 31, v122
	v_lshlrev_b64 v[118:119], 4, v[118:119]
	v_ashrrev_i32_e32 v125, 31, v124
	v_lshlrev_b64 v[120:121], 4, v[120:121]
	v_add_nc_u32_e32 v187, s11, v132
	v_lshlrev_b64 v[122:123], 4, v[122:123]
	v_ashrrev_i32_e32 v127, 31, v126
	v_lshlrev_b64 v[124:125], 4, v[124:125]
	v_ashrrev_i32_e32 v129, 31, v128
	v_add_nc_u32_e32 v189, s11, v187
	v_ashrrev_i32_e32 v131, 31, v130
	v_lshlrev_b64 v[126:127], 4, v[126:127]
	v_ashrrev_i32_e32 v133, 31, v132
	v_lshlrev_b64 v[128:129], 4, v[128:129]
	v_add_nc_u32_e32 v191, s11, v189
	v_lshlrev_b64 v[130:131], 4, v[130:131]
	v_ashrrev_i32_e32 v188, 31, v187
	v_lshlrev_b64 v[132:133], 4, v[132:133]
	v_ashrrev_i32_e32 v190, 31, v189
	v_add_nc_u32_e32 v193, s11, v191
	s_clause 0x1
	global_load_b128 v[167:170], v[84:85], off
	global_load_b128 v[171:174], v[86:87], off
	v_lshlrev_b64 v[187:188], 4, v[187:188]
	s_clause 0x1
	global_load_b128 v[175:178], v[88:89], off
	global_load_b128 v[179:182], v[90:91], off
	v_add_nc_u32_e32 v195, s11, v193
	s_clause 0x7
	global_load_b128 v[183:186], v[92:93], off
	global_load_b128 v[202:205], v[94:95], off
	;; [unrolled: 1-line block ×8, first 2 shown]
	v_add_nc_u32_e32 v197, s11, v195
	v_lshlrev_b64 v[189:190], 4, v[189:190]
	v_ashrrev_i32_e32 v192, 31, v191
	v_ashrrev_i32_e32 v194, 31, v193
	;; [unrolled: 1-line block ×3, first 2 shown]
	v_add_nc_u32_e32 v199, s11, v197
	v_ashrrev_i32_e32 v198, 31, v197
	s_movk_i32 s34, 0x1c0
	s_movk_i32 s35, 0x1d0
	;; [unrolled: 1-line block ×3, first 2 shown]
	v_add_nc_u32_e32 v254, s11, v199
	s_movk_i32 s37, 0x1f0
	s_movk_i32 s38, 0x200
	;; [unrolled: 1-line block ×4, first 2 shown]
	v_add_nc_u32_e32 v200, s11, v254
	v_ashrrev_i32_e32 v255, 31, v254
	s_movk_i32 s11, 0xc0
	s_movk_i32 s41, 0x230
	;; [unrolled: 1-line block ×3, first 2 shown]
	v_ashrrev_i32_e32 v201, 31, v200
	s_movk_i32 s43, 0x250
	s_movk_i32 s44, 0x260
	s_movk_i32 s45, 0x270
	s_movk_i32 s46, 0x280
	v_lshlrev_b64 v[106:107], 4, v[200:201]
	v_ashrrev_i32_e32 v200, 31, v199
	s_movk_i32 s47, 0x290
	s_movk_i32 s48, 0x2a0
	;; [unrolled: 1-line block ×4, first 2 shown]
	v_add_co_u32 v106, vcc_lo, s2, v106
	v_add_co_ci_u32_e32 v107, vcc_lo, s3, v107, vcc_lo
	v_add_co_u32 v112, vcc_lo, s2, v112
	v_add_co_ci_u32_e32 v113, vcc_lo, s3, v113, vcc_lo
	;; [unrolled: 2-line block ×10, first 2 shown]
	v_add_co_u32 v130, vcc_lo, s2, v130
	global_load_b128 v[230:233], v[106:107], off
	s_waitcnt vmcnt(31)
	scratch_store_b128 off, v[1:4], off
	s_waitcnt vmcnt(30)
	scratch_store_b128 off, v[5:8], off offset:16
	s_clause 0x1
	global_load_b128 v[1:4], v[110:111], off
	global_load_b128 v[5:8], v[112:113], off
	s_waitcnt vmcnt(31)
	scratch_store_b128 off, v[9:12], off offset:32
	s_waitcnt vmcnt(30)
	scratch_store_b128 off, v[14:17], off offset:48
	v_add_co_ci_u32_e32 v131, vcc_lo, s3, v131, vcc_lo
	s_clause 0x1
	global_load_b128 v[9:12], v[114:115], off
	global_load_b128 v[14:17], v[116:117], off
	s_waitcnt vmcnt(31)
	scratch_store_b128 off, v[18:21], off offset:64
	s_waitcnt vmcnt(30)
	scratch_store_b128 off, v[22:25], off offset:80
	v_add_co_u32 v132, vcc_lo, s2, v132
	s_clause 0x1
	global_load_b128 v[18:21], v[118:119], off
	global_load_b128 v[22:25], v[120:121], off
	s_waitcnt vmcnt(31)
	scratch_store_b128 off, v[26:29], off offset:96
	s_waitcnt vmcnt(30)
	scratch_store_b128 off, v[30:33], off offset:112
	s_clause 0x1
	global_load_b128 v[26:29], v[122:123], off
	global_load_b128 v[30:33], v[124:125], off
	s_waitcnt vmcnt(31)
	scratch_store_b128 off, v[34:37], off offset:128
	s_waitcnt vmcnt(30)
	scratch_store_b128 off, v[38:41], off offset:144
	v_add_co_ci_u32_e32 v133, vcc_lo, s3, v133, vcc_lo
	s_clause 0x1
	global_load_b128 v[34:37], v[126:127], off
	global_load_b128 v[38:41], v[128:129], off
	s_waitcnt vmcnt(31)
	scratch_store_b128 off, v[42:45], off offset:160
	s_waitcnt vmcnt(30)
	scratch_store_b128 off, v[134:137], off offset:176
	v_add_co_u32 v134, vcc_lo, s2, v187
	v_add_co_ci_u32_e32 v135, vcc_lo, s3, v188, vcc_lo
	v_lshlrev_b64 v[187:188], 4, v[191:192]
	v_add_co_u32 v136, vcc_lo, s2, v189
	v_add_co_ci_u32_e32 v137, vcc_lo, s3, v190, vcc_lo
	v_lshlrev_b64 v[189:190], 4, v[193:194]
	s_clause 0x1
	global_load_b128 v[42:45], v[130:131], off
	global_load_b128 v[234:237], v[132:133], off
	s_waitcnt vmcnt(31)
	scratch_store_b128 off, v[138:141], off offset:192
	s_waitcnt vmcnt(30)
	scratch_store_b128 off, v[142:145], off offset:208
	v_add_co_u32 v138, vcc_lo, s2, v187
	v_lshlrev_b64 v[142:143], 4, v[195:196]
	v_add_co_ci_u32_e32 v139, vcc_lo, s3, v188, vcc_lo
	v_add_co_u32 v140, vcc_lo, s2, v189
	v_lshlrev_b64 v[144:145], 4, v[197:198]
	v_add_co_ci_u32_e32 v141, vcc_lo, s3, v190, vcc_lo
	s_clause 0x1
	global_load_b128 v[238:241], v[134:135], off
	global_load_b128 v[242:245], v[136:137], off
	s_waitcnt vmcnt(31)
	scratch_store_b128 off, v[146:149], off offset:224
	s_waitcnt vmcnt(30)
	scratch_store_b128 off, v[151:154], off offset:240
	v_add_co_u32 v142, vcc_lo, s2, v142
	v_lshlrev_b64 v[146:147], 4, v[199:200]
	v_add_co_ci_u32_e32 v143, vcc_lo, s3, v143, vcc_lo
	v_add_co_u32 v144, vcc_lo, s2, v144
	v_lshlrev_b64 v[148:149], 4, v[254:255]
	v_add_co_ci_u32_e32 v145, vcc_lo, s3, v145, vcc_lo
	v_add_co_u32 v146, vcc_lo, s2, v146
	v_add_co_ci_u32_e32 v147, vcc_lo, s3, v147, vcc_lo
	s_delay_alu instid0(VALU_DEP_4)
	v_add_co_u32 v148, vcc_lo, s2, v148
	s_clause 0x1
	global_load_b128 v[246:249], v[138:139], off
	global_load_b128 v[250:253], v[140:141], off
	s_waitcnt vmcnt(31)
	scratch_store_b128 off, v[155:158], off offset:256
	s_waitcnt vmcnt(30)
	scratch_store_b128 off, v[159:162], off offset:272
	s_clause 0x1
	global_load_b128 v[151:154], v[142:143], off
	global_load_b128 v[155:158], v[144:145], off
	v_add_co_ci_u32_e32 v149, vcc_lo, s3, v149, vcc_lo
	s_waitcnt vmcnt(31)
	scratch_store_b128 off, v[163:166], off offset:288
	global_load_b128 v[159:162], v[146:147], off
	s_movk_i32 s2, 0x50
	global_load_b128 v[163:166], v[148:149], off
	s_movk_i32 s3, 0x60
	s_movk_i32 s51, 0x2d0
	;; [unrolled: 1-line block ×8, first 2 shown]
	v_add_nc_u32_e64 v201, 0, 16
	v_add_nc_u32_e64 v200, 0, 32
	;; [unrolled: 1-line block ×15, first 2 shown]
	s_mov_b32 s3, -1
	s_bitcmp0_b32 s21, 0
	s_waitcnt vmcnt(32)
	scratch_store_b128 off, v[167:170], off offset:304
	s_waitcnt vmcnt(31)
	scratch_store_b128 off, v[171:174], off offset:320
	;; [unrolled: 2-line block ×5, first 2 shown]
	v_add_nc_u32_e64 v186, s15, 0
	v_add_nc_u32_e64 v185, s22, 0
	v_add_nc_u32_e64 v184, s23, 0
	s_waitcnt vmcnt(27)
	scratch_store_b128 off, v[202:205], off offset:384
	s_waitcnt vmcnt(26)
	scratch_store_b128 off, v[206:209], off offset:400
	v_add_nc_u32_e64 v183, s24, 0
	v_add_nc_u32_e64 v182, s25, 0
	v_add_nc_u32_e64 v181, s26, 0
	v_add_nc_u32_e64 v180, s27, 0
	v_add_nc_u32_e64 v179, s28, 0
	v_add_nc_u32_e64 v178, s29, 0
	v_add_nc_u32_e64 v177, s30, 0
	v_add_nc_u32_e64 v176, s31, 0
	s_waitcnt vmcnt(25)
	scratch_store_b128 off, v[210:213], off offset:416
	s_waitcnt vmcnt(24)
	scratch_store_b128 off, v[214:217], off offset:432
	v_add_nc_u32_e64 v175, s33, 0
	v_add_nc_u32_e64 v174, s34, 0
	v_add_nc_u32_e64 v173, s35, 0
	v_add_nc_u32_e64 v171, s36, 0
	v_add_nc_u32_e64 v170, s37, 0
	;; [unrolled: 12-line block ×3, first 2 shown]
	v_add_nc_u32_e64 v207, s46, 0
	v_add_nc_u32_e64 v206, s47, 0
	;; [unrolled: 1-line block ×3, first 2 shown]
	s_waitcnt vmcnt(21)
	scratch_store_b128 off, v[226:229], off offset:480
	v_add_nc_u32_e64 v204, s49, 0
	v_add_nc_u32_e64 v203, s50, 0
	v_add_nc_u32_e64 v172, s51, 0
	v_add_nc_u32_e64 v169, s52, 0
	v_add_nc_u32_e64 v167, s53, 0
	s_waitcnt vmcnt(19)
	scratch_store_b128 off, v[1:4], off offset:496
	s_waitcnt vmcnt(18)
	scratch_store_b128 off, v[5:8], off offset:512
	;; [unrolled: 2-line block ×19, first 2 shown]
	v_add_nc_u32_e64 v151, s54, 0
	v_add_nc_u32_e64 v162, s55, 0
	;; [unrolled: 1-line block ×4, first 2 shown]
	s_waitcnt vmcnt(0)
	s_clause 0x1
	scratch_store_b128 off, v[163:166], off offset:800
	scratch_store_b128 off, v[230:233], off offset:816
	s_cbranch_scc1 .LBB51_220
; %bb.4:
	v_cmp_eq_u32_e64 s2, 0, v150
	s_delay_alu instid0(VALU_DEP_1)
	s_and_saveexec_b32 s3, s2
	s_cbranch_execz .LBB51_6
; %bb.5:
	v_mov_b32_e32 v1, 0
	ds_store_b32 v1, v1 offset:1664
.LBB51_6:
	s_or_b32 exec_lo, exec_lo, s3
	s_waitcnt lgkmcnt(0)
	s_waitcnt_vscnt null, 0x0
	s_barrier
	buffer_gl0_inv
	scratch_load_b128 v[1:4], v13, off
	s_waitcnt vmcnt(0)
	v_cmp_eq_f64_e32 vcc_lo, 0, v[1:2]
	v_cmp_eq_f64_e64 s3, 0, v[3:4]
	s_delay_alu instid0(VALU_DEP_1) | instskip(NEXT) | instid1(SALU_CYCLE_1)
	s_and_b32 s3, vcc_lo, s3
	s_and_saveexec_b32 s4, s3
	s_cbranch_execz .LBB51_10
; %bb.7:
	v_mov_b32_e32 v1, 0
	s_mov_b32 s5, 0
	ds_load_b32 v2, v1 offset:1664
	s_waitcnt lgkmcnt(0)
	v_readfirstlane_b32 s3, v2
	v_add_nc_u32_e32 v2, 1, v150
	s_delay_alu instid0(VALU_DEP_2) | instskip(NEXT) | instid1(VALU_DEP_1)
	s_cmp_eq_u32 s3, 0
	v_cmp_gt_i32_e32 vcc_lo, s3, v2
	s_cselect_b32 s8, -1, 0
	s_delay_alu instid0(SALU_CYCLE_1) | instskip(NEXT) | instid1(SALU_CYCLE_1)
	s_or_b32 s8, s8, vcc_lo
	s_and_b32 exec_lo, exec_lo, s8
	s_cbranch_execz .LBB51_10
; %bb.8:
	v_mov_b32_e32 v3, s3
.LBB51_9:                               ; =>This Inner Loop Header: Depth=1
	ds_cmpstore_rtn_b32 v3, v1, v2, v3 offset:1664
	s_waitcnt lgkmcnt(0)
	v_cmp_ne_u32_e32 vcc_lo, 0, v3
	v_cmp_le_i32_e64 s3, v3, v2
	s_delay_alu instid0(VALU_DEP_1) | instskip(NEXT) | instid1(SALU_CYCLE_1)
	s_and_b32 s3, vcc_lo, s3
	s_and_b32 s3, exec_lo, s3
	s_delay_alu instid0(SALU_CYCLE_1) | instskip(NEXT) | instid1(SALU_CYCLE_1)
	s_or_b32 s5, s3, s5
	s_and_not1_b32 exec_lo, exec_lo, s5
	s_cbranch_execnz .LBB51_9
.LBB51_10:
	s_or_b32 exec_lo, exec_lo, s4
	v_mov_b32_e32 v1, 0
	s_barrier
	buffer_gl0_inv
	ds_load_b32 v2, v1 offset:1664
	s_and_saveexec_b32 s3, s2
	s_cbranch_execz .LBB51_12
; %bb.11:
	s_lshl_b64 s[4:5], s[18:19], 2
	s_delay_alu instid0(SALU_CYCLE_1)
	s_add_u32 s4, s6, s4
	s_addc_u32 s5, s7, s5
	s_waitcnt lgkmcnt(0)
	global_store_b32 v1, v2, s[4:5]
.LBB51_12:
	s_or_b32 exec_lo, exec_lo, s3
	s_waitcnt lgkmcnt(0)
	v_cmp_ne_u32_e32 vcc_lo, 0, v2
	s_mov_b32 s3, 0
	s_cbranch_vccnz .LBB51_220
; %bb.13:
	v_add_nc_u32_e32 v14, 0, v13
                                        ; implicit-def: $vgpr9_vgpr10
	scratch_load_b128 v[1:4], v14, off
	s_waitcnt vmcnt(0)
	v_mov_b32_e32 v5, v1
	v_cmp_gt_f64_e32 vcc_lo, 0, v[1:2]
	v_xor_b32_e32 v6, 0x80000000, v2
	v_xor_b32_e32 v7, 0x80000000, v4
	s_delay_alu instid0(VALU_DEP_2) | instskip(SKIP_1) | instid1(VALU_DEP_3)
	v_cndmask_b32_e32 v6, v2, v6, vcc_lo
	v_cmp_gt_f64_e32 vcc_lo, 0, v[3:4]
	v_dual_cndmask_b32 v8, v4, v7 :: v_dual_mov_b32 v7, v3
	s_delay_alu instid0(VALU_DEP_1) | instskip(SKIP_1) | instid1(SALU_CYCLE_1)
	v_cmp_ngt_f64_e32 vcc_lo, v[5:6], v[7:8]
                                        ; implicit-def: $vgpr5_vgpr6
	s_and_saveexec_b32 s3, vcc_lo
	s_xor_b32 s3, exec_lo, s3
	s_cbranch_execz .LBB51_15
; %bb.14:
	v_div_scale_f64 v[5:6], null, v[3:4], v[3:4], v[1:2]
	v_div_scale_f64 v[11:12], vcc_lo, v[1:2], v[3:4], v[1:2]
	s_delay_alu instid0(VALU_DEP_2) | instskip(SKIP_2) | instid1(VALU_DEP_1)
	v_rcp_f64_e32 v[7:8], v[5:6]
	s_waitcnt_depctr 0xfff
	v_fma_f64 v[9:10], -v[5:6], v[7:8], 1.0
	v_fma_f64 v[7:8], v[7:8], v[9:10], v[7:8]
	s_delay_alu instid0(VALU_DEP_1) | instskip(NEXT) | instid1(VALU_DEP_1)
	v_fma_f64 v[9:10], -v[5:6], v[7:8], 1.0
	v_fma_f64 v[7:8], v[7:8], v[9:10], v[7:8]
	s_delay_alu instid0(VALU_DEP_1) | instskip(NEXT) | instid1(VALU_DEP_1)
	v_mul_f64 v[9:10], v[11:12], v[7:8]
	v_fma_f64 v[5:6], -v[5:6], v[9:10], v[11:12]
	s_delay_alu instid0(VALU_DEP_1) | instskip(NEXT) | instid1(VALU_DEP_1)
	v_div_fmas_f64 v[5:6], v[5:6], v[7:8], v[9:10]
	v_div_fixup_f64 v[5:6], v[5:6], v[3:4], v[1:2]
	s_delay_alu instid0(VALU_DEP_1) | instskip(NEXT) | instid1(VALU_DEP_1)
	v_fma_f64 v[1:2], v[1:2], v[5:6], v[3:4]
	v_div_scale_f64 v[3:4], null, v[1:2], v[1:2], 1.0
	v_div_scale_f64 v[11:12], vcc_lo, 1.0, v[1:2], 1.0
	s_delay_alu instid0(VALU_DEP_2) | instskip(SKIP_2) | instid1(VALU_DEP_1)
	v_rcp_f64_e32 v[7:8], v[3:4]
	s_waitcnt_depctr 0xfff
	v_fma_f64 v[9:10], -v[3:4], v[7:8], 1.0
	v_fma_f64 v[7:8], v[7:8], v[9:10], v[7:8]
	s_delay_alu instid0(VALU_DEP_1) | instskip(NEXT) | instid1(VALU_DEP_1)
	v_fma_f64 v[9:10], -v[3:4], v[7:8], 1.0
	v_fma_f64 v[7:8], v[7:8], v[9:10], v[7:8]
	s_delay_alu instid0(VALU_DEP_1) | instskip(NEXT) | instid1(VALU_DEP_1)
	v_mul_f64 v[9:10], v[11:12], v[7:8]
	v_fma_f64 v[3:4], -v[3:4], v[9:10], v[11:12]
	s_delay_alu instid0(VALU_DEP_1) | instskip(NEXT) | instid1(VALU_DEP_1)
	v_div_fmas_f64 v[3:4], v[3:4], v[7:8], v[9:10]
	v_div_fixup_f64 v[7:8], v[3:4], v[1:2], 1.0
                                        ; implicit-def: $vgpr1_vgpr2
	s_delay_alu instid0(VALU_DEP_1) | instskip(SKIP_1) | instid1(VALU_DEP_2)
	v_mul_f64 v[5:6], v[5:6], v[7:8]
	v_xor_b32_e32 v8, 0x80000000, v8
	v_xor_b32_e32 v10, 0x80000000, v6
	s_delay_alu instid0(VALU_DEP_3)
	v_mov_b32_e32 v9, v5
.LBB51_15:
	s_and_not1_saveexec_b32 s3, s3
	s_cbranch_execz .LBB51_17
; %bb.16:
	v_div_scale_f64 v[5:6], null, v[1:2], v[1:2], v[3:4]
	v_div_scale_f64 v[11:12], vcc_lo, v[3:4], v[1:2], v[3:4]
	s_delay_alu instid0(VALU_DEP_2) | instskip(SKIP_2) | instid1(VALU_DEP_1)
	v_rcp_f64_e32 v[7:8], v[5:6]
	s_waitcnt_depctr 0xfff
	v_fma_f64 v[9:10], -v[5:6], v[7:8], 1.0
	v_fma_f64 v[7:8], v[7:8], v[9:10], v[7:8]
	s_delay_alu instid0(VALU_DEP_1) | instskip(NEXT) | instid1(VALU_DEP_1)
	v_fma_f64 v[9:10], -v[5:6], v[7:8], 1.0
	v_fma_f64 v[7:8], v[7:8], v[9:10], v[7:8]
	s_delay_alu instid0(VALU_DEP_1) | instskip(NEXT) | instid1(VALU_DEP_1)
	v_mul_f64 v[9:10], v[11:12], v[7:8]
	v_fma_f64 v[5:6], -v[5:6], v[9:10], v[11:12]
	s_delay_alu instid0(VALU_DEP_1) | instskip(NEXT) | instid1(VALU_DEP_1)
	v_div_fmas_f64 v[5:6], v[5:6], v[7:8], v[9:10]
	v_div_fixup_f64 v[7:8], v[5:6], v[1:2], v[3:4]
	s_delay_alu instid0(VALU_DEP_1) | instskip(NEXT) | instid1(VALU_DEP_1)
	v_fma_f64 v[1:2], v[3:4], v[7:8], v[1:2]
	v_div_scale_f64 v[3:4], null, v[1:2], v[1:2], 1.0
	s_delay_alu instid0(VALU_DEP_1) | instskip(SKIP_2) | instid1(VALU_DEP_1)
	v_rcp_f64_e32 v[5:6], v[3:4]
	s_waitcnt_depctr 0xfff
	v_fma_f64 v[9:10], -v[3:4], v[5:6], 1.0
	v_fma_f64 v[5:6], v[5:6], v[9:10], v[5:6]
	s_delay_alu instid0(VALU_DEP_1) | instskip(NEXT) | instid1(VALU_DEP_1)
	v_fma_f64 v[9:10], -v[3:4], v[5:6], 1.0
	v_fma_f64 v[5:6], v[5:6], v[9:10], v[5:6]
	v_div_scale_f64 v[9:10], vcc_lo, 1.0, v[1:2], 1.0
	s_delay_alu instid0(VALU_DEP_1) | instskip(NEXT) | instid1(VALU_DEP_1)
	v_mul_f64 v[11:12], v[9:10], v[5:6]
	v_fma_f64 v[3:4], -v[3:4], v[11:12], v[9:10]
	s_delay_alu instid0(VALU_DEP_1) | instskip(NEXT) | instid1(VALU_DEP_1)
	v_div_fmas_f64 v[3:4], v[3:4], v[5:6], v[11:12]
	v_div_fixup_f64 v[5:6], v[3:4], v[1:2], 1.0
	s_delay_alu instid0(VALU_DEP_1)
	v_mul_f64 v[7:8], v[7:8], -v[5:6]
	v_xor_b32_e32 v10, 0x80000000, v6
	v_mov_b32_e32 v9, v5
.LBB51_17:
	s_or_b32 exec_lo, exec_lo, s3
	scratch_store_b128 v14, v[5:8], off
	scratch_load_b128 v[1:4], v201, off
	v_xor_b32_e32 v12, 0x80000000, v8
	v_mov_b32_e32 v11, v7
	v_add_nc_u32_e32 v5, 0x340, v13
	ds_store_b128 v13, v[9:12]
	s_waitcnt vmcnt(0)
	ds_store_b128 v13, v[1:4] offset:832
	s_waitcnt lgkmcnt(0)
	s_waitcnt_vscnt null, 0x0
	s_barrier
	buffer_gl0_inv
	s_and_saveexec_b32 s3, s2
	s_cbranch_execz .LBB51_19
; %bb.18:
	scratch_load_b128 v[1:4], v14, off
	ds_load_b128 v[6:9], v5
	v_mov_b32_e32 v10, 0
	ds_load_b128 v[15:18], v10 offset:16
	s_waitcnt vmcnt(0) lgkmcnt(1)
	v_mul_f64 v[10:11], v[6:7], v[3:4]
	v_mul_f64 v[3:4], v[8:9], v[3:4]
	s_delay_alu instid0(VALU_DEP_2) | instskip(NEXT) | instid1(VALU_DEP_2)
	v_fma_f64 v[8:9], v[8:9], v[1:2], v[10:11]
	v_fma_f64 v[1:2], v[6:7], v[1:2], -v[3:4]
	s_delay_alu instid0(VALU_DEP_2) | instskip(NEXT) | instid1(VALU_DEP_2)
	v_add_f64 v[3:4], v[8:9], 0
	v_add_f64 v[1:2], v[1:2], 0
	s_waitcnt lgkmcnt(0)
	s_delay_alu instid0(VALU_DEP_2) | instskip(NEXT) | instid1(VALU_DEP_2)
	v_mul_f64 v[6:7], v[3:4], v[17:18]
	v_mul_f64 v[8:9], v[1:2], v[17:18]
	s_delay_alu instid0(VALU_DEP_2) | instskip(NEXT) | instid1(VALU_DEP_2)
	v_fma_f64 v[1:2], v[1:2], v[15:16], -v[6:7]
	v_fma_f64 v[3:4], v[3:4], v[15:16], v[8:9]
	scratch_store_b128 off, v[1:4], off offset:16
.LBB51_19:
	s_or_b32 exec_lo, exec_lo, s3
	s_waitcnt_vscnt null, 0x0
	s_barrier
	buffer_gl0_inv
	scratch_load_b128 v[1:4], v200, off
	s_mov_b32 s3, exec_lo
	s_waitcnt vmcnt(0)
	ds_store_b128 v5, v[1:4]
	s_waitcnt lgkmcnt(0)
	s_barrier
	buffer_gl0_inv
	v_cmpx_gt_u32_e32 2, v150
	s_cbranch_execz .LBB51_23
; %bb.20:
	scratch_load_b128 v[1:4], v14, off
	ds_load_b128 v[6:9], v5
	s_waitcnt vmcnt(0) lgkmcnt(0)
	v_mul_f64 v[10:11], v[8:9], v[3:4]
	v_mul_f64 v[3:4], v[6:7], v[3:4]
	s_delay_alu instid0(VALU_DEP_2) | instskip(NEXT) | instid1(VALU_DEP_2)
	v_fma_f64 v[6:7], v[6:7], v[1:2], -v[10:11]
	v_fma_f64 v[3:4], v[8:9], v[1:2], v[3:4]
	s_delay_alu instid0(VALU_DEP_2) | instskip(NEXT) | instid1(VALU_DEP_2)
	v_add_f64 v[1:2], v[6:7], 0
	v_add_f64 v[3:4], v[3:4], 0
	s_and_saveexec_b32 s4, s2
	s_cbranch_execz .LBB51_22
; %bb.21:
	scratch_load_b128 v[6:9], off, off offset:16
	v_mov_b32_e32 v10, 0
	ds_load_b128 v[15:18], v10 offset:848
	s_waitcnt vmcnt(0) lgkmcnt(0)
	v_mul_f64 v[10:11], v[15:16], v[8:9]
	v_mul_f64 v[8:9], v[17:18], v[8:9]
	s_delay_alu instid0(VALU_DEP_2) | instskip(NEXT) | instid1(VALU_DEP_2)
	v_fma_f64 v[10:11], v[17:18], v[6:7], v[10:11]
	v_fma_f64 v[6:7], v[15:16], v[6:7], -v[8:9]
	s_delay_alu instid0(VALU_DEP_2) | instskip(NEXT) | instid1(VALU_DEP_2)
	v_add_f64 v[3:4], v[3:4], v[10:11]
	v_add_f64 v[1:2], v[1:2], v[6:7]
.LBB51_22:
	s_or_b32 exec_lo, exec_lo, s4
	v_mov_b32_e32 v6, 0
	ds_load_b128 v[6:9], v6 offset:32
	s_waitcnt lgkmcnt(0)
	v_mul_f64 v[10:11], v[3:4], v[8:9]
	v_mul_f64 v[8:9], v[1:2], v[8:9]
	s_delay_alu instid0(VALU_DEP_2) | instskip(NEXT) | instid1(VALU_DEP_2)
	v_fma_f64 v[1:2], v[1:2], v[6:7], -v[10:11]
	v_fma_f64 v[3:4], v[3:4], v[6:7], v[8:9]
	scratch_store_b128 off, v[1:4], off offset:32
.LBB51_23:
	s_or_b32 exec_lo, exec_lo, s3
	s_waitcnt_vscnt null, 0x0
	s_barrier
	buffer_gl0_inv
	scratch_load_b128 v[1:4], v199, off
	v_add_nc_u32_e32 v6, -1, v150
	s_mov_b32 s2, exec_lo
	s_waitcnt vmcnt(0)
	ds_store_b128 v5, v[1:4]
	s_waitcnt lgkmcnt(0)
	s_barrier
	buffer_gl0_inv
	v_cmpx_gt_u32_e32 3, v150
	s_cbranch_execz .LBB51_27
; %bb.24:
	v_dual_mov_b32 v1, 0 :: v_dual_add_nc_u32 v8, 0x340, v13
	v_dual_mov_b32 v2, 0 :: v_dual_add_nc_u32 v7, -1, v150
	v_or_b32_e32 v9, 8, v14
	s_mov_b32 s3, 0
	s_delay_alu instid0(VALU_DEP_2)
	v_dual_mov_b32 v4, v2 :: v_dual_mov_b32 v3, v1
	.p2align	6
.LBB51_25:                              ; =>This Inner Loop Header: Depth=1
	scratch_load_b128 v[15:18], v9, off offset:-8
	ds_load_b128 v[19:22], v8
	v_add_nc_u32_e32 v7, 1, v7
	v_add_nc_u32_e32 v8, 16, v8
	v_add_nc_u32_e32 v9, 16, v9
	s_delay_alu instid0(VALU_DEP_3) | instskip(SKIP_4) | instid1(VALU_DEP_2)
	v_cmp_lt_u32_e32 vcc_lo, 1, v7
	s_or_b32 s3, vcc_lo, s3
	s_waitcnt vmcnt(0) lgkmcnt(0)
	v_mul_f64 v[10:11], v[21:22], v[17:18]
	v_mul_f64 v[17:18], v[19:20], v[17:18]
	v_fma_f64 v[10:11], v[19:20], v[15:16], -v[10:11]
	s_delay_alu instid0(VALU_DEP_2) | instskip(NEXT) | instid1(VALU_DEP_2)
	v_fma_f64 v[15:16], v[21:22], v[15:16], v[17:18]
	v_add_f64 v[3:4], v[3:4], v[10:11]
	s_delay_alu instid0(VALU_DEP_2)
	v_add_f64 v[1:2], v[1:2], v[15:16]
	s_and_not1_b32 exec_lo, exec_lo, s3
	s_cbranch_execnz .LBB51_25
; %bb.26:
	s_or_b32 exec_lo, exec_lo, s3
	v_mov_b32_e32 v7, 0
	ds_load_b128 v[7:10], v7 offset:48
	s_waitcnt lgkmcnt(0)
	v_mul_f64 v[11:12], v[1:2], v[9:10]
	v_mul_f64 v[15:16], v[3:4], v[9:10]
	s_delay_alu instid0(VALU_DEP_2) | instskip(NEXT) | instid1(VALU_DEP_2)
	v_fma_f64 v[9:10], v[3:4], v[7:8], -v[11:12]
	v_fma_f64 v[11:12], v[1:2], v[7:8], v[15:16]
	scratch_store_b128 off, v[9:12], off offset:48
.LBB51_27:
	s_or_b32 exec_lo, exec_lo, s2
	s_waitcnt_vscnt null, 0x0
	s_barrier
	buffer_gl0_inv
	scratch_load_b128 v[1:4], v198, off
	s_mov_b32 s2, exec_lo
	s_waitcnt vmcnt(0)
	ds_store_b128 v5, v[1:4]
	s_waitcnt lgkmcnt(0)
	s_barrier
	buffer_gl0_inv
	v_cmpx_gt_u32_e32 4, v150
	s_cbranch_execz .LBB51_31
; %bb.28:
	v_dual_mov_b32 v1, 0 :: v_dual_add_nc_u32 v8, 0x340, v13
	v_dual_mov_b32 v2, 0 :: v_dual_add_nc_u32 v7, -1, v150
	v_or_b32_e32 v9, 8, v14
	s_mov_b32 s3, 0
	s_delay_alu instid0(VALU_DEP_2)
	v_dual_mov_b32 v4, v2 :: v_dual_mov_b32 v3, v1
	.p2align	6
.LBB51_29:                              ; =>This Inner Loop Header: Depth=1
	scratch_load_b128 v[15:18], v9, off offset:-8
	ds_load_b128 v[19:22], v8
	v_add_nc_u32_e32 v7, 1, v7
	v_add_nc_u32_e32 v8, 16, v8
	;; [unrolled: 1-line block ×3, first 2 shown]
	s_delay_alu instid0(VALU_DEP_3) | instskip(SKIP_4) | instid1(VALU_DEP_2)
	v_cmp_lt_u32_e32 vcc_lo, 2, v7
	s_or_b32 s3, vcc_lo, s3
	s_waitcnt vmcnt(0) lgkmcnt(0)
	v_mul_f64 v[10:11], v[21:22], v[17:18]
	v_mul_f64 v[17:18], v[19:20], v[17:18]
	v_fma_f64 v[10:11], v[19:20], v[15:16], -v[10:11]
	s_delay_alu instid0(VALU_DEP_2) | instskip(NEXT) | instid1(VALU_DEP_2)
	v_fma_f64 v[15:16], v[21:22], v[15:16], v[17:18]
	v_add_f64 v[3:4], v[3:4], v[10:11]
	s_delay_alu instid0(VALU_DEP_2)
	v_add_f64 v[1:2], v[1:2], v[15:16]
	s_and_not1_b32 exec_lo, exec_lo, s3
	s_cbranch_execnz .LBB51_29
; %bb.30:
	s_or_b32 exec_lo, exec_lo, s3
	v_mov_b32_e32 v7, 0
	ds_load_b128 v[7:10], v7 offset:64
	s_waitcnt lgkmcnt(0)
	v_mul_f64 v[11:12], v[1:2], v[9:10]
	v_mul_f64 v[15:16], v[3:4], v[9:10]
	s_delay_alu instid0(VALU_DEP_2) | instskip(NEXT) | instid1(VALU_DEP_2)
	v_fma_f64 v[9:10], v[3:4], v[7:8], -v[11:12]
	v_fma_f64 v[11:12], v[1:2], v[7:8], v[15:16]
	scratch_store_b128 off, v[9:12], off offset:64
.LBB51_31:
	s_or_b32 exec_lo, exec_lo, s2
	s_waitcnt_vscnt null, 0x0
	s_barrier
	buffer_gl0_inv
	scratch_load_b128 v[1:4], v197, off
	s_mov_b32 s2, exec_lo
	s_waitcnt vmcnt(0)
	ds_store_b128 v5, v[1:4]
	s_waitcnt lgkmcnt(0)
	s_barrier
	buffer_gl0_inv
	v_cmpx_gt_u32_e32 5, v150
	s_cbranch_execz .LBB51_35
; %bb.32:
	v_dual_mov_b32 v1, 0 :: v_dual_add_nc_u32 v8, 0x340, v13
	v_dual_mov_b32 v2, 0 :: v_dual_add_nc_u32 v7, -1, v150
	v_or_b32_e32 v9, 8, v14
	s_mov_b32 s3, 0
	s_delay_alu instid0(VALU_DEP_2)
	v_dual_mov_b32 v4, v2 :: v_dual_mov_b32 v3, v1
	.p2align	6
.LBB51_33:                              ; =>This Inner Loop Header: Depth=1
	scratch_load_b128 v[15:18], v9, off offset:-8
	ds_load_b128 v[19:22], v8
	v_add_nc_u32_e32 v7, 1, v7
	v_add_nc_u32_e32 v8, 16, v8
	;; [unrolled: 1-line block ×3, first 2 shown]
	s_delay_alu instid0(VALU_DEP_3) | instskip(SKIP_4) | instid1(VALU_DEP_2)
	v_cmp_lt_u32_e32 vcc_lo, 3, v7
	s_or_b32 s3, vcc_lo, s3
	s_waitcnt vmcnt(0) lgkmcnt(0)
	v_mul_f64 v[10:11], v[21:22], v[17:18]
	v_mul_f64 v[17:18], v[19:20], v[17:18]
	v_fma_f64 v[10:11], v[19:20], v[15:16], -v[10:11]
	s_delay_alu instid0(VALU_DEP_2) | instskip(NEXT) | instid1(VALU_DEP_2)
	v_fma_f64 v[15:16], v[21:22], v[15:16], v[17:18]
	v_add_f64 v[3:4], v[3:4], v[10:11]
	s_delay_alu instid0(VALU_DEP_2)
	v_add_f64 v[1:2], v[1:2], v[15:16]
	s_and_not1_b32 exec_lo, exec_lo, s3
	s_cbranch_execnz .LBB51_33
; %bb.34:
	s_or_b32 exec_lo, exec_lo, s3
	v_mov_b32_e32 v7, 0
	ds_load_b128 v[7:10], v7 offset:80
	s_waitcnt lgkmcnt(0)
	v_mul_f64 v[11:12], v[1:2], v[9:10]
	v_mul_f64 v[15:16], v[3:4], v[9:10]
	s_delay_alu instid0(VALU_DEP_2) | instskip(NEXT) | instid1(VALU_DEP_2)
	v_fma_f64 v[9:10], v[3:4], v[7:8], -v[11:12]
	v_fma_f64 v[11:12], v[1:2], v[7:8], v[15:16]
	scratch_store_b128 off, v[9:12], off offset:80
.LBB51_35:
	s_or_b32 exec_lo, exec_lo, s2
	s_waitcnt_vscnt null, 0x0
	s_barrier
	buffer_gl0_inv
	scratch_load_b128 v[1:4], v196, off
	s_mov_b32 s2, exec_lo
	s_waitcnt vmcnt(0)
	ds_store_b128 v5, v[1:4]
	s_waitcnt lgkmcnt(0)
	s_barrier
	buffer_gl0_inv
	v_cmpx_gt_u32_e32 6, v150
	s_cbranch_execz .LBB51_39
; %bb.36:
	v_dual_mov_b32 v1, 0 :: v_dual_add_nc_u32 v8, 0x340, v13
	v_dual_mov_b32 v2, 0 :: v_dual_add_nc_u32 v7, -1, v150
	v_or_b32_e32 v9, 8, v14
	s_mov_b32 s3, 0
	s_delay_alu instid0(VALU_DEP_2)
	v_dual_mov_b32 v4, v2 :: v_dual_mov_b32 v3, v1
	.p2align	6
.LBB51_37:                              ; =>This Inner Loop Header: Depth=1
	scratch_load_b128 v[15:18], v9, off offset:-8
	ds_load_b128 v[19:22], v8
	v_add_nc_u32_e32 v7, 1, v7
	v_add_nc_u32_e32 v8, 16, v8
	;; [unrolled: 1-line block ×3, first 2 shown]
	s_delay_alu instid0(VALU_DEP_3) | instskip(SKIP_4) | instid1(VALU_DEP_2)
	v_cmp_lt_u32_e32 vcc_lo, 4, v7
	s_or_b32 s3, vcc_lo, s3
	s_waitcnt vmcnt(0) lgkmcnt(0)
	v_mul_f64 v[10:11], v[21:22], v[17:18]
	v_mul_f64 v[17:18], v[19:20], v[17:18]
	v_fma_f64 v[10:11], v[19:20], v[15:16], -v[10:11]
	s_delay_alu instid0(VALU_DEP_2) | instskip(NEXT) | instid1(VALU_DEP_2)
	v_fma_f64 v[15:16], v[21:22], v[15:16], v[17:18]
	v_add_f64 v[3:4], v[3:4], v[10:11]
	s_delay_alu instid0(VALU_DEP_2)
	v_add_f64 v[1:2], v[1:2], v[15:16]
	s_and_not1_b32 exec_lo, exec_lo, s3
	s_cbranch_execnz .LBB51_37
; %bb.38:
	s_or_b32 exec_lo, exec_lo, s3
	v_mov_b32_e32 v7, 0
	ds_load_b128 v[7:10], v7 offset:96
	s_waitcnt lgkmcnt(0)
	v_mul_f64 v[11:12], v[1:2], v[9:10]
	v_mul_f64 v[15:16], v[3:4], v[9:10]
	s_delay_alu instid0(VALU_DEP_2) | instskip(NEXT) | instid1(VALU_DEP_2)
	v_fma_f64 v[9:10], v[3:4], v[7:8], -v[11:12]
	v_fma_f64 v[11:12], v[1:2], v[7:8], v[15:16]
	scratch_store_b128 off, v[9:12], off offset:96
.LBB51_39:
	s_or_b32 exec_lo, exec_lo, s2
	s_waitcnt_vscnt null, 0x0
	s_barrier
	buffer_gl0_inv
	scratch_load_b128 v[1:4], v195, off
	s_mov_b32 s2, exec_lo
	s_waitcnt vmcnt(0)
	ds_store_b128 v5, v[1:4]
	s_waitcnt lgkmcnt(0)
	s_barrier
	buffer_gl0_inv
	v_cmpx_gt_u32_e32 7, v150
	s_cbranch_execz .LBB51_43
; %bb.40:
	v_dual_mov_b32 v1, 0 :: v_dual_add_nc_u32 v8, 0x340, v13
	v_dual_mov_b32 v2, 0 :: v_dual_add_nc_u32 v7, -1, v150
	v_or_b32_e32 v9, 8, v14
	s_mov_b32 s3, 0
	s_delay_alu instid0(VALU_DEP_2)
	v_dual_mov_b32 v4, v2 :: v_dual_mov_b32 v3, v1
	.p2align	6
.LBB51_41:                              ; =>This Inner Loop Header: Depth=1
	scratch_load_b128 v[15:18], v9, off offset:-8
	ds_load_b128 v[19:22], v8
	v_add_nc_u32_e32 v7, 1, v7
	v_add_nc_u32_e32 v8, 16, v8
	;; [unrolled: 1-line block ×3, first 2 shown]
	s_delay_alu instid0(VALU_DEP_3) | instskip(SKIP_4) | instid1(VALU_DEP_2)
	v_cmp_lt_u32_e32 vcc_lo, 5, v7
	s_or_b32 s3, vcc_lo, s3
	s_waitcnt vmcnt(0) lgkmcnt(0)
	v_mul_f64 v[10:11], v[21:22], v[17:18]
	v_mul_f64 v[17:18], v[19:20], v[17:18]
	v_fma_f64 v[10:11], v[19:20], v[15:16], -v[10:11]
	s_delay_alu instid0(VALU_DEP_2) | instskip(NEXT) | instid1(VALU_DEP_2)
	v_fma_f64 v[15:16], v[21:22], v[15:16], v[17:18]
	v_add_f64 v[3:4], v[3:4], v[10:11]
	s_delay_alu instid0(VALU_DEP_2)
	v_add_f64 v[1:2], v[1:2], v[15:16]
	s_and_not1_b32 exec_lo, exec_lo, s3
	s_cbranch_execnz .LBB51_41
; %bb.42:
	s_or_b32 exec_lo, exec_lo, s3
	v_mov_b32_e32 v7, 0
	ds_load_b128 v[7:10], v7 offset:112
	s_waitcnt lgkmcnt(0)
	v_mul_f64 v[11:12], v[1:2], v[9:10]
	v_mul_f64 v[15:16], v[3:4], v[9:10]
	s_delay_alu instid0(VALU_DEP_2) | instskip(NEXT) | instid1(VALU_DEP_2)
	v_fma_f64 v[9:10], v[3:4], v[7:8], -v[11:12]
	v_fma_f64 v[11:12], v[1:2], v[7:8], v[15:16]
	scratch_store_b128 off, v[9:12], off offset:112
.LBB51_43:
	s_or_b32 exec_lo, exec_lo, s2
	s_waitcnt_vscnt null, 0x0
	s_barrier
	buffer_gl0_inv
	scratch_load_b128 v[1:4], v194, off
	s_mov_b32 s2, exec_lo
	s_waitcnt vmcnt(0)
	ds_store_b128 v5, v[1:4]
	s_waitcnt lgkmcnt(0)
	s_barrier
	buffer_gl0_inv
	v_cmpx_gt_u32_e32 8, v150
	s_cbranch_execz .LBB51_47
; %bb.44:
	v_dual_mov_b32 v1, 0 :: v_dual_add_nc_u32 v8, 0x340, v13
	v_dual_mov_b32 v2, 0 :: v_dual_add_nc_u32 v7, -1, v150
	v_or_b32_e32 v9, 8, v14
	s_mov_b32 s3, 0
	s_delay_alu instid0(VALU_DEP_2)
	v_dual_mov_b32 v4, v2 :: v_dual_mov_b32 v3, v1
	.p2align	6
.LBB51_45:                              ; =>This Inner Loop Header: Depth=1
	scratch_load_b128 v[15:18], v9, off offset:-8
	ds_load_b128 v[19:22], v8
	v_add_nc_u32_e32 v7, 1, v7
	v_add_nc_u32_e32 v8, 16, v8
	;; [unrolled: 1-line block ×3, first 2 shown]
	s_delay_alu instid0(VALU_DEP_3) | instskip(SKIP_4) | instid1(VALU_DEP_2)
	v_cmp_lt_u32_e32 vcc_lo, 6, v7
	s_or_b32 s3, vcc_lo, s3
	s_waitcnt vmcnt(0) lgkmcnt(0)
	v_mul_f64 v[10:11], v[21:22], v[17:18]
	v_mul_f64 v[17:18], v[19:20], v[17:18]
	v_fma_f64 v[10:11], v[19:20], v[15:16], -v[10:11]
	s_delay_alu instid0(VALU_DEP_2) | instskip(NEXT) | instid1(VALU_DEP_2)
	v_fma_f64 v[15:16], v[21:22], v[15:16], v[17:18]
	v_add_f64 v[3:4], v[3:4], v[10:11]
	s_delay_alu instid0(VALU_DEP_2)
	v_add_f64 v[1:2], v[1:2], v[15:16]
	s_and_not1_b32 exec_lo, exec_lo, s3
	s_cbranch_execnz .LBB51_45
; %bb.46:
	s_or_b32 exec_lo, exec_lo, s3
	v_mov_b32_e32 v7, 0
	ds_load_b128 v[7:10], v7 offset:128
	s_waitcnt lgkmcnt(0)
	v_mul_f64 v[11:12], v[1:2], v[9:10]
	v_mul_f64 v[15:16], v[3:4], v[9:10]
	s_delay_alu instid0(VALU_DEP_2) | instskip(NEXT) | instid1(VALU_DEP_2)
	v_fma_f64 v[9:10], v[3:4], v[7:8], -v[11:12]
	v_fma_f64 v[11:12], v[1:2], v[7:8], v[15:16]
	scratch_store_b128 off, v[9:12], off offset:128
.LBB51_47:
	s_or_b32 exec_lo, exec_lo, s2
	s_waitcnt_vscnt null, 0x0
	s_barrier
	buffer_gl0_inv
	scratch_load_b128 v[1:4], v193, off
	s_mov_b32 s2, exec_lo
	s_waitcnt vmcnt(0)
	ds_store_b128 v5, v[1:4]
	s_waitcnt lgkmcnt(0)
	s_barrier
	buffer_gl0_inv
	v_cmpx_gt_u32_e32 9, v150
	s_cbranch_execz .LBB51_51
; %bb.48:
	v_dual_mov_b32 v1, 0 :: v_dual_add_nc_u32 v8, 0x340, v13
	v_dual_mov_b32 v2, 0 :: v_dual_add_nc_u32 v7, -1, v150
	v_or_b32_e32 v9, 8, v14
	s_mov_b32 s3, 0
	s_delay_alu instid0(VALU_DEP_2)
	v_dual_mov_b32 v4, v2 :: v_dual_mov_b32 v3, v1
	.p2align	6
.LBB51_49:                              ; =>This Inner Loop Header: Depth=1
	scratch_load_b128 v[15:18], v9, off offset:-8
	ds_load_b128 v[19:22], v8
	v_add_nc_u32_e32 v7, 1, v7
	v_add_nc_u32_e32 v8, 16, v8
	;; [unrolled: 1-line block ×3, first 2 shown]
	s_delay_alu instid0(VALU_DEP_3) | instskip(SKIP_4) | instid1(VALU_DEP_2)
	v_cmp_lt_u32_e32 vcc_lo, 7, v7
	s_or_b32 s3, vcc_lo, s3
	s_waitcnt vmcnt(0) lgkmcnt(0)
	v_mul_f64 v[10:11], v[21:22], v[17:18]
	v_mul_f64 v[17:18], v[19:20], v[17:18]
	v_fma_f64 v[10:11], v[19:20], v[15:16], -v[10:11]
	s_delay_alu instid0(VALU_DEP_2) | instskip(NEXT) | instid1(VALU_DEP_2)
	v_fma_f64 v[15:16], v[21:22], v[15:16], v[17:18]
	v_add_f64 v[3:4], v[3:4], v[10:11]
	s_delay_alu instid0(VALU_DEP_2)
	v_add_f64 v[1:2], v[1:2], v[15:16]
	s_and_not1_b32 exec_lo, exec_lo, s3
	s_cbranch_execnz .LBB51_49
; %bb.50:
	s_or_b32 exec_lo, exec_lo, s3
	v_mov_b32_e32 v7, 0
	ds_load_b128 v[7:10], v7 offset:144
	s_waitcnt lgkmcnt(0)
	v_mul_f64 v[11:12], v[1:2], v[9:10]
	v_mul_f64 v[15:16], v[3:4], v[9:10]
	s_delay_alu instid0(VALU_DEP_2) | instskip(NEXT) | instid1(VALU_DEP_2)
	v_fma_f64 v[9:10], v[3:4], v[7:8], -v[11:12]
	v_fma_f64 v[11:12], v[1:2], v[7:8], v[15:16]
	scratch_store_b128 off, v[9:12], off offset:144
.LBB51_51:
	s_or_b32 exec_lo, exec_lo, s2
	s_waitcnt_vscnt null, 0x0
	s_barrier
	buffer_gl0_inv
	scratch_load_b128 v[1:4], v192, off
	s_mov_b32 s2, exec_lo
	s_waitcnt vmcnt(0)
	ds_store_b128 v5, v[1:4]
	s_waitcnt lgkmcnt(0)
	s_barrier
	buffer_gl0_inv
	v_cmpx_gt_u32_e32 10, v150
	s_cbranch_execz .LBB51_55
; %bb.52:
	v_dual_mov_b32 v1, 0 :: v_dual_add_nc_u32 v8, 0x340, v13
	v_dual_mov_b32 v2, 0 :: v_dual_add_nc_u32 v7, -1, v150
	v_or_b32_e32 v9, 8, v14
	s_mov_b32 s3, 0
	s_delay_alu instid0(VALU_DEP_2)
	v_dual_mov_b32 v4, v2 :: v_dual_mov_b32 v3, v1
	.p2align	6
.LBB51_53:                              ; =>This Inner Loop Header: Depth=1
	scratch_load_b128 v[15:18], v9, off offset:-8
	ds_load_b128 v[19:22], v8
	v_add_nc_u32_e32 v7, 1, v7
	v_add_nc_u32_e32 v8, 16, v8
	;; [unrolled: 1-line block ×3, first 2 shown]
	s_delay_alu instid0(VALU_DEP_3) | instskip(SKIP_4) | instid1(VALU_DEP_2)
	v_cmp_lt_u32_e32 vcc_lo, 8, v7
	s_or_b32 s3, vcc_lo, s3
	s_waitcnt vmcnt(0) lgkmcnt(0)
	v_mul_f64 v[10:11], v[21:22], v[17:18]
	v_mul_f64 v[17:18], v[19:20], v[17:18]
	v_fma_f64 v[10:11], v[19:20], v[15:16], -v[10:11]
	s_delay_alu instid0(VALU_DEP_2) | instskip(NEXT) | instid1(VALU_DEP_2)
	v_fma_f64 v[15:16], v[21:22], v[15:16], v[17:18]
	v_add_f64 v[3:4], v[3:4], v[10:11]
	s_delay_alu instid0(VALU_DEP_2)
	v_add_f64 v[1:2], v[1:2], v[15:16]
	s_and_not1_b32 exec_lo, exec_lo, s3
	s_cbranch_execnz .LBB51_53
; %bb.54:
	s_or_b32 exec_lo, exec_lo, s3
	v_mov_b32_e32 v7, 0
	ds_load_b128 v[7:10], v7 offset:160
	s_waitcnt lgkmcnt(0)
	v_mul_f64 v[11:12], v[1:2], v[9:10]
	v_mul_f64 v[15:16], v[3:4], v[9:10]
	s_delay_alu instid0(VALU_DEP_2) | instskip(NEXT) | instid1(VALU_DEP_2)
	v_fma_f64 v[9:10], v[3:4], v[7:8], -v[11:12]
	v_fma_f64 v[11:12], v[1:2], v[7:8], v[15:16]
	scratch_store_b128 off, v[9:12], off offset:160
.LBB51_55:
	s_or_b32 exec_lo, exec_lo, s2
	s_waitcnt_vscnt null, 0x0
	s_barrier
	buffer_gl0_inv
	scratch_load_b128 v[1:4], v191, off
	s_mov_b32 s2, exec_lo
	s_waitcnt vmcnt(0)
	ds_store_b128 v5, v[1:4]
	s_waitcnt lgkmcnt(0)
	s_barrier
	buffer_gl0_inv
	v_cmpx_gt_u32_e32 11, v150
	s_cbranch_execz .LBB51_59
; %bb.56:
	v_dual_mov_b32 v1, 0 :: v_dual_add_nc_u32 v8, 0x340, v13
	v_dual_mov_b32 v2, 0 :: v_dual_add_nc_u32 v7, -1, v150
	v_or_b32_e32 v9, 8, v14
	s_mov_b32 s3, 0
	s_delay_alu instid0(VALU_DEP_2)
	v_dual_mov_b32 v4, v2 :: v_dual_mov_b32 v3, v1
	.p2align	6
.LBB51_57:                              ; =>This Inner Loop Header: Depth=1
	scratch_load_b128 v[15:18], v9, off offset:-8
	ds_load_b128 v[19:22], v8
	v_add_nc_u32_e32 v7, 1, v7
	v_add_nc_u32_e32 v8, 16, v8
	;; [unrolled: 1-line block ×3, first 2 shown]
	s_delay_alu instid0(VALU_DEP_3) | instskip(SKIP_4) | instid1(VALU_DEP_2)
	v_cmp_lt_u32_e32 vcc_lo, 9, v7
	s_or_b32 s3, vcc_lo, s3
	s_waitcnt vmcnt(0) lgkmcnt(0)
	v_mul_f64 v[10:11], v[21:22], v[17:18]
	v_mul_f64 v[17:18], v[19:20], v[17:18]
	v_fma_f64 v[10:11], v[19:20], v[15:16], -v[10:11]
	s_delay_alu instid0(VALU_DEP_2) | instskip(NEXT) | instid1(VALU_DEP_2)
	v_fma_f64 v[15:16], v[21:22], v[15:16], v[17:18]
	v_add_f64 v[3:4], v[3:4], v[10:11]
	s_delay_alu instid0(VALU_DEP_2)
	v_add_f64 v[1:2], v[1:2], v[15:16]
	s_and_not1_b32 exec_lo, exec_lo, s3
	s_cbranch_execnz .LBB51_57
; %bb.58:
	s_or_b32 exec_lo, exec_lo, s3
	v_mov_b32_e32 v7, 0
	ds_load_b128 v[7:10], v7 offset:176
	s_waitcnt lgkmcnt(0)
	v_mul_f64 v[11:12], v[1:2], v[9:10]
	v_mul_f64 v[15:16], v[3:4], v[9:10]
	s_delay_alu instid0(VALU_DEP_2) | instskip(NEXT) | instid1(VALU_DEP_2)
	v_fma_f64 v[9:10], v[3:4], v[7:8], -v[11:12]
	v_fma_f64 v[11:12], v[1:2], v[7:8], v[15:16]
	scratch_store_b128 off, v[9:12], off offset:176
.LBB51_59:
	s_or_b32 exec_lo, exec_lo, s2
	s_waitcnt_vscnt null, 0x0
	s_barrier
	buffer_gl0_inv
	scratch_load_b128 v[1:4], v190, off
	s_mov_b32 s2, exec_lo
	s_waitcnt vmcnt(0)
	ds_store_b128 v5, v[1:4]
	s_waitcnt lgkmcnt(0)
	s_barrier
	buffer_gl0_inv
	v_cmpx_gt_u32_e32 12, v150
	s_cbranch_execz .LBB51_63
; %bb.60:
	v_dual_mov_b32 v1, 0 :: v_dual_add_nc_u32 v8, 0x340, v13
	v_dual_mov_b32 v2, 0 :: v_dual_add_nc_u32 v7, -1, v150
	v_or_b32_e32 v9, 8, v14
	s_mov_b32 s3, 0
	s_delay_alu instid0(VALU_DEP_2)
	v_dual_mov_b32 v4, v2 :: v_dual_mov_b32 v3, v1
	.p2align	6
.LBB51_61:                              ; =>This Inner Loop Header: Depth=1
	scratch_load_b128 v[15:18], v9, off offset:-8
	ds_load_b128 v[19:22], v8
	v_add_nc_u32_e32 v7, 1, v7
	v_add_nc_u32_e32 v8, 16, v8
	;; [unrolled: 1-line block ×3, first 2 shown]
	s_delay_alu instid0(VALU_DEP_3) | instskip(SKIP_4) | instid1(VALU_DEP_2)
	v_cmp_lt_u32_e32 vcc_lo, 10, v7
	s_or_b32 s3, vcc_lo, s3
	s_waitcnt vmcnt(0) lgkmcnt(0)
	v_mul_f64 v[10:11], v[21:22], v[17:18]
	v_mul_f64 v[17:18], v[19:20], v[17:18]
	v_fma_f64 v[10:11], v[19:20], v[15:16], -v[10:11]
	s_delay_alu instid0(VALU_DEP_2) | instskip(NEXT) | instid1(VALU_DEP_2)
	v_fma_f64 v[15:16], v[21:22], v[15:16], v[17:18]
	v_add_f64 v[3:4], v[3:4], v[10:11]
	s_delay_alu instid0(VALU_DEP_2)
	v_add_f64 v[1:2], v[1:2], v[15:16]
	s_and_not1_b32 exec_lo, exec_lo, s3
	s_cbranch_execnz .LBB51_61
; %bb.62:
	s_or_b32 exec_lo, exec_lo, s3
	v_mov_b32_e32 v7, 0
	ds_load_b128 v[7:10], v7 offset:192
	s_waitcnt lgkmcnt(0)
	v_mul_f64 v[11:12], v[1:2], v[9:10]
	v_mul_f64 v[15:16], v[3:4], v[9:10]
	s_delay_alu instid0(VALU_DEP_2) | instskip(NEXT) | instid1(VALU_DEP_2)
	v_fma_f64 v[9:10], v[3:4], v[7:8], -v[11:12]
	v_fma_f64 v[11:12], v[1:2], v[7:8], v[15:16]
	scratch_store_b128 off, v[9:12], off offset:192
.LBB51_63:
	s_or_b32 exec_lo, exec_lo, s2
	s_waitcnt_vscnt null, 0x0
	s_barrier
	buffer_gl0_inv
	scratch_load_b128 v[1:4], v189, off
	s_mov_b32 s2, exec_lo
	s_waitcnt vmcnt(0)
	ds_store_b128 v5, v[1:4]
	s_waitcnt lgkmcnt(0)
	s_barrier
	buffer_gl0_inv
	v_cmpx_gt_u32_e32 13, v150
	s_cbranch_execz .LBB51_67
; %bb.64:
	v_dual_mov_b32 v1, 0 :: v_dual_add_nc_u32 v8, 0x340, v13
	v_dual_mov_b32 v2, 0 :: v_dual_add_nc_u32 v7, -1, v150
	v_or_b32_e32 v9, 8, v14
	s_mov_b32 s3, 0
	s_delay_alu instid0(VALU_DEP_2)
	v_dual_mov_b32 v4, v2 :: v_dual_mov_b32 v3, v1
	.p2align	6
.LBB51_65:                              ; =>This Inner Loop Header: Depth=1
	scratch_load_b128 v[15:18], v9, off offset:-8
	ds_load_b128 v[19:22], v8
	v_add_nc_u32_e32 v7, 1, v7
	v_add_nc_u32_e32 v8, 16, v8
	;; [unrolled: 1-line block ×3, first 2 shown]
	s_delay_alu instid0(VALU_DEP_3) | instskip(SKIP_4) | instid1(VALU_DEP_2)
	v_cmp_lt_u32_e32 vcc_lo, 11, v7
	s_or_b32 s3, vcc_lo, s3
	s_waitcnt vmcnt(0) lgkmcnt(0)
	v_mul_f64 v[10:11], v[21:22], v[17:18]
	v_mul_f64 v[17:18], v[19:20], v[17:18]
	v_fma_f64 v[10:11], v[19:20], v[15:16], -v[10:11]
	s_delay_alu instid0(VALU_DEP_2) | instskip(NEXT) | instid1(VALU_DEP_2)
	v_fma_f64 v[15:16], v[21:22], v[15:16], v[17:18]
	v_add_f64 v[3:4], v[3:4], v[10:11]
	s_delay_alu instid0(VALU_DEP_2)
	v_add_f64 v[1:2], v[1:2], v[15:16]
	s_and_not1_b32 exec_lo, exec_lo, s3
	s_cbranch_execnz .LBB51_65
; %bb.66:
	s_or_b32 exec_lo, exec_lo, s3
	v_mov_b32_e32 v7, 0
	ds_load_b128 v[7:10], v7 offset:208
	s_waitcnt lgkmcnt(0)
	v_mul_f64 v[11:12], v[1:2], v[9:10]
	v_mul_f64 v[15:16], v[3:4], v[9:10]
	s_delay_alu instid0(VALU_DEP_2) | instskip(NEXT) | instid1(VALU_DEP_2)
	v_fma_f64 v[9:10], v[3:4], v[7:8], -v[11:12]
	v_fma_f64 v[11:12], v[1:2], v[7:8], v[15:16]
	scratch_store_b128 off, v[9:12], off offset:208
.LBB51_67:
	s_or_b32 exec_lo, exec_lo, s2
	s_waitcnt_vscnt null, 0x0
	s_barrier
	buffer_gl0_inv
	scratch_load_b128 v[1:4], v188, off
	s_mov_b32 s2, exec_lo
	s_waitcnt vmcnt(0)
	ds_store_b128 v5, v[1:4]
	s_waitcnt lgkmcnt(0)
	s_barrier
	buffer_gl0_inv
	v_cmpx_gt_u32_e32 14, v150
	s_cbranch_execz .LBB51_71
; %bb.68:
	v_dual_mov_b32 v1, 0 :: v_dual_add_nc_u32 v8, 0x340, v13
	v_dual_mov_b32 v2, 0 :: v_dual_add_nc_u32 v7, -1, v150
	v_or_b32_e32 v9, 8, v14
	s_mov_b32 s3, 0
	s_delay_alu instid0(VALU_DEP_2)
	v_dual_mov_b32 v4, v2 :: v_dual_mov_b32 v3, v1
	.p2align	6
.LBB51_69:                              ; =>This Inner Loop Header: Depth=1
	scratch_load_b128 v[15:18], v9, off offset:-8
	ds_load_b128 v[19:22], v8
	v_add_nc_u32_e32 v7, 1, v7
	v_add_nc_u32_e32 v8, 16, v8
	;; [unrolled: 1-line block ×3, first 2 shown]
	s_delay_alu instid0(VALU_DEP_3) | instskip(SKIP_4) | instid1(VALU_DEP_2)
	v_cmp_lt_u32_e32 vcc_lo, 12, v7
	s_or_b32 s3, vcc_lo, s3
	s_waitcnt vmcnt(0) lgkmcnt(0)
	v_mul_f64 v[10:11], v[21:22], v[17:18]
	v_mul_f64 v[17:18], v[19:20], v[17:18]
	v_fma_f64 v[10:11], v[19:20], v[15:16], -v[10:11]
	s_delay_alu instid0(VALU_DEP_2) | instskip(NEXT) | instid1(VALU_DEP_2)
	v_fma_f64 v[15:16], v[21:22], v[15:16], v[17:18]
	v_add_f64 v[3:4], v[3:4], v[10:11]
	s_delay_alu instid0(VALU_DEP_2)
	v_add_f64 v[1:2], v[1:2], v[15:16]
	s_and_not1_b32 exec_lo, exec_lo, s3
	s_cbranch_execnz .LBB51_69
; %bb.70:
	s_or_b32 exec_lo, exec_lo, s3
	v_mov_b32_e32 v7, 0
	ds_load_b128 v[7:10], v7 offset:224
	s_waitcnt lgkmcnt(0)
	v_mul_f64 v[11:12], v[1:2], v[9:10]
	v_mul_f64 v[15:16], v[3:4], v[9:10]
	s_delay_alu instid0(VALU_DEP_2) | instskip(NEXT) | instid1(VALU_DEP_2)
	v_fma_f64 v[9:10], v[3:4], v[7:8], -v[11:12]
	v_fma_f64 v[11:12], v[1:2], v[7:8], v[15:16]
	scratch_store_b128 off, v[9:12], off offset:224
.LBB51_71:
	s_or_b32 exec_lo, exec_lo, s2
	s_waitcnt_vscnt null, 0x0
	s_barrier
	buffer_gl0_inv
	scratch_load_b128 v[1:4], v187, off
	s_mov_b32 s2, exec_lo
	s_waitcnt vmcnt(0)
	ds_store_b128 v5, v[1:4]
	s_waitcnt lgkmcnt(0)
	s_barrier
	buffer_gl0_inv
	v_cmpx_gt_u32_e32 15, v150
	s_cbranch_execz .LBB51_75
; %bb.72:
	v_dual_mov_b32 v1, 0 :: v_dual_add_nc_u32 v8, 0x340, v13
	v_dual_mov_b32 v2, 0 :: v_dual_add_nc_u32 v7, -1, v150
	v_or_b32_e32 v9, 8, v14
	s_mov_b32 s3, 0
	s_delay_alu instid0(VALU_DEP_2)
	v_dual_mov_b32 v4, v2 :: v_dual_mov_b32 v3, v1
	.p2align	6
.LBB51_73:                              ; =>This Inner Loop Header: Depth=1
	scratch_load_b128 v[15:18], v9, off offset:-8
	ds_load_b128 v[19:22], v8
	v_add_nc_u32_e32 v7, 1, v7
	v_add_nc_u32_e32 v8, 16, v8
	;; [unrolled: 1-line block ×3, first 2 shown]
	s_delay_alu instid0(VALU_DEP_3) | instskip(SKIP_4) | instid1(VALU_DEP_2)
	v_cmp_lt_u32_e32 vcc_lo, 13, v7
	s_or_b32 s3, vcc_lo, s3
	s_waitcnt vmcnt(0) lgkmcnt(0)
	v_mul_f64 v[10:11], v[21:22], v[17:18]
	v_mul_f64 v[17:18], v[19:20], v[17:18]
	v_fma_f64 v[10:11], v[19:20], v[15:16], -v[10:11]
	s_delay_alu instid0(VALU_DEP_2) | instskip(NEXT) | instid1(VALU_DEP_2)
	v_fma_f64 v[15:16], v[21:22], v[15:16], v[17:18]
	v_add_f64 v[3:4], v[3:4], v[10:11]
	s_delay_alu instid0(VALU_DEP_2)
	v_add_f64 v[1:2], v[1:2], v[15:16]
	s_and_not1_b32 exec_lo, exec_lo, s3
	s_cbranch_execnz .LBB51_73
; %bb.74:
	s_or_b32 exec_lo, exec_lo, s3
	v_mov_b32_e32 v7, 0
	ds_load_b128 v[7:10], v7 offset:240
	s_waitcnt lgkmcnt(0)
	v_mul_f64 v[11:12], v[1:2], v[9:10]
	v_mul_f64 v[15:16], v[3:4], v[9:10]
	s_delay_alu instid0(VALU_DEP_2) | instskip(NEXT) | instid1(VALU_DEP_2)
	v_fma_f64 v[9:10], v[3:4], v[7:8], -v[11:12]
	v_fma_f64 v[11:12], v[1:2], v[7:8], v[15:16]
	scratch_store_b128 off, v[9:12], off offset:240
.LBB51_75:
	s_or_b32 exec_lo, exec_lo, s2
	s_waitcnt_vscnt null, 0x0
	s_barrier
	buffer_gl0_inv
	scratch_load_b128 v[1:4], v186, off
	s_mov_b32 s2, exec_lo
	s_waitcnt vmcnt(0)
	ds_store_b128 v5, v[1:4]
	s_waitcnt lgkmcnt(0)
	s_barrier
	buffer_gl0_inv
	v_cmpx_gt_u32_e32 16, v150
	s_cbranch_execz .LBB51_79
; %bb.76:
	v_dual_mov_b32 v1, 0 :: v_dual_add_nc_u32 v8, 0x340, v13
	v_dual_mov_b32 v2, 0 :: v_dual_add_nc_u32 v7, -1, v150
	v_or_b32_e32 v9, 8, v14
	s_mov_b32 s3, 0
	s_delay_alu instid0(VALU_DEP_2)
	v_dual_mov_b32 v4, v2 :: v_dual_mov_b32 v3, v1
	.p2align	6
.LBB51_77:                              ; =>This Inner Loop Header: Depth=1
	scratch_load_b128 v[15:18], v9, off offset:-8
	ds_load_b128 v[19:22], v8
	v_add_nc_u32_e32 v7, 1, v7
	v_add_nc_u32_e32 v8, 16, v8
	;; [unrolled: 1-line block ×3, first 2 shown]
	s_delay_alu instid0(VALU_DEP_3) | instskip(SKIP_4) | instid1(VALU_DEP_2)
	v_cmp_lt_u32_e32 vcc_lo, 14, v7
	s_or_b32 s3, vcc_lo, s3
	s_waitcnt vmcnt(0) lgkmcnt(0)
	v_mul_f64 v[10:11], v[21:22], v[17:18]
	v_mul_f64 v[17:18], v[19:20], v[17:18]
	v_fma_f64 v[10:11], v[19:20], v[15:16], -v[10:11]
	s_delay_alu instid0(VALU_DEP_2) | instskip(NEXT) | instid1(VALU_DEP_2)
	v_fma_f64 v[15:16], v[21:22], v[15:16], v[17:18]
	v_add_f64 v[3:4], v[3:4], v[10:11]
	s_delay_alu instid0(VALU_DEP_2)
	v_add_f64 v[1:2], v[1:2], v[15:16]
	s_and_not1_b32 exec_lo, exec_lo, s3
	s_cbranch_execnz .LBB51_77
; %bb.78:
	s_or_b32 exec_lo, exec_lo, s3
	v_mov_b32_e32 v7, 0
	ds_load_b128 v[7:10], v7 offset:256
	s_waitcnt lgkmcnt(0)
	v_mul_f64 v[11:12], v[1:2], v[9:10]
	v_mul_f64 v[15:16], v[3:4], v[9:10]
	s_delay_alu instid0(VALU_DEP_2) | instskip(NEXT) | instid1(VALU_DEP_2)
	v_fma_f64 v[9:10], v[3:4], v[7:8], -v[11:12]
	v_fma_f64 v[11:12], v[1:2], v[7:8], v[15:16]
	scratch_store_b128 off, v[9:12], off offset:256
.LBB51_79:
	s_or_b32 exec_lo, exec_lo, s2
	s_waitcnt_vscnt null, 0x0
	s_barrier
	buffer_gl0_inv
	scratch_load_b128 v[1:4], v185, off
	s_mov_b32 s2, exec_lo
	s_waitcnt vmcnt(0)
	ds_store_b128 v5, v[1:4]
	s_waitcnt lgkmcnt(0)
	s_barrier
	buffer_gl0_inv
	v_cmpx_gt_u32_e32 17, v150
	s_cbranch_execz .LBB51_83
; %bb.80:
	v_dual_mov_b32 v1, 0 :: v_dual_add_nc_u32 v8, 0x340, v13
	v_dual_mov_b32 v2, 0 :: v_dual_add_nc_u32 v7, -1, v150
	v_or_b32_e32 v9, 8, v14
	s_mov_b32 s3, 0
	s_delay_alu instid0(VALU_DEP_2)
	v_dual_mov_b32 v4, v2 :: v_dual_mov_b32 v3, v1
	.p2align	6
.LBB51_81:                              ; =>This Inner Loop Header: Depth=1
	scratch_load_b128 v[15:18], v9, off offset:-8
	ds_load_b128 v[19:22], v8
	v_add_nc_u32_e32 v7, 1, v7
	v_add_nc_u32_e32 v8, 16, v8
	;; [unrolled: 1-line block ×3, first 2 shown]
	s_delay_alu instid0(VALU_DEP_3) | instskip(SKIP_4) | instid1(VALU_DEP_2)
	v_cmp_lt_u32_e32 vcc_lo, 15, v7
	s_or_b32 s3, vcc_lo, s3
	s_waitcnt vmcnt(0) lgkmcnt(0)
	v_mul_f64 v[10:11], v[21:22], v[17:18]
	v_mul_f64 v[17:18], v[19:20], v[17:18]
	v_fma_f64 v[10:11], v[19:20], v[15:16], -v[10:11]
	s_delay_alu instid0(VALU_DEP_2) | instskip(NEXT) | instid1(VALU_DEP_2)
	v_fma_f64 v[15:16], v[21:22], v[15:16], v[17:18]
	v_add_f64 v[3:4], v[3:4], v[10:11]
	s_delay_alu instid0(VALU_DEP_2)
	v_add_f64 v[1:2], v[1:2], v[15:16]
	s_and_not1_b32 exec_lo, exec_lo, s3
	s_cbranch_execnz .LBB51_81
; %bb.82:
	s_or_b32 exec_lo, exec_lo, s3
	v_mov_b32_e32 v7, 0
	ds_load_b128 v[7:10], v7 offset:272
	s_waitcnt lgkmcnt(0)
	v_mul_f64 v[11:12], v[1:2], v[9:10]
	v_mul_f64 v[15:16], v[3:4], v[9:10]
	s_delay_alu instid0(VALU_DEP_2) | instskip(NEXT) | instid1(VALU_DEP_2)
	v_fma_f64 v[9:10], v[3:4], v[7:8], -v[11:12]
	v_fma_f64 v[11:12], v[1:2], v[7:8], v[15:16]
	scratch_store_b128 off, v[9:12], off offset:272
.LBB51_83:
	s_or_b32 exec_lo, exec_lo, s2
	s_waitcnt_vscnt null, 0x0
	s_barrier
	buffer_gl0_inv
	scratch_load_b128 v[1:4], v184, off
	s_mov_b32 s2, exec_lo
	s_waitcnt vmcnt(0)
	ds_store_b128 v5, v[1:4]
	s_waitcnt lgkmcnt(0)
	s_barrier
	buffer_gl0_inv
	v_cmpx_gt_u32_e32 18, v150
	s_cbranch_execz .LBB51_87
; %bb.84:
	v_dual_mov_b32 v1, 0 :: v_dual_add_nc_u32 v8, 0x340, v13
	v_dual_mov_b32 v2, 0 :: v_dual_add_nc_u32 v7, -1, v150
	v_or_b32_e32 v9, 8, v14
	s_mov_b32 s3, 0
	s_delay_alu instid0(VALU_DEP_2)
	v_dual_mov_b32 v4, v2 :: v_dual_mov_b32 v3, v1
	.p2align	6
.LBB51_85:                              ; =>This Inner Loop Header: Depth=1
	scratch_load_b128 v[15:18], v9, off offset:-8
	ds_load_b128 v[19:22], v8
	v_add_nc_u32_e32 v7, 1, v7
	v_add_nc_u32_e32 v8, 16, v8
	;; [unrolled: 1-line block ×3, first 2 shown]
	s_delay_alu instid0(VALU_DEP_3) | instskip(SKIP_4) | instid1(VALU_DEP_2)
	v_cmp_lt_u32_e32 vcc_lo, 16, v7
	s_or_b32 s3, vcc_lo, s3
	s_waitcnt vmcnt(0) lgkmcnt(0)
	v_mul_f64 v[10:11], v[21:22], v[17:18]
	v_mul_f64 v[17:18], v[19:20], v[17:18]
	v_fma_f64 v[10:11], v[19:20], v[15:16], -v[10:11]
	s_delay_alu instid0(VALU_DEP_2) | instskip(NEXT) | instid1(VALU_DEP_2)
	v_fma_f64 v[15:16], v[21:22], v[15:16], v[17:18]
	v_add_f64 v[3:4], v[3:4], v[10:11]
	s_delay_alu instid0(VALU_DEP_2)
	v_add_f64 v[1:2], v[1:2], v[15:16]
	s_and_not1_b32 exec_lo, exec_lo, s3
	s_cbranch_execnz .LBB51_85
; %bb.86:
	s_or_b32 exec_lo, exec_lo, s3
	v_mov_b32_e32 v7, 0
	ds_load_b128 v[7:10], v7 offset:288
	s_waitcnt lgkmcnt(0)
	v_mul_f64 v[11:12], v[1:2], v[9:10]
	v_mul_f64 v[15:16], v[3:4], v[9:10]
	s_delay_alu instid0(VALU_DEP_2) | instskip(NEXT) | instid1(VALU_DEP_2)
	v_fma_f64 v[9:10], v[3:4], v[7:8], -v[11:12]
	v_fma_f64 v[11:12], v[1:2], v[7:8], v[15:16]
	scratch_store_b128 off, v[9:12], off offset:288
.LBB51_87:
	s_or_b32 exec_lo, exec_lo, s2
	s_waitcnt_vscnt null, 0x0
	s_barrier
	buffer_gl0_inv
	scratch_load_b128 v[1:4], v183, off
	s_mov_b32 s2, exec_lo
	s_waitcnt vmcnt(0)
	ds_store_b128 v5, v[1:4]
	s_waitcnt lgkmcnt(0)
	s_barrier
	buffer_gl0_inv
	v_cmpx_gt_u32_e32 19, v150
	s_cbranch_execz .LBB51_91
; %bb.88:
	v_dual_mov_b32 v1, 0 :: v_dual_add_nc_u32 v8, 0x340, v13
	v_dual_mov_b32 v2, 0 :: v_dual_add_nc_u32 v7, -1, v150
	v_or_b32_e32 v9, 8, v14
	s_mov_b32 s3, 0
	s_delay_alu instid0(VALU_DEP_2)
	v_dual_mov_b32 v4, v2 :: v_dual_mov_b32 v3, v1
	.p2align	6
.LBB51_89:                              ; =>This Inner Loop Header: Depth=1
	scratch_load_b128 v[15:18], v9, off offset:-8
	ds_load_b128 v[19:22], v8
	v_add_nc_u32_e32 v7, 1, v7
	v_add_nc_u32_e32 v8, 16, v8
	;; [unrolled: 1-line block ×3, first 2 shown]
	s_delay_alu instid0(VALU_DEP_3) | instskip(SKIP_4) | instid1(VALU_DEP_2)
	v_cmp_lt_u32_e32 vcc_lo, 17, v7
	s_or_b32 s3, vcc_lo, s3
	s_waitcnt vmcnt(0) lgkmcnt(0)
	v_mul_f64 v[10:11], v[21:22], v[17:18]
	v_mul_f64 v[17:18], v[19:20], v[17:18]
	v_fma_f64 v[10:11], v[19:20], v[15:16], -v[10:11]
	s_delay_alu instid0(VALU_DEP_2) | instskip(NEXT) | instid1(VALU_DEP_2)
	v_fma_f64 v[15:16], v[21:22], v[15:16], v[17:18]
	v_add_f64 v[3:4], v[3:4], v[10:11]
	s_delay_alu instid0(VALU_DEP_2)
	v_add_f64 v[1:2], v[1:2], v[15:16]
	s_and_not1_b32 exec_lo, exec_lo, s3
	s_cbranch_execnz .LBB51_89
; %bb.90:
	s_or_b32 exec_lo, exec_lo, s3
	v_mov_b32_e32 v7, 0
	ds_load_b128 v[7:10], v7 offset:304
	s_waitcnt lgkmcnt(0)
	v_mul_f64 v[11:12], v[1:2], v[9:10]
	v_mul_f64 v[15:16], v[3:4], v[9:10]
	s_delay_alu instid0(VALU_DEP_2) | instskip(NEXT) | instid1(VALU_DEP_2)
	v_fma_f64 v[9:10], v[3:4], v[7:8], -v[11:12]
	v_fma_f64 v[11:12], v[1:2], v[7:8], v[15:16]
	scratch_store_b128 off, v[9:12], off offset:304
.LBB51_91:
	s_or_b32 exec_lo, exec_lo, s2
	s_waitcnt_vscnt null, 0x0
	s_barrier
	buffer_gl0_inv
	scratch_load_b128 v[1:4], v182, off
	s_mov_b32 s2, exec_lo
	s_waitcnt vmcnt(0)
	ds_store_b128 v5, v[1:4]
	s_waitcnt lgkmcnt(0)
	s_barrier
	buffer_gl0_inv
	v_cmpx_gt_u32_e32 20, v150
	s_cbranch_execz .LBB51_95
; %bb.92:
	v_dual_mov_b32 v1, 0 :: v_dual_add_nc_u32 v8, 0x340, v13
	v_dual_mov_b32 v2, 0 :: v_dual_add_nc_u32 v7, -1, v150
	v_or_b32_e32 v9, 8, v14
	s_mov_b32 s3, 0
	s_delay_alu instid0(VALU_DEP_2)
	v_dual_mov_b32 v4, v2 :: v_dual_mov_b32 v3, v1
	.p2align	6
.LBB51_93:                              ; =>This Inner Loop Header: Depth=1
	scratch_load_b128 v[15:18], v9, off offset:-8
	ds_load_b128 v[19:22], v8
	v_add_nc_u32_e32 v7, 1, v7
	v_add_nc_u32_e32 v8, 16, v8
	;; [unrolled: 1-line block ×3, first 2 shown]
	s_delay_alu instid0(VALU_DEP_3) | instskip(SKIP_4) | instid1(VALU_DEP_2)
	v_cmp_lt_u32_e32 vcc_lo, 18, v7
	s_or_b32 s3, vcc_lo, s3
	s_waitcnt vmcnt(0) lgkmcnt(0)
	v_mul_f64 v[10:11], v[21:22], v[17:18]
	v_mul_f64 v[17:18], v[19:20], v[17:18]
	v_fma_f64 v[10:11], v[19:20], v[15:16], -v[10:11]
	s_delay_alu instid0(VALU_DEP_2) | instskip(NEXT) | instid1(VALU_DEP_2)
	v_fma_f64 v[15:16], v[21:22], v[15:16], v[17:18]
	v_add_f64 v[3:4], v[3:4], v[10:11]
	s_delay_alu instid0(VALU_DEP_2)
	v_add_f64 v[1:2], v[1:2], v[15:16]
	s_and_not1_b32 exec_lo, exec_lo, s3
	s_cbranch_execnz .LBB51_93
; %bb.94:
	s_or_b32 exec_lo, exec_lo, s3
	v_mov_b32_e32 v7, 0
	ds_load_b128 v[7:10], v7 offset:320
	s_waitcnt lgkmcnt(0)
	v_mul_f64 v[11:12], v[1:2], v[9:10]
	v_mul_f64 v[15:16], v[3:4], v[9:10]
	s_delay_alu instid0(VALU_DEP_2) | instskip(NEXT) | instid1(VALU_DEP_2)
	v_fma_f64 v[9:10], v[3:4], v[7:8], -v[11:12]
	v_fma_f64 v[11:12], v[1:2], v[7:8], v[15:16]
	scratch_store_b128 off, v[9:12], off offset:320
.LBB51_95:
	s_or_b32 exec_lo, exec_lo, s2
	s_waitcnt_vscnt null, 0x0
	s_barrier
	buffer_gl0_inv
	scratch_load_b128 v[1:4], v181, off
	s_mov_b32 s2, exec_lo
	s_waitcnt vmcnt(0)
	ds_store_b128 v5, v[1:4]
	s_waitcnt lgkmcnt(0)
	s_barrier
	buffer_gl0_inv
	v_cmpx_gt_u32_e32 21, v150
	s_cbranch_execz .LBB51_99
; %bb.96:
	v_dual_mov_b32 v1, 0 :: v_dual_add_nc_u32 v8, 0x340, v13
	v_dual_mov_b32 v2, 0 :: v_dual_add_nc_u32 v7, -1, v150
	v_or_b32_e32 v9, 8, v14
	s_mov_b32 s3, 0
	s_delay_alu instid0(VALU_DEP_2)
	v_dual_mov_b32 v4, v2 :: v_dual_mov_b32 v3, v1
	.p2align	6
.LBB51_97:                              ; =>This Inner Loop Header: Depth=1
	scratch_load_b128 v[15:18], v9, off offset:-8
	ds_load_b128 v[19:22], v8
	v_add_nc_u32_e32 v7, 1, v7
	v_add_nc_u32_e32 v8, 16, v8
	v_add_nc_u32_e32 v9, 16, v9
	s_delay_alu instid0(VALU_DEP_3) | instskip(SKIP_4) | instid1(VALU_DEP_2)
	v_cmp_lt_u32_e32 vcc_lo, 19, v7
	s_or_b32 s3, vcc_lo, s3
	s_waitcnt vmcnt(0) lgkmcnt(0)
	v_mul_f64 v[10:11], v[21:22], v[17:18]
	v_mul_f64 v[17:18], v[19:20], v[17:18]
	v_fma_f64 v[10:11], v[19:20], v[15:16], -v[10:11]
	s_delay_alu instid0(VALU_DEP_2) | instskip(NEXT) | instid1(VALU_DEP_2)
	v_fma_f64 v[15:16], v[21:22], v[15:16], v[17:18]
	v_add_f64 v[3:4], v[3:4], v[10:11]
	s_delay_alu instid0(VALU_DEP_2)
	v_add_f64 v[1:2], v[1:2], v[15:16]
	s_and_not1_b32 exec_lo, exec_lo, s3
	s_cbranch_execnz .LBB51_97
; %bb.98:
	s_or_b32 exec_lo, exec_lo, s3
	v_mov_b32_e32 v7, 0
	ds_load_b128 v[7:10], v7 offset:336
	s_waitcnt lgkmcnt(0)
	v_mul_f64 v[11:12], v[1:2], v[9:10]
	v_mul_f64 v[15:16], v[3:4], v[9:10]
	s_delay_alu instid0(VALU_DEP_2) | instskip(NEXT) | instid1(VALU_DEP_2)
	v_fma_f64 v[9:10], v[3:4], v[7:8], -v[11:12]
	v_fma_f64 v[11:12], v[1:2], v[7:8], v[15:16]
	scratch_store_b128 off, v[9:12], off offset:336
.LBB51_99:
	s_or_b32 exec_lo, exec_lo, s2
	s_waitcnt_vscnt null, 0x0
	s_barrier
	buffer_gl0_inv
	scratch_load_b128 v[1:4], v180, off
	s_mov_b32 s2, exec_lo
	s_waitcnt vmcnt(0)
	ds_store_b128 v5, v[1:4]
	s_waitcnt lgkmcnt(0)
	s_barrier
	buffer_gl0_inv
	v_cmpx_gt_u32_e32 22, v150
	s_cbranch_execz .LBB51_103
; %bb.100:
	v_dual_mov_b32 v1, 0 :: v_dual_add_nc_u32 v8, 0x340, v13
	v_dual_mov_b32 v2, 0 :: v_dual_add_nc_u32 v7, -1, v150
	v_or_b32_e32 v9, 8, v14
	s_mov_b32 s3, 0
	s_delay_alu instid0(VALU_DEP_2)
	v_dual_mov_b32 v4, v2 :: v_dual_mov_b32 v3, v1
	.p2align	6
.LBB51_101:                             ; =>This Inner Loop Header: Depth=1
	scratch_load_b128 v[15:18], v9, off offset:-8
	ds_load_b128 v[19:22], v8
	v_add_nc_u32_e32 v7, 1, v7
	v_add_nc_u32_e32 v8, 16, v8
	;; [unrolled: 1-line block ×3, first 2 shown]
	s_delay_alu instid0(VALU_DEP_3) | instskip(SKIP_4) | instid1(VALU_DEP_2)
	v_cmp_lt_u32_e32 vcc_lo, 20, v7
	s_or_b32 s3, vcc_lo, s3
	s_waitcnt vmcnt(0) lgkmcnt(0)
	v_mul_f64 v[10:11], v[21:22], v[17:18]
	v_mul_f64 v[17:18], v[19:20], v[17:18]
	v_fma_f64 v[10:11], v[19:20], v[15:16], -v[10:11]
	s_delay_alu instid0(VALU_DEP_2) | instskip(NEXT) | instid1(VALU_DEP_2)
	v_fma_f64 v[15:16], v[21:22], v[15:16], v[17:18]
	v_add_f64 v[3:4], v[3:4], v[10:11]
	s_delay_alu instid0(VALU_DEP_2)
	v_add_f64 v[1:2], v[1:2], v[15:16]
	s_and_not1_b32 exec_lo, exec_lo, s3
	s_cbranch_execnz .LBB51_101
; %bb.102:
	s_or_b32 exec_lo, exec_lo, s3
	v_mov_b32_e32 v7, 0
	ds_load_b128 v[7:10], v7 offset:352
	s_waitcnt lgkmcnt(0)
	v_mul_f64 v[11:12], v[1:2], v[9:10]
	v_mul_f64 v[15:16], v[3:4], v[9:10]
	s_delay_alu instid0(VALU_DEP_2) | instskip(NEXT) | instid1(VALU_DEP_2)
	v_fma_f64 v[9:10], v[3:4], v[7:8], -v[11:12]
	v_fma_f64 v[11:12], v[1:2], v[7:8], v[15:16]
	scratch_store_b128 off, v[9:12], off offset:352
.LBB51_103:
	s_or_b32 exec_lo, exec_lo, s2
	s_waitcnt_vscnt null, 0x0
	s_barrier
	buffer_gl0_inv
	scratch_load_b128 v[1:4], v179, off
	s_mov_b32 s2, exec_lo
	s_waitcnt vmcnt(0)
	ds_store_b128 v5, v[1:4]
	s_waitcnt lgkmcnt(0)
	s_barrier
	buffer_gl0_inv
	v_cmpx_gt_u32_e32 23, v150
	s_cbranch_execz .LBB51_107
; %bb.104:
	v_dual_mov_b32 v1, 0 :: v_dual_add_nc_u32 v8, 0x340, v13
	v_dual_mov_b32 v2, 0 :: v_dual_add_nc_u32 v7, -1, v150
	v_or_b32_e32 v9, 8, v14
	s_mov_b32 s3, 0
	s_delay_alu instid0(VALU_DEP_2)
	v_dual_mov_b32 v4, v2 :: v_dual_mov_b32 v3, v1
	.p2align	6
.LBB51_105:                             ; =>This Inner Loop Header: Depth=1
	scratch_load_b128 v[15:18], v9, off offset:-8
	ds_load_b128 v[19:22], v8
	v_add_nc_u32_e32 v7, 1, v7
	v_add_nc_u32_e32 v8, 16, v8
	;; [unrolled: 1-line block ×3, first 2 shown]
	s_delay_alu instid0(VALU_DEP_3) | instskip(SKIP_4) | instid1(VALU_DEP_2)
	v_cmp_lt_u32_e32 vcc_lo, 21, v7
	s_or_b32 s3, vcc_lo, s3
	s_waitcnt vmcnt(0) lgkmcnt(0)
	v_mul_f64 v[10:11], v[21:22], v[17:18]
	v_mul_f64 v[17:18], v[19:20], v[17:18]
	v_fma_f64 v[10:11], v[19:20], v[15:16], -v[10:11]
	s_delay_alu instid0(VALU_DEP_2) | instskip(NEXT) | instid1(VALU_DEP_2)
	v_fma_f64 v[15:16], v[21:22], v[15:16], v[17:18]
	v_add_f64 v[3:4], v[3:4], v[10:11]
	s_delay_alu instid0(VALU_DEP_2)
	v_add_f64 v[1:2], v[1:2], v[15:16]
	s_and_not1_b32 exec_lo, exec_lo, s3
	s_cbranch_execnz .LBB51_105
; %bb.106:
	s_or_b32 exec_lo, exec_lo, s3
	v_mov_b32_e32 v7, 0
	ds_load_b128 v[7:10], v7 offset:368
	s_waitcnt lgkmcnt(0)
	v_mul_f64 v[11:12], v[1:2], v[9:10]
	v_mul_f64 v[15:16], v[3:4], v[9:10]
	s_delay_alu instid0(VALU_DEP_2) | instskip(NEXT) | instid1(VALU_DEP_2)
	v_fma_f64 v[9:10], v[3:4], v[7:8], -v[11:12]
	v_fma_f64 v[11:12], v[1:2], v[7:8], v[15:16]
	scratch_store_b128 off, v[9:12], off offset:368
.LBB51_107:
	s_or_b32 exec_lo, exec_lo, s2
	s_waitcnt_vscnt null, 0x0
	s_barrier
	buffer_gl0_inv
	scratch_load_b128 v[1:4], v178, off
	s_mov_b32 s2, exec_lo
	s_waitcnt vmcnt(0)
	ds_store_b128 v5, v[1:4]
	s_waitcnt lgkmcnt(0)
	s_barrier
	buffer_gl0_inv
	v_cmpx_gt_u32_e32 24, v150
	s_cbranch_execz .LBB51_111
; %bb.108:
	v_dual_mov_b32 v1, 0 :: v_dual_add_nc_u32 v8, 0x340, v13
	v_dual_mov_b32 v2, 0 :: v_dual_add_nc_u32 v7, -1, v150
	v_or_b32_e32 v9, 8, v14
	s_mov_b32 s3, 0
	s_delay_alu instid0(VALU_DEP_2)
	v_dual_mov_b32 v4, v2 :: v_dual_mov_b32 v3, v1
	.p2align	6
.LBB51_109:                             ; =>This Inner Loop Header: Depth=1
	scratch_load_b128 v[15:18], v9, off offset:-8
	ds_load_b128 v[19:22], v8
	v_add_nc_u32_e32 v7, 1, v7
	v_add_nc_u32_e32 v8, 16, v8
	;; [unrolled: 1-line block ×3, first 2 shown]
	s_delay_alu instid0(VALU_DEP_3) | instskip(SKIP_4) | instid1(VALU_DEP_2)
	v_cmp_lt_u32_e32 vcc_lo, 22, v7
	s_or_b32 s3, vcc_lo, s3
	s_waitcnt vmcnt(0) lgkmcnt(0)
	v_mul_f64 v[10:11], v[21:22], v[17:18]
	v_mul_f64 v[17:18], v[19:20], v[17:18]
	v_fma_f64 v[10:11], v[19:20], v[15:16], -v[10:11]
	s_delay_alu instid0(VALU_DEP_2) | instskip(NEXT) | instid1(VALU_DEP_2)
	v_fma_f64 v[15:16], v[21:22], v[15:16], v[17:18]
	v_add_f64 v[3:4], v[3:4], v[10:11]
	s_delay_alu instid0(VALU_DEP_2)
	v_add_f64 v[1:2], v[1:2], v[15:16]
	s_and_not1_b32 exec_lo, exec_lo, s3
	s_cbranch_execnz .LBB51_109
; %bb.110:
	s_or_b32 exec_lo, exec_lo, s3
	v_mov_b32_e32 v7, 0
	ds_load_b128 v[7:10], v7 offset:384
	s_waitcnt lgkmcnt(0)
	v_mul_f64 v[11:12], v[1:2], v[9:10]
	v_mul_f64 v[15:16], v[3:4], v[9:10]
	s_delay_alu instid0(VALU_DEP_2) | instskip(NEXT) | instid1(VALU_DEP_2)
	v_fma_f64 v[9:10], v[3:4], v[7:8], -v[11:12]
	v_fma_f64 v[11:12], v[1:2], v[7:8], v[15:16]
	scratch_store_b128 off, v[9:12], off offset:384
.LBB51_111:
	s_or_b32 exec_lo, exec_lo, s2
	s_waitcnt_vscnt null, 0x0
	s_barrier
	buffer_gl0_inv
	scratch_load_b128 v[1:4], v177, off
	s_mov_b32 s2, exec_lo
	s_waitcnt vmcnt(0)
	ds_store_b128 v5, v[1:4]
	s_waitcnt lgkmcnt(0)
	s_barrier
	buffer_gl0_inv
	v_cmpx_gt_u32_e32 25, v150
	s_cbranch_execz .LBB51_115
; %bb.112:
	v_dual_mov_b32 v1, 0 :: v_dual_add_nc_u32 v8, 0x340, v13
	v_dual_mov_b32 v2, 0 :: v_dual_add_nc_u32 v7, -1, v150
	v_or_b32_e32 v9, 8, v14
	s_mov_b32 s3, 0
	s_delay_alu instid0(VALU_DEP_2)
	v_dual_mov_b32 v4, v2 :: v_dual_mov_b32 v3, v1
	.p2align	6
.LBB51_113:                             ; =>This Inner Loop Header: Depth=1
	scratch_load_b128 v[15:18], v9, off offset:-8
	ds_load_b128 v[19:22], v8
	v_add_nc_u32_e32 v7, 1, v7
	v_add_nc_u32_e32 v8, 16, v8
	;; [unrolled: 1-line block ×3, first 2 shown]
	s_delay_alu instid0(VALU_DEP_3) | instskip(SKIP_4) | instid1(VALU_DEP_2)
	v_cmp_lt_u32_e32 vcc_lo, 23, v7
	s_or_b32 s3, vcc_lo, s3
	s_waitcnt vmcnt(0) lgkmcnt(0)
	v_mul_f64 v[10:11], v[21:22], v[17:18]
	v_mul_f64 v[17:18], v[19:20], v[17:18]
	v_fma_f64 v[10:11], v[19:20], v[15:16], -v[10:11]
	s_delay_alu instid0(VALU_DEP_2) | instskip(NEXT) | instid1(VALU_DEP_2)
	v_fma_f64 v[15:16], v[21:22], v[15:16], v[17:18]
	v_add_f64 v[3:4], v[3:4], v[10:11]
	s_delay_alu instid0(VALU_DEP_2)
	v_add_f64 v[1:2], v[1:2], v[15:16]
	s_and_not1_b32 exec_lo, exec_lo, s3
	s_cbranch_execnz .LBB51_113
; %bb.114:
	s_or_b32 exec_lo, exec_lo, s3
	v_mov_b32_e32 v7, 0
	ds_load_b128 v[7:10], v7 offset:400
	s_waitcnt lgkmcnt(0)
	v_mul_f64 v[11:12], v[1:2], v[9:10]
	v_mul_f64 v[15:16], v[3:4], v[9:10]
	s_delay_alu instid0(VALU_DEP_2) | instskip(NEXT) | instid1(VALU_DEP_2)
	v_fma_f64 v[9:10], v[3:4], v[7:8], -v[11:12]
	v_fma_f64 v[11:12], v[1:2], v[7:8], v[15:16]
	scratch_store_b128 off, v[9:12], off offset:400
.LBB51_115:
	s_or_b32 exec_lo, exec_lo, s2
	s_waitcnt_vscnt null, 0x0
	s_barrier
	buffer_gl0_inv
	scratch_load_b128 v[1:4], v176, off
	s_mov_b32 s2, exec_lo
	s_waitcnt vmcnt(0)
	ds_store_b128 v5, v[1:4]
	s_waitcnt lgkmcnt(0)
	s_barrier
	buffer_gl0_inv
	v_cmpx_gt_u32_e32 26, v150
	s_cbranch_execz .LBB51_119
; %bb.116:
	v_dual_mov_b32 v1, 0 :: v_dual_add_nc_u32 v8, 0x340, v13
	v_dual_mov_b32 v2, 0 :: v_dual_add_nc_u32 v7, -1, v150
	v_or_b32_e32 v9, 8, v14
	s_mov_b32 s3, 0
	s_delay_alu instid0(VALU_DEP_2)
	v_dual_mov_b32 v4, v2 :: v_dual_mov_b32 v3, v1
	.p2align	6
.LBB51_117:                             ; =>This Inner Loop Header: Depth=1
	scratch_load_b128 v[15:18], v9, off offset:-8
	ds_load_b128 v[19:22], v8
	v_add_nc_u32_e32 v7, 1, v7
	v_add_nc_u32_e32 v8, 16, v8
	v_add_nc_u32_e32 v9, 16, v9
	s_delay_alu instid0(VALU_DEP_3) | instskip(SKIP_4) | instid1(VALU_DEP_2)
	v_cmp_lt_u32_e32 vcc_lo, 24, v7
	s_or_b32 s3, vcc_lo, s3
	s_waitcnt vmcnt(0) lgkmcnt(0)
	v_mul_f64 v[10:11], v[21:22], v[17:18]
	v_mul_f64 v[17:18], v[19:20], v[17:18]
	v_fma_f64 v[10:11], v[19:20], v[15:16], -v[10:11]
	s_delay_alu instid0(VALU_DEP_2) | instskip(NEXT) | instid1(VALU_DEP_2)
	v_fma_f64 v[15:16], v[21:22], v[15:16], v[17:18]
	v_add_f64 v[3:4], v[3:4], v[10:11]
	s_delay_alu instid0(VALU_DEP_2)
	v_add_f64 v[1:2], v[1:2], v[15:16]
	s_and_not1_b32 exec_lo, exec_lo, s3
	s_cbranch_execnz .LBB51_117
; %bb.118:
	s_or_b32 exec_lo, exec_lo, s3
	v_mov_b32_e32 v7, 0
	ds_load_b128 v[7:10], v7 offset:416
	s_waitcnt lgkmcnt(0)
	v_mul_f64 v[11:12], v[1:2], v[9:10]
	v_mul_f64 v[15:16], v[3:4], v[9:10]
	s_delay_alu instid0(VALU_DEP_2) | instskip(NEXT) | instid1(VALU_DEP_2)
	v_fma_f64 v[9:10], v[3:4], v[7:8], -v[11:12]
	v_fma_f64 v[11:12], v[1:2], v[7:8], v[15:16]
	scratch_store_b128 off, v[9:12], off offset:416
.LBB51_119:
	s_or_b32 exec_lo, exec_lo, s2
	s_waitcnt_vscnt null, 0x0
	s_barrier
	buffer_gl0_inv
	scratch_load_b128 v[1:4], v175, off
	s_mov_b32 s2, exec_lo
	s_waitcnt vmcnt(0)
	ds_store_b128 v5, v[1:4]
	s_waitcnt lgkmcnt(0)
	s_barrier
	buffer_gl0_inv
	v_cmpx_gt_u32_e32 27, v150
	s_cbranch_execz .LBB51_123
; %bb.120:
	v_dual_mov_b32 v1, 0 :: v_dual_add_nc_u32 v8, 0x340, v13
	v_dual_mov_b32 v2, 0 :: v_dual_add_nc_u32 v7, -1, v150
	v_or_b32_e32 v9, 8, v14
	s_mov_b32 s3, 0
	s_delay_alu instid0(VALU_DEP_2)
	v_dual_mov_b32 v4, v2 :: v_dual_mov_b32 v3, v1
	.p2align	6
.LBB51_121:                             ; =>This Inner Loop Header: Depth=1
	scratch_load_b128 v[15:18], v9, off offset:-8
	ds_load_b128 v[19:22], v8
	v_add_nc_u32_e32 v7, 1, v7
	v_add_nc_u32_e32 v8, 16, v8
	v_add_nc_u32_e32 v9, 16, v9
	s_delay_alu instid0(VALU_DEP_3) | instskip(SKIP_4) | instid1(VALU_DEP_2)
	v_cmp_lt_u32_e32 vcc_lo, 25, v7
	s_or_b32 s3, vcc_lo, s3
	s_waitcnt vmcnt(0) lgkmcnt(0)
	v_mul_f64 v[10:11], v[21:22], v[17:18]
	v_mul_f64 v[17:18], v[19:20], v[17:18]
	v_fma_f64 v[10:11], v[19:20], v[15:16], -v[10:11]
	s_delay_alu instid0(VALU_DEP_2) | instskip(NEXT) | instid1(VALU_DEP_2)
	v_fma_f64 v[15:16], v[21:22], v[15:16], v[17:18]
	v_add_f64 v[3:4], v[3:4], v[10:11]
	s_delay_alu instid0(VALU_DEP_2)
	v_add_f64 v[1:2], v[1:2], v[15:16]
	s_and_not1_b32 exec_lo, exec_lo, s3
	s_cbranch_execnz .LBB51_121
; %bb.122:
	s_or_b32 exec_lo, exec_lo, s3
	v_mov_b32_e32 v7, 0
	ds_load_b128 v[7:10], v7 offset:432
	s_waitcnt lgkmcnt(0)
	v_mul_f64 v[11:12], v[1:2], v[9:10]
	v_mul_f64 v[15:16], v[3:4], v[9:10]
	s_delay_alu instid0(VALU_DEP_2) | instskip(NEXT) | instid1(VALU_DEP_2)
	v_fma_f64 v[9:10], v[3:4], v[7:8], -v[11:12]
	v_fma_f64 v[11:12], v[1:2], v[7:8], v[15:16]
	scratch_store_b128 off, v[9:12], off offset:432
.LBB51_123:
	s_or_b32 exec_lo, exec_lo, s2
	s_waitcnt_vscnt null, 0x0
	s_barrier
	buffer_gl0_inv
	scratch_load_b128 v[1:4], v174, off
	s_mov_b32 s2, exec_lo
	s_waitcnt vmcnt(0)
	ds_store_b128 v5, v[1:4]
	s_waitcnt lgkmcnt(0)
	s_barrier
	buffer_gl0_inv
	v_cmpx_gt_u32_e32 28, v150
	s_cbranch_execz .LBB51_127
; %bb.124:
	v_dual_mov_b32 v1, 0 :: v_dual_add_nc_u32 v8, 0x340, v13
	v_dual_mov_b32 v2, 0 :: v_dual_add_nc_u32 v7, -1, v150
	v_or_b32_e32 v9, 8, v14
	s_mov_b32 s3, 0
	s_delay_alu instid0(VALU_DEP_2)
	v_dual_mov_b32 v4, v2 :: v_dual_mov_b32 v3, v1
	.p2align	6
.LBB51_125:                             ; =>This Inner Loop Header: Depth=1
	scratch_load_b128 v[15:18], v9, off offset:-8
	ds_load_b128 v[19:22], v8
	v_add_nc_u32_e32 v7, 1, v7
	v_add_nc_u32_e32 v8, 16, v8
	;; [unrolled: 1-line block ×3, first 2 shown]
	s_delay_alu instid0(VALU_DEP_3) | instskip(SKIP_4) | instid1(VALU_DEP_2)
	v_cmp_lt_u32_e32 vcc_lo, 26, v7
	s_or_b32 s3, vcc_lo, s3
	s_waitcnt vmcnt(0) lgkmcnt(0)
	v_mul_f64 v[10:11], v[21:22], v[17:18]
	v_mul_f64 v[17:18], v[19:20], v[17:18]
	v_fma_f64 v[10:11], v[19:20], v[15:16], -v[10:11]
	s_delay_alu instid0(VALU_DEP_2) | instskip(NEXT) | instid1(VALU_DEP_2)
	v_fma_f64 v[15:16], v[21:22], v[15:16], v[17:18]
	v_add_f64 v[3:4], v[3:4], v[10:11]
	s_delay_alu instid0(VALU_DEP_2)
	v_add_f64 v[1:2], v[1:2], v[15:16]
	s_and_not1_b32 exec_lo, exec_lo, s3
	s_cbranch_execnz .LBB51_125
; %bb.126:
	s_or_b32 exec_lo, exec_lo, s3
	v_mov_b32_e32 v7, 0
	ds_load_b128 v[7:10], v7 offset:448
	s_waitcnt lgkmcnt(0)
	v_mul_f64 v[11:12], v[1:2], v[9:10]
	v_mul_f64 v[15:16], v[3:4], v[9:10]
	s_delay_alu instid0(VALU_DEP_2) | instskip(NEXT) | instid1(VALU_DEP_2)
	v_fma_f64 v[9:10], v[3:4], v[7:8], -v[11:12]
	v_fma_f64 v[11:12], v[1:2], v[7:8], v[15:16]
	scratch_store_b128 off, v[9:12], off offset:448
.LBB51_127:
	s_or_b32 exec_lo, exec_lo, s2
	s_waitcnt_vscnt null, 0x0
	s_barrier
	buffer_gl0_inv
	scratch_load_b128 v[1:4], v173, off
	s_mov_b32 s2, exec_lo
	s_waitcnt vmcnt(0)
	ds_store_b128 v5, v[1:4]
	s_waitcnt lgkmcnt(0)
	s_barrier
	buffer_gl0_inv
	v_cmpx_gt_u32_e32 29, v150
	s_cbranch_execz .LBB51_131
; %bb.128:
	v_dual_mov_b32 v1, 0 :: v_dual_add_nc_u32 v8, 0x340, v13
	v_dual_mov_b32 v2, 0 :: v_dual_add_nc_u32 v7, -1, v150
	v_or_b32_e32 v9, 8, v14
	s_mov_b32 s3, 0
	s_delay_alu instid0(VALU_DEP_2)
	v_dual_mov_b32 v4, v2 :: v_dual_mov_b32 v3, v1
	.p2align	6
.LBB51_129:                             ; =>This Inner Loop Header: Depth=1
	scratch_load_b128 v[15:18], v9, off offset:-8
	ds_load_b128 v[19:22], v8
	v_add_nc_u32_e32 v7, 1, v7
	v_add_nc_u32_e32 v8, 16, v8
	;; [unrolled: 1-line block ×3, first 2 shown]
	s_delay_alu instid0(VALU_DEP_3) | instskip(SKIP_4) | instid1(VALU_DEP_2)
	v_cmp_lt_u32_e32 vcc_lo, 27, v7
	s_or_b32 s3, vcc_lo, s3
	s_waitcnt vmcnt(0) lgkmcnt(0)
	v_mul_f64 v[10:11], v[21:22], v[17:18]
	v_mul_f64 v[17:18], v[19:20], v[17:18]
	v_fma_f64 v[10:11], v[19:20], v[15:16], -v[10:11]
	s_delay_alu instid0(VALU_DEP_2) | instskip(NEXT) | instid1(VALU_DEP_2)
	v_fma_f64 v[15:16], v[21:22], v[15:16], v[17:18]
	v_add_f64 v[3:4], v[3:4], v[10:11]
	s_delay_alu instid0(VALU_DEP_2)
	v_add_f64 v[1:2], v[1:2], v[15:16]
	s_and_not1_b32 exec_lo, exec_lo, s3
	s_cbranch_execnz .LBB51_129
; %bb.130:
	s_or_b32 exec_lo, exec_lo, s3
	v_mov_b32_e32 v7, 0
	ds_load_b128 v[7:10], v7 offset:464
	s_waitcnt lgkmcnt(0)
	v_mul_f64 v[11:12], v[1:2], v[9:10]
	v_mul_f64 v[15:16], v[3:4], v[9:10]
	s_delay_alu instid0(VALU_DEP_2) | instskip(NEXT) | instid1(VALU_DEP_2)
	v_fma_f64 v[9:10], v[3:4], v[7:8], -v[11:12]
	v_fma_f64 v[11:12], v[1:2], v[7:8], v[15:16]
	scratch_store_b128 off, v[9:12], off offset:464
.LBB51_131:
	s_or_b32 exec_lo, exec_lo, s2
	s_waitcnt_vscnt null, 0x0
	s_barrier
	buffer_gl0_inv
	scratch_load_b128 v[1:4], v171, off
	s_mov_b32 s2, exec_lo
	s_waitcnt vmcnt(0)
	ds_store_b128 v5, v[1:4]
	s_waitcnt lgkmcnt(0)
	s_barrier
	buffer_gl0_inv
	v_cmpx_gt_u32_e32 30, v150
	s_cbranch_execz .LBB51_135
; %bb.132:
	v_dual_mov_b32 v1, 0 :: v_dual_add_nc_u32 v8, 0x340, v13
	v_dual_mov_b32 v2, 0 :: v_dual_add_nc_u32 v7, -1, v150
	v_or_b32_e32 v9, 8, v14
	s_mov_b32 s3, 0
	s_delay_alu instid0(VALU_DEP_2)
	v_dual_mov_b32 v4, v2 :: v_dual_mov_b32 v3, v1
	.p2align	6
.LBB51_133:                             ; =>This Inner Loop Header: Depth=1
	scratch_load_b128 v[15:18], v9, off offset:-8
	ds_load_b128 v[19:22], v8
	v_add_nc_u32_e32 v7, 1, v7
	v_add_nc_u32_e32 v8, 16, v8
	;; [unrolled: 1-line block ×3, first 2 shown]
	s_delay_alu instid0(VALU_DEP_3) | instskip(SKIP_4) | instid1(VALU_DEP_2)
	v_cmp_lt_u32_e32 vcc_lo, 28, v7
	s_or_b32 s3, vcc_lo, s3
	s_waitcnt vmcnt(0) lgkmcnt(0)
	v_mul_f64 v[10:11], v[21:22], v[17:18]
	v_mul_f64 v[17:18], v[19:20], v[17:18]
	v_fma_f64 v[10:11], v[19:20], v[15:16], -v[10:11]
	s_delay_alu instid0(VALU_DEP_2) | instskip(NEXT) | instid1(VALU_DEP_2)
	v_fma_f64 v[15:16], v[21:22], v[15:16], v[17:18]
	v_add_f64 v[3:4], v[3:4], v[10:11]
	s_delay_alu instid0(VALU_DEP_2)
	v_add_f64 v[1:2], v[1:2], v[15:16]
	s_and_not1_b32 exec_lo, exec_lo, s3
	s_cbranch_execnz .LBB51_133
; %bb.134:
	s_or_b32 exec_lo, exec_lo, s3
	v_mov_b32_e32 v7, 0
	ds_load_b128 v[7:10], v7 offset:480
	s_waitcnt lgkmcnt(0)
	v_mul_f64 v[11:12], v[1:2], v[9:10]
	v_mul_f64 v[15:16], v[3:4], v[9:10]
	s_delay_alu instid0(VALU_DEP_2) | instskip(NEXT) | instid1(VALU_DEP_2)
	v_fma_f64 v[9:10], v[3:4], v[7:8], -v[11:12]
	v_fma_f64 v[11:12], v[1:2], v[7:8], v[15:16]
	scratch_store_b128 off, v[9:12], off offset:480
.LBB51_135:
	s_or_b32 exec_lo, exec_lo, s2
	s_waitcnt_vscnt null, 0x0
	s_barrier
	buffer_gl0_inv
	scratch_load_b128 v[1:4], v170, off
	s_mov_b32 s2, exec_lo
	s_waitcnt vmcnt(0)
	ds_store_b128 v5, v[1:4]
	s_waitcnt lgkmcnt(0)
	s_barrier
	buffer_gl0_inv
	v_cmpx_gt_u32_e32 31, v150
	s_cbranch_execz .LBB51_139
; %bb.136:
	v_dual_mov_b32 v1, 0 :: v_dual_add_nc_u32 v8, 0x340, v13
	v_dual_mov_b32 v2, 0 :: v_dual_add_nc_u32 v7, -1, v150
	v_or_b32_e32 v9, 8, v14
	s_mov_b32 s3, 0
	s_delay_alu instid0(VALU_DEP_2)
	v_dual_mov_b32 v4, v2 :: v_dual_mov_b32 v3, v1
	.p2align	6
.LBB51_137:                             ; =>This Inner Loop Header: Depth=1
	scratch_load_b128 v[15:18], v9, off offset:-8
	ds_load_b128 v[19:22], v8
	v_add_nc_u32_e32 v7, 1, v7
	v_add_nc_u32_e32 v8, 16, v8
	;; [unrolled: 1-line block ×3, first 2 shown]
	s_delay_alu instid0(VALU_DEP_3) | instskip(SKIP_4) | instid1(VALU_DEP_2)
	v_cmp_lt_u32_e32 vcc_lo, 29, v7
	s_or_b32 s3, vcc_lo, s3
	s_waitcnt vmcnt(0) lgkmcnt(0)
	v_mul_f64 v[10:11], v[21:22], v[17:18]
	v_mul_f64 v[17:18], v[19:20], v[17:18]
	v_fma_f64 v[10:11], v[19:20], v[15:16], -v[10:11]
	s_delay_alu instid0(VALU_DEP_2) | instskip(NEXT) | instid1(VALU_DEP_2)
	v_fma_f64 v[15:16], v[21:22], v[15:16], v[17:18]
	v_add_f64 v[3:4], v[3:4], v[10:11]
	s_delay_alu instid0(VALU_DEP_2)
	v_add_f64 v[1:2], v[1:2], v[15:16]
	s_and_not1_b32 exec_lo, exec_lo, s3
	s_cbranch_execnz .LBB51_137
; %bb.138:
	s_or_b32 exec_lo, exec_lo, s3
	v_mov_b32_e32 v7, 0
	ds_load_b128 v[7:10], v7 offset:496
	s_waitcnt lgkmcnt(0)
	v_mul_f64 v[11:12], v[1:2], v[9:10]
	v_mul_f64 v[15:16], v[3:4], v[9:10]
	s_delay_alu instid0(VALU_DEP_2) | instskip(NEXT) | instid1(VALU_DEP_2)
	v_fma_f64 v[9:10], v[3:4], v[7:8], -v[11:12]
	v_fma_f64 v[11:12], v[1:2], v[7:8], v[15:16]
	scratch_store_b128 off, v[9:12], off offset:496
.LBB51_139:
	s_or_b32 exec_lo, exec_lo, s2
	s_waitcnt_vscnt null, 0x0
	s_barrier
	buffer_gl0_inv
	scratch_load_b128 v[1:4], v168, off
	s_mov_b32 s2, exec_lo
	s_waitcnt vmcnt(0)
	ds_store_b128 v5, v[1:4]
	s_waitcnt lgkmcnt(0)
	s_barrier
	buffer_gl0_inv
	v_cmpx_gt_u32_e32 32, v150
	s_cbranch_execz .LBB51_143
; %bb.140:
	v_dual_mov_b32 v1, 0 :: v_dual_add_nc_u32 v8, 0x340, v13
	v_dual_mov_b32 v2, 0 :: v_dual_add_nc_u32 v7, -1, v150
	v_or_b32_e32 v9, 8, v14
	s_mov_b32 s3, 0
	s_delay_alu instid0(VALU_DEP_2)
	v_dual_mov_b32 v4, v2 :: v_dual_mov_b32 v3, v1
	.p2align	6
.LBB51_141:                             ; =>This Inner Loop Header: Depth=1
	scratch_load_b128 v[15:18], v9, off offset:-8
	ds_load_b128 v[19:22], v8
	v_add_nc_u32_e32 v7, 1, v7
	v_add_nc_u32_e32 v8, 16, v8
	;; [unrolled: 1-line block ×3, first 2 shown]
	s_delay_alu instid0(VALU_DEP_3) | instskip(SKIP_4) | instid1(VALU_DEP_2)
	v_cmp_lt_u32_e32 vcc_lo, 30, v7
	s_or_b32 s3, vcc_lo, s3
	s_waitcnt vmcnt(0) lgkmcnt(0)
	v_mul_f64 v[10:11], v[21:22], v[17:18]
	v_mul_f64 v[17:18], v[19:20], v[17:18]
	v_fma_f64 v[10:11], v[19:20], v[15:16], -v[10:11]
	s_delay_alu instid0(VALU_DEP_2) | instskip(NEXT) | instid1(VALU_DEP_2)
	v_fma_f64 v[15:16], v[21:22], v[15:16], v[17:18]
	v_add_f64 v[3:4], v[3:4], v[10:11]
	s_delay_alu instid0(VALU_DEP_2)
	v_add_f64 v[1:2], v[1:2], v[15:16]
	s_and_not1_b32 exec_lo, exec_lo, s3
	s_cbranch_execnz .LBB51_141
; %bb.142:
	s_or_b32 exec_lo, exec_lo, s3
	v_mov_b32_e32 v7, 0
	ds_load_b128 v[7:10], v7 offset:512
	s_waitcnt lgkmcnt(0)
	v_mul_f64 v[11:12], v[1:2], v[9:10]
	v_mul_f64 v[15:16], v[3:4], v[9:10]
	s_delay_alu instid0(VALU_DEP_2) | instskip(NEXT) | instid1(VALU_DEP_2)
	v_fma_f64 v[9:10], v[3:4], v[7:8], -v[11:12]
	v_fma_f64 v[11:12], v[1:2], v[7:8], v[15:16]
	scratch_store_b128 off, v[9:12], off offset:512
.LBB51_143:
	s_or_b32 exec_lo, exec_lo, s2
	s_waitcnt_vscnt null, 0x0
	s_barrier
	buffer_gl0_inv
	scratch_load_b128 v[1:4], v214, off
	s_mov_b32 s2, exec_lo
	s_waitcnt vmcnt(0)
	ds_store_b128 v5, v[1:4]
	s_waitcnt lgkmcnt(0)
	s_barrier
	buffer_gl0_inv
	v_cmpx_gt_u32_e32 33, v150
	s_cbranch_execz .LBB51_147
; %bb.144:
	v_dual_mov_b32 v1, 0 :: v_dual_add_nc_u32 v8, 0x340, v13
	v_dual_mov_b32 v2, 0 :: v_dual_add_nc_u32 v7, -1, v150
	v_or_b32_e32 v9, 8, v14
	s_mov_b32 s3, 0
	s_delay_alu instid0(VALU_DEP_2)
	v_dual_mov_b32 v4, v2 :: v_dual_mov_b32 v3, v1
	.p2align	6
.LBB51_145:                             ; =>This Inner Loop Header: Depth=1
	scratch_load_b128 v[15:18], v9, off offset:-8
	ds_load_b128 v[19:22], v8
	v_add_nc_u32_e32 v7, 1, v7
	v_add_nc_u32_e32 v8, 16, v8
	;; [unrolled: 1-line block ×3, first 2 shown]
	s_delay_alu instid0(VALU_DEP_3) | instskip(SKIP_4) | instid1(VALU_DEP_2)
	v_cmp_lt_u32_e32 vcc_lo, 31, v7
	s_or_b32 s3, vcc_lo, s3
	s_waitcnt vmcnt(0) lgkmcnt(0)
	v_mul_f64 v[10:11], v[21:22], v[17:18]
	v_mul_f64 v[17:18], v[19:20], v[17:18]
	v_fma_f64 v[10:11], v[19:20], v[15:16], -v[10:11]
	s_delay_alu instid0(VALU_DEP_2) | instskip(NEXT) | instid1(VALU_DEP_2)
	v_fma_f64 v[15:16], v[21:22], v[15:16], v[17:18]
	v_add_f64 v[3:4], v[3:4], v[10:11]
	s_delay_alu instid0(VALU_DEP_2)
	v_add_f64 v[1:2], v[1:2], v[15:16]
	s_and_not1_b32 exec_lo, exec_lo, s3
	s_cbranch_execnz .LBB51_145
; %bb.146:
	s_or_b32 exec_lo, exec_lo, s3
	v_mov_b32_e32 v7, 0
	ds_load_b128 v[7:10], v7 offset:528
	s_waitcnt lgkmcnt(0)
	v_mul_f64 v[11:12], v[1:2], v[9:10]
	v_mul_f64 v[15:16], v[3:4], v[9:10]
	s_delay_alu instid0(VALU_DEP_2) | instskip(NEXT) | instid1(VALU_DEP_2)
	v_fma_f64 v[9:10], v[3:4], v[7:8], -v[11:12]
	v_fma_f64 v[11:12], v[1:2], v[7:8], v[15:16]
	scratch_store_b128 off, v[9:12], off offset:528
.LBB51_147:
	s_or_b32 exec_lo, exec_lo, s2
	s_waitcnt_vscnt null, 0x0
	s_barrier
	buffer_gl0_inv
	scratch_load_b128 v[1:4], v213, off
	s_mov_b32 s2, exec_lo
	s_waitcnt vmcnt(0)
	ds_store_b128 v5, v[1:4]
	s_waitcnt lgkmcnt(0)
	s_barrier
	buffer_gl0_inv
	v_cmpx_gt_u32_e32 34, v150
	s_cbranch_execz .LBB51_151
; %bb.148:
	v_dual_mov_b32 v1, 0 :: v_dual_add_nc_u32 v8, 0x340, v13
	v_dual_mov_b32 v2, 0 :: v_dual_add_nc_u32 v7, -1, v150
	v_or_b32_e32 v9, 8, v14
	s_mov_b32 s3, 0
	s_delay_alu instid0(VALU_DEP_2)
	v_dual_mov_b32 v4, v2 :: v_dual_mov_b32 v3, v1
	.p2align	6
.LBB51_149:                             ; =>This Inner Loop Header: Depth=1
	scratch_load_b128 v[15:18], v9, off offset:-8
	ds_load_b128 v[19:22], v8
	v_add_nc_u32_e32 v7, 1, v7
	v_add_nc_u32_e32 v8, 16, v8
	;; [unrolled: 1-line block ×3, first 2 shown]
	s_delay_alu instid0(VALU_DEP_3) | instskip(SKIP_4) | instid1(VALU_DEP_2)
	v_cmp_lt_u32_e32 vcc_lo, 32, v7
	s_or_b32 s3, vcc_lo, s3
	s_waitcnt vmcnt(0) lgkmcnt(0)
	v_mul_f64 v[10:11], v[21:22], v[17:18]
	v_mul_f64 v[17:18], v[19:20], v[17:18]
	v_fma_f64 v[10:11], v[19:20], v[15:16], -v[10:11]
	s_delay_alu instid0(VALU_DEP_2) | instskip(NEXT) | instid1(VALU_DEP_2)
	v_fma_f64 v[15:16], v[21:22], v[15:16], v[17:18]
	v_add_f64 v[3:4], v[3:4], v[10:11]
	s_delay_alu instid0(VALU_DEP_2)
	v_add_f64 v[1:2], v[1:2], v[15:16]
	s_and_not1_b32 exec_lo, exec_lo, s3
	s_cbranch_execnz .LBB51_149
; %bb.150:
	s_or_b32 exec_lo, exec_lo, s3
	v_mov_b32_e32 v7, 0
	ds_load_b128 v[7:10], v7 offset:544
	s_waitcnt lgkmcnt(0)
	v_mul_f64 v[11:12], v[1:2], v[9:10]
	v_mul_f64 v[15:16], v[3:4], v[9:10]
	s_delay_alu instid0(VALU_DEP_2) | instskip(NEXT) | instid1(VALU_DEP_2)
	v_fma_f64 v[9:10], v[3:4], v[7:8], -v[11:12]
	v_fma_f64 v[11:12], v[1:2], v[7:8], v[15:16]
	scratch_store_b128 off, v[9:12], off offset:544
.LBB51_151:
	s_or_b32 exec_lo, exec_lo, s2
	s_waitcnt_vscnt null, 0x0
	s_barrier
	buffer_gl0_inv
	scratch_load_b128 v[1:4], v212, off
	s_mov_b32 s2, exec_lo
	s_waitcnt vmcnt(0)
	ds_store_b128 v5, v[1:4]
	s_waitcnt lgkmcnt(0)
	s_barrier
	buffer_gl0_inv
	v_cmpx_gt_u32_e32 35, v150
	s_cbranch_execz .LBB51_155
; %bb.152:
	v_dual_mov_b32 v1, 0 :: v_dual_add_nc_u32 v8, 0x340, v13
	v_dual_mov_b32 v2, 0 :: v_dual_add_nc_u32 v7, -1, v150
	v_or_b32_e32 v9, 8, v14
	s_mov_b32 s3, 0
	s_delay_alu instid0(VALU_DEP_2)
	v_dual_mov_b32 v4, v2 :: v_dual_mov_b32 v3, v1
	.p2align	6
.LBB51_153:                             ; =>This Inner Loop Header: Depth=1
	scratch_load_b128 v[15:18], v9, off offset:-8
	ds_load_b128 v[19:22], v8
	v_add_nc_u32_e32 v7, 1, v7
	v_add_nc_u32_e32 v8, 16, v8
	;; [unrolled: 1-line block ×3, first 2 shown]
	s_delay_alu instid0(VALU_DEP_3) | instskip(SKIP_4) | instid1(VALU_DEP_2)
	v_cmp_lt_u32_e32 vcc_lo, 33, v7
	s_or_b32 s3, vcc_lo, s3
	s_waitcnt vmcnt(0) lgkmcnt(0)
	v_mul_f64 v[10:11], v[21:22], v[17:18]
	v_mul_f64 v[17:18], v[19:20], v[17:18]
	v_fma_f64 v[10:11], v[19:20], v[15:16], -v[10:11]
	s_delay_alu instid0(VALU_DEP_2) | instskip(NEXT) | instid1(VALU_DEP_2)
	v_fma_f64 v[15:16], v[21:22], v[15:16], v[17:18]
	v_add_f64 v[3:4], v[3:4], v[10:11]
	s_delay_alu instid0(VALU_DEP_2)
	v_add_f64 v[1:2], v[1:2], v[15:16]
	s_and_not1_b32 exec_lo, exec_lo, s3
	s_cbranch_execnz .LBB51_153
; %bb.154:
	s_or_b32 exec_lo, exec_lo, s3
	v_mov_b32_e32 v7, 0
	ds_load_b128 v[7:10], v7 offset:560
	s_waitcnt lgkmcnt(0)
	v_mul_f64 v[11:12], v[1:2], v[9:10]
	v_mul_f64 v[15:16], v[3:4], v[9:10]
	s_delay_alu instid0(VALU_DEP_2) | instskip(NEXT) | instid1(VALU_DEP_2)
	v_fma_f64 v[9:10], v[3:4], v[7:8], -v[11:12]
	v_fma_f64 v[11:12], v[1:2], v[7:8], v[15:16]
	scratch_store_b128 off, v[9:12], off offset:560
.LBB51_155:
	s_or_b32 exec_lo, exec_lo, s2
	s_waitcnt_vscnt null, 0x0
	s_barrier
	buffer_gl0_inv
	scratch_load_b128 v[1:4], v211, off
	s_mov_b32 s2, exec_lo
	s_waitcnt vmcnt(0)
	ds_store_b128 v5, v[1:4]
	s_waitcnt lgkmcnt(0)
	s_barrier
	buffer_gl0_inv
	v_cmpx_gt_u32_e32 36, v150
	s_cbranch_execz .LBB51_159
; %bb.156:
	v_dual_mov_b32 v1, 0 :: v_dual_add_nc_u32 v8, 0x340, v13
	v_dual_mov_b32 v2, 0 :: v_dual_add_nc_u32 v7, -1, v150
	v_or_b32_e32 v9, 8, v14
	s_mov_b32 s3, 0
	s_delay_alu instid0(VALU_DEP_2)
	v_dual_mov_b32 v4, v2 :: v_dual_mov_b32 v3, v1
	.p2align	6
.LBB51_157:                             ; =>This Inner Loop Header: Depth=1
	scratch_load_b128 v[15:18], v9, off offset:-8
	ds_load_b128 v[19:22], v8
	v_add_nc_u32_e32 v7, 1, v7
	v_add_nc_u32_e32 v8, 16, v8
	;; [unrolled: 1-line block ×3, first 2 shown]
	s_delay_alu instid0(VALU_DEP_3) | instskip(SKIP_4) | instid1(VALU_DEP_2)
	v_cmp_lt_u32_e32 vcc_lo, 34, v7
	s_or_b32 s3, vcc_lo, s3
	s_waitcnt vmcnt(0) lgkmcnt(0)
	v_mul_f64 v[10:11], v[21:22], v[17:18]
	v_mul_f64 v[17:18], v[19:20], v[17:18]
	v_fma_f64 v[10:11], v[19:20], v[15:16], -v[10:11]
	s_delay_alu instid0(VALU_DEP_2) | instskip(NEXT) | instid1(VALU_DEP_2)
	v_fma_f64 v[15:16], v[21:22], v[15:16], v[17:18]
	v_add_f64 v[3:4], v[3:4], v[10:11]
	s_delay_alu instid0(VALU_DEP_2)
	v_add_f64 v[1:2], v[1:2], v[15:16]
	s_and_not1_b32 exec_lo, exec_lo, s3
	s_cbranch_execnz .LBB51_157
; %bb.158:
	s_or_b32 exec_lo, exec_lo, s3
	v_mov_b32_e32 v7, 0
	ds_load_b128 v[7:10], v7 offset:576
	s_waitcnt lgkmcnt(0)
	v_mul_f64 v[11:12], v[1:2], v[9:10]
	v_mul_f64 v[15:16], v[3:4], v[9:10]
	s_delay_alu instid0(VALU_DEP_2) | instskip(NEXT) | instid1(VALU_DEP_2)
	v_fma_f64 v[9:10], v[3:4], v[7:8], -v[11:12]
	v_fma_f64 v[11:12], v[1:2], v[7:8], v[15:16]
	scratch_store_b128 off, v[9:12], off offset:576
.LBB51_159:
	s_or_b32 exec_lo, exec_lo, s2
	s_waitcnt_vscnt null, 0x0
	s_barrier
	buffer_gl0_inv
	scratch_load_b128 v[1:4], v210, off
	s_mov_b32 s2, exec_lo
	s_waitcnt vmcnt(0)
	ds_store_b128 v5, v[1:4]
	s_waitcnt lgkmcnt(0)
	s_barrier
	buffer_gl0_inv
	v_cmpx_gt_u32_e32 37, v150
	s_cbranch_execz .LBB51_163
; %bb.160:
	v_dual_mov_b32 v1, 0 :: v_dual_add_nc_u32 v8, 0x340, v13
	v_dual_mov_b32 v2, 0 :: v_dual_add_nc_u32 v7, -1, v150
	v_or_b32_e32 v9, 8, v14
	s_mov_b32 s3, 0
	s_delay_alu instid0(VALU_DEP_2)
	v_dual_mov_b32 v4, v2 :: v_dual_mov_b32 v3, v1
	.p2align	6
.LBB51_161:                             ; =>This Inner Loop Header: Depth=1
	scratch_load_b128 v[15:18], v9, off offset:-8
	ds_load_b128 v[19:22], v8
	v_add_nc_u32_e32 v7, 1, v7
	v_add_nc_u32_e32 v8, 16, v8
	v_add_nc_u32_e32 v9, 16, v9
	s_delay_alu instid0(VALU_DEP_3) | instskip(SKIP_4) | instid1(VALU_DEP_2)
	v_cmp_lt_u32_e32 vcc_lo, 35, v7
	s_or_b32 s3, vcc_lo, s3
	s_waitcnt vmcnt(0) lgkmcnt(0)
	v_mul_f64 v[10:11], v[21:22], v[17:18]
	v_mul_f64 v[17:18], v[19:20], v[17:18]
	v_fma_f64 v[10:11], v[19:20], v[15:16], -v[10:11]
	s_delay_alu instid0(VALU_DEP_2) | instskip(NEXT) | instid1(VALU_DEP_2)
	v_fma_f64 v[15:16], v[21:22], v[15:16], v[17:18]
	v_add_f64 v[3:4], v[3:4], v[10:11]
	s_delay_alu instid0(VALU_DEP_2)
	v_add_f64 v[1:2], v[1:2], v[15:16]
	s_and_not1_b32 exec_lo, exec_lo, s3
	s_cbranch_execnz .LBB51_161
; %bb.162:
	s_or_b32 exec_lo, exec_lo, s3
	v_mov_b32_e32 v7, 0
	ds_load_b128 v[7:10], v7 offset:592
	s_waitcnt lgkmcnt(0)
	v_mul_f64 v[11:12], v[1:2], v[9:10]
	v_mul_f64 v[15:16], v[3:4], v[9:10]
	s_delay_alu instid0(VALU_DEP_2) | instskip(NEXT) | instid1(VALU_DEP_2)
	v_fma_f64 v[9:10], v[3:4], v[7:8], -v[11:12]
	v_fma_f64 v[11:12], v[1:2], v[7:8], v[15:16]
	scratch_store_b128 off, v[9:12], off offset:592
.LBB51_163:
	s_or_b32 exec_lo, exec_lo, s2
	s_waitcnt_vscnt null, 0x0
	s_barrier
	buffer_gl0_inv
	scratch_load_b128 v[1:4], v209, off
	s_mov_b32 s2, exec_lo
	s_waitcnt vmcnt(0)
	ds_store_b128 v5, v[1:4]
	s_waitcnt lgkmcnt(0)
	s_barrier
	buffer_gl0_inv
	v_cmpx_gt_u32_e32 38, v150
	s_cbranch_execz .LBB51_167
; %bb.164:
	v_dual_mov_b32 v1, 0 :: v_dual_add_nc_u32 v8, 0x340, v13
	v_dual_mov_b32 v2, 0 :: v_dual_add_nc_u32 v7, -1, v150
	v_or_b32_e32 v9, 8, v14
	s_mov_b32 s3, 0
	s_delay_alu instid0(VALU_DEP_2)
	v_dual_mov_b32 v4, v2 :: v_dual_mov_b32 v3, v1
	.p2align	6
.LBB51_165:                             ; =>This Inner Loop Header: Depth=1
	scratch_load_b128 v[15:18], v9, off offset:-8
	ds_load_b128 v[19:22], v8
	v_add_nc_u32_e32 v7, 1, v7
	v_add_nc_u32_e32 v8, 16, v8
	v_add_nc_u32_e32 v9, 16, v9
	s_delay_alu instid0(VALU_DEP_3) | instskip(SKIP_4) | instid1(VALU_DEP_2)
	v_cmp_lt_u32_e32 vcc_lo, 36, v7
	s_or_b32 s3, vcc_lo, s3
	s_waitcnt vmcnt(0) lgkmcnt(0)
	v_mul_f64 v[10:11], v[21:22], v[17:18]
	v_mul_f64 v[17:18], v[19:20], v[17:18]
	v_fma_f64 v[10:11], v[19:20], v[15:16], -v[10:11]
	s_delay_alu instid0(VALU_DEP_2) | instskip(NEXT) | instid1(VALU_DEP_2)
	v_fma_f64 v[15:16], v[21:22], v[15:16], v[17:18]
	v_add_f64 v[3:4], v[3:4], v[10:11]
	s_delay_alu instid0(VALU_DEP_2)
	v_add_f64 v[1:2], v[1:2], v[15:16]
	s_and_not1_b32 exec_lo, exec_lo, s3
	s_cbranch_execnz .LBB51_165
; %bb.166:
	s_or_b32 exec_lo, exec_lo, s3
	v_mov_b32_e32 v7, 0
	ds_load_b128 v[7:10], v7 offset:608
	s_waitcnt lgkmcnt(0)
	v_mul_f64 v[11:12], v[1:2], v[9:10]
	v_mul_f64 v[15:16], v[3:4], v[9:10]
	s_delay_alu instid0(VALU_DEP_2) | instskip(NEXT) | instid1(VALU_DEP_2)
	v_fma_f64 v[9:10], v[3:4], v[7:8], -v[11:12]
	v_fma_f64 v[11:12], v[1:2], v[7:8], v[15:16]
	scratch_store_b128 off, v[9:12], off offset:608
.LBB51_167:
	s_or_b32 exec_lo, exec_lo, s2
	s_waitcnt_vscnt null, 0x0
	s_barrier
	buffer_gl0_inv
	scratch_load_b128 v[1:4], v208, off
	s_mov_b32 s2, exec_lo
	s_waitcnt vmcnt(0)
	ds_store_b128 v5, v[1:4]
	s_waitcnt lgkmcnt(0)
	s_barrier
	buffer_gl0_inv
	v_cmpx_gt_u32_e32 39, v150
	s_cbranch_execz .LBB51_171
; %bb.168:
	v_dual_mov_b32 v1, 0 :: v_dual_add_nc_u32 v8, 0x340, v13
	v_dual_mov_b32 v2, 0 :: v_dual_add_nc_u32 v7, -1, v150
	v_or_b32_e32 v9, 8, v14
	s_mov_b32 s3, 0
	s_delay_alu instid0(VALU_DEP_2)
	v_dual_mov_b32 v4, v2 :: v_dual_mov_b32 v3, v1
	.p2align	6
.LBB51_169:                             ; =>This Inner Loop Header: Depth=1
	scratch_load_b128 v[15:18], v9, off offset:-8
	ds_load_b128 v[19:22], v8
	v_add_nc_u32_e32 v7, 1, v7
	v_add_nc_u32_e32 v8, 16, v8
	;; [unrolled: 1-line block ×3, first 2 shown]
	s_delay_alu instid0(VALU_DEP_3) | instskip(SKIP_4) | instid1(VALU_DEP_2)
	v_cmp_lt_u32_e32 vcc_lo, 37, v7
	s_or_b32 s3, vcc_lo, s3
	s_waitcnt vmcnt(0) lgkmcnt(0)
	v_mul_f64 v[10:11], v[21:22], v[17:18]
	v_mul_f64 v[17:18], v[19:20], v[17:18]
	v_fma_f64 v[10:11], v[19:20], v[15:16], -v[10:11]
	s_delay_alu instid0(VALU_DEP_2) | instskip(NEXT) | instid1(VALU_DEP_2)
	v_fma_f64 v[15:16], v[21:22], v[15:16], v[17:18]
	v_add_f64 v[3:4], v[3:4], v[10:11]
	s_delay_alu instid0(VALU_DEP_2)
	v_add_f64 v[1:2], v[1:2], v[15:16]
	s_and_not1_b32 exec_lo, exec_lo, s3
	s_cbranch_execnz .LBB51_169
; %bb.170:
	s_or_b32 exec_lo, exec_lo, s3
	v_mov_b32_e32 v7, 0
	ds_load_b128 v[7:10], v7 offset:624
	s_waitcnt lgkmcnt(0)
	v_mul_f64 v[11:12], v[1:2], v[9:10]
	v_mul_f64 v[15:16], v[3:4], v[9:10]
	s_delay_alu instid0(VALU_DEP_2) | instskip(NEXT) | instid1(VALU_DEP_2)
	v_fma_f64 v[9:10], v[3:4], v[7:8], -v[11:12]
	v_fma_f64 v[11:12], v[1:2], v[7:8], v[15:16]
	scratch_store_b128 off, v[9:12], off offset:624
.LBB51_171:
	s_or_b32 exec_lo, exec_lo, s2
	s_waitcnt_vscnt null, 0x0
	s_barrier
	buffer_gl0_inv
	scratch_load_b128 v[1:4], v207, off
	s_mov_b32 s2, exec_lo
	s_waitcnt vmcnt(0)
	ds_store_b128 v5, v[1:4]
	s_waitcnt lgkmcnt(0)
	s_barrier
	buffer_gl0_inv
	v_cmpx_gt_u32_e32 40, v150
	s_cbranch_execz .LBB51_175
; %bb.172:
	v_dual_mov_b32 v1, 0 :: v_dual_add_nc_u32 v8, 0x340, v13
	v_dual_mov_b32 v2, 0 :: v_dual_add_nc_u32 v7, -1, v150
	v_or_b32_e32 v9, 8, v14
	s_mov_b32 s3, 0
	s_delay_alu instid0(VALU_DEP_2)
	v_dual_mov_b32 v4, v2 :: v_dual_mov_b32 v3, v1
	.p2align	6
.LBB51_173:                             ; =>This Inner Loop Header: Depth=1
	scratch_load_b128 v[15:18], v9, off offset:-8
	ds_load_b128 v[19:22], v8
	v_add_nc_u32_e32 v7, 1, v7
	v_add_nc_u32_e32 v8, 16, v8
	;; [unrolled: 1-line block ×3, first 2 shown]
	s_delay_alu instid0(VALU_DEP_3) | instskip(SKIP_4) | instid1(VALU_DEP_2)
	v_cmp_lt_u32_e32 vcc_lo, 38, v7
	s_or_b32 s3, vcc_lo, s3
	s_waitcnt vmcnt(0) lgkmcnt(0)
	v_mul_f64 v[10:11], v[21:22], v[17:18]
	v_mul_f64 v[17:18], v[19:20], v[17:18]
	v_fma_f64 v[10:11], v[19:20], v[15:16], -v[10:11]
	s_delay_alu instid0(VALU_DEP_2) | instskip(NEXT) | instid1(VALU_DEP_2)
	v_fma_f64 v[15:16], v[21:22], v[15:16], v[17:18]
	v_add_f64 v[3:4], v[3:4], v[10:11]
	s_delay_alu instid0(VALU_DEP_2)
	v_add_f64 v[1:2], v[1:2], v[15:16]
	s_and_not1_b32 exec_lo, exec_lo, s3
	s_cbranch_execnz .LBB51_173
; %bb.174:
	s_or_b32 exec_lo, exec_lo, s3
	v_mov_b32_e32 v7, 0
	ds_load_b128 v[7:10], v7 offset:640
	s_waitcnt lgkmcnt(0)
	v_mul_f64 v[11:12], v[1:2], v[9:10]
	v_mul_f64 v[15:16], v[3:4], v[9:10]
	s_delay_alu instid0(VALU_DEP_2) | instskip(NEXT) | instid1(VALU_DEP_2)
	v_fma_f64 v[9:10], v[3:4], v[7:8], -v[11:12]
	v_fma_f64 v[11:12], v[1:2], v[7:8], v[15:16]
	scratch_store_b128 off, v[9:12], off offset:640
.LBB51_175:
	s_or_b32 exec_lo, exec_lo, s2
	s_waitcnt_vscnt null, 0x0
	s_barrier
	buffer_gl0_inv
	scratch_load_b128 v[1:4], v206, off
	s_mov_b32 s2, exec_lo
	s_waitcnt vmcnt(0)
	ds_store_b128 v5, v[1:4]
	s_waitcnt lgkmcnt(0)
	s_barrier
	buffer_gl0_inv
	v_cmpx_gt_u32_e32 41, v150
	s_cbranch_execz .LBB51_179
; %bb.176:
	v_dual_mov_b32 v1, 0 :: v_dual_add_nc_u32 v8, 0x340, v13
	v_dual_mov_b32 v2, 0 :: v_dual_add_nc_u32 v7, -1, v150
	v_or_b32_e32 v9, 8, v14
	s_mov_b32 s3, 0
	s_delay_alu instid0(VALU_DEP_2)
	v_dual_mov_b32 v4, v2 :: v_dual_mov_b32 v3, v1
	.p2align	6
.LBB51_177:                             ; =>This Inner Loop Header: Depth=1
	scratch_load_b128 v[15:18], v9, off offset:-8
	ds_load_b128 v[19:22], v8
	v_add_nc_u32_e32 v7, 1, v7
	v_add_nc_u32_e32 v8, 16, v8
	;; [unrolled: 1-line block ×3, first 2 shown]
	s_delay_alu instid0(VALU_DEP_3) | instskip(SKIP_4) | instid1(VALU_DEP_2)
	v_cmp_lt_u32_e32 vcc_lo, 39, v7
	s_or_b32 s3, vcc_lo, s3
	s_waitcnt vmcnt(0) lgkmcnt(0)
	v_mul_f64 v[10:11], v[21:22], v[17:18]
	v_mul_f64 v[17:18], v[19:20], v[17:18]
	v_fma_f64 v[10:11], v[19:20], v[15:16], -v[10:11]
	s_delay_alu instid0(VALU_DEP_2) | instskip(NEXT) | instid1(VALU_DEP_2)
	v_fma_f64 v[15:16], v[21:22], v[15:16], v[17:18]
	v_add_f64 v[3:4], v[3:4], v[10:11]
	s_delay_alu instid0(VALU_DEP_2)
	v_add_f64 v[1:2], v[1:2], v[15:16]
	s_and_not1_b32 exec_lo, exec_lo, s3
	s_cbranch_execnz .LBB51_177
; %bb.178:
	s_or_b32 exec_lo, exec_lo, s3
	v_mov_b32_e32 v7, 0
	ds_load_b128 v[7:10], v7 offset:656
	s_waitcnt lgkmcnt(0)
	v_mul_f64 v[11:12], v[1:2], v[9:10]
	v_mul_f64 v[15:16], v[3:4], v[9:10]
	s_delay_alu instid0(VALU_DEP_2) | instskip(NEXT) | instid1(VALU_DEP_2)
	v_fma_f64 v[9:10], v[3:4], v[7:8], -v[11:12]
	v_fma_f64 v[11:12], v[1:2], v[7:8], v[15:16]
	scratch_store_b128 off, v[9:12], off offset:656
.LBB51_179:
	s_or_b32 exec_lo, exec_lo, s2
	s_waitcnt_vscnt null, 0x0
	s_barrier
	buffer_gl0_inv
	scratch_load_b128 v[1:4], v205, off
	s_mov_b32 s2, exec_lo
	s_waitcnt vmcnt(0)
	ds_store_b128 v5, v[1:4]
	s_waitcnt lgkmcnt(0)
	s_barrier
	buffer_gl0_inv
	v_cmpx_gt_u32_e32 42, v150
	s_cbranch_execz .LBB51_183
; %bb.180:
	v_dual_mov_b32 v1, 0 :: v_dual_add_nc_u32 v8, 0x340, v13
	v_dual_mov_b32 v2, 0 :: v_dual_add_nc_u32 v7, -1, v150
	v_or_b32_e32 v9, 8, v14
	s_mov_b32 s3, 0
	s_delay_alu instid0(VALU_DEP_2)
	v_dual_mov_b32 v4, v2 :: v_dual_mov_b32 v3, v1
	.p2align	6
.LBB51_181:                             ; =>This Inner Loop Header: Depth=1
	scratch_load_b128 v[15:18], v9, off offset:-8
	ds_load_b128 v[19:22], v8
	v_add_nc_u32_e32 v7, 1, v7
	v_add_nc_u32_e32 v8, 16, v8
	;; [unrolled: 1-line block ×3, first 2 shown]
	s_delay_alu instid0(VALU_DEP_3) | instskip(SKIP_4) | instid1(VALU_DEP_2)
	v_cmp_lt_u32_e32 vcc_lo, 40, v7
	s_or_b32 s3, vcc_lo, s3
	s_waitcnt vmcnt(0) lgkmcnt(0)
	v_mul_f64 v[10:11], v[21:22], v[17:18]
	v_mul_f64 v[17:18], v[19:20], v[17:18]
	v_fma_f64 v[10:11], v[19:20], v[15:16], -v[10:11]
	s_delay_alu instid0(VALU_DEP_2) | instskip(NEXT) | instid1(VALU_DEP_2)
	v_fma_f64 v[15:16], v[21:22], v[15:16], v[17:18]
	v_add_f64 v[3:4], v[3:4], v[10:11]
	s_delay_alu instid0(VALU_DEP_2)
	v_add_f64 v[1:2], v[1:2], v[15:16]
	s_and_not1_b32 exec_lo, exec_lo, s3
	s_cbranch_execnz .LBB51_181
; %bb.182:
	s_or_b32 exec_lo, exec_lo, s3
	v_mov_b32_e32 v7, 0
	ds_load_b128 v[7:10], v7 offset:672
	s_waitcnt lgkmcnt(0)
	v_mul_f64 v[11:12], v[1:2], v[9:10]
	v_mul_f64 v[15:16], v[3:4], v[9:10]
	s_delay_alu instid0(VALU_DEP_2) | instskip(NEXT) | instid1(VALU_DEP_2)
	v_fma_f64 v[9:10], v[3:4], v[7:8], -v[11:12]
	v_fma_f64 v[11:12], v[1:2], v[7:8], v[15:16]
	scratch_store_b128 off, v[9:12], off offset:672
.LBB51_183:
	s_or_b32 exec_lo, exec_lo, s2
	s_waitcnt_vscnt null, 0x0
	s_barrier
	buffer_gl0_inv
	scratch_load_b128 v[1:4], v204, off
	s_mov_b32 s2, exec_lo
	s_waitcnt vmcnt(0)
	ds_store_b128 v5, v[1:4]
	s_waitcnt lgkmcnt(0)
	s_barrier
	buffer_gl0_inv
	v_cmpx_gt_u32_e32 43, v150
	s_cbranch_execz .LBB51_187
; %bb.184:
	v_dual_mov_b32 v1, 0 :: v_dual_add_nc_u32 v8, 0x340, v13
	v_dual_mov_b32 v2, 0 :: v_dual_add_nc_u32 v7, -1, v150
	v_or_b32_e32 v9, 8, v14
	s_mov_b32 s3, 0
	s_delay_alu instid0(VALU_DEP_2)
	v_dual_mov_b32 v4, v2 :: v_dual_mov_b32 v3, v1
	.p2align	6
.LBB51_185:                             ; =>This Inner Loop Header: Depth=1
	scratch_load_b128 v[15:18], v9, off offset:-8
	ds_load_b128 v[19:22], v8
	v_add_nc_u32_e32 v7, 1, v7
	v_add_nc_u32_e32 v8, 16, v8
	v_add_nc_u32_e32 v9, 16, v9
	s_delay_alu instid0(VALU_DEP_3) | instskip(SKIP_4) | instid1(VALU_DEP_2)
	v_cmp_lt_u32_e32 vcc_lo, 41, v7
	s_or_b32 s3, vcc_lo, s3
	s_waitcnt vmcnt(0) lgkmcnt(0)
	v_mul_f64 v[10:11], v[21:22], v[17:18]
	v_mul_f64 v[17:18], v[19:20], v[17:18]
	v_fma_f64 v[10:11], v[19:20], v[15:16], -v[10:11]
	s_delay_alu instid0(VALU_DEP_2) | instskip(NEXT) | instid1(VALU_DEP_2)
	v_fma_f64 v[15:16], v[21:22], v[15:16], v[17:18]
	v_add_f64 v[3:4], v[3:4], v[10:11]
	s_delay_alu instid0(VALU_DEP_2)
	v_add_f64 v[1:2], v[1:2], v[15:16]
	s_and_not1_b32 exec_lo, exec_lo, s3
	s_cbranch_execnz .LBB51_185
; %bb.186:
	s_or_b32 exec_lo, exec_lo, s3
	v_mov_b32_e32 v7, 0
	ds_load_b128 v[7:10], v7 offset:688
	s_waitcnt lgkmcnt(0)
	v_mul_f64 v[11:12], v[1:2], v[9:10]
	v_mul_f64 v[15:16], v[3:4], v[9:10]
	s_delay_alu instid0(VALU_DEP_2) | instskip(NEXT) | instid1(VALU_DEP_2)
	v_fma_f64 v[9:10], v[3:4], v[7:8], -v[11:12]
	v_fma_f64 v[11:12], v[1:2], v[7:8], v[15:16]
	scratch_store_b128 off, v[9:12], off offset:688
.LBB51_187:
	s_or_b32 exec_lo, exec_lo, s2
	s_waitcnt_vscnt null, 0x0
	s_barrier
	buffer_gl0_inv
	scratch_load_b128 v[1:4], v203, off
	s_mov_b32 s2, exec_lo
	s_waitcnt vmcnt(0)
	ds_store_b128 v5, v[1:4]
	s_waitcnt lgkmcnt(0)
	s_barrier
	buffer_gl0_inv
	v_cmpx_gt_u32_e32 44, v150
	s_cbranch_execz .LBB51_191
; %bb.188:
	v_dual_mov_b32 v1, 0 :: v_dual_add_nc_u32 v8, 0x340, v13
	v_dual_mov_b32 v2, 0 :: v_dual_add_nc_u32 v7, -1, v150
	v_or_b32_e32 v9, 8, v14
	s_mov_b32 s3, 0
	s_delay_alu instid0(VALU_DEP_2)
	v_dual_mov_b32 v4, v2 :: v_dual_mov_b32 v3, v1
	.p2align	6
.LBB51_189:                             ; =>This Inner Loop Header: Depth=1
	scratch_load_b128 v[15:18], v9, off offset:-8
	ds_load_b128 v[19:22], v8
	v_add_nc_u32_e32 v7, 1, v7
	v_add_nc_u32_e32 v8, 16, v8
	v_add_nc_u32_e32 v9, 16, v9
	s_delay_alu instid0(VALU_DEP_3) | instskip(SKIP_4) | instid1(VALU_DEP_2)
	v_cmp_lt_u32_e32 vcc_lo, 42, v7
	s_or_b32 s3, vcc_lo, s3
	s_waitcnt vmcnt(0) lgkmcnt(0)
	v_mul_f64 v[10:11], v[21:22], v[17:18]
	v_mul_f64 v[17:18], v[19:20], v[17:18]
	v_fma_f64 v[10:11], v[19:20], v[15:16], -v[10:11]
	s_delay_alu instid0(VALU_DEP_2) | instskip(NEXT) | instid1(VALU_DEP_2)
	v_fma_f64 v[15:16], v[21:22], v[15:16], v[17:18]
	v_add_f64 v[3:4], v[3:4], v[10:11]
	s_delay_alu instid0(VALU_DEP_2)
	v_add_f64 v[1:2], v[1:2], v[15:16]
	s_and_not1_b32 exec_lo, exec_lo, s3
	s_cbranch_execnz .LBB51_189
; %bb.190:
	s_or_b32 exec_lo, exec_lo, s3
	v_mov_b32_e32 v7, 0
	ds_load_b128 v[7:10], v7 offset:704
	s_waitcnt lgkmcnt(0)
	v_mul_f64 v[11:12], v[1:2], v[9:10]
	v_mul_f64 v[15:16], v[3:4], v[9:10]
	s_delay_alu instid0(VALU_DEP_2) | instskip(NEXT) | instid1(VALU_DEP_2)
	v_fma_f64 v[9:10], v[3:4], v[7:8], -v[11:12]
	v_fma_f64 v[11:12], v[1:2], v[7:8], v[15:16]
	scratch_store_b128 off, v[9:12], off offset:704
.LBB51_191:
	s_or_b32 exec_lo, exec_lo, s2
	s_waitcnt_vscnt null, 0x0
	s_barrier
	buffer_gl0_inv
	scratch_load_b128 v[1:4], v172, off
	s_mov_b32 s2, exec_lo
	s_waitcnt vmcnt(0)
	ds_store_b128 v5, v[1:4]
	s_waitcnt lgkmcnt(0)
	s_barrier
	buffer_gl0_inv
	v_cmpx_gt_u32_e32 45, v150
	s_cbranch_execz .LBB51_195
; %bb.192:
	v_dual_mov_b32 v1, 0 :: v_dual_add_nc_u32 v8, 0x340, v13
	v_dual_mov_b32 v2, 0 :: v_dual_add_nc_u32 v7, -1, v150
	v_or_b32_e32 v9, 8, v14
	s_mov_b32 s3, 0
	s_delay_alu instid0(VALU_DEP_2)
	v_dual_mov_b32 v4, v2 :: v_dual_mov_b32 v3, v1
	.p2align	6
.LBB51_193:                             ; =>This Inner Loop Header: Depth=1
	scratch_load_b128 v[15:18], v9, off offset:-8
	ds_load_b128 v[19:22], v8
	v_add_nc_u32_e32 v7, 1, v7
	v_add_nc_u32_e32 v8, 16, v8
	;; [unrolled: 1-line block ×3, first 2 shown]
	s_delay_alu instid0(VALU_DEP_3) | instskip(SKIP_4) | instid1(VALU_DEP_2)
	v_cmp_lt_u32_e32 vcc_lo, 43, v7
	s_or_b32 s3, vcc_lo, s3
	s_waitcnt vmcnt(0) lgkmcnt(0)
	v_mul_f64 v[10:11], v[21:22], v[17:18]
	v_mul_f64 v[17:18], v[19:20], v[17:18]
	v_fma_f64 v[10:11], v[19:20], v[15:16], -v[10:11]
	s_delay_alu instid0(VALU_DEP_2) | instskip(NEXT) | instid1(VALU_DEP_2)
	v_fma_f64 v[15:16], v[21:22], v[15:16], v[17:18]
	v_add_f64 v[3:4], v[3:4], v[10:11]
	s_delay_alu instid0(VALU_DEP_2)
	v_add_f64 v[1:2], v[1:2], v[15:16]
	s_and_not1_b32 exec_lo, exec_lo, s3
	s_cbranch_execnz .LBB51_193
; %bb.194:
	s_or_b32 exec_lo, exec_lo, s3
	v_mov_b32_e32 v7, 0
	ds_load_b128 v[7:10], v7 offset:720
	s_waitcnt lgkmcnt(0)
	v_mul_f64 v[11:12], v[1:2], v[9:10]
	v_mul_f64 v[15:16], v[3:4], v[9:10]
	s_delay_alu instid0(VALU_DEP_2) | instskip(NEXT) | instid1(VALU_DEP_2)
	v_fma_f64 v[9:10], v[3:4], v[7:8], -v[11:12]
	v_fma_f64 v[11:12], v[1:2], v[7:8], v[15:16]
	scratch_store_b128 off, v[9:12], off offset:720
.LBB51_195:
	s_or_b32 exec_lo, exec_lo, s2
	s_waitcnt_vscnt null, 0x0
	s_barrier
	buffer_gl0_inv
	scratch_load_b128 v[1:4], v169, off
	s_mov_b32 s2, exec_lo
	s_waitcnt vmcnt(0)
	ds_store_b128 v5, v[1:4]
	s_waitcnt lgkmcnt(0)
	s_barrier
	buffer_gl0_inv
	v_cmpx_gt_u32_e32 46, v150
	s_cbranch_execz .LBB51_199
; %bb.196:
	v_dual_mov_b32 v1, 0 :: v_dual_add_nc_u32 v8, 0x340, v13
	v_dual_mov_b32 v2, 0 :: v_dual_add_nc_u32 v7, -1, v150
	v_or_b32_e32 v9, 8, v14
	s_mov_b32 s3, 0
	s_delay_alu instid0(VALU_DEP_2)
	v_dual_mov_b32 v4, v2 :: v_dual_mov_b32 v3, v1
	.p2align	6
.LBB51_197:                             ; =>This Inner Loop Header: Depth=1
	scratch_load_b128 v[15:18], v9, off offset:-8
	ds_load_b128 v[19:22], v8
	v_add_nc_u32_e32 v7, 1, v7
	v_add_nc_u32_e32 v8, 16, v8
	;; [unrolled: 1-line block ×3, first 2 shown]
	s_delay_alu instid0(VALU_DEP_3) | instskip(SKIP_4) | instid1(VALU_DEP_2)
	v_cmp_lt_u32_e32 vcc_lo, 44, v7
	s_or_b32 s3, vcc_lo, s3
	s_waitcnt vmcnt(0) lgkmcnt(0)
	v_mul_f64 v[10:11], v[21:22], v[17:18]
	v_mul_f64 v[17:18], v[19:20], v[17:18]
	v_fma_f64 v[10:11], v[19:20], v[15:16], -v[10:11]
	s_delay_alu instid0(VALU_DEP_2) | instskip(NEXT) | instid1(VALU_DEP_2)
	v_fma_f64 v[15:16], v[21:22], v[15:16], v[17:18]
	v_add_f64 v[3:4], v[3:4], v[10:11]
	s_delay_alu instid0(VALU_DEP_2)
	v_add_f64 v[1:2], v[1:2], v[15:16]
	s_and_not1_b32 exec_lo, exec_lo, s3
	s_cbranch_execnz .LBB51_197
; %bb.198:
	s_or_b32 exec_lo, exec_lo, s3
	v_mov_b32_e32 v7, 0
	ds_load_b128 v[7:10], v7 offset:736
	s_waitcnt lgkmcnt(0)
	v_mul_f64 v[11:12], v[1:2], v[9:10]
	v_mul_f64 v[15:16], v[3:4], v[9:10]
	s_delay_alu instid0(VALU_DEP_2) | instskip(NEXT) | instid1(VALU_DEP_2)
	v_fma_f64 v[9:10], v[3:4], v[7:8], -v[11:12]
	v_fma_f64 v[11:12], v[1:2], v[7:8], v[15:16]
	scratch_store_b128 off, v[9:12], off offset:736
.LBB51_199:
	s_or_b32 exec_lo, exec_lo, s2
	s_waitcnt_vscnt null, 0x0
	s_barrier
	buffer_gl0_inv
	scratch_load_b128 v[1:4], v167, off
	s_mov_b32 s2, exec_lo
	s_waitcnt vmcnt(0)
	ds_store_b128 v5, v[1:4]
	s_waitcnt lgkmcnt(0)
	s_barrier
	buffer_gl0_inv
	v_cmpx_gt_u32_e32 47, v150
	s_cbranch_execz .LBB51_203
; %bb.200:
	v_dual_mov_b32 v1, 0 :: v_dual_add_nc_u32 v8, 0x340, v13
	v_dual_mov_b32 v2, 0 :: v_dual_add_nc_u32 v7, -1, v150
	v_or_b32_e32 v9, 8, v14
	s_mov_b32 s3, 0
	s_delay_alu instid0(VALU_DEP_2)
	v_dual_mov_b32 v4, v2 :: v_dual_mov_b32 v3, v1
	.p2align	6
.LBB51_201:                             ; =>This Inner Loop Header: Depth=1
	scratch_load_b128 v[15:18], v9, off offset:-8
	ds_load_b128 v[19:22], v8
	v_add_nc_u32_e32 v7, 1, v7
	v_add_nc_u32_e32 v8, 16, v8
	;; [unrolled: 1-line block ×3, first 2 shown]
	s_delay_alu instid0(VALU_DEP_3) | instskip(SKIP_4) | instid1(VALU_DEP_2)
	v_cmp_lt_u32_e32 vcc_lo, 45, v7
	s_or_b32 s3, vcc_lo, s3
	s_waitcnt vmcnt(0) lgkmcnt(0)
	v_mul_f64 v[10:11], v[21:22], v[17:18]
	v_mul_f64 v[17:18], v[19:20], v[17:18]
	v_fma_f64 v[10:11], v[19:20], v[15:16], -v[10:11]
	s_delay_alu instid0(VALU_DEP_2) | instskip(NEXT) | instid1(VALU_DEP_2)
	v_fma_f64 v[15:16], v[21:22], v[15:16], v[17:18]
	v_add_f64 v[3:4], v[3:4], v[10:11]
	s_delay_alu instid0(VALU_DEP_2)
	v_add_f64 v[1:2], v[1:2], v[15:16]
	s_and_not1_b32 exec_lo, exec_lo, s3
	s_cbranch_execnz .LBB51_201
; %bb.202:
	s_or_b32 exec_lo, exec_lo, s3
	v_mov_b32_e32 v7, 0
	ds_load_b128 v[7:10], v7 offset:752
	s_waitcnt lgkmcnt(0)
	v_mul_f64 v[11:12], v[1:2], v[9:10]
	v_mul_f64 v[15:16], v[3:4], v[9:10]
	s_delay_alu instid0(VALU_DEP_2) | instskip(NEXT) | instid1(VALU_DEP_2)
	v_fma_f64 v[9:10], v[3:4], v[7:8], -v[11:12]
	v_fma_f64 v[11:12], v[1:2], v[7:8], v[15:16]
	scratch_store_b128 off, v[9:12], off offset:752
.LBB51_203:
	s_or_b32 exec_lo, exec_lo, s2
	s_waitcnt_vscnt null, 0x0
	s_barrier
	buffer_gl0_inv
	scratch_load_b128 v[1:4], v151, off
	s_mov_b32 s2, exec_lo
	s_waitcnt vmcnt(0)
	ds_store_b128 v5, v[1:4]
	s_waitcnt lgkmcnt(0)
	s_barrier
	buffer_gl0_inv
	v_cmpx_gt_u32_e32 48, v150
	s_cbranch_execz .LBB51_207
; %bb.204:
	v_dual_mov_b32 v1, 0 :: v_dual_add_nc_u32 v8, 0x340, v13
	v_dual_mov_b32 v2, 0 :: v_dual_add_nc_u32 v7, -1, v150
	v_or_b32_e32 v9, 8, v14
	s_mov_b32 s3, 0
	s_delay_alu instid0(VALU_DEP_2)
	v_dual_mov_b32 v4, v2 :: v_dual_mov_b32 v3, v1
	.p2align	6
.LBB51_205:                             ; =>This Inner Loop Header: Depth=1
	scratch_load_b128 v[15:18], v9, off offset:-8
	ds_load_b128 v[19:22], v8
	v_add_nc_u32_e32 v7, 1, v7
	v_add_nc_u32_e32 v8, 16, v8
	;; [unrolled: 1-line block ×3, first 2 shown]
	s_delay_alu instid0(VALU_DEP_3) | instskip(SKIP_4) | instid1(VALU_DEP_2)
	v_cmp_lt_u32_e32 vcc_lo, 46, v7
	s_or_b32 s3, vcc_lo, s3
	s_waitcnt vmcnt(0) lgkmcnt(0)
	v_mul_f64 v[10:11], v[21:22], v[17:18]
	v_mul_f64 v[17:18], v[19:20], v[17:18]
	v_fma_f64 v[10:11], v[19:20], v[15:16], -v[10:11]
	s_delay_alu instid0(VALU_DEP_2) | instskip(NEXT) | instid1(VALU_DEP_2)
	v_fma_f64 v[15:16], v[21:22], v[15:16], v[17:18]
	v_add_f64 v[3:4], v[3:4], v[10:11]
	s_delay_alu instid0(VALU_DEP_2)
	v_add_f64 v[1:2], v[1:2], v[15:16]
	s_and_not1_b32 exec_lo, exec_lo, s3
	s_cbranch_execnz .LBB51_205
; %bb.206:
	s_or_b32 exec_lo, exec_lo, s3
	v_mov_b32_e32 v7, 0
	ds_load_b128 v[7:10], v7 offset:768
	s_waitcnt lgkmcnt(0)
	v_mul_f64 v[11:12], v[1:2], v[9:10]
	v_mul_f64 v[15:16], v[3:4], v[9:10]
	s_delay_alu instid0(VALU_DEP_2) | instskip(NEXT) | instid1(VALU_DEP_2)
	v_fma_f64 v[9:10], v[3:4], v[7:8], -v[11:12]
	v_fma_f64 v[11:12], v[1:2], v[7:8], v[15:16]
	scratch_store_b128 off, v[9:12], off offset:768
.LBB51_207:
	s_or_b32 exec_lo, exec_lo, s2
	s_waitcnt_vscnt null, 0x0
	s_barrier
	buffer_gl0_inv
	scratch_load_b128 v[1:4], v162, off
	s_mov_b32 s2, exec_lo
	s_waitcnt vmcnt(0)
	ds_store_b128 v5, v[1:4]
	s_waitcnt lgkmcnt(0)
	s_barrier
	buffer_gl0_inv
	v_cmpx_gt_u32_e32 49, v150
	s_cbranch_execz .LBB51_211
; %bb.208:
	v_dual_mov_b32 v1, 0 :: v_dual_add_nc_u32 v8, 0x340, v13
	v_dual_mov_b32 v2, 0 :: v_dual_add_nc_u32 v7, -1, v150
	v_or_b32_e32 v9, 8, v14
	s_mov_b32 s3, 0
	s_delay_alu instid0(VALU_DEP_2)
	v_dual_mov_b32 v4, v2 :: v_dual_mov_b32 v3, v1
	.p2align	6
.LBB51_209:                             ; =>This Inner Loop Header: Depth=1
	scratch_load_b128 v[15:18], v9, off offset:-8
	ds_load_b128 v[19:22], v8
	v_add_nc_u32_e32 v7, 1, v7
	v_add_nc_u32_e32 v8, 16, v8
	;; [unrolled: 1-line block ×3, first 2 shown]
	s_delay_alu instid0(VALU_DEP_3) | instskip(SKIP_4) | instid1(VALU_DEP_2)
	v_cmp_lt_u32_e32 vcc_lo, 47, v7
	s_or_b32 s3, vcc_lo, s3
	s_waitcnt vmcnt(0) lgkmcnt(0)
	v_mul_f64 v[10:11], v[21:22], v[17:18]
	v_mul_f64 v[17:18], v[19:20], v[17:18]
	v_fma_f64 v[10:11], v[19:20], v[15:16], -v[10:11]
	s_delay_alu instid0(VALU_DEP_2) | instskip(NEXT) | instid1(VALU_DEP_2)
	v_fma_f64 v[15:16], v[21:22], v[15:16], v[17:18]
	v_add_f64 v[3:4], v[3:4], v[10:11]
	s_delay_alu instid0(VALU_DEP_2)
	v_add_f64 v[1:2], v[1:2], v[15:16]
	s_and_not1_b32 exec_lo, exec_lo, s3
	s_cbranch_execnz .LBB51_209
; %bb.210:
	s_or_b32 exec_lo, exec_lo, s3
	v_mov_b32_e32 v7, 0
	ds_load_b128 v[7:10], v7 offset:784
	s_waitcnt lgkmcnt(0)
	v_mul_f64 v[11:12], v[1:2], v[9:10]
	v_mul_f64 v[15:16], v[3:4], v[9:10]
	s_delay_alu instid0(VALU_DEP_2) | instskip(NEXT) | instid1(VALU_DEP_2)
	v_fma_f64 v[9:10], v[3:4], v[7:8], -v[11:12]
	v_fma_f64 v[11:12], v[1:2], v[7:8], v[15:16]
	scratch_store_b128 off, v[9:12], off offset:784
.LBB51_211:
	s_or_b32 exec_lo, exec_lo, s2
	s_waitcnt_vscnt null, 0x0
	s_barrier
	buffer_gl0_inv
	scratch_load_b128 v[1:4], v160, off
	s_mov_b32 s2, exec_lo
	s_waitcnt vmcnt(0)
	ds_store_b128 v5, v[1:4]
	s_waitcnt lgkmcnt(0)
	s_barrier
	buffer_gl0_inv
	v_cmpx_gt_u32_e32 50, v150
	s_cbranch_execz .LBB51_215
; %bb.212:
	v_dual_mov_b32 v1, 0 :: v_dual_add_nc_u32 v8, 0x340, v13
	v_dual_mov_b32 v2, 0 :: v_dual_add_nc_u32 v7, -1, v150
	v_or_b32_e32 v9, 8, v14
	s_mov_b32 s3, 0
	s_delay_alu instid0(VALU_DEP_2)
	v_dual_mov_b32 v4, v2 :: v_dual_mov_b32 v3, v1
	.p2align	6
.LBB51_213:                             ; =>This Inner Loop Header: Depth=1
	scratch_load_b128 v[10:13], v9, off offset:-8
	ds_load_b128 v[15:18], v8
	v_add_nc_u32_e32 v7, 1, v7
	v_add_nc_u32_e32 v8, 16, v8
	;; [unrolled: 1-line block ×3, first 2 shown]
	s_delay_alu instid0(VALU_DEP_3) | instskip(SKIP_4) | instid1(VALU_DEP_2)
	v_cmp_lt_u32_e32 vcc_lo, 48, v7
	s_or_b32 s3, vcc_lo, s3
	s_waitcnt vmcnt(0) lgkmcnt(0)
	v_mul_f64 v[19:20], v[17:18], v[12:13]
	v_mul_f64 v[12:13], v[15:16], v[12:13]
	v_fma_f64 v[15:16], v[15:16], v[10:11], -v[19:20]
	s_delay_alu instid0(VALU_DEP_2) | instskip(NEXT) | instid1(VALU_DEP_2)
	v_fma_f64 v[10:11], v[17:18], v[10:11], v[12:13]
	v_add_f64 v[3:4], v[3:4], v[15:16]
	s_delay_alu instid0(VALU_DEP_2)
	v_add_f64 v[1:2], v[1:2], v[10:11]
	s_and_not1_b32 exec_lo, exec_lo, s3
	s_cbranch_execnz .LBB51_213
; %bb.214:
	s_or_b32 exec_lo, exec_lo, s3
	v_mov_b32_e32 v7, 0
	ds_load_b128 v[7:10], v7 offset:800
	s_waitcnt lgkmcnt(0)
	v_mul_f64 v[11:12], v[1:2], v[9:10]
	v_mul_f64 v[15:16], v[3:4], v[9:10]
	s_delay_alu instid0(VALU_DEP_2) | instskip(NEXT) | instid1(VALU_DEP_2)
	v_fma_f64 v[9:10], v[3:4], v[7:8], -v[11:12]
	v_fma_f64 v[11:12], v[1:2], v[7:8], v[15:16]
	scratch_store_b128 off, v[9:12], off offset:800
.LBB51_215:
	s_or_b32 exec_lo, exec_lo, s2
	s_waitcnt_vscnt null, 0x0
	s_barrier
	buffer_gl0_inv
	scratch_load_b128 v[1:4], v158, off
	s_mov_b32 s2, exec_lo
	s_waitcnt vmcnt(0)
	ds_store_b128 v5, v[1:4]
	s_waitcnt lgkmcnt(0)
	s_barrier
	buffer_gl0_inv
	v_cmpx_ne_u32_e32 51, v150
	s_cbranch_execz .LBB51_219
; %bb.216:
	v_mov_b32_e32 v1, 0
	v_mov_b32_e32 v2, 0
	v_or_b32_e32 v7, 8, v14
	s_mov_b32 s3, 0
	s_delay_alu instid0(VALU_DEP_2)
	v_dual_mov_b32 v4, v2 :: v_dual_mov_b32 v3, v1
	.p2align	6
.LBB51_217:                             ; =>This Inner Loop Header: Depth=1
	scratch_load_b128 v[8:11], v7, off offset:-8
	ds_load_b128 v[12:15], v5
	v_add_nc_u32_e32 v6, 1, v6
	v_add_nc_u32_e32 v5, 16, v5
	;; [unrolled: 1-line block ×3, first 2 shown]
	s_delay_alu instid0(VALU_DEP_3) | instskip(SKIP_4) | instid1(VALU_DEP_2)
	v_cmp_lt_u32_e32 vcc_lo, 49, v6
	s_or_b32 s3, vcc_lo, s3
	s_waitcnt vmcnt(0) lgkmcnt(0)
	v_mul_f64 v[16:17], v[14:15], v[10:11]
	v_mul_f64 v[10:11], v[12:13], v[10:11]
	v_fma_f64 v[12:13], v[12:13], v[8:9], -v[16:17]
	s_delay_alu instid0(VALU_DEP_2) | instskip(NEXT) | instid1(VALU_DEP_2)
	v_fma_f64 v[8:9], v[14:15], v[8:9], v[10:11]
	v_add_f64 v[3:4], v[3:4], v[12:13]
	s_delay_alu instid0(VALU_DEP_2)
	v_add_f64 v[1:2], v[1:2], v[8:9]
	s_and_not1_b32 exec_lo, exec_lo, s3
	s_cbranch_execnz .LBB51_217
; %bb.218:
	s_or_b32 exec_lo, exec_lo, s3
	v_mov_b32_e32 v5, 0
	ds_load_b128 v[5:8], v5 offset:816
	s_waitcnt lgkmcnt(0)
	v_mul_f64 v[9:10], v[1:2], v[7:8]
	v_mul_f64 v[7:8], v[3:4], v[7:8]
	s_delay_alu instid0(VALU_DEP_2) | instskip(NEXT) | instid1(VALU_DEP_2)
	v_fma_f64 v[3:4], v[3:4], v[5:6], -v[9:10]
	v_fma_f64 v[5:6], v[1:2], v[5:6], v[7:8]
	scratch_store_b128 off, v[3:6], off offset:816
.LBB51_219:
	s_or_b32 exec_lo, exec_lo, s2
	s_mov_b32 s3, -1
	s_waitcnt_vscnt null, 0x0
	s_barrier
	buffer_gl0_inv
.LBB51_220:
	s_and_b32 vcc_lo, exec_lo, s3
	s_cbranch_vccz .LBB51_222
; %bb.221:
	s_lshl_b64 s[2:3], s[18:19], 2
	v_mov_b32_e32 v1, 0
	s_add_u32 s2, s6, s2
	s_addc_u32 s3, s7, s3
	global_load_b32 v1, v1, s[2:3]
	s_waitcnt vmcnt(0)
	v_cmp_ne_u32_e32 vcc_lo, 0, v1
	s_cbranch_vccz .LBB51_223
.LBB51_222:
	s_endpgm
.LBB51_223:
	v_lshl_add_u32 v202, v150, 4, 0x340
	s_mov_b32 s2, exec_lo
	v_cmpx_eq_u32_e32 51, v150
	s_cbranch_execz .LBB51_225
; %bb.224:
	scratch_load_b128 v[1:4], v160, off
	v_mov_b32_e32 v5, 0
	s_delay_alu instid0(VALU_DEP_1)
	v_mov_b32_e32 v6, v5
	v_mov_b32_e32 v7, v5
	;; [unrolled: 1-line block ×3, first 2 shown]
	scratch_store_b128 off, v[5:8], off offset:800
	s_waitcnt vmcnt(0)
	ds_store_b128 v202, v[1:4]
.LBB51_225:
	s_or_b32 exec_lo, exec_lo, s2
	s_waitcnt lgkmcnt(0)
	s_waitcnt_vscnt null, 0x0
	s_barrier
	buffer_gl0_inv
	s_clause 0x1
	scratch_load_b128 v[2:5], off, off offset:816
	scratch_load_b128 v[6:9], off, off offset:800
	v_mov_b32_e32 v1, 0
	s_mov_b32 s2, exec_lo
	ds_load_b128 v[10:13], v1 offset:1648
	s_waitcnt vmcnt(1) lgkmcnt(0)
	v_mul_f64 v[14:15], v[12:13], v[4:5]
	v_mul_f64 v[4:5], v[10:11], v[4:5]
	s_delay_alu instid0(VALU_DEP_2) | instskip(NEXT) | instid1(VALU_DEP_2)
	v_fma_f64 v[10:11], v[10:11], v[2:3], -v[14:15]
	v_fma_f64 v[2:3], v[12:13], v[2:3], v[4:5]
	s_delay_alu instid0(VALU_DEP_2) | instskip(NEXT) | instid1(VALU_DEP_2)
	v_add_f64 v[4:5], v[10:11], 0
	v_add_f64 v[10:11], v[2:3], 0
	s_waitcnt vmcnt(0)
	s_delay_alu instid0(VALU_DEP_2) | instskip(NEXT) | instid1(VALU_DEP_2)
	v_add_f64 v[2:3], v[6:7], -v[4:5]
	v_add_f64 v[4:5], v[8:9], -v[10:11]
	scratch_store_b128 off, v[2:5], off offset:800
	v_cmpx_lt_u32_e32 49, v150
	s_cbranch_execz .LBB51_227
; %bb.226:
	scratch_load_b128 v[5:8], v162, off
	v_mov_b32_e32 v2, v1
	v_mov_b32_e32 v3, v1
	;; [unrolled: 1-line block ×3, first 2 shown]
	scratch_store_b128 off, v[1:4], off offset:784
	s_waitcnt vmcnt(0)
	ds_store_b128 v202, v[5:8]
.LBB51_227:
	s_or_b32 exec_lo, exec_lo, s2
	s_waitcnt lgkmcnt(0)
	s_waitcnt_vscnt null, 0x0
	s_barrier
	buffer_gl0_inv
	s_clause 0x2
	scratch_load_b128 v[2:5], off, off offset:800
	scratch_load_b128 v[6:9], off, off offset:816
	scratch_load_b128 v[10:13], off, off offset:784
	ds_load_b128 v[14:17], v1 offset:1632
	ds_load_b128 v[18:21], v1 offset:1648
	s_mov_b32 s2, exec_lo
	s_waitcnt vmcnt(2) lgkmcnt(1)
	v_mul_f64 v[22:23], v[16:17], v[4:5]
	v_mul_f64 v[4:5], v[14:15], v[4:5]
	s_waitcnt vmcnt(1) lgkmcnt(0)
	v_mul_f64 v[24:25], v[18:19], v[8:9]
	v_mul_f64 v[8:9], v[20:21], v[8:9]
	s_delay_alu instid0(VALU_DEP_4) | instskip(NEXT) | instid1(VALU_DEP_4)
	v_fma_f64 v[14:15], v[14:15], v[2:3], -v[22:23]
	v_fma_f64 v[1:2], v[16:17], v[2:3], v[4:5]
	s_delay_alu instid0(VALU_DEP_4) | instskip(NEXT) | instid1(VALU_DEP_4)
	v_fma_f64 v[3:4], v[20:21], v[6:7], v[24:25]
	v_fma_f64 v[5:6], v[18:19], v[6:7], -v[8:9]
	s_delay_alu instid0(VALU_DEP_4) | instskip(NEXT) | instid1(VALU_DEP_4)
	v_add_f64 v[7:8], v[14:15], 0
	v_add_f64 v[1:2], v[1:2], 0
	s_delay_alu instid0(VALU_DEP_2) | instskip(NEXT) | instid1(VALU_DEP_2)
	v_add_f64 v[5:6], v[7:8], v[5:6]
	v_add_f64 v[3:4], v[1:2], v[3:4]
	s_waitcnt vmcnt(0)
	s_delay_alu instid0(VALU_DEP_2) | instskip(NEXT) | instid1(VALU_DEP_2)
	v_add_f64 v[1:2], v[10:11], -v[5:6]
	v_add_f64 v[3:4], v[12:13], -v[3:4]
	scratch_store_b128 off, v[1:4], off offset:784
	v_cmpx_lt_u32_e32 48, v150
	s_cbranch_execz .LBB51_229
; %bb.228:
	scratch_load_b128 v[1:4], v151, off
	v_mov_b32_e32 v5, 0
	s_delay_alu instid0(VALU_DEP_1)
	v_mov_b32_e32 v6, v5
	v_mov_b32_e32 v7, v5
	;; [unrolled: 1-line block ×3, first 2 shown]
	scratch_store_b128 off, v[5:8], off offset:768
	s_waitcnt vmcnt(0)
	ds_store_b128 v202, v[1:4]
.LBB51_229:
	s_or_b32 exec_lo, exec_lo, s2
	s_waitcnt lgkmcnt(0)
	s_waitcnt_vscnt null, 0x0
	s_barrier
	buffer_gl0_inv
	s_clause 0x3
	scratch_load_b128 v[2:5], off, off offset:784
	scratch_load_b128 v[6:9], off, off offset:800
	;; [unrolled: 1-line block ×4, first 2 shown]
	v_mov_b32_e32 v1, 0
	ds_load_b128 v[18:21], v1 offset:1616
	ds_load_b128 v[22:25], v1 offset:1632
	s_mov_b32 s2, exec_lo
	s_waitcnt vmcnt(3) lgkmcnt(1)
	v_mul_f64 v[26:27], v[20:21], v[4:5]
	v_mul_f64 v[4:5], v[18:19], v[4:5]
	s_waitcnt vmcnt(2) lgkmcnt(0)
	v_mul_f64 v[28:29], v[22:23], v[8:9]
	v_mul_f64 v[8:9], v[24:25], v[8:9]
	s_delay_alu instid0(VALU_DEP_4) | instskip(NEXT) | instid1(VALU_DEP_4)
	v_fma_f64 v[18:19], v[18:19], v[2:3], -v[26:27]
	v_fma_f64 v[20:21], v[20:21], v[2:3], v[4:5]
	ds_load_b128 v[2:5], v1 offset:1648
	v_fma_f64 v[24:25], v[24:25], v[6:7], v[28:29]
	v_fma_f64 v[6:7], v[22:23], v[6:7], -v[8:9]
	s_waitcnt vmcnt(1) lgkmcnt(0)
	v_mul_f64 v[26:27], v[2:3], v[12:13]
	v_mul_f64 v[12:13], v[4:5], v[12:13]
	v_add_f64 v[8:9], v[18:19], 0
	v_add_f64 v[18:19], v[20:21], 0
	s_delay_alu instid0(VALU_DEP_4) | instskip(NEXT) | instid1(VALU_DEP_4)
	v_fma_f64 v[4:5], v[4:5], v[10:11], v[26:27]
	v_fma_f64 v[2:3], v[2:3], v[10:11], -v[12:13]
	s_delay_alu instid0(VALU_DEP_4) | instskip(NEXT) | instid1(VALU_DEP_4)
	v_add_f64 v[6:7], v[8:9], v[6:7]
	v_add_f64 v[8:9], v[18:19], v[24:25]
	s_delay_alu instid0(VALU_DEP_2) | instskip(NEXT) | instid1(VALU_DEP_2)
	v_add_f64 v[2:3], v[6:7], v[2:3]
	v_add_f64 v[4:5], v[8:9], v[4:5]
	s_waitcnt vmcnt(0)
	s_delay_alu instid0(VALU_DEP_2) | instskip(NEXT) | instid1(VALU_DEP_2)
	v_add_f64 v[2:3], v[14:15], -v[2:3]
	v_add_f64 v[4:5], v[16:17], -v[4:5]
	scratch_store_b128 off, v[2:5], off offset:768
	v_cmpx_lt_u32_e32 47, v150
	s_cbranch_execz .LBB51_231
; %bb.230:
	scratch_load_b128 v[5:8], v167, off
	v_mov_b32_e32 v2, v1
	v_mov_b32_e32 v3, v1
	;; [unrolled: 1-line block ×3, first 2 shown]
	scratch_store_b128 off, v[1:4], off offset:752
	s_waitcnt vmcnt(0)
	ds_store_b128 v202, v[5:8]
.LBB51_231:
	s_or_b32 exec_lo, exec_lo, s2
	s_waitcnt lgkmcnt(0)
	s_waitcnt_vscnt null, 0x0
	s_barrier
	buffer_gl0_inv
	s_clause 0x4
	scratch_load_b128 v[2:5], off, off offset:768
	scratch_load_b128 v[6:9], off, off offset:784
	;; [unrolled: 1-line block ×5, first 2 shown]
	ds_load_b128 v[22:25], v1 offset:1600
	ds_load_b128 v[26:29], v1 offset:1616
	s_mov_b32 s2, exec_lo
	s_waitcnt vmcnt(4) lgkmcnt(1)
	v_mul_f64 v[30:31], v[24:25], v[4:5]
	v_mul_f64 v[4:5], v[22:23], v[4:5]
	s_waitcnt vmcnt(3) lgkmcnt(0)
	v_mul_f64 v[32:33], v[26:27], v[8:9]
	v_mul_f64 v[8:9], v[28:29], v[8:9]
	s_delay_alu instid0(VALU_DEP_4) | instskip(NEXT) | instid1(VALU_DEP_4)
	v_fma_f64 v[30:31], v[22:23], v[2:3], -v[30:31]
	v_fma_f64 v[34:35], v[24:25], v[2:3], v[4:5]
	ds_load_b128 v[2:5], v1 offset:1632
	ds_load_b128 v[22:25], v1 offset:1648
	v_fma_f64 v[28:29], v[28:29], v[6:7], v[32:33]
	v_fma_f64 v[6:7], v[26:27], v[6:7], -v[8:9]
	s_waitcnt vmcnt(2) lgkmcnt(1)
	v_mul_f64 v[36:37], v[2:3], v[12:13]
	v_mul_f64 v[12:13], v[4:5], v[12:13]
	v_add_f64 v[8:9], v[30:31], 0
	v_add_f64 v[26:27], v[34:35], 0
	s_waitcnt vmcnt(1) lgkmcnt(0)
	v_mul_f64 v[30:31], v[22:23], v[16:17]
	v_mul_f64 v[16:17], v[24:25], v[16:17]
	v_fma_f64 v[4:5], v[4:5], v[10:11], v[36:37]
	v_fma_f64 v[1:2], v[2:3], v[10:11], -v[12:13]
	v_add_f64 v[6:7], v[8:9], v[6:7]
	v_add_f64 v[8:9], v[26:27], v[28:29]
	v_fma_f64 v[10:11], v[24:25], v[14:15], v[30:31]
	v_fma_f64 v[12:13], v[22:23], v[14:15], -v[16:17]
	s_delay_alu instid0(VALU_DEP_4) | instskip(NEXT) | instid1(VALU_DEP_4)
	v_add_f64 v[1:2], v[6:7], v[1:2]
	v_add_f64 v[3:4], v[8:9], v[4:5]
	s_delay_alu instid0(VALU_DEP_2) | instskip(NEXT) | instid1(VALU_DEP_2)
	v_add_f64 v[1:2], v[1:2], v[12:13]
	v_add_f64 v[3:4], v[3:4], v[10:11]
	s_waitcnt vmcnt(0)
	s_delay_alu instid0(VALU_DEP_2) | instskip(NEXT) | instid1(VALU_DEP_2)
	v_add_f64 v[1:2], v[18:19], -v[1:2]
	v_add_f64 v[3:4], v[20:21], -v[3:4]
	scratch_store_b128 off, v[1:4], off offset:752
	v_cmpx_lt_u32_e32 46, v150
	s_cbranch_execz .LBB51_233
; %bb.232:
	scratch_load_b128 v[1:4], v169, off
	v_mov_b32_e32 v5, 0
	s_delay_alu instid0(VALU_DEP_1)
	v_mov_b32_e32 v6, v5
	v_mov_b32_e32 v7, v5
	;; [unrolled: 1-line block ×3, first 2 shown]
	scratch_store_b128 off, v[5:8], off offset:736
	s_waitcnt vmcnt(0)
	ds_store_b128 v202, v[1:4]
.LBB51_233:
	s_or_b32 exec_lo, exec_lo, s2
	s_waitcnt lgkmcnt(0)
	s_waitcnt_vscnt null, 0x0
	s_barrier
	buffer_gl0_inv
	s_clause 0x5
	scratch_load_b128 v[2:5], off, off offset:752
	scratch_load_b128 v[6:9], off, off offset:768
	;; [unrolled: 1-line block ×6, first 2 shown]
	v_mov_b32_e32 v1, 0
	ds_load_b128 v[26:29], v1 offset:1584
	ds_load_b128 v[30:33], v1 offset:1600
	s_mov_b32 s2, exec_lo
	s_waitcnt vmcnt(5) lgkmcnt(1)
	v_mul_f64 v[34:35], v[28:29], v[4:5]
	v_mul_f64 v[4:5], v[26:27], v[4:5]
	s_waitcnt vmcnt(4) lgkmcnt(0)
	v_mul_f64 v[36:37], v[30:31], v[8:9]
	v_mul_f64 v[8:9], v[32:33], v[8:9]
	s_delay_alu instid0(VALU_DEP_4) | instskip(NEXT) | instid1(VALU_DEP_4)
	v_fma_f64 v[34:35], v[26:27], v[2:3], -v[34:35]
	v_fma_f64 v[38:39], v[28:29], v[2:3], v[4:5]
	ds_load_b128 v[2:5], v1 offset:1616
	ds_load_b128 v[26:29], v1 offset:1632
	v_fma_f64 v[32:33], v[32:33], v[6:7], v[36:37]
	v_fma_f64 v[6:7], v[30:31], v[6:7], -v[8:9]
	s_waitcnt vmcnt(3) lgkmcnt(1)
	v_mul_f64 v[40:41], v[2:3], v[12:13]
	v_mul_f64 v[12:13], v[4:5], v[12:13]
	v_add_f64 v[8:9], v[34:35], 0
	v_add_f64 v[30:31], v[38:39], 0
	s_waitcnt vmcnt(2) lgkmcnt(0)
	v_mul_f64 v[34:35], v[26:27], v[16:17]
	v_mul_f64 v[16:17], v[28:29], v[16:17]
	v_fma_f64 v[36:37], v[4:5], v[10:11], v[40:41]
	v_fma_f64 v[10:11], v[2:3], v[10:11], -v[12:13]
	ds_load_b128 v[2:5], v1 offset:1648
	v_add_f64 v[6:7], v[8:9], v[6:7]
	v_add_f64 v[8:9], v[30:31], v[32:33]
	v_fma_f64 v[28:29], v[28:29], v[14:15], v[34:35]
	v_fma_f64 v[14:15], v[26:27], v[14:15], -v[16:17]
	s_waitcnt vmcnt(1) lgkmcnt(0)
	v_mul_f64 v[12:13], v[2:3], v[20:21]
	v_mul_f64 v[20:21], v[4:5], v[20:21]
	v_add_f64 v[6:7], v[6:7], v[10:11]
	v_add_f64 v[8:9], v[8:9], v[36:37]
	s_delay_alu instid0(VALU_DEP_4) | instskip(NEXT) | instid1(VALU_DEP_4)
	v_fma_f64 v[4:5], v[4:5], v[18:19], v[12:13]
	v_fma_f64 v[2:3], v[2:3], v[18:19], -v[20:21]
	s_delay_alu instid0(VALU_DEP_4) | instskip(NEXT) | instid1(VALU_DEP_4)
	v_add_f64 v[6:7], v[6:7], v[14:15]
	v_add_f64 v[8:9], v[8:9], v[28:29]
	s_delay_alu instid0(VALU_DEP_2) | instskip(NEXT) | instid1(VALU_DEP_2)
	v_add_f64 v[2:3], v[6:7], v[2:3]
	v_add_f64 v[4:5], v[8:9], v[4:5]
	s_waitcnt vmcnt(0)
	s_delay_alu instid0(VALU_DEP_2) | instskip(NEXT) | instid1(VALU_DEP_2)
	v_add_f64 v[2:3], v[22:23], -v[2:3]
	v_add_f64 v[4:5], v[24:25], -v[4:5]
	scratch_store_b128 off, v[2:5], off offset:736
	v_cmpx_lt_u32_e32 45, v150
	s_cbranch_execz .LBB51_235
; %bb.234:
	scratch_load_b128 v[5:8], v172, off
	v_mov_b32_e32 v2, v1
	v_mov_b32_e32 v3, v1
	;; [unrolled: 1-line block ×3, first 2 shown]
	scratch_store_b128 off, v[1:4], off offset:720
	s_waitcnt vmcnt(0)
	ds_store_b128 v202, v[5:8]
.LBB51_235:
	s_or_b32 exec_lo, exec_lo, s2
	s_waitcnt lgkmcnt(0)
	s_waitcnt_vscnt null, 0x0
	s_barrier
	buffer_gl0_inv
	s_clause 0x5
	scratch_load_b128 v[2:5], off, off offset:736
	scratch_load_b128 v[6:9], off, off offset:752
	scratch_load_b128 v[10:13], off, off offset:768
	scratch_load_b128 v[14:17], off, off offset:784
	scratch_load_b128 v[18:21], off, off offset:800
	scratch_load_b128 v[22:25], off, off offset:816
	ds_load_b128 v[26:29], v1 offset:1568
	ds_load_b128 v[34:37], v1 offset:1584
	scratch_load_b128 v[30:33], off, off offset:720
	s_mov_b32 s2, exec_lo
	s_waitcnt vmcnt(6) lgkmcnt(1)
	v_mul_f64 v[38:39], v[28:29], v[4:5]
	v_mul_f64 v[4:5], v[26:27], v[4:5]
	s_waitcnt vmcnt(5) lgkmcnt(0)
	v_mul_f64 v[40:41], v[34:35], v[8:9]
	v_mul_f64 v[8:9], v[36:37], v[8:9]
	s_delay_alu instid0(VALU_DEP_4) | instskip(NEXT) | instid1(VALU_DEP_4)
	v_fma_f64 v[38:39], v[26:27], v[2:3], -v[38:39]
	v_fma_f64 v[42:43], v[28:29], v[2:3], v[4:5]
	ds_load_b128 v[2:5], v1 offset:1600
	ds_load_b128 v[26:29], v1 offset:1616
	v_fma_f64 v[36:37], v[36:37], v[6:7], v[40:41]
	v_fma_f64 v[6:7], v[34:35], v[6:7], -v[8:9]
	s_waitcnt vmcnt(4) lgkmcnt(1)
	v_mul_f64 v[44:45], v[2:3], v[12:13]
	v_mul_f64 v[12:13], v[4:5], v[12:13]
	v_add_f64 v[8:9], v[38:39], 0
	v_add_f64 v[34:35], v[42:43], 0
	s_waitcnt vmcnt(3) lgkmcnt(0)
	v_mul_f64 v[38:39], v[26:27], v[16:17]
	v_mul_f64 v[16:17], v[28:29], v[16:17]
	v_fma_f64 v[40:41], v[4:5], v[10:11], v[44:45]
	v_fma_f64 v[10:11], v[2:3], v[10:11], -v[12:13]
	v_add_f64 v[12:13], v[8:9], v[6:7]
	v_add_f64 v[34:35], v[34:35], v[36:37]
	ds_load_b128 v[2:5], v1 offset:1632
	ds_load_b128 v[6:9], v1 offset:1648
	v_fma_f64 v[28:29], v[28:29], v[14:15], v[38:39]
	v_fma_f64 v[14:15], v[26:27], v[14:15], -v[16:17]
	s_waitcnt vmcnt(2) lgkmcnt(1)
	v_mul_f64 v[36:37], v[2:3], v[20:21]
	v_mul_f64 v[20:21], v[4:5], v[20:21]
	s_waitcnt vmcnt(1) lgkmcnt(0)
	v_mul_f64 v[16:17], v[6:7], v[24:25]
	v_mul_f64 v[24:25], v[8:9], v[24:25]
	v_add_f64 v[10:11], v[12:13], v[10:11]
	v_add_f64 v[12:13], v[34:35], v[40:41]
	v_fma_f64 v[4:5], v[4:5], v[18:19], v[36:37]
	v_fma_f64 v[1:2], v[2:3], v[18:19], -v[20:21]
	v_fma_f64 v[8:9], v[8:9], v[22:23], v[16:17]
	v_fma_f64 v[6:7], v[6:7], v[22:23], -v[24:25]
	v_add_f64 v[10:11], v[10:11], v[14:15]
	v_add_f64 v[12:13], v[12:13], v[28:29]
	s_delay_alu instid0(VALU_DEP_2) | instskip(NEXT) | instid1(VALU_DEP_2)
	v_add_f64 v[1:2], v[10:11], v[1:2]
	v_add_f64 v[3:4], v[12:13], v[4:5]
	s_delay_alu instid0(VALU_DEP_2) | instskip(NEXT) | instid1(VALU_DEP_2)
	v_add_f64 v[1:2], v[1:2], v[6:7]
	v_add_f64 v[3:4], v[3:4], v[8:9]
	s_waitcnt vmcnt(0)
	s_delay_alu instid0(VALU_DEP_2) | instskip(NEXT) | instid1(VALU_DEP_2)
	v_add_f64 v[1:2], v[30:31], -v[1:2]
	v_add_f64 v[3:4], v[32:33], -v[3:4]
	scratch_store_b128 off, v[1:4], off offset:720
	v_cmpx_lt_u32_e32 44, v150
	s_cbranch_execz .LBB51_237
; %bb.236:
	scratch_load_b128 v[1:4], v203, off
	v_mov_b32_e32 v5, 0
	s_delay_alu instid0(VALU_DEP_1)
	v_mov_b32_e32 v6, v5
	v_mov_b32_e32 v7, v5
	;; [unrolled: 1-line block ×3, first 2 shown]
	scratch_store_b128 off, v[5:8], off offset:704
	s_waitcnt vmcnt(0)
	ds_store_b128 v202, v[1:4]
.LBB51_237:
	s_or_b32 exec_lo, exec_lo, s2
	s_waitcnt lgkmcnt(0)
	s_waitcnt_vscnt null, 0x0
	s_barrier
	buffer_gl0_inv
	s_clause 0x6
	scratch_load_b128 v[2:5], off, off offset:720
	scratch_load_b128 v[6:9], off, off offset:736
	;; [unrolled: 1-line block ×7, first 2 shown]
	v_mov_b32_e32 v1, 0
	scratch_load_b128 v[34:37], off, off offset:704
	s_mov_b32 s2, exec_lo
	ds_load_b128 v[30:33], v1 offset:1552
	ds_load_b128 v[38:41], v1 offset:1568
	s_waitcnt vmcnt(7) lgkmcnt(1)
	v_mul_f64 v[42:43], v[32:33], v[4:5]
	v_mul_f64 v[4:5], v[30:31], v[4:5]
	s_waitcnt vmcnt(6) lgkmcnt(0)
	v_mul_f64 v[44:45], v[38:39], v[8:9]
	v_mul_f64 v[8:9], v[40:41], v[8:9]
	s_delay_alu instid0(VALU_DEP_4) | instskip(NEXT) | instid1(VALU_DEP_4)
	v_fma_f64 v[42:43], v[30:31], v[2:3], -v[42:43]
	v_fma_f64 v[152:153], v[32:33], v[2:3], v[4:5]
	ds_load_b128 v[2:5], v1 offset:1584
	ds_load_b128 v[30:33], v1 offset:1600
	v_fma_f64 v[40:41], v[40:41], v[6:7], v[44:45]
	v_fma_f64 v[6:7], v[38:39], v[6:7], -v[8:9]
	s_waitcnt vmcnt(5) lgkmcnt(1)
	v_mul_f64 v[154:155], v[2:3], v[12:13]
	v_mul_f64 v[12:13], v[4:5], v[12:13]
	v_add_f64 v[8:9], v[42:43], 0
	v_add_f64 v[38:39], v[152:153], 0
	s_waitcnt vmcnt(4) lgkmcnt(0)
	v_mul_f64 v[42:43], v[30:31], v[16:17]
	v_mul_f64 v[16:17], v[32:33], v[16:17]
	v_fma_f64 v[44:45], v[4:5], v[10:11], v[154:155]
	v_fma_f64 v[10:11], v[2:3], v[10:11], -v[12:13]
	v_add_f64 v[12:13], v[8:9], v[6:7]
	v_add_f64 v[38:39], v[38:39], v[40:41]
	ds_load_b128 v[2:5], v1 offset:1616
	ds_load_b128 v[6:9], v1 offset:1632
	v_fma_f64 v[32:33], v[32:33], v[14:15], v[42:43]
	v_fma_f64 v[14:15], v[30:31], v[14:15], -v[16:17]
	s_waitcnt vmcnt(3) lgkmcnt(1)
	v_mul_f64 v[40:41], v[2:3], v[20:21]
	v_mul_f64 v[20:21], v[4:5], v[20:21]
	s_waitcnt vmcnt(2) lgkmcnt(0)
	v_mul_f64 v[16:17], v[6:7], v[24:25]
	v_mul_f64 v[24:25], v[8:9], v[24:25]
	v_add_f64 v[10:11], v[12:13], v[10:11]
	v_add_f64 v[12:13], v[38:39], v[44:45]
	v_fma_f64 v[30:31], v[4:5], v[18:19], v[40:41]
	v_fma_f64 v[18:19], v[2:3], v[18:19], -v[20:21]
	ds_load_b128 v[2:5], v1 offset:1648
	v_fma_f64 v[8:9], v[8:9], v[22:23], v[16:17]
	v_fma_f64 v[6:7], v[6:7], v[22:23], -v[24:25]
	v_add_f64 v[10:11], v[10:11], v[14:15]
	v_add_f64 v[12:13], v[12:13], v[32:33]
	s_waitcnt vmcnt(1) lgkmcnt(0)
	v_mul_f64 v[14:15], v[2:3], v[28:29]
	v_mul_f64 v[20:21], v[4:5], v[28:29]
	s_delay_alu instid0(VALU_DEP_4) | instskip(NEXT) | instid1(VALU_DEP_4)
	v_add_f64 v[10:11], v[10:11], v[18:19]
	v_add_f64 v[12:13], v[12:13], v[30:31]
	s_delay_alu instid0(VALU_DEP_4) | instskip(NEXT) | instid1(VALU_DEP_4)
	v_fma_f64 v[4:5], v[4:5], v[26:27], v[14:15]
	v_fma_f64 v[2:3], v[2:3], v[26:27], -v[20:21]
	s_delay_alu instid0(VALU_DEP_4) | instskip(NEXT) | instid1(VALU_DEP_4)
	v_add_f64 v[6:7], v[10:11], v[6:7]
	v_add_f64 v[8:9], v[12:13], v[8:9]
	s_delay_alu instid0(VALU_DEP_2) | instskip(NEXT) | instid1(VALU_DEP_2)
	v_add_f64 v[2:3], v[6:7], v[2:3]
	v_add_f64 v[4:5], v[8:9], v[4:5]
	s_waitcnt vmcnt(0)
	s_delay_alu instid0(VALU_DEP_2) | instskip(NEXT) | instid1(VALU_DEP_2)
	v_add_f64 v[2:3], v[34:35], -v[2:3]
	v_add_f64 v[4:5], v[36:37], -v[4:5]
	scratch_store_b128 off, v[2:5], off offset:704
	v_cmpx_lt_u32_e32 43, v150
	s_cbranch_execz .LBB51_239
; %bb.238:
	scratch_load_b128 v[5:8], v204, off
	v_mov_b32_e32 v2, v1
	v_mov_b32_e32 v3, v1
	;; [unrolled: 1-line block ×3, first 2 shown]
	scratch_store_b128 off, v[1:4], off offset:688
	s_waitcnt vmcnt(0)
	ds_store_b128 v202, v[5:8]
.LBB51_239:
	s_or_b32 exec_lo, exec_lo, s2
	s_waitcnt lgkmcnt(0)
	s_waitcnt_vscnt null, 0x0
	s_barrier
	buffer_gl0_inv
	s_clause 0x7
	scratch_load_b128 v[2:5], off, off offset:704
	scratch_load_b128 v[6:9], off, off offset:720
	scratch_load_b128 v[10:13], off, off offset:736
	scratch_load_b128 v[14:17], off, off offset:752
	scratch_load_b128 v[18:21], off, off offset:768
	scratch_load_b128 v[22:25], off, off offset:784
	scratch_load_b128 v[26:29], off, off offset:800
	scratch_load_b128 v[30:33], off, off offset:816
	ds_load_b128 v[34:37], v1 offset:1536
	ds_load_b128 v[38:41], v1 offset:1552
	scratch_load_b128 v[42:45], off, off offset:688
	s_mov_b32 s2, exec_lo
	s_waitcnt vmcnt(8) lgkmcnt(1)
	v_mul_f64 v[152:153], v[36:37], v[4:5]
	v_mul_f64 v[4:5], v[34:35], v[4:5]
	s_waitcnt vmcnt(7) lgkmcnt(0)
	v_mul_f64 v[154:155], v[38:39], v[8:9]
	v_mul_f64 v[8:9], v[40:41], v[8:9]
	s_delay_alu instid0(VALU_DEP_4) | instskip(NEXT) | instid1(VALU_DEP_4)
	v_fma_f64 v[152:153], v[34:35], v[2:3], -v[152:153]
	v_fma_f64 v[156:157], v[36:37], v[2:3], v[4:5]
	ds_load_b128 v[2:5], v1 offset:1568
	ds_load_b128 v[34:37], v1 offset:1584
	v_fma_f64 v[40:41], v[40:41], v[6:7], v[154:155]
	v_fma_f64 v[6:7], v[38:39], v[6:7], -v[8:9]
	s_waitcnt vmcnt(6) lgkmcnt(1)
	v_mul_f64 v[163:164], v[2:3], v[12:13]
	v_mul_f64 v[12:13], v[4:5], v[12:13]
	v_add_f64 v[8:9], v[152:153], 0
	v_add_f64 v[38:39], v[156:157], 0
	s_waitcnt vmcnt(5) lgkmcnt(0)
	v_mul_f64 v[152:153], v[34:35], v[16:17]
	v_mul_f64 v[16:17], v[36:37], v[16:17]
	v_fma_f64 v[154:155], v[4:5], v[10:11], v[163:164]
	v_fma_f64 v[10:11], v[2:3], v[10:11], -v[12:13]
	v_add_f64 v[12:13], v[8:9], v[6:7]
	v_add_f64 v[38:39], v[38:39], v[40:41]
	ds_load_b128 v[2:5], v1 offset:1600
	ds_load_b128 v[6:9], v1 offset:1616
	v_fma_f64 v[36:37], v[36:37], v[14:15], v[152:153]
	v_fma_f64 v[14:15], v[34:35], v[14:15], -v[16:17]
	s_waitcnt vmcnt(4) lgkmcnt(1)
	v_mul_f64 v[40:41], v[2:3], v[20:21]
	v_mul_f64 v[20:21], v[4:5], v[20:21]
	s_waitcnt vmcnt(3) lgkmcnt(0)
	v_mul_f64 v[16:17], v[6:7], v[24:25]
	v_mul_f64 v[24:25], v[8:9], v[24:25]
	v_add_f64 v[10:11], v[12:13], v[10:11]
	v_add_f64 v[12:13], v[38:39], v[154:155]
	v_fma_f64 v[34:35], v[4:5], v[18:19], v[40:41]
	v_fma_f64 v[18:19], v[2:3], v[18:19], -v[20:21]
	v_fma_f64 v[8:9], v[8:9], v[22:23], v[16:17]
	v_fma_f64 v[6:7], v[6:7], v[22:23], -v[24:25]
	v_add_f64 v[14:15], v[10:11], v[14:15]
	v_add_f64 v[20:21], v[12:13], v[36:37]
	ds_load_b128 v[2:5], v1 offset:1632
	ds_load_b128 v[10:13], v1 offset:1648
	s_waitcnt vmcnt(2) lgkmcnt(1)
	v_mul_f64 v[36:37], v[2:3], v[28:29]
	v_mul_f64 v[28:29], v[4:5], v[28:29]
	v_add_f64 v[14:15], v[14:15], v[18:19]
	v_add_f64 v[16:17], v[20:21], v[34:35]
	s_waitcnt vmcnt(1) lgkmcnt(0)
	v_mul_f64 v[18:19], v[10:11], v[32:33]
	v_mul_f64 v[20:21], v[12:13], v[32:33]
	v_fma_f64 v[4:5], v[4:5], v[26:27], v[36:37]
	v_fma_f64 v[1:2], v[2:3], v[26:27], -v[28:29]
	v_add_f64 v[6:7], v[14:15], v[6:7]
	v_add_f64 v[8:9], v[16:17], v[8:9]
	v_fma_f64 v[12:13], v[12:13], v[30:31], v[18:19]
	v_fma_f64 v[10:11], v[10:11], v[30:31], -v[20:21]
	s_delay_alu instid0(VALU_DEP_4) | instskip(NEXT) | instid1(VALU_DEP_4)
	v_add_f64 v[1:2], v[6:7], v[1:2]
	v_add_f64 v[3:4], v[8:9], v[4:5]
	s_delay_alu instid0(VALU_DEP_2) | instskip(NEXT) | instid1(VALU_DEP_2)
	v_add_f64 v[1:2], v[1:2], v[10:11]
	v_add_f64 v[3:4], v[3:4], v[12:13]
	s_waitcnt vmcnt(0)
	s_delay_alu instid0(VALU_DEP_2) | instskip(NEXT) | instid1(VALU_DEP_2)
	v_add_f64 v[1:2], v[42:43], -v[1:2]
	v_add_f64 v[3:4], v[44:45], -v[3:4]
	scratch_store_b128 off, v[1:4], off offset:688
	v_cmpx_lt_u32_e32 42, v150
	s_cbranch_execz .LBB51_241
; %bb.240:
	scratch_load_b128 v[1:4], v205, off
	v_mov_b32_e32 v5, 0
	s_delay_alu instid0(VALU_DEP_1)
	v_mov_b32_e32 v6, v5
	v_mov_b32_e32 v7, v5
	;; [unrolled: 1-line block ×3, first 2 shown]
	scratch_store_b128 off, v[5:8], off offset:672
	s_waitcnt vmcnt(0)
	ds_store_b128 v202, v[1:4]
.LBB51_241:
	s_or_b32 exec_lo, exec_lo, s2
	s_waitcnt lgkmcnt(0)
	s_waitcnt_vscnt null, 0x0
	s_barrier
	buffer_gl0_inv
	s_clause 0x7
	scratch_load_b128 v[2:5], off, off offset:688
	scratch_load_b128 v[6:9], off, off offset:704
	scratch_load_b128 v[10:13], off, off offset:720
	scratch_load_b128 v[14:17], off, off offset:736
	scratch_load_b128 v[18:21], off, off offset:752
	scratch_load_b128 v[22:25], off, off offset:768
	scratch_load_b128 v[26:29], off, off offset:784
	scratch_load_b128 v[30:33], off, off offset:800
	v_mov_b32_e32 v1, 0
	scratch_load_b128 v[38:41], off, off offset:816
	s_mov_b32 s2, exec_lo
	ds_load_b128 v[34:37], v1 offset:1520
	ds_load_b128 v[42:45], v1 offset:1536
	s_waitcnt vmcnt(8) lgkmcnt(1)
	v_mul_f64 v[152:153], v[36:37], v[4:5]
	v_mul_f64 v[4:5], v[34:35], v[4:5]
	s_waitcnt vmcnt(7) lgkmcnt(0)
	v_mul_f64 v[154:155], v[42:43], v[8:9]
	v_mul_f64 v[8:9], v[44:45], v[8:9]
	s_delay_alu instid0(VALU_DEP_4) | instskip(NEXT) | instid1(VALU_DEP_4)
	v_fma_f64 v[34:35], v[34:35], v[2:3], -v[152:153]
	v_fma_f64 v[36:37], v[36:37], v[2:3], v[4:5]
	ds_load_b128 v[2:5], v1 offset:1552
	v_fma_f64 v[44:45], v[44:45], v[6:7], v[154:155]
	v_fma_f64 v[42:43], v[42:43], v[6:7], -v[8:9]
	ds_load_b128 v[6:9], v1 offset:1568
	s_waitcnt vmcnt(6) lgkmcnt(1)
	v_mul_f64 v[152:153], v[2:3], v[12:13]
	v_mul_f64 v[12:13], v[4:5], v[12:13]
	s_waitcnt vmcnt(5) lgkmcnt(0)
	v_mul_f64 v[163:164], v[6:7], v[16:17]
	v_mul_f64 v[16:17], v[8:9], v[16:17]
	v_add_f64 v[154:155], v[34:35], 0
	v_add_f64 v[156:157], v[36:37], 0
	scratch_load_b128 v[34:37], off, off offset:672
	v_fma_f64 v[152:153], v[4:5], v[10:11], v[152:153]
	v_fma_f64 v[10:11], v[2:3], v[10:11], -v[12:13]
	ds_load_b128 v[2:5], v1 offset:1584
	v_add_f64 v[12:13], v[154:155], v[42:43]
	v_add_f64 v[42:43], v[156:157], v[44:45]
	v_fma_f64 v[154:155], v[8:9], v[14:15], v[163:164]
	v_fma_f64 v[14:15], v[6:7], v[14:15], -v[16:17]
	ds_load_b128 v[6:9], v1 offset:1600
	s_waitcnt vmcnt(5) lgkmcnt(1)
	v_mul_f64 v[44:45], v[2:3], v[20:21]
	v_mul_f64 v[20:21], v[4:5], v[20:21]
	s_waitcnt vmcnt(4) lgkmcnt(0)
	v_mul_f64 v[16:17], v[6:7], v[24:25]
	v_mul_f64 v[24:25], v[8:9], v[24:25]
	v_add_f64 v[10:11], v[12:13], v[10:11]
	v_add_f64 v[12:13], v[42:43], v[152:153]
	v_fma_f64 v[42:43], v[4:5], v[18:19], v[44:45]
	v_fma_f64 v[18:19], v[2:3], v[18:19], -v[20:21]
	ds_load_b128 v[2:5], v1 offset:1616
	v_fma_f64 v[16:17], v[8:9], v[22:23], v[16:17]
	v_fma_f64 v[22:23], v[6:7], v[22:23], -v[24:25]
	ds_load_b128 v[6:9], v1 offset:1632
	s_waitcnt vmcnt(3) lgkmcnt(1)
	v_mul_f64 v[20:21], v[4:5], v[28:29]
	v_add_f64 v[10:11], v[10:11], v[14:15]
	v_add_f64 v[12:13], v[12:13], v[154:155]
	v_mul_f64 v[14:15], v[2:3], v[28:29]
	s_waitcnt vmcnt(2) lgkmcnt(0)
	v_mul_f64 v[24:25], v[8:9], v[32:33]
	v_fma_f64 v[20:21], v[2:3], v[26:27], -v[20:21]
	v_add_f64 v[10:11], v[10:11], v[18:19]
	v_add_f64 v[12:13], v[12:13], v[42:43]
	v_mul_f64 v[18:19], v[6:7], v[32:33]
	v_fma_f64 v[14:15], v[4:5], v[26:27], v[14:15]
	ds_load_b128 v[2:5], v1 offset:1648
	v_fma_f64 v[6:7], v[6:7], v[30:31], -v[24:25]
	v_add_f64 v[10:11], v[10:11], v[22:23]
	v_add_f64 v[12:13], v[12:13], v[16:17]
	s_waitcnt vmcnt(1) lgkmcnt(0)
	v_mul_f64 v[16:17], v[2:3], v[40:41]
	v_mul_f64 v[22:23], v[4:5], v[40:41]
	v_fma_f64 v[8:9], v[8:9], v[30:31], v[18:19]
	v_add_f64 v[10:11], v[10:11], v[20:21]
	v_add_f64 v[12:13], v[12:13], v[14:15]
	v_fma_f64 v[4:5], v[4:5], v[38:39], v[16:17]
	v_fma_f64 v[2:3], v[2:3], v[38:39], -v[22:23]
	s_delay_alu instid0(VALU_DEP_4) | instskip(NEXT) | instid1(VALU_DEP_4)
	v_add_f64 v[6:7], v[10:11], v[6:7]
	v_add_f64 v[8:9], v[12:13], v[8:9]
	s_delay_alu instid0(VALU_DEP_2) | instskip(NEXT) | instid1(VALU_DEP_2)
	v_add_f64 v[2:3], v[6:7], v[2:3]
	v_add_f64 v[4:5], v[8:9], v[4:5]
	s_waitcnt vmcnt(0)
	s_delay_alu instid0(VALU_DEP_2) | instskip(NEXT) | instid1(VALU_DEP_2)
	v_add_f64 v[2:3], v[34:35], -v[2:3]
	v_add_f64 v[4:5], v[36:37], -v[4:5]
	scratch_store_b128 off, v[2:5], off offset:672
	v_cmpx_lt_u32_e32 41, v150
	s_cbranch_execz .LBB51_243
; %bb.242:
	scratch_load_b128 v[5:8], v206, off
	v_mov_b32_e32 v2, v1
	v_mov_b32_e32 v3, v1
	;; [unrolled: 1-line block ×3, first 2 shown]
	scratch_store_b128 off, v[1:4], off offset:656
	s_waitcnt vmcnt(0)
	ds_store_b128 v202, v[5:8]
.LBB51_243:
	s_or_b32 exec_lo, exec_lo, s2
	s_waitcnt lgkmcnt(0)
	s_waitcnt_vscnt null, 0x0
	s_barrier
	buffer_gl0_inv
	s_clause 0x7
	scratch_load_b128 v[2:5], off, off offset:672
	scratch_load_b128 v[6:9], off, off offset:688
	;; [unrolled: 1-line block ×8, first 2 shown]
	ds_load_b128 v[34:37], v1 offset:1504
	ds_load_b128 v[42:45], v1 offset:1520
	s_clause 0x1
	scratch_load_b128 v[38:41], off, off offset:800
	scratch_load_b128 v[152:155], off, off offset:816
	s_mov_b32 s2, exec_lo
	s_waitcnt vmcnt(9) lgkmcnt(1)
	v_mul_f64 v[156:157], v[36:37], v[4:5]
	v_mul_f64 v[4:5], v[34:35], v[4:5]
	s_waitcnt vmcnt(8) lgkmcnt(0)
	v_mul_f64 v[163:164], v[42:43], v[8:9]
	v_mul_f64 v[8:9], v[44:45], v[8:9]
	s_delay_alu instid0(VALU_DEP_4) | instskip(NEXT) | instid1(VALU_DEP_4)
	v_fma_f64 v[34:35], v[34:35], v[2:3], -v[156:157]
	v_fma_f64 v[36:37], v[36:37], v[2:3], v[4:5]
	ds_load_b128 v[2:5], v1 offset:1536
	v_fma_f64 v[44:45], v[44:45], v[6:7], v[163:164]
	v_fma_f64 v[42:43], v[42:43], v[6:7], -v[8:9]
	ds_load_b128 v[6:9], v1 offset:1552
	s_waitcnt vmcnt(7) lgkmcnt(1)
	v_mul_f64 v[156:157], v[2:3], v[12:13]
	v_mul_f64 v[12:13], v[4:5], v[12:13]
	s_waitcnt vmcnt(6) lgkmcnt(0)
	v_mul_f64 v[163:164], v[6:7], v[16:17]
	v_mul_f64 v[16:17], v[8:9], v[16:17]
	v_add_f64 v[34:35], v[34:35], 0
	v_add_f64 v[36:37], v[36:37], 0
	v_fma_f64 v[156:157], v[4:5], v[10:11], v[156:157]
	v_fma_f64 v[165:166], v[2:3], v[10:11], -v[12:13]
	ds_load_b128 v[2:5], v1 offset:1568
	scratch_load_b128 v[10:13], off, off offset:656
	v_add_f64 v[34:35], v[34:35], v[42:43]
	v_add_f64 v[36:37], v[36:37], v[44:45]
	v_fma_f64 v[44:45], v[8:9], v[14:15], v[163:164]
	v_fma_f64 v[14:15], v[6:7], v[14:15], -v[16:17]
	ds_load_b128 v[6:9], v1 offset:1584
	s_waitcnt vmcnt(6) lgkmcnt(1)
	v_mul_f64 v[42:43], v[2:3], v[20:21]
	v_mul_f64 v[20:21], v[4:5], v[20:21]
	v_add_f64 v[16:17], v[34:35], v[165:166]
	v_add_f64 v[34:35], v[36:37], v[156:157]
	s_waitcnt vmcnt(5) lgkmcnt(0)
	v_mul_f64 v[36:37], v[6:7], v[24:25]
	v_mul_f64 v[24:25], v[8:9], v[24:25]
	v_fma_f64 v[42:43], v[4:5], v[18:19], v[42:43]
	v_fma_f64 v[18:19], v[2:3], v[18:19], -v[20:21]
	ds_load_b128 v[2:5], v1 offset:1600
	v_add_f64 v[14:15], v[16:17], v[14:15]
	v_add_f64 v[16:17], v[34:35], v[44:45]
	v_fma_f64 v[34:35], v[8:9], v[22:23], v[36:37]
	v_fma_f64 v[22:23], v[6:7], v[22:23], -v[24:25]
	ds_load_b128 v[6:9], v1 offset:1616
	s_waitcnt vmcnt(4) lgkmcnt(1)
	v_mul_f64 v[20:21], v[2:3], v[28:29]
	v_mul_f64 v[28:29], v[4:5], v[28:29]
	s_waitcnt vmcnt(3) lgkmcnt(0)
	v_mul_f64 v[24:25], v[8:9], v[32:33]
	v_add_f64 v[14:15], v[14:15], v[18:19]
	v_add_f64 v[16:17], v[16:17], v[42:43]
	v_mul_f64 v[18:19], v[6:7], v[32:33]
	v_fma_f64 v[20:21], v[4:5], v[26:27], v[20:21]
	v_fma_f64 v[26:27], v[2:3], v[26:27], -v[28:29]
	ds_load_b128 v[2:5], v1 offset:1632
	v_fma_f64 v[24:25], v[6:7], v[30:31], -v[24:25]
	v_add_f64 v[14:15], v[14:15], v[22:23]
	v_add_f64 v[16:17], v[16:17], v[34:35]
	v_fma_f64 v[18:19], v[8:9], v[30:31], v[18:19]
	ds_load_b128 v[6:9], v1 offset:1648
	s_waitcnt vmcnt(2) lgkmcnt(1)
	v_mul_f64 v[22:23], v[2:3], v[40:41]
	v_mul_f64 v[28:29], v[4:5], v[40:41]
	v_add_f64 v[14:15], v[14:15], v[26:27]
	v_add_f64 v[16:17], v[16:17], v[20:21]
	s_waitcnt vmcnt(1) lgkmcnt(0)
	v_mul_f64 v[20:21], v[6:7], v[154:155]
	v_mul_f64 v[26:27], v[8:9], v[154:155]
	v_fma_f64 v[4:5], v[4:5], v[38:39], v[22:23]
	v_fma_f64 v[1:2], v[2:3], v[38:39], -v[28:29]
	v_add_f64 v[14:15], v[14:15], v[24:25]
	v_add_f64 v[16:17], v[16:17], v[18:19]
	v_fma_f64 v[8:9], v[8:9], v[152:153], v[20:21]
	v_fma_f64 v[6:7], v[6:7], v[152:153], -v[26:27]
	s_delay_alu instid0(VALU_DEP_4) | instskip(NEXT) | instid1(VALU_DEP_4)
	v_add_f64 v[1:2], v[14:15], v[1:2]
	v_add_f64 v[3:4], v[16:17], v[4:5]
	s_delay_alu instid0(VALU_DEP_2) | instskip(NEXT) | instid1(VALU_DEP_2)
	v_add_f64 v[1:2], v[1:2], v[6:7]
	v_add_f64 v[3:4], v[3:4], v[8:9]
	s_waitcnt vmcnt(0)
	s_delay_alu instid0(VALU_DEP_2) | instskip(NEXT) | instid1(VALU_DEP_2)
	v_add_f64 v[1:2], v[10:11], -v[1:2]
	v_add_f64 v[3:4], v[12:13], -v[3:4]
	scratch_store_b128 off, v[1:4], off offset:656
	v_cmpx_lt_u32_e32 40, v150
	s_cbranch_execz .LBB51_245
; %bb.244:
	scratch_load_b128 v[1:4], v207, off
	v_mov_b32_e32 v5, 0
	s_delay_alu instid0(VALU_DEP_1)
	v_mov_b32_e32 v6, v5
	v_mov_b32_e32 v7, v5
	;; [unrolled: 1-line block ×3, first 2 shown]
	scratch_store_b128 off, v[5:8], off offset:640
	s_waitcnt vmcnt(0)
	ds_store_b128 v202, v[1:4]
.LBB51_245:
	s_or_b32 exec_lo, exec_lo, s2
	s_waitcnt lgkmcnt(0)
	s_waitcnt_vscnt null, 0x0
	s_barrier
	buffer_gl0_inv
	s_clause 0x7
	scratch_load_b128 v[2:5], off, off offset:656
	scratch_load_b128 v[6:9], off, off offset:672
	;; [unrolled: 1-line block ×8, first 2 shown]
	v_mov_b32_e32 v1, 0
	s_clause 0x1
	scratch_load_b128 v[38:41], off, off offset:784
	scratch_load_b128 v[152:155], off, off offset:800
	s_mov_b32 s2, exec_lo
	ds_load_b128 v[34:37], v1 offset:1488
	ds_load_b128 v[42:45], v1 offset:1504
	s_waitcnt vmcnt(9) lgkmcnt(1)
	v_mul_f64 v[156:157], v[36:37], v[4:5]
	v_mul_f64 v[4:5], v[34:35], v[4:5]
	s_waitcnt vmcnt(8) lgkmcnt(0)
	v_mul_f64 v[163:164], v[42:43], v[8:9]
	v_mul_f64 v[8:9], v[44:45], v[8:9]
	s_delay_alu instid0(VALU_DEP_4) | instskip(NEXT) | instid1(VALU_DEP_4)
	v_fma_f64 v[156:157], v[34:35], v[2:3], -v[156:157]
	v_fma_f64 v[165:166], v[36:37], v[2:3], v[4:5]
	ds_load_b128 v[2:5], v1 offset:1520
	scratch_load_b128 v[34:37], off, off offset:816
	v_fma_f64 v[44:45], v[44:45], v[6:7], v[163:164]
	v_fma_f64 v[42:43], v[42:43], v[6:7], -v[8:9]
	ds_load_b128 v[6:9], v1 offset:1536
	s_waitcnt vmcnt(8) lgkmcnt(1)
	v_mul_f64 v[215:216], v[2:3], v[12:13]
	v_mul_f64 v[12:13], v[4:5], v[12:13]
	v_add_f64 v[156:157], v[156:157], 0
	v_add_f64 v[163:164], v[165:166], 0
	s_waitcnt vmcnt(7) lgkmcnt(0)
	v_mul_f64 v[165:166], v[6:7], v[16:17]
	v_mul_f64 v[16:17], v[8:9], v[16:17]
	v_fma_f64 v[215:216], v[4:5], v[10:11], v[215:216]
	v_fma_f64 v[10:11], v[2:3], v[10:11], -v[12:13]
	ds_load_b128 v[2:5], v1 offset:1552
	v_add_f64 v[12:13], v[156:157], v[42:43]
	v_add_f64 v[42:43], v[163:164], v[44:45]
	v_fma_f64 v[156:157], v[8:9], v[14:15], v[165:166]
	v_fma_f64 v[14:15], v[6:7], v[14:15], -v[16:17]
	ds_load_b128 v[6:9], v1 offset:1568
	s_waitcnt vmcnt(6) lgkmcnt(1)
	v_mul_f64 v[44:45], v[2:3], v[20:21]
	v_mul_f64 v[20:21], v[4:5], v[20:21]
	s_waitcnt vmcnt(5) lgkmcnt(0)
	v_mul_f64 v[163:164], v[6:7], v[24:25]
	v_mul_f64 v[24:25], v[8:9], v[24:25]
	v_add_f64 v[16:17], v[12:13], v[10:11]
	v_add_f64 v[42:43], v[42:43], v[215:216]
	scratch_load_b128 v[10:13], off, off offset:640
	v_fma_f64 v[44:45], v[4:5], v[18:19], v[44:45]
	v_fma_f64 v[18:19], v[2:3], v[18:19], -v[20:21]
	ds_load_b128 v[2:5], v1 offset:1584
	v_add_f64 v[14:15], v[16:17], v[14:15]
	v_add_f64 v[16:17], v[42:43], v[156:157]
	v_fma_f64 v[42:43], v[8:9], v[22:23], v[163:164]
	v_fma_f64 v[22:23], v[6:7], v[22:23], -v[24:25]
	ds_load_b128 v[6:9], v1 offset:1600
	s_waitcnt vmcnt(5) lgkmcnt(1)
	v_mul_f64 v[20:21], v[2:3], v[28:29]
	v_mul_f64 v[28:29], v[4:5], v[28:29]
	s_waitcnt vmcnt(4) lgkmcnt(0)
	v_mul_f64 v[24:25], v[8:9], v[32:33]
	v_add_f64 v[14:15], v[14:15], v[18:19]
	v_add_f64 v[16:17], v[16:17], v[44:45]
	v_mul_f64 v[18:19], v[6:7], v[32:33]
	v_fma_f64 v[20:21], v[4:5], v[26:27], v[20:21]
	v_fma_f64 v[26:27], v[2:3], v[26:27], -v[28:29]
	ds_load_b128 v[2:5], v1 offset:1616
	v_fma_f64 v[24:25], v[6:7], v[30:31], -v[24:25]
	v_add_f64 v[14:15], v[14:15], v[22:23]
	v_add_f64 v[16:17], v[16:17], v[42:43]
	v_fma_f64 v[18:19], v[8:9], v[30:31], v[18:19]
	ds_load_b128 v[6:9], v1 offset:1632
	s_waitcnt vmcnt(3) lgkmcnt(1)
	v_mul_f64 v[22:23], v[2:3], v[40:41]
	v_mul_f64 v[28:29], v[4:5], v[40:41]
	v_add_f64 v[14:15], v[14:15], v[26:27]
	v_add_f64 v[16:17], v[16:17], v[20:21]
	s_waitcnt vmcnt(2) lgkmcnt(0)
	v_mul_f64 v[20:21], v[6:7], v[154:155]
	v_mul_f64 v[26:27], v[8:9], v[154:155]
	v_fma_f64 v[22:23], v[4:5], v[38:39], v[22:23]
	v_fma_f64 v[28:29], v[2:3], v[38:39], -v[28:29]
	ds_load_b128 v[2:5], v1 offset:1648
	v_add_f64 v[14:15], v[14:15], v[24:25]
	v_add_f64 v[16:17], v[16:17], v[18:19]
	v_fma_f64 v[8:9], v[8:9], v[152:153], v[20:21]
	v_fma_f64 v[6:7], v[6:7], v[152:153], -v[26:27]
	s_waitcnt vmcnt(1) lgkmcnt(0)
	v_mul_f64 v[18:19], v[2:3], v[36:37]
	v_mul_f64 v[24:25], v[4:5], v[36:37]
	v_add_f64 v[14:15], v[14:15], v[28:29]
	v_add_f64 v[16:17], v[16:17], v[22:23]
	s_delay_alu instid0(VALU_DEP_4) | instskip(NEXT) | instid1(VALU_DEP_4)
	v_fma_f64 v[4:5], v[4:5], v[34:35], v[18:19]
	v_fma_f64 v[2:3], v[2:3], v[34:35], -v[24:25]
	s_delay_alu instid0(VALU_DEP_4) | instskip(NEXT) | instid1(VALU_DEP_4)
	v_add_f64 v[6:7], v[14:15], v[6:7]
	v_add_f64 v[8:9], v[16:17], v[8:9]
	s_delay_alu instid0(VALU_DEP_2) | instskip(NEXT) | instid1(VALU_DEP_2)
	v_add_f64 v[2:3], v[6:7], v[2:3]
	v_add_f64 v[4:5], v[8:9], v[4:5]
	s_waitcnt vmcnt(0)
	s_delay_alu instid0(VALU_DEP_2) | instskip(NEXT) | instid1(VALU_DEP_2)
	v_add_f64 v[2:3], v[10:11], -v[2:3]
	v_add_f64 v[4:5], v[12:13], -v[4:5]
	scratch_store_b128 off, v[2:5], off offset:640
	v_cmpx_lt_u32_e32 39, v150
	s_cbranch_execz .LBB51_247
; %bb.246:
	scratch_load_b128 v[5:8], v208, off
	v_mov_b32_e32 v2, v1
	v_mov_b32_e32 v3, v1
	;; [unrolled: 1-line block ×3, first 2 shown]
	scratch_store_b128 off, v[1:4], off offset:624
	s_waitcnt vmcnt(0)
	ds_store_b128 v202, v[5:8]
.LBB51_247:
	s_or_b32 exec_lo, exec_lo, s2
	s_waitcnt lgkmcnt(0)
	s_waitcnt_vscnt null, 0x0
	s_barrier
	buffer_gl0_inv
	s_clause 0x8
	scratch_load_b128 v[2:5], off, off offset:640
	scratch_load_b128 v[6:9], off, off offset:656
	;; [unrolled: 1-line block ×9, first 2 shown]
	ds_load_b128 v[38:41], v1 offset:1472
	ds_load_b128 v[42:45], v1 offset:1488
	s_clause 0x1
	scratch_load_b128 v[152:155], off, off offset:624
	scratch_load_b128 v[163:166], off, off offset:784
	s_mov_b32 s2, exec_lo
	ds_load_b128 v[215:218], v1 offset:1520
	s_waitcnt vmcnt(10) lgkmcnt(2)
	v_mul_f64 v[156:157], v[40:41], v[4:5]
	v_mul_f64 v[4:5], v[38:39], v[4:5]
	s_waitcnt vmcnt(9) lgkmcnt(1)
	v_mul_f64 v[219:220], v[42:43], v[8:9]
	v_mul_f64 v[8:9], v[44:45], v[8:9]
	s_delay_alu instid0(VALU_DEP_4) | instskip(NEXT) | instid1(VALU_DEP_4)
	v_fma_f64 v[156:157], v[38:39], v[2:3], -v[156:157]
	v_fma_f64 v[221:222], v[40:41], v[2:3], v[4:5]
	ds_load_b128 v[2:5], v1 offset:1504
	scratch_load_b128 v[38:41], off, off offset:800
	v_fma_f64 v[44:45], v[44:45], v[6:7], v[219:220]
	v_fma_f64 v[42:43], v[42:43], v[6:7], -v[8:9]
	scratch_load_b128 v[6:9], off, off offset:816
	s_waitcnt vmcnt(10) lgkmcnt(0)
	v_mul_f64 v[223:224], v[2:3], v[12:13]
	v_mul_f64 v[12:13], v[4:5], v[12:13]
	v_add_f64 v[156:157], v[156:157], 0
	v_add_f64 v[219:220], v[221:222], 0
	s_waitcnt vmcnt(9)
	v_mul_f64 v[221:222], v[215:216], v[16:17]
	v_mul_f64 v[16:17], v[217:218], v[16:17]
	v_fma_f64 v[223:224], v[4:5], v[10:11], v[223:224]
	v_fma_f64 v[225:226], v[2:3], v[10:11], -v[12:13]
	ds_load_b128 v[2:5], v1 offset:1536
	ds_load_b128 v[10:13], v1 offset:1552
	v_add_f64 v[42:43], v[156:157], v[42:43]
	v_add_f64 v[44:45], v[219:220], v[44:45]
	v_fma_f64 v[217:218], v[217:218], v[14:15], v[221:222]
	v_fma_f64 v[14:15], v[215:216], v[14:15], -v[16:17]
	s_waitcnt vmcnt(8) lgkmcnt(1)
	v_mul_f64 v[156:157], v[2:3], v[20:21]
	v_mul_f64 v[20:21], v[4:5], v[20:21]
	v_add_f64 v[16:17], v[42:43], v[225:226]
	v_add_f64 v[42:43], v[44:45], v[223:224]
	s_waitcnt vmcnt(7) lgkmcnt(0)
	v_mul_f64 v[44:45], v[10:11], v[24:25]
	v_mul_f64 v[24:25], v[12:13], v[24:25]
	v_fma_f64 v[156:157], v[4:5], v[18:19], v[156:157]
	v_fma_f64 v[18:19], v[2:3], v[18:19], -v[20:21]
	v_add_f64 v[20:21], v[16:17], v[14:15]
	v_add_f64 v[42:43], v[42:43], v[217:218]
	ds_load_b128 v[2:5], v1 offset:1568
	ds_load_b128 v[14:17], v1 offset:1584
	v_fma_f64 v[12:13], v[12:13], v[22:23], v[44:45]
	v_fma_f64 v[10:11], v[10:11], v[22:23], -v[24:25]
	s_waitcnt vmcnt(6) lgkmcnt(1)
	v_mul_f64 v[215:216], v[2:3], v[28:29]
	v_mul_f64 v[28:29], v[4:5], v[28:29]
	s_waitcnt vmcnt(5) lgkmcnt(0)
	v_mul_f64 v[22:23], v[14:15], v[32:33]
	v_mul_f64 v[24:25], v[16:17], v[32:33]
	v_add_f64 v[18:19], v[20:21], v[18:19]
	v_add_f64 v[20:21], v[42:43], v[156:157]
	v_fma_f64 v[32:33], v[4:5], v[26:27], v[215:216]
	v_fma_f64 v[26:27], v[2:3], v[26:27], -v[28:29]
	v_fma_f64 v[16:17], v[16:17], v[30:31], v[22:23]
	v_fma_f64 v[14:15], v[14:15], v[30:31], -v[24:25]
	v_add_f64 v[18:19], v[18:19], v[10:11]
	v_add_f64 v[20:21], v[20:21], v[12:13]
	ds_load_b128 v[2:5], v1 offset:1600
	ds_load_b128 v[10:13], v1 offset:1616
	s_waitcnt vmcnt(4) lgkmcnt(1)
	v_mul_f64 v[28:29], v[2:3], v[36:37]
	v_mul_f64 v[36:37], v[4:5], v[36:37]
	s_waitcnt vmcnt(2) lgkmcnt(0)
	v_mul_f64 v[22:23], v[10:11], v[165:166]
	v_mul_f64 v[24:25], v[12:13], v[165:166]
	v_add_f64 v[18:19], v[18:19], v[26:27]
	v_add_f64 v[20:21], v[20:21], v[32:33]
	v_fma_f64 v[26:27], v[4:5], v[34:35], v[28:29]
	v_fma_f64 v[28:29], v[2:3], v[34:35], -v[36:37]
	v_fma_f64 v[12:13], v[12:13], v[163:164], v[22:23]
	v_fma_f64 v[10:11], v[10:11], v[163:164], -v[24:25]
	v_add_f64 v[18:19], v[18:19], v[14:15]
	v_add_f64 v[20:21], v[20:21], v[16:17]
	ds_load_b128 v[2:5], v1 offset:1632
	ds_load_b128 v[14:17], v1 offset:1648
	s_waitcnt vmcnt(1) lgkmcnt(1)
	v_mul_f64 v[30:31], v[2:3], v[40:41]
	v_mul_f64 v[32:33], v[4:5], v[40:41]
	s_waitcnt vmcnt(0) lgkmcnt(0)
	v_mul_f64 v[22:23], v[14:15], v[8:9]
	v_mul_f64 v[8:9], v[16:17], v[8:9]
	v_add_f64 v[18:19], v[18:19], v[28:29]
	v_add_f64 v[20:21], v[20:21], v[26:27]
	v_fma_f64 v[4:5], v[4:5], v[38:39], v[30:31]
	v_fma_f64 v[1:2], v[2:3], v[38:39], -v[32:33]
	v_fma_f64 v[16:17], v[16:17], v[6:7], v[22:23]
	v_fma_f64 v[6:7], v[14:15], v[6:7], -v[8:9]
	v_add_f64 v[10:11], v[18:19], v[10:11]
	v_add_f64 v[12:13], v[20:21], v[12:13]
	s_delay_alu instid0(VALU_DEP_2) | instskip(NEXT) | instid1(VALU_DEP_2)
	v_add_f64 v[1:2], v[10:11], v[1:2]
	v_add_f64 v[3:4], v[12:13], v[4:5]
	s_delay_alu instid0(VALU_DEP_2) | instskip(NEXT) | instid1(VALU_DEP_2)
	;; [unrolled: 3-line block ×3, first 2 shown]
	v_add_f64 v[1:2], v[152:153], -v[1:2]
	v_add_f64 v[3:4], v[154:155], -v[3:4]
	scratch_store_b128 off, v[1:4], off offset:624
	v_cmpx_lt_u32_e32 38, v150
	s_cbranch_execz .LBB51_249
; %bb.248:
	scratch_load_b128 v[1:4], v209, off
	v_mov_b32_e32 v5, 0
	s_delay_alu instid0(VALU_DEP_1)
	v_mov_b32_e32 v6, v5
	v_mov_b32_e32 v7, v5
	;; [unrolled: 1-line block ×3, first 2 shown]
	scratch_store_b128 off, v[5:8], off offset:608
	s_waitcnt vmcnt(0)
	ds_store_b128 v202, v[1:4]
.LBB51_249:
	s_or_b32 exec_lo, exec_lo, s2
	s_waitcnt lgkmcnt(0)
	s_waitcnt_vscnt null, 0x0
	s_barrier
	buffer_gl0_inv
	s_clause 0x7
	scratch_load_b128 v[2:5], off, off offset:624
	scratch_load_b128 v[6:9], off, off offset:640
	;; [unrolled: 1-line block ×8, first 2 shown]
	v_mov_b32_e32 v1, 0
	s_mov_b32 s2, exec_lo
	ds_load_b128 v[34:37], v1 offset:1456
	s_clause 0x1
	scratch_load_b128 v[38:41], off, off offset:752
	scratch_load_b128 v[42:45], off, off offset:608
	ds_load_b128 v[152:155], v1 offset:1472
	scratch_load_b128 v[163:166], off, off offset:768
	ds_load_b128 v[215:218], v1 offset:1504
	s_waitcnt vmcnt(10) lgkmcnt(2)
	v_mul_f64 v[156:157], v[36:37], v[4:5]
	v_mul_f64 v[4:5], v[34:35], v[4:5]
	s_delay_alu instid0(VALU_DEP_2) | instskip(NEXT) | instid1(VALU_DEP_2)
	v_fma_f64 v[156:157], v[34:35], v[2:3], -v[156:157]
	v_fma_f64 v[221:222], v[36:37], v[2:3], v[4:5]
	ds_load_b128 v[2:5], v1 offset:1488
	s_waitcnt vmcnt(9) lgkmcnt(2)
	v_mul_f64 v[219:220], v[152:153], v[8:9]
	v_mul_f64 v[8:9], v[154:155], v[8:9]
	scratch_load_b128 v[34:37], off, off offset:784
	s_waitcnt vmcnt(9) lgkmcnt(0)
	v_mul_f64 v[223:224], v[2:3], v[12:13]
	v_mul_f64 v[12:13], v[4:5], v[12:13]
	v_add_f64 v[156:157], v[156:157], 0
	v_fma_f64 v[154:155], v[154:155], v[6:7], v[219:220]
	v_fma_f64 v[152:153], v[152:153], v[6:7], -v[8:9]
	v_add_f64 v[219:220], v[221:222], 0
	scratch_load_b128 v[6:9], off, off offset:800
	v_fma_f64 v[223:224], v[4:5], v[10:11], v[223:224]
	v_fma_f64 v[225:226], v[2:3], v[10:11], -v[12:13]
	scratch_load_b128 v[10:13], off, off offset:816
	ds_load_b128 v[2:5], v1 offset:1520
	s_waitcnt vmcnt(10)
	v_mul_f64 v[221:222], v[215:216], v[16:17]
	v_mul_f64 v[16:17], v[217:218], v[16:17]
	v_add_f64 v[156:157], v[156:157], v[152:153]
	v_add_f64 v[219:220], v[219:220], v[154:155]
	ds_load_b128 v[152:155], v1 offset:1536
	s_waitcnt vmcnt(9) lgkmcnt(1)
	v_mul_f64 v[227:228], v[2:3], v[20:21]
	v_mul_f64 v[20:21], v[4:5], v[20:21]
	v_fma_f64 v[217:218], v[217:218], v[14:15], v[221:222]
	v_fma_f64 v[14:15], v[215:216], v[14:15], -v[16:17]
	s_waitcnt vmcnt(8) lgkmcnt(0)
	v_mul_f64 v[215:216], v[152:153], v[24:25]
	v_mul_f64 v[24:25], v[154:155], v[24:25]
	v_add_f64 v[16:17], v[156:157], v[225:226]
	v_add_f64 v[156:157], v[219:220], v[223:224]
	v_fma_f64 v[219:220], v[4:5], v[18:19], v[227:228]
	v_fma_f64 v[18:19], v[2:3], v[18:19], -v[20:21]
	v_fma_f64 v[154:155], v[154:155], v[22:23], v[215:216]
	v_fma_f64 v[22:23], v[152:153], v[22:23], -v[24:25]
	v_add_f64 v[20:21], v[16:17], v[14:15]
	v_add_f64 v[156:157], v[156:157], v[217:218]
	ds_load_b128 v[2:5], v1 offset:1552
	ds_load_b128 v[14:17], v1 offset:1568
	s_waitcnt vmcnt(7) lgkmcnt(1)
	v_mul_f64 v[217:218], v[2:3], v[28:29]
	v_mul_f64 v[28:29], v[4:5], v[28:29]
	s_waitcnt vmcnt(6) lgkmcnt(0)
	v_mul_f64 v[24:25], v[14:15], v[32:33]
	v_mul_f64 v[32:33], v[16:17], v[32:33]
	v_add_f64 v[18:19], v[20:21], v[18:19]
	v_add_f64 v[20:21], v[156:157], v[219:220]
	v_fma_f64 v[152:153], v[4:5], v[26:27], v[217:218]
	v_fma_f64 v[26:27], v[2:3], v[26:27], -v[28:29]
	v_fma_f64 v[16:17], v[16:17], v[30:31], v[24:25]
	v_fma_f64 v[14:15], v[14:15], v[30:31], -v[32:33]
	v_add_f64 v[22:23], v[18:19], v[22:23]
	v_add_f64 v[28:29], v[20:21], v[154:155]
	ds_load_b128 v[2:5], v1 offset:1584
	ds_load_b128 v[18:21], v1 offset:1600
	s_waitcnt vmcnt(5) lgkmcnt(1)
	v_mul_f64 v[154:155], v[2:3], v[40:41]
	v_mul_f64 v[40:41], v[4:5], v[40:41]
	v_add_f64 v[22:23], v[22:23], v[26:27]
	v_add_f64 v[24:25], v[28:29], v[152:153]
	s_waitcnt vmcnt(3) lgkmcnt(0)
	v_mul_f64 v[26:27], v[18:19], v[165:166]
	v_mul_f64 v[28:29], v[20:21], v[165:166]
	v_fma_f64 v[30:31], v[4:5], v[38:39], v[154:155]
	v_fma_f64 v[32:33], v[2:3], v[38:39], -v[40:41]
	v_add_f64 v[22:23], v[22:23], v[14:15]
	v_add_f64 v[24:25], v[24:25], v[16:17]
	ds_load_b128 v[2:5], v1 offset:1616
	ds_load_b128 v[14:17], v1 offset:1632
	v_fma_f64 v[20:21], v[20:21], v[163:164], v[26:27]
	v_fma_f64 v[18:19], v[18:19], v[163:164], -v[28:29]
	s_waitcnt vmcnt(2) lgkmcnt(1)
	v_mul_f64 v[38:39], v[2:3], v[36:37]
	v_mul_f64 v[36:37], v[4:5], v[36:37]
	v_add_f64 v[22:23], v[22:23], v[32:33]
	v_add_f64 v[24:25], v[24:25], v[30:31]
	s_waitcnt vmcnt(1) lgkmcnt(0)
	v_mul_f64 v[26:27], v[14:15], v[8:9]
	v_mul_f64 v[8:9], v[16:17], v[8:9]
	v_fma_f64 v[28:29], v[4:5], v[34:35], v[38:39]
	v_fma_f64 v[30:31], v[2:3], v[34:35], -v[36:37]
	ds_load_b128 v[2:5], v1 offset:1648
	v_add_f64 v[18:19], v[22:23], v[18:19]
	v_add_f64 v[20:21], v[24:25], v[20:21]
	s_waitcnt vmcnt(0) lgkmcnt(0)
	v_mul_f64 v[22:23], v[2:3], v[12:13]
	v_mul_f64 v[12:13], v[4:5], v[12:13]
	v_fma_f64 v[16:17], v[16:17], v[6:7], v[26:27]
	v_fma_f64 v[6:7], v[14:15], v[6:7], -v[8:9]
	v_add_f64 v[8:9], v[18:19], v[30:31]
	v_add_f64 v[14:15], v[20:21], v[28:29]
	v_fma_f64 v[4:5], v[4:5], v[10:11], v[22:23]
	v_fma_f64 v[2:3], v[2:3], v[10:11], -v[12:13]
	s_delay_alu instid0(VALU_DEP_4) | instskip(NEXT) | instid1(VALU_DEP_4)
	v_add_f64 v[6:7], v[8:9], v[6:7]
	v_add_f64 v[8:9], v[14:15], v[16:17]
	s_delay_alu instid0(VALU_DEP_2) | instskip(NEXT) | instid1(VALU_DEP_2)
	v_add_f64 v[2:3], v[6:7], v[2:3]
	v_add_f64 v[4:5], v[8:9], v[4:5]
	s_delay_alu instid0(VALU_DEP_2) | instskip(NEXT) | instid1(VALU_DEP_2)
	v_add_f64 v[2:3], v[42:43], -v[2:3]
	v_add_f64 v[4:5], v[44:45], -v[4:5]
	scratch_store_b128 off, v[2:5], off offset:608
	v_cmpx_lt_u32_e32 37, v150
	s_cbranch_execz .LBB51_251
; %bb.250:
	scratch_load_b128 v[5:8], v210, off
	v_mov_b32_e32 v2, v1
	v_mov_b32_e32 v3, v1
	;; [unrolled: 1-line block ×3, first 2 shown]
	scratch_store_b128 off, v[1:4], off offset:592
	s_waitcnt vmcnt(0)
	ds_store_b128 v202, v[5:8]
.LBB51_251:
	s_or_b32 exec_lo, exec_lo, s2
	s_waitcnt lgkmcnt(0)
	s_waitcnt_vscnt null, 0x0
	s_barrier
	buffer_gl0_inv
	s_clause 0x8
	scratch_load_b128 v[2:5], off, off offset:608
	scratch_load_b128 v[6:9], off, off offset:624
	;; [unrolled: 1-line block ×9, first 2 shown]
	ds_load_b128 v[38:41], v1 offset:1440
	ds_load_b128 v[42:45], v1 offset:1456
	s_clause 0x1
	scratch_load_b128 v[152:155], off, off offset:592
	scratch_load_b128 v[163:166], off, off offset:752
	s_mov_b32 s2, exec_lo
	ds_load_b128 v[215:218], v1 offset:1488
	s_waitcnt vmcnt(10) lgkmcnt(2)
	v_mul_f64 v[156:157], v[40:41], v[4:5]
	v_mul_f64 v[4:5], v[38:39], v[4:5]
	s_waitcnt vmcnt(9) lgkmcnt(1)
	v_mul_f64 v[219:220], v[42:43], v[8:9]
	v_mul_f64 v[8:9], v[44:45], v[8:9]
	s_delay_alu instid0(VALU_DEP_4) | instskip(NEXT) | instid1(VALU_DEP_4)
	v_fma_f64 v[156:157], v[38:39], v[2:3], -v[156:157]
	v_fma_f64 v[221:222], v[40:41], v[2:3], v[4:5]
	ds_load_b128 v[2:5], v1 offset:1472
	scratch_load_b128 v[38:41], off, off offset:768
	v_fma_f64 v[44:45], v[44:45], v[6:7], v[219:220]
	v_fma_f64 v[42:43], v[42:43], v[6:7], -v[8:9]
	scratch_load_b128 v[6:9], off, off offset:784
	s_waitcnt vmcnt(10) lgkmcnt(0)
	v_mul_f64 v[223:224], v[2:3], v[12:13]
	v_mul_f64 v[12:13], v[4:5], v[12:13]
	v_add_f64 v[156:157], v[156:157], 0
	v_add_f64 v[219:220], v[221:222], 0
	s_waitcnt vmcnt(9)
	v_mul_f64 v[221:222], v[215:216], v[16:17]
	v_mul_f64 v[16:17], v[217:218], v[16:17]
	v_fma_f64 v[223:224], v[4:5], v[10:11], v[223:224]
	v_fma_f64 v[225:226], v[2:3], v[10:11], -v[12:13]
	ds_load_b128 v[2:5], v1 offset:1504
	scratch_load_b128 v[10:13], off, off offset:800
	v_add_f64 v[156:157], v[156:157], v[42:43]
	v_add_f64 v[219:220], v[219:220], v[44:45]
	ds_load_b128 v[42:45], v1 offset:1520
	v_fma_f64 v[217:218], v[217:218], v[14:15], v[221:222]
	v_fma_f64 v[215:216], v[215:216], v[14:15], -v[16:17]
	scratch_load_b128 v[14:17], off, off offset:816
	s_waitcnt vmcnt(10) lgkmcnt(1)
	v_mul_f64 v[227:228], v[2:3], v[20:21]
	v_mul_f64 v[20:21], v[4:5], v[20:21]
	s_waitcnt vmcnt(9) lgkmcnt(0)
	v_mul_f64 v[221:222], v[42:43], v[24:25]
	v_mul_f64 v[24:25], v[44:45], v[24:25]
	v_add_f64 v[156:157], v[156:157], v[225:226]
	v_add_f64 v[219:220], v[219:220], v[223:224]
	v_fma_f64 v[223:224], v[4:5], v[18:19], v[227:228]
	v_fma_f64 v[225:226], v[2:3], v[18:19], -v[20:21]
	ds_load_b128 v[2:5], v1 offset:1536
	ds_load_b128 v[18:21], v1 offset:1552
	v_fma_f64 v[44:45], v[44:45], v[22:23], v[221:222]
	v_fma_f64 v[22:23], v[42:43], v[22:23], -v[24:25]
	v_add_f64 v[156:157], v[156:157], v[215:216]
	v_add_f64 v[215:216], v[219:220], v[217:218]
	s_waitcnt vmcnt(8) lgkmcnt(1)
	v_mul_f64 v[217:218], v[2:3], v[28:29]
	v_mul_f64 v[28:29], v[4:5], v[28:29]
	s_delay_alu instid0(VALU_DEP_4) | instskip(NEXT) | instid1(VALU_DEP_4)
	v_add_f64 v[24:25], v[156:157], v[225:226]
	v_add_f64 v[42:43], v[215:216], v[223:224]
	s_waitcnt vmcnt(7) lgkmcnt(0)
	v_mul_f64 v[156:157], v[18:19], v[32:33]
	v_mul_f64 v[32:33], v[20:21], v[32:33]
	v_fma_f64 v[215:216], v[4:5], v[26:27], v[217:218]
	v_fma_f64 v[26:27], v[2:3], v[26:27], -v[28:29]
	v_add_f64 v[28:29], v[24:25], v[22:23]
	v_add_f64 v[42:43], v[42:43], v[44:45]
	ds_load_b128 v[2:5], v1 offset:1568
	ds_load_b128 v[22:25], v1 offset:1584
	v_fma_f64 v[20:21], v[20:21], v[30:31], v[156:157]
	v_fma_f64 v[18:19], v[18:19], v[30:31], -v[32:33]
	s_waitcnt vmcnt(6) lgkmcnt(1)
	v_mul_f64 v[44:45], v[2:3], v[36:37]
	v_mul_f64 v[36:37], v[4:5], v[36:37]
	s_waitcnt vmcnt(4) lgkmcnt(0)
	v_mul_f64 v[30:31], v[22:23], v[165:166]
	v_mul_f64 v[32:33], v[24:25], v[165:166]
	v_add_f64 v[26:27], v[28:29], v[26:27]
	v_add_f64 v[28:29], v[42:43], v[215:216]
	v_fma_f64 v[42:43], v[4:5], v[34:35], v[44:45]
	v_fma_f64 v[34:35], v[2:3], v[34:35], -v[36:37]
	v_fma_f64 v[24:25], v[24:25], v[163:164], v[30:31]
	v_fma_f64 v[22:23], v[22:23], v[163:164], -v[32:33]
	v_add_f64 v[26:27], v[26:27], v[18:19]
	v_add_f64 v[28:29], v[28:29], v[20:21]
	ds_load_b128 v[2:5], v1 offset:1600
	ds_load_b128 v[18:21], v1 offset:1616
	s_waitcnt vmcnt(3) lgkmcnt(1)
	v_mul_f64 v[36:37], v[2:3], v[40:41]
	v_mul_f64 v[40:41], v[4:5], v[40:41]
	s_waitcnt vmcnt(2) lgkmcnt(0)
	v_mul_f64 v[30:31], v[18:19], v[8:9]
	v_mul_f64 v[8:9], v[20:21], v[8:9]
	v_add_f64 v[26:27], v[26:27], v[34:35]
	v_add_f64 v[28:29], v[28:29], v[42:43]
	v_fma_f64 v[32:33], v[4:5], v[38:39], v[36:37]
	v_fma_f64 v[34:35], v[2:3], v[38:39], -v[40:41]
	v_fma_f64 v[20:21], v[20:21], v[6:7], v[30:31]
	v_fma_f64 v[6:7], v[18:19], v[6:7], -v[8:9]
	v_add_f64 v[26:27], v[26:27], v[22:23]
	v_add_f64 v[28:29], v[28:29], v[24:25]
	ds_load_b128 v[2:5], v1 offset:1632
	ds_load_b128 v[22:25], v1 offset:1648
	s_waitcnt vmcnt(1) lgkmcnt(1)
	v_mul_f64 v[36:37], v[2:3], v[12:13]
	v_mul_f64 v[12:13], v[4:5], v[12:13]
	v_add_f64 v[8:9], v[26:27], v[34:35]
	v_add_f64 v[18:19], v[28:29], v[32:33]
	s_waitcnt vmcnt(0) lgkmcnt(0)
	v_mul_f64 v[26:27], v[22:23], v[16:17]
	v_mul_f64 v[16:17], v[24:25], v[16:17]
	v_fma_f64 v[4:5], v[4:5], v[10:11], v[36:37]
	v_fma_f64 v[1:2], v[2:3], v[10:11], -v[12:13]
	v_add_f64 v[6:7], v[8:9], v[6:7]
	v_add_f64 v[8:9], v[18:19], v[20:21]
	v_fma_f64 v[10:11], v[24:25], v[14:15], v[26:27]
	v_fma_f64 v[12:13], v[22:23], v[14:15], -v[16:17]
	s_delay_alu instid0(VALU_DEP_4) | instskip(NEXT) | instid1(VALU_DEP_4)
	v_add_f64 v[1:2], v[6:7], v[1:2]
	v_add_f64 v[3:4], v[8:9], v[4:5]
	s_delay_alu instid0(VALU_DEP_2) | instskip(NEXT) | instid1(VALU_DEP_2)
	v_add_f64 v[1:2], v[1:2], v[12:13]
	v_add_f64 v[3:4], v[3:4], v[10:11]
	s_delay_alu instid0(VALU_DEP_2) | instskip(NEXT) | instid1(VALU_DEP_2)
	v_add_f64 v[1:2], v[152:153], -v[1:2]
	v_add_f64 v[3:4], v[154:155], -v[3:4]
	scratch_store_b128 off, v[1:4], off offset:592
	v_cmpx_lt_u32_e32 36, v150
	s_cbranch_execz .LBB51_253
; %bb.252:
	scratch_load_b128 v[1:4], v211, off
	v_mov_b32_e32 v5, 0
	s_delay_alu instid0(VALU_DEP_1)
	v_mov_b32_e32 v6, v5
	v_mov_b32_e32 v7, v5
	;; [unrolled: 1-line block ×3, first 2 shown]
	scratch_store_b128 off, v[5:8], off offset:576
	s_waitcnt vmcnt(0)
	ds_store_b128 v202, v[1:4]
.LBB51_253:
	s_or_b32 exec_lo, exec_lo, s2
	s_waitcnt lgkmcnt(0)
	s_waitcnt_vscnt null, 0x0
	s_barrier
	buffer_gl0_inv
	s_clause 0x7
	scratch_load_b128 v[2:5], off, off offset:592
	scratch_load_b128 v[6:9], off, off offset:608
	scratch_load_b128 v[10:13], off, off offset:624
	scratch_load_b128 v[14:17], off, off offset:640
	scratch_load_b128 v[18:21], off, off offset:656
	scratch_load_b128 v[22:25], off, off offset:672
	scratch_load_b128 v[26:29], off, off offset:688
	scratch_load_b128 v[30:33], off, off offset:704
	v_mov_b32_e32 v1, 0
	s_mov_b32 s2, exec_lo
	ds_load_b128 v[34:37], v1 offset:1424
	s_clause 0x1
	scratch_load_b128 v[38:41], off, off offset:720
	scratch_load_b128 v[42:45], off, off offset:576
	ds_load_b128 v[152:155], v1 offset:1440
	scratch_load_b128 v[163:166], off, off offset:736
	ds_load_b128 v[215:218], v1 offset:1472
	s_waitcnt vmcnt(10) lgkmcnt(2)
	v_mul_f64 v[156:157], v[36:37], v[4:5]
	v_mul_f64 v[4:5], v[34:35], v[4:5]
	s_delay_alu instid0(VALU_DEP_2) | instskip(NEXT) | instid1(VALU_DEP_2)
	v_fma_f64 v[156:157], v[34:35], v[2:3], -v[156:157]
	v_fma_f64 v[221:222], v[36:37], v[2:3], v[4:5]
	ds_load_b128 v[2:5], v1 offset:1456
	s_waitcnt vmcnt(9) lgkmcnt(2)
	v_mul_f64 v[219:220], v[152:153], v[8:9]
	v_mul_f64 v[8:9], v[154:155], v[8:9]
	scratch_load_b128 v[34:37], off, off offset:752
	s_waitcnt vmcnt(9) lgkmcnt(0)
	v_mul_f64 v[223:224], v[2:3], v[12:13]
	v_mul_f64 v[12:13], v[4:5], v[12:13]
	v_add_f64 v[156:157], v[156:157], 0
	v_fma_f64 v[154:155], v[154:155], v[6:7], v[219:220]
	v_fma_f64 v[152:153], v[152:153], v[6:7], -v[8:9]
	v_add_f64 v[219:220], v[221:222], 0
	scratch_load_b128 v[6:9], off, off offset:768
	v_fma_f64 v[223:224], v[4:5], v[10:11], v[223:224]
	v_fma_f64 v[225:226], v[2:3], v[10:11], -v[12:13]
	scratch_load_b128 v[10:13], off, off offset:784
	ds_load_b128 v[2:5], v1 offset:1488
	s_waitcnt vmcnt(10)
	v_mul_f64 v[221:222], v[215:216], v[16:17]
	v_mul_f64 v[16:17], v[217:218], v[16:17]
	v_add_f64 v[156:157], v[156:157], v[152:153]
	v_add_f64 v[219:220], v[219:220], v[154:155]
	ds_load_b128 v[152:155], v1 offset:1504
	s_waitcnt vmcnt(9) lgkmcnt(1)
	v_mul_f64 v[227:228], v[2:3], v[20:21]
	v_mul_f64 v[20:21], v[4:5], v[20:21]
	v_fma_f64 v[217:218], v[217:218], v[14:15], v[221:222]
	v_fma_f64 v[215:216], v[215:216], v[14:15], -v[16:17]
	scratch_load_b128 v[14:17], off, off offset:800
	v_add_f64 v[156:157], v[156:157], v[225:226]
	v_add_f64 v[219:220], v[219:220], v[223:224]
	v_fma_f64 v[223:224], v[4:5], v[18:19], v[227:228]
	v_fma_f64 v[225:226], v[2:3], v[18:19], -v[20:21]
	scratch_load_b128 v[18:21], off, off offset:816
	ds_load_b128 v[2:5], v1 offset:1520
	s_waitcnt vmcnt(10) lgkmcnt(1)
	v_mul_f64 v[221:222], v[152:153], v[24:25]
	v_mul_f64 v[24:25], v[154:155], v[24:25]
	s_waitcnt vmcnt(9) lgkmcnt(0)
	v_mul_f64 v[227:228], v[2:3], v[28:29]
	v_mul_f64 v[28:29], v[4:5], v[28:29]
	v_add_f64 v[156:157], v[156:157], v[215:216]
	v_add_f64 v[219:220], v[219:220], v[217:218]
	ds_load_b128 v[215:218], v1 offset:1536
	v_fma_f64 v[154:155], v[154:155], v[22:23], v[221:222]
	v_fma_f64 v[22:23], v[152:153], v[22:23], -v[24:25]
	v_add_f64 v[24:25], v[156:157], v[225:226]
	v_add_f64 v[152:153], v[219:220], v[223:224]
	s_waitcnt vmcnt(8) lgkmcnt(0)
	v_mul_f64 v[156:157], v[215:216], v[32:33]
	v_mul_f64 v[32:33], v[217:218], v[32:33]
	v_fma_f64 v[219:220], v[4:5], v[26:27], v[227:228]
	v_fma_f64 v[26:27], v[2:3], v[26:27], -v[28:29]
	v_add_f64 v[28:29], v[24:25], v[22:23]
	v_add_f64 v[152:153], v[152:153], v[154:155]
	ds_load_b128 v[2:5], v1 offset:1552
	ds_load_b128 v[22:25], v1 offset:1568
	v_fma_f64 v[156:157], v[217:218], v[30:31], v[156:157]
	v_fma_f64 v[30:31], v[215:216], v[30:31], -v[32:33]
	s_waitcnt vmcnt(7) lgkmcnt(1)
	v_mul_f64 v[154:155], v[2:3], v[40:41]
	v_mul_f64 v[40:41], v[4:5], v[40:41]
	s_waitcnt vmcnt(5) lgkmcnt(0)
	v_mul_f64 v[32:33], v[22:23], v[165:166]
	v_add_f64 v[26:27], v[28:29], v[26:27]
	v_add_f64 v[28:29], v[152:153], v[219:220]
	v_mul_f64 v[152:153], v[24:25], v[165:166]
	v_fma_f64 v[154:155], v[4:5], v[38:39], v[154:155]
	v_fma_f64 v[38:39], v[2:3], v[38:39], -v[40:41]
	v_fma_f64 v[24:25], v[24:25], v[163:164], v[32:33]
	v_add_f64 v[30:31], v[26:27], v[30:31]
	v_add_f64 v[40:41], v[28:29], v[156:157]
	ds_load_b128 v[2:5], v1 offset:1584
	ds_load_b128 v[26:29], v1 offset:1600
	v_fma_f64 v[22:23], v[22:23], v[163:164], -v[152:153]
	s_waitcnt vmcnt(4) lgkmcnt(1)
	v_mul_f64 v[156:157], v[2:3], v[36:37]
	v_mul_f64 v[36:37], v[4:5], v[36:37]
	v_add_f64 v[30:31], v[30:31], v[38:39]
	v_add_f64 v[32:33], v[40:41], v[154:155]
	s_waitcnt vmcnt(3) lgkmcnt(0)
	v_mul_f64 v[38:39], v[26:27], v[8:9]
	v_mul_f64 v[8:9], v[28:29], v[8:9]
	v_fma_f64 v[40:41], v[4:5], v[34:35], v[156:157]
	v_fma_f64 v[34:35], v[2:3], v[34:35], -v[36:37]
	v_add_f64 v[30:31], v[30:31], v[22:23]
	v_add_f64 v[32:33], v[32:33], v[24:25]
	ds_load_b128 v[2:5], v1 offset:1616
	ds_load_b128 v[22:25], v1 offset:1632
	v_fma_f64 v[28:29], v[28:29], v[6:7], v[38:39]
	v_fma_f64 v[6:7], v[26:27], v[6:7], -v[8:9]
	s_waitcnt vmcnt(2) lgkmcnt(1)
	v_mul_f64 v[36:37], v[2:3], v[12:13]
	v_mul_f64 v[12:13], v[4:5], v[12:13]
	v_add_f64 v[8:9], v[30:31], v[34:35]
	v_add_f64 v[26:27], v[32:33], v[40:41]
	s_waitcnt vmcnt(1) lgkmcnt(0)
	v_mul_f64 v[30:31], v[22:23], v[16:17]
	v_mul_f64 v[16:17], v[24:25], v[16:17]
	v_fma_f64 v[32:33], v[4:5], v[10:11], v[36:37]
	v_fma_f64 v[10:11], v[2:3], v[10:11], -v[12:13]
	ds_load_b128 v[2:5], v1 offset:1648
	v_add_f64 v[6:7], v[8:9], v[6:7]
	v_add_f64 v[8:9], v[26:27], v[28:29]
	v_fma_f64 v[24:25], v[24:25], v[14:15], v[30:31]
	v_fma_f64 v[14:15], v[22:23], v[14:15], -v[16:17]
	s_waitcnt vmcnt(0) lgkmcnt(0)
	v_mul_f64 v[12:13], v[2:3], v[20:21]
	v_mul_f64 v[20:21], v[4:5], v[20:21]
	v_add_f64 v[6:7], v[6:7], v[10:11]
	v_add_f64 v[8:9], v[8:9], v[32:33]
	s_delay_alu instid0(VALU_DEP_4) | instskip(NEXT) | instid1(VALU_DEP_4)
	v_fma_f64 v[4:5], v[4:5], v[18:19], v[12:13]
	v_fma_f64 v[2:3], v[2:3], v[18:19], -v[20:21]
	s_delay_alu instid0(VALU_DEP_4) | instskip(NEXT) | instid1(VALU_DEP_4)
	v_add_f64 v[6:7], v[6:7], v[14:15]
	v_add_f64 v[8:9], v[8:9], v[24:25]
	s_delay_alu instid0(VALU_DEP_2) | instskip(NEXT) | instid1(VALU_DEP_2)
	v_add_f64 v[2:3], v[6:7], v[2:3]
	v_add_f64 v[4:5], v[8:9], v[4:5]
	s_delay_alu instid0(VALU_DEP_2) | instskip(NEXT) | instid1(VALU_DEP_2)
	v_add_f64 v[2:3], v[42:43], -v[2:3]
	v_add_f64 v[4:5], v[44:45], -v[4:5]
	scratch_store_b128 off, v[2:5], off offset:576
	v_cmpx_lt_u32_e32 35, v150
	s_cbranch_execz .LBB51_255
; %bb.254:
	scratch_load_b128 v[5:8], v212, off
	v_mov_b32_e32 v2, v1
	v_mov_b32_e32 v3, v1
	;; [unrolled: 1-line block ×3, first 2 shown]
	scratch_store_b128 off, v[1:4], off offset:560
	s_waitcnt vmcnt(0)
	ds_store_b128 v202, v[5:8]
.LBB51_255:
	s_or_b32 exec_lo, exec_lo, s2
	s_waitcnt lgkmcnt(0)
	s_waitcnt_vscnt null, 0x0
	s_barrier
	buffer_gl0_inv
	s_clause 0x8
	scratch_load_b128 v[2:5], off, off offset:576
	scratch_load_b128 v[6:9], off, off offset:592
	;; [unrolled: 1-line block ×9, first 2 shown]
	ds_load_b128 v[38:41], v1 offset:1408
	ds_load_b128 v[42:45], v1 offset:1424
	s_clause 0x1
	scratch_load_b128 v[152:155], off, off offset:560
	scratch_load_b128 v[163:166], off, off offset:720
	s_mov_b32 s2, exec_lo
	ds_load_b128 v[215:218], v1 offset:1456
	s_waitcnt vmcnt(10) lgkmcnt(2)
	v_mul_f64 v[156:157], v[40:41], v[4:5]
	v_mul_f64 v[4:5], v[38:39], v[4:5]
	s_waitcnt vmcnt(9) lgkmcnt(1)
	v_mul_f64 v[219:220], v[42:43], v[8:9]
	v_mul_f64 v[8:9], v[44:45], v[8:9]
	s_delay_alu instid0(VALU_DEP_4) | instskip(NEXT) | instid1(VALU_DEP_4)
	v_fma_f64 v[156:157], v[38:39], v[2:3], -v[156:157]
	v_fma_f64 v[221:222], v[40:41], v[2:3], v[4:5]
	ds_load_b128 v[2:5], v1 offset:1440
	scratch_load_b128 v[38:41], off, off offset:736
	v_fma_f64 v[44:45], v[44:45], v[6:7], v[219:220]
	v_fma_f64 v[42:43], v[42:43], v[6:7], -v[8:9]
	scratch_load_b128 v[6:9], off, off offset:752
	s_waitcnt vmcnt(10) lgkmcnt(0)
	v_mul_f64 v[223:224], v[2:3], v[12:13]
	v_mul_f64 v[12:13], v[4:5], v[12:13]
	v_add_f64 v[156:157], v[156:157], 0
	v_add_f64 v[219:220], v[221:222], 0
	s_waitcnt vmcnt(9)
	v_mul_f64 v[221:222], v[215:216], v[16:17]
	v_mul_f64 v[16:17], v[217:218], v[16:17]
	v_fma_f64 v[223:224], v[4:5], v[10:11], v[223:224]
	v_fma_f64 v[225:226], v[2:3], v[10:11], -v[12:13]
	ds_load_b128 v[2:5], v1 offset:1472
	scratch_load_b128 v[10:13], off, off offset:768
	v_add_f64 v[156:157], v[156:157], v[42:43]
	v_add_f64 v[219:220], v[219:220], v[44:45]
	ds_load_b128 v[42:45], v1 offset:1488
	v_fma_f64 v[217:218], v[217:218], v[14:15], v[221:222]
	v_fma_f64 v[215:216], v[215:216], v[14:15], -v[16:17]
	scratch_load_b128 v[14:17], off, off offset:784
	s_waitcnt vmcnt(10) lgkmcnt(1)
	v_mul_f64 v[227:228], v[2:3], v[20:21]
	v_mul_f64 v[20:21], v[4:5], v[20:21]
	s_waitcnt vmcnt(9) lgkmcnt(0)
	v_mul_f64 v[221:222], v[42:43], v[24:25]
	v_mul_f64 v[24:25], v[44:45], v[24:25]
	v_add_f64 v[156:157], v[156:157], v[225:226]
	v_add_f64 v[219:220], v[219:220], v[223:224]
	v_fma_f64 v[223:224], v[4:5], v[18:19], v[227:228]
	v_fma_f64 v[225:226], v[2:3], v[18:19], -v[20:21]
	ds_load_b128 v[2:5], v1 offset:1504
	scratch_load_b128 v[18:21], off, off offset:800
	v_fma_f64 v[44:45], v[44:45], v[22:23], v[221:222]
	v_fma_f64 v[42:43], v[42:43], v[22:23], -v[24:25]
	scratch_load_b128 v[22:25], off, off offset:816
	v_add_f64 v[156:157], v[156:157], v[215:216]
	v_add_f64 v[219:220], v[219:220], v[217:218]
	ds_load_b128 v[215:218], v1 offset:1520
	s_waitcnt vmcnt(10) lgkmcnt(1)
	v_mul_f64 v[227:228], v[2:3], v[28:29]
	v_mul_f64 v[28:29], v[4:5], v[28:29]
	s_waitcnt vmcnt(9) lgkmcnt(0)
	v_mul_f64 v[221:222], v[215:216], v[32:33]
	v_mul_f64 v[32:33], v[217:218], v[32:33]
	v_add_f64 v[156:157], v[156:157], v[225:226]
	v_add_f64 v[219:220], v[219:220], v[223:224]
	v_fma_f64 v[223:224], v[4:5], v[26:27], v[227:228]
	v_fma_f64 v[225:226], v[2:3], v[26:27], -v[28:29]
	ds_load_b128 v[2:5], v1 offset:1536
	ds_load_b128 v[26:29], v1 offset:1552
	v_fma_f64 v[217:218], v[217:218], v[30:31], v[221:222]
	v_fma_f64 v[30:31], v[215:216], v[30:31], -v[32:33]
	v_add_f64 v[42:43], v[156:157], v[42:43]
	v_add_f64 v[44:45], v[219:220], v[44:45]
	s_waitcnt vmcnt(8) lgkmcnt(1)
	v_mul_f64 v[156:157], v[2:3], v[36:37]
	v_mul_f64 v[36:37], v[4:5], v[36:37]
	s_delay_alu instid0(VALU_DEP_4) | instskip(NEXT) | instid1(VALU_DEP_4)
	v_add_f64 v[32:33], v[42:43], v[225:226]
	v_add_f64 v[42:43], v[44:45], v[223:224]
	s_waitcnt vmcnt(6) lgkmcnt(0)
	v_mul_f64 v[44:45], v[26:27], v[165:166]
	v_mul_f64 v[165:166], v[28:29], v[165:166]
	v_fma_f64 v[156:157], v[4:5], v[34:35], v[156:157]
	v_fma_f64 v[34:35], v[2:3], v[34:35], -v[36:37]
	v_add_f64 v[36:37], v[32:33], v[30:31]
	v_add_f64 v[42:43], v[42:43], v[217:218]
	ds_load_b128 v[2:5], v1 offset:1568
	ds_load_b128 v[30:33], v1 offset:1584
	v_fma_f64 v[28:29], v[28:29], v[163:164], v[44:45]
	v_fma_f64 v[26:27], v[26:27], v[163:164], -v[165:166]
	s_waitcnt vmcnt(5) lgkmcnt(1)
	v_mul_f64 v[215:216], v[2:3], v[40:41]
	v_mul_f64 v[40:41], v[4:5], v[40:41]
	v_add_f64 v[34:35], v[36:37], v[34:35]
	v_add_f64 v[36:37], v[42:43], v[156:157]
	s_waitcnt vmcnt(4) lgkmcnt(0)
	v_mul_f64 v[42:43], v[30:31], v[8:9]
	v_mul_f64 v[8:9], v[32:33], v[8:9]
	v_fma_f64 v[44:45], v[4:5], v[38:39], v[215:216]
	v_fma_f64 v[38:39], v[2:3], v[38:39], -v[40:41]
	v_add_f64 v[34:35], v[34:35], v[26:27]
	v_add_f64 v[36:37], v[36:37], v[28:29]
	ds_load_b128 v[2:5], v1 offset:1600
	ds_load_b128 v[26:29], v1 offset:1616
	v_fma_f64 v[32:33], v[32:33], v[6:7], v[42:43]
	v_fma_f64 v[6:7], v[30:31], v[6:7], -v[8:9]
	s_waitcnt vmcnt(3) lgkmcnt(1)
	v_mul_f64 v[40:41], v[2:3], v[12:13]
	v_mul_f64 v[12:13], v[4:5], v[12:13]
	;; [unrolled: 16-line block ×3, first 2 shown]
	s_waitcnt vmcnt(0) lgkmcnt(0)
	v_mul_f64 v[16:17], v[6:7], v[24:25]
	v_mul_f64 v[24:25], v[8:9], v[24:25]
	v_add_f64 v[10:11], v[12:13], v[10:11]
	v_add_f64 v[12:13], v[30:31], v[36:37]
	v_fma_f64 v[4:5], v[4:5], v[18:19], v[32:33]
	v_fma_f64 v[1:2], v[2:3], v[18:19], -v[20:21]
	v_fma_f64 v[8:9], v[8:9], v[22:23], v[16:17]
	v_fma_f64 v[6:7], v[6:7], v[22:23], -v[24:25]
	v_add_f64 v[10:11], v[10:11], v[14:15]
	v_add_f64 v[12:13], v[12:13], v[28:29]
	s_delay_alu instid0(VALU_DEP_2) | instskip(NEXT) | instid1(VALU_DEP_2)
	v_add_f64 v[1:2], v[10:11], v[1:2]
	v_add_f64 v[3:4], v[12:13], v[4:5]
	s_delay_alu instid0(VALU_DEP_2) | instskip(NEXT) | instid1(VALU_DEP_2)
	;; [unrolled: 3-line block ×3, first 2 shown]
	v_add_f64 v[1:2], v[152:153], -v[1:2]
	v_add_f64 v[3:4], v[154:155], -v[3:4]
	scratch_store_b128 off, v[1:4], off offset:560
	v_cmpx_lt_u32_e32 34, v150
	s_cbranch_execz .LBB51_257
; %bb.256:
	scratch_load_b128 v[1:4], v213, off
	v_mov_b32_e32 v5, 0
	s_delay_alu instid0(VALU_DEP_1)
	v_mov_b32_e32 v6, v5
	v_mov_b32_e32 v7, v5
	;; [unrolled: 1-line block ×3, first 2 shown]
	scratch_store_b128 off, v[5:8], off offset:544
	s_waitcnt vmcnt(0)
	ds_store_b128 v202, v[1:4]
.LBB51_257:
	s_or_b32 exec_lo, exec_lo, s2
	s_waitcnt lgkmcnt(0)
	s_waitcnt_vscnt null, 0x0
	s_barrier
	buffer_gl0_inv
	s_clause 0x7
	scratch_load_b128 v[2:5], off, off offset:560
	scratch_load_b128 v[6:9], off, off offset:576
	;; [unrolled: 1-line block ×8, first 2 shown]
	v_mov_b32_e32 v1, 0
	s_mov_b32 s2, exec_lo
	ds_load_b128 v[34:37], v1 offset:1392
	s_clause 0x1
	scratch_load_b128 v[38:41], off, off offset:688
	scratch_load_b128 v[42:45], off, off offset:544
	ds_load_b128 v[152:155], v1 offset:1408
	scratch_load_b128 v[163:166], off, off offset:704
	ds_load_b128 v[215:218], v1 offset:1440
	s_waitcnt vmcnt(10) lgkmcnt(2)
	v_mul_f64 v[156:157], v[36:37], v[4:5]
	v_mul_f64 v[4:5], v[34:35], v[4:5]
	s_delay_alu instid0(VALU_DEP_2) | instskip(NEXT) | instid1(VALU_DEP_2)
	v_fma_f64 v[156:157], v[34:35], v[2:3], -v[156:157]
	v_fma_f64 v[221:222], v[36:37], v[2:3], v[4:5]
	ds_load_b128 v[2:5], v1 offset:1424
	s_waitcnt vmcnt(9) lgkmcnt(2)
	v_mul_f64 v[219:220], v[152:153], v[8:9]
	v_mul_f64 v[8:9], v[154:155], v[8:9]
	scratch_load_b128 v[34:37], off, off offset:720
	s_waitcnt vmcnt(9) lgkmcnt(0)
	v_mul_f64 v[223:224], v[2:3], v[12:13]
	v_mul_f64 v[12:13], v[4:5], v[12:13]
	v_add_f64 v[156:157], v[156:157], 0
	v_fma_f64 v[154:155], v[154:155], v[6:7], v[219:220]
	v_fma_f64 v[152:153], v[152:153], v[6:7], -v[8:9]
	v_add_f64 v[219:220], v[221:222], 0
	scratch_load_b128 v[6:9], off, off offset:736
	v_fma_f64 v[223:224], v[4:5], v[10:11], v[223:224]
	v_fma_f64 v[225:226], v[2:3], v[10:11], -v[12:13]
	scratch_load_b128 v[10:13], off, off offset:752
	ds_load_b128 v[2:5], v1 offset:1456
	s_waitcnt vmcnt(10)
	v_mul_f64 v[221:222], v[215:216], v[16:17]
	v_mul_f64 v[16:17], v[217:218], v[16:17]
	v_add_f64 v[156:157], v[156:157], v[152:153]
	v_add_f64 v[219:220], v[219:220], v[154:155]
	ds_load_b128 v[152:155], v1 offset:1472
	s_waitcnt vmcnt(9) lgkmcnt(1)
	v_mul_f64 v[227:228], v[2:3], v[20:21]
	v_mul_f64 v[20:21], v[4:5], v[20:21]
	v_fma_f64 v[217:218], v[217:218], v[14:15], v[221:222]
	v_fma_f64 v[215:216], v[215:216], v[14:15], -v[16:17]
	scratch_load_b128 v[14:17], off, off offset:768
	v_add_f64 v[156:157], v[156:157], v[225:226]
	v_add_f64 v[219:220], v[219:220], v[223:224]
	v_fma_f64 v[223:224], v[4:5], v[18:19], v[227:228]
	v_fma_f64 v[225:226], v[2:3], v[18:19], -v[20:21]
	scratch_load_b128 v[18:21], off, off offset:784
	ds_load_b128 v[2:5], v1 offset:1488
	s_waitcnt vmcnt(10) lgkmcnt(1)
	v_mul_f64 v[221:222], v[152:153], v[24:25]
	v_mul_f64 v[24:25], v[154:155], v[24:25]
	s_waitcnt vmcnt(9) lgkmcnt(0)
	v_mul_f64 v[227:228], v[2:3], v[28:29]
	v_mul_f64 v[28:29], v[4:5], v[28:29]
	v_add_f64 v[156:157], v[156:157], v[215:216]
	v_add_f64 v[219:220], v[219:220], v[217:218]
	ds_load_b128 v[215:218], v1 offset:1504
	v_fma_f64 v[154:155], v[154:155], v[22:23], v[221:222]
	v_fma_f64 v[152:153], v[152:153], v[22:23], -v[24:25]
	scratch_load_b128 v[22:25], off, off offset:800
	v_add_f64 v[156:157], v[156:157], v[225:226]
	v_add_f64 v[219:220], v[219:220], v[223:224]
	v_fma_f64 v[223:224], v[4:5], v[26:27], v[227:228]
	v_fma_f64 v[225:226], v[2:3], v[26:27], -v[28:29]
	scratch_load_b128 v[26:29], off, off offset:816
	ds_load_b128 v[2:5], v1 offset:1520
	s_waitcnt vmcnt(10) lgkmcnt(1)
	v_mul_f64 v[221:222], v[215:216], v[32:33]
	v_mul_f64 v[32:33], v[217:218], v[32:33]
	s_waitcnt vmcnt(9) lgkmcnt(0)
	v_mul_f64 v[227:228], v[2:3], v[40:41]
	v_mul_f64 v[40:41], v[4:5], v[40:41]
	v_add_f64 v[156:157], v[156:157], v[152:153]
	v_add_f64 v[219:220], v[219:220], v[154:155]
	ds_load_b128 v[152:155], v1 offset:1536
	v_fma_f64 v[217:218], v[217:218], v[30:31], v[221:222]
	v_fma_f64 v[30:31], v[215:216], v[30:31], -v[32:33]
	s_waitcnt vmcnt(7) lgkmcnt(0)
	v_mul_f64 v[215:216], v[152:153], v[165:166]
	v_mul_f64 v[165:166], v[154:155], v[165:166]
	v_add_f64 v[32:33], v[156:157], v[225:226]
	v_add_f64 v[156:157], v[219:220], v[223:224]
	v_fma_f64 v[219:220], v[4:5], v[38:39], v[227:228]
	v_fma_f64 v[38:39], v[2:3], v[38:39], -v[40:41]
	v_fma_f64 v[154:155], v[154:155], v[163:164], v[215:216]
	v_fma_f64 v[152:153], v[152:153], v[163:164], -v[165:166]
	v_add_f64 v[40:41], v[32:33], v[30:31]
	v_add_f64 v[156:157], v[156:157], v[217:218]
	ds_load_b128 v[2:5], v1 offset:1552
	ds_load_b128 v[30:33], v1 offset:1568
	s_waitcnt vmcnt(6) lgkmcnt(1)
	v_mul_f64 v[217:218], v[2:3], v[36:37]
	v_mul_f64 v[36:37], v[4:5], v[36:37]
	v_add_f64 v[38:39], v[40:41], v[38:39]
	v_add_f64 v[40:41], v[156:157], v[219:220]
	s_waitcnt vmcnt(5) lgkmcnt(0)
	v_mul_f64 v[156:157], v[30:31], v[8:9]
	v_mul_f64 v[8:9], v[32:33], v[8:9]
	v_fma_f64 v[163:164], v[4:5], v[34:35], v[217:218]
	v_fma_f64 v[165:166], v[2:3], v[34:35], -v[36:37]
	ds_load_b128 v[2:5], v1 offset:1584
	ds_load_b128 v[34:37], v1 offset:1600
	v_add_f64 v[38:39], v[38:39], v[152:153]
	v_add_f64 v[40:41], v[40:41], v[154:155]
	s_waitcnt vmcnt(4) lgkmcnt(1)
	v_mul_f64 v[152:153], v[2:3], v[12:13]
	v_mul_f64 v[12:13], v[4:5], v[12:13]
	v_fma_f64 v[32:33], v[32:33], v[6:7], v[156:157]
	v_fma_f64 v[6:7], v[30:31], v[6:7], -v[8:9]
	v_add_f64 v[8:9], v[38:39], v[165:166]
	v_add_f64 v[30:31], v[40:41], v[163:164]
	s_waitcnt vmcnt(3) lgkmcnt(0)
	v_mul_f64 v[38:39], v[34:35], v[16:17]
	v_mul_f64 v[16:17], v[36:37], v[16:17]
	v_fma_f64 v[40:41], v[4:5], v[10:11], v[152:153]
	v_fma_f64 v[10:11], v[2:3], v[10:11], -v[12:13]
	v_add_f64 v[12:13], v[8:9], v[6:7]
	v_add_f64 v[30:31], v[30:31], v[32:33]
	ds_load_b128 v[2:5], v1 offset:1616
	ds_load_b128 v[6:9], v1 offset:1632
	v_fma_f64 v[36:37], v[36:37], v[14:15], v[38:39]
	v_fma_f64 v[14:15], v[34:35], v[14:15], -v[16:17]
	s_waitcnt vmcnt(2) lgkmcnt(1)
	v_mul_f64 v[32:33], v[2:3], v[20:21]
	v_mul_f64 v[20:21], v[4:5], v[20:21]
	s_waitcnt vmcnt(1) lgkmcnt(0)
	v_mul_f64 v[16:17], v[6:7], v[24:25]
	v_mul_f64 v[24:25], v[8:9], v[24:25]
	v_add_f64 v[10:11], v[12:13], v[10:11]
	v_add_f64 v[12:13], v[30:31], v[40:41]
	v_fma_f64 v[30:31], v[4:5], v[18:19], v[32:33]
	v_fma_f64 v[18:19], v[2:3], v[18:19], -v[20:21]
	ds_load_b128 v[2:5], v1 offset:1648
	v_fma_f64 v[8:9], v[8:9], v[22:23], v[16:17]
	v_fma_f64 v[6:7], v[6:7], v[22:23], -v[24:25]
	v_add_f64 v[10:11], v[10:11], v[14:15]
	v_add_f64 v[12:13], v[12:13], v[36:37]
	s_waitcnt vmcnt(0) lgkmcnt(0)
	v_mul_f64 v[14:15], v[2:3], v[28:29]
	v_mul_f64 v[20:21], v[4:5], v[28:29]
	s_delay_alu instid0(VALU_DEP_4) | instskip(NEXT) | instid1(VALU_DEP_4)
	v_add_f64 v[10:11], v[10:11], v[18:19]
	v_add_f64 v[12:13], v[12:13], v[30:31]
	s_delay_alu instid0(VALU_DEP_4) | instskip(NEXT) | instid1(VALU_DEP_4)
	v_fma_f64 v[4:5], v[4:5], v[26:27], v[14:15]
	v_fma_f64 v[2:3], v[2:3], v[26:27], -v[20:21]
	s_delay_alu instid0(VALU_DEP_4) | instskip(NEXT) | instid1(VALU_DEP_4)
	v_add_f64 v[6:7], v[10:11], v[6:7]
	v_add_f64 v[8:9], v[12:13], v[8:9]
	s_delay_alu instid0(VALU_DEP_2) | instskip(NEXT) | instid1(VALU_DEP_2)
	v_add_f64 v[2:3], v[6:7], v[2:3]
	v_add_f64 v[4:5], v[8:9], v[4:5]
	s_delay_alu instid0(VALU_DEP_2) | instskip(NEXT) | instid1(VALU_DEP_2)
	v_add_f64 v[2:3], v[42:43], -v[2:3]
	v_add_f64 v[4:5], v[44:45], -v[4:5]
	scratch_store_b128 off, v[2:5], off offset:544
	v_cmpx_lt_u32_e32 33, v150
	s_cbranch_execz .LBB51_259
; %bb.258:
	scratch_load_b128 v[5:8], v214, off
	v_mov_b32_e32 v2, v1
	v_mov_b32_e32 v3, v1
	;; [unrolled: 1-line block ×3, first 2 shown]
	scratch_store_b128 off, v[1:4], off offset:528
	s_waitcnt vmcnt(0)
	ds_store_b128 v202, v[5:8]
.LBB51_259:
	s_or_b32 exec_lo, exec_lo, s2
	s_waitcnt lgkmcnt(0)
	s_waitcnt_vscnt null, 0x0
	s_barrier
	buffer_gl0_inv
	s_clause 0x8
	scratch_load_b128 v[2:5], off, off offset:544
	scratch_load_b128 v[6:9], off, off offset:560
	;; [unrolled: 1-line block ×9, first 2 shown]
	ds_load_b128 v[38:41], v1 offset:1376
	ds_load_b128 v[42:45], v1 offset:1392
	s_clause 0x1
	scratch_load_b128 v[152:155], off, off offset:528
	scratch_load_b128 v[163:166], off, off offset:688
	s_mov_b32 s2, exec_lo
	ds_load_b128 v[215:218], v1 offset:1424
	s_waitcnt vmcnt(10) lgkmcnt(2)
	v_mul_f64 v[156:157], v[40:41], v[4:5]
	v_mul_f64 v[4:5], v[38:39], v[4:5]
	s_waitcnt vmcnt(9) lgkmcnt(1)
	v_mul_f64 v[219:220], v[42:43], v[8:9]
	v_mul_f64 v[8:9], v[44:45], v[8:9]
	s_delay_alu instid0(VALU_DEP_4) | instskip(NEXT) | instid1(VALU_DEP_4)
	v_fma_f64 v[156:157], v[38:39], v[2:3], -v[156:157]
	v_fma_f64 v[221:222], v[40:41], v[2:3], v[4:5]
	ds_load_b128 v[2:5], v1 offset:1408
	scratch_load_b128 v[38:41], off, off offset:704
	v_fma_f64 v[44:45], v[44:45], v[6:7], v[219:220]
	v_fma_f64 v[42:43], v[42:43], v[6:7], -v[8:9]
	scratch_load_b128 v[6:9], off, off offset:720
	s_waitcnt vmcnt(10) lgkmcnt(0)
	v_mul_f64 v[223:224], v[2:3], v[12:13]
	v_mul_f64 v[12:13], v[4:5], v[12:13]
	v_add_f64 v[156:157], v[156:157], 0
	v_add_f64 v[219:220], v[221:222], 0
	s_waitcnt vmcnt(9)
	v_mul_f64 v[221:222], v[215:216], v[16:17]
	v_mul_f64 v[16:17], v[217:218], v[16:17]
	v_fma_f64 v[223:224], v[4:5], v[10:11], v[223:224]
	v_fma_f64 v[225:226], v[2:3], v[10:11], -v[12:13]
	ds_load_b128 v[2:5], v1 offset:1440
	scratch_load_b128 v[10:13], off, off offset:736
	v_add_f64 v[156:157], v[156:157], v[42:43]
	v_add_f64 v[219:220], v[219:220], v[44:45]
	ds_load_b128 v[42:45], v1 offset:1456
	v_fma_f64 v[217:218], v[217:218], v[14:15], v[221:222]
	v_fma_f64 v[215:216], v[215:216], v[14:15], -v[16:17]
	scratch_load_b128 v[14:17], off, off offset:752
	s_waitcnt vmcnt(10) lgkmcnt(1)
	v_mul_f64 v[227:228], v[2:3], v[20:21]
	v_mul_f64 v[20:21], v[4:5], v[20:21]
	s_waitcnt vmcnt(9) lgkmcnt(0)
	v_mul_f64 v[221:222], v[42:43], v[24:25]
	v_mul_f64 v[24:25], v[44:45], v[24:25]
	v_add_f64 v[156:157], v[156:157], v[225:226]
	v_add_f64 v[219:220], v[219:220], v[223:224]
	v_fma_f64 v[223:224], v[4:5], v[18:19], v[227:228]
	v_fma_f64 v[225:226], v[2:3], v[18:19], -v[20:21]
	ds_load_b128 v[2:5], v1 offset:1472
	scratch_load_b128 v[18:21], off, off offset:768
	v_fma_f64 v[44:45], v[44:45], v[22:23], v[221:222]
	v_fma_f64 v[42:43], v[42:43], v[22:23], -v[24:25]
	scratch_load_b128 v[22:25], off, off offset:784
	v_add_f64 v[156:157], v[156:157], v[215:216]
	v_add_f64 v[219:220], v[219:220], v[217:218]
	ds_load_b128 v[215:218], v1 offset:1488
	s_waitcnt vmcnt(10) lgkmcnt(1)
	v_mul_f64 v[227:228], v[2:3], v[28:29]
	v_mul_f64 v[28:29], v[4:5], v[28:29]
	s_waitcnt vmcnt(9) lgkmcnt(0)
	v_mul_f64 v[221:222], v[215:216], v[32:33]
	v_mul_f64 v[32:33], v[217:218], v[32:33]
	v_add_f64 v[156:157], v[156:157], v[225:226]
	v_add_f64 v[219:220], v[219:220], v[223:224]
	v_fma_f64 v[223:224], v[4:5], v[26:27], v[227:228]
	v_fma_f64 v[225:226], v[2:3], v[26:27], -v[28:29]
	ds_load_b128 v[2:5], v1 offset:1504
	scratch_load_b128 v[26:29], off, off offset:800
	v_fma_f64 v[217:218], v[217:218], v[30:31], v[221:222]
	v_fma_f64 v[215:216], v[215:216], v[30:31], -v[32:33]
	scratch_load_b128 v[30:33], off, off offset:816
	v_add_f64 v[156:157], v[156:157], v[42:43]
	v_add_f64 v[219:220], v[219:220], v[44:45]
	ds_load_b128 v[42:45], v1 offset:1520
	s_waitcnt vmcnt(10) lgkmcnt(1)
	v_mul_f64 v[227:228], v[2:3], v[36:37]
	v_mul_f64 v[36:37], v[4:5], v[36:37]
	s_waitcnt vmcnt(8) lgkmcnt(0)
	v_mul_f64 v[221:222], v[42:43], v[165:166]
	v_mul_f64 v[165:166], v[44:45], v[165:166]
	v_add_f64 v[156:157], v[156:157], v[225:226]
	v_add_f64 v[219:220], v[219:220], v[223:224]
	v_fma_f64 v[223:224], v[4:5], v[34:35], v[227:228]
	v_fma_f64 v[225:226], v[2:3], v[34:35], -v[36:37]
	ds_load_b128 v[2:5], v1 offset:1536
	ds_load_b128 v[34:37], v1 offset:1552
	v_fma_f64 v[44:45], v[44:45], v[163:164], v[221:222]
	v_fma_f64 v[42:43], v[42:43], v[163:164], -v[165:166]
	v_add_f64 v[156:157], v[156:157], v[215:216]
	v_add_f64 v[215:216], v[219:220], v[217:218]
	s_waitcnt vmcnt(7) lgkmcnt(1)
	v_mul_f64 v[217:218], v[2:3], v[40:41]
	v_mul_f64 v[40:41], v[4:5], v[40:41]
	s_waitcnt vmcnt(6) lgkmcnt(0)
	v_mul_f64 v[165:166], v[34:35], v[8:9]
	v_mul_f64 v[8:9], v[36:37], v[8:9]
	v_add_f64 v[156:157], v[156:157], v[225:226]
	v_add_f64 v[163:164], v[215:216], v[223:224]
	v_fma_f64 v[215:216], v[4:5], v[38:39], v[217:218]
	v_fma_f64 v[217:218], v[2:3], v[38:39], -v[40:41]
	ds_load_b128 v[2:5], v1 offset:1568
	ds_load_b128 v[38:41], v1 offset:1584
	v_fma_f64 v[36:37], v[36:37], v[6:7], v[165:166]
	v_fma_f64 v[6:7], v[34:35], v[6:7], -v[8:9]
	v_add_f64 v[42:43], v[156:157], v[42:43]
	v_add_f64 v[44:45], v[163:164], v[44:45]
	s_waitcnt vmcnt(5) lgkmcnt(1)
	v_mul_f64 v[156:157], v[2:3], v[12:13]
	v_mul_f64 v[12:13], v[4:5], v[12:13]
	s_delay_alu instid0(VALU_DEP_4) | instskip(NEXT) | instid1(VALU_DEP_4)
	v_add_f64 v[8:9], v[42:43], v[217:218]
	v_add_f64 v[34:35], v[44:45], v[215:216]
	s_waitcnt vmcnt(4) lgkmcnt(0)
	v_mul_f64 v[42:43], v[38:39], v[16:17]
	v_mul_f64 v[16:17], v[40:41], v[16:17]
	v_fma_f64 v[44:45], v[4:5], v[10:11], v[156:157]
	v_fma_f64 v[10:11], v[2:3], v[10:11], -v[12:13]
	v_add_f64 v[12:13], v[8:9], v[6:7]
	v_add_f64 v[34:35], v[34:35], v[36:37]
	ds_load_b128 v[2:5], v1 offset:1600
	ds_load_b128 v[6:9], v1 offset:1616
	v_fma_f64 v[40:41], v[40:41], v[14:15], v[42:43]
	v_fma_f64 v[14:15], v[38:39], v[14:15], -v[16:17]
	s_waitcnt vmcnt(3) lgkmcnt(1)
	v_mul_f64 v[36:37], v[2:3], v[20:21]
	v_mul_f64 v[20:21], v[4:5], v[20:21]
	s_waitcnt vmcnt(2) lgkmcnt(0)
	v_mul_f64 v[16:17], v[6:7], v[24:25]
	v_mul_f64 v[24:25], v[8:9], v[24:25]
	v_add_f64 v[10:11], v[12:13], v[10:11]
	v_add_f64 v[12:13], v[34:35], v[44:45]
	v_fma_f64 v[34:35], v[4:5], v[18:19], v[36:37]
	v_fma_f64 v[18:19], v[2:3], v[18:19], -v[20:21]
	v_fma_f64 v[8:9], v[8:9], v[22:23], v[16:17]
	v_fma_f64 v[6:7], v[6:7], v[22:23], -v[24:25]
	v_add_f64 v[14:15], v[10:11], v[14:15]
	v_add_f64 v[20:21], v[12:13], v[40:41]
	ds_load_b128 v[2:5], v1 offset:1632
	ds_load_b128 v[10:13], v1 offset:1648
	s_waitcnt vmcnt(1) lgkmcnt(1)
	v_mul_f64 v[36:37], v[2:3], v[28:29]
	v_mul_f64 v[28:29], v[4:5], v[28:29]
	v_add_f64 v[14:15], v[14:15], v[18:19]
	v_add_f64 v[16:17], v[20:21], v[34:35]
	s_waitcnt vmcnt(0) lgkmcnt(0)
	v_mul_f64 v[18:19], v[10:11], v[32:33]
	v_mul_f64 v[20:21], v[12:13], v[32:33]
	v_fma_f64 v[4:5], v[4:5], v[26:27], v[36:37]
	v_fma_f64 v[1:2], v[2:3], v[26:27], -v[28:29]
	v_add_f64 v[6:7], v[14:15], v[6:7]
	v_add_f64 v[8:9], v[16:17], v[8:9]
	v_fma_f64 v[12:13], v[12:13], v[30:31], v[18:19]
	v_fma_f64 v[10:11], v[10:11], v[30:31], -v[20:21]
	s_delay_alu instid0(VALU_DEP_4) | instskip(NEXT) | instid1(VALU_DEP_4)
	v_add_f64 v[1:2], v[6:7], v[1:2]
	v_add_f64 v[3:4], v[8:9], v[4:5]
	s_delay_alu instid0(VALU_DEP_2) | instskip(NEXT) | instid1(VALU_DEP_2)
	v_add_f64 v[1:2], v[1:2], v[10:11]
	v_add_f64 v[3:4], v[3:4], v[12:13]
	s_delay_alu instid0(VALU_DEP_2) | instskip(NEXT) | instid1(VALU_DEP_2)
	v_add_f64 v[1:2], v[152:153], -v[1:2]
	v_add_f64 v[3:4], v[154:155], -v[3:4]
	scratch_store_b128 off, v[1:4], off offset:528
	v_cmpx_lt_u32_e32 32, v150
	s_cbranch_execz .LBB51_261
; %bb.260:
	scratch_load_b128 v[1:4], v168, off
	v_mov_b32_e32 v5, 0
	s_delay_alu instid0(VALU_DEP_1)
	v_mov_b32_e32 v6, v5
	v_mov_b32_e32 v7, v5
	;; [unrolled: 1-line block ×3, first 2 shown]
	scratch_store_b128 off, v[5:8], off offset:512
	s_waitcnt vmcnt(0)
	ds_store_b128 v202, v[1:4]
.LBB51_261:
	s_or_b32 exec_lo, exec_lo, s2
	s_waitcnt lgkmcnt(0)
	s_waitcnt_vscnt null, 0x0
	s_barrier
	buffer_gl0_inv
	s_clause 0x7
	scratch_load_b128 v[2:5], off, off offset:528
	scratch_load_b128 v[6:9], off, off offset:544
	;; [unrolled: 1-line block ×8, first 2 shown]
	v_mov_b32_e32 v1, 0
	s_mov_b32 s2, exec_lo
	ds_load_b128 v[34:37], v1 offset:1360
	s_clause 0x1
	scratch_load_b128 v[38:41], off, off offset:656
	scratch_load_b128 v[42:45], off, off offset:512
	ds_load_b128 v[152:155], v1 offset:1376
	scratch_load_b128 v[163:166], off, off offset:672
	ds_load_b128 v[215:218], v1 offset:1408
	s_waitcnt vmcnt(10) lgkmcnt(2)
	v_mul_f64 v[156:157], v[36:37], v[4:5]
	v_mul_f64 v[4:5], v[34:35], v[4:5]
	s_delay_alu instid0(VALU_DEP_2) | instskip(NEXT) | instid1(VALU_DEP_2)
	v_fma_f64 v[156:157], v[34:35], v[2:3], -v[156:157]
	v_fma_f64 v[221:222], v[36:37], v[2:3], v[4:5]
	ds_load_b128 v[2:5], v1 offset:1392
	s_waitcnt vmcnt(9) lgkmcnt(2)
	v_mul_f64 v[219:220], v[152:153], v[8:9]
	v_mul_f64 v[8:9], v[154:155], v[8:9]
	scratch_load_b128 v[34:37], off, off offset:688
	s_waitcnt vmcnt(9) lgkmcnt(0)
	v_mul_f64 v[223:224], v[2:3], v[12:13]
	v_mul_f64 v[12:13], v[4:5], v[12:13]
	v_add_f64 v[156:157], v[156:157], 0
	v_fma_f64 v[154:155], v[154:155], v[6:7], v[219:220]
	v_fma_f64 v[152:153], v[152:153], v[6:7], -v[8:9]
	v_add_f64 v[219:220], v[221:222], 0
	scratch_load_b128 v[6:9], off, off offset:704
	v_fma_f64 v[223:224], v[4:5], v[10:11], v[223:224]
	v_fma_f64 v[225:226], v[2:3], v[10:11], -v[12:13]
	scratch_load_b128 v[10:13], off, off offset:720
	ds_load_b128 v[2:5], v1 offset:1424
	s_waitcnt vmcnt(10)
	v_mul_f64 v[221:222], v[215:216], v[16:17]
	v_mul_f64 v[16:17], v[217:218], v[16:17]
	v_add_f64 v[156:157], v[156:157], v[152:153]
	v_add_f64 v[219:220], v[219:220], v[154:155]
	ds_load_b128 v[152:155], v1 offset:1440
	s_waitcnt vmcnt(9) lgkmcnt(1)
	v_mul_f64 v[227:228], v[2:3], v[20:21]
	v_mul_f64 v[20:21], v[4:5], v[20:21]
	v_fma_f64 v[217:218], v[217:218], v[14:15], v[221:222]
	v_fma_f64 v[215:216], v[215:216], v[14:15], -v[16:17]
	scratch_load_b128 v[14:17], off, off offset:736
	v_add_f64 v[156:157], v[156:157], v[225:226]
	v_add_f64 v[219:220], v[219:220], v[223:224]
	v_fma_f64 v[223:224], v[4:5], v[18:19], v[227:228]
	v_fma_f64 v[225:226], v[2:3], v[18:19], -v[20:21]
	scratch_load_b128 v[18:21], off, off offset:752
	ds_load_b128 v[2:5], v1 offset:1456
	s_waitcnt vmcnt(10) lgkmcnt(1)
	v_mul_f64 v[221:222], v[152:153], v[24:25]
	v_mul_f64 v[24:25], v[154:155], v[24:25]
	s_waitcnt vmcnt(9) lgkmcnt(0)
	v_mul_f64 v[227:228], v[2:3], v[28:29]
	v_mul_f64 v[28:29], v[4:5], v[28:29]
	v_add_f64 v[156:157], v[156:157], v[215:216]
	v_add_f64 v[219:220], v[219:220], v[217:218]
	ds_load_b128 v[215:218], v1 offset:1472
	v_fma_f64 v[154:155], v[154:155], v[22:23], v[221:222]
	v_fma_f64 v[152:153], v[152:153], v[22:23], -v[24:25]
	scratch_load_b128 v[22:25], off, off offset:768
	v_add_f64 v[156:157], v[156:157], v[225:226]
	v_add_f64 v[219:220], v[219:220], v[223:224]
	v_fma_f64 v[223:224], v[4:5], v[26:27], v[227:228]
	v_fma_f64 v[225:226], v[2:3], v[26:27], -v[28:29]
	scratch_load_b128 v[26:29], off, off offset:784
	ds_load_b128 v[2:5], v1 offset:1488
	s_waitcnt vmcnt(10) lgkmcnt(1)
	v_mul_f64 v[221:222], v[215:216], v[32:33]
	v_mul_f64 v[32:33], v[217:218], v[32:33]
	s_waitcnt vmcnt(9) lgkmcnt(0)
	v_mul_f64 v[227:228], v[2:3], v[40:41]
	v_mul_f64 v[40:41], v[4:5], v[40:41]
	v_add_f64 v[156:157], v[156:157], v[152:153]
	v_add_f64 v[219:220], v[219:220], v[154:155]
	ds_load_b128 v[152:155], v1 offset:1504
	v_fma_f64 v[217:218], v[217:218], v[30:31], v[221:222]
	v_fma_f64 v[215:216], v[215:216], v[30:31], -v[32:33]
	scratch_load_b128 v[30:33], off, off offset:800
	v_add_f64 v[156:157], v[156:157], v[225:226]
	v_add_f64 v[219:220], v[219:220], v[223:224]
	v_fma_f64 v[223:224], v[4:5], v[38:39], v[227:228]
	v_fma_f64 v[225:226], v[2:3], v[38:39], -v[40:41]
	scratch_load_b128 v[38:41], off, off offset:816
	ds_load_b128 v[2:5], v1 offset:1520
	s_waitcnt vmcnt(9) lgkmcnt(1)
	v_mul_f64 v[221:222], v[152:153], v[165:166]
	v_mul_f64 v[165:166], v[154:155], v[165:166]
	v_add_f64 v[156:157], v[156:157], v[215:216]
	v_add_f64 v[219:220], v[219:220], v[217:218]
	ds_load_b128 v[215:218], v1 offset:1536
	v_fma_f64 v[154:155], v[154:155], v[163:164], v[221:222]
	v_fma_f64 v[152:153], v[152:153], v[163:164], -v[165:166]
	s_waitcnt vmcnt(8) lgkmcnt(1)
	v_mul_f64 v[227:228], v[2:3], v[36:37]
	v_mul_f64 v[36:37], v[4:5], v[36:37]
	v_add_f64 v[156:157], v[156:157], v[225:226]
	v_add_f64 v[163:164], v[219:220], v[223:224]
	s_delay_alu instid0(VALU_DEP_4)
	v_fma_f64 v[219:220], v[4:5], v[34:35], v[227:228]
	s_waitcnt vmcnt(7) lgkmcnt(0)
	v_mul_f64 v[165:166], v[215:216], v[8:9]
	v_mul_f64 v[8:9], v[217:218], v[8:9]
	v_fma_f64 v[221:222], v[2:3], v[34:35], -v[36:37]
	ds_load_b128 v[2:5], v1 offset:1552
	ds_load_b128 v[34:37], v1 offset:1568
	v_add_f64 v[152:153], v[156:157], v[152:153]
	v_add_f64 v[154:155], v[163:164], v[154:155]
	s_waitcnt vmcnt(6) lgkmcnt(1)
	v_mul_f64 v[156:157], v[2:3], v[12:13]
	v_mul_f64 v[12:13], v[4:5], v[12:13]
	v_fma_f64 v[163:164], v[217:218], v[6:7], v[165:166]
	v_fma_f64 v[6:7], v[215:216], v[6:7], -v[8:9]
	v_add_f64 v[8:9], v[152:153], v[221:222]
	v_add_f64 v[152:153], v[154:155], v[219:220]
	s_waitcnt vmcnt(5) lgkmcnt(0)
	v_mul_f64 v[154:155], v[34:35], v[16:17]
	v_mul_f64 v[16:17], v[36:37], v[16:17]
	v_fma_f64 v[156:157], v[4:5], v[10:11], v[156:157]
	v_fma_f64 v[10:11], v[2:3], v[10:11], -v[12:13]
	v_add_f64 v[12:13], v[8:9], v[6:7]
	v_add_f64 v[152:153], v[152:153], v[163:164]
	ds_load_b128 v[2:5], v1 offset:1584
	ds_load_b128 v[6:9], v1 offset:1600
	v_fma_f64 v[36:37], v[36:37], v[14:15], v[154:155]
	v_fma_f64 v[14:15], v[34:35], v[14:15], -v[16:17]
	s_waitcnt vmcnt(4) lgkmcnt(1)
	v_mul_f64 v[163:164], v[2:3], v[20:21]
	v_mul_f64 v[20:21], v[4:5], v[20:21]
	s_waitcnt vmcnt(3) lgkmcnt(0)
	v_mul_f64 v[16:17], v[6:7], v[24:25]
	v_mul_f64 v[24:25], v[8:9], v[24:25]
	v_add_f64 v[10:11], v[12:13], v[10:11]
	v_add_f64 v[12:13], v[152:153], v[156:157]
	v_fma_f64 v[34:35], v[4:5], v[18:19], v[163:164]
	v_fma_f64 v[18:19], v[2:3], v[18:19], -v[20:21]
	v_fma_f64 v[8:9], v[8:9], v[22:23], v[16:17]
	v_fma_f64 v[6:7], v[6:7], v[22:23], -v[24:25]
	v_add_f64 v[14:15], v[10:11], v[14:15]
	v_add_f64 v[20:21], v[12:13], v[36:37]
	ds_load_b128 v[2:5], v1 offset:1616
	ds_load_b128 v[10:13], v1 offset:1632
	s_waitcnt vmcnt(2) lgkmcnt(1)
	v_mul_f64 v[36:37], v[2:3], v[28:29]
	v_mul_f64 v[28:29], v[4:5], v[28:29]
	v_add_f64 v[14:15], v[14:15], v[18:19]
	v_add_f64 v[16:17], v[20:21], v[34:35]
	s_waitcnt vmcnt(1) lgkmcnt(0)
	v_mul_f64 v[18:19], v[10:11], v[32:33]
	v_mul_f64 v[20:21], v[12:13], v[32:33]
	v_fma_f64 v[22:23], v[4:5], v[26:27], v[36:37]
	v_fma_f64 v[24:25], v[2:3], v[26:27], -v[28:29]
	ds_load_b128 v[2:5], v1 offset:1648
	v_add_f64 v[6:7], v[14:15], v[6:7]
	v_add_f64 v[8:9], v[16:17], v[8:9]
	v_fma_f64 v[12:13], v[12:13], v[30:31], v[18:19]
	v_fma_f64 v[10:11], v[10:11], v[30:31], -v[20:21]
	s_waitcnt vmcnt(0) lgkmcnt(0)
	v_mul_f64 v[14:15], v[2:3], v[40:41]
	v_mul_f64 v[16:17], v[4:5], v[40:41]
	v_add_f64 v[6:7], v[6:7], v[24:25]
	v_add_f64 v[8:9], v[8:9], v[22:23]
	s_delay_alu instid0(VALU_DEP_4) | instskip(NEXT) | instid1(VALU_DEP_4)
	v_fma_f64 v[4:5], v[4:5], v[38:39], v[14:15]
	v_fma_f64 v[2:3], v[2:3], v[38:39], -v[16:17]
	s_delay_alu instid0(VALU_DEP_4) | instskip(NEXT) | instid1(VALU_DEP_4)
	v_add_f64 v[6:7], v[6:7], v[10:11]
	v_add_f64 v[8:9], v[8:9], v[12:13]
	s_delay_alu instid0(VALU_DEP_2) | instskip(NEXT) | instid1(VALU_DEP_2)
	v_add_f64 v[2:3], v[6:7], v[2:3]
	v_add_f64 v[4:5], v[8:9], v[4:5]
	s_delay_alu instid0(VALU_DEP_2) | instskip(NEXT) | instid1(VALU_DEP_2)
	v_add_f64 v[2:3], v[42:43], -v[2:3]
	v_add_f64 v[4:5], v[44:45], -v[4:5]
	scratch_store_b128 off, v[2:5], off offset:512
	v_cmpx_lt_u32_e32 31, v150
	s_cbranch_execz .LBB51_263
; %bb.262:
	scratch_load_b128 v[5:8], v170, off
	v_mov_b32_e32 v2, v1
	v_mov_b32_e32 v3, v1
	;; [unrolled: 1-line block ×3, first 2 shown]
	scratch_store_b128 off, v[1:4], off offset:496
	s_waitcnt vmcnt(0)
	ds_store_b128 v202, v[5:8]
.LBB51_263:
	s_or_b32 exec_lo, exec_lo, s2
	s_waitcnt lgkmcnt(0)
	s_waitcnt_vscnt null, 0x0
	s_barrier
	buffer_gl0_inv
	s_clause 0x8
	scratch_load_b128 v[2:5], off, off offset:512
	scratch_load_b128 v[6:9], off, off offset:528
	;; [unrolled: 1-line block ×9, first 2 shown]
	ds_load_b128 v[38:41], v1 offset:1344
	ds_load_b128 v[42:45], v1 offset:1360
	s_clause 0x1
	scratch_load_b128 v[152:155], off, off offset:496
	scratch_load_b128 v[163:166], off, off offset:656
	s_mov_b32 s2, exec_lo
	ds_load_b128 v[215:218], v1 offset:1392
	s_waitcnt vmcnt(10) lgkmcnt(2)
	v_mul_f64 v[156:157], v[40:41], v[4:5]
	v_mul_f64 v[4:5], v[38:39], v[4:5]
	s_waitcnt vmcnt(9) lgkmcnt(1)
	v_mul_f64 v[219:220], v[42:43], v[8:9]
	v_mul_f64 v[8:9], v[44:45], v[8:9]
	s_delay_alu instid0(VALU_DEP_4) | instskip(NEXT) | instid1(VALU_DEP_4)
	v_fma_f64 v[156:157], v[38:39], v[2:3], -v[156:157]
	v_fma_f64 v[221:222], v[40:41], v[2:3], v[4:5]
	ds_load_b128 v[2:5], v1 offset:1376
	scratch_load_b128 v[38:41], off, off offset:672
	v_fma_f64 v[44:45], v[44:45], v[6:7], v[219:220]
	v_fma_f64 v[42:43], v[42:43], v[6:7], -v[8:9]
	scratch_load_b128 v[6:9], off, off offset:688
	s_waitcnt vmcnt(10) lgkmcnt(0)
	v_mul_f64 v[223:224], v[2:3], v[12:13]
	v_mul_f64 v[12:13], v[4:5], v[12:13]
	v_add_f64 v[156:157], v[156:157], 0
	v_add_f64 v[219:220], v[221:222], 0
	s_waitcnt vmcnt(9)
	v_mul_f64 v[221:222], v[215:216], v[16:17]
	v_mul_f64 v[16:17], v[217:218], v[16:17]
	v_fma_f64 v[223:224], v[4:5], v[10:11], v[223:224]
	v_fma_f64 v[225:226], v[2:3], v[10:11], -v[12:13]
	ds_load_b128 v[2:5], v1 offset:1408
	scratch_load_b128 v[10:13], off, off offset:704
	v_add_f64 v[156:157], v[156:157], v[42:43]
	v_add_f64 v[219:220], v[219:220], v[44:45]
	ds_load_b128 v[42:45], v1 offset:1424
	v_fma_f64 v[217:218], v[217:218], v[14:15], v[221:222]
	v_fma_f64 v[215:216], v[215:216], v[14:15], -v[16:17]
	scratch_load_b128 v[14:17], off, off offset:720
	s_waitcnt vmcnt(10) lgkmcnt(1)
	v_mul_f64 v[227:228], v[2:3], v[20:21]
	v_mul_f64 v[20:21], v[4:5], v[20:21]
	s_waitcnt vmcnt(9) lgkmcnt(0)
	v_mul_f64 v[221:222], v[42:43], v[24:25]
	v_mul_f64 v[24:25], v[44:45], v[24:25]
	v_add_f64 v[156:157], v[156:157], v[225:226]
	v_add_f64 v[219:220], v[219:220], v[223:224]
	v_fma_f64 v[223:224], v[4:5], v[18:19], v[227:228]
	v_fma_f64 v[225:226], v[2:3], v[18:19], -v[20:21]
	ds_load_b128 v[2:5], v1 offset:1440
	scratch_load_b128 v[18:21], off, off offset:736
	v_fma_f64 v[44:45], v[44:45], v[22:23], v[221:222]
	v_fma_f64 v[42:43], v[42:43], v[22:23], -v[24:25]
	scratch_load_b128 v[22:25], off, off offset:752
	v_add_f64 v[156:157], v[156:157], v[215:216]
	v_add_f64 v[219:220], v[219:220], v[217:218]
	ds_load_b128 v[215:218], v1 offset:1456
	s_waitcnt vmcnt(10) lgkmcnt(1)
	v_mul_f64 v[227:228], v[2:3], v[28:29]
	v_mul_f64 v[28:29], v[4:5], v[28:29]
	s_waitcnt vmcnt(9) lgkmcnt(0)
	v_mul_f64 v[221:222], v[215:216], v[32:33]
	v_mul_f64 v[32:33], v[217:218], v[32:33]
	v_add_f64 v[156:157], v[156:157], v[225:226]
	v_add_f64 v[219:220], v[219:220], v[223:224]
	v_fma_f64 v[223:224], v[4:5], v[26:27], v[227:228]
	v_fma_f64 v[225:226], v[2:3], v[26:27], -v[28:29]
	ds_load_b128 v[2:5], v1 offset:1472
	scratch_load_b128 v[26:29], off, off offset:768
	v_fma_f64 v[217:218], v[217:218], v[30:31], v[221:222]
	v_fma_f64 v[215:216], v[215:216], v[30:31], -v[32:33]
	scratch_load_b128 v[30:33], off, off offset:784
	v_add_f64 v[156:157], v[156:157], v[42:43]
	v_add_f64 v[219:220], v[219:220], v[44:45]
	ds_load_b128 v[42:45], v1 offset:1488
	s_waitcnt vmcnt(10) lgkmcnt(1)
	v_mul_f64 v[227:228], v[2:3], v[36:37]
	v_mul_f64 v[36:37], v[4:5], v[36:37]
	s_waitcnt vmcnt(8) lgkmcnt(0)
	v_mul_f64 v[221:222], v[42:43], v[165:166]
	v_mul_f64 v[165:166], v[44:45], v[165:166]
	v_add_f64 v[156:157], v[156:157], v[225:226]
	v_add_f64 v[219:220], v[219:220], v[223:224]
	v_fma_f64 v[223:224], v[4:5], v[34:35], v[227:228]
	v_fma_f64 v[225:226], v[2:3], v[34:35], -v[36:37]
	ds_load_b128 v[2:5], v1 offset:1504
	scratch_load_b128 v[34:37], off, off offset:800
	v_fma_f64 v[44:45], v[44:45], v[163:164], v[221:222]
	v_fma_f64 v[163:164], v[42:43], v[163:164], -v[165:166]
	v_add_f64 v[156:157], v[156:157], v[215:216]
	v_add_f64 v[219:220], v[219:220], v[217:218]
	ds_load_b128 v[215:218], v1 offset:1520
	s_waitcnt vmcnt(8) lgkmcnt(1)
	v_mul_f64 v[227:228], v[2:3], v[40:41]
	v_mul_f64 v[229:230], v[4:5], v[40:41]
	scratch_load_b128 v[40:43], off, off offset:816
	v_add_f64 v[156:157], v[156:157], v[225:226]
	v_add_f64 v[165:166], v[219:220], v[223:224]
	s_waitcnt vmcnt(8) lgkmcnt(0)
	v_mul_f64 v[219:220], v[215:216], v[8:9]
	v_mul_f64 v[8:9], v[217:218], v[8:9]
	v_fma_f64 v[221:222], v[4:5], v[38:39], v[227:228]
	v_fma_f64 v[38:39], v[2:3], v[38:39], -v[229:230]
	v_add_f64 v[156:157], v[156:157], v[163:164]
	v_add_f64 v[44:45], v[165:166], v[44:45]
	ds_load_b128 v[2:5], v1 offset:1536
	ds_load_b128 v[163:166], v1 offset:1552
	v_fma_f64 v[217:218], v[217:218], v[6:7], v[219:220]
	v_fma_f64 v[6:7], v[215:216], v[6:7], -v[8:9]
	s_waitcnt vmcnt(7) lgkmcnt(1)
	v_mul_f64 v[223:224], v[2:3], v[12:13]
	v_mul_f64 v[12:13], v[4:5], v[12:13]
	v_add_f64 v[8:9], v[156:157], v[38:39]
	v_add_f64 v[38:39], v[44:45], v[221:222]
	s_waitcnt vmcnt(6) lgkmcnt(0)
	v_mul_f64 v[44:45], v[163:164], v[16:17]
	v_mul_f64 v[16:17], v[165:166], v[16:17]
	v_fma_f64 v[156:157], v[4:5], v[10:11], v[223:224]
	v_fma_f64 v[10:11], v[2:3], v[10:11], -v[12:13]
	v_add_f64 v[12:13], v[8:9], v[6:7]
	v_add_f64 v[38:39], v[38:39], v[217:218]
	ds_load_b128 v[2:5], v1 offset:1568
	ds_load_b128 v[6:9], v1 offset:1584
	v_fma_f64 v[44:45], v[165:166], v[14:15], v[44:45]
	v_fma_f64 v[14:15], v[163:164], v[14:15], -v[16:17]
	s_waitcnt vmcnt(5) lgkmcnt(1)
	v_mul_f64 v[215:216], v[2:3], v[20:21]
	v_mul_f64 v[20:21], v[4:5], v[20:21]
	s_waitcnt vmcnt(4) lgkmcnt(0)
	v_mul_f64 v[16:17], v[6:7], v[24:25]
	v_mul_f64 v[24:25], v[8:9], v[24:25]
	v_add_f64 v[10:11], v[12:13], v[10:11]
	v_add_f64 v[12:13], v[38:39], v[156:157]
	v_fma_f64 v[38:39], v[4:5], v[18:19], v[215:216]
	v_fma_f64 v[18:19], v[2:3], v[18:19], -v[20:21]
	v_fma_f64 v[8:9], v[8:9], v[22:23], v[16:17]
	v_fma_f64 v[6:7], v[6:7], v[22:23], -v[24:25]
	v_add_f64 v[14:15], v[10:11], v[14:15]
	v_add_f64 v[20:21], v[12:13], v[44:45]
	ds_load_b128 v[2:5], v1 offset:1600
	ds_load_b128 v[10:13], v1 offset:1616
	s_waitcnt vmcnt(3) lgkmcnt(1)
	v_mul_f64 v[44:45], v[2:3], v[28:29]
	v_mul_f64 v[28:29], v[4:5], v[28:29]
	v_add_f64 v[14:15], v[14:15], v[18:19]
	v_add_f64 v[16:17], v[20:21], v[38:39]
	s_waitcnt vmcnt(2) lgkmcnt(0)
	v_mul_f64 v[18:19], v[10:11], v[32:33]
	v_mul_f64 v[20:21], v[12:13], v[32:33]
	v_fma_f64 v[22:23], v[4:5], v[26:27], v[44:45]
	v_fma_f64 v[24:25], v[2:3], v[26:27], -v[28:29]
	v_add_f64 v[14:15], v[14:15], v[6:7]
	v_add_f64 v[16:17], v[16:17], v[8:9]
	ds_load_b128 v[2:5], v1 offset:1632
	ds_load_b128 v[6:9], v1 offset:1648
	v_fma_f64 v[12:13], v[12:13], v[30:31], v[18:19]
	v_fma_f64 v[10:11], v[10:11], v[30:31], -v[20:21]
	s_waitcnt vmcnt(1) lgkmcnt(1)
	v_mul_f64 v[26:27], v[2:3], v[36:37]
	v_mul_f64 v[28:29], v[4:5], v[36:37]
	s_waitcnt vmcnt(0) lgkmcnt(0)
	v_mul_f64 v[18:19], v[6:7], v[42:43]
	v_add_f64 v[14:15], v[14:15], v[24:25]
	v_add_f64 v[16:17], v[16:17], v[22:23]
	v_mul_f64 v[20:21], v[8:9], v[42:43]
	v_fma_f64 v[4:5], v[4:5], v[34:35], v[26:27]
	v_fma_f64 v[1:2], v[2:3], v[34:35], -v[28:29]
	v_fma_f64 v[8:9], v[8:9], v[40:41], v[18:19]
	v_add_f64 v[10:11], v[14:15], v[10:11]
	v_add_f64 v[12:13], v[16:17], v[12:13]
	v_fma_f64 v[6:7], v[6:7], v[40:41], -v[20:21]
	s_delay_alu instid0(VALU_DEP_3) | instskip(NEXT) | instid1(VALU_DEP_3)
	v_add_f64 v[1:2], v[10:11], v[1:2]
	v_add_f64 v[3:4], v[12:13], v[4:5]
	s_delay_alu instid0(VALU_DEP_2) | instskip(NEXT) | instid1(VALU_DEP_2)
	v_add_f64 v[1:2], v[1:2], v[6:7]
	v_add_f64 v[3:4], v[3:4], v[8:9]
	s_delay_alu instid0(VALU_DEP_2) | instskip(NEXT) | instid1(VALU_DEP_2)
	v_add_f64 v[1:2], v[152:153], -v[1:2]
	v_add_f64 v[3:4], v[154:155], -v[3:4]
	scratch_store_b128 off, v[1:4], off offset:496
	v_cmpx_lt_u32_e32 30, v150
	s_cbranch_execz .LBB51_265
; %bb.264:
	scratch_load_b128 v[1:4], v171, off
	v_mov_b32_e32 v5, 0
	s_delay_alu instid0(VALU_DEP_1)
	v_mov_b32_e32 v6, v5
	v_mov_b32_e32 v7, v5
	;; [unrolled: 1-line block ×3, first 2 shown]
	scratch_store_b128 off, v[5:8], off offset:480
	s_waitcnt vmcnt(0)
	ds_store_b128 v202, v[1:4]
.LBB51_265:
	s_or_b32 exec_lo, exec_lo, s2
	s_waitcnt lgkmcnt(0)
	s_waitcnt_vscnt null, 0x0
	s_barrier
	buffer_gl0_inv
	s_clause 0x7
	scratch_load_b128 v[2:5], off, off offset:496
	scratch_load_b128 v[6:9], off, off offset:512
	;; [unrolled: 1-line block ×8, first 2 shown]
	v_mov_b32_e32 v1, 0
	s_mov_b32 s2, exec_lo
	ds_load_b128 v[34:37], v1 offset:1328
	s_clause 0x1
	scratch_load_b128 v[38:41], off, off offset:624
	scratch_load_b128 v[42:45], off, off offset:480
	ds_load_b128 v[152:155], v1 offset:1344
	scratch_load_b128 v[163:166], off, off offset:640
	ds_load_b128 v[215:218], v1 offset:1376
	s_waitcnt vmcnt(10) lgkmcnt(2)
	v_mul_f64 v[156:157], v[36:37], v[4:5]
	v_mul_f64 v[4:5], v[34:35], v[4:5]
	s_delay_alu instid0(VALU_DEP_2) | instskip(NEXT) | instid1(VALU_DEP_2)
	v_fma_f64 v[156:157], v[34:35], v[2:3], -v[156:157]
	v_fma_f64 v[221:222], v[36:37], v[2:3], v[4:5]
	ds_load_b128 v[2:5], v1 offset:1360
	s_waitcnt vmcnt(9) lgkmcnt(2)
	v_mul_f64 v[219:220], v[152:153], v[8:9]
	v_mul_f64 v[8:9], v[154:155], v[8:9]
	scratch_load_b128 v[34:37], off, off offset:656
	s_waitcnt vmcnt(9) lgkmcnt(0)
	v_mul_f64 v[223:224], v[2:3], v[12:13]
	v_mul_f64 v[12:13], v[4:5], v[12:13]
	v_add_f64 v[156:157], v[156:157], 0
	v_fma_f64 v[154:155], v[154:155], v[6:7], v[219:220]
	v_fma_f64 v[152:153], v[152:153], v[6:7], -v[8:9]
	v_add_f64 v[219:220], v[221:222], 0
	scratch_load_b128 v[6:9], off, off offset:672
	v_fma_f64 v[223:224], v[4:5], v[10:11], v[223:224]
	v_fma_f64 v[225:226], v[2:3], v[10:11], -v[12:13]
	scratch_load_b128 v[10:13], off, off offset:688
	ds_load_b128 v[2:5], v1 offset:1392
	s_waitcnt vmcnt(10)
	v_mul_f64 v[221:222], v[215:216], v[16:17]
	v_mul_f64 v[16:17], v[217:218], v[16:17]
	v_add_f64 v[156:157], v[156:157], v[152:153]
	v_add_f64 v[219:220], v[219:220], v[154:155]
	ds_load_b128 v[152:155], v1 offset:1408
	s_waitcnt vmcnt(9) lgkmcnt(1)
	v_mul_f64 v[227:228], v[2:3], v[20:21]
	v_mul_f64 v[20:21], v[4:5], v[20:21]
	v_fma_f64 v[217:218], v[217:218], v[14:15], v[221:222]
	v_fma_f64 v[215:216], v[215:216], v[14:15], -v[16:17]
	scratch_load_b128 v[14:17], off, off offset:704
	v_add_f64 v[156:157], v[156:157], v[225:226]
	v_add_f64 v[219:220], v[219:220], v[223:224]
	v_fma_f64 v[223:224], v[4:5], v[18:19], v[227:228]
	v_fma_f64 v[225:226], v[2:3], v[18:19], -v[20:21]
	scratch_load_b128 v[18:21], off, off offset:720
	ds_load_b128 v[2:5], v1 offset:1424
	s_waitcnt vmcnt(10) lgkmcnt(1)
	v_mul_f64 v[221:222], v[152:153], v[24:25]
	v_mul_f64 v[24:25], v[154:155], v[24:25]
	s_waitcnt vmcnt(9) lgkmcnt(0)
	v_mul_f64 v[227:228], v[2:3], v[28:29]
	v_mul_f64 v[28:29], v[4:5], v[28:29]
	v_add_f64 v[156:157], v[156:157], v[215:216]
	v_add_f64 v[219:220], v[219:220], v[217:218]
	ds_load_b128 v[215:218], v1 offset:1440
	v_fma_f64 v[154:155], v[154:155], v[22:23], v[221:222]
	v_fma_f64 v[152:153], v[152:153], v[22:23], -v[24:25]
	scratch_load_b128 v[22:25], off, off offset:736
	v_add_f64 v[156:157], v[156:157], v[225:226]
	v_add_f64 v[219:220], v[219:220], v[223:224]
	v_fma_f64 v[223:224], v[4:5], v[26:27], v[227:228]
	v_fma_f64 v[225:226], v[2:3], v[26:27], -v[28:29]
	scratch_load_b128 v[26:29], off, off offset:752
	ds_load_b128 v[2:5], v1 offset:1456
	s_waitcnt vmcnt(10) lgkmcnt(1)
	v_mul_f64 v[221:222], v[215:216], v[32:33]
	v_mul_f64 v[32:33], v[217:218], v[32:33]
	s_waitcnt vmcnt(9) lgkmcnt(0)
	v_mul_f64 v[227:228], v[2:3], v[40:41]
	v_mul_f64 v[40:41], v[4:5], v[40:41]
	v_add_f64 v[156:157], v[156:157], v[152:153]
	v_add_f64 v[219:220], v[219:220], v[154:155]
	ds_load_b128 v[152:155], v1 offset:1472
	v_fma_f64 v[217:218], v[217:218], v[30:31], v[221:222]
	v_fma_f64 v[215:216], v[215:216], v[30:31], -v[32:33]
	scratch_load_b128 v[30:33], off, off offset:768
	v_add_f64 v[156:157], v[156:157], v[225:226]
	v_add_f64 v[219:220], v[219:220], v[223:224]
	v_fma_f64 v[223:224], v[4:5], v[38:39], v[227:228]
	v_fma_f64 v[225:226], v[2:3], v[38:39], -v[40:41]
	scratch_load_b128 v[38:41], off, off offset:784
	ds_load_b128 v[2:5], v1 offset:1488
	s_waitcnt vmcnt(9) lgkmcnt(1)
	v_mul_f64 v[221:222], v[152:153], v[165:166]
	v_mul_f64 v[165:166], v[154:155], v[165:166]
	v_add_f64 v[156:157], v[156:157], v[215:216]
	v_add_f64 v[219:220], v[219:220], v[217:218]
	ds_load_b128 v[215:218], v1 offset:1504
	v_fma_f64 v[221:222], v[154:155], v[163:164], v[221:222]
	v_fma_f64 v[163:164], v[152:153], v[163:164], -v[165:166]
	scratch_load_b128 v[152:155], off, off offset:800
	s_waitcnt vmcnt(9) lgkmcnt(1)
	v_mul_f64 v[227:228], v[2:3], v[36:37]
	v_mul_f64 v[36:37], v[4:5], v[36:37]
	v_add_f64 v[156:157], v[156:157], v[225:226]
	v_add_f64 v[165:166], v[219:220], v[223:224]
	s_delay_alu instid0(VALU_DEP_4) | instskip(NEXT) | instid1(VALU_DEP_4)
	v_fma_f64 v[223:224], v[4:5], v[34:35], v[227:228]
	v_fma_f64 v[225:226], v[2:3], v[34:35], -v[36:37]
	scratch_load_b128 v[34:37], off, off offset:816
	ds_load_b128 v[2:5], v1 offset:1520
	s_waitcnt vmcnt(9) lgkmcnt(1)
	v_mul_f64 v[219:220], v[215:216], v[8:9]
	v_mul_f64 v[8:9], v[217:218], v[8:9]
	v_add_f64 v[156:157], v[156:157], v[163:164]
	v_add_f64 v[221:222], v[165:166], v[221:222]
	s_waitcnt vmcnt(8) lgkmcnt(0)
	v_mul_f64 v[227:228], v[2:3], v[12:13]
	v_mul_f64 v[12:13], v[4:5], v[12:13]
	ds_load_b128 v[163:166], v1 offset:1536
	v_fma_f64 v[217:218], v[217:218], v[6:7], v[219:220]
	v_fma_f64 v[6:7], v[215:216], v[6:7], -v[8:9]
	v_add_f64 v[8:9], v[156:157], v[225:226]
	v_add_f64 v[156:157], v[221:222], v[223:224]
	s_waitcnt vmcnt(7) lgkmcnt(0)
	v_mul_f64 v[215:216], v[163:164], v[16:17]
	v_mul_f64 v[16:17], v[165:166], v[16:17]
	v_fma_f64 v[219:220], v[4:5], v[10:11], v[227:228]
	v_fma_f64 v[10:11], v[2:3], v[10:11], -v[12:13]
	v_add_f64 v[12:13], v[8:9], v[6:7]
	v_add_f64 v[156:157], v[156:157], v[217:218]
	ds_load_b128 v[2:5], v1 offset:1552
	ds_load_b128 v[6:9], v1 offset:1568
	v_fma_f64 v[165:166], v[165:166], v[14:15], v[215:216]
	v_fma_f64 v[14:15], v[163:164], v[14:15], -v[16:17]
	s_waitcnt vmcnt(6) lgkmcnt(1)
	v_mul_f64 v[217:218], v[2:3], v[20:21]
	v_mul_f64 v[20:21], v[4:5], v[20:21]
	s_waitcnt vmcnt(5) lgkmcnt(0)
	v_mul_f64 v[16:17], v[6:7], v[24:25]
	v_mul_f64 v[24:25], v[8:9], v[24:25]
	v_add_f64 v[10:11], v[12:13], v[10:11]
	v_add_f64 v[12:13], v[156:157], v[219:220]
	v_fma_f64 v[156:157], v[4:5], v[18:19], v[217:218]
	v_fma_f64 v[18:19], v[2:3], v[18:19], -v[20:21]
	v_fma_f64 v[8:9], v[8:9], v[22:23], v[16:17]
	v_fma_f64 v[6:7], v[6:7], v[22:23], -v[24:25]
	v_add_f64 v[14:15], v[10:11], v[14:15]
	v_add_f64 v[20:21], v[12:13], v[165:166]
	ds_load_b128 v[2:5], v1 offset:1584
	ds_load_b128 v[10:13], v1 offset:1600
	s_waitcnt vmcnt(4) lgkmcnt(1)
	v_mul_f64 v[163:164], v[2:3], v[28:29]
	v_mul_f64 v[28:29], v[4:5], v[28:29]
	v_add_f64 v[14:15], v[14:15], v[18:19]
	v_add_f64 v[16:17], v[20:21], v[156:157]
	s_waitcnt vmcnt(3) lgkmcnt(0)
	v_mul_f64 v[18:19], v[10:11], v[32:33]
	v_mul_f64 v[20:21], v[12:13], v[32:33]
	v_fma_f64 v[22:23], v[4:5], v[26:27], v[163:164]
	v_fma_f64 v[24:25], v[2:3], v[26:27], -v[28:29]
	v_add_f64 v[14:15], v[14:15], v[6:7]
	v_add_f64 v[16:17], v[16:17], v[8:9]
	ds_load_b128 v[2:5], v1 offset:1616
	ds_load_b128 v[6:9], v1 offset:1632
	v_fma_f64 v[12:13], v[12:13], v[30:31], v[18:19]
	v_fma_f64 v[10:11], v[10:11], v[30:31], -v[20:21]
	s_waitcnt vmcnt(2) lgkmcnt(1)
	v_mul_f64 v[26:27], v[2:3], v[40:41]
	v_mul_f64 v[28:29], v[4:5], v[40:41]
	s_waitcnt vmcnt(1) lgkmcnt(0)
	v_mul_f64 v[18:19], v[6:7], v[154:155]
	v_mul_f64 v[20:21], v[8:9], v[154:155]
	v_add_f64 v[14:15], v[14:15], v[24:25]
	v_add_f64 v[16:17], v[16:17], v[22:23]
	v_fma_f64 v[22:23], v[4:5], v[38:39], v[26:27]
	v_fma_f64 v[24:25], v[2:3], v[38:39], -v[28:29]
	ds_load_b128 v[2:5], v1 offset:1648
	v_fma_f64 v[8:9], v[8:9], v[152:153], v[18:19]
	v_fma_f64 v[6:7], v[6:7], v[152:153], -v[20:21]
	v_add_f64 v[10:11], v[14:15], v[10:11]
	v_add_f64 v[12:13], v[16:17], v[12:13]
	s_waitcnt vmcnt(0) lgkmcnt(0)
	v_mul_f64 v[14:15], v[2:3], v[36:37]
	v_mul_f64 v[16:17], v[4:5], v[36:37]
	s_delay_alu instid0(VALU_DEP_4) | instskip(NEXT) | instid1(VALU_DEP_4)
	v_add_f64 v[10:11], v[10:11], v[24:25]
	v_add_f64 v[12:13], v[12:13], v[22:23]
	s_delay_alu instid0(VALU_DEP_4) | instskip(NEXT) | instid1(VALU_DEP_4)
	v_fma_f64 v[4:5], v[4:5], v[34:35], v[14:15]
	v_fma_f64 v[2:3], v[2:3], v[34:35], -v[16:17]
	s_delay_alu instid0(VALU_DEP_4) | instskip(NEXT) | instid1(VALU_DEP_4)
	v_add_f64 v[6:7], v[10:11], v[6:7]
	v_add_f64 v[8:9], v[12:13], v[8:9]
	s_delay_alu instid0(VALU_DEP_2) | instskip(NEXT) | instid1(VALU_DEP_2)
	v_add_f64 v[2:3], v[6:7], v[2:3]
	v_add_f64 v[4:5], v[8:9], v[4:5]
	s_delay_alu instid0(VALU_DEP_2) | instskip(NEXT) | instid1(VALU_DEP_2)
	v_add_f64 v[2:3], v[42:43], -v[2:3]
	v_add_f64 v[4:5], v[44:45], -v[4:5]
	scratch_store_b128 off, v[2:5], off offset:480
	v_cmpx_lt_u32_e32 29, v150
	s_cbranch_execz .LBB51_267
; %bb.266:
	scratch_load_b128 v[5:8], v173, off
	v_mov_b32_e32 v2, v1
	v_mov_b32_e32 v3, v1
	;; [unrolled: 1-line block ×3, first 2 shown]
	scratch_store_b128 off, v[1:4], off offset:464
	s_waitcnt vmcnt(0)
	ds_store_b128 v202, v[5:8]
.LBB51_267:
	s_or_b32 exec_lo, exec_lo, s2
	s_waitcnt lgkmcnt(0)
	s_waitcnt_vscnt null, 0x0
	s_barrier
	buffer_gl0_inv
	s_clause 0x8
	scratch_load_b128 v[2:5], off, off offset:480
	scratch_load_b128 v[6:9], off, off offset:496
	;; [unrolled: 1-line block ×9, first 2 shown]
	ds_load_b128 v[38:41], v1 offset:1312
	ds_load_b128 v[42:45], v1 offset:1328
	s_clause 0x1
	scratch_load_b128 v[152:155], off, off offset:464
	scratch_load_b128 v[163:166], off, off offset:624
	s_mov_b32 s2, exec_lo
	ds_load_b128 v[215:218], v1 offset:1360
	s_waitcnt vmcnt(10) lgkmcnt(2)
	v_mul_f64 v[156:157], v[40:41], v[4:5]
	v_mul_f64 v[4:5], v[38:39], v[4:5]
	s_waitcnt vmcnt(9) lgkmcnt(1)
	v_mul_f64 v[219:220], v[42:43], v[8:9]
	v_mul_f64 v[8:9], v[44:45], v[8:9]
	s_delay_alu instid0(VALU_DEP_4) | instskip(NEXT) | instid1(VALU_DEP_4)
	v_fma_f64 v[156:157], v[38:39], v[2:3], -v[156:157]
	v_fma_f64 v[221:222], v[40:41], v[2:3], v[4:5]
	ds_load_b128 v[2:5], v1 offset:1344
	scratch_load_b128 v[38:41], off, off offset:640
	v_fma_f64 v[44:45], v[44:45], v[6:7], v[219:220]
	v_fma_f64 v[42:43], v[42:43], v[6:7], -v[8:9]
	scratch_load_b128 v[6:9], off, off offset:656
	s_waitcnt vmcnt(10) lgkmcnt(0)
	v_mul_f64 v[223:224], v[2:3], v[12:13]
	v_mul_f64 v[12:13], v[4:5], v[12:13]
	v_add_f64 v[156:157], v[156:157], 0
	v_add_f64 v[219:220], v[221:222], 0
	s_waitcnt vmcnt(9)
	v_mul_f64 v[221:222], v[215:216], v[16:17]
	v_mul_f64 v[16:17], v[217:218], v[16:17]
	v_fma_f64 v[223:224], v[4:5], v[10:11], v[223:224]
	v_fma_f64 v[225:226], v[2:3], v[10:11], -v[12:13]
	ds_load_b128 v[2:5], v1 offset:1376
	scratch_load_b128 v[10:13], off, off offset:672
	v_add_f64 v[156:157], v[156:157], v[42:43]
	v_add_f64 v[219:220], v[219:220], v[44:45]
	ds_load_b128 v[42:45], v1 offset:1392
	v_fma_f64 v[217:218], v[217:218], v[14:15], v[221:222]
	v_fma_f64 v[215:216], v[215:216], v[14:15], -v[16:17]
	scratch_load_b128 v[14:17], off, off offset:688
	s_waitcnt vmcnt(10) lgkmcnt(1)
	v_mul_f64 v[227:228], v[2:3], v[20:21]
	v_mul_f64 v[20:21], v[4:5], v[20:21]
	s_waitcnt vmcnt(9) lgkmcnt(0)
	v_mul_f64 v[221:222], v[42:43], v[24:25]
	v_mul_f64 v[24:25], v[44:45], v[24:25]
	v_add_f64 v[156:157], v[156:157], v[225:226]
	v_add_f64 v[219:220], v[219:220], v[223:224]
	v_fma_f64 v[223:224], v[4:5], v[18:19], v[227:228]
	v_fma_f64 v[225:226], v[2:3], v[18:19], -v[20:21]
	ds_load_b128 v[2:5], v1 offset:1408
	scratch_load_b128 v[18:21], off, off offset:704
	v_fma_f64 v[44:45], v[44:45], v[22:23], v[221:222]
	v_fma_f64 v[42:43], v[42:43], v[22:23], -v[24:25]
	scratch_load_b128 v[22:25], off, off offset:720
	v_add_f64 v[156:157], v[156:157], v[215:216]
	v_add_f64 v[219:220], v[219:220], v[217:218]
	ds_load_b128 v[215:218], v1 offset:1424
	s_waitcnt vmcnt(10) lgkmcnt(1)
	v_mul_f64 v[227:228], v[2:3], v[28:29]
	v_mul_f64 v[28:29], v[4:5], v[28:29]
	s_waitcnt vmcnt(9) lgkmcnt(0)
	v_mul_f64 v[221:222], v[215:216], v[32:33]
	v_mul_f64 v[32:33], v[217:218], v[32:33]
	v_add_f64 v[156:157], v[156:157], v[225:226]
	v_add_f64 v[219:220], v[219:220], v[223:224]
	v_fma_f64 v[223:224], v[4:5], v[26:27], v[227:228]
	v_fma_f64 v[225:226], v[2:3], v[26:27], -v[28:29]
	ds_load_b128 v[2:5], v1 offset:1440
	scratch_load_b128 v[26:29], off, off offset:736
	v_fma_f64 v[217:218], v[217:218], v[30:31], v[221:222]
	v_fma_f64 v[215:216], v[215:216], v[30:31], -v[32:33]
	scratch_load_b128 v[30:33], off, off offset:752
	v_add_f64 v[156:157], v[156:157], v[42:43]
	v_add_f64 v[219:220], v[219:220], v[44:45]
	ds_load_b128 v[42:45], v1 offset:1456
	s_waitcnt vmcnt(10) lgkmcnt(1)
	v_mul_f64 v[227:228], v[2:3], v[36:37]
	v_mul_f64 v[36:37], v[4:5], v[36:37]
	s_waitcnt vmcnt(8) lgkmcnt(0)
	v_mul_f64 v[221:222], v[42:43], v[165:166]
	v_mul_f64 v[165:166], v[44:45], v[165:166]
	v_add_f64 v[156:157], v[156:157], v[225:226]
	v_add_f64 v[219:220], v[219:220], v[223:224]
	v_fma_f64 v[223:224], v[4:5], v[34:35], v[227:228]
	v_fma_f64 v[225:226], v[2:3], v[34:35], -v[36:37]
	ds_load_b128 v[2:5], v1 offset:1472
	scratch_load_b128 v[34:37], off, off offset:768
	v_fma_f64 v[44:45], v[44:45], v[163:164], v[221:222]
	v_fma_f64 v[163:164], v[42:43], v[163:164], -v[165:166]
	v_add_f64 v[156:157], v[156:157], v[215:216]
	v_add_f64 v[219:220], v[219:220], v[217:218]
	ds_load_b128 v[215:218], v1 offset:1488
	s_waitcnt vmcnt(8) lgkmcnt(1)
	v_mul_f64 v[227:228], v[2:3], v[40:41]
	v_mul_f64 v[229:230], v[4:5], v[40:41]
	scratch_load_b128 v[40:43], off, off offset:784
	v_add_f64 v[156:157], v[156:157], v[225:226]
	v_add_f64 v[165:166], v[219:220], v[223:224]
	s_waitcnt vmcnt(8) lgkmcnt(0)
	v_mul_f64 v[223:224], v[215:216], v[8:9]
	v_mul_f64 v[8:9], v[217:218], v[8:9]
	ds_load_b128 v[219:222], v1 offset:1520
	v_fma_f64 v[225:226], v[4:5], v[38:39], v[227:228]
	v_fma_f64 v[38:39], v[2:3], v[38:39], -v[229:230]
	ds_load_b128 v[2:5], v1 offset:1504
	v_add_f64 v[156:157], v[156:157], v[163:164]
	v_add_f64 v[44:45], v[165:166], v[44:45]
	scratch_load_b128 v[163:166], off, off offset:800
	s_waitcnt vmcnt(8) lgkmcnt(0)
	v_mul_f64 v[227:228], v[2:3], v[12:13]
	v_mul_f64 v[12:13], v[4:5], v[12:13]
	v_fma_f64 v[217:218], v[217:218], v[6:7], v[223:224]
	v_fma_f64 v[215:216], v[215:216], v[6:7], -v[8:9]
	scratch_load_b128 v[6:9], off, off offset:816
	v_add_f64 v[38:39], v[156:157], v[38:39]
	v_add_f64 v[44:45], v[44:45], v[225:226]
	s_waitcnt vmcnt(8)
	v_mul_f64 v[156:157], v[219:220], v[16:17]
	v_mul_f64 v[16:17], v[221:222], v[16:17]
	v_fma_f64 v[223:224], v[4:5], v[10:11], v[227:228]
	v_fma_f64 v[225:226], v[2:3], v[10:11], -v[12:13]
	ds_load_b128 v[2:5], v1 offset:1536
	ds_load_b128 v[10:13], v1 offset:1552
	v_add_f64 v[38:39], v[38:39], v[215:216]
	v_add_f64 v[44:45], v[44:45], v[217:218]
	s_waitcnt vmcnt(7) lgkmcnt(1)
	v_mul_f64 v[215:216], v[2:3], v[20:21]
	v_mul_f64 v[20:21], v[4:5], v[20:21]
	v_fma_f64 v[156:157], v[221:222], v[14:15], v[156:157]
	v_fma_f64 v[14:15], v[219:220], v[14:15], -v[16:17]
	v_add_f64 v[16:17], v[38:39], v[225:226]
	v_add_f64 v[38:39], v[44:45], v[223:224]
	s_waitcnt vmcnt(6) lgkmcnt(0)
	v_mul_f64 v[44:45], v[10:11], v[24:25]
	v_mul_f64 v[24:25], v[12:13], v[24:25]
	v_fma_f64 v[215:216], v[4:5], v[18:19], v[215:216]
	v_fma_f64 v[18:19], v[2:3], v[18:19], -v[20:21]
	v_add_f64 v[20:21], v[16:17], v[14:15]
	v_add_f64 v[38:39], v[38:39], v[156:157]
	ds_load_b128 v[2:5], v1 offset:1568
	ds_load_b128 v[14:17], v1 offset:1584
	v_fma_f64 v[12:13], v[12:13], v[22:23], v[44:45]
	v_fma_f64 v[10:11], v[10:11], v[22:23], -v[24:25]
	s_waitcnt vmcnt(5) lgkmcnt(1)
	v_mul_f64 v[156:157], v[2:3], v[28:29]
	v_mul_f64 v[28:29], v[4:5], v[28:29]
	s_waitcnt vmcnt(4) lgkmcnt(0)
	v_mul_f64 v[22:23], v[14:15], v[32:33]
	v_mul_f64 v[24:25], v[16:17], v[32:33]
	v_add_f64 v[18:19], v[20:21], v[18:19]
	v_add_f64 v[20:21], v[38:39], v[215:216]
	v_fma_f64 v[32:33], v[4:5], v[26:27], v[156:157]
	v_fma_f64 v[26:27], v[2:3], v[26:27], -v[28:29]
	v_fma_f64 v[16:17], v[16:17], v[30:31], v[22:23]
	v_fma_f64 v[14:15], v[14:15], v[30:31], -v[24:25]
	v_add_f64 v[18:19], v[18:19], v[10:11]
	v_add_f64 v[20:21], v[20:21], v[12:13]
	ds_load_b128 v[2:5], v1 offset:1600
	ds_load_b128 v[10:13], v1 offset:1616
	s_waitcnt vmcnt(3) lgkmcnt(1)
	v_mul_f64 v[28:29], v[2:3], v[36:37]
	v_mul_f64 v[36:37], v[4:5], v[36:37]
	s_waitcnt vmcnt(2) lgkmcnt(0)
	v_mul_f64 v[22:23], v[10:11], v[42:43]
	v_add_f64 v[18:19], v[18:19], v[26:27]
	v_add_f64 v[20:21], v[20:21], v[32:33]
	v_mul_f64 v[24:25], v[12:13], v[42:43]
	v_fma_f64 v[26:27], v[4:5], v[34:35], v[28:29]
	v_fma_f64 v[28:29], v[2:3], v[34:35], -v[36:37]
	v_fma_f64 v[12:13], v[12:13], v[40:41], v[22:23]
	v_add_f64 v[18:19], v[18:19], v[14:15]
	v_add_f64 v[20:21], v[20:21], v[16:17]
	ds_load_b128 v[2:5], v1 offset:1632
	ds_load_b128 v[14:17], v1 offset:1648
	v_fma_f64 v[10:11], v[10:11], v[40:41], -v[24:25]
	s_waitcnt vmcnt(1) lgkmcnt(1)
	v_mul_f64 v[30:31], v[2:3], v[165:166]
	v_mul_f64 v[32:33], v[4:5], v[165:166]
	s_waitcnt vmcnt(0) lgkmcnt(0)
	v_mul_f64 v[22:23], v[14:15], v[8:9]
	v_mul_f64 v[8:9], v[16:17], v[8:9]
	v_add_f64 v[18:19], v[18:19], v[28:29]
	v_add_f64 v[20:21], v[20:21], v[26:27]
	v_fma_f64 v[4:5], v[4:5], v[163:164], v[30:31]
	v_fma_f64 v[1:2], v[2:3], v[163:164], -v[32:33]
	v_fma_f64 v[16:17], v[16:17], v[6:7], v[22:23]
	v_fma_f64 v[6:7], v[14:15], v[6:7], -v[8:9]
	v_add_f64 v[10:11], v[18:19], v[10:11]
	v_add_f64 v[12:13], v[20:21], v[12:13]
	s_delay_alu instid0(VALU_DEP_2) | instskip(NEXT) | instid1(VALU_DEP_2)
	v_add_f64 v[1:2], v[10:11], v[1:2]
	v_add_f64 v[3:4], v[12:13], v[4:5]
	s_delay_alu instid0(VALU_DEP_2) | instskip(NEXT) | instid1(VALU_DEP_2)
	;; [unrolled: 3-line block ×3, first 2 shown]
	v_add_f64 v[1:2], v[152:153], -v[1:2]
	v_add_f64 v[3:4], v[154:155], -v[3:4]
	scratch_store_b128 off, v[1:4], off offset:464
	v_cmpx_lt_u32_e32 28, v150
	s_cbranch_execz .LBB51_269
; %bb.268:
	scratch_load_b128 v[1:4], v174, off
	v_mov_b32_e32 v5, 0
	s_delay_alu instid0(VALU_DEP_1)
	v_mov_b32_e32 v6, v5
	v_mov_b32_e32 v7, v5
	;; [unrolled: 1-line block ×3, first 2 shown]
	scratch_store_b128 off, v[5:8], off offset:448
	s_waitcnt vmcnt(0)
	ds_store_b128 v202, v[1:4]
.LBB51_269:
	s_or_b32 exec_lo, exec_lo, s2
	s_waitcnt lgkmcnt(0)
	s_waitcnt_vscnt null, 0x0
	s_barrier
	buffer_gl0_inv
	s_clause 0x7
	scratch_load_b128 v[2:5], off, off offset:464
	scratch_load_b128 v[6:9], off, off offset:480
	;; [unrolled: 1-line block ×8, first 2 shown]
	v_mov_b32_e32 v1, 0
	s_mov_b32 s2, exec_lo
	ds_load_b128 v[34:37], v1 offset:1296
	s_clause 0x1
	scratch_load_b128 v[38:41], off, off offset:592
	scratch_load_b128 v[42:45], off, off offset:448
	ds_load_b128 v[152:155], v1 offset:1312
	scratch_load_b128 v[163:166], off, off offset:608
	ds_load_b128 v[215:218], v1 offset:1344
	s_waitcnt vmcnt(10) lgkmcnt(2)
	v_mul_f64 v[156:157], v[36:37], v[4:5]
	v_mul_f64 v[4:5], v[34:35], v[4:5]
	s_delay_alu instid0(VALU_DEP_2) | instskip(NEXT) | instid1(VALU_DEP_2)
	v_fma_f64 v[156:157], v[34:35], v[2:3], -v[156:157]
	v_fma_f64 v[221:222], v[36:37], v[2:3], v[4:5]
	ds_load_b128 v[2:5], v1 offset:1328
	s_waitcnt vmcnt(9) lgkmcnt(2)
	v_mul_f64 v[219:220], v[152:153], v[8:9]
	v_mul_f64 v[8:9], v[154:155], v[8:9]
	scratch_load_b128 v[34:37], off, off offset:624
	s_waitcnt vmcnt(9) lgkmcnt(0)
	v_mul_f64 v[223:224], v[2:3], v[12:13]
	v_mul_f64 v[12:13], v[4:5], v[12:13]
	v_add_f64 v[156:157], v[156:157], 0
	v_fma_f64 v[154:155], v[154:155], v[6:7], v[219:220]
	v_fma_f64 v[152:153], v[152:153], v[6:7], -v[8:9]
	v_add_f64 v[219:220], v[221:222], 0
	scratch_load_b128 v[6:9], off, off offset:640
	v_fma_f64 v[223:224], v[4:5], v[10:11], v[223:224]
	v_fma_f64 v[225:226], v[2:3], v[10:11], -v[12:13]
	scratch_load_b128 v[10:13], off, off offset:656
	ds_load_b128 v[2:5], v1 offset:1360
	s_waitcnt vmcnt(10)
	v_mul_f64 v[221:222], v[215:216], v[16:17]
	v_mul_f64 v[16:17], v[217:218], v[16:17]
	v_add_f64 v[156:157], v[156:157], v[152:153]
	v_add_f64 v[219:220], v[219:220], v[154:155]
	ds_load_b128 v[152:155], v1 offset:1376
	s_waitcnt vmcnt(9) lgkmcnt(1)
	v_mul_f64 v[227:228], v[2:3], v[20:21]
	v_mul_f64 v[20:21], v[4:5], v[20:21]
	v_fma_f64 v[217:218], v[217:218], v[14:15], v[221:222]
	v_fma_f64 v[215:216], v[215:216], v[14:15], -v[16:17]
	scratch_load_b128 v[14:17], off, off offset:672
	v_add_f64 v[156:157], v[156:157], v[225:226]
	v_add_f64 v[219:220], v[219:220], v[223:224]
	v_fma_f64 v[223:224], v[4:5], v[18:19], v[227:228]
	v_fma_f64 v[225:226], v[2:3], v[18:19], -v[20:21]
	scratch_load_b128 v[18:21], off, off offset:688
	ds_load_b128 v[2:5], v1 offset:1392
	s_waitcnt vmcnt(10) lgkmcnt(1)
	v_mul_f64 v[221:222], v[152:153], v[24:25]
	v_mul_f64 v[24:25], v[154:155], v[24:25]
	s_waitcnt vmcnt(9) lgkmcnt(0)
	v_mul_f64 v[227:228], v[2:3], v[28:29]
	v_mul_f64 v[28:29], v[4:5], v[28:29]
	v_add_f64 v[156:157], v[156:157], v[215:216]
	v_add_f64 v[219:220], v[219:220], v[217:218]
	ds_load_b128 v[215:218], v1 offset:1408
	v_fma_f64 v[154:155], v[154:155], v[22:23], v[221:222]
	v_fma_f64 v[152:153], v[152:153], v[22:23], -v[24:25]
	scratch_load_b128 v[22:25], off, off offset:704
	v_add_f64 v[156:157], v[156:157], v[225:226]
	v_add_f64 v[219:220], v[219:220], v[223:224]
	v_fma_f64 v[223:224], v[4:5], v[26:27], v[227:228]
	v_fma_f64 v[225:226], v[2:3], v[26:27], -v[28:29]
	scratch_load_b128 v[26:29], off, off offset:720
	ds_load_b128 v[2:5], v1 offset:1424
	s_waitcnt vmcnt(10) lgkmcnt(1)
	v_mul_f64 v[221:222], v[215:216], v[32:33]
	v_mul_f64 v[32:33], v[217:218], v[32:33]
	s_waitcnt vmcnt(9) lgkmcnt(0)
	v_mul_f64 v[227:228], v[2:3], v[40:41]
	v_mul_f64 v[40:41], v[4:5], v[40:41]
	v_add_f64 v[156:157], v[156:157], v[152:153]
	v_add_f64 v[219:220], v[219:220], v[154:155]
	ds_load_b128 v[152:155], v1 offset:1440
	v_fma_f64 v[217:218], v[217:218], v[30:31], v[221:222]
	v_fma_f64 v[215:216], v[215:216], v[30:31], -v[32:33]
	scratch_load_b128 v[30:33], off, off offset:736
	v_add_f64 v[156:157], v[156:157], v[225:226]
	v_add_f64 v[219:220], v[219:220], v[223:224]
	v_fma_f64 v[223:224], v[4:5], v[38:39], v[227:228]
	v_fma_f64 v[225:226], v[2:3], v[38:39], -v[40:41]
	scratch_load_b128 v[38:41], off, off offset:752
	ds_load_b128 v[2:5], v1 offset:1456
	s_waitcnt vmcnt(9) lgkmcnt(1)
	v_mul_f64 v[221:222], v[152:153], v[165:166]
	v_mul_f64 v[165:166], v[154:155], v[165:166]
	v_add_f64 v[156:157], v[156:157], v[215:216]
	v_add_f64 v[219:220], v[219:220], v[217:218]
	ds_load_b128 v[215:218], v1 offset:1472
	v_fma_f64 v[221:222], v[154:155], v[163:164], v[221:222]
	v_fma_f64 v[163:164], v[152:153], v[163:164], -v[165:166]
	scratch_load_b128 v[152:155], off, off offset:768
	s_waitcnt vmcnt(9) lgkmcnt(1)
	v_mul_f64 v[227:228], v[2:3], v[36:37]
	v_mul_f64 v[36:37], v[4:5], v[36:37]
	v_add_f64 v[156:157], v[156:157], v[225:226]
	v_add_f64 v[165:166], v[219:220], v[223:224]
	s_delay_alu instid0(VALU_DEP_4) | instskip(NEXT) | instid1(VALU_DEP_4)
	v_fma_f64 v[223:224], v[4:5], v[34:35], v[227:228]
	v_fma_f64 v[225:226], v[2:3], v[34:35], -v[36:37]
	scratch_load_b128 v[34:37], off, off offset:784
	ds_load_b128 v[2:5], v1 offset:1488
	s_waitcnt vmcnt(9) lgkmcnt(1)
	v_mul_f64 v[219:220], v[215:216], v[8:9]
	v_mul_f64 v[8:9], v[217:218], v[8:9]
	v_add_f64 v[156:157], v[156:157], v[163:164]
	v_add_f64 v[221:222], v[165:166], v[221:222]
	s_waitcnt vmcnt(8) lgkmcnt(0)
	v_mul_f64 v[227:228], v[2:3], v[12:13]
	v_mul_f64 v[12:13], v[4:5], v[12:13]
	ds_load_b128 v[163:166], v1 offset:1504
	v_fma_f64 v[217:218], v[217:218], v[6:7], v[219:220]
	v_fma_f64 v[215:216], v[215:216], v[6:7], -v[8:9]
	scratch_load_b128 v[6:9], off, off offset:800
	v_add_f64 v[156:157], v[156:157], v[225:226]
	v_add_f64 v[219:220], v[221:222], v[223:224]
	v_fma_f64 v[223:224], v[4:5], v[10:11], v[227:228]
	v_fma_f64 v[225:226], v[2:3], v[10:11], -v[12:13]
	scratch_load_b128 v[10:13], off, off offset:816
	ds_load_b128 v[2:5], v1 offset:1520
	s_waitcnt vmcnt(9) lgkmcnt(1)
	v_mul_f64 v[221:222], v[163:164], v[16:17]
	v_mul_f64 v[16:17], v[165:166], v[16:17]
	s_waitcnt vmcnt(8) lgkmcnt(0)
	v_mul_f64 v[227:228], v[2:3], v[20:21]
	v_mul_f64 v[20:21], v[4:5], v[20:21]
	v_add_f64 v[156:157], v[156:157], v[215:216]
	v_add_f64 v[219:220], v[219:220], v[217:218]
	ds_load_b128 v[215:218], v1 offset:1536
	v_fma_f64 v[165:166], v[165:166], v[14:15], v[221:222]
	v_fma_f64 v[14:15], v[163:164], v[14:15], -v[16:17]
	s_waitcnt vmcnt(7) lgkmcnt(0)
	v_mul_f64 v[163:164], v[215:216], v[24:25]
	v_mul_f64 v[24:25], v[217:218], v[24:25]
	v_add_f64 v[16:17], v[156:157], v[225:226]
	v_add_f64 v[156:157], v[219:220], v[223:224]
	v_fma_f64 v[219:220], v[4:5], v[18:19], v[227:228]
	v_fma_f64 v[18:19], v[2:3], v[18:19], -v[20:21]
	v_fma_f64 v[163:164], v[217:218], v[22:23], v[163:164]
	v_fma_f64 v[22:23], v[215:216], v[22:23], -v[24:25]
	v_add_f64 v[20:21], v[16:17], v[14:15]
	v_add_f64 v[156:157], v[156:157], v[165:166]
	ds_load_b128 v[2:5], v1 offset:1552
	ds_load_b128 v[14:17], v1 offset:1568
	s_waitcnt vmcnt(6) lgkmcnt(1)
	v_mul_f64 v[165:166], v[2:3], v[28:29]
	v_mul_f64 v[28:29], v[4:5], v[28:29]
	s_waitcnt vmcnt(5) lgkmcnt(0)
	v_mul_f64 v[24:25], v[14:15], v[32:33]
	v_mul_f64 v[32:33], v[16:17], v[32:33]
	v_add_f64 v[18:19], v[20:21], v[18:19]
	v_add_f64 v[20:21], v[156:157], v[219:220]
	v_fma_f64 v[156:157], v[4:5], v[26:27], v[165:166]
	v_fma_f64 v[26:27], v[2:3], v[26:27], -v[28:29]
	v_fma_f64 v[16:17], v[16:17], v[30:31], v[24:25]
	v_fma_f64 v[14:15], v[14:15], v[30:31], -v[32:33]
	v_add_f64 v[22:23], v[18:19], v[22:23]
	v_add_f64 v[28:29], v[20:21], v[163:164]
	ds_load_b128 v[2:5], v1 offset:1584
	ds_load_b128 v[18:21], v1 offset:1600
	s_waitcnt vmcnt(4) lgkmcnt(1)
	v_mul_f64 v[163:164], v[2:3], v[40:41]
	v_mul_f64 v[40:41], v[4:5], v[40:41]
	v_add_f64 v[22:23], v[22:23], v[26:27]
	v_add_f64 v[24:25], v[28:29], v[156:157]
	s_waitcnt vmcnt(3) lgkmcnt(0)
	v_mul_f64 v[26:27], v[18:19], v[154:155]
	v_mul_f64 v[28:29], v[20:21], v[154:155]
	v_fma_f64 v[30:31], v[4:5], v[38:39], v[163:164]
	v_fma_f64 v[32:33], v[2:3], v[38:39], -v[40:41]
	v_add_f64 v[22:23], v[22:23], v[14:15]
	v_add_f64 v[24:25], v[24:25], v[16:17]
	ds_load_b128 v[2:5], v1 offset:1616
	ds_load_b128 v[14:17], v1 offset:1632
	v_fma_f64 v[20:21], v[20:21], v[152:153], v[26:27]
	v_fma_f64 v[18:19], v[18:19], v[152:153], -v[28:29]
	s_waitcnt vmcnt(2) lgkmcnt(1)
	v_mul_f64 v[38:39], v[2:3], v[36:37]
	v_mul_f64 v[36:37], v[4:5], v[36:37]
	v_add_f64 v[22:23], v[22:23], v[32:33]
	v_add_f64 v[24:25], v[24:25], v[30:31]
	s_waitcnt vmcnt(1) lgkmcnt(0)
	v_mul_f64 v[26:27], v[14:15], v[8:9]
	v_mul_f64 v[8:9], v[16:17], v[8:9]
	v_fma_f64 v[28:29], v[4:5], v[34:35], v[38:39]
	v_fma_f64 v[30:31], v[2:3], v[34:35], -v[36:37]
	ds_load_b128 v[2:5], v1 offset:1648
	v_add_f64 v[18:19], v[22:23], v[18:19]
	v_add_f64 v[20:21], v[24:25], v[20:21]
	v_fma_f64 v[16:17], v[16:17], v[6:7], v[26:27]
	v_fma_f64 v[6:7], v[14:15], v[6:7], -v[8:9]
	s_waitcnt vmcnt(0) lgkmcnt(0)
	v_mul_f64 v[22:23], v[2:3], v[12:13]
	v_mul_f64 v[12:13], v[4:5], v[12:13]
	v_add_f64 v[8:9], v[18:19], v[30:31]
	v_add_f64 v[14:15], v[20:21], v[28:29]
	s_delay_alu instid0(VALU_DEP_4) | instskip(NEXT) | instid1(VALU_DEP_4)
	v_fma_f64 v[4:5], v[4:5], v[10:11], v[22:23]
	v_fma_f64 v[2:3], v[2:3], v[10:11], -v[12:13]
	s_delay_alu instid0(VALU_DEP_4) | instskip(NEXT) | instid1(VALU_DEP_4)
	v_add_f64 v[6:7], v[8:9], v[6:7]
	v_add_f64 v[8:9], v[14:15], v[16:17]
	s_delay_alu instid0(VALU_DEP_2) | instskip(NEXT) | instid1(VALU_DEP_2)
	v_add_f64 v[2:3], v[6:7], v[2:3]
	v_add_f64 v[4:5], v[8:9], v[4:5]
	s_delay_alu instid0(VALU_DEP_2) | instskip(NEXT) | instid1(VALU_DEP_2)
	v_add_f64 v[2:3], v[42:43], -v[2:3]
	v_add_f64 v[4:5], v[44:45], -v[4:5]
	scratch_store_b128 off, v[2:5], off offset:448
	v_cmpx_lt_u32_e32 27, v150
	s_cbranch_execz .LBB51_271
; %bb.270:
	scratch_load_b128 v[5:8], v175, off
	v_mov_b32_e32 v2, v1
	v_mov_b32_e32 v3, v1
	;; [unrolled: 1-line block ×3, first 2 shown]
	scratch_store_b128 off, v[1:4], off offset:432
	s_waitcnt vmcnt(0)
	ds_store_b128 v202, v[5:8]
.LBB51_271:
	s_or_b32 exec_lo, exec_lo, s2
	s_waitcnt lgkmcnt(0)
	s_waitcnt_vscnt null, 0x0
	s_barrier
	buffer_gl0_inv
	s_clause 0x8
	scratch_load_b128 v[2:5], off, off offset:448
	scratch_load_b128 v[6:9], off, off offset:464
	;; [unrolled: 1-line block ×9, first 2 shown]
	ds_load_b128 v[38:41], v1 offset:1280
	ds_load_b128 v[42:45], v1 offset:1296
	s_clause 0x1
	scratch_load_b128 v[152:155], off, off offset:432
	scratch_load_b128 v[163:166], off, off offset:592
	s_mov_b32 s2, exec_lo
	ds_load_b128 v[215:218], v1 offset:1328
	s_waitcnt vmcnt(10) lgkmcnt(2)
	v_mul_f64 v[156:157], v[40:41], v[4:5]
	v_mul_f64 v[4:5], v[38:39], v[4:5]
	s_waitcnt vmcnt(9) lgkmcnt(1)
	v_mul_f64 v[219:220], v[42:43], v[8:9]
	v_mul_f64 v[8:9], v[44:45], v[8:9]
	s_delay_alu instid0(VALU_DEP_4) | instskip(NEXT) | instid1(VALU_DEP_4)
	v_fma_f64 v[156:157], v[38:39], v[2:3], -v[156:157]
	v_fma_f64 v[221:222], v[40:41], v[2:3], v[4:5]
	ds_load_b128 v[2:5], v1 offset:1312
	scratch_load_b128 v[38:41], off, off offset:608
	v_fma_f64 v[44:45], v[44:45], v[6:7], v[219:220]
	v_fma_f64 v[42:43], v[42:43], v[6:7], -v[8:9]
	scratch_load_b128 v[6:9], off, off offset:624
	s_waitcnt vmcnt(10) lgkmcnt(0)
	v_mul_f64 v[223:224], v[2:3], v[12:13]
	v_mul_f64 v[12:13], v[4:5], v[12:13]
	v_add_f64 v[156:157], v[156:157], 0
	v_add_f64 v[219:220], v[221:222], 0
	s_waitcnt vmcnt(9)
	v_mul_f64 v[221:222], v[215:216], v[16:17]
	v_mul_f64 v[16:17], v[217:218], v[16:17]
	v_fma_f64 v[223:224], v[4:5], v[10:11], v[223:224]
	v_fma_f64 v[225:226], v[2:3], v[10:11], -v[12:13]
	ds_load_b128 v[2:5], v1 offset:1344
	scratch_load_b128 v[10:13], off, off offset:640
	v_add_f64 v[156:157], v[156:157], v[42:43]
	v_add_f64 v[219:220], v[219:220], v[44:45]
	ds_load_b128 v[42:45], v1 offset:1360
	v_fma_f64 v[217:218], v[217:218], v[14:15], v[221:222]
	v_fma_f64 v[215:216], v[215:216], v[14:15], -v[16:17]
	scratch_load_b128 v[14:17], off, off offset:656
	s_waitcnt vmcnt(10) lgkmcnt(1)
	v_mul_f64 v[227:228], v[2:3], v[20:21]
	v_mul_f64 v[20:21], v[4:5], v[20:21]
	s_waitcnt vmcnt(9) lgkmcnt(0)
	v_mul_f64 v[221:222], v[42:43], v[24:25]
	v_mul_f64 v[24:25], v[44:45], v[24:25]
	v_add_f64 v[156:157], v[156:157], v[225:226]
	v_add_f64 v[219:220], v[219:220], v[223:224]
	v_fma_f64 v[223:224], v[4:5], v[18:19], v[227:228]
	v_fma_f64 v[225:226], v[2:3], v[18:19], -v[20:21]
	ds_load_b128 v[2:5], v1 offset:1376
	scratch_load_b128 v[18:21], off, off offset:672
	v_fma_f64 v[44:45], v[44:45], v[22:23], v[221:222]
	v_fma_f64 v[42:43], v[42:43], v[22:23], -v[24:25]
	scratch_load_b128 v[22:25], off, off offset:688
	v_add_f64 v[156:157], v[156:157], v[215:216]
	v_add_f64 v[219:220], v[219:220], v[217:218]
	ds_load_b128 v[215:218], v1 offset:1392
	s_waitcnt vmcnt(10) lgkmcnt(1)
	v_mul_f64 v[227:228], v[2:3], v[28:29]
	v_mul_f64 v[28:29], v[4:5], v[28:29]
	s_waitcnt vmcnt(9) lgkmcnt(0)
	v_mul_f64 v[221:222], v[215:216], v[32:33]
	v_mul_f64 v[32:33], v[217:218], v[32:33]
	v_add_f64 v[156:157], v[156:157], v[225:226]
	v_add_f64 v[219:220], v[219:220], v[223:224]
	v_fma_f64 v[223:224], v[4:5], v[26:27], v[227:228]
	v_fma_f64 v[225:226], v[2:3], v[26:27], -v[28:29]
	ds_load_b128 v[2:5], v1 offset:1408
	scratch_load_b128 v[26:29], off, off offset:704
	v_fma_f64 v[217:218], v[217:218], v[30:31], v[221:222]
	v_fma_f64 v[215:216], v[215:216], v[30:31], -v[32:33]
	scratch_load_b128 v[30:33], off, off offset:720
	v_add_f64 v[156:157], v[156:157], v[42:43]
	v_add_f64 v[219:220], v[219:220], v[44:45]
	ds_load_b128 v[42:45], v1 offset:1424
	s_waitcnt vmcnt(10) lgkmcnt(1)
	v_mul_f64 v[227:228], v[2:3], v[36:37]
	v_mul_f64 v[36:37], v[4:5], v[36:37]
	s_waitcnt vmcnt(8) lgkmcnt(0)
	v_mul_f64 v[221:222], v[42:43], v[165:166]
	v_mul_f64 v[165:166], v[44:45], v[165:166]
	v_add_f64 v[156:157], v[156:157], v[225:226]
	v_add_f64 v[219:220], v[219:220], v[223:224]
	v_fma_f64 v[223:224], v[4:5], v[34:35], v[227:228]
	v_fma_f64 v[225:226], v[2:3], v[34:35], -v[36:37]
	ds_load_b128 v[2:5], v1 offset:1440
	scratch_load_b128 v[34:37], off, off offset:736
	v_fma_f64 v[44:45], v[44:45], v[163:164], v[221:222]
	v_fma_f64 v[163:164], v[42:43], v[163:164], -v[165:166]
	v_add_f64 v[156:157], v[156:157], v[215:216]
	v_add_f64 v[219:220], v[219:220], v[217:218]
	ds_load_b128 v[215:218], v1 offset:1456
	s_waitcnt vmcnt(8) lgkmcnt(1)
	v_mul_f64 v[227:228], v[2:3], v[40:41]
	v_mul_f64 v[229:230], v[4:5], v[40:41]
	scratch_load_b128 v[40:43], off, off offset:752
	v_add_f64 v[156:157], v[156:157], v[225:226]
	v_add_f64 v[165:166], v[219:220], v[223:224]
	s_waitcnt vmcnt(8) lgkmcnt(0)
	v_mul_f64 v[223:224], v[215:216], v[8:9]
	v_mul_f64 v[8:9], v[217:218], v[8:9]
	ds_load_b128 v[219:222], v1 offset:1488
	v_fma_f64 v[225:226], v[4:5], v[38:39], v[227:228]
	v_fma_f64 v[38:39], v[2:3], v[38:39], -v[229:230]
	ds_load_b128 v[2:5], v1 offset:1472
	v_add_f64 v[156:157], v[156:157], v[163:164]
	v_add_f64 v[44:45], v[165:166], v[44:45]
	scratch_load_b128 v[163:166], off, off offset:768
	s_waitcnt vmcnt(8) lgkmcnt(0)
	v_mul_f64 v[227:228], v[2:3], v[12:13]
	v_mul_f64 v[12:13], v[4:5], v[12:13]
	v_fma_f64 v[217:218], v[217:218], v[6:7], v[223:224]
	v_fma_f64 v[215:216], v[215:216], v[6:7], -v[8:9]
	scratch_load_b128 v[6:9], off, off offset:784
	v_add_f64 v[38:39], v[156:157], v[38:39]
	v_add_f64 v[44:45], v[44:45], v[225:226]
	s_waitcnt vmcnt(8)
	v_mul_f64 v[156:157], v[219:220], v[16:17]
	v_mul_f64 v[16:17], v[221:222], v[16:17]
	v_fma_f64 v[223:224], v[4:5], v[10:11], v[227:228]
	v_fma_f64 v[225:226], v[2:3], v[10:11], -v[12:13]
	ds_load_b128 v[2:5], v1 offset:1504
	scratch_load_b128 v[10:13], off, off offset:800
	v_add_f64 v[38:39], v[38:39], v[215:216]
	v_add_f64 v[44:45], v[44:45], v[217:218]
	ds_load_b128 v[215:218], v1 offset:1520
	s_waitcnt vmcnt(8) lgkmcnt(1)
	v_mul_f64 v[227:228], v[2:3], v[20:21]
	v_mul_f64 v[20:21], v[4:5], v[20:21]
	v_fma_f64 v[156:157], v[221:222], v[14:15], v[156:157]
	v_fma_f64 v[219:220], v[219:220], v[14:15], -v[16:17]
	scratch_load_b128 v[14:17], off, off offset:816
	s_waitcnt vmcnt(8) lgkmcnt(0)
	v_mul_f64 v[221:222], v[215:216], v[24:25]
	v_mul_f64 v[24:25], v[217:218], v[24:25]
	v_add_f64 v[38:39], v[38:39], v[225:226]
	v_add_f64 v[44:45], v[44:45], v[223:224]
	v_fma_f64 v[223:224], v[4:5], v[18:19], v[227:228]
	v_fma_f64 v[225:226], v[2:3], v[18:19], -v[20:21]
	ds_load_b128 v[2:5], v1 offset:1536
	ds_load_b128 v[18:21], v1 offset:1552
	v_fma_f64 v[217:218], v[217:218], v[22:23], v[221:222]
	v_fma_f64 v[22:23], v[215:216], v[22:23], -v[24:25]
	v_add_f64 v[38:39], v[38:39], v[219:220]
	v_add_f64 v[44:45], v[44:45], v[156:157]
	s_waitcnt vmcnt(7) lgkmcnt(1)
	v_mul_f64 v[156:157], v[2:3], v[28:29]
	v_mul_f64 v[28:29], v[4:5], v[28:29]
	s_delay_alu instid0(VALU_DEP_4) | instskip(NEXT) | instid1(VALU_DEP_4)
	v_add_f64 v[24:25], v[38:39], v[225:226]
	v_add_f64 v[38:39], v[44:45], v[223:224]
	s_waitcnt vmcnt(6) lgkmcnt(0)
	v_mul_f64 v[44:45], v[18:19], v[32:33]
	v_mul_f64 v[32:33], v[20:21], v[32:33]
	v_fma_f64 v[156:157], v[4:5], v[26:27], v[156:157]
	v_fma_f64 v[26:27], v[2:3], v[26:27], -v[28:29]
	v_add_f64 v[28:29], v[24:25], v[22:23]
	v_add_f64 v[38:39], v[38:39], v[217:218]
	ds_load_b128 v[2:5], v1 offset:1568
	ds_load_b128 v[22:25], v1 offset:1584
	v_fma_f64 v[20:21], v[20:21], v[30:31], v[44:45]
	v_fma_f64 v[18:19], v[18:19], v[30:31], -v[32:33]
	s_waitcnt vmcnt(5) lgkmcnt(1)
	v_mul_f64 v[215:216], v[2:3], v[36:37]
	v_mul_f64 v[36:37], v[4:5], v[36:37]
	s_waitcnt vmcnt(4) lgkmcnt(0)
	v_mul_f64 v[30:31], v[22:23], v[42:43]
	v_add_f64 v[26:27], v[28:29], v[26:27]
	v_add_f64 v[28:29], v[38:39], v[156:157]
	v_mul_f64 v[32:33], v[24:25], v[42:43]
	v_fma_f64 v[38:39], v[4:5], v[34:35], v[215:216]
	v_fma_f64 v[34:35], v[2:3], v[34:35], -v[36:37]
	v_fma_f64 v[24:25], v[24:25], v[40:41], v[30:31]
	v_add_f64 v[26:27], v[26:27], v[18:19]
	v_add_f64 v[28:29], v[28:29], v[20:21]
	ds_load_b128 v[2:5], v1 offset:1600
	ds_load_b128 v[18:21], v1 offset:1616
	v_fma_f64 v[22:23], v[22:23], v[40:41], -v[32:33]
	s_waitcnt vmcnt(3) lgkmcnt(1)
	v_mul_f64 v[36:37], v[2:3], v[165:166]
	v_mul_f64 v[42:43], v[4:5], v[165:166]
	s_waitcnt vmcnt(2) lgkmcnt(0)
	v_mul_f64 v[30:31], v[18:19], v[8:9]
	v_mul_f64 v[8:9], v[20:21], v[8:9]
	v_add_f64 v[26:27], v[26:27], v[34:35]
	v_add_f64 v[28:29], v[28:29], v[38:39]
	v_fma_f64 v[32:33], v[4:5], v[163:164], v[36:37]
	v_fma_f64 v[34:35], v[2:3], v[163:164], -v[42:43]
	v_fma_f64 v[20:21], v[20:21], v[6:7], v[30:31]
	v_fma_f64 v[6:7], v[18:19], v[6:7], -v[8:9]
	v_add_f64 v[26:27], v[26:27], v[22:23]
	v_add_f64 v[28:29], v[28:29], v[24:25]
	ds_load_b128 v[2:5], v1 offset:1632
	ds_load_b128 v[22:25], v1 offset:1648
	s_waitcnt vmcnt(1) lgkmcnt(1)
	v_mul_f64 v[36:37], v[2:3], v[12:13]
	v_mul_f64 v[12:13], v[4:5], v[12:13]
	v_add_f64 v[8:9], v[26:27], v[34:35]
	v_add_f64 v[18:19], v[28:29], v[32:33]
	s_waitcnt vmcnt(0) lgkmcnt(0)
	v_mul_f64 v[26:27], v[22:23], v[16:17]
	v_mul_f64 v[16:17], v[24:25], v[16:17]
	v_fma_f64 v[4:5], v[4:5], v[10:11], v[36:37]
	v_fma_f64 v[1:2], v[2:3], v[10:11], -v[12:13]
	v_add_f64 v[6:7], v[8:9], v[6:7]
	v_add_f64 v[8:9], v[18:19], v[20:21]
	v_fma_f64 v[10:11], v[24:25], v[14:15], v[26:27]
	v_fma_f64 v[12:13], v[22:23], v[14:15], -v[16:17]
	s_delay_alu instid0(VALU_DEP_4) | instskip(NEXT) | instid1(VALU_DEP_4)
	v_add_f64 v[1:2], v[6:7], v[1:2]
	v_add_f64 v[3:4], v[8:9], v[4:5]
	s_delay_alu instid0(VALU_DEP_2) | instskip(NEXT) | instid1(VALU_DEP_2)
	v_add_f64 v[1:2], v[1:2], v[12:13]
	v_add_f64 v[3:4], v[3:4], v[10:11]
	s_delay_alu instid0(VALU_DEP_2) | instskip(NEXT) | instid1(VALU_DEP_2)
	v_add_f64 v[1:2], v[152:153], -v[1:2]
	v_add_f64 v[3:4], v[154:155], -v[3:4]
	scratch_store_b128 off, v[1:4], off offset:432
	v_cmpx_lt_u32_e32 26, v150
	s_cbranch_execz .LBB51_273
; %bb.272:
	scratch_load_b128 v[1:4], v176, off
	v_mov_b32_e32 v5, 0
	s_delay_alu instid0(VALU_DEP_1)
	v_mov_b32_e32 v6, v5
	v_mov_b32_e32 v7, v5
	;; [unrolled: 1-line block ×3, first 2 shown]
	scratch_store_b128 off, v[5:8], off offset:416
	s_waitcnt vmcnt(0)
	ds_store_b128 v202, v[1:4]
.LBB51_273:
	s_or_b32 exec_lo, exec_lo, s2
	s_waitcnt lgkmcnt(0)
	s_waitcnt_vscnt null, 0x0
	s_barrier
	buffer_gl0_inv
	s_clause 0x7
	scratch_load_b128 v[2:5], off, off offset:432
	scratch_load_b128 v[6:9], off, off offset:448
	;; [unrolled: 1-line block ×8, first 2 shown]
	v_mov_b32_e32 v1, 0
	s_mov_b32 s2, exec_lo
	ds_load_b128 v[34:37], v1 offset:1264
	s_clause 0x1
	scratch_load_b128 v[38:41], off, off offset:560
	scratch_load_b128 v[42:45], off, off offset:416
	ds_load_b128 v[152:155], v1 offset:1280
	scratch_load_b128 v[163:166], off, off offset:576
	ds_load_b128 v[215:218], v1 offset:1312
	s_waitcnt vmcnt(10) lgkmcnt(2)
	v_mul_f64 v[156:157], v[36:37], v[4:5]
	v_mul_f64 v[4:5], v[34:35], v[4:5]
	s_delay_alu instid0(VALU_DEP_2) | instskip(NEXT) | instid1(VALU_DEP_2)
	v_fma_f64 v[156:157], v[34:35], v[2:3], -v[156:157]
	v_fma_f64 v[221:222], v[36:37], v[2:3], v[4:5]
	ds_load_b128 v[2:5], v1 offset:1296
	s_waitcnt vmcnt(9) lgkmcnt(2)
	v_mul_f64 v[219:220], v[152:153], v[8:9]
	v_mul_f64 v[8:9], v[154:155], v[8:9]
	scratch_load_b128 v[34:37], off, off offset:592
	s_waitcnt vmcnt(9) lgkmcnt(0)
	v_mul_f64 v[223:224], v[2:3], v[12:13]
	v_mul_f64 v[12:13], v[4:5], v[12:13]
	v_add_f64 v[156:157], v[156:157], 0
	v_fma_f64 v[154:155], v[154:155], v[6:7], v[219:220]
	v_fma_f64 v[152:153], v[152:153], v[6:7], -v[8:9]
	v_add_f64 v[219:220], v[221:222], 0
	scratch_load_b128 v[6:9], off, off offset:608
	v_fma_f64 v[223:224], v[4:5], v[10:11], v[223:224]
	v_fma_f64 v[225:226], v[2:3], v[10:11], -v[12:13]
	scratch_load_b128 v[10:13], off, off offset:624
	ds_load_b128 v[2:5], v1 offset:1328
	s_waitcnt vmcnt(10)
	v_mul_f64 v[221:222], v[215:216], v[16:17]
	v_mul_f64 v[16:17], v[217:218], v[16:17]
	v_add_f64 v[156:157], v[156:157], v[152:153]
	v_add_f64 v[219:220], v[219:220], v[154:155]
	ds_load_b128 v[152:155], v1 offset:1344
	s_waitcnt vmcnt(9) lgkmcnt(1)
	v_mul_f64 v[227:228], v[2:3], v[20:21]
	v_mul_f64 v[20:21], v[4:5], v[20:21]
	v_fma_f64 v[217:218], v[217:218], v[14:15], v[221:222]
	v_fma_f64 v[215:216], v[215:216], v[14:15], -v[16:17]
	scratch_load_b128 v[14:17], off, off offset:640
	v_add_f64 v[156:157], v[156:157], v[225:226]
	v_add_f64 v[219:220], v[219:220], v[223:224]
	v_fma_f64 v[223:224], v[4:5], v[18:19], v[227:228]
	v_fma_f64 v[225:226], v[2:3], v[18:19], -v[20:21]
	scratch_load_b128 v[18:21], off, off offset:656
	ds_load_b128 v[2:5], v1 offset:1360
	s_waitcnt vmcnt(10) lgkmcnt(1)
	v_mul_f64 v[221:222], v[152:153], v[24:25]
	v_mul_f64 v[24:25], v[154:155], v[24:25]
	s_waitcnt vmcnt(9) lgkmcnt(0)
	v_mul_f64 v[227:228], v[2:3], v[28:29]
	v_mul_f64 v[28:29], v[4:5], v[28:29]
	v_add_f64 v[156:157], v[156:157], v[215:216]
	v_add_f64 v[219:220], v[219:220], v[217:218]
	ds_load_b128 v[215:218], v1 offset:1376
	v_fma_f64 v[154:155], v[154:155], v[22:23], v[221:222]
	v_fma_f64 v[152:153], v[152:153], v[22:23], -v[24:25]
	scratch_load_b128 v[22:25], off, off offset:672
	v_add_f64 v[156:157], v[156:157], v[225:226]
	v_add_f64 v[219:220], v[219:220], v[223:224]
	v_fma_f64 v[223:224], v[4:5], v[26:27], v[227:228]
	v_fma_f64 v[225:226], v[2:3], v[26:27], -v[28:29]
	scratch_load_b128 v[26:29], off, off offset:688
	ds_load_b128 v[2:5], v1 offset:1392
	s_waitcnt vmcnt(10) lgkmcnt(1)
	v_mul_f64 v[221:222], v[215:216], v[32:33]
	v_mul_f64 v[32:33], v[217:218], v[32:33]
	s_waitcnt vmcnt(9) lgkmcnt(0)
	v_mul_f64 v[227:228], v[2:3], v[40:41]
	v_mul_f64 v[40:41], v[4:5], v[40:41]
	v_add_f64 v[156:157], v[156:157], v[152:153]
	v_add_f64 v[219:220], v[219:220], v[154:155]
	ds_load_b128 v[152:155], v1 offset:1408
	v_fma_f64 v[217:218], v[217:218], v[30:31], v[221:222]
	v_fma_f64 v[215:216], v[215:216], v[30:31], -v[32:33]
	scratch_load_b128 v[30:33], off, off offset:704
	v_add_f64 v[156:157], v[156:157], v[225:226]
	v_add_f64 v[219:220], v[219:220], v[223:224]
	v_fma_f64 v[223:224], v[4:5], v[38:39], v[227:228]
	v_fma_f64 v[225:226], v[2:3], v[38:39], -v[40:41]
	scratch_load_b128 v[38:41], off, off offset:720
	ds_load_b128 v[2:5], v1 offset:1424
	s_waitcnt vmcnt(9) lgkmcnt(1)
	v_mul_f64 v[221:222], v[152:153], v[165:166]
	v_mul_f64 v[165:166], v[154:155], v[165:166]
	v_add_f64 v[156:157], v[156:157], v[215:216]
	v_add_f64 v[219:220], v[219:220], v[217:218]
	ds_load_b128 v[215:218], v1 offset:1440
	v_fma_f64 v[221:222], v[154:155], v[163:164], v[221:222]
	v_fma_f64 v[163:164], v[152:153], v[163:164], -v[165:166]
	scratch_load_b128 v[152:155], off, off offset:736
	s_waitcnt vmcnt(9) lgkmcnt(1)
	v_mul_f64 v[227:228], v[2:3], v[36:37]
	v_mul_f64 v[36:37], v[4:5], v[36:37]
	v_add_f64 v[156:157], v[156:157], v[225:226]
	v_add_f64 v[165:166], v[219:220], v[223:224]
	s_delay_alu instid0(VALU_DEP_4) | instskip(NEXT) | instid1(VALU_DEP_4)
	v_fma_f64 v[223:224], v[4:5], v[34:35], v[227:228]
	v_fma_f64 v[225:226], v[2:3], v[34:35], -v[36:37]
	scratch_load_b128 v[34:37], off, off offset:752
	ds_load_b128 v[2:5], v1 offset:1456
	s_waitcnt vmcnt(9) lgkmcnt(1)
	v_mul_f64 v[219:220], v[215:216], v[8:9]
	v_mul_f64 v[8:9], v[217:218], v[8:9]
	v_add_f64 v[156:157], v[156:157], v[163:164]
	v_add_f64 v[221:222], v[165:166], v[221:222]
	s_waitcnt vmcnt(8) lgkmcnt(0)
	v_mul_f64 v[227:228], v[2:3], v[12:13]
	v_mul_f64 v[12:13], v[4:5], v[12:13]
	ds_load_b128 v[163:166], v1 offset:1472
	v_fma_f64 v[217:218], v[217:218], v[6:7], v[219:220]
	v_fma_f64 v[215:216], v[215:216], v[6:7], -v[8:9]
	scratch_load_b128 v[6:9], off, off offset:768
	v_add_f64 v[156:157], v[156:157], v[225:226]
	v_add_f64 v[219:220], v[221:222], v[223:224]
	v_fma_f64 v[223:224], v[4:5], v[10:11], v[227:228]
	v_fma_f64 v[225:226], v[2:3], v[10:11], -v[12:13]
	scratch_load_b128 v[10:13], off, off offset:784
	ds_load_b128 v[2:5], v1 offset:1488
	s_waitcnt vmcnt(9) lgkmcnt(1)
	v_mul_f64 v[221:222], v[163:164], v[16:17]
	v_mul_f64 v[16:17], v[165:166], v[16:17]
	s_waitcnt vmcnt(8) lgkmcnt(0)
	v_mul_f64 v[227:228], v[2:3], v[20:21]
	v_mul_f64 v[20:21], v[4:5], v[20:21]
	v_add_f64 v[156:157], v[156:157], v[215:216]
	v_add_f64 v[219:220], v[219:220], v[217:218]
	ds_load_b128 v[215:218], v1 offset:1504
	v_fma_f64 v[165:166], v[165:166], v[14:15], v[221:222]
	v_fma_f64 v[163:164], v[163:164], v[14:15], -v[16:17]
	scratch_load_b128 v[14:17], off, off offset:800
	v_add_f64 v[156:157], v[156:157], v[225:226]
	v_add_f64 v[219:220], v[219:220], v[223:224]
	v_fma_f64 v[223:224], v[4:5], v[18:19], v[227:228]
	v_fma_f64 v[225:226], v[2:3], v[18:19], -v[20:21]
	scratch_load_b128 v[18:21], off, off offset:816
	ds_load_b128 v[2:5], v1 offset:1520
	s_waitcnt vmcnt(9) lgkmcnt(1)
	v_mul_f64 v[221:222], v[215:216], v[24:25]
	v_mul_f64 v[24:25], v[217:218], v[24:25]
	s_waitcnt vmcnt(8) lgkmcnt(0)
	v_mul_f64 v[227:228], v[2:3], v[28:29]
	v_mul_f64 v[28:29], v[4:5], v[28:29]
	v_add_f64 v[156:157], v[156:157], v[163:164]
	v_add_f64 v[219:220], v[219:220], v[165:166]
	ds_load_b128 v[163:166], v1 offset:1536
	v_fma_f64 v[217:218], v[217:218], v[22:23], v[221:222]
	v_fma_f64 v[22:23], v[215:216], v[22:23], -v[24:25]
	s_waitcnt vmcnt(7) lgkmcnt(0)
	v_mul_f64 v[215:216], v[163:164], v[32:33]
	v_mul_f64 v[32:33], v[165:166], v[32:33]
	v_add_f64 v[24:25], v[156:157], v[225:226]
	v_add_f64 v[156:157], v[219:220], v[223:224]
	v_fma_f64 v[219:220], v[4:5], v[26:27], v[227:228]
	v_fma_f64 v[26:27], v[2:3], v[26:27], -v[28:29]
	v_fma_f64 v[165:166], v[165:166], v[30:31], v[215:216]
	v_fma_f64 v[30:31], v[163:164], v[30:31], -v[32:33]
	v_add_f64 v[28:29], v[24:25], v[22:23]
	v_add_f64 v[156:157], v[156:157], v[217:218]
	ds_load_b128 v[2:5], v1 offset:1552
	ds_load_b128 v[22:25], v1 offset:1568
	s_waitcnt vmcnt(6) lgkmcnt(1)
	v_mul_f64 v[217:218], v[2:3], v[40:41]
	v_mul_f64 v[40:41], v[4:5], v[40:41]
	s_waitcnt vmcnt(5) lgkmcnt(0)
	v_mul_f64 v[32:33], v[22:23], v[154:155]
	v_mul_f64 v[154:155], v[24:25], v[154:155]
	v_add_f64 v[26:27], v[28:29], v[26:27]
	v_add_f64 v[28:29], v[156:157], v[219:220]
	v_fma_f64 v[156:157], v[4:5], v[38:39], v[217:218]
	v_fma_f64 v[38:39], v[2:3], v[38:39], -v[40:41]
	v_fma_f64 v[24:25], v[24:25], v[152:153], v[32:33]
	v_fma_f64 v[22:23], v[22:23], v[152:153], -v[154:155]
	v_add_f64 v[30:31], v[26:27], v[30:31]
	v_add_f64 v[40:41], v[28:29], v[165:166]
	ds_load_b128 v[2:5], v1 offset:1584
	ds_load_b128 v[26:29], v1 offset:1600
	s_waitcnt vmcnt(4) lgkmcnt(1)
	v_mul_f64 v[163:164], v[2:3], v[36:37]
	v_mul_f64 v[36:37], v[4:5], v[36:37]
	v_add_f64 v[30:31], v[30:31], v[38:39]
	v_add_f64 v[32:33], v[40:41], v[156:157]
	s_waitcnt vmcnt(3) lgkmcnt(0)
	v_mul_f64 v[38:39], v[26:27], v[8:9]
	v_mul_f64 v[8:9], v[28:29], v[8:9]
	v_fma_f64 v[40:41], v[4:5], v[34:35], v[163:164]
	v_fma_f64 v[34:35], v[2:3], v[34:35], -v[36:37]
	v_add_f64 v[30:31], v[30:31], v[22:23]
	v_add_f64 v[32:33], v[32:33], v[24:25]
	ds_load_b128 v[2:5], v1 offset:1616
	ds_load_b128 v[22:25], v1 offset:1632
	v_fma_f64 v[28:29], v[28:29], v[6:7], v[38:39]
	v_fma_f64 v[6:7], v[26:27], v[6:7], -v[8:9]
	s_waitcnt vmcnt(2) lgkmcnt(1)
	v_mul_f64 v[36:37], v[2:3], v[12:13]
	v_mul_f64 v[12:13], v[4:5], v[12:13]
	v_add_f64 v[8:9], v[30:31], v[34:35]
	v_add_f64 v[26:27], v[32:33], v[40:41]
	s_waitcnt vmcnt(1) lgkmcnt(0)
	v_mul_f64 v[30:31], v[22:23], v[16:17]
	v_mul_f64 v[16:17], v[24:25], v[16:17]
	v_fma_f64 v[32:33], v[4:5], v[10:11], v[36:37]
	v_fma_f64 v[10:11], v[2:3], v[10:11], -v[12:13]
	ds_load_b128 v[2:5], v1 offset:1648
	v_add_f64 v[6:7], v[8:9], v[6:7]
	v_add_f64 v[8:9], v[26:27], v[28:29]
	v_fma_f64 v[24:25], v[24:25], v[14:15], v[30:31]
	v_fma_f64 v[14:15], v[22:23], v[14:15], -v[16:17]
	s_waitcnt vmcnt(0) lgkmcnt(0)
	v_mul_f64 v[12:13], v[2:3], v[20:21]
	v_mul_f64 v[20:21], v[4:5], v[20:21]
	v_add_f64 v[6:7], v[6:7], v[10:11]
	v_add_f64 v[8:9], v[8:9], v[32:33]
	s_delay_alu instid0(VALU_DEP_4) | instskip(NEXT) | instid1(VALU_DEP_4)
	v_fma_f64 v[4:5], v[4:5], v[18:19], v[12:13]
	v_fma_f64 v[2:3], v[2:3], v[18:19], -v[20:21]
	s_delay_alu instid0(VALU_DEP_4) | instskip(NEXT) | instid1(VALU_DEP_4)
	v_add_f64 v[6:7], v[6:7], v[14:15]
	v_add_f64 v[8:9], v[8:9], v[24:25]
	s_delay_alu instid0(VALU_DEP_2) | instskip(NEXT) | instid1(VALU_DEP_2)
	v_add_f64 v[2:3], v[6:7], v[2:3]
	v_add_f64 v[4:5], v[8:9], v[4:5]
	s_delay_alu instid0(VALU_DEP_2) | instskip(NEXT) | instid1(VALU_DEP_2)
	v_add_f64 v[2:3], v[42:43], -v[2:3]
	v_add_f64 v[4:5], v[44:45], -v[4:5]
	scratch_store_b128 off, v[2:5], off offset:416
	v_cmpx_lt_u32_e32 25, v150
	s_cbranch_execz .LBB51_275
; %bb.274:
	scratch_load_b128 v[5:8], v177, off
	v_mov_b32_e32 v2, v1
	v_mov_b32_e32 v3, v1
	;; [unrolled: 1-line block ×3, first 2 shown]
	scratch_store_b128 off, v[1:4], off offset:400
	s_waitcnt vmcnt(0)
	ds_store_b128 v202, v[5:8]
.LBB51_275:
	s_or_b32 exec_lo, exec_lo, s2
	s_waitcnt lgkmcnt(0)
	s_waitcnt_vscnt null, 0x0
	s_barrier
	buffer_gl0_inv
	s_clause 0x8
	scratch_load_b128 v[2:5], off, off offset:416
	scratch_load_b128 v[6:9], off, off offset:432
	;; [unrolled: 1-line block ×9, first 2 shown]
	ds_load_b128 v[38:41], v1 offset:1248
	ds_load_b128 v[42:45], v1 offset:1264
	s_clause 0x1
	scratch_load_b128 v[152:155], off, off offset:400
	scratch_load_b128 v[163:166], off, off offset:560
	s_mov_b32 s2, exec_lo
	ds_load_b128 v[215:218], v1 offset:1296
	s_waitcnt vmcnt(10) lgkmcnt(2)
	v_mul_f64 v[156:157], v[40:41], v[4:5]
	v_mul_f64 v[4:5], v[38:39], v[4:5]
	s_waitcnt vmcnt(9) lgkmcnt(1)
	v_mul_f64 v[219:220], v[42:43], v[8:9]
	v_mul_f64 v[8:9], v[44:45], v[8:9]
	s_delay_alu instid0(VALU_DEP_4) | instskip(NEXT) | instid1(VALU_DEP_4)
	v_fma_f64 v[156:157], v[38:39], v[2:3], -v[156:157]
	v_fma_f64 v[221:222], v[40:41], v[2:3], v[4:5]
	ds_load_b128 v[2:5], v1 offset:1280
	scratch_load_b128 v[38:41], off, off offset:576
	v_fma_f64 v[44:45], v[44:45], v[6:7], v[219:220]
	v_fma_f64 v[42:43], v[42:43], v[6:7], -v[8:9]
	scratch_load_b128 v[6:9], off, off offset:592
	s_waitcnt vmcnt(10) lgkmcnt(0)
	v_mul_f64 v[223:224], v[2:3], v[12:13]
	v_mul_f64 v[12:13], v[4:5], v[12:13]
	v_add_f64 v[156:157], v[156:157], 0
	v_add_f64 v[219:220], v[221:222], 0
	s_waitcnt vmcnt(9)
	v_mul_f64 v[221:222], v[215:216], v[16:17]
	v_mul_f64 v[16:17], v[217:218], v[16:17]
	v_fma_f64 v[223:224], v[4:5], v[10:11], v[223:224]
	v_fma_f64 v[225:226], v[2:3], v[10:11], -v[12:13]
	ds_load_b128 v[2:5], v1 offset:1312
	scratch_load_b128 v[10:13], off, off offset:608
	v_add_f64 v[156:157], v[156:157], v[42:43]
	v_add_f64 v[219:220], v[219:220], v[44:45]
	ds_load_b128 v[42:45], v1 offset:1328
	v_fma_f64 v[217:218], v[217:218], v[14:15], v[221:222]
	v_fma_f64 v[215:216], v[215:216], v[14:15], -v[16:17]
	scratch_load_b128 v[14:17], off, off offset:624
	s_waitcnt vmcnt(10) lgkmcnt(1)
	v_mul_f64 v[227:228], v[2:3], v[20:21]
	v_mul_f64 v[20:21], v[4:5], v[20:21]
	s_waitcnt vmcnt(9) lgkmcnt(0)
	v_mul_f64 v[221:222], v[42:43], v[24:25]
	v_mul_f64 v[24:25], v[44:45], v[24:25]
	v_add_f64 v[156:157], v[156:157], v[225:226]
	v_add_f64 v[219:220], v[219:220], v[223:224]
	v_fma_f64 v[223:224], v[4:5], v[18:19], v[227:228]
	v_fma_f64 v[225:226], v[2:3], v[18:19], -v[20:21]
	ds_load_b128 v[2:5], v1 offset:1344
	scratch_load_b128 v[18:21], off, off offset:640
	v_fma_f64 v[44:45], v[44:45], v[22:23], v[221:222]
	v_fma_f64 v[42:43], v[42:43], v[22:23], -v[24:25]
	scratch_load_b128 v[22:25], off, off offset:656
	v_add_f64 v[156:157], v[156:157], v[215:216]
	v_add_f64 v[219:220], v[219:220], v[217:218]
	ds_load_b128 v[215:218], v1 offset:1360
	s_waitcnt vmcnt(10) lgkmcnt(1)
	v_mul_f64 v[227:228], v[2:3], v[28:29]
	v_mul_f64 v[28:29], v[4:5], v[28:29]
	s_waitcnt vmcnt(9) lgkmcnt(0)
	v_mul_f64 v[221:222], v[215:216], v[32:33]
	v_mul_f64 v[32:33], v[217:218], v[32:33]
	v_add_f64 v[156:157], v[156:157], v[225:226]
	v_add_f64 v[219:220], v[219:220], v[223:224]
	v_fma_f64 v[223:224], v[4:5], v[26:27], v[227:228]
	v_fma_f64 v[225:226], v[2:3], v[26:27], -v[28:29]
	ds_load_b128 v[2:5], v1 offset:1376
	scratch_load_b128 v[26:29], off, off offset:672
	v_fma_f64 v[217:218], v[217:218], v[30:31], v[221:222]
	v_fma_f64 v[215:216], v[215:216], v[30:31], -v[32:33]
	scratch_load_b128 v[30:33], off, off offset:688
	v_add_f64 v[156:157], v[156:157], v[42:43]
	v_add_f64 v[219:220], v[219:220], v[44:45]
	ds_load_b128 v[42:45], v1 offset:1392
	s_waitcnt vmcnt(10) lgkmcnt(1)
	v_mul_f64 v[227:228], v[2:3], v[36:37]
	v_mul_f64 v[36:37], v[4:5], v[36:37]
	s_waitcnt vmcnt(8) lgkmcnt(0)
	v_mul_f64 v[221:222], v[42:43], v[165:166]
	v_mul_f64 v[165:166], v[44:45], v[165:166]
	v_add_f64 v[156:157], v[156:157], v[225:226]
	v_add_f64 v[219:220], v[219:220], v[223:224]
	v_fma_f64 v[223:224], v[4:5], v[34:35], v[227:228]
	v_fma_f64 v[225:226], v[2:3], v[34:35], -v[36:37]
	ds_load_b128 v[2:5], v1 offset:1408
	scratch_load_b128 v[34:37], off, off offset:704
	v_fma_f64 v[44:45], v[44:45], v[163:164], v[221:222]
	v_fma_f64 v[163:164], v[42:43], v[163:164], -v[165:166]
	v_add_f64 v[156:157], v[156:157], v[215:216]
	v_add_f64 v[219:220], v[219:220], v[217:218]
	ds_load_b128 v[215:218], v1 offset:1424
	s_waitcnt vmcnt(8) lgkmcnt(1)
	v_mul_f64 v[227:228], v[2:3], v[40:41]
	v_mul_f64 v[229:230], v[4:5], v[40:41]
	scratch_load_b128 v[40:43], off, off offset:720
	v_add_f64 v[156:157], v[156:157], v[225:226]
	v_add_f64 v[165:166], v[219:220], v[223:224]
	s_waitcnt vmcnt(8) lgkmcnt(0)
	v_mul_f64 v[223:224], v[215:216], v[8:9]
	v_mul_f64 v[8:9], v[217:218], v[8:9]
	ds_load_b128 v[219:222], v1 offset:1456
	v_fma_f64 v[225:226], v[4:5], v[38:39], v[227:228]
	v_fma_f64 v[38:39], v[2:3], v[38:39], -v[229:230]
	ds_load_b128 v[2:5], v1 offset:1440
	v_add_f64 v[156:157], v[156:157], v[163:164]
	v_add_f64 v[44:45], v[165:166], v[44:45]
	scratch_load_b128 v[163:166], off, off offset:736
	s_waitcnt vmcnt(8) lgkmcnt(0)
	v_mul_f64 v[227:228], v[2:3], v[12:13]
	v_mul_f64 v[12:13], v[4:5], v[12:13]
	v_fma_f64 v[217:218], v[217:218], v[6:7], v[223:224]
	v_fma_f64 v[215:216], v[215:216], v[6:7], -v[8:9]
	scratch_load_b128 v[6:9], off, off offset:752
	v_add_f64 v[38:39], v[156:157], v[38:39]
	v_add_f64 v[44:45], v[44:45], v[225:226]
	s_waitcnt vmcnt(8)
	v_mul_f64 v[156:157], v[219:220], v[16:17]
	v_mul_f64 v[16:17], v[221:222], v[16:17]
	v_fma_f64 v[223:224], v[4:5], v[10:11], v[227:228]
	v_fma_f64 v[225:226], v[2:3], v[10:11], -v[12:13]
	ds_load_b128 v[2:5], v1 offset:1472
	scratch_load_b128 v[10:13], off, off offset:768
	v_add_f64 v[38:39], v[38:39], v[215:216]
	v_add_f64 v[44:45], v[44:45], v[217:218]
	ds_load_b128 v[215:218], v1 offset:1488
	s_waitcnt vmcnt(8) lgkmcnt(1)
	v_mul_f64 v[227:228], v[2:3], v[20:21]
	v_mul_f64 v[20:21], v[4:5], v[20:21]
	v_fma_f64 v[156:157], v[221:222], v[14:15], v[156:157]
	v_fma_f64 v[219:220], v[219:220], v[14:15], -v[16:17]
	scratch_load_b128 v[14:17], off, off offset:784
	v_add_f64 v[38:39], v[38:39], v[225:226]
	v_add_f64 v[44:45], v[44:45], v[223:224]
	s_waitcnt vmcnt(8) lgkmcnt(0)
	v_mul_f64 v[223:224], v[215:216], v[24:25]
	v_mul_f64 v[24:25], v[217:218], v[24:25]
	v_fma_f64 v[225:226], v[4:5], v[18:19], v[227:228]
	v_fma_f64 v[227:228], v[2:3], v[18:19], -v[20:21]
	ds_load_b128 v[2:5], v1 offset:1504
	scratch_load_b128 v[18:21], off, off offset:800
	v_add_f64 v[38:39], v[38:39], v[219:220]
	v_add_f64 v[44:45], v[44:45], v[156:157]
	ds_load_b128 v[219:222], v1 offset:1520
	s_waitcnt vmcnt(8) lgkmcnt(1)
	v_mul_f64 v[156:157], v[2:3], v[28:29]
	v_mul_f64 v[28:29], v[4:5], v[28:29]
	v_fma_f64 v[217:218], v[217:218], v[22:23], v[223:224]
	v_fma_f64 v[215:216], v[215:216], v[22:23], -v[24:25]
	scratch_load_b128 v[22:25], off, off offset:816
	s_waitcnt vmcnt(8) lgkmcnt(0)
	v_mul_f64 v[223:224], v[219:220], v[32:33]
	v_mul_f64 v[32:33], v[221:222], v[32:33]
	v_add_f64 v[38:39], v[38:39], v[227:228]
	v_add_f64 v[44:45], v[44:45], v[225:226]
	v_fma_f64 v[156:157], v[4:5], v[26:27], v[156:157]
	v_fma_f64 v[225:226], v[2:3], v[26:27], -v[28:29]
	ds_load_b128 v[2:5], v1 offset:1536
	ds_load_b128 v[26:29], v1 offset:1552
	v_add_f64 v[38:39], v[38:39], v[215:216]
	v_add_f64 v[44:45], v[44:45], v[217:218]
	s_waitcnt vmcnt(7) lgkmcnt(1)
	v_mul_f64 v[215:216], v[2:3], v[36:37]
	v_mul_f64 v[36:37], v[4:5], v[36:37]
	v_fma_f64 v[217:218], v[221:222], v[30:31], v[223:224]
	v_fma_f64 v[30:31], v[219:220], v[30:31], -v[32:33]
	v_add_f64 v[32:33], v[38:39], v[225:226]
	v_add_f64 v[38:39], v[44:45], v[156:157]
	s_waitcnt vmcnt(6) lgkmcnt(0)
	v_mul_f64 v[44:45], v[26:27], v[42:43]
	v_mul_f64 v[42:43], v[28:29], v[42:43]
	v_fma_f64 v[156:157], v[4:5], v[34:35], v[215:216]
	v_fma_f64 v[34:35], v[2:3], v[34:35], -v[36:37]
	v_add_f64 v[36:37], v[32:33], v[30:31]
	v_add_f64 v[38:39], v[38:39], v[217:218]
	ds_load_b128 v[2:5], v1 offset:1568
	ds_load_b128 v[30:33], v1 offset:1584
	v_fma_f64 v[28:29], v[28:29], v[40:41], v[44:45]
	v_fma_f64 v[26:27], v[26:27], v[40:41], -v[42:43]
	s_waitcnt vmcnt(5) lgkmcnt(1)
	v_mul_f64 v[215:216], v[2:3], v[165:166]
	v_mul_f64 v[165:166], v[4:5], v[165:166]
	v_add_f64 v[34:35], v[36:37], v[34:35]
	v_add_f64 v[36:37], v[38:39], v[156:157]
	s_waitcnt vmcnt(4) lgkmcnt(0)
	v_mul_f64 v[38:39], v[30:31], v[8:9]
	v_mul_f64 v[8:9], v[32:33], v[8:9]
	v_fma_f64 v[40:41], v[4:5], v[163:164], v[215:216]
	v_fma_f64 v[42:43], v[2:3], v[163:164], -v[165:166]
	v_add_f64 v[34:35], v[34:35], v[26:27]
	v_add_f64 v[36:37], v[36:37], v[28:29]
	ds_load_b128 v[2:5], v1 offset:1600
	ds_load_b128 v[26:29], v1 offset:1616
	v_fma_f64 v[32:33], v[32:33], v[6:7], v[38:39]
	v_fma_f64 v[6:7], v[30:31], v[6:7], -v[8:9]
	s_waitcnt vmcnt(3) lgkmcnt(1)
	v_mul_f64 v[44:45], v[2:3], v[12:13]
	v_mul_f64 v[12:13], v[4:5], v[12:13]
	;; [unrolled: 16-line block ×3, first 2 shown]
	s_waitcnt vmcnt(0) lgkmcnt(0)
	v_mul_f64 v[16:17], v[6:7], v[24:25]
	v_mul_f64 v[24:25], v[8:9], v[24:25]
	v_add_f64 v[10:11], v[12:13], v[10:11]
	v_add_f64 v[12:13], v[30:31], v[36:37]
	v_fma_f64 v[4:5], v[4:5], v[18:19], v[32:33]
	v_fma_f64 v[1:2], v[2:3], v[18:19], -v[20:21]
	v_fma_f64 v[8:9], v[8:9], v[22:23], v[16:17]
	v_fma_f64 v[6:7], v[6:7], v[22:23], -v[24:25]
	v_add_f64 v[10:11], v[10:11], v[14:15]
	v_add_f64 v[12:13], v[12:13], v[28:29]
	s_delay_alu instid0(VALU_DEP_2) | instskip(NEXT) | instid1(VALU_DEP_2)
	v_add_f64 v[1:2], v[10:11], v[1:2]
	v_add_f64 v[3:4], v[12:13], v[4:5]
	s_delay_alu instid0(VALU_DEP_2) | instskip(NEXT) | instid1(VALU_DEP_2)
	;; [unrolled: 3-line block ×3, first 2 shown]
	v_add_f64 v[1:2], v[152:153], -v[1:2]
	v_add_f64 v[3:4], v[154:155], -v[3:4]
	scratch_store_b128 off, v[1:4], off offset:400
	v_cmpx_lt_u32_e32 24, v150
	s_cbranch_execz .LBB51_277
; %bb.276:
	scratch_load_b128 v[1:4], v178, off
	v_mov_b32_e32 v5, 0
	s_delay_alu instid0(VALU_DEP_1)
	v_mov_b32_e32 v6, v5
	v_mov_b32_e32 v7, v5
	;; [unrolled: 1-line block ×3, first 2 shown]
	scratch_store_b128 off, v[5:8], off offset:384
	s_waitcnt vmcnt(0)
	ds_store_b128 v202, v[1:4]
.LBB51_277:
	s_or_b32 exec_lo, exec_lo, s2
	s_waitcnt lgkmcnt(0)
	s_waitcnt_vscnt null, 0x0
	s_barrier
	buffer_gl0_inv
	s_clause 0x7
	scratch_load_b128 v[2:5], off, off offset:400
	scratch_load_b128 v[6:9], off, off offset:416
	;; [unrolled: 1-line block ×8, first 2 shown]
	v_mov_b32_e32 v1, 0
	s_mov_b32 s2, exec_lo
	ds_load_b128 v[38:41], v1 offset:1232
	s_clause 0x1
	scratch_load_b128 v[34:37], off, off offset:528
	scratch_load_b128 v[42:45], off, off offset:384
	ds_load_b128 v[152:155], v1 offset:1248
	scratch_load_b128 v[163:166], off, off offset:544
	ds_load_b128 v[215:218], v1 offset:1280
	s_waitcnt vmcnt(10) lgkmcnt(2)
	v_mul_f64 v[156:157], v[40:41], v[4:5]
	v_mul_f64 v[4:5], v[38:39], v[4:5]
	s_delay_alu instid0(VALU_DEP_2) | instskip(NEXT) | instid1(VALU_DEP_2)
	v_fma_f64 v[156:157], v[38:39], v[2:3], -v[156:157]
	v_fma_f64 v[221:222], v[40:41], v[2:3], v[4:5]
	ds_load_b128 v[2:5], v1 offset:1264
	s_waitcnt vmcnt(9) lgkmcnt(2)
	v_mul_f64 v[219:220], v[152:153], v[8:9]
	v_mul_f64 v[8:9], v[154:155], v[8:9]
	scratch_load_b128 v[38:41], off, off offset:560
	s_waitcnt vmcnt(9) lgkmcnt(0)
	v_mul_f64 v[223:224], v[2:3], v[12:13]
	v_mul_f64 v[12:13], v[4:5], v[12:13]
	v_add_f64 v[156:157], v[156:157], 0
	v_fma_f64 v[154:155], v[154:155], v[6:7], v[219:220]
	v_fma_f64 v[152:153], v[152:153], v[6:7], -v[8:9]
	v_add_f64 v[219:220], v[221:222], 0
	scratch_load_b128 v[6:9], off, off offset:576
	v_fma_f64 v[223:224], v[4:5], v[10:11], v[223:224]
	v_fma_f64 v[225:226], v[2:3], v[10:11], -v[12:13]
	scratch_load_b128 v[10:13], off, off offset:592
	ds_load_b128 v[2:5], v1 offset:1296
	s_waitcnt vmcnt(10)
	v_mul_f64 v[221:222], v[215:216], v[16:17]
	v_mul_f64 v[16:17], v[217:218], v[16:17]
	v_add_f64 v[156:157], v[156:157], v[152:153]
	v_add_f64 v[219:220], v[219:220], v[154:155]
	ds_load_b128 v[152:155], v1 offset:1312
	s_waitcnt vmcnt(9) lgkmcnt(1)
	v_mul_f64 v[227:228], v[2:3], v[20:21]
	v_mul_f64 v[20:21], v[4:5], v[20:21]
	v_fma_f64 v[217:218], v[217:218], v[14:15], v[221:222]
	v_fma_f64 v[215:216], v[215:216], v[14:15], -v[16:17]
	scratch_load_b128 v[14:17], off, off offset:608
	v_add_f64 v[156:157], v[156:157], v[225:226]
	v_add_f64 v[219:220], v[219:220], v[223:224]
	v_fma_f64 v[223:224], v[4:5], v[18:19], v[227:228]
	v_fma_f64 v[225:226], v[2:3], v[18:19], -v[20:21]
	scratch_load_b128 v[18:21], off, off offset:624
	ds_load_b128 v[2:5], v1 offset:1328
	s_waitcnt vmcnt(10) lgkmcnt(1)
	v_mul_f64 v[221:222], v[152:153], v[24:25]
	v_mul_f64 v[24:25], v[154:155], v[24:25]
	s_waitcnt vmcnt(9) lgkmcnt(0)
	v_mul_f64 v[227:228], v[2:3], v[28:29]
	v_mul_f64 v[28:29], v[4:5], v[28:29]
	v_add_f64 v[156:157], v[156:157], v[215:216]
	v_add_f64 v[219:220], v[219:220], v[217:218]
	ds_load_b128 v[215:218], v1 offset:1344
	v_fma_f64 v[154:155], v[154:155], v[22:23], v[221:222]
	v_fma_f64 v[152:153], v[152:153], v[22:23], -v[24:25]
	scratch_load_b128 v[22:25], off, off offset:640
	v_add_f64 v[156:157], v[156:157], v[225:226]
	v_add_f64 v[219:220], v[219:220], v[223:224]
	v_fma_f64 v[223:224], v[4:5], v[26:27], v[227:228]
	v_fma_f64 v[225:226], v[2:3], v[26:27], -v[28:29]
	scratch_load_b128 v[26:29], off, off offset:656
	ds_load_b128 v[2:5], v1 offset:1360
	s_waitcnt vmcnt(10) lgkmcnt(1)
	v_mul_f64 v[221:222], v[215:216], v[32:33]
	v_mul_f64 v[32:33], v[217:218], v[32:33]
	s_waitcnt vmcnt(9) lgkmcnt(0)
	v_mul_f64 v[227:228], v[2:3], v[36:37]
	v_mul_f64 v[36:37], v[4:5], v[36:37]
	v_add_f64 v[156:157], v[156:157], v[152:153]
	v_add_f64 v[219:220], v[219:220], v[154:155]
	ds_load_b128 v[152:155], v1 offset:1376
	v_fma_f64 v[217:218], v[217:218], v[30:31], v[221:222]
	v_fma_f64 v[215:216], v[215:216], v[30:31], -v[32:33]
	scratch_load_b128 v[30:33], off, off offset:672
	v_add_f64 v[156:157], v[156:157], v[225:226]
	v_add_f64 v[219:220], v[219:220], v[223:224]
	v_fma_f64 v[223:224], v[4:5], v[34:35], v[227:228]
	v_fma_f64 v[225:226], v[2:3], v[34:35], -v[36:37]
	scratch_load_b128 v[34:37], off, off offset:688
	ds_load_b128 v[2:5], v1 offset:1392
	s_waitcnt vmcnt(9) lgkmcnt(1)
	v_mul_f64 v[221:222], v[152:153], v[165:166]
	v_mul_f64 v[165:166], v[154:155], v[165:166]
	v_add_f64 v[156:157], v[156:157], v[215:216]
	v_add_f64 v[219:220], v[219:220], v[217:218]
	ds_load_b128 v[215:218], v1 offset:1408
	v_fma_f64 v[221:222], v[154:155], v[163:164], v[221:222]
	v_fma_f64 v[163:164], v[152:153], v[163:164], -v[165:166]
	scratch_load_b128 v[152:155], off, off offset:704
	s_waitcnt vmcnt(9) lgkmcnt(1)
	v_mul_f64 v[227:228], v[2:3], v[40:41]
	v_mul_f64 v[40:41], v[4:5], v[40:41]
	v_add_f64 v[156:157], v[156:157], v[225:226]
	v_add_f64 v[165:166], v[219:220], v[223:224]
	s_delay_alu instid0(VALU_DEP_4) | instskip(NEXT) | instid1(VALU_DEP_4)
	v_fma_f64 v[223:224], v[4:5], v[38:39], v[227:228]
	v_fma_f64 v[225:226], v[2:3], v[38:39], -v[40:41]
	scratch_load_b128 v[38:41], off, off offset:720
	ds_load_b128 v[2:5], v1 offset:1424
	s_waitcnt vmcnt(9) lgkmcnt(1)
	v_mul_f64 v[219:220], v[215:216], v[8:9]
	v_mul_f64 v[8:9], v[217:218], v[8:9]
	v_add_f64 v[156:157], v[156:157], v[163:164]
	v_add_f64 v[221:222], v[165:166], v[221:222]
	s_waitcnt vmcnt(8) lgkmcnt(0)
	v_mul_f64 v[227:228], v[2:3], v[12:13]
	v_mul_f64 v[12:13], v[4:5], v[12:13]
	ds_load_b128 v[163:166], v1 offset:1440
	v_fma_f64 v[217:218], v[217:218], v[6:7], v[219:220]
	v_fma_f64 v[215:216], v[215:216], v[6:7], -v[8:9]
	scratch_load_b128 v[6:9], off, off offset:736
	v_add_f64 v[156:157], v[156:157], v[225:226]
	v_add_f64 v[219:220], v[221:222], v[223:224]
	v_fma_f64 v[223:224], v[4:5], v[10:11], v[227:228]
	v_fma_f64 v[225:226], v[2:3], v[10:11], -v[12:13]
	scratch_load_b128 v[10:13], off, off offset:752
	ds_load_b128 v[2:5], v1 offset:1456
	s_waitcnt vmcnt(9) lgkmcnt(1)
	v_mul_f64 v[221:222], v[163:164], v[16:17]
	v_mul_f64 v[16:17], v[165:166], v[16:17]
	s_waitcnt vmcnt(8) lgkmcnt(0)
	v_mul_f64 v[227:228], v[2:3], v[20:21]
	v_mul_f64 v[20:21], v[4:5], v[20:21]
	v_add_f64 v[156:157], v[156:157], v[215:216]
	v_add_f64 v[219:220], v[219:220], v[217:218]
	ds_load_b128 v[215:218], v1 offset:1472
	v_fma_f64 v[165:166], v[165:166], v[14:15], v[221:222]
	v_fma_f64 v[163:164], v[163:164], v[14:15], -v[16:17]
	scratch_load_b128 v[14:17], off, off offset:768
	v_add_f64 v[156:157], v[156:157], v[225:226]
	v_add_f64 v[219:220], v[219:220], v[223:224]
	v_fma_f64 v[223:224], v[4:5], v[18:19], v[227:228]
	v_fma_f64 v[225:226], v[2:3], v[18:19], -v[20:21]
	scratch_load_b128 v[18:21], off, off offset:784
	ds_load_b128 v[2:5], v1 offset:1488
	s_waitcnt vmcnt(9) lgkmcnt(1)
	v_mul_f64 v[221:222], v[215:216], v[24:25]
	v_mul_f64 v[24:25], v[217:218], v[24:25]
	s_waitcnt vmcnt(8) lgkmcnt(0)
	v_mul_f64 v[227:228], v[2:3], v[28:29]
	v_mul_f64 v[28:29], v[4:5], v[28:29]
	v_add_f64 v[156:157], v[156:157], v[163:164]
	v_add_f64 v[219:220], v[219:220], v[165:166]
	;; [unrolled: 18-line block ×3, first 2 shown]
	ds_load_b128 v[215:218], v1 offset:1536
	v_fma_f64 v[165:166], v[165:166], v[30:31], v[221:222]
	v_fma_f64 v[30:31], v[163:164], v[30:31], -v[32:33]
	s_waitcnt vmcnt(7) lgkmcnt(0)
	v_mul_f64 v[163:164], v[215:216], v[154:155]
	v_mul_f64 v[154:155], v[217:218], v[154:155]
	v_add_f64 v[32:33], v[156:157], v[225:226]
	v_add_f64 v[156:157], v[219:220], v[223:224]
	v_fma_f64 v[219:220], v[4:5], v[34:35], v[227:228]
	v_fma_f64 v[34:35], v[2:3], v[34:35], -v[36:37]
	v_fma_f64 v[163:164], v[217:218], v[152:153], v[163:164]
	v_fma_f64 v[152:153], v[215:216], v[152:153], -v[154:155]
	v_add_f64 v[36:37], v[32:33], v[30:31]
	v_add_f64 v[156:157], v[156:157], v[165:166]
	ds_load_b128 v[2:5], v1 offset:1552
	ds_load_b128 v[30:33], v1 offset:1568
	s_waitcnt vmcnt(6) lgkmcnt(1)
	v_mul_f64 v[165:166], v[2:3], v[40:41]
	v_mul_f64 v[40:41], v[4:5], v[40:41]
	v_add_f64 v[34:35], v[36:37], v[34:35]
	v_add_f64 v[36:37], v[156:157], v[219:220]
	s_waitcnt vmcnt(5) lgkmcnt(0)
	v_mul_f64 v[154:155], v[30:31], v[8:9]
	v_mul_f64 v[8:9], v[32:33], v[8:9]
	v_fma_f64 v[156:157], v[4:5], v[38:39], v[165:166]
	v_fma_f64 v[38:39], v[2:3], v[38:39], -v[40:41]
	v_add_f64 v[40:41], v[34:35], v[152:153]
	v_add_f64 v[152:153], v[36:37], v[163:164]
	ds_load_b128 v[2:5], v1 offset:1584
	ds_load_b128 v[34:37], v1 offset:1600
	v_fma_f64 v[32:33], v[32:33], v[6:7], v[154:155]
	v_fma_f64 v[6:7], v[30:31], v[6:7], -v[8:9]
	s_waitcnt vmcnt(4) lgkmcnt(1)
	v_mul_f64 v[163:164], v[2:3], v[12:13]
	v_mul_f64 v[12:13], v[4:5], v[12:13]
	v_add_f64 v[8:9], v[40:41], v[38:39]
	v_add_f64 v[30:31], v[152:153], v[156:157]
	s_waitcnt vmcnt(3) lgkmcnt(0)
	v_mul_f64 v[38:39], v[34:35], v[16:17]
	v_mul_f64 v[16:17], v[36:37], v[16:17]
	v_fma_f64 v[40:41], v[4:5], v[10:11], v[163:164]
	v_fma_f64 v[10:11], v[2:3], v[10:11], -v[12:13]
	v_add_f64 v[12:13], v[8:9], v[6:7]
	v_add_f64 v[30:31], v[30:31], v[32:33]
	ds_load_b128 v[2:5], v1 offset:1616
	ds_load_b128 v[6:9], v1 offset:1632
	v_fma_f64 v[36:37], v[36:37], v[14:15], v[38:39]
	v_fma_f64 v[14:15], v[34:35], v[14:15], -v[16:17]
	s_waitcnt vmcnt(2) lgkmcnt(1)
	v_mul_f64 v[32:33], v[2:3], v[20:21]
	v_mul_f64 v[20:21], v[4:5], v[20:21]
	s_waitcnt vmcnt(1) lgkmcnt(0)
	v_mul_f64 v[16:17], v[6:7], v[24:25]
	v_mul_f64 v[24:25], v[8:9], v[24:25]
	v_add_f64 v[10:11], v[12:13], v[10:11]
	v_add_f64 v[12:13], v[30:31], v[40:41]
	v_fma_f64 v[30:31], v[4:5], v[18:19], v[32:33]
	v_fma_f64 v[18:19], v[2:3], v[18:19], -v[20:21]
	ds_load_b128 v[2:5], v1 offset:1648
	v_fma_f64 v[8:9], v[8:9], v[22:23], v[16:17]
	v_fma_f64 v[6:7], v[6:7], v[22:23], -v[24:25]
	v_add_f64 v[10:11], v[10:11], v[14:15]
	v_add_f64 v[12:13], v[12:13], v[36:37]
	s_waitcnt vmcnt(0) lgkmcnt(0)
	v_mul_f64 v[14:15], v[2:3], v[28:29]
	v_mul_f64 v[20:21], v[4:5], v[28:29]
	s_delay_alu instid0(VALU_DEP_4) | instskip(NEXT) | instid1(VALU_DEP_4)
	v_add_f64 v[10:11], v[10:11], v[18:19]
	v_add_f64 v[12:13], v[12:13], v[30:31]
	s_delay_alu instid0(VALU_DEP_4) | instskip(NEXT) | instid1(VALU_DEP_4)
	v_fma_f64 v[4:5], v[4:5], v[26:27], v[14:15]
	v_fma_f64 v[2:3], v[2:3], v[26:27], -v[20:21]
	s_delay_alu instid0(VALU_DEP_4) | instskip(NEXT) | instid1(VALU_DEP_4)
	v_add_f64 v[6:7], v[10:11], v[6:7]
	v_add_f64 v[8:9], v[12:13], v[8:9]
	s_delay_alu instid0(VALU_DEP_2) | instskip(NEXT) | instid1(VALU_DEP_2)
	v_add_f64 v[2:3], v[6:7], v[2:3]
	v_add_f64 v[4:5], v[8:9], v[4:5]
	s_delay_alu instid0(VALU_DEP_2) | instskip(NEXT) | instid1(VALU_DEP_2)
	v_add_f64 v[2:3], v[42:43], -v[2:3]
	v_add_f64 v[4:5], v[44:45], -v[4:5]
	scratch_store_b128 off, v[2:5], off offset:384
	v_cmpx_lt_u32_e32 23, v150
	s_cbranch_execz .LBB51_279
; %bb.278:
	scratch_load_b128 v[5:8], v179, off
	v_mov_b32_e32 v2, v1
	v_mov_b32_e32 v3, v1
	;; [unrolled: 1-line block ×3, first 2 shown]
	scratch_store_b128 off, v[1:4], off offset:368
	s_waitcnt vmcnt(0)
	ds_store_b128 v202, v[5:8]
.LBB51_279:
	s_or_b32 exec_lo, exec_lo, s2
	s_waitcnt lgkmcnt(0)
	s_waitcnt_vscnt null, 0x0
	s_barrier
	buffer_gl0_inv
	s_clause 0x8
	scratch_load_b128 v[2:5], off, off offset:384
	scratch_load_b128 v[6:9], off, off offset:400
	;; [unrolled: 1-line block ×9, first 2 shown]
	ds_load_b128 v[42:45], v1 offset:1216
	ds_load_b128 v[38:41], v1 offset:1232
	s_clause 0x1
	scratch_load_b128 v[152:155], off, off offset:368
	scratch_load_b128 v[163:166], off, off offset:528
	s_mov_b32 s2, exec_lo
	ds_load_b128 v[215:218], v1 offset:1264
	s_waitcnt vmcnt(10) lgkmcnt(2)
	v_mul_f64 v[156:157], v[44:45], v[4:5]
	v_mul_f64 v[4:5], v[42:43], v[4:5]
	s_waitcnt vmcnt(9) lgkmcnt(1)
	v_mul_f64 v[219:220], v[38:39], v[8:9]
	v_mul_f64 v[8:9], v[40:41], v[8:9]
	s_delay_alu instid0(VALU_DEP_4) | instskip(NEXT) | instid1(VALU_DEP_4)
	v_fma_f64 v[156:157], v[42:43], v[2:3], -v[156:157]
	v_fma_f64 v[221:222], v[44:45], v[2:3], v[4:5]
	ds_load_b128 v[2:5], v1 offset:1248
	scratch_load_b128 v[42:45], off, off offset:544
	v_fma_f64 v[40:41], v[40:41], v[6:7], v[219:220]
	v_fma_f64 v[38:39], v[38:39], v[6:7], -v[8:9]
	scratch_load_b128 v[6:9], off, off offset:560
	s_waitcnt vmcnt(10) lgkmcnt(0)
	v_mul_f64 v[223:224], v[2:3], v[12:13]
	v_mul_f64 v[12:13], v[4:5], v[12:13]
	v_add_f64 v[156:157], v[156:157], 0
	v_add_f64 v[219:220], v[221:222], 0
	s_waitcnt vmcnt(9)
	v_mul_f64 v[221:222], v[215:216], v[16:17]
	v_mul_f64 v[16:17], v[217:218], v[16:17]
	v_fma_f64 v[223:224], v[4:5], v[10:11], v[223:224]
	v_fma_f64 v[225:226], v[2:3], v[10:11], -v[12:13]
	ds_load_b128 v[2:5], v1 offset:1280
	scratch_load_b128 v[10:13], off, off offset:576
	v_add_f64 v[156:157], v[156:157], v[38:39]
	v_add_f64 v[219:220], v[219:220], v[40:41]
	ds_load_b128 v[38:41], v1 offset:1296
	v_fma_f64 v[217:218], v[217:218], v[14:15], v[221:222]
	v_fma_f64 v[215:216], v[215:216], v[14:15], -v[16:17]
	scratch_load_b128 v[14:17], off, off offset:592
	s_waitcnt vmcnt(10) lgkmcnt(1)
	v_mul_f64 v[227:228], v[2:3], v[20:21]
	v_mul_f64 v[20:21], v[4:5], v[20:21]
	s_waitcnt vmcnt(9) lgkmcnt(0)
	v_mul_f64 v[221:222], v[38:39], v[24:25]
	v_mul_f64 v[24:25], v[40:41], v[24:25]
	v_add_f64 v[156:157], v[156:157], v[225:226]
	v_add_f64 v[219:220], v[219:220], v[223:224]
	v_fma_f64 v[223:224], v[4:5], v[18:19], v[227:228]
	v_fma_f64 v[225:226], v[2:3], v[18:19], -v[20:21]
	ds_load_b128 v[2:5], v1 offset:1312
	scratch_load_b128 v[18:21], off, off offset:608
	v_fma_f64 v[40:41], v[40:41], v[22:23], v[221:222]
	v_fma_f64 v[38:39], v[38:39], v[22:23], -v[24:25]
	scratch_load_b128 v[22:25], off, off offset:624
	v_add_f64 v[156:157], v[156:157], v[215:216]
	v_add_f64 v[219:220], v[219:220], v[217:218]
	ds_load_b128 v[215:218], v1 offset:1328
	s_waitcnt vmcnt(10) lgkmcnt(1)
	v_mul_f64 v[227:228], v[2:3], v[28:29]
	v_mul_f64 v[28:29], v[4:5], v[28:29]
	s_waitcnt vmcnt(9) lgkmcnt(0)
	v_mul_f64 v[221:222], v[215:216], v[32:33]
	v_mul_f64 v[32:33], v[217:218], v[32:33]
	v_add_f64 v[156:157], v[156:157], v[225:226]
	v_add_f64 v[219:220], v[219:220], v[223:224]
	v_fma_f64 v[223:224], v[4:5], v[26:27], v[227:228]
	v_fma_f64 v[225:226], v[2:3], v[26:27], -v[28:29]
	ds_load_b128 v[2:5], v1 offset:1344
	scratch_load_b128 v[26:29], off, off offset:640
	v_fma_f64 v[217:218], v[217:218], v[30:31], v[221:222]
	v_fma_f64 v[215:216], v[215:216], v[30:31], -v[32:33]
	scratch_load_b128 v[30:33], off, off offset:656
	v_add_f64 v[156:157], v[156:157], v[38:39]
	v_add_f64 v[219:220], v[219:220], v[40:41]
	ds_load_b128 v[38:41], v1 offset:1360
	;; [unrolled: 18-line block ×3, first 2 shown]
	s_waitcnt vmcnt(9) lgkmcnt(1)
	v_mul_f64 v[227:228], v[2:3], v[44:45]
	v_mul_f64 v[44:45], v[4:5], v[44:45]
	v_add_f64 v[156:157], v[156:157], v[225:226]
	v_add_f64 v[165:166], v[219:220], v[223:224]
	s_waitcnt vmcnt(8) lgkmcnt(0)
	v_mul_f64 v[219:220], v[215:216], v[8:9]
	v_mul_f64 v[8:9], v[217:218], v[8:9]
	v_fma_f64 v[223:224], v[4:5], v[42:43], v[227:228]
	v_fma_f64 v[225:226], v[2:3], v[42:43], -v[44:45]
	ds_load_b128 v[2:5], v1 offset:1408
	scratch_load_b128 v[42:45], off, off offset:704
	v_add_f64 v[156:157], v[156:157], v[163:164]
	v_add_f64 v[221:222], v[165:166], v[221:222]
	ds_load_b128 v[163:166], v1 offset:1424
	s_waitcnt vmcnt(8) lgkmcnt(1)
	v_mul_f64 v[227:228], v[2:3], v[12:13]
	v_mul_f64 v[12:13], v[4:5], v[12:13]
	v_fma_f64 v[217:218], v[217:218], v[6:7], v[219:220]
	v_fma_f64 v[215:216], v[215:216], v[6:7], -v[8:9]
	scratch_load_b128 v[6:9], off, off offset:720
	v_add_f64 v[156:157], v[156:157], v[225:226]
	v_add_f64 v[219:220], v[221:222], v[223:224]
	s_waitcnt vmcnt(8) lgkmcnt(0)
	v_mul_f64 v[221:222], v[163:164], v[16:17]
	v_mul_f64 v[16:17], v[165:166], v[16:17]
	v_fma_f64 v[223:224], v[4:5], v[10:11], v[227:228]
	v_fma_f64 v[225:226], v[2:3], v[10:11], -v[12:13]
	ds_load_b128 v[2:5], v1 offset:1440
	scratch_load_b128 v[10:13], off, off offset:736
	v_add_f64 v[156:157], v[156:157], v[215:216]
	v_add_f64 v[219:220], v[219:220], v[217:218]
	ds_load_b128 v[215:218], v1 offset:1456
	s_waitcnt vmcnt(8) lgkmcnt(1)
	v_mul_f64 v[227:228], v[2:3], v[20:21]
	v_mul_f64 v[20:21], v[4:5], v[20:21]
	v_fma_f64 v[165:166], v[165:166], v[14:15], v[221:222]
	v_fma_f64 v[163:164], v[163:164], v[14:15], -v[16:17]
	scratch_load_b128 v[14:17], off, off offset:752
	s_waitcnt vmcnt(8) lgkmcnt(0)
	v_mul_f64 v[221:222], v[215:216], v[24:25]
	v_mul_f64 v[24:25], v[217:218], v[24:25]
	v_add_f64 v[156:157], v[156:157], v[225:226]
	v_add_f64 v[219:220], v[219:220], v[223:224]
	v_fma_f64 v[223:224], v[4:5], v[18:19], v[227:228]
	v_fma_f64 v[225:226], v[2:3], v[18:19], -v[20:21]
	ds_load_b128 v[2:5], v1 offset:1472
	scratch_load_b128 v[18:21], off, off offset:768
	v_fma_f64 v[217:218], v[217:218], v[22:23], v[221:222]
	v_fma_f64 v[215:216], v[215:216], v[22:23], -v[24:25]
	scratch_load_b128 v[22:25], off, off offset:784
	v_add_f64 v[156:157], v[156:157], v[163:164]
	v_add_f64 v[219:220], v[219:220], v[165:166]
	ds_load_b128 v[163:166], v1 offset:1488
	s_waitcnt vmcnt(9) lgkmcnt(1)
	v_mul_f64 v[227:228], v[2:3], v[28:29]
	v_mul_f64 v[28:29], v[4:5], v[28:29]
	s_waitcnt vmcnt(8) lgkmcnt(0)
	v_mul_f64 v[221:222], v[163:164], v[32:33]
	v_mul_f64 v[32:33], v[165:166], v[32:33]
	v_add_f64 v[156:157], v[156:157], v[225:226]
	v_add_f64 v[219:220], v[219:220], v[223:224]
	v_fma_f64 v[223:224], v[4:5], v[26:27], v[227:228]
	v_fma_f64 v[225:226], v[2:3], v[26:27], -v[28:29]
	ds_load_b128 v[2:5], v1 offset:1504
	scratch_load_b128 v[26:29], off, off offset:800
	v_fma_f64 v[165:166], v[165:166], v[30:31], v[221:222]
	v_fma_f64 v[163:164], v[163:164], v[30:31], -v[32:33]
	scratch_load_b128 v[30:33], off, off offset:816
	v_add_f64 v[156:157], v[156:157], v[215:216]
	v_add_f64 v[219:220], v[219:220], v[217:218]
	ds_load_b128 v[215:218], v1 offset:1520
	s_waitcnt vmcnt(9) lgkmcnt(1)
	v_mul_f64 v[227:228], v[2:3], v[36:37]
	v_mul_f64 v[36:37], v[4:5], v[36:37]
	s_waitcnt vmcnt(8) lgkmcnt(0)
	v_mul_f64 v[221:222], v[215:216], v[40:41]
	v_mul_f64 v[40:41], v[217:218], v[40:41]
	v_add_f64 v[156:157], v[156:157], v[225:226]
	v_add_f64 v[219:220], v[219:220], v[223:224]
	v_fma_f64 v[223:224], v[4:5], v[34:35], v[227:228]
	v_fma_f64 v[225:226], v[2:3], v[34:35], -v[36:37]
	ds_load_b128 v[2:5], v1 offset:1536
	ds_load_b128 v[34:37], v1 offset:1552
	v_fma_f64 v[217:218], v[217:218], v[38:39], v[221:222]
	v_fma_f64 v[38:39], v[215:216], v[38:39], -v[40:41]
	v_add_f64 v[156:157], v[156:157], v[163:164]
	v_add_f64 v[163:164], v[219:220], v[165:166]
	s_waitcnt vmcnt(7) lgkmcnt(1)
	v_mul_f64 v[165:166], v[2:3], v[44:45]
	v_mul_f64 v[44:45], v[4:5], v[44:45]
	s_delay_alu instid0(VALU_DEP_4) | instskip(NEXT) | instid1(VALU_DEP_4)
	v_add_f64 v[40:41], v[156:157], v[225:226]
	v_add_f64 v[156:157], v[163:164], v[223:224]
	s_waitcnt vmcnt(6) lgkmcnt(0)
	v_mul_f64 v[163:164], v[34:35], v[8:9]
	v_mul_f64 v[8:9], v[36:37], v[8:9]
	v_fma_f64 v[165:166], v[4:5], v[42:43], v[165:166]
	v_fma_f64 v[42:43], v[2:3], v[42:43], -v[44:45]
	v_add_f64 v[44:45], v[40:41], v[38:39]
	v_add_f64 v[156:157], v[156:157], v[217:218]
	ds_load_b128 v[2:5], v1 offset:1568
	ds_load_b128 v[38:41], v1 offset:1584
	v_fma_f64 v[36:37], v[36:37], v[6:7], v[163:164]
	v_fma_f64 v[6:7], v[34:35], v[6:7], -v[8:9]
	s_waitcnt vmcnt(5) lgkmcnt(1)
	v_mul_f64 v[215:216], v[2:3], v[12:13]
	v_mul_f64 v[12:13], v[4:5], v[12:13]
	v_add_f64 v[8:9], v[44:45], v[42:43]
	v_add_f64 v[34:35], v[156:157], v[165:166]
	s_waitcnt vmcnt(4) lgkmcnt(0)
	v_mul_f64 v[42:43], v[38:39], v[16:17]
	v_mul_f64 v[16:17], v[40:41], v[16:17]
	v_fma_f64 v[44:45], v[4:5], v[10:11], v[215:216]
	v_fma_f64 v[10:11], v[2:3], v[10:11], -v[12:13]
	v_add_f64 v[12:13], v[8:9], v[6:7]
	v_add_f64 v[34:35], v[34:35], v[36:37]
	ds_load_b128 v[2:5], v1 offset:1600
	ds_load_b128 v[6:9], v1 offset:1616
	v_fma_f64 v[40:41], v[40:41], v[14:15], v[42:43]
	v_fma_f64 v[14:15], v[38:39], v[14:15], -v[16:17]
	s_waitcnt vmcnt(3) lgkmcnt(1)
	v_mul_f64 v[36:37], v[2:3], v[20:21]
	v_mul_f64 v[20:21], v[4:5], v[20:21]
	s_waitcnt vmcnt(2) lgkmcnt(0)
	v_mul_f64 v[16:17], v[6:7], v[24:25]
	v_mul_f64 v[24:25], v[8:9], v[24:25]
	v_add_f64 v[10:11], v[12:13], v[10:11]
	v_add_f64 v[12:13], v[34:35], v[44:45]
	v_fma_f64 v[34:35], v[4:5], v[18:19], v[36:37]
	v_fma_f64 v[18:19], v[2:3], v[18:19], -v[20:21]
	v_fma_f64 v[8:9], v[8:9], v[22:23], v[16:17]
	v_fma_f64 v[6:7], v[6:7], v[22:23], -v[24:25]
	v_add_f64 v[14:15], v[10:11], v[14:15]
	v_add_f64 v[20:21], v[12:13], v[40:41]
	ds_load_b128 v[2:5], v1 offset:1632
	ds_load_b128 v[10:13], v1 offset:1648
	s_waitcnt vmcnt(1) lgkmcnt(1)
	v_mul_f64 v[36:37], v[2:3], v[28:29]
	v_mul_f64 v[28:29], v[4:5], v[28:29]
	v_add_f64 v[14:15], v[14:15], v[18:19]
	v_add_f64 v[16:17], v[20:21], v[34:35]
	s_waitcnt vmcnt(0) lgkmcnt(0)
	v_mul_f64 v[18:19], v[10:11], v[32:33]
	v_mul_f64 v[20:21], v[12:13], v[32:33]
	v_fma_f64 v[4:5], v[4:5], v[26:27], v[36:37]
	v_fma_f64 v[1:2], v[2:3], v[26:27], -v[28:29]
	v_add_f64 v[6:7], v[14:15], v[6:7]
	v_add_f64 v[8:9], v[16:17], v[8:9]
	v_fma_f64 v[12:13], v[12:13], v[30:31], v[18:19]
	v_fma_f64 v[10:11], v[10:11], v[30:31], -v[20:21]
	s_delay_alu instid0(VALU_DEP_4) | instskip(NEXT) | instid1(VALU_DEP_4)
	v_add_f64 v[1:2], v[6:7], v[1:2]
	v_add_f64 v[3:4], v[8:9], v[4:5]
	s_delay_alu instid0(VALU_DEP_2) | instskip(NEXT) | instid1(VALU_DEP_2)
	v_add_f64 v[1:2], v[1:2], v[10:11]
	v_add_f64 v[3:4], v[3:4], v[12:13]
	s_delay_alu instid0(VALU_DEP_2) | instskip(NEXT) | instid1(VALU_DEP_2)
	v_add_f64 v[1:2], v[152:153], -v[1:2]
	v_add_f64 v[3:4], v[154:155], -v[3:4]
	scratch_store_b128 off, v[1:4], off offset:368
	v_cmpx_lt_u32_e32 22, v150
	s_cbranch_execz .LBB51_281
; %bb.280:
	scratch_load_b128 v[1:4], v180, off
	v_mov_b32_e32 v5, 0
	s_delay_alu instid0(VALU_DEP_1)
	v_mov_b32_e32 v6, v5
	v_mov_b32_e32 v7, v5
	;; [unrolled: 1-line block ×3, first 2 shown]
	scratch_store_b128 off, v[5:8], off offset:352
	s_waitcnt vmcnt(0)
	ds_store_b128 v202, v[1:4]
.LBB51_281:
	s_or_b32 exec_lo, exec_lo, s2
	s_waitcnt lgkmcnt(0)
	s_waitcnt_vscnt null, 0x0
	s_barrier
	buffer_gl0_inv
	s_clause 0x7
	scratch_load_b128 v[2:5], off, off offset:368
	scratch_load_b128 v[6:9], off, off offset:384
	;; [unrolled: 1-line block ×8, first 2 shown]
	v_mov_b32_e32 v1, 0
	s_mov_b32 s2, exec_lo
	ds_load_b128 v[38:41], v1 offset:1200
	s_clause 0x1
	scratch_load_b128 v[34:37], off, off offset:496
	scratch_load_b128 v[42:45], off, off offset:352
	ds_load_b128 v[152:155], v1 offset:1216
	scratch_load_b128 v[163:166], off, off offset:512
	ds_load_b128 v[215:218], v1 offset:1248
	s_waitcnt vmcnt(10) lgkmcnt(2)
	v_mul_f64 v[156:157], v[40:41], v[4:5]
	v_mul_f64 v[4:5], v[38:39], v[4:5]
	s_delay_alu instid0(VALU_DEP_2) | instskip(NEXT) | instid1(VALU_DEP_2)
	v_fma_f64 v[156:157], v[38:39], v[2:3], -v[156:157]
	v_fma_f64 v[221:222], v[40:41], v[2:3], v[4:5]
	ds_load_b128 v[2:5], v1 offset:1232
	s_waitcnt vmcnt(9) lgkmcnt(2)
	v_mul_f64 v[219:220], v[152:153], v[8:9]
	v_mul_f64 v[8:9], v[154:155], v[8:9]
	scratch_load_b128 v[38:41], off, off offset:528
	s_waitcnt vmcnt(9) lgkmcnt(0)
	v_mul_f64 v[223:224], v[2:3], v[12:13]
	v_mul_f64 v[12:13], v[4:5], v[12:13]
	v_add_f64 v[156:157], v[156:157], 0
	v_fma_f64 v[154:155], v[154:155], v[6:7], v[219:220]
	v_fma_f64 v[152:153], v[152:153], v[6:7], -v[8:9]
	v_add_f64 v[219:220], v[221:222], 0
	scratch_load_b128 v[6:9], off, off offset:544
	v_fma_f64 v[223:224], v[4:5], v[10:11], v[223:224]
	v_fma_f64 v[225:226], v[2:3], v[10:11], -v[12:13]
	scratch_load_b128 v[10:13], off, off offset:560
	ds_load_b128 v[2:5], v1 offset:1264
	s_waitcnt vmcnt(10)
	v_mul_f64 v[221:222], v[215:216], v[16:17]
	v_mul_f64 v[16:17], v[217:218], v[16:17]
	v_add_f64 v[156:157], v[156:157], v[152:153]
	v_add_f64 v[219:220], v[219:220], v[154:155]
	ds_load_b128 v[152:155], v1 offset:1280
	s_waitcnt vmcnt(9) lgkmcnt(1)
	v_mul_f64 v[227:228], v[2:3], v[20:21]
	v_mul_f64 v[20:21], v[4:5], v[20:21]
	v_fma_f64 v[217:218], v[217:218], v[14:15], v[221:222]
	v_fma_f64 v[215:216], v[215:216], v[14:15], -v[16:17]
	scratch_load_b128 v[14:17], off, off offset:576
	v_add_f64 v[156:157], v[156:157], v[225:226]
	v_add_f64 v[219:220], v[219:220], v[223:224]
	v_fma_f64 v[223:224], v[4:5], v[18:19], v[227:228]
	v_fma_f64 v[225:226], v[2:3], v[18:19], -v[20:21]
	scratch_load_b128 v[18:21], off, off offset:592
	ds_load_b128 v[2:5], v1 offset:1296
	s_waitcnt vmcnt(10) lgkmcnt(1)
	v_mul_f64 v[221:222], v[152:153], v[24:25]
	v_mul_f64 v[24:25], v[154:155], v[24:25]
	s_waitcnt vmcnt(9) lgkmcnt(0)
	v_mul_f64 v[227:228], v[2:3], v[28:29]
	v_mul_f64 v[28:29], v[4:5], v[28:29]
	v_add_f64 v[156:157], v[156:157], v[215:216]
	v_add_f64 v[219:220], v[219:220], v[217:218]
	ds_load_b128 v[215:218], v1 offset:1312
	v_fma_f64 v[154:155], v[154:155], v[22:23], v[221:222]
	v_fma_f64 v[152:153], v[152:153], v[22:23], -v[24:25]
	scratch_load_b128 v[22:25], off, off offset:608
	v_add_f64 v[156:157], v[156:157], v[225:226]
	v_add_f64 v[219:220], v[219:220], v[223:224]
	v_fma_f64 v[223:224], v[4:5], v[26:27], v[227:228]
	v_fma_f64 v[225:226], v[2:3], v[26:27], -v[28:29]
	scratch_load_b128 v[26:29], off, off offset:624
	ds_load_b128 v[2:5], v1 offset:1328
	s_waitcnt vmcnt(10) lgkmcnt(1)
	v_mul_f64 v[221:222], v[215:216], v[32:33]
	v_mul_f64 v[32:33], v[217:218], v[32:33]
	s_waitcnt vmcnt(9) lgkmcnt(0)
	v_mul_f64 v[227:228], v[2:3], v[36:37]
	v_mul_f64 v[36:37], v[4:5], v[36:37]
	v_add_f64 v[156:157], v[156:157], v[152:153]
	v_add_f64 v[219:220], v[219:220], v[154:155]
	ds_load_b128 v[152:155], v1 offset:1344
	v_fma_f64 v[217:218], v[217:218], v[30:31], v[221:222]
	v_fma_f64 v[215:216], v[215:216], v[30:31], -v[32:33]
	scratch_load_b128 v[30:33], off, off offset:640
	v_add_f64 v[156:157], v[156:157], v[225:226]
	v_add_f64 v[219:220], v[219:220], v[223:224]
	v_fma_f64 v[223:224], v[4:5], v[34:35], v[227:228]
	v_fma_f64 v[225:226], v[2:3], v[34:35], -v[36:37]
	scratch_load_b128 v[34:37], off, off offset:656
	ds_load_b128 v[2:5], v1 offset:1360
	s_waitcnt vmcnt(9) lgkmcnt(1)
	v_mul_f64 v[221:222], v[152:153], v[165:166]
	v_mul_f64 v[165:166], v[154:155], v[165:166]
	v_add_f64 v[156:157], v[156:157], v[215:216]
	v_add_f64 v[219:220], v[219:220], v[217:218]
	ds_load_b128 v[215:218], v1 offset:1376
	v_fma_f64 v[221:222], v[154:155], v[163:164], v[221:222]
	v_fma_f64 v[163:164], v[152:153], v[163:164], -v[165:166]
	scratch_load_b128 v[152:155], off, off offset:672
	s_waitcnt vmcnt(9) lgkmcnt(1)
	v_mul_f64 v[227:228], v[2:3], v[40:41]
	v_mul_f64 v[40:41], v[4:5], v[40:41]
	v_add_f64 v[156:157], v[156:157], v[225:226]
	v_add_f64 v[165:166], v[219:220], v[223:224]
	s_delay_alu instid0(VALU_DEP_4) | instskip(NEXT) | instid1(VALU_DEP_4)
	v_fma_f64 v[223:224], v[4:5], v[38:39], v[227:228]
	v_fma_f64 v[225:226], v[2:3], v[38:39], -v[40:41]
	scratch_load_b128 v[38:41], off, off offset:688
	ds_load_b128 v[2:5], v1 offset:1392
	s_waitcnt vmcnt(9) lgkmcnt(1)
	v_mul_f64 v[219:220], v[215:216], v[8:9]
	v_mul_f64 v[8:9], v[217:218], v[8:9]
	v_add_f64 v[156:157], v[156:157], v[163:164]
	v_add_f64 v[221:222], v[165:166], v[221:222]
	s_waitcnt vmcnt(8) lgkmcnt(0)
	v_mul_f64 v[227:228], v[2:3], v[12:13]
	v_mul_f64 v[12:13], v[4:5], v[12:13]
	ds_load_b128 v[163:166], v1 offset:1408
	v_fma_f64 v[217:218], v[217:218], v[6:7], v[219:220]
	v_fma_f64 v[215:216], v[215:216], v[6:7], -v[8:9]
	scratch_load_b128 v[6:9], off, off offset:704
	v_add_f64 v[156:157], v[156:157], v[225:226]
	v_add_f64 v[219:220], v[221:222], v[223:224]
	v_fma_f64 v[223:224], v[4:5], v[10:11], v[227:228]
	v_fma_f64 v[225:226], v[2:3], v[10:11], -v[12:13]
	scratch_load_b128 v[10:13], off, off offset:720
	ds_load_b128 v[2:5], v1 offset:1424
	s_waitcnt vmcnt(9) lgkmcnt(1)
	v_mul_f64 v[221:222], v[163:164], v[16:17]
	v_mul_f64 v[16:17], v[165:166], v[16:17]
	s_waitcnt vmcnt(8) lgkmcnt(0)
	v_mul_f64 v[227:228], v[2:3], v[20:21]
	v_mul_f64 v[20:21], v[4:5], v[20:21]
	v_add_f64 v[156:157], v[156:157], v[215:216]
	v_add_f64 v[219:220], v[219:220], v[217:218]
	ds_load_b128 v[215:218], v1 offset:1440
	v_fma_f64 v[165:166], v[165:166], v[14:15], v[221:222]
	v_fma_f64 v[163:164], v[163:164], v[14:15], -v[16:17]
	scratch_load_b128 v[14:17], off, off offset:736
	v_add_f64 v[156:157], v[156:157], v[225:226]
	v_add_f64 v[219:220], v[219:220], v[223:224]
	v_fma_f64 v[223:224], v[4:5], v[18:19], v[227:228]
	v_fma_f64 v[225:226], v[2:3], v[18:19], -v[20:21]
	scratch_load_b128 v[18:21], off, off offset:752
	ds_load_b128 v[2:5], v1 offset:1456
	s_waitcnt vmcnt(9) lgkmcnt(1)
	v_mul_f64 v[221:222], v[215:216], v[24:25]
	v_mul_f64 v[24:25], v[217:218], v[24:25]
	s_waitcnt vmcnt(8) lgkmcnt(0)
	v_mul_f64 v[227:228], v[2:3], v[28:29]
	v_mul_f64 v[28:29], v[4:5], v[28:29]
	v_add_f64 v[156:157], v[156:157], v[163:164]
	v_add_f64 v[219:220], v[219:220], v[165:166]
	;; [unrolled: 18-line block ×3, first 2 shown]
	ds_load_b128 v[215:218], v1 offset:1504
	v_fma_f64 v[165:166], v[165:166], v[30:31], v[221:222]
	v_fma_f64 v[163:164], v[163:164], v[30:31], -v[32:33]
	scratch_load_b128 v[30:33], off, off offset:800
	v_add_f64 v[156:157], v[156:157], v[225:226]
	v_add_f64 v[219:220], v[219:220], v[223:224]
	v_fma_f64 v[225:226], v[4:5], v[34:35], v[227:228]
	v_fma_f64 v[227:228], v[2:3], v[34:35], -v[36:37]
	scratch_load_b128 v[34:37], off, off offset:816
	ds_load_b128 v[2:5], v1 offset:1520
	s_waitcnt vmcnt(9) lgkmcnt(1)
	v_mul_f64 v[221:222], v[215:216], v[154:155]
	v_mul_f64 v[223:224], v[217:218], v[154:155]
	v_add_f64 v[163:164], v[156:157], v[163:164]
	v_add_f64 v[165:166], v[219:220], v[165:166]
	s_waitcnt vmcnt(8) lgkmcnt(0)
	v_mul_f64 v[219:220], v[2:3], v[40:41]
	v_mul_f64 v[40:41], v[4:5], v[40:41]
	ds_load_b128 v[154:157], v1 offset:1536
	v_fma_f64 v[217:218], v[217:218], v[152:153], v[221:222]
	v_fma_f64 v[152:153], v[215:216], v[152:153], -v[223:224]
	v_add_f64 v[163:164], v[163:164], v[227:228]
	v_add_f64 v[165:166], v[165:166], v[225:226]
	s_waitcnt vmcnt(7) lgkmcnt(0)
	v_mul_f64 v[215:216], v[154:155], v[8:9]
	v_mul_f64 v[8:9], v[156:157], v[8:9]
	v_fma_f64 v[219:220], v[4:5], v[38:39], v[219:220]
	v_fma_f64 v[221:222], v[2:3], v[38:39], -v[40:41]
	ds_load_b128 v[2:5], v1 offset:1552
	ds_load_b128 v[38:41], v1 offset:1568
	v_add_f64 v[152:153], v[163:164], v[152:153]
	v_add_f64 v[163:164], v[165:166], v[217:218]
	s_waitcnt vmcnt(6) lgkmcnt(1)
	v_mul_f64 v[165:166], v[2:3], v[12:13]
	v_mul_f64 v[12:13], v[4:5], v[12:13]
	v_fma_f64 v[156:157], v[156:157], v[6:7], v[215:216]
	v_fma_f64 v[6:7], v[154:155], v[6:7], -v[8:9]
	s_waitcnt vmcnt(5) lgkmcnt(0)
	v_mul_f64 v[154:155], v[38:39], v[16:17]
	v_mul_f64 v[16:17], v[40:41], v[16:17]
	v_add_f64 v[8:9], v[152:153], v[221:222]
	v_add_f64 v[152:153], v[163:164], v[219:220]
	v_fma_f64 v[163:164], v[4:5], v[10:11], v[165:166]
	v_fma_f64 v[10:11], v[2:3], v[10:11], -v[12:13]
	v_fma_f64 v[40:41], v[40:41], v[14:15], v[154:155]
	v_fma_f64 v[14:15], v[38:39], v[14:15], -v[16:17]
	v_add_f64 v[12:13], v[8:9], v[6:7]
	v_add_f64 v[152:153], v[152:153], v[156:157]
	ds_load_b128 v[2:5], v1 offset:1584
	ds_load_b128 v[6:9], v1 offset:1600
	s_waitcnt vmcnt(4) lgkmcnt(1)
	v_mul_f64 v[156:157], v[2:3], v[20:21]
	v_mul_f64 v[20:21], v[4:5], v[20:21]
	s_waitcnt vmcnt(3) lgkmcnt(0)
	v_mul_f64 v[16:17], v[6:7], v[24:25]
	v_mul_f64 v[24:25], v[8:9], v[24:25]
	v_add_f64 v[10:11], v[12:13], v[10:11]
	v_add_f64 v[12:13], v[152:153], v[163:164]
	v_fma_f64 v[38:39], v[4:5], v[18:19], v[156:157]
	v_fma_f64 v[18:19], v[2:3], v[18:19], -v[20:21]
	v_fma_f64 v[8:9], v[8:9], v[22:23], v[16:17]
	v_fma_f64 v[6:7], v[6:7], v[22:23], -v[24:25]
	v_add_f64 v[14:15], v[10:11], v[14:15]
	v_add_f64 v[20:21], v[12:13], v[40:41]
	ds_load_b128 v[2:5], v1 offset:1616
	ds_load_b128 v[10:13], v1 offset:1632
	s_waitcnt vmcnt(2) lgkmcnt(1)
	v_mul_f64 v[40:41], v[2:3], v[28:29]
	v_mul_f64 v[28:29], v[4:5], v[28:29]
	v_add_f64 v[14:15], v[14:15], v[18:19]
	v_add_f64 v[16:17], v[20:21], v[38:39]
	s_waitcnt vmcnt(1) lgkmcnt(0)
	v_mul_f64 v[18:19], v[10:11], v[32:33]
	v_mul_f64 v[20:21], v[12:13], v[32:33]
	v_fma_f64 v[22:23], v[4:5], v[26:27], v[40:41]
	v_fma_f64 v[24:25], v[2:3], v[26:27], -v[28:29]
	ds_load_b128 v[2:5], v1 offset:1648
	v_add_f64 v[6:7], v[14:15], v[6:7]
	v_add_f64 v[8:9], v[16:17], v[8:9]
	v_fma_f64 v[12:13], v[12:13], v[30:31], v[18:19]
	v_fma_f64 v[10:11], v[10:11], v[30:31], -v[20:21]
	s_waitcnt vmcnt(0) lgkmcnt(0)
	v_mul_f64 v[14:15], v[2:3], v[36:37]
	v_mul_f64 v[16:17], v[4:5], v[36:37]
	v_add_f64 v[6:7], v[6:7], v[24:25]
	v_add_f64 v[8:9], v[8:9], v[22:23]
	s_delay_alu instid0(VALU_DEP_4) | instskip(NEXT) | instid1(VALU_DEP_4)
	v_fma_f64 v[4:5], v[4:5], v[34:35], v[14:15]
	v_fma_f64 v[2:3], v[2:3], v[34:35], -v[16:17]
	s_delay_alu instid0(VALU_DEP_4) | instskip(NEXT) | instid1(VALU_DEP_4)
	v_add_f64 v[6:7], v[6:7], v[10:11]
	v_add_f64 v[8:9], v[8:9], v[12:13]
	s_delay_alu instid0(VALU_DEP_2) | instskip(NEXT) | instid1(VALU_DEP_2)
	v_add_f64 v[2:3], v[6:7], v[2:3]
	v_add_f64 v[4:5], v[8:9], v[4:5]
	s_delay_alu instid0(VALU_DEP_2) | instskip(NEXT) | instid1(VALU_DEP_2)
	v_add_f64 v[2:3], v[42:43], -v[2:3]
	v_add_f64 v[4:5], v[44:45], -v[4:5]
	scratch_store_b128 off, v[2:5], off offset:352
	v_cmpx_lt_u32_e32 21, v150
	s_cbranch_execz .LBB51_283
; %bb.282:
	scratch_load_b128 v[5:8], v181, off
	v_mov_b32_e32 v2, v1
	v_mov_b32_e32 v3, v1
	;; [unrolled: 1-line block ×3, first 2 shown]
	scratch_store_b128 off, v[1:4], off offset:336
	s_waitcnt vmcnt(0)
	ds_store_b128 v202, v[5:8]
.LBB51_283:
	s_or_b32 exec_lo, exec_lo, s2
	s_waitcnt lgkmcnt(0)
	s_waitcnt_vscnt null, 0x0
	s_barrier
	buffer_gl0_inv
	s_clause 0x8
	scratch_load_b128 v[2:5], off, off offset:352
	scratch_load_b128 v[6:9], off, off offset:368
	;; [unrolled: 1-line block ×9, first 2 shown]
	ds_load_b128 v[42:45], v1 offset:1184
	ds_load_b128 v[38:41], v1 offset:1200
	s_clause 0x1
	scratch_load_b128 v[152:155], off, off offset:336
	scratch_load_b128 v[163:166], off, off offset:496
	s_mov_b32 s2, exec_lo
	ds_load_b128 v[215:218], v1 offset:1232
	s_waitcnt vmcnt(10) lgkmcnt(2)
	v_mul_f64 v[156:157], v[44:45], v[4:5]
	v_mul_f64 v[4:5], v[42:43], v[4:5]
	s_waitcnt vmcnt(9) lgkmcnt(1)
	v_mul_f64 v[219:220], v[38:39], v[8:9]
	v_mul_f64 v[8:9], v[40:41], v[8:9]
	s_delay_alu instid0(VALU_DEP_4) | instskip(NEXT) | instid1(VALU_DEP_4)
	v_fma_f64 v[156:157], v[42:43], v[2:3], -v[156:157]
	v_fma_f64 v[221:222], v[44:45], v[2:3], v[4:5]
	ds_load_b128 v[2:5], v1 offset:1216
	scratch_load_b128 v[42:45], off, off offset:512
	v_fma_f64 v[40:41], v[40:41], v[6:7], v[219:220]
	v_fma_f64 v[38:39], v[38:39], v[6:7], -v[8:9]
	scratch_load_b128 v[6:9], off, off offset:528
	s_waitcnt vmcnt(10) lgkmcnt(0)
	v_mul_f64 v[223:224], v[2:3], v[12:13]
	v_mul_f64 v[12:13], v[4:5], v[12:13]
	v_add_f64 v[156:157], v[156:157], 0
	v_add_f64 v[219:220], v[221:222], 0
	s_waitcnt vmcnt(9)
	v_mul_f64 v[221:222], v[215:216], v[16:17]
	v_mul_f64 v[16:17], v[217:218], v[16:17]
	v_fma_f64 v[223:224], v[4:5], v[10:11], v[223:224]
	v_fma_f64 v[225:226], v[2:3], v[10:11], -v[12:13]
	ds_load_b128 v[2:5], v1 offset:1248
	scratch_load_b128 v[10:13], off, off offset:544
	v_add_f64 v[156:157], v[156:157], v[38:39]
	v_add_f64 v[219:220], v[219:220], v[40:41]
	ds_load_b128 v[38:41], v1 offset:1264
	v_fma_f64 v[217:218], v[217:218], v[14:15], v[221:222]
	v_fma_f64 v[215:216], v[215:216], v[14:15], -v[16:17]
	scratch_load_b128 v[14:17], off, off offset:560
	s_waitcnt vmcnt(10) lgkmcnt(1)
	v_mul_f64 v[227:228], v[2:3], v[20:21]
	v_mul_f64 v[20:21], v[4:5], v[20:21]
	s_waitcnt vmcnt(9) lgkmcnt(0)
	v_mul_f64 v[221:222], v[38:39], v[24:25]
	v_mul_f64 v[24:25], v[40:41], v[24:25]
	v_add_f64 v[156:157], v[156:157], v[225:226]
	v_add_f64 v[219:220], v[219:220], v[223:224]
	v_fma_f64 v[223:224], v[4:5], v[18:19], v[227:228]
	v_fma_f64 v[225:226], v[2:3], v[18:19], -v[20:21]
	ds_load_b128 v[2:5], v1 offset:1280
	scratch_load_b128 v[18:21], off, off offset:576
	v_fma_f64 v[40:41], v[40:41], v[22:23], v[221:222]
	v_fma_f64 v[38:39], v[38:39], v[22:23], -v[24:25]
	scratch_load_b128 v[22:25], off, off offset:592
	v_add_f64 v[156:157], v[156:157], v[215:216]
	v_add_f64 v[219:220], v[219:220], v[217:218]
	ds_load_b128 v[215:218], v1 offset:1296
	s_waitcnt vmcnt(10) lgkmcnt(1)
	v_mul_f64 v[227:228], v[2:3], v[28:29]
	v_mul_f64 v[28:29], v[4:5], v[28:29]
	s_waitcnt vmcnt(9) lgkmcnt(0)
	v_mul_f64 v[221:222], v[215:216], v[32:33]
	v_mul_f64 v[32:33], v[217:218], v[32:33]
	v_add_f64 v[156:157], v[156:157], v[225:226]
	v_add_f64 v[219:220], v[219:220], v[223:224]
	v_fma_f64 v[223:224], v[4:5], v[26:27], v[227:228]
	v_fma_f64 v[225:226], v[2:3], v[26:27], -v[28:29]
	ds_load_b128 v[2:5], v1 offset:1312
	scratch_load_b128 v[26:29], off, off offset:608
	v_fma_f64 v[217:218], v[217:218], v[30:31], v[221:222]
	v_fma_f64 v[215:216], v[215:216], v[30:31], -v[32:33]
	scratch_load_b128 v[30:33], off, off offset:624
	v_add_f64 v[156:157], v[156:157], v[38:39]
	v_add_f64 v[219:220], v[219:220], v[40:41]
	ds_load_b128 v[38:41], v1 offset:1328
	;; [unrolled: 18-line block ×3, first 2 shown]
	s_waitcnt vmcnt(9) lgkmcnt(1)
	v_mul_f64 v[227:228], v[2:3], v[44:45]
	v_mul_f64 v[44:45], v[4:5], v[44:45]
	v_add_f64 v[156:157], v[156:157], v[225:226]
	v_add_f64 v[165:166], v[219:220], v[223:224]
	s_waitcnt vmcnt(8) lgkmcnt(0)
	v_mul_f64 v[219:220], v[215:216], v[8:9]
	v_mul_f64 v[8:9], v[217:218], v[8:9]
	v_fma_f64 v[223:224], v[4:5], v[42:43], v[227:228]
	v_fma_f64 v[225:226], v[2:3], v[42:43], -v[44:45]
	ds_load_b128 v[2:5], v1 offset:1376
	scratch_load_b128 v[42:45], off, off offset:672
	v_add_f64 v[156:157], v[156:157], v[163:164]
	v_add_f64 v[221:222], v[165:166], v[221:222]
	ds_load_b128 v[163:166], v1 offset:1392
	s_waitcnt vmcnt(8) lgkmcnt(1)
	v_mul_f64 v[227:228], v[2:3], v[12:13]
	v_mul_f64 v[12:13], v[4:5], v[12:13]
	v_fma_f64 v[217:218], v[217:218], v[6:7], v[219:220]
	v_fma_f64 v[215:216], v[215:216], v[6:7], -v[8:9]
	scratch_load_b128 v[6:9], off, off offset:688
	v_add_f64 v[156:157], v[156:157], v[225:226]
	v_add_f64 v[219:220], v[221:222], v[223:224]
	s_waitcnt vmcnt(8) lgkmcnt(0)
	v_mul_f64 v[221:222], v[163:164], v[16:17]
	v_mul_f64 v[16:17], v[165:166], v[16:17]
	v_fma_f64 v[223:224], v[4:5], v[10:11], v[227:228]
	v_fma_f64 v[225:226], v[2:3], v[10:11], -v[12:13]
	ds_load_b128 v[2:5], v1 offset:1408
	scratch_load_b128 v[10:13], off, off offset:704
	v_add_f64 v[156:157], v[156:157], v[215:216]
	v_add_f64 v[219:220], v[219:220], v[217:218]
	ds_load_b128 v[215:218], v1 offset:1424
	s_waitcnt vmcnt(8) lgkmcnt(1)
	v_mul_f64 v[227:228], v[2:3], v[20:21]
	v_mul_f64 v[20:21], v[4:5], v[20:21]
	v_fma_f64 v[165:166], v[165:166], v[14:15], v[221:222]
	v_fma_f64 v[163:164], v[163:164], v[14:15], -v[16:17]
	scratch_load_b128 v[14:17], off, off offset:720
	s_waitcnt vmcnt(8) lgkmcnt(0)
	v_mul_f64 v[221:222], v[215:216], v[24:25]
	v_mul_f64 v[24:25], v[217:218], v[24:25]
	v_add_f64 v[156:157], v[156:157], v[225:226]
	v_add_f64 v[219:220], v[219:220], v[223:224]
	v_fma_f64 v[223:224], v[4:5], v[18:19], v[227:228]
	v_fma_f64 v[225:226], v[2:3], v[18:19], -v[20:21]
	ds_load_b128 v[2:5], v1 offset:1440
	scratch_load_b128 v[18:21], off, off offset:736
	v_fma_f64 v[217:218], v[217:218], v[22:23], v[221:222]
	v_fma_f64 v[215:216], v[215:216], v[22:23], -v[24:25]
	scratch_load_b128 v[22:25], off, off offset:752
	v_add_f64 v[156:157], v[156:157], v[163:164]
	v_add_f64 v[219:220], v[219:220], v[165:166]
	ds_load_b128 v[163:166], v1 offset:1456
	s_waitcnt vmcnt(9) lgkmcnt(1)
	v_mul_f64 v[227:228], v[2:3], v[28:29]
	v_mul_f64 v[28:29], v[4:5], v[28:29]
	s_waitcnt vmcnt(8) lgkmcnt(0)
	v_mul_f64 v[221:222], v[163:164], v[32:33]
	v_mul_f64 v[32:33], v[165:166], v[32:33]
	v_add_f64 v[156:157], v[156:157], v[225:226]
	v_add_f64 v[219:220], v[219:220], v[223:224]
	v_fma_f64 v[223:224], v[4:5], v[26:27], v[227:228]
	v_fma_f64 v[225:226], v[2:3], v[26:27], -v[28:29]
	ds_load_b128 v[2:5], v1 offset:1472
	scratch_load_b128 v[26:29], off, off offset:768
	v_fma_f64 v[165:166], v[165:166], v[30:31], v[221:222]
	v_fma_f64 v[163:164], v[163:164], v[30:31], -v[32:33]
	scratch_load_b128 v[30:33], off, off offset:784
	v_add_f64 v[156:157], v[156:157], v[215:216]
	v_add_f64 v[219:220], v[219:220], v[217:218]
	ds_load_b128 v[215:218], v1 offset:1488
	s_waitcnt vmcnt(9) lgkmcnt(1)
	v_mul_f64 v[227:228], v[2:3], v[36:37]
	v_mul_f64 v[36:37], v[4:5], v[36:37]
	;; [unrolled: 18-line block ×3, first 2 shown]
	s_waitcnt vmcnt(8) lgkmcnt(0)
	v_mul_f64 v[221:222], v[163:164], v[8:9]
	v_mul_f64 v[8:9], v[165:166], v[8:9]
	v_add_f64 v[156:157], v[156:157], v[225:226]
	v_add_f64 v[219:220], v[219:220], v[223:224]
	v_fma_f64 v[223:224], v[4:5], v[42:43], v[227:228]
	v_fma_f64 v[225:226], v[2:3], v[42:43], -v[44:45]
	ds_load_b128 v[2:5], v1 offset:1536
	ds_load_b128 v[42:45], v1 offset:1552
	v_fma_f64 v[165:166], v[165:166], v[6:7], v[221:222]
	v_fma_f64 v[6:7], v[163:164], v[6:7], -v[8:9]
	v_add_f64 v[156:157], v[156:157], v[215:216]
	v_add_f64 v[215:216], v[219:220], v[217:218]
	s_waitcnt vmcnt(7) lgkmcnt(1)
	v_mul_f64 v[217:218], v[2:3], v[12:13]
	v_mul_f64 v[12:13], v[4:5], v[12:13]
	s_waitcnt vmcnt(6) lgkmcnt(0)
	v_mul_f64 v[163:164], v[42:43], v[16:17]
	v_mul_f64 v[16:17], v[44:45], v[16:17]
	v_add_f64 v[8:9], v[156:157], v[225:226]
	v_add_f64 v[156:157], v[215:216], v[223:224]
	v_fma_f64 v[215:216], v[4:5], v[10:11], v[217:218]
	v_fma_f64 v[10:11], v[2:3], v[10:11], -v[12:13]
	v_fma_f64 v[44:45], v[44:45], v[14:15], v[163:164]
	v_fma_f64 v[14:15], v[42:43], v[14:15], -v[16:17]
	v_add_f64 v[12:13], v[8:9], v[6:7]
	v_add_f64 v[156:157], v[156:157], v[165:166]
	ds_load_b128 v[2:5], v1 offset:1568
	ds_load_b128 v[6:9], v1 offset:1584
	s_waitcnt vmcnt(5) lgkmcnt(1)
	v_mul_f64 v[165:166], v[2:3], v[20:21]
	v_mul_f64 v[20:21], v[4:5], v[20:21]
	s_waitcnt vmcnt(4) lgkmcnt(0)
	v_mul_f64 v[16:17], v[6:7], v[24:25]
	v_mul_f64 v[24:25], v[8:9], v[24:25]
	v_add_f64 v[10:11], v[12:13], v[10:11]
	v_add_f64 v[12:13], v[156:157], v[215:216]
	v_fma_f64 v[42:43], v[4:5], v[18:19], v[165:166]
	v_fma_f64 v[18:19], v[2:3], v[18:19], -v[20:21]
	v_fma_f64 v[8:9], v[8:9], v[22:23], v[16:17]
	v_fma_f64 v[6:7], v[6:7], v[22:23], -v[24:25]
	v_add_f64 v[14:15], v[10:11], v[14:15]
	v_add_f64 v[20:21], v[12:13], v[44:45]
	ds_load_b128 v[2:5], v1 offset:1600
	ds_load_b128 v[10:13], v1 offset:1616
	s_waitcnt vmcnt(3) lgkmcnt(1)
	v_mul_f64 v[44:45], v[2:3], v[28:29]
	v_mul_f64 v[28:29], v[4:5], v[28:29]
	v_add_f64 v[14:15], v[14:15], v[18:19]
	v_add_f64 v[16:17], v[20:21], v[42:43]
	s_waitcnt vmcnt(2) lgkmcnt(0)
	v_mul_f64 v[18:19], v[10:11], v[32:33]
	v_mul_f64 v[20:21], v[12:13], v[32:33]
	v_fma_f64 v[22:23], v[4:5], v[26:27], v[44:45]
	v_fma_f64 v[24:25], v[2:3], v[26:27], -v[28:29]
	v_add_f64 v[14:15], v[14:15], v[6:7]
	v_add_f64 v[16:17], v[16:17], v[8:9]
	ds_load_b128 v[2:5], v1 offset:1632
	ds_load_b128 v[6:9], v1 offset:1648
	v_fma_f64 v[12:13], v[12:13], v[30:31], v[18:19]
	v_fma_f64 v[10:11], v[10:11], v[30:31], -v[20:21]
	s_waitcnt vmcnt(1) lgkmcnt(1)
	v_mul_f64 v[26:27], v[2:3], v[36:37]
	v_mul_f64 v[28:29], v[4:5], v[36:37]
	s_waitcnt vmcnt(0) lgkmcnt(0)
	v_mul_f64 v[18:19], v[6:7], v[40:41]
	v_mul_f64 v[20:21], v[8:9], v[40:41]
	v_add_f64 v[14:15], v[14:15], v[24:25]
	v_add_f64 v[16:17], v[16:17], v[22:23]
	v_fma_f64 v[4:5], v[4:5], v[34:35], v[26:27]
	v_fma_f64 v[1:2], v[2:3], v[34:35], -v[28:29]
	v_fma_f64 v[8:9], v[8:9], v[38:39], v[18:19]
	v_fma_f64 v[6:7], v[6:7], v[38:39], -v[20:21]
	v_add_f64 v[10:11], v[14:15], v[10:11]
	v_add_f64 v[12:13], v[16:17], v[12:13]
	s_delay_alu instid0(VALU_DEP_2) | instskip(NEXT) | instid1(VALU_DEP_2)
	v_add_f64 v[1:2], v[10:11], v[1:2]
	v_add_f64 v[3:4], v[12:13], v[4:5]
	s_delay_alu instid0(VALU_DEP_2) | instskip(NEXT) | instid1(VALU_DEP_2)
	;; [unrolled: 3-line block ×3, first 2 shown]
	v_add_f64 v[1:2], v[152:153], -v[1:2]
	v_add_f64 v[3:4], v[154:155], -v[3:4]
	scratch_store_b128 off, v[1:4], off offset:336
	v_cmpx_lt_u32_e32 20, v150
	s_cbranch_execz .LBB51_285
; %bb.284:
	scratch_load_b128 v[1:4], v182, off
	v_mov_b32_e32 v5, 0
	s_delay_alu instid0(VALU_DEP_1)
	v_mov_b32_e32 v6, v5
	v_mov_b32_e32 v7, v5
	;; [unrolled: 1-line block ×3, first 2 shown]
	scratch_store_b128 off, v[5:8], off offset:320
	s_waitcnt vmcnt(0)
	ds_store_b128 v202, v[1:4]
.LBB51_285:
	s_or_b32 exec_lo, exec_lo, s2
	s_waitcnt lgkmcnt(0)
	s_waitcnt_vscnt null, 0x0
	s_barrier
	buffer_gl0_inv
	s_clause 0x7
	scratch_load_b128 v[2:5], off, off offset:336
	scratch_load_b128 v[6:9], off, off offset:352
	scratch_load_b128 v[10:13], off, off offset:368
	scratch_load_b128 v[14:17], off, off offset:384
	scratch_load_b128 v[18:21], off, off offset:400
	scratch_load_b128 v[22:25], off, off offset:416
	scratch_load_b128 v[26:29], off, off offset:432
	scratch_load_b128 v[30:33], off, off offset:448
	v_mov_b32_e32 v1, 0
	s_mov_b32 s2, exec_lo
	ds_load_b128 v[38:41], v1 offset:1168
	s_clause 0x1
	scratch_load_b128 v[34:37], off, off offset:464
	scratch_load_b128 v[42:45], off, off offset:320
	ds_load_b128 v[152:155], v1 offset:1184
	scratch_load_b128 v[163:166], off, off offset:480
	ds_load_b128 v[215:218], v1 offset:1216
	s_waitcnt vmcnt(10) lgkmcnt(2)
	v_mul_f64 v[156:157], v[40:41], v[4:5]
	v_mul_f64 v[4:5], v[38:39], v[4:5]
	s_delay_alu instid0(VALU_DEP_2) | instskip(NEXT) | instid1(VALU_DEP_2)
	v_fma_f64 v[156:157], v[38:39], v[2:3], -v[156:157]
	v_fma_f64 v[221:222], v[40:41], v[2:3], v[4:5]
	ds_load_b128 v[2:5], v1 offset:1200
	s_waitcnt vmcnt(9) lgkmcnt(2)
	v_mul_f64 v[219:220], v[152:153], v[8:9]
	v_mul_f64 v[8:9], v[154:155], v[8:9]
	scratch_load_b128 v[38:41], off, off offset:496
	s_waitcnt vmcnt(9) lgkmcnt(0)
	v_mul_f64 v[223:224], v[2:3], v[12:13]
	v_mul_f64 v[12:13], v[4:5], v[12:13]
	v_add_f64 v[156:157], v[156:157], 0
	v_fma_f64 v[154:155], v[154:155], v[6:7], v[219:220]
	v_fma_f64 v[152:153], v[152:153], v[6:7], -v[8:9]
	v_add_f64 v[219:220], v[221:222], 0
	scratch_load_b128 v[6:9], off, off offset:512
	v_fma_f64 v[223:224], v[4:5], v[10:11], v[223:224]
	v_fma_f64 v[225:226], v[2:3], v[10:11], -v[12:13]
	scratch_load_b128 v[10:13], off, off offset:528
	ds_load_b128 v[2:5], v1 offset:1232
	s_waitcnt vmcnt(10)
	v_mul_f64 v[221:222], v[215:216], v[16:17]
	v_mul_f64 v[16:17], v[217:218], v[16:17]
	v_add_f64 v[156:157], v[156:157], v[152:153]
	v_add_f64 v[219:220], v[219:220], v[154:155]
	ds_load_b128 v[152:155], v1 offset:1248
	s_waitcnt vmcnt(9) lgkmcnt(1)
	v_mul_f64 v[227:228], v[2:3], v[20:21]
	v_mul_f64 v[20:21], v[4:5], v[20:21]
	v_fma_f64 v[217:218], v[217:218], v[14:15], v[221:222]
	v_fma_f64 v[215:216], v[215:216], v[14:15], -v[16:17]
	scratch_load_b128 v[14:17], off, off offset:544
	v_add_f64 v[156:157], v[156:157], v[225:226]
	v_add_f64 v[219:220], v[219:220], v[223:224]
	v_fma_f64 v[223:224], v[4:5], v[18:19], v[227:228]
	v_fma_f64 v[225:226], v[2:3], v[18:19], -v[20:21]
	scratch_load_b128 v[18:21], off, off offset:560
	ds_load_b128 v[2:5], v1 offset:1264
	s_waitcnt vmcnt(10) lgkmcnt(1)
	v_mul_f64 v[221:222], v[152:153], v[24:25]
	v_mul_f64 v[24:25], v[154:155], v[24:25]
	s_waitcnt vmcnt(9) lgkmcnt(0)
	v_mul_f64 v[227:228], v[2:3], v[28:29]
	v_mul_f64 v[28:29], v[4:5], v[28:29]
	v_add_f64 v[156:157], v[156:157], v[215:216]
	v_add_f64 v[219:220], v[219:220], v[217:218]
	ds_load_b128 v[215:218], v1 offset:1280
	v_fma_f64 v[154:155], v[154:155], v[22:23], v[221:222]
	v_fma_f64 v[152:153], v[152:153], v[22:23], -v[24:25]
	scratch_load_b128 v[22:25], off, off offset:576
	v_add_f64 v[156:157], v[156:157], v[225:226]
	v_add_f64 v[219:220], v[219:220], v[223:224]
	v_fma_f64 v[223:224], v[4:5], v[26:27], v[227:228]
	v_fma_f64 v[225:226], v[2:3], v[26:27], -v[28:29]
	scratch_load_b128 v[26:29], off, off offset:592
	ds_load_b128 v[2:5], v1 offset:1296
	s_waitcnt vmcnt(10) lgkmcnt(1)
	v_mul_f64 v[221:222], v[215:216], v[32:33]
	v_mul_f64 v[32:33], v[217:218], v[32:33]
	s_waitcnt vmcnt(9) lgkmcnt(0)
	v_mul_f64 v[227:228], v[2:3], v[36:37]
	v_mul_f64 v[36:37], v[4:5], v[36:37]
	v_add_f64 v[156:157], v[156:157], v[152:153]
	v_add_f64 v[219:220], v[219:220], v[154:155]
	ds_load_b128 v[152:155], v1 offset:1312
	v_fma_f64 v[217:218], v[217:218], v[30:31], v[221:222]
	v_fma_f64 v[215:216], v[215:216], v[30:31], -v[32:33]
	scratch_load_b128 v[30:33], off, off offset:608
	v_add_f64 v[156:157], v[156:157], v[225:226]
	v_add_f64 v[219:220], v[219:220], v[223:224]
	v_fma_f64 v[223:224], v[4:5], v[34:35], v[227:228]
	v_fma_f64 v[225:226], v[2:3], v[34:35], -v[36:37]
	scratch_load_b128 v[34:37], off, off offset:624
	ds_load_b128 v[2:5], v1 offset:1328
	s_waitcnt vmcnt(9) lgkmcnt(1)
	v_mul_f64 v[221:222], v[152:153], v[165:166]
	v_mul_f64 v[165:166], v[154:155], v[165:166]
	v_add_f64 v[156:157], v[156:157], v[215:216]
	v_add_f64 v[219:220], v[219:220], v[217:218]
	ds_load_b128 v[215:218], v1 offset:1344
	v_fma_f64 v[221:222], v[154:155], v[163:164], v[221:222]
	v_fma_f64 v[163:164], v[152:153], v[163:164], -v[165:166]
	scratch_load_b128 v[152:155], off, off offset:640
	s_waitcnt vmcnt(9) lgkmcnt(1)
	v_mul_f64 v[227:228], v[2:3], v[40:41]
	v_mul_f64 v[40:41], v[4:5], v[40:41]
	v_add_f64 v[156:157], v[156:157], v[225:226]
	v_add_f64 v[165:166], v[219:220], v[223:224]
	s_delay_alu instid0(VALU_DEP_4) | instskip(NEXT) | instid1(VALU_DEP_4)
	v_fma_f64 v[223:224], v[4:5], v[38:39], v[227:228]
	v_fma_f64 v[225:226], v[2:3], v[38:39], -v[40:41]
	scratch_load_b128 v[38:41], off, off offset:656
	ds_load_b128 v[2:5], v1 offset:1360
	s_waitcnt vmcnt(9) lgkmcnt(1)
	v_mul_f64 v[219:220], v[215:216], v[8:9]
	v_mul_f64 v[8:9], v[217:218], v[8:9]
	v_add_f64 v[156:157], v[156:157], v[163:164]
	v_add_f64 v[221:222], v[165:166], v[221:222]
	s_waitcnt vmcnt(8) lgkmcnt(0)
	v_mul_f64 v[227:228], v[2:3], v[12:13]
	v_mul_f64 v[12:13], v[4:5], v[12:13]
	ds_load_b128 v[163:166], v1 offset:1376
	v_fma_f64 v[217:218], v[217:218], v[6:7], v[219:220]
	v_fma_f64 v[215:216], v[215:216], v[6:7], -v[8:9]
	scratch_load_b128 v[6:9], off, off offset:672
	v_add_f64 v[156:157], v[156:157], v[225:226]
	v_add_f64 v[219:220], v[221:222], v[223:224]
	v_fma_f64 v[223:224], v[4:5], v[10:11], v[227:228]
	v_fma_f64 v[225:226], v[2:3], v[10:11], -v[12:13]
	scratch_load_b128 v[10:13], off, off offset:688
	ds_load_b128 v[2:5], v1 offset:1392
	s_waitcnt vmcnt(9) lgkmcnt(1)
	v_mul_f64 v[221:222], v[163:164], v[16:17]
	v_mul_f64 v[16:17], v[165:166], v[16:17]
	s_waitcnt vmcnt(8) lgkmcnt(0)
	v_mul_f64 v[227:228], v[2:3], v[20:21]
	v_mul_f64 v[20:21], v[4:5], v[20:21]
	v_add_f64 v[156:157], v[156:157], v[215:216]
	v_add_f64 v[219:220], v[219:220], v[217:218]
	ds_load_b128 v[215:218], v1 offset:1408
	v_fma_f64 v[165:166], v[165:166], v[14:15], v[221:222]
	v_fma_f64 v[163:164], v[163:164], v[14:15], -v[16:17]
	scratch_load_b128 v[14:17], off, off offset:704
	v_add_f64 v[156:157], v[156:157], v[225:226]
	v_add_f64 v[219:220], v[219:220], v[223:224]
	v_fma_f64 v[223:224], v[4:5], v[18:19], v[227:228]
	v_fma_f64 v[225:226], v[2:3], v[18:19], -v[20:21]
	scratch_load_b128 v[18:21], off, off offset:720
	ds_load_b128 v[2:5], v1 offset:1424
	s_waitcnt vmcnt(9) lgkmcnt(1)
	v_mul_f64 v[221:222], v[215:216], v[24:25]
	v_mul_f64 v[24:25], v[217:218], v[24:25]
	s_waitcnt vmcnt(8) lgkmcnt(0)
	v_mul_f64 v[227:228], v[2:3], v[28:29]
	v_mul_f64 v[28:29], v[4:5], v[28:29]
	v_add_f64 v[156:157], v[156:157], v[163:164]
	v_add_f64 v[219:220], v[219:220], v[165:166]
	;; [unrolled: 18-line block ×3, first 2 shown]
	ds_load_b128 v[215:218], v1 offset:1472
	v_fma_f64 v[165:166], v[165:166], v[30:31], v[221:222]
	v_fma_f64 v[163:164], v[163:164], v[30:31], -v[32:33]
	scratch_load_b128 v[30:33], off, off offset:768
	v_add_f64 v[156:157], v[156:157], v[225:226]
	v_add_f64 v[219:220], v[219:220], v[223:224]
	v_fma_f64 v[225:226], v[4:5], v[34:35], v[227:228]
	v_fma_f64 v[227:228], v[2:3], v[34:35], -v[36:37]
	scratch_load_b128 v[34:37], off, off offset:784
	ds_load_b128 v[2:5], v1 offset:1488
	s_waitcnt vmcnt(9) lgkmcnt(1)
	v_mul_f64 v[221:222], v[215:216], v[154:155]
	v_mul_f64 v[223:224], v[217:218], v[154:155]
	v_add_f64 v[163:164], v[156:157], v[163:164]
	v_add_f64 v[165:166], v[219:220], v[165:166]
	s_waitcnt vmcnt(8) lgkmcnt(0)
	v_mul_f64 v[219:220], v[2:3], v[40:41]
	v_mul_f64 v[40:41], v[4:5], v[40:41]
	ds_load_b128 v[154:157], v1 offset:1504
	v_fma_f64 v[217:218], v[217:218], v[152:153], v[221:222]
	v_fma_f64 v[152:153], v[215:216], v[152:153], -v[223:224]
	v_add_f64 v[215:216], v[163:164], v[227:228]
	v_add_f64 v[221:222], v[165:166], v[225:226]
	scratch_load_b128 v[163:166], off, off offset:800
	v_fma_f64 v[219:220], v[4:5], v[38:39], v[219:220]
	v_fma_f64 v[225:226], v[2:3], v[38:39], -v[40:41]
	scratch_load_b128 v[38:41], off, off offset:816
	ds_load_b128 v[2:5], v1 offset:1520
	s_waitcnt vmcnt(9) lgkmcnt(1)
	v_mul_f64 v[223:224], v[154:155], v[8:9]
	v_mul_f64 v[8:9], v[156:157], v[8:9]
	s_waitcnt vmcnt(8) lgkmcnt(0)
	v_mul_f64 v[227:228], v[2:3], v[12:13]
	v_mul_f64 v[12:13], v[4:5], v[12:13]
	v_add_f64 v[152:153], v[215:216], v[152:153]
	v_add_f64 v[221:222], v[221:222], v[217:218]
	ds_load_b128 v[215:218], v1 offset:1536
	v_fma_f64 v[156:157], v[156:157], v[6:7], v[223:224]
	v_fma_f64 v[6:7], v[154:155], v[6:7], -v[8:9]
	s_waitcnt vmcnt(7) lgkmcnt(0)
	v_mul_f64 v[154:155], v[215:216], v[16:17]
	v_mul_f64 v[16:17], v[217:218], v[16:17]
	v_add_f64 v[8:9], v[152:153], v[225:226]
	v_add_f64 v[152:153], v[221:222], v[219:220]
	v_fma_f64 v[219:220], v[4:5], v[10:11], v[227:228]
	v_fma_f64 v[10:11], v[2:3], v[10:11], -v[12:13]
	v_fma_f64 v[154:155], v[217:218], v[14:15], v[154:155]
	v_fma_f64 v[14:15], v[215:216], v[14:15], -v[16:17]
	v_add_f64 v[12:13], v[8:9], v[6:7]
	v_add_f64 v[152:153], v[152:153], v[156:157]
	ds_load_b128 v[2:5], v1 offset:1552
	ds_load_b128 v[6:9], v1 offset:1568
	s_waitcnt vmcnt(6) lgkmcnt(1)
	v_mul_f64 v[156:157], v[2:3], v[20:21]
	v_mul_f64 v[20:21], v[4:5], v[20:21]
	s_waitcnt vmcnt(5) lgkmcnt(0)
	v_mul_f64 v[16:17], v[6:7], v[24:25]
	v_mul_f64 v[24:25], v[8:9], v[24:25]
	v_add_f64 v[10:11], v[12:13], v[10:11]
	v_add_f64 v[12:13], v[152:153], v[219:220]
	v_fma_f64 v[152:153], v[4:5], v[18:19], v[156:157]
	v_fma_f64 v[18:19], v[2:3], v[18:19], -v[20:21]
	v_fma_f64 v[8:9], v[8:9], v[22:23], v[16:17]
	v_fma_f64 v[6:7], v[6:7], v[22:23], -v[24:25]
	v_add_f64 v[14:15], v[10:11], v[14:15]
	v_add_f64 v[20:21], v[12:13], v[154:155]
	ds_load_b128 v[2:5], v1 offset:1584
	ds_load_b128 v[10:13], v1 offset:1600
	s_waitcnt vmcnt(4) lgkmcnt(1)
	v_mul_f64 v[154:155], v[2:3], v[28:29]
	v_mul_f64 v[28:29], v[4:5], v[28:29]
	v_add_f64 v[14:15], v[14:15], v[18:19]
	v_add_f64 v[16:17], v[20:21], v[152:153]
	s_waitcnt vmcnt(3) lgkmcnt(0)
	v_mul_f64 v[18:19], v[10:11], v[32:33]
	v_mul_f64 v[20:21], v[12:13], v[32:33]
	v_fma_f64 v[22:23], v[4:5], v[26:27], v[154:155]
	v_fma_f64 v[24:25], v[2:3], v[26:27], -v[28:29]
	v_add_f64 v[14:15], v[14:15], v[6:7]
	v_add_f64 v[16:17], v[16:17], v[8:9]
	ds_load_b128 v[2:5], v1 offset:1616
	ds_load_b128 v[6:9], v1 offset:1632
	v_fma_f64 v[12:13], v[12:13], v[30:31], v[18:19]
	v_fma_f64 v[10:11], v[10:11], v[30:31], -v[20:21]
	s_waitcnt vmcnt(2) lgkmcnt(1)
	v_mul_f64 v[26:27], v[2:3], v[36:37]
	v_mul_f64 v[28:29], v[4:5], v[36:37]
	v_add_f64 v[14:15], v[14:15], v[24:25]
	v_add_f64 v[16:17], v[16:17], v[22:23]
	s_waitcnt vmcnt(1) lgkmcnt(0)
	v_mul_f64 v[18:19], v[6:7], v[165:166]
	v_mul_f64 v[20:21], v[8:9], v[165:166]
	v_fma_f64 v[22:23], v[4:5], v[34:35], v[26:27]
	v_fma_f64 v[24:25], v[2:3], v[34:35], -v[28:29]
	ds_load_b128 v[2:5], v1 offset:1648
	v_add_f64 v[10:11], v[14:15], v[10:11]
	v_add_f64 v[12:13], v[16:17], v[12:13]
	s_waitcnt vmcnt(0) lgkmcnt(0)
	v_mul_f64 v[14:15], v[2:3], v[40:41]
	v_mul_f64 v[16:17], v[4:5], v[40:41]
	v_fma_f64 v[8:9], v[8:9], v[163:164], v[18:19]
	v_fma_f64 v[6:7], v[6:7], v[163:164], -v[20:21]
	v_add_f64 v[10:11], v[10:11], v[24:25]
	v_add_f64 v[12:13], v[12:13], v[22:23]
	v_fma_f64 v[4:5], v[4:5], v[38:39], v[14:15]
	v_fma_f64 v[2:3], v[2:3], v[38:39], -v[16:17]
	s_delay_alu instid0(VALU_DEP_4) | instskip(NEXT) | instid1(VALU_DEP_4)
	v_add_f64 v[6:7], v[10:11], v[6:7]
	v_add_f64 v[8:9], v[12:13], v[8:9]
	s_delay_alu instid0(VALU_DEP_2) | instskip(NEXT) | instid1(VALU_DEP_2)
	v_add_f64 v[2:3], v[6:7], v[2:3]
	v_add_f64 v[4:5], v[8:9], v[4:5]
	s_delay_alu instid0(VALU_DEP_2) | instskip(NEXT) | instid1(VALU_DEP_2)
	v_add_f64 v[2:3], v[42:43], -v[2:3]
	v_add_f64 v[4:5], v[44:45], -v[4:5]
	scratch_store_b128 off, v[2:5], off offset:320
	v_cmpx_lt_u32_e32 19, v150
	s_cbranch_execz .LBB51_287
; %bb.286:
	scratch_load_b128 v[5:8], v183, off
	v_mov_b32_e32 v2, v1
	v_mov_b32_e32 v3, v1
	v_mov_b32_e32 v4, v1
	scratch_store_b128 off, v[1:4], off offset:304
	s_waitcnt vmcnt(0)
	ds_store_b128 v202, v[5:8]
.LBB51_287:
	s_or_b32 exec_lo, exec_lo, s2
	s_waitcnt lgkmcnt(0)
	s_waitcnt_vscnt null, 0x0
	s_barrier
	buffer_gl0_inv
	s_clause 0x8
	scratch_load_b128 v[2:5], off, off offset:320
	scratch_load_b128 v[6:9], off, off offset:336
	;; [unrolled: 1-line block ×9, first 2 shown]
	ds_load_b128 v[42:45], v1 offset:1152
	ds_load_b128 v[38:41], v1 offset:1168
	s_clause 0x1
	scratch_load_b128 v[152:155], off, off offset:304
	scratch_load_b128 v[163:166], off, off offset:464
	s_mov_b32 s2, exec_lo
	ds_load_b128 v[215:218], v1 offset:1200
	s_waitcnt vmcnt(10) lgkmcnt(2)
	v_mul_f64 v[156:157], v[44:45], v[4:5]
	v_mul_f64 v[4:5], v[42:43], v[4:5]
	s_waitcnt vmcnt(9) lgkmcnt(1)
	v_mul_f64 v[219:220], v[38:39], v[8:9]
	v_mul_f64 v[8:9], v[40:41], v[8:9]
	s_delay_alu instid0(VALU_DEP_4) | instskip(NEXT) | instid1(VALU_DEP_4)
	v_fma_f64 v[156:157], v[42:43], v[2:3], -v[156:157]
	v_fma_f64 v[221:222], v[44:45], v[2:3], v[4:5]
	ds_load_b128 v[2:5], v1 offset:1184
	scratch_load_b128 v[42:45], off, off offset:480
	v_fma_f64 v[40:41], v[40:41], v[6:7], v[219:220]
	v_fma_f64 v[38:39], v[38:39], v[6:7], -v[8:9]
	scratch_load_b128 v[6:9], off, off offset:496
	s_waitcnt vmcnt(10) lgkmcnt(0)
	v_mul_f64 v[223:224], v[2:3], v[12:13]
	v_mul_f64 v[12:13], v[4:5], v[12:13]
	v_add_f64 v[156:157], v[156:157], 0
	v_add_f64 v[219:220], v[221:222], 0
	s_waitcnt vmcnt(9)
	v_mul_f64 v[221:222], v[215:216], v[16:17]
	v_mul_f64 v[16:17], v[217:218], v[16:17]
	v_fma_f64 v[223:224], v[4:5], v[10:11], v[223:224]
	v_fma_f64 v[225:226], v[2:3], v[10:11], -v[12:13]
	ds_load_b128 v[2:5], v1 offset:1216
	scratch_load_b128 v[10:13], off, off offset:512
	v_add_f64 v[156:157], v[156:157], v[38:39]
	v_add_f64 v[219:220], v[219:220], v[40:41]
	ds_load_b128 v[38:41], v1 offset:1232
	v_fma_f64 v[217:218], v[217:218], v[14:15], v[221:222]
	v_fma_f64 v[215:216], v[215:216], v[14:15], -v[16:17]
	scratch_load_b128 v[14:17], off, off offset:528
	s_waitcnt vmcnt(10) lgkmcnt(1)
	v_mul_f64 v[227:228], v[2:3], v[20:21]
	v_mul_f64 v[20:21], v[4:5], v[20:21]
	s_waitcnt vmcnt(9) lgkmcnt(0)
	v_mul_f64 v[221:222], v[38:39], v[24:25]
	v_mul_f64 v[24:25], v[40:41], v[24:25]
	v_add_f64 v[156:157], v[156:157], v[225:226]
	v_add_f64 v[219:220], v[219:220], v[223:224]
	v_fma_f64 v[223:224], v[4:5], v[18:19], v[227:228]
	v_fma_f64 v[225:226], v[2:3], v[18:19], -v[20:21]
	ds_load_b128 v[2:5], v1 offset:1248
	scratch_load_b128 v[18:21], off, off offset:544
	v_fma_f64 v[40:41], v[40:41], v[22:23], v[221:222]
	v_fma_f64 v[38:39], v[38:39], v[22:23], -v[24:25]
	scratch_load_b128 v[22:25], off, off offset:560
	v_add_f64 v[156:157], v[156:157], v[215:216]
	v_add_f64 v[219:220], v[219:220], v[217:218]
	ds_load_b128 v[215:218], v1 offset:1264
	s_waitcnt vmcnt(10) lgkmcnt(1)
	v_mul_f64 v[227:228], v[2:3], v[28:29]
	v_mul_f64 v[28:29], v[4:5], v[28:29]
	s_waitcnt vmcnt(9) lgkmcnt(0)
	v_mul_f64 v[221:222], v[215:216], v[32:33]
	v_mul_f64 v[32:33], v[217:218], v[32:33]
	v_add_f64 v[156:157], v[156:157], v[225:226]
	v_add_f64 v[219:220], v[219:220], v[223:224]
	v_fma_f64 v[223:224], v[4:5], v[26:27], v[227:228]
	v_fma_f64 v[225:226], v[2:3], v[26:27], -v[28:29]
	ds_load_b128 v[2:5], v1 offset:1280
	scratch_load_b128 v[26:29], off, off offset:576
	v_fma_f64 v[217:218], v[217:218], v[30:31], v[221:222]
	v_fma_f64 v[215:216], v[215:216], v[30:31], -v[32:33]
	scratch_load_b128 v[30:33], off, off offset:592
	v_add_f64 v[156:157], v[156:157], v[38:39]
	v_add_f64 v[219:220], v[219:220], v[40:41]
	ds_load_b128 v[38:41], v1 offset:1296
	;; [unrolled: 18-line block ×3, first 2 shown]
	s_waitcnt vmcnt(9) lgkmcnt(1)
	v_mul_f64 v[227:228], v[2:3], v[44:45]
	v_mul_f64 v[44:45], v[4:5], v[44:45]
	v_add_f64 v[156:157], v[156:157], v[225:226]
	v_add_f64 v[165:166], v[219:220], v[223:224]
	s_waitcnt vmcnt(8) lgkmcnt(0)
	v_mul_f64 v[219:220], v[215:216], v[8:9]
	v_mul_f64 v[8:9], v[217:218], v[8:9]
	v_fma_f64 v[223:224], v[4:5], v[42:43], v[227:228]
	v_fma_f64 v[225:226], v[2:3], v[42:43], -v[44:45]
	ds_load_b128 v[2:5], v1 offset:1344
	scratch_load_b128 v[42:45], off, off offset:640
	v_add_f64 v[156:157], v[156:157], v[163:164]
	v_add_f64 v[221:222], v[165:166], v[221:222]
	ds_load_b128 v[163:166], v1 offset:1360
	s_waitcnt vmcnt(8) lgkmcnt(1)
	v_mul_f64 v[227:228], v[2:3], v[12:13]
	v_mul_f64 v[12:13], v[4:5], v[12:13]
	v_fma_f64 v[217:218], v[217:218], v[6:7], v[219:220]
	v_fma_f64 v[215:216], v[215:216], v[6:7], -v[8:9]
	scratch_load_b128 v[6:9], off, off offset:656
	v_add_f64 v[156:157], v[156:157], v[225:226]
	v_add_f64 v[219:220], v[221:222], v[223:224]
	s_waitcnt vmcnt(8) lgkmcnt(0)
	v_mul_f64 v[221:222], v[163:164], v[16:17]
	v_mul_f64 v[16:17], v[165:166], v[16:17]
	v_fma_f64 v[223:224], v[4:5], v[10:11], v[227:228]
	v_fma_f64 v[225:226], v[2:3], v[10:11], -v[12:13]
	ds_load_b128 v[2:5], v1 offset:1376
	scratch_load_b128 v[10:13], off, off offset:672
	v_add_f64 v[156:157], v[156:157], v[215:216]
	v_add_f64 v[219:220], v[219:220], v[217:218]
	ds_load_b128 v[215:218], v1 offset:1392
	s_waitcnt vmcnt(8) lgkmcnt(1)
	v_mul_f64 v[227:228], v[2:3], v[20:21]
	v_mul_f64 v[20:21], v[4:5], v[20:21]
	v_fma_f64 v[165:166], v[165:166], v[14:15], v[221:222]
	v_fma_f64 v[163:164], v[163:164], v[14:15], -v[16:17]
	scratch_load_b128 v[14:17], off, off offset:688
	s_waitcnt vmcnt(8) lgkmcnt(0)
	v_mul_f64 v[221:222], v[215:216], v[24:25]
	v_mul_f64 v[24:25], v[217:218], v[24:25]
	v_add_f64 v[156:157], v[156:157], v[225:226]
	v_add_f64 v[219:220], v[219:220], v[223:224]
	v_fma_f64 v[223:224], v[4:5], v[18:19], v[227:228]
	v_fma_f64 v[225:226], v[2:3], v[18:19], -v[20:21]
	ds_load_b128 v[2:5], v1 offset:1408
	scratch_load_b128 v[18:21], off, off offset:704
	v_fma_f64 v[217:218], v[217:218], v[22:23], v[221:222]
	v_fma_f64 v[215:216], v[215:216], v[22:23], -v[24:25]
	scratch_load_b128 v[22:25], off, off offset:720
	v_add_f64 v[156:157], v[156:157], v[163:164]
	v_add_f64 v[219:220], v[219:220], v[165:166]
	ds_load_b128 v[163:166], v1 offset:1424
	s_waitcnt vmcnt(9) lgkmcnt(1)
	v_mul_f64 v[227:228], v[2:3], v[28:29]
	v_mul_f64 v[28:29], v[4:5], v[28:29]
	s_waitcnt vmcnt(8) lgkmcnt(0)
	v_mul_f64 v[221:222], v[163:164], v[32:33]
	v_mul_f64 v[32:33], v[165:166], v[32:33]
	v_add_f64 v[156:157], v[156:157], v[225:226]
	v_add_f64 v[219:220], v[219:220], v[223:224]
	v_fma_f64 v[223:224], v[4:5], v[26:27], v[227:228]
	v_fma_f64 v[225:226], v[2:3], v[26:27], -v[28:29]
	ds_load_b128 v[2:5], v1 offset:1440
	scratch_load_b128 v[26:29], off, off offset:736
	v_fma_f64 v[165:166], v[165:166], v[30:31], v[221:222]
	v_fma_f64 v[163:164], v[163:164], v[30:31], -v[32:33]
	scratch_load_b128 v[30:33], off, off offset:752
	v_add_f64 v[156:157], v[156:157], v[215:216]
	v_add_f64 v[219:220], v[219:220], v[217:218]
	ds_load_b128 v[215:218], v1 offset:1456
	s_waitcnt vmcnt(9) lgkmcnt(1)
	v_mul_f64 v[227:228], v[2:3], v[36:37]
	v_mul_f64 v[36:37], v[4:5], v[36:37]
	;; [unrolled: 18-line block ×4, first 2 shown]
	s_waitcnt vmcnt(8) lgkmcnt(0)
	v_mul_f64 v[221:222], v[215:216], v[16:17]
	v_mul_f64 v[16:17], v[217:218], v[16:17]
	v_add_f64 v[156:157], v[156:157], v[225:226]
	v_add_f64 v[219:220], v[219:220], v[223:224]
	v_fma_f64 v[223:224], v[4:5], v[10:11], v[227:228]
	v_fma_f64 v[225:226], v[2:3], v[10:11], -v[12:13]
	ds_load_b128 v[2:5], v1 offset:1536
	ds_load_b128 v[10:13], v1 offset:1552
	v_fma_f64 v[217:218], v[217:218], v[14:15], v[221:222]
	v_fma_f64 v[14:15], v[215:216], v[14:15], -v[16:17]
	v_add_f64 v[156:157], v[156:157], v[163:164]
	v_add_f64 v[163:164], v[219:220], v[165:166]
	s_waitcnt vmcnt(7) lgkmcnt(1)
	v_mul_f64 v[165:166], v[2:3], v[20:21]
	v_mul_f64 v[20:21], v[4:5], v[20:21]
	s_delay_alu instid0(VALU_DEP_4) | instskip(NEXT) | instid1(VALU_DEP_4)
	v_add_f64 v[16:17], v[156:157], v[225:226]
	v_add_f64 v[156:157], v[163:164], v[223:224]
	s_waitcnt vmcnt(6) lgkmcnt(0)
	v_mul_f64 v[163:164], v[10:11], v[24:25]
	v_mul_f64 v[24:25], v[12:13], v[24:25]
	v_fma_f64 v[165:166], v[4:5], v[18:19], v[165:166]
	v_fma_f64 v[18:19], v[2:3], v[18:19], -v[20:21]
	v_add_f64 v[20:21], v[16:17], v[14:15]
	v_add_f64 v[156:157], v[156:157], v[217:218]
	ds_load_b128 v[2:5], v1 offset:1568
	ds_load_b128 v[14:17], v1 offset:1584
	v_fma_f64 v[12:13], v[12:13], v[22:23], v[163:164]
	v_fma_f64 v[10:11], v[10:11], v[22:23], -v[24:25]
	s_waitcnt vmcnt(5) lgkmcnt(1)
	v_mul_f64 v[215:216], v[2:3], v[28:29]
	v_mul_f64 v[28:29], v[4:5], v[28:29]
	s_waitcnt vmcnt(4) lgkmcnt(0)
	v_mul_f64 v[22:23], v[14:15], v[32:33]
	v_mul_f64 v[24:25], v[16:17], v[32:33]
	v_add_f64 v[18:19], v[20:21], v[18:19]
	v_add_f64 v[20:21], v[156:157], v[165:166]
	v_fma_f64 v[32:33], v[4:5], v[26:27], v[215:216]
	v_fma_f64 v[26:27], v[2:3], v[26:27], -v[28:29]
	v_fma_f64 v[16:17], v[16:17], v[30:31], v[22:23]
	v_fma_f64 v[14:15], v[14:15], v[30:31], -v[24:25]
	v_add_f64 v[18:19], v[18:19], v[10:11]
	v_add_f64 v[20:21], v[20:21], v[12:13]
	ds_load_b128 v[2:5], v1 offset:1600
	ds_load_b128 v[10:13], v1 offset:1616
	s_waitcnt vmcnt(3) lgkmcnt(1)
	v_mul_f64 v[28:29], v[2:3], v[36:37]
	v_mul_f64 v[36:37], v[4:5], v[36:37]
	s_waitcnt vmcnt(2) lgkmcnt(0)
	v_mul_f64 v[22:23], v[10:11], v[40:41]
	v_mul_f64 v[24:25], v[12:13], v[40:41]
	v_add_f64 v[18:19], v[18:19], v[26:27]
	v_add_f64 v[20:21], v[20:21], v[32:33]
	v_fma_f64 v[26:27], v[4:5], v[34:35], v[28:29]
	v_fma_f64 v[28:29], v[2:3], v[34:35], -v[36:37]
	v_fma_f64 v[12:13], v[12:13], v[38:39], v[22:23]
	v_fma_f64 v[10:11], v[10:11], v[38:39], -v[24:25]
	v_add_f64 v[18:19], v[18:19], v[14:15]
	v_add_f64 v[20:21], v[20:21], v[16:17]
	ds_load_b128 v[2:5], v1 offset:1632
	ds_load_b128 v[14:17], v1 offset:1648
	s_waitcnt vmcnt(1) lgkmcnt(1)
	v_mul_f64 v[30:31], v[2:3], v[44:45]
	v_mul_f64 v[32:33], v[4:5], v[44:45]
	s_waitcnt vmcnt(0) lgkmcnt(0)
	v_mul_f64 v[22:23], v[14:15], v[8:9]
	v_mul_f64 v[8:9], v[16:17], v[8:9]
	v_add_f64 v[18:19], v[18:19], v[28:29]
	v_add_f64 v[20:21], v[20:21], v[26:27]
	v_fma_f64 v[4:5], v[4:5], v[42:43], v[30:31]
	v_fma_f64 v[1:2], v[2:3], v[42:43], -v[32:33]
	v_fma_f64 v[16:17], v[16:17], v[6:7], v[22:23]
	v_fma_f64 v[6:7], v[14:15], v[6:7], -v[8:9]
	v_add_f64 v[10:11], v[18:19], v[10:11]
	v_add_f64 v[12:13], v[20:21], v[12:13]
	s_delay_alu instid0(VALU_DEP_2) | instskip(NEXT) | instid1(VALU_DEP_2)
	v_add_f64 v[1:2], v[10:11], v[1:2]
	v_add_f64 v[3:4], v[12:13], v[4:5]
	s_delay_alu instid0(VALU_DEP_2) | instskip(NEXT) | instid1(VALU_DEP_2)
	;; [unrolled: 3-line block ×3, first 2 shown]
	v_add_f64 v[1:2], v[152:153], -v[1:2]
	v_add_f64 v[3:4], v[154:155], -v[3:4]
	scratch_store_b128 off, v[1:4], off offset:304
	v_cmpx_lt_u32_e32 18, v150
	s_cbranch_execz .LBB51_289
; %bb.288:
	scratch_load_b128 v[1:4], v184, off
	v_mov_b32_e32 v5, 0
	s_delay_alu instid0(VALU_DEP_1)
	v_mov_b32_e32 v6, v5
	v_mov_b32_e32 v7, v5
	;; [unrolled: 1-line block ×3, first 2 shown]
	scratch_store_b128 off, v[5:8], off offset:288
	s_waitcnt vmcnt(0)
	ds_store_b128 v202, v[1:4]
.LBB51_289:
	s_or_b32 exec_lo, exec_lo, s2
	s_waitcnt lgkmcnt(0)
	s_waitcnt_vscnt null, 0x0
	s_barrier
	buffer_gl0_inv
	s_clause 0x7
	scratch_load_b128 v[2:5], off, off offset:304
	scratch_load_b128 v[6:9], off, off offset:320
	;; [unrolled: 1-line block ×8, first 2 shown]
	v_mov_b32_e32 v1, 0
	s_mov_b32 s2, exec_lo
	ds_load_b128 v[38:41], v1 offset:1136
	s_clause 0x1
	scratch_load_b128 v[34:37], off, off offset:432
	scratch_load_b128 v[42:45], off, off offset:288
	ds_load_b128 v[152:155], v1 offset:1152
	scratch_load_b128 v[163:166], off, off offset:448
	ds_load_b128 v[215:218], v1 offset:1184
	s_waitcnt vmcnt(10) lgkmcnt(2)
	v_mul_f64 v[156:157], v[40:41], v[4:5]
	v_mul_f64 v[4:5], v[38:39], v[4:5]
	s_delay_alu instid0(VALU_DEP_2) | instskip(NEXT) | instid1(VALU_DEP_2)
	v_fma_f64 v[156:157], v[38:39], v[2:3], -v[156:157]
	v_fma_f64 v[221:222], v[40:41], v[2:3], v[4:5]
	ds_load_b128 v[2:5], v1 offset:1168
	s_waitcnt vmcnt(9) lgkmcnt(2)
	v_mul_f64 v[219:220], v[152:153], v[8:9]
	v_mul_f64 v[8:9], v[154:155], v[8:9]
	scratch_load_b128 v[38:41], off, off offset:464
	s_waitcnt vmcnt(9) lgkmcnt(0)
	v_mul_f64 v[223:224], v[2:3], v[12:13]
	v_mul_f64 v[12:13], v[4:5], v[12:13]
	v_add_f64 v[156:157], v[156:157], 0
	v_fma_f64 v[154:155], v[154:155], v[6:7], v[219:220]
	v_fma_f64 v[152:153], v[152:153], v[6:7], -v[8:9]
	v_add_f64 v[219:220], v[221:222], 0
	scratch_load_b128 v[6:9], off, off offset:480
	v_fma_f64 v[223:224], v[4:5], v[10:11], v[223:224]
	v_fma_f64 v[225:226], v[2:3], v[10:11], -v[12:13]
	scratch_load_b128 v[10:13], off, off offset:496
	ds_load_b128 v[2:5], v1 offset:1200
	s_waitcnt vmcnt(10)
	v_mul_f64 v[221:222], v[215:216], v[16:17]
	v_mul_f64 v[16:17], v[217:218], v[16:17]
	v_add_f64 v[156:157], v[156:157], v[152:153]
	v_add_f64 v[219:220], v[219:220], v[154:155]
	ds_load_b128 v[152:155], v1 offset:1216
	s_waitcnt vmcnt(9) lgkmcnt(1)
	v_mul_f64 v[227:228], v[2:3], v[20:21]
	v_mul_f64 v[20:21], v[4:5], v[20:21]
	v_fma_f64 v[217:218], v[217:218], v[14:15], v[221:222]
	v_fma_f64 v[215:216], v[215:216], v[14:15], -v[16:17]
	scratch_load_b128 v[14:17], off, off offset:512
	v_add_f64 v[156:157], v[156:157], v[225:226]
	v_add_f64 v[219:220], v[219:220], v[223:224]
	v_fma_f64 v[223:224], v[4:5], v[18:19], v[227:228]
	v_fma_f64 v[225:226], v[2:3], v[18:19], -v[20:21]
	scratch_load_b128 v[18:21], off, off offset:528
	ds_load_b128 v[2:5], v1 offset:1232
	s_waitcnt vmcnt(10) lgkmcnt(1)
	v_mul_f64 v[221:222], v[152:153], v[24:25]
	v_mul_f64 v[24:25], v[154:155], v[24:25]
	s_waitcnt vmcnt(9) lgkmcnt(0)
	v_mul_f64 v[227:228], v[2:3], v[28:29]
	v_mul_f64 v[28:29], v[4:5], v[28:29]
	v_add_f64 v[156:157], v[156:157], v[215:216]
	v_add_f64 v[219:220], v[219:220], v[217:218]
	ds_load_b128 v[215:218], v1 offset:1248
	v_fma_f64 v[154:155], v[154:155], v[22:23], v[221:222]
	v_fma_f64 v[152:153], v[152:153], v[22:23], -v[24:25]
	scratch_load_b128 v[22:25], off, off offset:544
	v_add_f64 v[156:157], v[156:157], v[225:226]
	v_add_f64 v[219:220], v[219:220], v[223:224]
	v_fma_f64 v[223:224], v[4:5], v[26:27], v[227:228]
	v_fma_f64 v[225:226], v[2:3], v[26:27], -v[28:29]
	scratch_load_b128 v[26:29], off, off offset:560
	ds_load_b128 v[2:5], v1 offset:1264
	s_waitcnt vmcnt(10) lgkmcnt(1)
	v_mul_f64 v[221:222], v[215:216], v[32:33]
	v_mul_f64 v[32:33], v[217:218], v[32:33]
	s_waitcnt vmcnt(9) lgkmcnt(0)
	v_mul_f64 v[227:228], v[2:3], v[36:37]
	v_mul_f64 v[36:37], v[4:5], v[36:37]
	v_add_f64 v[156:157], v[156:157], v[152:153]
	v_add_f64 v[219:220], v[219:220], v[154:155]
	ds_load_b128 v[152:155], v1 offset:1280
	v_fma_f64 v[217:218], v[217:218], v[30:31], v[221:222]
	v_fma_f64 v[215:216], v[215:216], v[30:31], -v[32:33]
	scratch_load_b128 v[30:33], off, off offset:576
	v_add_f64 v[156:157], v[156:157], v[225:226]
	v_add_f64 v[219:220], v[219:220], v[223:224]
	v_fma_f64 v[223:224], v[4:5], v[34:35], v[227:228]
	v_fma_f64 v[225:226], v[2:3], v[34:35], -v[36:37]
	scratch_load_b128 v[34:37], off, off offset:592
	ds_load_b128 v[2:5], v1 offset:1296
	s_waitcnt vmcnt(9) lgkmcnt(1)
	v_mul_f64 v[221:222], v[152:153], v[165:166]
	v_mul_f64 v[165:166], v[154:155], v[165:166]
	v_add_f64 v[156:157], v[156:157], v[215:216]
	v_add_f64 v[219:220], v[219:220], v[217:218]
	ds_load_b128 v[215:218], v1 offset:1312
	v_fma_f64 v[221:222], v[154:155], v[163:164], v[221:222]
	v_fma_f64 v[163:164], v[152:153], v[163:164], -v[165:166]
	scratch_load_b128 v[152:155], off, off offset:608
	s_waitcnt vmcnt(9) lgkmcnt(1)
	v_mul_f64 v[227:228], v[2:3], v[40:41]
	v_mul_f64 v[40:41], v[4:5], v[40:41]
	v_add_f64 v[156:157], v[156:157], v[225:226]
	v_add_f64 v[165:166], v[219:220], v[223:224]
	s_delay_alu instid0(VALU_DEP_4) | instskip(NEXT) | instid1(VALU_DEP_4)
	v_fma_f64 v[223:224], v[4:5], v[38:39], v[227:228]
	v_fma_f64 v[225:226], v[2:3], v[38:39], -v[40:41]
	scratch_load_b128 v[38:41], off, off offset:624
	ds_load_b128 v[2:5], v1 offset:1328
	s_waitcnt vmcnt(9) lgkmcnt(1)
	v_mul_f64 v[219:220], v[215:216], v[8:9]
	v_mul_f64 v[8:9], v[217:218], v[8:9]
	v_add_f64 v[156:157], v[156:157], v[163:164]
	v_add_f64 v[221:222], v[165:166], v[221:222]
	s_waitcnt vmcnt(8) lgkmcnt(0)
	v_mul_f64 v[227:228], v[2:3], v[12:13]
	v_mul_f64 v[12:13], v[4:5], v[12:13]
	ds_load_b128 v[163:166], v1 offset:1344
	v_fma_f64 v[217:218], v[217:218], v[6:7], v[219:220]
	v_fma_f64 v[215:216], v[215:216], v[6:7], -v[8:9]
	scratch_load_b128 v[6:9], off, off offset:640
	v_add_f64 v[156:157], v[156:157], v[225:226]
	v_add_f64 v[219:220], v[221:222], v[223:224]
	v_fma_f64 v[223:224], v[4:5], v[10:11], v[227:228]
	v_fma_f64 v[225:226], v[2:3], v[10:11], -v[12:13]
	scratch_load_b128 v[10:13], off, off offset:656
	ds_load_b128 v[2:5], v1 offset:1360
	s_waitcnt vmcnt(9) lgkmcnt(1)
	v_mul_f64 v[221:222], v[163:164], v[16:17]
	v_mul_f64 v[16:17], v[165:166], v[16:17]
	s_waitcnt vmcnt(8) lgkmcnt(0)
	v_mul_f64 v[227:228], v[2:3], v[20:21]
	v_mul_f64 v[20:21], v[4:5], v[20:21]
	v_add_f64 v[156:157], v[156:157], v[215:216]
	v_add_f64 v[219:220], v[219:220], v[217:218]
	ds_load_b128 v[215:218], v1 offset:1376
	v_fma_f64 v[165:166], v[165:166], v[14:15], v[221:222]
	v_fma_f64 v[163:164], v[163:164], v[14:15], -v[16:17]
	scratch_load_b128 v[14:17], off, off offset:672
	v_add_f64 v[156:157], v[156:157], v[225:226]
	v_add_f64 v[219:220], v[219:220], v[223:224]
	v_fma_f64 v[223:224], v[4:5], v[18:19], v[227:228]
	v_fma_f64 v[225:226], v[2:3], v[18:19], -v[20:21]
	scratch_load_b128 v[18:21], off, off offset:688
	ds_load_b128 v[2:5], v1 offset:1392
	s_waitcnt vmcnt(9) lgkmcnt(1)
	v_mul_f64 v[221:222], v[215:216], v[24:25]
	v_mul_f64 v[24:25], v[217:218], v[24:25]
	s_waitcnt vmcnt(8) lgkmcnt(0)
	v_mul_f64 v[227:228], v[2:3], v[28:29]
	v_mul_f64 v[28:29], v[4:5], v[28:29]
	v_add_f64 v[156:157], v[156:157], v[163:164]
	v_add_f64 v[219:220], v[219:220], v[165:166]
	;; [unrolled: 18-line block ×3, first 2 shown]
	ds_load_b128 v[215:218], v1 offset:1440
	v_fma_f64 v[165:166], v[165:166], v[30:31], v[221:222]
	v_fma_f64 v[163:164], v[163:164], v[30:31], -v[32:33]
	scratch_load_b128 v[30:33], off, off offset:736
	v_add_f64 v[156:157], v[156:157], v[225:226]
	v_add_f64 v[219:220], v[219:220], v[223:224]
	v_fma_f64 v[225:226], v[4:5], v[34:35], v[227:228]
	v_fma_f64 v[227:228], v[2:3], v[34:35], -v[36:37]
	scratch_load_b128 v[34:37], off, off offset:752
	ds_load_b128 v[2:5], v1 offset:1456
	s_waitcnt vmcnt(9) lgkmcnt(1)
	v_mul_f64 v[221:222], v[215:216], v[154:155]
	v_mul_f64 v[223:224], v[217:218], v[154:155]
	v_add_f64 v[163:164], v[156:157], v[163:164]
	v_add_f64 v[165:166], v[219:220], v[165:166]
	s_waitcnt vmcnt(8) lgkmcnt(0)
	v_mul_f64 v[219:220], v[2:3], v[40:41]
	v_mul_f64 v[40:41], v[4:5], v[40:41]
	ds_load_b128 v[154:157], v1 offset:1472
	v_fma_f64 v[217:218], v[217:218], v[152:153], v[221:222]
	v_fma_f64 v[152:153], v[215:216], v[152:153], -v[223:224]
	v_add_f64 v[215:216], v[163:164], v[227:228]
	v_add_f64 v[221:222], v[165:166], v[225:226]
	scratch_load_b128 v[163:166], off, off offset:768
	v_fma_f64 v[219:220], v[4:5], v[38:39], v[219:220]
	v_fma_f64 v[225:226], v[2:3], v[38:39], -v[40:41]
	scratch_load_b128 v[38:41], off, off offset:784
	ds_load_b128 v[2:5], v1 offset:1488
	s_waitcnt vmcnt(9) lgkmcnt(1)
	v_mul_f64 v[223:224], v[154:155], v[8:9]
	v_mul_f64 v[8:9], v[156:157], v[8:9]
	s_waitcnt vmcnt(8) lgkmcnt(0)
	v_mul_f64 v[227:228], v[2:3], v[12:13]
	v_mul_f64 v[12:13], v[4:5], v[12:13]
	v_add_f64 v[152:153], v[215:216], v[152:153]
	v_add_f64 v[221:222], v[221:222], v[217:218]
	ds_load_b128 v[215:218], v1 offset:1504
	v_fma_f64 v[156:157], v[156:157], v[6:7], v[223:224]
	v_fma_f64 v[154:155], v[154:155], v[6:7], -v[8:9]
	scratch_load_b128 v[6:9], off, off offset:800
	v_fma_f64 v[223:224], v[4:5], v[10:11], v[227:228]
	v_add_f64 v[152:153], v[152:153], v[225:226]
	v_add_f64 v[219:220], v[221:222], v[219:220]
	v_fma_f64 v[225:226], v[2:3], v[10:11], -v[12:13]
	scratch_load_b128 v[10:13], off, off offset:816
	ds_load_b128 v[2:5], v1 offset:1520
	s_waitcnt vmcnt(9) lgkmcnt(1)
	v_mul_f64 v[221:222], v[215:216], v[16:17]
	v_mul_f64 v[16:17], v[217:218], v[16:17]
	v_add_f64 v[227:228], v[152:153], v[154:155]
	v_add_f64 v[156:157], v[219:220], v[156:157]
	s_waitcnt vmcnt(8) lgkmcnt(0)
	v_mul_f64 v[219:220], v[2:3], v[20:21]
	v_mul_f64 v[20:21], v[4:5], v[20:21]
	ds_load_b128 v[152:155], v1 offset:1536
	v_fma_f64 v[217:218], v[217:218], v[14:15], v[221:222]
	v_fma_f64 v[14:15], v[215:216], v[14:15], -v[16:17]
	s_waitcnt vmcnt(7) lgkmcnt(0)
	v_mul_f64 v[215:216], v[152:153], v[24:25]
	v_mul_f64 v[24:25], v[154:155], v[24:25]
	v_add_f64 v[16:17], v[227:228], v[225:226]
	v_add_f64 v[156:157], v[156:157], v[223:224]
	v_fma_f64 v[219:220], v[4:5], v[18:19], v[219:220]
	v_fma_f64 v[18:19], v[2:3], v[18:19], -v[20:21]
	v_fma_f64 v[154:155], v[154:155], v[22:23], v[215:216]
	v_fma_f64 v[22:23], v[152:153], v[22:23], -v[24:25]
	v_add_f64 v[20:21], v[16:17], v[14:15]
	v_add_f64 v[156:157], v[156:157], v[217:218]
	ds_load_b128 v[2:5], v1 offset:1552
	ds_load_b128 v[14:17], v1 offset:1568
	s_waitcnt vmcnt(6) lgkmcnt(1)
	v_mul_f64 v[217:218], v[2:3], v[28:29]
	v_mul_f64 v[28:29], v[4:5], v[28:29]
	s_waitcnt vmcnt(5) lgkmcnt(0)
	v_mul_f64 v[24:25], v[14:15], v[32:33]
	v_mul_f64 v[32:33], v[16:17], v[32:33]
	v_add_f64 v[18:19], v[20:21], v[18:19]
	v_add_f64 v[20:21], v[156:157], v[219:220]
	v_fma_f64 v[152:153], v[4:5], v[26:27], v[217:218]
	v_fma_f64 v[26:27], v[2:3], v[26:27], -v[28:29]
	v_fma_f64 v[16:17], v[16:17], v[30:31], v[24:25]
	v_fma_f64 v[14:15], v[14:15], v[30:31], -v[32:33]
	v_add_f64 v[22:23], v[18:19], v[22:23]
	v_add_f64 v[28:29], v[20:21], v[154:155]
	ds_load_b128 v[2:5], v1 offset:1584
	ds_load_b128 v[18:21], v1 offset:1600
	s_waitcnt vmcnt(4) lgkmcnt(1)
	v_mul_f64 v[154:155], v[2:3], v[36:37]
	v_mul_f64 v[36:37], v[4:5], v[36:37]
	v_add_f64 v[22:23], v[22:23], v[26:27]
	v_add_f64 v[24:25], v[28:29], v[152:153]
	s_waitcnt vmcnt(3) lgkmcnt(0)
	v_mul_f64 v[26:27], v[18:19], v[165:166]
	v_mul_f64 v[28:29], v[20:21], v[165:166]
	v_fma_f64 v[30:31], v[4:5], v[34:35], v[154:155]
	v_fma_f64 v[32:33], v[2:3], v[34:35], -v[36:37]
	v_add_f64 v[22:23], v[22:23], v[14:15]
	v_add_f64 v[24:25], v[24:25], v[16:17]
	ds_load_b128 v[2:5], v1 offset:1616
	ds_load_b128 v[14:17], v1 offset:1632
	v_fma_f64 v[20:21], v[20:21], v[163:164], v[26:27]
	v_fma_f64 v[18:19], v[18:19], v[163:164], -v[28:29]
	s_waitcnt vmcnt(2) lgkmcnt(1)
	v_mul_f64 v[34:35], v[2:3], v[40:41]
	v_mul_f64 v[36:37], v[4:5], v[40:41]
	s_waitcnt vmcnt(1) lgkmcnt(0)
	v_mul_f64 v[26:27], v[14:15], v[8:9]
	v_mul_f64 v[8:9], v[16:17], v[8:9]
	v_add_f64 v[22:23], v[22:23], v[32:33]
	v_add_f64 v[24:25], v[24:25], v[30:31]
	v_fma_f64 v[28:29], v[4:5], v[38:39], v[34:35]
	v_fma_f64 v[30:31], v[2:3], v[38:39], -v[36:37]
	ds_load_b128 v[2:5], v1 offset:1648
	v_fma_f64 v[16:17], v[16:17], v[6:7], v[26:27]
	v_fma_f64 v[6:7], v[14:15], v[6:7], -v[8:9]
	v_add_f64 v[18:19], v[22:23], v[18:19]
	v_add_f64 v[20:21], v[24:25], v[20:21]
	s_waitcnt vmcnt(0) lgkmcnt(0)
	v_mul_f64 v[22:23], v[2:3], v[12:13]
	v_mul_f64 v[12:13], v[4:5], v[12:13]
	s_delay_alu instid0(VALU_DEP_4) | instskip(NEXT) | instid1(VALU_DEP_4)
	v_add_f64 v[8:9], v[18:19], v[30:31]
	v_add_f64 v[14:15], v[20:21], v[28:29]
	s_delay_alu instid0(VALU_DEP_4) | instskip(NEXT) | instid1(VALU_DEP_4)
	v_fma_f64 v[4:5], v[4:5], v[10:11], v[22:23]
	v_fma_f64 v[2:3], v[2:3], v[10:11], -v[12:13]
	s_delay_alu instid0(VALU_DEP_4) | instskip(NEXT) | instid1(VALU_DEP_4)
	v_add_f64 v[6:7], v[8:9], v[6:7]
	v_add_f64 v[8:9], v[14:15], v[16:17]
	s_delay_alu instid0(VALU_DEP_2) | instskip(NEXT) | instid1(VALU_DEP_2)
	v_add_f64 v[2:3], v[6:7], v[2:3]
	v_add_f64 v[4:5], v[8:9], v[4:5]
	s_delay_alu instid0(VALU_DEP_2) | instskip(NEXT) | instid1(VALU_DEP_2)
	v_add_f64 v[2:3], v[42:43], -v[2:3]
	v_add_f64 v[4:5], v[44:45], -v[4:5]
	scratch_store_b128 off, v[2:5], off offset:288
	v_cmpx_lt_u32_e32 17, v150
	s_cbranch_execz .LBB51_291
; %bb.290:
	scratch_load_b128 v[5:8], v185, off
	v_mov_b32_e32 v2, v1
	v_mov_b32_e32 v3, v1
	;; [unrolled: 1-line block ×3, first 2 shown]
	scratch_store_b128 off, v[1:4], off offset:272
	s_waitcnt vmcnt(0)
	ds_store_b128 v202, v[5:8]
.LBB51_291:
	s_or_b32 exec_lo, exec_lo, s2
	s_waitcnt lgkmcnt(0)
	s_waitcnt_vscnt null, 0x0
	s_barrier
	buffer_gl0_inv
	s_clause 0x8
	scratch_load_b128 v[2:5], off, off offset:288
	scratch_load_b128 v[6:9], off, off offset:304
	;; [unrolled: 1-line block ×9, first 2 shown]
	ds_load_b128 v[42:45], v1 offset:1120
	ds_load_b128 v[38:41], v1 offset:1136
	s_clause 0x1
	scratch_load_b128 v[152:155], off, off offset:272
	scratch_load_b128 v[163:166], off, off offset:432
	s_mov_b32 s2, exec_lo
	ds_load_b128 v[215:218], v1 offset:1168
	s_waitcnt vmcnt(10) lgkmcnt(2)
	v_mul_f64 v[156:157], v[44:45], v[4:5]
	v_mul_f64 v[4:5], v[42:43], v[4:5]
	s_waitcnt vmcnt(9) lgkmcnt(1)
	v_mul_f64 v[219:220], v[38:39], v[8:9]
	v_mul_f64 v[8:9], v[40:41], v[8:9]
	s_delay_alu instid0(VALU_DEP_4) | instskip(NEXT) | instid1(VALU_DEP_4)
	v_fma_f64 v[156:157], v[42:43], v[2:3], -v[156:157]
	v_fma_f64 v[221:222], v[44:45], v[2:3], v[4:5]
	ds_load_b128 v[2:5], v1 offset:1152
	scratch_load_b128 v[42:45], off, off offset:448
	v_fma_f64 v[40:41], v[40:41], v[6:7], v[219:220]
	v_fma_f64 v[38:39], v[38:39], v[6:7], -v[8:9]
	scratch_load_b128 v[6:9], off, off offset:464
	s_waitcnt vmcnt(10) lgkmcnt(0)
	v_mul_f64 v[223:224], v[2:3], v[12:13]
	v_mul_f64 v[12:13], v[4:5], v[12:13]
	v_add_f64 v[156:157], v[156:157], 0
	v_add_f64 v[219:220], v[221:222], 0
	s_waitcnt vmcnt(9)
	v_mul_f64 v[221:222], v[215:216], v[16:17]
	v_mul_f64 v[16:17], v[217:218], v[16:17]
	v_fma_f64 v[223:224], v[4:5], v[10:11], v[223:224]
	v_fma_f64 v[225:226], v[2:3], v[10:11], -v[12:13]
	ds_load_b128 v[2:5], v1 offset:1184
	scratch_load_b128 v[10:13], off, off offset:480
	v_add_f64 v[156:157], v[156:157], v[38:39]
	v_add_f64 v[219:220], v[219:220], v[40:41]
	ds_load_b128 v[38:41], v1 offset:1200
	v_fma_f64 v[217:218], v[217:218], v[14:15], v[221:222]
	v_fma_f64 v[215:216], v[215:216], v[14:15], -v[16:17]
	scratch_load_b128 v[14:17], off, off offset:496
	s_waitcnt vmcnt(10) lgkmcnt(1)
	v_mul_f64 v[227:228], v[2:3], v[20:21]
	v_mul_f64 v[20:21], v[4:5], v[20:21]
	s_waitcnt vmcnt(9) lgkmcnt(0)
	v_mul_f64 v[221:222], v[38:39], v[24:25]
	v_mul_f64 v[24:25], v[40:41], v[24:25]
	v_add_f64 v[156:157], v[156:157], v[225:226]
	v_add_f64 v[219:220], v[219:220], v[223:224]
	v_fma_f64 v[223:224], v[4:5], v[18:19], v[227:228]
	v_fma_f64 v[225:226], v[2:3], v[18:19], -v[20:21]
	ds_load_b128 v[2:5], v1 offset:1216
	scratch_load_b128 v[18:21], off, off offset:512
	v_fma_f64 v[40:41], v[40:41], v[22:23], v[221:222]
	v_fma_f64 v[38:39], v[38:39], v[22:23], -v[24:25]
	scratch_load_b128 v[22:25], off, off offset:528
	v_add_f64 v[156:157], v[156:157], v[215:216]
	v_add_f64 v[219:220], v[219:220], v[217:218]
	ds_load_b128 v[215:218], v1 offset:1232
	s_waitcnt vmcnt(10) lgkmcnt(1)
	v_mul_f64 v[227:228], v[2:3], v[28:29]
	v_mul_f64 v[28:29], v[4:5], v[28:29]
	s_waitcnt vmcnt(9) lgkmcnt(0)
	v_mul_f64 v[221:222], v[215:216], v[32:33]
	v_mul_f64 v[32:33], v[217:218], v[32:33]
	v_add_f64 v[156:157], v[156:157], v[225:226]
	v_add_f64 v[219:220], v[219:220], v[223:224]
	v_fma_f64 v[223:224], v[4:5], v[26:27], v[227:228]
	v_fma_f64 v[225:226], v[2:3], v[26:27], -v[28:29]
	ds_load_b128 v[2:5], v1 offset:1248
	scratch_load_b128 v[26:29], off, off offset:544
	v_fma_f64 v[217:218], v[217:218], v[30:31], v[221:222]
	v_fma_f64 v[215:216], v[215:216], v[30:31], -v[32:33]
	scratch_load_b128 v[30:33], off, off offset:560
	v_add_f64 v[156:157], v[156:157], v[38:39]
	v_add_f64 v[219:220], v[219:220], v[40:41]
	ds_load_b128 v[38:41], v1 offset:1264
	;; [unrolled: 18-line block ×3, first 2 shown]
	s_waitcnt vmcnt(9) lgkmcnt(1)
	v_mul_f64 v[227:228], v[2:3], v[44:45]
	v_mul_f64 v[44:45], v[4:5], v[44:45]
	v_add_f64 v[156:157], v[156:157], v[225:226]
	v_add_f64 v[165:166], v[219:220], v[223:224]
	s_waitcnt vmcnt(8) lgkmcnt(0)
	v_mul_f64 v[219:220], v[215:216], v[8:9]
	v_mul_f64 v[8:9], v[217:218], v[8:9]
	v_fma_f64 v[223:224], v[4:5], v[42:43], v[227:228]
	v_fma_f64 v[225:226], v[2:3], v[42:43], -v[44:45]
	ds_load_b128 v[2:5], v1 offset:1312
	scratch_load_b128 v[42:45], off, off offset:608
	v_add_f64 v[156:157], v[156:157], v[163:164]
	v_add_f64 v[221:222], v[165:166], v[221:222]
	ds_load_b128 v[163:166], v1 offset:1328
	s_waitcnt vmcnt(8) lgkmcnt(1)
	v_mul_f64 v[227:228], v[2:3], v[12:13]
	v_mul_f64 v[12:13], v[4:5], v[12:13]
	v_fma_f64 v[217:218], v[217:218], v[6:7], v[219:220]
	v_fma_f64 v[215:216], v[215:216], v[6:7], -v[8:9]
	scratch_load_b128 v[6:9], off, off offset:624
	v_add_f64 v[156:157], v[156:157], v[225:226]
	v_add_f64 v[219:220], v[221:222], v[223:224]
	s_waitcnt vmcnt(8) lgkmcnt(0)
	v_mul_f64 v[221:222], v[163:164], v[16:17]
	v_mul_f64 v[16:17], v[165:166], v[16:17]
	v_fma_f64 v[223:224], v[4:5], v[10:11], v[227:228]
	v_fma_f64 v[225:226], v[2:3], v[10:11], -v[12:13]
	ds_load_b128 v[2:5], v1 offset:1344
	scratch_load_b128 v[10:13], off, off offset:640
	v_add_f64 v[156:157], v[156:157], v[215:216]
	v_add_f64 v[219:220], v[219:220], v[217:218]
	ds_load_b128 v[215:218], v1 offset:1360
	s_waitcnt vmcnt(8) lgkmcnt(1)
	v_mul_f64 v[227:228], v[2:3], v[20:21]
	v_mul_f64 v[20:21], v[4:5], v[20:21]
	v_fma_f64 v[165:166], v[165:166], v[14:15], v[221:222]
	v_fma_f64 v[163:164], v[163:164], v[14:15], -v[16:17]
	scratch_load_b128 v[14:17], off, off offset:656
	s_waitcnt vmcnt(8) lgkmcnt(0)
	v_mul_f64 v[221:222], v[215:216], v[24:25]
	v_mul_f64 v[24:25], v[217:218], v[24:25]
	v_add_f64 v[156:157], v[156:157], v[225:226]
	v_add_f64 v[219:220], v[219:220], v[223:224]
	v_fma_f64 v[223:224], v[4:5], v[18:19], v[227:228]
	v_fma_f64 v[225:226], v[2:3], v[18:19], -v[20:21]
	ds_load_b128 v[2:5], v1 offset:1376
	scratch_load_b128 v[18:21], off, off offset:672
	v_fma_f64 v[217:218], v[217:218], v[22:23], v[221:222]
	v_fma_f64 v[215:216], v[215:216], v[22:23], -v[24:25]
	scratch_load_b128 v[22:25], off, off offset:688
	v_add_f64 v[156:157], v[156:157], v[163:164]
	v_add_f64 v[219:220], v[219:220], v[165:166]
	ds_load_b128 v[163:166], v1 offset:1392
	s_waitcnt vmcnt(9) lgkmcnt(1)
	v_mul_f64 v[227:228], v[2:3], v[28:29]
	v_mul_f64 v[28:29], v[4:5], v[28:29]
	s_waitcnt vmcnt(8) lgkmcnt(0)
	v_mul_f64 v[221:222], v[163:164], v[32:33]
	v_mul_f64 v[32:33], v[165:166], v[32:33]
	v_add_f64 v[156:157], v[156:157], v[225:226]
	v_add_f64 v[219:220], v[219:220], v[223:224]
	v_fma_f64 v[223:224], v[4:5], v[26:27], v[227:228]
	v_fma_f64 v[225:226], v[2:3], v[26:27], -v[28:29]
	ds_load_b128 v[2:5], v1 offset:1408
	scratch_load_b128 v[26:29], off, off offset:704
	v_fma_f64 v[165:166], v[165:166], v[30:31], v[221:222]
	v_fma_f64 v[163:164], v[163:164], v[30:31], -v[32:33]
	scratch_load_b128 v[30:33], off, off offset:720
	v_add_f64 v[156:157], v[156:157], v[215:216]
	v_add_f64 v[219:220], v[219:220], v[217:218]
	ds_load_b128 v[215:218], v1 offset:1424
	s_waitcnt vmcnt(9) lgkmcnt(1)
	v_mul_f64 v[227:228], v[2:3], v[36:37]
	v_mul_f64 v[36:37], v[4:5], v[36:37]
	;; [unrolled: 18-line block ×5, first 2 shown]
	s_waitcnt vmcnt(8) lgkmcnt(0)
	v_mul_f64 v[221:222], v[163:164], v[24:25]
	v_mul_f64 v[24:25], v[165:166], v[24:25]
	v_add_f64 v[156:157], v[156:157], v[225:226]
	v_add_f64 v[219:220], v[219:220], v[223:224]
	v_fma_f64 v[223:224], v[4:5], v[18:19], v[227:228]
	v_fma_f64 v[225:226], v[2:3], v[18:19], -v[20:21]
	ds_load_b128 v[2:5], v1 offset:1536
	ds_load_b128 v[18:21], v1 offset:1552
	v_fma_f64 v[165:166], v[165:166], v[22:23], v[221:222]
	v_fma_f64 v[22:23], v[163:164], v[22:23], -v[24:25]
	v_add_f64 v[156:157], v[156:157], v[215:216]
	v_add_f64 v[215:216], v[219:220], v[217:218]
	s_waitcnt vmcnt(7) lgkmcnt(1)
	v_mul_f64 v[217:218], v[2:3], v[28:29]
	v_mul_f64 v[28:29], v[4:5], v[28:29]
	s_waitcnt vmcnt(6) lgkmcnt(0)
	v_mul_f64 v[163:164], v[18:19], v[32:33]
	v_mul_f64 v[32:33], v[20:21], v[32:33]
	v_add_f64 v[24:25], v[156:157], v[225:226]
	v_add_f64 v[156:157], v[215:216], v[223:224]
	v_fma_f64 v[215:216], v[4:5], v[26:27], v[217:218]
	v_fma_f64 v[26:27], v[2:3], v[26:27], -v[28:29]
	v_fma_f64 v[20:21], v[20:21], v[30:31], v[163:164]
	v_fma_f64 v[18:19], v[18:19], v[30:31], -v[32:33]
	v_add_f64 v[28:29], v[24:25], v[22:23]
	v_add_f64 v[156:157], v[156:157], v[165:166]
	ds_load_b128 v[2:5], v1 offset:1568
	ds_load_b128 v[22:25], v1 offset:1584
	s_waitcnt vmcnt(5) lgkmcnt(1)
	v_mul_f64 v[165:166], v[2:3], v[36:37]
	v_mul_f64 v[36:37], v[4:5], v[36:37]
	s_waitcnt vmcnt(4) lgkmcnt(0)
	v_mul_f64 v[30:31], v[22:23], v[40:41]
	v_mul_f64 v[32:33], v[24:25], v[40:41]
	v_add_f64 v[26:27], v[28:29], v[26:27]
	v_add_f64 v[28:29], v[156:157], v[215:216]
	v_fma_f64 v[40:41], v[4:5], v[34:35], v[165:166]
	v_fma_f64 v[34:35], v[2:3], v[34:35], -v[36:37]
	v_fma_f64 v[24:25], v[24:25], v[38:39], v[30:31]
	v_fma_f64 v[22:23], v[22:23], v[38:39], -v[32:33]
	v_add_f64 v[26:27], v[26:27], v[18:19]
	v_add_f64 v[28:29], v[28:29], v[20:21]
	ds_load_b128 v[2:5], v1 offset:1600
	ds_load_b128 v[18:21], v1 offset:1616
	;; [unrolled: 16-line block ×3, first 2 shown]
	s_waitcnt vmcnt(1) lgkmcnt(1)
	v_mul_f64 v[36:37], v[2:3], v[12:13]
	v_mul_f64 v[12:13], v[4:5], v[12:13]
	v_add_f64 v[8:9], v[26:27], v[34:35]
	v_add_f64 v[18:19], v[28:29], v[32:33]
	s_waitcnt vmcnt(0) lgkmcnt(0)
	v_mul_f64 v[26:27], v[22:23], v[16:17]
	v_mul_f64 v[16:17], v[24:25], v[16:17]
	v_fma_f64 v[4:5], v[4:5], v[10:11], v[36:37]
	v_fma_f64 v[1:2], v[2:3], v[10:11], -v[12:13]
	v_add_f64 v[6:7], v[8:9], v[6:7]
	v_add_f64 v[8:9], v[18:19], v[20:21]
	v_fma_f64 v[10:11], v[24:25], v[14:15], v[26:27]
	v_fma_f64 v[12:13], v[22:23], v[14:15], -v[16:17]
	s_delay_alu instid0(VALU_DEP_4) | instskip(NEXT) | instid1(VALU_DEP_4)
	v_add_f64 v[1:2], v[6:7], v[1:2]
	v_add_f64 v[3:4], v[8:9], v[4:5]
	s_delay_alu instid0(VALU_DEP_2) | instskip(NEXT) | instid1(VALU_DEP_2)
	v_add_f64 v[1:2], v[1:2], v[12:13]
	v_add_f64 v[3:4], v[3:4], v[10:11]
	s_delay_alu instid0(VALU_DEP_2) | instskip(NEXT) | instid1(VALU_DEP_2)
	v_add_f64 v[1:2], v[152:153], -v[1:2]
	v_add_f64 v[3:4], v[154:155], -v[3:4]
	scratch_store_b128 off, v[1:4], off offset:272
	v_cmpx_lt_u32_e32 16, v150
	s_cbranch_execz .LBB51_293
; %bb.292:
	scratch_load_b128 v[1:4], v186, off
	v_mov_b32_e32 v5, 0
	s_delay_alu instid0(VALU_DEP_1)
	v_mov_b32_e32 v6, v5
	v_mov_b32_e32 v7, v5
	;; [unrolled: 1-line block ×3, first 2 shown]
	scratch_store_b128 off, v[5:8], off offset:256
	s_waitcnt vmcnt(0)
	ds_store_b128 v202, v[1:4]
.LBB51_293:
	s_or_b32 exec_lo, exec_lo, s2
	s_waitcnt lgkmcnt(0)
	s_waitcnt_vscnt null, 0x0
	s_barrier
	buffer_gl0_inv
	s_clause 0x7
	scratch_load_b128 v[2:5], off, off offset:272
	scratch_load_b128 v[6:9], off, off offset:288
	;; [unrolled: 1-line block ×8, first 2 shown]
	v_mov_b32_e32 v1, 0
	s_mov_b32 s2, exec_lo
	ds_load_b128 v[38:41], v1 offset:1104
	s_clause 0x1
	scratch_load_b128 v[34:37], off, off offset:400
	scratch_load_b128 v[42:45], off, off offset:256
	ds_load_b128 v[152:155], v1 offset:1120
	scratch_load_b128 v[163:166], off, off offset:416
	ds_load_b128 v[215:218], v1 offset:1152
	s_waitcnt vmcnt(10) lgkmcnt(2)
	v_mul_f64 v[156:157], v[40:41], v[4:5]
	v_mul_f64 v[4:5], v[38:39], v[4:5]
	s_delay_alu instid0(VALU_DEP_2) | instskip(NEXT) | instid1(VALU_DEP_2)
	v_fma_f64 v[156:157], v[38:39], v[2:3], -v[156:157]
	v_fma_f64 v[221:222], v[40:41], v[2:3], v[4:5]
	ds_load_b128 v[2:5], v1 offset:1136
	s_waitcnt vmcnt(9) lgkmcnt(2)
	v_mul_f64 v[219:220], v[152:153], v[8:9]
	v_mul_f64 v[8:9], v[154:155], v[8:9]
	scratch_load_b128 v[38:41], off, off offset:432
	s_waitcnt vmcnt(9) lgkmcnt(0)
	v_mul_f64 v[223:224], v[2:3], v[12:13]
	v_mul_f64 v[12:13], v[4:5], v[12:13]
	v_add_f64 v[156:157], v[156:157], 0
	v_fma_f64 v[154:155], v[154:155], v[6:7], v[219:220]
	v_fma_f64 v[152:153], v[152:153], v[6:7], -v[8:9]
	v_add_f64 v[219:220], v[221:222], 0
	scratch_load_b128 v[6:9], off, off offset:448
	v_fma_f64 v[223:224], v[4:5], v[10:11], v[223:224]
	v_fma_f64 v[225:226], v[2:3], v[10:11], -v[12:13]
	scratch_load_b128 v[10:13], off, off offset:464
	ds_load_b128 v[2:5], v1 offset:1168
	s_waitcnt vmcnt(10)
	v_mul_f64 v[221:222], v[215:216], v[16:17]
	v_mul_f64 v[16:17], v[217:218], v[16:17]
	v_add_f64 v[156:157], v[156:157], v[152:153]
	v_add_f64 v[219:220], v[219:220], v[154:155]
	ds_load_b128 v[152:155], v1 offset:1184
	s_waitcnt vmcnt(9) lgkmcnt(1)
	v_mul_f64 v[227:228], v[2:3], v[20:21]
	v_mul_f64 v[20:21], v[4:5], v[20:21]
	v_fma_f64 v[217:218], v[217:218], v[14:15], v[221:222]
	v_fma_f64 v[215:216], v[215:216], v[14:15], -v[16:17]
	scratch_load_b128 v[14:17], off, off offset:480
	v_add_f64 v[156:157], v[156:157], v[225:226]
	v_add_f64 v[219:220], v[219:220], v[223:224]
	v_fma_f64 v[223:224], v[4:5], v[18:19], v[227:228]
	v_fma_f64 v[225:226], v[2:3], v[18:19], -v[20:21]
	scratch_load_b128 v[18:21], off, off offset:496
	ds_load_b128 v[2:5], v1 offset:1200
	s_waitcnt vmcnt(10) lgkmcnt(1)
	v_mul_f64 v[221:222], v[152:153], v[24:25]
	v_mul_f64 v[24:25], v[154:155], v[24:25]
	s_waitcnt vmcnt(9) lgkmcnt(0)
	v_mul_f64 v[227:228], v[2:3], v[28:29]
	v_mul_f64 v[28:29], v[4:5], v[28:29]
	v_add_f64 v[156:157], v[156:157], v[215:216]
	v_add_f64 v[219:220], v[219:220], v[217:218]
	ds_load_b128 v[215:218], v1 offset:1216
	v_fma_f64 v[154:155], v[154:155], v[22:23], v[221:222]
	v_fma_f64 v[152:153], v[152:153], v[22:23], -v[24:25]
	scratch_load_b128 v[22:25], off, off offset:512
	v_add_f64 v[156:157], v[156:157], v[225:226]
	v_add_f64 v[219:220], v[219:220], v[223:224]
	v_fma_f64 v[223:224], v[4:5], v[26:27], v[227:228]
	v_fma_f64 v[225:226], v[2:3], v[26:27], -v[28:29]
	scratch_load_b128 v[26:29], off, off offset:528
	ds_load_b128 v[2:5], v1 offset:1232
	s_waitcnt vmcnt(10) lgkmcnt(1)
	v_mul_f64 v[221:222], v[215:216], v[32:33]
	v_mul_f64 v[32:33], v[217:218], v[32:33]
	s_waitcnt vmcnt(9) lgkmcnt(0)
	v_mul_f64 v[227:228], v[2:3], v[36:37]
	v_mul_f64 v[36:37], v[4:5], v[36:37]
	v_add_f64 v[156:157], v[156:157], v[152:153]
	v_add_f64 v[219:220], v[219:220], v[154:155]
	ds_load_b128 v[152:155], v1 offset:1248
	v_fma_f64 v[217:218], v[217:218], v[30:31], v[221:222]
	v_fma_f64 v[215:216], v[215:216], v[30:31], -v[32:33]
	scratch_load_b128 v[30:33], off, off offset:544
	v_add_f64 v[156:157], v[156:157], v[225:226]
	v_add_f64 v[219:220], v[219:220], v[223:224]
	v_fma_f64 v[223:224], v[4:5], v[34:35], v[227:228]
	v_fma_f64 v[225:226], v[2:3], v[34:35], -v[36:37]
	scratch_load_b128 v[34:37], off, off offset:560
	ds_load_b128 v[2:5], v1 offset:1264
	s_waitcnt vmcnt(9) lgkmcnt(1)
	v_mul_f64 v[221:222], v[152:153], v[165:166]
	v_mul_f64 v[165:166], v[154:155], v[165:166]
	v_add_f64 v[156:157], v[156:157], v[215:216]
	v_add_f64 v[219:220], v[219:220], v[217:218]
	ds_load_b128 v[215:218], v1 offset:1280
	v_fma_f64 v[221:222], v[154:155], v[163:164], v[221:222]
	v_fma_f64 v[163:164], v[152:153], v[163:164], -v[165:166]
	scratch_load_b128 v[152:155], off, off offset:576
	s_waitcnt vmcnt(9) lgkmcnt(1)
	v_mul_f64 v[227:228], v[2:3], v[40:41]
	v_mul_f64 v[40:41], v[4:5], v[40:41]
	v_add_f64 v[156:157], v[156:157], v[225:226]
	v_add_f64 v[165:166], v[219:220], v[223:224]
	s_delay_alu instid0(VALU_DEP_4) | instskip(NEXT) | instid1(VALU_DEP_4)
	v_fma_f64 v[223:224], v[4:5], v[38:39], v[227:228]
	v_fma_f64 v[225:226], v[2:3], v[38:39], -v[40:41]
	scratch_load_b128 v[38:41], off, off offset:592
	ds_load_b128 v[2:5], v1 offset:1296
	s_waitcnt vmcnt(9) lgkmcnt(1)
	v_mul_f64 v[219:220], v[215:216], v[8:9]
	v_mul_f64 v[8:9], v[217:218], v[8:9]
	v_add_f64 v[156:157], v[156:157], v[163:164]
	v_add_f64 v[221:222], v[165:166], v[221:222]
	s_waitcnt vmcnt(8) lgkmcnt(0)
	v_mul_f64 v[227:228], v[2:3], v[12:13]
	v_mul_f64 v[12:13], v[4:5], v[12:13]
	ds_load_b128 v[163:166], v1 offset:1312
	v_fma_f64 v[217:218], v[217:218], v[6:7], v[219:220]
	v_fma_f64 v[215:216], v[215:216], v[6:7], -v[8:9]
	scratch_load_b128 v[6:9], off, off offset:608
	v_add_f64 v[156:157], v[156:157], v[225:226]
	v_add_f64 v[219:220], v[221:222], v[223:224]
	v_fma_f64 v[223:224], v[4:5], v[10:11], v[227:228]
	v_fma_f64 v[225:226], v[2:3], v[10:11], -v[12:13]
	scratch_load_b128 v[10:13], off, off offset:624
	ds_load_b128 v[2:5], v1 offset:1328
	s_waitcnt vmcnt(9) lgkmcnt(1)
	v_mul_f64 v[221:222], v[163:164], v[16:17]
	v_mul_f64 v[16:17], v[165:166], v[16:17]
	s_waitcnt vmcnt(8) lgkmcnt(0)
	v_mul_f64 v[227:228], v[2:3], v[20:21]
	v_mul_f64 v[20:21], v[4:5], v[20:21]
	v_add_f64 v[156:157], v[156:157], v[215:216]
	v_add_f64 v[219:220], v[219:220], v[217:218]
	ds_load_b128 v[215:218], v1 offset:1344
	v_fma_f64 v[165:166], v[165:166], v[14:15], v[221:222]
	v_fma_f64 v[163:164], v[163:164], v[14:15], -v[16:17]
	scratch_load_b128 v[14:17], off, off offset:640
	v_add_f64 v[156:157], v[156:157], v[225:226]
	v_add_f64 v[219:220], v[219:220], v[223:224]
	v_fma_f64 v[223:224], v[4:5], v[18:19], v[227:228]
	v_fma_f64 v[225:226], v[2:3], v[18:19], -v[20:21]
	scratch_load_b128 v[18:21], off, off offset:656
	ds_load_b128 v[2:5], v1 offset:1360
	s_waitcnt vmcnt(9) lgkmcnt(1)
	v_mul_f64 v[221:222], v[215:216], v[24:25]
	v_mul_f64 v[24:25], v[217:218], v[24:25]
	s_waitcnt vmcnt(8) lgkmcnt(0)
	v_mul_f64 v[227:228], v[2:3], v[28:29]
	v_mul_f64 v[28:29], v[4:5], v[28:29]
	v_add_f64 v[156:157], v[156:157], v[163:164]
	v_add_f64 v[219:220], v[219:220], v[165:166]
	;; [unrolled: 18-line block ×3, first 2 shown]
	ds_load_b128 v[215:218], v1 offset:1408
	v_fma_f64 v[165:166], v[165:166], v[30:31], v[221:222]
	v_fma_f64 v[163:164], v[163:164], v[30:31], -v[32:33]
	scratch_load_b128 v[30:33], off, off offset:704
	v_add_f64 v[156:157], v[156:157], v[225:226]
	v_add_f64 v[219:220], v[219:220], v[223:224]
	v_fma_f64 v[225:226], v[4:5], v[34:35], v[227:228]
	v_fma_f64 v[227:228], v[2:3], v[34:35], -v[36:37]
	scratch_load_b128 v[34:37], off, off offset:720
	ds_load_b128 v[2:5], v1 offset:1424
	s_waitcnt vmcnt(9) lgkmcnt(1)
	v_mul_f64 v[221:222], v[215:216], v[154:155]
	v_mul_f64 v[223:224], v[217:218], v[154:155]
	v_add_f64 v[163:164], v[156:157], v[163:164]
	v_add_f64 v[165:166], v[219:220], v[165:166]
	s_waitcnt vmcnt(8) lgkmcnt(0)
	v_mul_f64 v[219:220], v[2:3], v[40:41]
	v_mul_f64 v[40:41], v[4:5], v[40:41]
	ds_load_b128 v[154:157], v1 offset:1440
	v_fma_f64 v[217:218], v[217:218], v[152:153], v[221:222]
	v_fma_f64 v[152:153], v[215:216], v[152:153], -v[223:224]
	v_add_f64 v[215:216], v[163:164], v[227:228]
	v_add_f64 v[221:222], v[165:166], v[225:226]
	scratch_load_b128 v[163:166], off, off offset:736
	v_fma_f64 v[219:220], v[4:5], v[38:39], v[219:220]
	v_fma_f64 v[225:226], v[2:3], v[38:39], -v[40:41]
	scratch_load_b128 v[38:41], off, off offset:752
	ds_load_b128 v[2:5], v1 offset:1456
	s_waitcnt vmcnt(9) lgkmcnt(1)
	v_mul_f64 v[223:224], v[154:155], v[8:9]
	v_mul_f64 v[8:9], v[156:157], v[8:9]
	s_waitcnt vmcnt(8) lgkmcnt(0)
	v_mul_f64 v[227:228], v[2:3], v[12:13]
	v_mul_f64 v[12:13], v[4:5], v[12:13]
	v_add_f64 v[152:153], v[215:216], v[152:153]
	v_add_f64 v[221:222], v[221:222], v[217:218]
	ds_load_b128 v[215:218], v1 offset:1472
	v_fma_f64 v[156:157], v[156:157], v[6:7], v[223:224]
	v_fma_f64 v[154:155], v[154:155], v[6:7], -v[8:9]
	scratch_load_b128 v[6:9], off, off offset:768
	v_fma_f64 v[223:224], v[4:5], v[10:11], v[227:228]
	v_add_f64 v[152:153], v[152:153], v[225:226]
	v_add_f64 v[219:220], v[221:222], v[219:220]
	v_fma_f64 v[225:226], v[2:3], v[10:11], -v[12:13]
	scratch_load_b128 v[10:13], off, off offset:784
	ds_load_b128 v[2:5], v1 offset:1488
	s_waitcnt vmcnt(9) lgkmcnt(1)
	v_mul_f64 v[221:222], v[215:216], v[16:17]
	v_mul_f64 v[16:17], v[217:218], v[16:17]
	v_add_f64 v[227:228], v[152:153], v[154:155]
	v_add_f64 v[156:157], v[219:220], v[156:157]
	s_waitcnt vmcnt(8) lgkmcnt(0)
	v_mul_f64 v[219:220], v[2:3], v[20:21]
	v_mul_f64 v[20:21], v[4:5], v[20:21]
	ds_load_b128 v[152:155], v1 offset:1504
	v_fma_f64 v[217:218], v[217:218], v[14:15], v[221:222]
	v_fma_f64 v[215:216], v[215:216], v[14:15], -v[16:17]
	scratch_load_b128 v[14:17], off, off offset:800
	v_add_f64 v[221:222], v[227:228], v[225:226]
	v_add_f64 v[156:157], v[156:157], v[223:224]
	v_fma_f64 v[219:220], v[4:5], v[18:19], v[219:220]
	v_fma_f64 v[225:226], v[2:3], v[18:19], -v[20:21]
	scratch_load_b128 v[18:21], off, off offset:816
	ds_load_b128 v[2:5], v1 offset:1520
	s_waitcnt vmcnt(9) lgkmcnt(1)
	v_mul_f64 v[223:224], v[152:153], v[24:25]
	v_mul_f64 v[24:25], v[154:155], v[24:25]
	s_waitcnt vmcnt(8) lgkmcnt(0)
	v_mul_f64 v[227:228], v[2:3], v[28:29]
	v_mul_f64 v[28:29], v[4:5], v[28:29]
	v_add_f64 v[221:222], v[221:222], v[215:216]
	v_add_f64 v[156:157], v[156:157], v[217:218]
	ds_load_b128 v[215:218], v1 offset:1536
	v_fma_f64 v[154:155], v[154:155], v[22:23], v[223:224]
	v_fma_f64 v[22:23], v[152:153], v[22:23], -v[24:25]
	v_add_f64 v[24:25], v[221:222], v[225:226]
	v_add_f64 v[152:153], v[156:157], v[219:220]
	s_waitcnt vmcnt(7) lgkmcnt(0)
	v_mul_f64 v[156:157], v[215:216], v[32:33]
	v_mul_f64 v[32:33], v[217:218], v[32:33]
	v_fma_f64 v[219:220], v[4:5], v[26:27], v[227:228]
	v_fma_f64 v[26:27], v[2:3], v[26:27], -v[28:29]
	v_add_f64 v[28:29], v[24:25], v[22:23]
	v_add_f64 v[152:153], v[152:153], v[154:155]
	ds_load_b128 v[2:5], v1 offset:1552
	ds_load_b128 v[22:25], v1 offset:1568
	v_fma_f64 v[156:157], v[217:218], v[30:31], v[156:157]
	v_fma_f64 v[30:31], v[215:216], v[30:31], -v[32:33]
	s_waitcnt vmcnt(6) lgkmcnt(1)
	v_mul_f64 v[154:155], v[2:3], v[36:37]
	v_mul_f64 v[36:37], v[4:5], v[36:37]
	v_add_f64 v[26:27], v[28:29], v[26:27]
	v_add_f64 v[28:29], v[152:153], v[219:220]
	s_waitcnt vmcnt(5) lgkmcnt(0)
	v_mul_f64 v[32:33], v[22:23], v[165:166]
	v_mul_f64 v[152:153], v[24:25], v[165:166]
	v_fma_f64 v[154:155], v[4:5], v[34:35], v[154:155]
	v_fma_f64 v[34:35], v[2:3], v[34:35], -v[36:37]
	v_add_f64 v[30:31], v[26:27], v[30:31]
	v_add_f64 v[36:37], v[28:29], v[156:157]
	ds_load_b128 v[2:5], v1 offset:1584
	ds_load_b128 v[26:29], v1 offset:1600
	v_fma_f64 v[24:25], v[24:25], v[163:164], v[32:33]
	v_fma_f64 v[22:23], v[22:23], v[163:164], -v[152:153]
	s_waitcnt vmcnt(4) lgkmcnt(1)
	v_mul_f64 v[156:157], v[2:3], v[40:41]
	v_mul_f64 v[40:41], v[4:5], v[40:41]
	;; [unrolled: 16-line block ×3, first 2 shown]
	v_add_f64 v[8:9], v[30:31], v[38:39]
	v_add_f64 v[26:27], v[32:33], v[36:37]
	s_waitcnt vmcnt(1) lgkmcnt(0)
	v_mul_f64 v[30:31], v[22:23], v[16:17]
	v_mul_f64 v[16:17], v[24:25], v[16:17]
	v_fma_f64 v[32:33], v[4:5], v[10:11], v[40:41]
	v_fma_f64 v[10:11], v[2:3], v[10:11], -v[12:13]
	ds_load_b128 v[2:5], v1 offset:1648
	v_add_f64 v[6:7], v[8:9], v[6:7]
	v_add_f64 v[8:9], v[26:27], v[28:29]
	v_fma_f64 v[24:25], v[24:25], v[14:15], v[30:31]
	v_fma_f64 v[14:15], v[22:23], v[14:15], -v[16:17]
	s_waitcnt vmcnt(0) lgkmcnt(0)
	v_mul_f64 v[12:13], v[2:3], v[20:21]
	v_mul_f64 v[20:21], v[4:5], v[20:21]
	v_add_f64 v[6:7], v[6:7], v[10:11]
	v_add_f64 v[8:9], v[8:9], v[32:33]
	s_delay_alu instid0(VALU_DEP_4) | instskip(NEXT) | instid1(VALU_DEP_4)
	v_fma_f64 v[4:5], v[4:5], v[18:19], v[12:13]
	v_fma_f64 v[2:3], v[2:3], v[18:19], -v[20:21]
	s_delay_alu instid0(VALU_DEP_4) | instskip(NEXT) | instid1(VALU_DEP_4)
	v_add_f64 v[6:7], v[6:7], v[14:15]
	v_add_f64 v[8:9], v[8:9], v[24:25]
	s_delay_alu instid0(VALU_DEP_2) | instskip(NEXT) | instid1(VALU_DEP_2)
	v_add_f64 v[2:3], v[6:7], v[2:3]
	v_add_f64 v[4:5], v[8:9], v[4:5]
	s_delay_alu instid0(VALU_DEP_2) | instskip(NEXT) | instid1(VALU_DEP_2)
	v_add_f64 v[2:3], v[42:43], -v[2:3]
	v_add_f64 v[4:5], v[44:45], -v[4:5]
	scratch_store_b128 off, v[2:5], off offset:256
	v_cmpx_lt_u32_e32 15, v150
	s_cbranch_execz .LBB51_295
; %bb.294:
	scratch_load_b128 v[5:8], v187, off
	v_mov_b32_e32 v2, v1
	v_mov_b32_e32 v3, v1
	;; [unrolled: 1-line block ×3, first 2 shown]
	scratch_store_b128 off, v[1:4], off offset:240
	s_waitcnt vmcnt(0)
	ds_store_b128 v202, v[5:8]
.LBB51_295:
	s_or_b32 exec_lo, exec_lo, s2
	s_waitcnt lgkmcnt(0)
	s_waitcnt_vscnt null, 0x0
	s_barrier
	buffer_gl0_inv
	s_clause 0x8
	scratch_load_b128 v[2:5], off, off offset:256
	scratch_load_b128 v[6:9], off, off offset:272
	;; [unrolled: 1-line block ×9, first 2 shown]
	ds_load_b128 v[42:45], v1 offset:1088
	ds_load_b128 v[38:41], v1 offset:1104
	s_clause 0x1
	scratch_load_b128 v[152:155], off, off offset:240
	scratch_load_b128 v[163:166], off, off offset:400
	s_mov_b32 s2, exec_lo
	ds_load_b128 v[215:218], v1 offset:1136
	s_waitcnt vmcnt(10) lgkmcnt(2)
	v_mul_f64 v[156:157], v[44:45], v[4:5]
	v_mul_f64 v[4:5], v[42:43], v[4:5]
	s_waitcnt vmcnt(9) lgkmcnt(1)
	v_mul_f64 v[219:220], v[38:39], v[8:9]
	v_mul_f64 v[8:9], v[40:41], v[8:9]
	s_delay_alu instid0(VALU_DEP_4) | instskip(NEXT) | instid1(VALU_DEP_4)
	v_fma_f64 v[156:157], v[42:43], v[2:3], -v[156:157]
	v_fma_f64 v[221:222], v[44:45], v[2:3], v[4:5]
	ds_load_b128 v[2:5], v1 offset:1120
	scratch_load_b128 v[42:45], off, off offset:416
	v_fma_f64 v[40:41], v[40:41], v[6:7], v[219:220]
	v_fma_f64 v[38:39], v[38:39], v[6:7], -v[8:9]
	scratch_load_b128 v[6:9], off, off offset:432
	s_waitcnt vmcnt(10) lgkmcnt(0)
	v_mul_f64 v[223:224], v[2:3], v[12:13]
	v_mul_f64 v[12:13], v[4:5], v[12:13]
	v_add_f64 v[156:157], v[156:157], 0
	v_add_f64 v[219:220], v[221:222], 0
	s_waitcnt vmcnt(9)
	v_mul_f64 v[221:222], v[215:216], v[16:17]
	v_mul_f64 v[16:17], v[217:218], v[16:17]
	v_fma_f64 v[223:224], v[4:5], v[10:11], v[223:224]
	v_fma_f64 v[225:226], v[2:3], v[10:11], -v[12:13]
	ds_load_b128 v[2:5], v1 offset:1152
	scratch_load_b128 v[10:13], off, off offset:448
	v_add_f64 v[156:157], v[156:157], v[38:39]
	v_add_f64 v[219:220], v[219:220], v[40:41]
	ds_load_b128 v[38:41], v1 offset:1168
	v_fma_f64 v[217:218], v[217:218], v[14:15], v[221:222]
	v_fma_f64 v[215:216], v[215:216], v[14:15], -v[16:17]
	scratch_load_b128 v[14:17], off, off offset:464
	s_waitcnt vmcnt(10) lgkmcnt(1)
	v_mul_f64 v[227:228], v[2:3], v[20:21]
	v_mul_f64 v[20:21], v[4:5], v[20:21]
	s_waitcnt vmcnt(9) lgkmcnt(0)
	v_mul_f64 v[221:222], v[38:39], v[24:25]
	v_mul_f64 v[24:25], v[40:41], v[24:25]
	v_add_f64 v[156:157], v[156:157], v[225:226]
	v_add_f64 v[219:220], v[219:220], v[223:224]
	v_fma_f64 v[223:224], v[4:5], v[18:19], v[227:228]
	v_fma_f64 v[225:226], v[2:3], v[18:19], -v[20:21]
	ds_load_b128 v[2:5], v1 offset:1184
	scratch_load_b128 v[18:21], off, off offset:480
	v_fma_f64 v[40:41], v[40:41], v[22:23], v[221:222]
	v_fma_f64 v[38:39], v[38:39], v[22:23], -v[24:25]
	scratch_load_b128 v[22:25], off, off offset:496
	v_add_f64 v[156:157], v[156:157], v[215:216]
	v_add_f64 v[219:220], v[219:220], v[217:218]
	ds_load_b128 v[215:218], v1 offset:1200
	s_waitcnt vmcnt(10) lgkmcnt(1)
	v_mul_f64 v[227:228], v[2:3], v[28:29]
	v_mul_f64 v[28:29], v[4:5], v[28:29]
	s_waitcnt vmcnt(9) lgkmcnt(0)
	v_mul_f64 v[221:222], v[215:216], v[32:33]
	v_mul_f64 v[32:33], v[217:218], v[32:33]
	v_add_f64 v[156:157], v[156:157], v[225:226]
	v_add_f64 v[219:220], v[219:220], v[223:224]
	v_fma_f64 v[223:224], v[4:5], v[26:27], v[227:228]
	v_fma_f64 v[225:226], v[2:3], v[26:27], -v[28:29]
	ds_load_b128 v[2:5], v1 offset:1216
	scratch_load_b128 v[26:29], off, off offset:512
	v_fma_f64 v[217:218], v[217:218], v[30:31], v[221:222]
	v_fma_f64 v[215:216], v[215:216], v[30:31], -v[32:33]
	scratch_load_b128 v[30:33], off, off offset:528
	v_add_f64 v[156:157], v[156:157], v[38:39]
	v_add_f64 v[219:220], v[219:220], v[40:41]
	ds_load_b128 v[38:41], v1 offset:1232
	;; [unrolled: 18-line block ×3, first 2 shown]
	s_waitcnt vmcnt(9) lgkmcnt(1)
	v_mul_f64 v[227:228], v[2:3], v[44:45]
	v_mul_f64 v[44:45], v[4:5], v[44:45]
	v_add_f64 v[156:157], v[156:157], v[225:226]
	v_add_f64 v[165:166], v[219:220], v[223:224]
	s_waitcnt vmcnt(8) lgkmcnt(0)
	v_mul_f64 v[219:220], v[215:216], v[8:9]
	v_mul_f64 v[8:9], v[217:218], v[8:9]
	v_fma_f64 v[223:224], v[4:5], v[42:43], v[227:228]
	v_fma_f64 v[225:226], v[2:3], v[42:43], -v[44:45]
	ds_load_b128 v[2:5], v1 offset:1280
	scratch_load_b128 v[42:45], off, off offset:576
	v_add_f64 v[156:157], v[156:157], v[163:164]
	v_add_f64 v[221:222], v[165:166], v[221:222]
	ds_load_b128 v[163:166], v1 offset:1296
	s_waitcnt vmcnt(8) lgkmcnt(1)
	v_mul_f64 v[227:228], v[2:3], v[12:13]
	v_mul_f64 v[12:13], v[4:5], v[12:13]
	v_fma_f64 v[217:218], v[217:218], v[6:7], v[219:220]
	v_fma_f64 v[215:216], v[215:216], v[6:7], -v[8:9]
	scratch_load_b128 v[6:9], off, off offset:592
	v_add_f64 v[156:157], v[156:157], v[225:226]
	v_add_f64 v[219:220], v[221:222], v[223:224]
	s_waitcnt vmcnt(8) lgkmcnt(0)
	v_mul_f64 v[221:222], v[163:164], v[16:17]
	v_mul_f64 v[16:17], v[165:166], v[16:17]
	v_fma_f64 v[223:224], v[4:5], v[10:11], v[227:228]
	v_fma_f64 v[225:226], v[2:3], v[10:11], -v[12:13]
	ds_load_b128 v[2:5], v1 offset:1312
	scratch_load_b128 v[10:13], off, off offset:608
	v_add_f64 v[156:157], v[156:157], v[215:216]
	v_add_f64 v[219:220], v[219:220], v[217:218]
	ds_load_b128 v[215:218], v1 offset:1328
	s_waitcnt vmcnt(8) lgkmcnt(1)
	v_mul_f64 v[227:228], v[2:3], v[20:21]
	v_mul_f64 v[20:21], v[4:5], v[20:21]
	v_fma_f64 v[165:166], v[165:166], v[14:15], v[221:222]
	v_fma_f64 v[163:164], v[163:164], v[14:15], -v[16:17]
	scratch_load_b128 v[14:17], off, off offset:624
	s_waitcnt vmcnt(8) lgkmcnt(0)
	v_mul_f64 v[221:222], v[215:216], v[24:25]
	v_mul_f64 v[24:25], v[217:218], v[24:25]
	v_add_f64 v[156:157], v[156:157], v[225:226]
	v_add_f64 v[219:220], v[219:220], v[223:224]
	v_fma_f64 v[223:224], v[4:5], v[18:19], v[227:228]
	v_fma_f64 v[225:226], v[2:3], v[18:19], -v[20:21]
	ds_load_b128 v[2:5], v1 offset:1344
	scratch_load_b128 v[18:21], off, off offset:640
	v_fma_f64 v[217:218], v[217:218], v[22:23], v[221:222]
	v_fma_f64 v[215:216], v[215:216], v[22:23], -v[24:25]
	scratch_load_b128 v[22:25], off, off offset:656
	v_add_f64 v[156:157], v[156:157], v[163:164]
	v_add_f64 v[219:220], v[219:220], v[165:166]
	ds_load_b128 v[163:166], v1 offset:1360
	s_waitcnt vmcnt(9) lgkmcnt(1)
	v_mul_f64 v[227:228], v[2:3], v[28:29]
	v_mul_f64 v[28:29], v[4:5], v[28:29]
	s_waitcnt vmcnt(8) lgkmcnt(0)
	v_mul_f64 v[221:222], v[163:164], v[32:33]
	v_mul_f64 v[32:33], v[165:166], v[32:33]
	v_add_f64 v[156:157], v[156:157], v[225:226]
	v_add_f64 v[219:220], v[219:220], v[223:224]
	v_fma_f64 v[223:224], v[4:5], v[26:27], v[227:228]
	v_fma_f64 v[225:226], v[2:3], v[26:27], -v[28:29]
	ds_load_b128 v[2:5], v1 offset:1376
	scratch_load_b128 v[26:29], off, off offset:672
	v_fma_f64 v[165:166], v[165:166], v[30:31], v[221:222]
	v_fma_f64 v[163:164], v[163:164], v[30:31], -v[32:33]
	scratch_load_b128 v[30:33], off, off offset:688
	v_add_f64 v[156:157], v[156:157], v[215:216]
	v_add_f64 v[219:220], v[219:220], v[217:218]
	ds_load_b128 v[215:218], v1 offset:1392
	s_waitcnt vmcnt(9) lgkmcnt(1)
	v_mul_f64 v[227:228], v[2:3], v[36:37]
	v_mul_f64 v[36:37], v[4:5], v[36:37]
	s_waitcnt vmcnt(8) lgkmcnt(0)
	v_mul_f64 v[221:222], v[215:216], v[40:41]
	v_mul_f64 v[40:41], v[217:218], v[40:41]
	v_add_f64 v[156:157], v[156:157], v[225:226]
	v_add_f64 v[219:220], v[219:220], v[223:224]
	v_fma_f64 v[223:224], v[4:5], v[34:35], v[227:228]
	v_fma_f64 v[225:226], v[2:3], v[34:35], -v[36:37]
	ds_load_b128 v[2:5], v1 offset:1408
	scratch_load_b128 v[34:37], off, off offset:704
	v_fma_f64 v[217:218], v[217:218], v[38:39], v[221:222]
	v_fma_f64 v[215:216], v[215:216], v[38:39], -v[40:41]
	scratch_load_b128 v[38:41], off, off offset:720
	v_add_f64 v[156:157], v[156:157], v[163:164]
	v_add_f64 v[219:220], v[219:220], v[165:166]
	ds_load_b128 v[163:166], v1 offset:1424
	s_waitcnt vmcnt(9) lgkmcnt(1)
	v_mul_f64 v[227:228], v[2:3], v[44:45]
	v_mul_f64 v[44:45], v[4:5], v[44:45]
	s_waitcnt vmcnt(8) lgkmcnt(0)
	v_mul_f64 v[221:222], v[163:164], v[8:9]
	v_mul_f64 v[8:9], v[165:166], v[8:9]
	v_add_f64 v[156:157], v[156:157], v[225:226]
	v_add_f64 v[219:220], v[219:220], v[223:224]
	v_fma_f64 v[223:224], v[4:5], v[42:43], v[227:228]
	v_fma_f64 v[225:226], v[2:3], v[42:43], -v[44:45]
	ds_load_b128 v[2:5], v1 offset:1440
	scratch_load_b128 v[42:45], off, off offset:736
	v_fma_f64 v[165:166], v[165:166], v[6:7], v[221:222]
	v_fma_f64 v[163:164], v[163:164], v[6:7], -v[8:9]
	scratch_load_b128 v[6:9], off, off offset:752
	v_add_f64 v[156:157], v[156:157], v[215:216]
	v_add_f64 v[219:220], v[219:220], v[217:218]
	ds_load_b128 v[215:218], v1 offset:1456
	s_waitcnt vmcnt(9) lgkmcnt(1)
	v_mul_f64 v[227:228], v[2:3], v[12:13]
	v_mul_f64 v[12:13], v[4:5], v[12:13]
	s_waitcnt vmcnt(8) lgkmcnt(0)
	v_mul_f64 v[221:222], v[215:216], v[16:17]
	v_mul_f64 v[16:17], v[217:218], v[16:17]
	v_add_f64 v[156:157], v[156:157], v[225:226]
	v_add_f64 v[219:220], v[219:220], v[223:224]
	v_fma_f64 v[223:224], v[4:5], v[10:11], v[227:228]
	v_fma_f64 v[225:226], v[2:3], v[10:11], -v[12:13]
	ds_load_b128 v[2:5], v1 offset:1472
	scratch_load_b128 v[10:13], off, off offset:768
	v_fma_f64 v[217:218], v[217:218], v[14:15], v[221:222]
	v_fma_f64 v[215:216], v[215:216], v[14:15], -v[16:17]
	scratch_load_b128 v[14:17], off, off offset:784
	v_add_f64 v[156:157], v[156:157], v[163:164]
	v_add_f64 v[219:220], v[219:220], v[165:166]
	ds_load_b128 v[163:166], v1 offset:1488
	s_waitcnt vmcnt(9) lgkmcnt(1)
	v_mul_f64 v[227:228], v[2:3], v[20:21]
	v_mul_f64 v[20:21], v[4:5], v[20:21]
	s_waitcnt vmcnt(8) lgkmcnt(0)
	v_mul_f64 v[221:222], v[163:164], v[24:25]
	v_mul_f64 v[24:25], v[165:166], v[24:25]
	v_add_f64 v[156:157], v[156:157], v[225:226]
	v_add_f64 v[219:220], v[219:220], v[223:224]
	v_fma_f64 v[223:224], v[4:5], v[18:19], v[227:228]
	v_fma_f64 v[225:226], v[2:3], v[18:19], -v[20:21]
	ds_load_b128 v[2:5], v1 offset:1504
	scratch_load_b128 v[18:21], off, off offset:800
	v_fma_f64 v[165:166], v[165:166], v[22:23], v[221:222]
	v_fma_f64 v[163:164], v[163:164], v[22:23], -v[24:25]
	scratch_load_b128 v[22:25], off, off offset:816
	v_add_f64 v[156:157], v[156:157], v[215:216]
	v_add_f64 v[219:220], v[219:220], v[217:218]
	ds_load_b128 v[215:218], v1 offset:1520
	s_waitcnt vmcnt(9) lgkmcnt(1)
	v_mul_f64 v[227:228], v[2:3], v[28:29]
	v_mul_f64 v[28:29], v[4:5], v[28:29]
	s_waitcnt vmcnt(8) lgkmcnt(0)
	v_mul_f64 v[221:222], v[215:216], v[32:33]
	v_mul_f64 v[32:33], v[217:218], v[32:33]
	v_add_f64 v[156:157], v[156:157], v[225:226]
	v_add_f64 v[219:220], v[219:220], v[223:224]
	v_fma_f64 v[223:224], v[4:5], v[26:27], v[227:228]
	v_fma_f64 v[225:226], v[2:3], v[26:27], -v[28:29]
	ds_load_b128 v[2:5], v1 offset:1536
	ds_load_b128 v[26:29], v1 offset:1552
	v_fma_f64 v[217:218], v[217:218], v[30:31], v[221:222]
	v_fma_f64 v[30:31], v[215:216], v[30:31], -v[32:33]
	v_add_f64 v[156:157], v[156:157], v[163:164]
	v_add_f64 v[163:164], v[219:220], v[165:166]
	s_waitcnt vmcnt(7) lgkmcnt(1)
	v_mul_f64 v[165:166], v[2:3], v[36:37]
	v_mul_f64 v[36:37], v[4:5], v[36:37]
	s_delay_alu instid0(VALU_DEP_4) | instskip(NEXT) | instid1(VALU_DEP_4)
	v_add_f64 v[32:33], v[156:157], v[225:226]
	v_add_f64 v[156:157], v[163:164], v[223:224]
	s_waitcnt vmcnt(6) lgkmcnt(0)
	v_mul_f64 v[163:164], v[26:27], v[40:41]
	v_mul_f64 v[40:41], v[28:29], v[40:41]
	v_fma_f64 v[165:166], v[4:5], v[34:35], v[165:166]
	v_fma_f64 v[34:35], v[2:3], v[34:35], -v[36:37]
	v_add_f64 v[36:37], v[32:33], v[30:31]
	v_add_f64 v[156:157], v[156:157], v[217:218]
	ds_load_b128 v[2:5], v1 offset:1568
	ds_load_b128 v[30:33], v1 offset:1584
	v_fma_f64 v[28:29], v[28:29], v[38:39], v[163:164]
	v_fma_f64 v[26:27], v[26:27], v[38:39], -v[40:41]
	s_waitcnt vmcnt(5) lgkmcnt(1)
	v_mul_f64 v[215:216], v[2:3], v[44:45]
	v_mul_f64 v[44:45], v[4:5], v[44:45]
	s_waitcnt vmcnt(4) lgkmcnt(0)
	v_mul_f64 v[38:39], v[30:31], v[8:9]
	v_mul_f64 v[8:9], v[32:33], v[8:9]
	v_add_f64 v[34:35], v[36:37], v[34:35]
	v_add_f64 v[36:37], v[156:157], v[165:166]
	v_fma_f64 v[40:41], v[4:5], v[42:43], v[215:216]
	v_fma_f64 v[42:43], v[2:3], v[42:43], -v[44:45]
	v_fma_f64 v[32:33], v[32:33], v[6:7], v[38:39]
	v_fma_f64 v[6:7], v[30:31], v[6:7], -v[8:9]
	v_add_f64 v[34:35], v[34:35], v[26:27]
	v_add_f64 v[36:37], v[36:37], v[28:29]
	ds_load_b128 v[2:5], v1 offset:1600
	ds_load_b128 v[26:29], v1 offset:1616
	s_waitcnt vmcnt(3) lgkmcnt(1)
	v_mul_f64 v[44:45], v[2:3], v[12:13]
	v_mul_f64 v[12:13], v[4:5], v[12:13]
	v_add_f64 v[8:9], v[34:35], v[42:43]
	v_add_f64 v[30:31], v[36:37], v[40:41]
	s_waitcnt vmcnt(2) lgkmcnt(0)
	v_mul_f64 v[34:35], v[26:27], v[16:17]
	v_mul_f64 v[16:17], v[28:29], v[16:17]
	v_fma_f64 v[36:37], v[4:5], v[10:11], v[44:45]
	v_fma_f64 v[10:11], v[2:3], v[10:11], -v[12:13]
	v_add_f64 v[12:13], v[8:9], v[6:7]
	v_add_f64 v[30:31], v[30:31], v[32:33]
	ds_load_b128 v[2:5], v1 offset:1632
	ds_load_b128 v[6:9], v1 offset:1648
	v_fma_f64 v[28:29], v[28:29], v[14:15], v[34:35]
	v_fma_f64 v[14:15], v[26:27], v[14:15], -v[16:17]
	s_waitcnt vmcnt(1) lgkmcnt(1)
	v_mul_f64 v[32:33], v[2:3], v[20:21]
	v_mul_f64 v[20:21], v[4:5], v[20:21]
	s_waitcnt vmcnt(0) lgkmcnt(0)
	v_mul_f64 v[16:17], v[6:7], v[24:25]
	v_mul_f64 v[24:25], v[8:9], v[24:25]
	v_add_f64 v[10:11], v[12:13], v[10:11]
	v_add_f64 v[12:13], v[30:31], v[36:37]
	v_fma_f64 v[4:5], v[4:5], v[18:19], v[32:33]
	v_fma_f64 v[1:2], v[2:3], v[18:19], -v[20:21]
	v_fma_f64 v[8:9], v[8:9], v[22:23], v[16:17]
	v_fma_f64 v[6:7], v[6:7], v[22:23], -v[24:25]
	v_add_f64 v[10:11], v[10:11], v[14:15]
	v_add_f64 v[12:13], v[12:13], v[28:29]
	s_delay_alu instid0(VALU_DEP_2) | instskip(NEXT) | instid1(VALU_DEP_2)
	v_add_f64 v[1:2], v[10:11], v[1:2]
	v_add_f64 v[3:4], v[12:13], v[4:5]
	s_delay_alu instid0(VALU_DEP_2) | instskip(NEXT) | instid1(VALU_DEP_2)
	;; [unrolled: 3-line block ×3, first 2 shown]
	v_add_f64 v[1:2], v[152:153], -v[1:2]
	v_add_f64 v[3:4], v[154:155], -v[3:4]
	scratch_store_b128 off, v[1:4], off offset:240
	v_cmpx_lt_u32_e32 14, v150
	s_cbranch_execz .LBB51_297
; %bb.296:
	scratch_load_b128 v[1:4], v188, off
	v_mov_b32_e32 v5, 0
	s_delay_alu instid0(VALU_DEP_1)
	v_mov_b32_e32 v6, v5
	v_mov_b32_e32 v7, v5
	;; [unrolled: 1-line block ×3, first 2 shown]
	scratch_store_b128 off, v[5:8], off offset:224
	s_waitcnt vmcnt(0)
	ds_store_b128 v202, v[1:4]
.LBB51_297:
	s_or_b32 exec_lo, exec_lo, s2
	s_waitcnt lgkmcnt(0)
	s_waitcnt_vscnt null, 0x0
	s_barrier
	buffer_gl0_inv
	s_clause 0x7
	scratch_load_b128 v[2:5], off, off offset:240
	scratch_load_b128 v[6:9], off, off offset:256
	;; [unrolled: 1-line block ×8, first 2 shown]
	v_mov_b32_e32 v1, 0
	s_mov_b32 s2, exec_lo
	ds_load_b128 v[38:41], v1 offset:1072
	s_clause 0x1
	scratch_load_b128 v[34:37], off, off offset:368
	scratch_load_b128 v[42:45], off, off offset:224
	ds_load_b128 v[152:155], v1 offset:1088
	scratch_load_b128 v[163:166], off, off offset:384
	ds_load_b128 v[215:218], v1 offset:1120
	s_waitcnt vmcnt(10) lgkmcnt(2)
	v_mul_f64 v[156:157], v[40:41], v[4:5]
	v_mul_f64 v[4:5], v[38:39], v[4:5]
	s_delay_alu instid0(VALU_DEP_2) | instskip(NEXT) | instid1(VALU_DEP_2)
	v_fma_f64 v[156:157], v[38:39], v[2:3], -v[156:157]
	v_fma_f64 v[221:222], v[40:41], v[2:3], v[4:5]
	ds_load_b128 v[2:5], v1 offset:1104
	s_waitcnt vmcnt(9) lgkmcnt(2)
	v_mul_f64 v[219:220], v[152:153], v[8:9]
	v_mul_f64 v[8:9], v[154:155], v[8:9]
	scratch_load_b128 v[38:41], off, off offset:400
	s_waitcnt vmcnt(9) lgkmcnt(0)
	v_mul_f64 v[223:224], v[2:3], v[12:13]
	v_mul_f64 v[12:13], v[4:5], v[12:13]
	v_add_f64 v[156:157], v[156:157], 0
	v_fma_f64 v[154:155], v[154:155], v[6:7], v[219:220]
	v_fma_f64 v[152:153], v[152:153], v[6:7], -v[8:9]
	v_add_f64 v[219:220], v[221:222], 0
	scratch_load_b128 v[6:9], off, off offset:416
	v_fma_f64 v[223:224], v[4:5], v[10:11], v[223:224]
	v_fma_f64 v[225:226], v[2:3], v[10:11], -v[12:13]
	scratch_load_b128 v[10:13], off, off offset:432
	ds_load_b128 v[2:5], v1 offset:1136
	s_waitcnt vmcnt(10)
	v_mul_f64 v[221:222], v[215:216], v[16:17]
	v_mul_f64 v[16:17], v[217:218], v[16:17]
	v_add_f64 v[156:157], v[156:157], v[152:153]
	v_add_f64 v[219:220], v[219:220], v[154:155]
	ds_load_b128 v[152:155], v1 offset:1152
	s_waitcnt vmcnt(9) lgkmcnt(1)
	v_mul_f64 v[227:228], v[2:3], v[20:21]
	v_mul_f64 v[20:21], v[4:5], v[20:21]
	v_fma_f64 v[217:218], v[217:218], v[14:15], v[221:222]
	v_fma_f64 v[215:216], v[215:216], v[14:15], -v[16:17]
	scratch_load_b128 v[14:17], off, off offset:448
	v_add_f64 v[156:157], v[156:157], v[225:226]
	v_add_f64 v[219:220], v[219:220], v[223:224]
	v_fma_f64 v[223:224], v[4:5], v[18:19], v[227:228]
	v_fma_f64 v[225:226], v[2:3], v[18:19], -v[20:21]
	scratch_load_b128 v[18:21], off, off offset:464
	ds_load_b128 v[2:5], v1 offset:1168
	s_waitcnt vmcnt(10) lgkmcnt(1)
	v_mul_f64 v[221:222], v[152:153], v[24:25]
	v_mul_f64 v[24:25], v[154:155], v[24:25]
	s_waitcnt vmcnt(9) lgkmcnt(0)
	v_mul_f64 v[227:228], v[2:3], v[28:29]
	v_mul_f64 v[28:29], v[4:5], v[28:29]
	v_add_f64 v[156:157], v[156:157], v[215:216]
	v_add_f64 v[219:220], v[219:220], v[217:218]
	ds_load_b128 v[215:218], v1 offset:1184
	v_fma_f64 v[154:155], v[154:155], v[22:23], v[221:222]
	v_fma_f64 v[152:153], v[152:153], v[22:23], -v[24:25]
	scratch_load_b128 v[22:25], off, off offset:480
	v_add_f64 v[156:157], v[156:157], v[225:226]
	v_add_f64 v[219:220], v[219:220], v[223:224]
	v_fma_f64 v[223:224], v[4:5], v[26:27], v[227:228]
	v_fma_f64 v[225:226], v[2:3], v[26:27], -v[28:29]
	scratch_load_b128 v[26:29], off, off offset:496
	ds_load_b128 v[2:5], v1 offset:1200
	s_waitcnt vmcnt(10) lgkmcnt(1)
	v_mul_f64 v[221:222], v[215:216], v[32:33]
	v_mul_f64 v[32:33], v[217:218], v[32:33]
	s_waitcnt vmcnt(9) lgkmcnt(0)
	v_mul_f64 v[227:228], v[2:3], v[36:37]
	v_mul_f64 v[36:37], v[4:5], v[36:37]
	v_add_f64 v[156:157], v[156:157], v[152:153]
	v_add_f64 v[219:220], v[219:220], v[154:155]
	ds_load_b128 v[152:155], v1 offset:1216
	v_fma_f64 v[217:218], v[217:218], v[30:31], v[221:222]
	v_fma_f64 v[215:216], v[215:216], v[30:31], -v[32:33]
	scratch_load_b128 v[30:33], off, off offset:512
	v_add_f64 v[156:157], v[156:157], v[225:226]
	v_add_f64 v[219:220], v[219:220], v[223:224]
	v_fma_f64 v[223:224], v[4:5], v[34:35], v[227:228]
	v_fma_f64 v[225:226], v[2:3], v[34:35], -v[36:37]
	scratch_load_b128 v[34:37], off, off offset:528
	ds_load_b128 v[2:5], v1 offset:1232
	s_waitcnt vmcnt(9) lgkmcnt(1)
	v_mul_f64 v[221:222], v[152:153], v[165:166]
	v_mul_f64 v[165:166], v[154:155], v[165:166]
	v_add_f64 v[156:157], v[156:157], v[215:216]
	v_add_f64 v[219:220], v[219:220], v[217:218]
	ds_load_b128 v[215:218], v1 offset:1248
	v_fma_f64 v[221:222], v[154:155], v[163:164], v[221:222]
	v_fma_f64 v[163:164], v[152:153], v[163:164], -v[165:166]
	scratch_load_b128 v[152:155], off, off offset:544
	s_waitcnt vmcnt(9) lgkmcnt(1)
	v_mul_f64 v[227:228], v[2:3], v[40:41]
	v_mul_f64 v[40:41], v[4:5], v[40:41]
	v_add_f64 v[156:157], v[156:157], v[225:226]
	v_add_f64 v[165:166], v[219:220], v[223:224]
	s_delay_alu instid0(VALU_DEP_4) | instskip(NEXT) | instid1(VALU_DEP_4)
	v_fma_f64 v[223:224], v[4:5], v[38:39], v[227:228]
	v_fma_f64 v[225:226], v[2:3], v[38:39], -v[40:41]
	scratch_load_b128 v[38:41], off, off offset:560
	ds_load_b128 v[2:5], v1 offset:1264
	s_waitcnt vmcnt(9) lgkmcnt(1)
	v_mul_f64 v[219:220], v[215:216], v[8:9]
	v_mul_f64 v[8:9], v[217:218], v[8:9]
	v_add_f64 v[156:157], v[156:157], v[163:164]
	v_add_f64 v[221:222], v[165:166], v[221:222]
	s_waitcnt vmcnt(8) lgkmcnt(0)
	v_mul_f64 v[227:228], v[2:3], v[12:13]
	v_mul_f64 v[12:13], v[4:5], v[12:13]
	ds_load_b128 v[163:166], v1 offset:1280
	v_fma_f64 v[217:218], v[217:218], v[6:7], v[219:220]
	v_fma_f64 v[215:216], v[215:216], v[6:7], -v[8:9]
	scratch_load_b128 v[6:9], off, off offset:576
	v_add_f64 v[156:157], v[156:157], v[225:226]
	v_add_f64 v[219:220], v[221:222], v[223:224]
	v_fma_f64 v[223:224], v[4:5], v[10:11], v[227:228]
	v_fma_f64 v[225:226], v[2:3], v[10:11], -v[12:13]
	scratch_load_b128 v[10:13], off, off offset:592
	ds_load_b128 v[2:5], v1 offset:1296
	s_waitcnt vmcnt(9) lgkmcnt(1)
	v_mul_f64 v[221:222], v[163:164], v[16:17]
	v_mul_f64 v[16:17], v[165:166], v[16:17]
	s_waitcnt vmcnt(8) lgkmcnt(0)
	v_mul_f64 v[227:228], v[2:3], v[20:21]
	v_mul_f64 v[20:21], v[4:5], v[20:21]
	v_add_f64 v[156:157], v[156:157], v[215:216]
	v_add_f64 v[219:220], v[219:220], v[217:218]
	ds_load_b128 v[215:218], v1 offset:1312
	v_fma_f64 v[165:166], v[165:166], v[14:15], v[221:222]
	v_fma_f64 v[163:164], v[163:164], v[14:15], -v[16:17]
	scratch_load_b128 v[14:17], off, off offset:608
	v_add_f64 v[156:157], v[156:157], v[225:226]
	v_add_f64 v[219:220], v[219:220], v[223:224]
	v_fma_f64 v[223:224], v[4:5], v[18:19], v[227:228]
	v_fma_f64 v[225:226], v[2:3], v[18:19], -v[20:21]
	scratch_load_b128 v[18:21], off, off offset:624
	ds_load_b128 v[2:5], v1 offset:1328
	s_waitcnt vmcnt(9) lgkmcnt(1)
	v_mul_f64 v[221:222], v[215:216], v[24:25]
	v_mul_f64 v[24:25], v[217:218], v[24:25]
	s_waitcnt vmcnt(8) lgkmcnt(0)
	v_mul_f64 v[227:228], v[2:3], v[28:29]
	v_mul_f64 v[28:29], v[4:5], v[28:29]
	v_add_f64 v[156:157], v[156:157], v[163:164]
	v_add_f64 v[219:220], v[219:220], v[165:166]
	;; [unrolled: 18-line block ×3, first 2 shown]
	ds_load_b128 v[215:218], v1 offset:1376
	v_fma_f64 v[165:166], v[165:166], v[30:31], v[221:222]
	v_fma_f64 v[163:164], v[163:164], v[30:31], -v[32:33]
	scratch_load_b128 v[30:33], off, off offset:672
	v_add_f64 v[156:157], v[156:157], v[225:226]
	v_add_f64 v[219:220], v[219:220], v[223:224]
	v_fma_f64 v[225:226], v[4:5], v[34:35], v[227:228]
	v_fma_f64 v[227:228], v[2:3], v[34:35], -v[36:37]
	scratch_load_b128 v[34:37], off, off offset:688
	ds_load_b128 v[2:5], v1 offset:1392
	s_waitcnt vmcnt(9) lgkmcnt(1)
	v_mul_f64 v[221:222], v[215:216], v[154:155]
	v_mul_f64 v[223:224], v[217:218], v[154:155]
	v_add_f64 v[163:164], v[156:157], v[163:164]
	v_add_f64 v[165:166], v[219:220], v[165:166]
	s_waitcnt vmcnt(8) lgkmcnt(0)
	v_mul_f64 v[219:220], v[2:3], v[40:41]
	v_mul_f64 v[40:41], v[4:5], v[40:41]
	ds_load_b128 v[154:157], v1 offset:1408
	v_fma_f64 v[217:218], v[217:218], v[152:153], v[221:222]
	v_fma_f64 v[152:153], v[215:216], v[152:153], -v[223:224]
	v_add_f64 v[215:216], v[163:164], v[227:228]
	v_add_f64 v[221:222], v[165:166], v[225:226]
	scratch_load_b128 v[163:166], off, off offset:704
	v_fma_f64 v[219:220], v[4:5], v[38:39], v[219:220]
	v_fma_f64 v[225:226], v[2:3], v[38:39], -v[40:41]
	scratch_load_b128 v[38:41], off, off offset:720
	ds_load_b128 v[2:5], v1 offset:1424
	s_waitcnt vmcnt(9) lgkmcnt(1)
	v_mul_f64 v[223:224], v[154:155], v[8:9]
	v_mul_f64 v[8:9], v[156:157], v[8:9]
	s_waitcnt vmcnt(8) lgkmcnt(0)
	v_mul_f64 v[227:228], v[2:3], v[12:13]
	v_mul_f64 v[12:13], v[4:5], v[12:13]
	v_add_f64 v[152:153], v[215:216], v[152:153]
	v_add_f64 v[221:222], v[221:222], v[217:218]
	ds_load_b128 v[215:218], v1 offset:1440
	v_fma_f64 v[156:157], v[156:157], v[6:7], v[223:224]
	v_fma_f64 v[154:155], v[154:155], v[6:7], -v[8:9]
	scratch_load_b128 v[6:9], off, off offset:736
	v_fma_f64 v[223:224], v[4:5], v[10:11], v[227:228]
	v_add_f64 v[152:153], v[152:153], v[225:226]
	v_add_f64 v[219:220], v[221:222], v[219:220]
	v_fma_f64 v[225:226], v[2:3], v[10:11], -v[12:13]
	scratch_load_b128 v[10:13], off, off offset:752
	ds_load_b128 v[2:5], v1 offset:1456
	s_waitcnt vmcnt(9) lgkmcnt(1)
	v_mul_f64 v[221:222], v[215:216], v[16:17]
	v_mul_f64 v[16:17], v[217:218], v[16:17]
	v_add_f64 v[227:228], v[152:153], v[154:155]
	v_add_f64 v[156:157], v[219:220], v[156:157]
	s_waitcnt vmcnt(8) lgkmcnt(0)
	v_mul_f64 v[219:220], v[2:3], v[20:21]
	v_mul_f64 v[20:21], v[4:5], v[20:21]
	ds_load_b128 v[152:155], v1 offset:1472
	v_fma_f64 v[217:218], v[217:218], v[14:15], v[221:222]
	v_fma_f64 v[215:216], v[215:216], v[14:15], -v[16:17]
	scratch_load_b128 v[14:17], off, off offset:768
	v_add_f64 v[221:222], v[227:228], v[225:226]
	v_add_f64 v[156:157], v[156:157], v[223:224]
	v_fma_f64 v[219:220], v[4:5], v[18:19], v[219:220]
	v_fma_f64 v[225:226], v[2:3], v[18:19], -v[20:21]
	scratch_load_b128 v[18:21], off, off offset:784
	ds_load_b128 v[2:5], v1 offset:1488
	s_waitcnt vmcnt(9) lgkmcnt(1)
	v_mul_f64 v[223:224], v[152:153], v[24:25]
	v_mul_f64 v[24:25], v[154:155], v[24:25]
	s_waitcnt vmcnt(8) lgkmcnt(0)
	v_mul_f64 v[227:228], v[2:3], v[28:29]
	v_mul_f64 v[28:29], v[4:5], v[28:29]
	v_add_f64 v[221:222], v[221:222], v[215:216]
	v_add_f64 v[156:157], v[156:157], v[217:218]
	ds_load_b128 v[215:218], v1 offset:1504
	v_fma_f64 v[154:155], v[154:155], v[22:23], v[223:224]
	v_fma_f64 v[152:153], v[152:153], v[22:23], -v[24:25]
	scratch_load_b128 v[22:25], off, off offset:800
	v_fma_f64 v[223:224], v[4:5], v[26:27], v[227:228]
	v_add_f64 v[221:222], v[221:222], v[225:226]
	v_add_f64 v[156:157], v[156:157], v[219:220]
	v_fma_f64 v[225:226], v[2:3], v[26:27], -v[28:29]
	scratch_load_b128 v[26:29], off, off offset:816
	ds_load_b128 v[2:5], v1 offset:1520
	s_waitcnt vmcnt(9) lgkmcnt(1)
	v_mul_f64 v[219:220], v[215:216], v[32:33]
	v_mul_f64 v[32:33], v[217:218], v[32:33]
	s_waitcnt vmcnt(8) lgkmcnt(0)
	v_mul_f64 v[227:228], v[2:3], v[36:37]
	v_mul_f64 v[36:37], v[4:5], v[36:37]
	v_add_f64 v[221:222], v[221:222], v[152:153]
	v_add_f64 v[156:157], v[156:157], v[154:155]
	ds_load_b128 v[152:155], v1 offset:1536
	v_fma_f64 v[217:218], v[217:218], v[30:31], v[219:220]
	v_fma_f64 v[30:31], v[215:216], v[30:31], -v[32:33]
	v_fma_f64 v[219:220], v[4:5], v[34:35], v[227:228]
	v_fma_f64 v[34:35], v[2:3], v[34:35], -v[36:37]
	v_add_f64 v[32:33], v[221:222], v[225:226]
	v_add_f64 v[156:157], v[156:157], v[223:224]
	s_waitcnt vmcnt(7) lgkmcnt(0)
	v_mul_f64 v[215:216], v[152:153], v[165:166]
	v_mul_f64 v[165:166], v[154:155], v[165:166]
	s_delay_alu instid0(VALU_DEP_4) | instskip(NEXT) | instid1(VALU_DEP_4)
	v_add_f64 v[36:37], v[32:33], v[30:31]
	v_add_f64 v[156:157], v[156:157], v[217:218]
	ds_load_b128 v[2:5], v1 offset:1552
	ds_load_b128 v[30:33], v1 offset:1568
	v_fma_f64 v[154:155], v[154:155], v[163:164], v[215:216]
	v_fma_f64 v[152:153], v[152:153], v[163:164], -v[165:166]
	s_waitcnt vmcnt(6) lgkmcnt(1)
	v_mul_f64 v[217:218], v[2:3], v[40:41]
	v_mul_f64 v[40:41], v[4:5], v[40:41]
	v_add_f64 v[34:35], v[36:37], v[34:35]
	v_add_f64 v[36:37], v[156:157], v[219:220]
	s_waitcnt vmcnt(5) lgkmcnt(0)
	v_mul_f64 v[156:157], v[30:31], v[8:9]
	v_mul_f64 v[8:9], v[32:33], v[8:9]
	v_fma_f64 v[163:164], v[4:5], v[38:39], v[217:218]
	v_fma_f64 v[38:39], v[2:3], v[38:39], -v[40:41]
	v_add_f64 v[40:41], v[34:35], v[152:153]
	v_add_f64 v[152:153], v[36:37], v[154:155]
	ds_load_b128 v[2:5], v1 offset:1584
	ds_load_b128 v[34:37], v1 offset:1600
	v_fma_f64 v[32:33], v[32:33], v[6:7], v[156:157]
	v_fma_f64 v[6:7], v[30:31], v[6:7], -v[8:9]
	s_waitcnt vmcnt(4) lgkmcnt(1)
	v_mul_f64 v[154:155], v[2:3], v[12:13]
	v_mul_f64 v[12:13], v[4:5], v[12:13]
	v_add_f64 v[8:9], v[40:41], v[38:39]
	v_add_f64 v[30:31], v[152:153], v[163:164]
	s_waitcnt vmcnt(3) lgkmcnt(0)
	v_mul_f64 v[38:39], v[34:35], v[16:17]
	v_mul_f64 v[16:17], v[36:37], v[16:17]
	v_fma_f64 v[40:41], v[4:5], v[10:11], v[154:155]
	v_fma_f64 v[10:11], v[2:3], v[10:11], -v[12:13]
	v_add_f64 v[12:13], v[8:9], v[6:7]
	v_add_f64 v[30:31], v[30:31], v[32:33]
	ds_load_b128 v[2:5], v1 offset:1616
	ds_load_b128 v[6:9], v1 offset:1632
	v_fma_f64 v[36:37], v[36:37], v[14:15], v[38:39]
	v_fma_f64 v[14:15], v[34:35], v[14:15], -v[16:17]
	s_waitcnt vmcnt(2) lgkmcnt(1)
	v_mul_f64 v[32:33], v[2:3], v[20:21]
	v_mul_f64 v[20:21], v[4:5], v[20:21]
	s_waitcnt vmcnt(1) lgkmcnt(0)
	v_mul_f64 v[16:17], v[6:7], v[24:25]
	v_mul_f64 v[24:25], v[8:9], v[24:25]
	v_add_f64 v[10:11], v[12:13], v[10:11]
	v_add_f64 v[12:13], v[30:31], v[40:41]
	v_fma_f64 v[30:31], v[4:5], v[18:19], v[32:33]
	v_fma_f64 v[18:19], v[2:3], v[18:19], -v[20:21]
	ds_load_b128 v[2:5], v1 offset:1648
	v_fma_f64 v[8:9], v[8:9], v[22:23], v[16:17]
	v_fma_f64 v[6:7], v[6:7], v[22:23], -v[24:25]
	v_add_f64 v[10:11], v[10:11], v[14:15]
	v_add_f64 v[12:13], v[12:13], v[36:37]
	s_waitcnt vmcnt(0) lgkmcnt(0)
	v_mul_f64 v[14:15], v[2:3], v[28:29]
	v_mul_f64 v[20:21], v[4:5], v[28:29]
	s_delay_alu instid0(VALU_DEP_4) | instskip(NEXT) | instid1(VALU_DEP_4)
	v_add_f64 v[10:11], v[10:11], v[18:19]
	v_add_f64 v[12:13], v[12:13], v[30:31]
	s_delay_alu instid0(VALU_DEP_4) | instskip(NEXT) | instid1(VALU_DEP_4)
	v_fma_f64 v[4:5], v[4:5], v[26:27], v[14:15]
	v_fma_f64 v[2:3], v[2:3], v[26:27], -v[20:21]
	s_delay_alu instid0(VALU_DEP_4) | instskip(NEXT) | instid1(VALU_DEP_4)
	v_add_f64 v[6:7], v[10:11], v[6:7]
	v_add_f64 v[8:9], v[12:13], v[8:9]
	s_delay_alu instid0(VALU_DEP_2) | instskip(NEXT) | instid1(VALU_DEP_2)
	v_add_f64 v[2:3], v[6:7], v[2:3]
	v_add_f64 v[4:5], v[8:9], v[4:5]
	s_delay_alu instid0(VALU_DEP_2) | instskip(NEXT) | instid1(VALU_DEP_2)
	v_add_f64 v[2:3], v[42:43], -v[2:3]
	v_add_f64 v[4:5], v[44:45], -v[4:5]
	scratch_store_b128 off, v[2:5], off offset:224
	v_cmpx_lt_u32_e32 13, v150
	s_cbranch_execz .LBB51_299
; %bb.298:
	scratch_load_b128 v[5:8], v189, off
	v_mov_b32_e32 v2, v1
	v_mov_b32_e32 v3, v1
	;; [unrolled: 1-line block ×3, first 2 shown]
	scratch_store_b128 off, v[1:4], off offset:208
	s_waitcnt vmcnt(0)
	ds_store_b128 v202, v[5:8]
.LBB51_299:
	s_or_b32 exec_lo, exec_lo, s2
	s_waitcnt lgkmcnt(0)
	s_waitcnt_vscnt null, 0x0
	s_barrier
	buffer_gl0_inv
	s_clause 0x8
	scratch_load_b128 v[2:5], off, off offset:224
	scratch_load_b128 v[6:9], off, off offset:240
	;; [unrolled: 1-line block ×9, first 2 shown]
	ds_load_b128 v[42:45], v1 offset:1056
	ds_load_b128 v[38:41], v1 offset:1072
	s_clause 0x1
	scratch_load_b128 v[152:155], off, off offset:208
	scratch_load_b128 v[163:166], off, off offset:368
	s_mov_b32 s2, exec_lo
	ds_load_b128 v[215:218], v1 offset:1104
	s_waitcnt vmcnt(10) lgkmcnt(2)
	v_mul_f64 v[156:157], v[44:45], v[4:5]
	v_mul_f64 v[4:5], v[42:43], v[4:5]
	s_waitcnt vmcnt(9) lgkmcnt(1)
	v_mul_f64 v[219:220], v[38:39], v[8:9]
	v_mul_f64 v[8:9], v[40:41], v[8:9]
	s_delay_alu instid0(VALU_DEP_4) | instskip(NEXT) | instid1(VALU_DEP_4)
	v_fma_f64 v[156:157], v[42:43], v[2:3], -v[156:157]
	v_fma_f64 v[221:222], v[44:45], v[2:3], v[4:5]
	ds_load_b128 v[2:5], v1 offset:1088
	scratch_load_b128 v[42:45], off, off offset:384
	v_fma_f64 v[40:41], v[40:41], v[6:7], v[219:220]
	v_fma_f64 v[38:39], v[38:39], v[6:7], -v[8:9]
	scratch_load_b128 v[6:9], off, off offset:400
	s_waitcnt vmcnt(10) lgkmcnt(0)
	v_mul_f64 v[223:224], v[2:3], v[12:13]
	v_mul_f64 v[12:13], v[4:5], v[12:13]
	v_add_f64 v[156:157], v[156:157], 0
	v_add_f64 v[219:220], v[221:222], 0
	s_waitcnt vmcnt(9)
	v_mul_f64 v[221:222], v[215:216], v[16:17]
	v_mul_f64 v[16:17], v[217:218], v[16:17]
	v_fma_f64 v[223:224], v[4:5], v[10:11], v[223:224]
	v_fma_f64 v[225:226], v[2:3], v[10:11], -v[12:13]
	ds_load_b128 v[2:5], v1 offset:1120
	scratch_load_b128 v[10:13], off, off offset:416
	v_add_f64 v[156:157], v[156:157], v[38:39]
	v_add_f64 v[219:220], v[219:220], v[40:41]
	ds_load_b128 v[38:41], v1 offset:1136
	v_fma_f64 v[217:218], v[217:218], v[14:15], v[221:222]
	v_fma_f64 v[215:216], v[215:216], v[14:15], -v[16:17]
	scratch_load_b128 v[14:17], off, off offset:432
	s_waitcnt vmcnt(10) lgkmcnt(1)
	v_mul_f64 v[227:228], v[2:3], v[20:21]
	v_mul_f64 v[20:21], v[4:5], v[20:21]
	s_waitcnt vmcnt(9) lgkmcnt(0)
	v_mul_f64 v[221:222], v[38:39], v[24:25]
	v_mul_f64 v[24:25], v[40:41], v[24:25]
	v_add_f64 v[156:157], v[156:157], v[225:226]
	v_add_f64 v[219:220], v[219:220], v[223:224]
	v_fma_f64 v[223:224], v[4:5], v[18:19], v[227:228]
	v_fma_f64 v[225:226], v[2:3], v[18:19], -v[20:21]
	ds_load_b128 v[2:5], v1 offset:1152
	scratch_load_b128 v[18:21], off, off offset:448
	v_fma_f64 v[40:41], v[40:41], v[22:23], v[221:222]
	v_fma_f64 v[38:39], v[38:39], v[22:23], -v[24:25]
	scratch_load_b128 v[22:25], off, off offset:464
	v_add_f64 v[156:157], v[156:157], v[215:216]
	v_add_f64 v[219:220], v[219:220], v[217:218]
	ds_load_b128 v[215:218], v1 offset:1168
	s_waitcnt vmcnt(10) lgkmcnt(1)
	v_mul_f64 v[227:228], v[2:3], v[28:29]
	v_mul_f64 v[28:29], v[4:5], v[28:29]
	s_waitcnt vmcnt(9) lgkmcnt(0)
	v_mul_f64 v[221:222], v[215:216], v[32:33]
	v_mul_f64 v[32:33], v[217:218], v[32:33]
	v_add_f64 v[156:157], v[156:157], v[225:226]
	v_add_f64 v[219:220], v[219:220], v[223:224]
	v_fma_f64 v[223:224], v[4:5], v[26:27], v[227:228]
	v_fma_f64 v[225:226], v[2:3], v[26:27], -v[28:29]
	ds_load_b128 v[2:5], v1 offset:1184
	scratch_load_b128 v[26:29], off, off offset:480
	v_fma_f64 v[217:218], v[217:218], v[30:31], v[221:222]
	v_fma_f64 v[215:216], v[215:216], v[30:31], -v[32:33]
	scratch_load_b128 v[30:33], off, off offset:496
	v_add_f64 v[156:157], v[156:157], v[38:39]
	v_add_f64 v[219:220], v[219:220], v[40:41]
	ds_load_b128 v[38:41], v1 offset:1200
	;; [unrolled: 18-line block ×3, first 2 shown]
	s_waitcnt vmcnt(9) lgkmcnt(1)
	v_mul_f64 v[227:228], v[2:3], v[44:45]
	v_mul_f64 v[44:45], v[4:5], v[44:45]
	v_add_f64 v[156:157], v[156:157], v[225:226]
	v_add_f64 v[165:166], v[219:220], v[223:224]
	s_waitcnt vmcnt(8) lgkmcnt(0)
	v_mul_f64 v[219:220], v[215:216], v[8:9]
	v_mul_f64 v[8:9], v[217:218], v[8:9]
	v_fma_f64 v[223:224], v[4:5], v[42:43], v[227:228]
	v_fma_f64 v[225:226], v[2:3], v[42:43], -v[44:45]
	ds_load_b128 v[2:5], v1 offset:1248
	scratch_load_b128 v[42:45], off, off offset:544
	v_add_f64 v[156:157], v[156:157], v[163:164]
	v_add_f64 v[221:222], v[165:166], v[221:222]
	ds_load_b128 v[163:166], v1 offset:1264
	s_waitcnt vmcnt(8) lgkmcnt(1)
	v_mul_f64 v[227:228], v[2:3], v[12:13]
	v_mul_f64 v[12:13], v[4:5], v[12:13]
	v_fma_f64 v[217:218], v[217:218], v[6:7], v[219:220]
	v_fma_f64 v[215:216], v[215:216], v[6:7], -v[8:9]
	scratch_load_b128 v[6:9], off, off offset:560
	v_add_f64 v[156:157], v[156:157], v[225:226]
	v_add_f64 v[219:220], v[221:222], v[223:224]
	s_waitcnt vmcnt(8) lgkmcnt(0)
	v_mul_f64 v[221:222], v[163:164], v[16:17]
	v_mul_f64 v[16:17], v[165:166], v[16:17]
	v_fma_f64 v[223:224], v[4:5], v[10:11], v[227:228]
	v_fma_f64 v[225:226], v[2:3], v[10:11], -v[12:13]
	ds_load_b128 v[2:5], v1 offset:1280
	scratch_load_b128 v[10:13], off, off offset:576
	v_add_f64 v[156:157], v[156:157], v[215:216]
	v_add_f64 v[219:220], v[219:220], v[217:218]
	ds_load_b128 v[215:218], v1 offset:1296
	s_waitcnt vmcnt(8) lgkmcnt(1)
	v_mul_f64 v[227:228], v[2:3], v[20:21]
	v_mul_f64 v[20:21], v[4:5], v[20:21]
	v_fma_f64 v[165:166], v[165:166], v[14:15], v[221:222]
	v_fma_f64 v[163:164], v[163:164], v[14:15], -v[16:17]
	scratch_load_b128 v[14:17], off, off offset:592
	s_waitcnt vmcnt(8) lgkmcnt(0)
	v_mul_f64 v[221:222], v[215:216], v[24:25]
	v_mul_f64 v[24:25], v[217:218], v[24:25]
	v_add_f64 v[156:157], v[156:157], v[225:226]
	v_add_f64 v[219:220], v[219:220], v[223:224]
	v_fma_f64 v[223:224], v[4:5], v[18:19], v[227:228]
	v_fma_f64 v[225:226], v[2:3], v[18:19], -v[20:21]
	ds_load_b128 v[2:5], v1 offset:1312
	scratch_load_b128 v[18:21], off, off offset:608
	v_fma_f64 v[217:218], v[217:218], v[22:23], v[221:222]
	v_fma_f64 v[215:216], v[215:216], v[22:23], -v[24:25]
	scratch_load_b128 v[22:25], off, off offset:624
	v_add_f64 v[156:157], v[156:157], v[163:164]
	v_add_f64 v[219:220], v[219:220], v[165:166]
	ds_load_b128 v[163:166], v1 offset:1328
	s_waitcnt vmcnt(9) lgkmcnt(1)
	v_mul_f64 v[227:228], v[2:3], v[28:29]
	v_mul_f64 v[28:29], v[4:5], v[28:29]
	s_waitcnt vmcnt(8) lgkmcnt(0)
	v_mul_f64 v[221:222], v[163:164], v[32:33]
	v_mul_f64 v[32:33], v[165:166], v[32:33]
	v_add_f64 v[156:157], v[156:157], v[225:226]
	v_add_f64 v[219:220], v[219:220], v[223:224]
	v_fma_f64 v[223:224], v[4:5], v[26:27], v[227:228]
	v_fma_f64 v[225:226], v[2:3], v[26:27], -v[28:29]
	ds_load_b128 v[2:5], v1 offset:1344
	scratch_load_b128 v[26:29], off, off offset:640
	v_fma_f64 v[165:166], v[165:166], v[30:31], v[221:222]
	v_fma_f64 v[163:164], v[163:164], v[30:31], -v[32:33]
	scratch_load_b128 v[30:33], off, off offset:656
	v_add_f64 v[156:157], v[156:157], v[215:216]
	v_add_f64 v[219:220], v[219:220], v[217:218]
	ds_load_b128 v[215:218], v1 offset:1360
	s_waitcnt vmcnt(9) lgkmcnt(1)
	v_mul_f64 v[227:228], v[2:3], v[36:37]
	v_mul_f64 v[36:37], v[4:5], v[36:37]
	;; [unrolled: 18-line block ×7, first 2 shown]
	s_waitcnt vmcnt(8) lgkmcnt(0)
	v_mul_f64 v[221:222], v[163:164], v[40:41]
	v_mul_f64 v[40:41], v[165:166], v[40:41]
	v_add_f64 v[156:157], v[156:157], v[225:226]
	v_add_f64 v[219:220], v[219:220], v[223:224]
	v_fma_f64 v[223:224], v[4:5], v[34:35], v[227:228]
	v_fma_f64 v[225:226], v[2:3], v[34:35], -v[36:37]
	ds_load_b128 v[2:5], v1 offset:1536
	ds_load_b128 v[34:37], v1 offset:1552
	v_fma_f64 v[165:166], v[165:166], v[38:39], v[221:222]
	v_fma_f64 v[38:39], v[163:164], v[38:39], -v[40:41]
	v_add_f64 v[156:157], v[156:157], v[215:216]
	v_add_f64 v[215:216], v[219:220], v[217:218]
	s_waitcnt vmcnt(7) lgkmcnt(1)
	v_mul_f64 v[217:218], v[2:3], v[44:45]
	v_mul_f64 v[44:45], v[4:5], v[44:45]
	s_waitcnt vmcnt(6) lgkmcnt(0)
	v_mul_f64 v[163:164], v[34:35], v[8:9]
	v_mul_f64 v[8:9], v[36:37], v[8:9]
	v_add_f64 v[40:41], v[156:157], v[225:226]
	v_add_f64 v[156:157], v[215:216], v[223:224]
	v_fma_f64 v[215:216], v[4:5], v[42:43], v[217:218]
	v_fma_f64 v[42:43], v[2:3], v[42:43], -v[44:45]
	v_fma_f64 v[36:37], v[36:37], v[6:7], v[163:164]
	v_fma_f64 v[6:7], v[34:35], v[6:7], -v[8:9]
	v_add_f64 v[44:45], v[40:41], v[38:39]
	v_add_f64 v[156:157], v[156:157], v[165:166]
	ds_load_b128 v[2:5], v1 offset:1568
	ds_load_b128 v[38:41], v1 offset:1584
	s_waitcnt vmcnt(5) lgkmcnt(1)
	v_mul_f64 v[165:166], v[2:3], v[12:13]
	v_mul_f64 v[12:13], v[4:5], v[12:13]
	v_add_f64 v[8:9], v[44:45], v[42:43]
	v_add_f64 v[34:35], v[156:157], v[215:216]
	s_waitcnt vmcnt(4) lgkmcnt(0)
	v_mul_f64 v[42:43], v[38:39], v[16:17]
	v_mul_f64 v[16:17], v[40:41], v[16:17]
	v_fma_f64 v[44:45], v[4:5], v[10:11], v[165:166]
	v_fma_f64 v[10:11], v[2:3], v[10:11], -v[12:13]
	v_add_f64 v[12:13], v[8:9], v[6:7]
	v_add_f64 v[34:35], v[34:35], v[36:37]
	ds_load_b128 v[2:5], v1 offset:1600
	ds_load_b128 v[6:9], v1 offset:1616
	v_fma_f64 v[40:41], v[40:41], v[14:15], v[42:43]
	v_fma_f64 v[14:15], v[38:39], v[14:15], -v[16:17]
	s_waitcnt vmcnt(3) lgkmcnt(1)
	v_mul_f64 v[36:37], v[2:3], v[20:21]
	v_mul_f64 v[20:21], v[4:5], v[20:21]
	s_waitcnt vmcnt(2) lgkmcnt(0)
	v_mul_f64 v[16:17], v[6:7], v[24:25]
	v_mul_f64 v[24:25], v[8:9], v[24:25]
	v_add_f64 v[10:11], v[12:13], v[10:11]
	v_add_f64 v[12:13], v[34:35], v[44:45]
	v_fma_f64 v[34:35], v[4:5], v[18:19], v[36:37]
	v_fma_f64 v[18:19], v[2:3], v[18:19], -v[20:21]
	v_fma_f64 v[8:9], v[8:9], v[22:23], v[16:17]
	v_fma_f64 v[6:7], v[6:7], v[22:23], -v[24:25]
	v_add_f64 v[14:15], v[10:11], v[14:15]
	v_add_f64 v[20:21], v[12:13], v[40:41]
	ds_load_b128 v[2:5], v1 offset:1632
	ds_load_b128 v[10:13], v1 offset:1648
	s_waitcnt vmcnt(1) lgkmcnt(1)
	v_mul_f64 v[36:37], v[2:3], v[28:29]
	v_mul_f64 v[28:29], v[4:5], v[28:29]
	v_add_f64 v[14:15], v[14:15], v[18:19]
	v_add_f64 v[16:17], v[20:21], v[34:35]
	s_waitcnt vmcnt(0) lgkmcnt(0)
	v_mul_f64 v[18:19], v[10:11], v[32:33]
	v_mul_f64 v[20:21], v[12:13], v[32:33]
	v_fma_f64 v[4:5], v[4:5], v[26:27], v[36:37]
	v_fma_f64 v[1:2], v[2:3], v[26:27], -v[28:29]
	v_add_f64 v[6:7], v[14:15], v[6:7]
	v_add_f64 v[8:9], v[16:17], v[8:9]
	v_fma_f64 v[12:13], v[12:13], v[30:31], v[18:19]
	v_fma_f64 v[10:11], v[10:11], v[30:31], -v[20:21]
	s_delay_alu instid0(VALU_DEP_4) | instskip(NEXT) | instid1(VALU_DEP_4)
	v_add_f64 v[1:2], v[6:7], v[1:2]
	v_add_f64 v[3:4], v[8:9], v[4:5]
	s_delay_alu instid0(VALU_DEP_2) | instskip(NEXT) | instid1(VALU_DEP_2)
	v_add_f64 v[1:2], v[1:2], v[10:11]
	v_add_f64 v[3:4], v[3:4], v[12:13]
	s_delay_alu instid0(VALU_DEP_2) | instskip(NEXT) | instid1(VALU_DEP_2)
	v_add_f64 v[1:2], v[152:153], -v[1:2]
	v_add_f64 v[3:4], v[154:155], -v[3:4]
	scratch_store_b128 off, v[1:4], off offset:208
	v_cmpx_lt_u32_e32 12, v150
	s_cbranch_execz .LBB51_301
; %bb.300:
	scratch_load_b128 v[1:4], v190, off
	v_mov_b32_e32 v5, 0
	s_delay_alu instid0(VALU_DEP_1)
	v_mov_b32_e32 v6, v5
	v_mov_b32_e32 v7, v5
	;; [unrolled: 1-line block ×3, first 2 shown]
	scratch_store_b128 off, v[5:8], off offset:192
	s_waitcnt vmcnt(0)
	ds_store_b128 v202, v[1:4]
.LBB51_301:
	s_or_b32 exec_lo, exec_lo, s2
	s_waitcnt lgkmcnt(0)
	s_waitcnt_vscnt null, 0x0
	s_barrier
	buffer_gl0_inv
	s_clause 0x7
	scratch_load_b128 v[2:5], off, off offset:208
	scratch_load_b128 v[6:9], off, off offset:224
	;; [unrolled: 1-line block ×8, first 2 shown]
	v_mov_b32_e32 v1, 0
	s_mov_b32 s2, exec_lo
	ds_load_b128 v[38:41], v1 offset:1040
	s_clause 0x1
	scratch_load_b128 v[34:37], off, off offset:336
	scratch_load_b128 v[42:45], off, off offset:192
	ds_load_b128 v[152:155], v1 offset:1056
	scratch_load_b128 v[163:166], off, off offset:352
	ds_load_b128 v[215:218], v1 offset:1088
	s_waitcnt vmcnt(10) lgkmcnt(2)
	v_mul_f64 v[156:157], v[40:41], v[4:5]
	v_mul_f64 v[4:5], v[38:39], v[4:5]
	s_delay_alu instid0(VALU_DEP_2) | instskip(NEXT) | instid1(VALU_DEP_2)
	v_fma_f64 v[156:157], v[38:39], v[2:3], -v[156:157]
	v_fma_f64 v[221:222], v[40:41], v[2:3], v[4:5]
	ds_load_b128 v[2:5], v1 offset:1072
	s_waitcnt vmcnt(9) lgkmcnt(2)
	v_mul_f64 v[219:220], v[152:153], v[8:9]
	v_mul_f64 v[8:9], v[154:155], v[8:9]
	scratch_load_b128 v[38:41], off, off offset:368
	s_waitcnt vmcnt(9) lgkmcnt(0)
	v_mul_f64 v[223:224], v[2:3], v[12:13]
	v_mul_f64 v[12:13], v[4:5], v[12:13]
	v_add_f64 v[156:157], v[156:157], 0
	v_fma_f64 v[154:155], v[154:155], v[6:7], v[219:220]
	v_fma_f64 v[152:153], v[152:153], v[6:7], -v[8:9]
	v_add_f64 v[219:220], v[221:222], 0
	scratch_load_b128 v[6:9], off, off offset:384
	v_fma_f64 v[223:224], v[4:5], v[10:11], v[223:224]
	v_fma_f64 v[225:226], v[2:3], v[10:11], -v[12:13]
	scratch_load_b128 v[10:13], off, off offset:400
	ds_load_b128 v[2:5], v1 offset:1104
	s_waitcnt vmcnt(10)
	v_mul_f64 v[221:222], v[215:216], v[16:17]
	v_mul_f64 v[16:17], v[217:218], v[16:17]
	v_add_f64 v[156:157], v[156:157], v[152:153]
	v_add_f64 v[219:220], v[219:220], v[154:155]
	ds_load_b128 v[152:155], v1 offset:1120
	s_waitcnt vmcnt(9) lgkmcnt(1)
	v_mul_f64 v[227:228], v[2:3], v[20:21]
	v_mul_f64 v[20:21], v[4:5], v[20:21]
	v_fma_f64 v[217:218], v[217:218], v[14:15], v[221:222]
	v_fma_f64 v[215:216], v[215:216], v[14:15], -v[16:17]
	scratch_load_b128 v[14:17], off, off offset:416
	v_add_f64 v[156:157], v[156:157], v[225:226]
	v_add_f64 v[219:220], v[219:220], v[223:224]
	v_fma_f64 v[223:224], v[4:5], v[18:19], v[227:228]
	v_fma_f64 v[225:226], v[2:3], v[18:19], -v[20:21]
	scratch_load_b128 v[18:21], off, off offset:432
	ds_load_b128 v[2:5], v1 offset:1136
	s_waitcnt vmcnt(10) lgkmcnt(1)
	v_mul_f64 v[221:222], v[152:153], v[24:25]
	v_mul_f64 v[24:25], v[154:155], v[24:25]
	s_waitcnt vmcnt(9) lgkmcnt(0)
	v_mul_f64 v[227:228], v[2:3], v[28:29]
	v_mul_f64 v[28:29], v[4:5], v[28:29]
	v_add_f64 v[156:157], v[156:157], v[215:216]
	v_add_f64 v[219:220], v[219:220], v[217:218]
	ds_load_b128 v[215:218], v1 offset:1152
	v_fma_f64 v[154:155], v[154:155], v[22:23], v[221:222]
	v_fma_f64 v[152:153], v[152:153], v[22:23], -v[24:25]
	scratch_load_b128 v[22:25], off, off offset:448
	v_add_f64 v[156:157], v[156:157], v[225:226]
	v_add_f64 v[219:220], v[219:220], v[223:224]
	v_fma_f64 v[223:224], v[4:5], v[26:27], v[227:228]
	v_fma_f64 v[225:226], v[2:3], v[26:27], -v[28:29]
	scratch_load_b128 v[26:29], off, off offset:464
	ds_load_b128 v[2:5], v1 offset:1168
	s_waitcnt vmcnt(10) lgkmcnt(1)
	v_mul_f64 v[221:222], v[215:216], v[32:33]
	v_mul_f64 v[32:33], v[217:218], v[32:33]
	s_waitcnt vmcnt(9) lgkmcnt(0)
	v_mul_f64 v[227:228], v[2:3], v[36:37]
	v_mul_f64 v[36:37], v[4:5], v[36:37]
	v_add_f64 v[156:157], v[156:157], v[152:153]
	v_add_f64 v[219:220], v[219:220], v[154:155]
	ds_load_b128 v[152:155], v1 offset:1184
	v_fma_f64 v[217:218], v[217:218], v[30:31], v[221:222]
	v_fma_f64 v[215:216], v[215:216], v[30:31], -v[32:33]
	scratch_load_b128 v[30:33], off, off offset:480
	v_add_f64 v[156:157], v[156:157], v[225:226]
	v_add_f64 v[219:220], v[219:220], v[223:224]
	v_fma_f64 v[223:224], v[4:5], v[34:35], v[227:228]
	v_fma_f64 v[225:226], v[2:3], v[34:35], -v[36:37]
	scratch_load_b128 v[34:37], off, off offset:496
	ds_load_b128 v[2:5], v1 offset:1200
	s_waitcnt vmcnt(9) lgkmcnt(1)
	v_mul_f64 v[221:222], v[152:153], v[165:166]
	v_mul_f64 v[165:166], v[154:155], v[165:166]
	v_add_f64 v[156:157], v[156:157], v[215:216]
	v_add_f64 v[219:220], v[219:220], v[217:218]
	ds_load_b128 v[215:218], v1 offset:1216
	v_fma_f64 v[221:222], v[154:155], v[163:164], v[221:222]
	v_fma_f64 v[163:164], v[152:153], v[163:164], -v[165:166]
	scratch_load_b128 v[152:155], off, off offset:512
	s_waitcnt vmcnt(9) lgkmcnt(1)
	v_mul_f64 v[227:228], v[2:3], v[40:41]
	v_mul_f64 v[40:41], v[4:5], v[40:41]
	v_add_f64 v[156:157], v[156:157], v[225:226]
	v_add_f64 v[165:166], v[219:220], v[223:224]
	s_delay_alu instid0(VALU_DEP_4) | instskip(NEXT) | instid1(VALU_DEP_4)
	v_fma_f64 v[223:224], v[4:5], v[38:39], v[227:228]
	v_fma_f64 v[225:226], v[2:3], v[38:39], -v[40:41]
	scratch_load_b128 v[38:41], off, off offset:528
	ds_load_b128 v[2:5], v1 offset:1232
	s_waitcnt vmcnt(9) lgkmcnt(1)
	v_mul_f64 v[219:220], v[215:216], v[8:9]
	v_mul_f64 v[8:9], v[217:218], v[8:9]
	v_add_f64 v[156:157], v[156:157], v[163:164]
	v_add_f64 v[221:222], v[165:166], v[221:222]
	s_waitcnt vmcnt(8) lgkmcnt(0)
	v_mul_f64 v[227:228], v[2:3], v[12:13]
	v_mul_f64 v[12:13], v[4:5], v[12:13]
	ds_load_b128 v[163:166], v1 offset:1248
	v_fma_f64 v[217:218], v[217:218], v[6:7], v[219:220]
	v_fma_f64 v[215:216], v[215:216], v[6:7], -v[8:9]
	scratch_load_b128 v[6:9], off, off offset:544
	v_add_f64 v[156:157], v[156:157], v[225:226]
	v_add_f64 v[219:220], v[221:222], v[223:224]
	v_fma_f64 v[223:224], v[4:5], v[10:11], v[227:228]
	v_fma_f64 v[225:226], v[2:3], v[10:11], -v[12:13]
	scratch_load_b128 v[10:13], off, off offset:560
	ds_load_b128 v[2:5], v1 offset:1264
	s_waitcnt vmcnt(9) lgkmcnt(1)
	v_mul_f64 v[221:222], v[163:164], v[16:17]
	v_mul_f64 v[16:17], v[165:166], v[16:17]
	s_waitcnt vmcnt(8) lgkmcnt(0)
	v_mul_f64 v[227:228], v[2:3], v[20:21]
	v_mul_f64 v[20:21], v[4:5], v[20:21]
	v_add_f64 v[156:157], v[156:157], v[215:216]
	v_add_f64 v[219:220], v[219:220], v[217:218]
	ds_load_b128 v[215:218], v1 offset:1280
	v_fma_f64 v[165:166], v[165:166], v[14:15], v[221:222]
	v_fma_f64 v[163:164], v[163:164], v[14:15], -v[16:17]
	scratch_load_b128 v[14:17], off, off offset:576
	v_add_f64 v[156:157], v[156:157], v[225:226]
	v_add_f64 v[219:220], v[219:220], v[223:224]
	v_fma_f64 v[223:224], v[4:5], v[18:19], v[227:228]
	v_fma_f64 v[225:226], v[2:3], v[18:19], -v[20:21]
	scratch_load_b128 v[18:21], off, off offset:592
	ds_load_b128 v[2:5], v1 offset:1296
	s_waitcnt vmcnt(9) lgkmcnt(1)
	v_mul_f64 v[221:222], v[215:216], v[24:25]
	v_mul_f64 v[24:25], v[217:218], v[24:25]
	s_waitcnt vmcnt(8) lgkmcnt(0)
	v_mul_f64 v[227:228], v[2:3], v[28:29]
	v_mul_f64 v[28:29], v[4:5], v[28:29]
	v_add_f64 v[156:157], v[156:157], v[163:164]
	v_add_f64 v[219:220], v[219:220], v[165:166]
	;; [unrolled: 18-line block ×3, first 2 shown]
	ds_load_b128 v[215:218], v1 offset:1344
	v_fma_f64 v[165:166], v[165:166], v[30:31], v[221:222]
	v_fma_f64 v[163:164], v[163:164], v[30:31], -v[32:33]
	scratch_load_b128 v[30:33], off, off offset:640
	v_add_f64 v[156:157], v[156:157], v[225:226]
	v_add_f64 v[219:220], v[219:220], v[223:224]
	v_fma_f64 v[225:226], v[4:5], v[34:35], v[227:228]
	v_fma_f64 v[227:228], v[2:3], v[34:35], -v[36:37]
	scratch_load_b128 v[34:37], off, off offset:656
	ds_load_b128 v[2:5], v1 offset:1360
	s_waitcnt vmcnt(9) lgkmcnt(1)
	v_mul_f64 v[221:222], v[215:216], v[154:155]
	v_mul_f64 v[223:224], v[217:218], v[154:155]
	v_add_f64 v[163:164], v[156:157], v[163:164]
	v_add_f64 v[165:166], v[219:220], v[165:166]
	s_waitcnt vmcnt(8) lgkmcnt(0)
	v_mul_f64 v[219:220], v[2:3], v[40:41]
	v_mul_f64 v[40:41], v[4:5], v[40:41]
	ds_load_b128 v[154:157], v1 offset:1376
	v_fma_f64 v[217:218], v[217:218], v[152:153], v[221:222]
	v_fma_f64 v[152:153], v[215:216], v[152:153], -v[223:224]
	v_add_f64 v[215:216], v[163:164], v[227:228]
	v_add_f64 v[221:222], v[165:166], v[225:226]
	scratch_load_b128 v[163:166], off, off offset:672
	v_fma_f64 v[219:220], v[4:5], v[38:39], v[219:220]
	v_fma_f64 v[225:226], v[2:3], v[38:39], -v[40:41]
	scratch_load_b128 v[38:41], off, off offset:688
	ds_load_b128 v[2:5], v1 offset:1392
	s_waitcnt vmcnt(9) lgkmcnt(1)
	v_mul_f64 v[223:224], v[154:155], v[8:9]
	v_mul_f64 v[8:9], v[156:157], v[8:9]
	s_waitcnt vmcnt(8) lgkmcnt(0)
	v_mul_f64 v[227:228], v[2:3], v[12:13]
	v_mul_f64 v[12:13], v[4:5], v[12:13]
	v_add_f64 v[152:153], v[215:216], v[152:153]
	v_add_f64 v[221:222], v[221:222], v[217:218]
	ds_load_b128 v[215:218], v1 offset:1408
	v_fma_f64 v[156:157], v[156:157], v[6:7], v[223:224]
	v_fma_f64 v[154:155], v[154:155], v[6:7], -v[8:9]
	scratch_load_b128 v[6:9], off, off offset:704
	v_fma_f64 v[223:224], v[4:5], v[10:11], v[227:228]
	v_add_f64 v[152:153], v[152:153], v[225:226]
	v_add_f64 v[219:220], v[221:222], v[219:220]
	v_fma_f64 v[225:226], v[2:3], v[10:11], -v[12:13]
	scratch_load_b128 v[10:13], off, off offset:720
	ds_load_b128 v[2:5], v1 offset:1424
	s_waitcnt vmcnt(9) lgkmcnt(1)
	v_mul_f64 v[221:222], v[215:216], v[16:17]
	v_mul_f64 v[16:17], v[217:218], v[16:17]
	v_add_f64 v[227:228], v[152:153], v[154:155]
	v_add_f64 v[156:157], v[219:220], v[156:157]
	s_waitcnt vmcnt(8) lgkmcnt(0)
	v_mul_f64 v[219:220], v[2:3], v[20:21]
	v_mul_f64 v[20:21], v[4:5], v[20:21]
	ds_load_b128 v[152:155], v1 offset:1440
	v_fma_f64 v[217:218], v[217:218], v[14:15], v[221:222]
	v_fma_f64 v[215:216], v[215:216], v[14:15], -v[16:17]
	scratch_load_b128 v[14:17], off, off offset:736
	v_add_f64 v[221:222], v[227:228], v[225:226]
	v_add_f64 v[156:157], v[156:157], v[223:224]
	v_fma_f64 v[219:220], v[4:5], v[18:19], v[219:220]
	v_fma_f64 v[225:226], v[2:3], v[18:19], -v[20:21]
	scratch_load_b128 v[18:21], off, off offset:752
	ds_load_b128 v[2:5], v1 offset:1456
	s_waitcnt vmcnt(9) lgkmcnt(1)
	v_mul_f64 v[223:224], v[152:153], v[24:25]
	v_mul_f64 v[24:25], v[154:155], v[24:25]
	s_waitcnt vmcnt(8) lgkmcnt(0)
	v_mul_f64 v[227:228], v[2:3], v[28:29]
	v_mul_f64 v[28:29], v[4:5], v[28:29]
	v_add_f64 v[221:222], v[221:222], v[215:216]
	v_add_f64 v[156:157], v[156:157], v[217:218]
	ds_load_b128 v[215:218], v1 offset:1472
	v_fma_f64 v[154:155], v[154:155], v[22:23], v[223:224]
	v_fma_f64 v[152:153], v[152:153], v[22:23], -v[24:25]
	scratch_load_b128 v[22:25], off, off offset:768
	v_fma_f64 v[223:224], v[4:5], v[26:27], v[227:228]
	v_add_f64 v[221:222], v[221:222], v[225:226]
	v_add_f64 v[156:157], v[156:157], v[219:220]
	v_fma_f64 v[225:226], v[2:3], v[26:27], -v[28:29]
	scratch_load_b128 v[26:29], off, off offset:784
	ds_load_b128 v[2:5], v1 offset:1488
	s_waitcnt vmcnt(9) lgkmcnt(1)
	v_mul_f64 v[219:220], v[215:216], v[32:33]
	v_mul_f64 v[32:33], v[217:218], v[32:33]
	s_waitcnt vmcnt(8) lgkmcnt(0)
	v_mul_f64 v[227:228], v[2:3], v[36:37]
	v_mul_f64 v[36:37], v[4:5], v[36:37]
	v_add_f64 v[221:222], v[221:222], v[152:153]
	v_add_f64 v[156:157], v[156:157], v[154:155]
	ds_load_b128 v[152:155], v1 offset:1504
	v_fma_f64 v[217:218], v[217:218], v[30:31], v[219:220]
	v_fma_f64 v[215:216], v[215:216], v[30:31], -v[32:33]
	scratch_load_b128 v[30:33], off, off offset:800
	v_add_f64 v[219:220], v[221:222], v[225:226]
	v_add_f64 v[156:157], v[156:157], v[223:224]
	v_fma_f64 v[223:224], v[4:5], v[34:35], v[227:228]
	v_fma_f64 v[225:226], v[2:3], v[34:35], -v[36:37]
	scratch_load_b128 v[34:37], off, off offset:816
	ds_load_b128 v[2:5], v1 offset:1520
	s_waitcnt vmcnt(9) lgkmcnt(1)
	v_mul_f64 v[221:222], v[152:153], v[165:166]
	v_mul_f64 v[165:166], v[154:155], v[165:166]
	s_waitcnt vmcnt(8) lgkmcnt(0)
	v_mul_f64 v[227:228], v[2:3], v[40:41]
	v_mul_f64 v[40:41], v[4:5], v[40:41]
	v_add_f64 v[219:220], v[219:220], v[215:216]
	v_add_f64 v[156:157], v[156:157], v[217:218]
	ds_load_b128 v[215:218], v1 offset:1536
	v_fma_f64 v[154:155], v[154:155], v[163:164], v[221:222]
	v_fma_f64 v[152:153], v[152:153], v[163:164], -v[165:166]
	s_waitcnt vmcnt(7) lgkmcnt(0)
	v_mul_f64 v[165:166], v[215:216], v[8:9]
	v_mul_f64 v[8:9], v[217:218], v[8:9]
	v_fma_f64 v[221:222], v[2:3], v[38:39], -v[40:41]
	v_add_f64 v[163:164], v[219:220], v[225:226]
	v_add_f64 v[156:157], v[156:157], v[223:224]
	v_fma_f64 v[219:220], v[4:5], v[38:39], v[227:228]
	ds_load_b128 v[2:5], v1 offset:1552
	ds_load_b128 v[38:41], v1 offset:1568
	v_add_f64 v[152:153], v[163:164], v[152:153]
	v_add_f64 v[154:155], v[156:157], v[154:155]
	s_waitcnt vmcnt(6) lgkmcnt(1)
	v_mul_f64 v[156:157], v[2:3], v[12:13]
	v_mul_f64 v[12:13], v[4:5], v[12:13]
	v_fma_f64 v[163:164], v[217:218], v[6:7], v[165:166]
	v_fma_f64 v[6:7], v[215:216], v[6:7], -v[8:9]
	v_add_f64 v[8:9], v[152:153], v[221:222]
	v_add_f64 v[152:153], v[154:155], v[219:220]
	s_waitcnt vmcnt(5) lgkmcnt(0)
	v_mul_f64 v[154:155], v[38:39], v[16:17]
	v_mul_f64 v[16:17], v[40:41], v[16:17]
	v_fma_f64 v[156:157], v[4:5], v[10:11], v[156:157]
	v_fma_f64 v[10:11], v[2:3], v[10:11], -v[12:13]
	v_add_f64 v[12:13], v[8:9], v[6:7]
	v_add_f64 v[152:153], v[152:153], v[163:164]
	ds_load_b128 v[2:5], v1 offset:1584
	ds_load_b128 v[6:9], v1 offset:1600
	v_fma_f64 v[40:41], v[40:41], v[14:15], v[154:155]
	v_fma_f64 v[14:15], v[38:39], v[14:15], -v[16:17]
	s_waitcnt vmcnt(4) lgkmcnt(1)
	v_mul_f64 v[163:164], v[2:3], v[20:21]
	v_mul_f64 v[20:21], v[4:5], v[20:21]
	s_waitcnt vmcnt(3) lgkmcnt(0)
	v_mul_f64 v[16:17], v[6:7], v[24:25]
	v_mul_f64 v[24:25], v[8:9], v[24:25]
	v_add_f64 v[10:11], v[12:13], v[10:11]
	v_add_f64 v[12:13], v[152:153], v[156:157]
	v_fma_f64 v[38:39], v[4:5], v[18:19], v[163:164]
	v_fma_f64 v[18:19], v[2:3], v[18:19], -v[20:21]
	v_fma_f64 v[8:9], v[8:9], v[22:23], v[16:17]
	v_fma_f64 v[6:7], v[6:7], v[22:23], -v[24:25]
	v_add_f64 v[14:15], v[10:11], v[14:15]
	v_add_f64 v[20:21], v[12:13], v[40:41]
	ds_load_b128 v[2:5], v1 offset:1616
	ds_load_b128 v[10:13], v1 offset:1632
	s_waitcnt vmcnt(2) lgkmcnt(1)
	v_mul_f64 v[40:41], v[2:3], v[28:29]
	v_mul_f64 v[28:29], v[4:5], v[28:29]
	v_add_f64 v[14:15], v[14:15], v[18:19]
	v_add_f64 v[16:17], v[20:21], v[38:39]
	s_waitcnt vmcnt(1) lgkmcnt(0)
	v_mul_f64 v[18:19], v[10:11], v[32:33]
	v_mul_f64 v[20:21], v[12:13], v[32:33]
	v_fma_f64 v[22:23], v[4:5], v[26:27], v[40:41]
	v_fma_f64 v[24:25], v[2:3], v[26:27], -v[28:29]
	ds_load_b128 v[2:5], v1 offset:1648
	v_add_f64 v[6:7], v[14:15], v[6:7]
	v_add_f64 v[8:9], v[16:17], v[8:9]
	v_fma_f64 v[12:13], v[12:13], v[30:31], v[18:19]
	v_fma_f64 v[10:11], v[10:11], v[30:31], -v[20:21]
	s_waitcnt vmcnt(0) lgkmcnt(0)
	v_mul_f64 v[14:15], v[2:3], v[36:37]
	v_mul_f64 v[16:17], v[4:5], v[36:37]
	v_add_f64 v[6:7], v[6:7], v[24:25]
	v_add_f64 v[8:9], v[8:9], v[22:23]
	s_delay_alu instid0(VALU_DEP_4) | instskip(NEXT) | instid1(VALU_DEP_4)
	v_fma_f64 v[4:5], v[4:5], v[34:35], v[14:15]
	v_fma_f64 v[2:3], v[2:3], v[34:35], -v[16:17]
	s_delay_alu instid0(VALU_DEP_4) | instskip(NEXT) | instid1(VALU_DEP_4)
	v_add_f64 v[6:7], v[6:7], v[10:11]
	v_add_f64 v[8:9], v[8:9], v[12:13]
	s_delay_alu instid0(VALU_DEP_2) | instskip(NEXT) | instid1(VALU_DEP_2)
	v_add_f64 v[2:3], v[6:7], v[2:3]
	v_add_f64 v[4:5], v[8:9], v[4:5]
	s_delay_alu instid0(VALU_DEP_2) | instskip(NEXT) | instid1(VALU_DEP_2)
	v_add_f64 v[2:3], v[42:43], -v[2:3]
	v_add_f64 v[4:5], v[44:45], -v[4:5]
	scratch_store_b128 off, v[2:5], off offset:192
	v_cmpx_lt_u32_e32 11, v150
	s_cbranch_execz .LBB51_303
; %bb.302:
	scratch_load_b128 v[5:8], v191, off
	v_mov_b32_e32 v2, v1
	v_mov_b32_e32 v3, v1
	;; [unrolled: 1-line block ×3, first 2 shown]
	scratch_store_b128 off, v[1:4], off offset:176
	s_waitcnt vmcnt(0)
	ds_store_b128 v202, v[5:8]
.LBB51_303:
	s_or_b32 exec_lo, exec_lo, s2
	s_waitcnt lgkmcnt(0)
	s_waitcnt_vscnt null, 0x0
	s_barrier
	buffer_gl0_inv
	s_clause 0x8
	scratch_load_b128 v[2:5], off, off offset:192
	scratch_load_b128 v[6:9], off, off offset:208
	;; [unrolled: 1-line block ×9, first 2 shown]
	ds_load_b128 v[42:45], v1 offset:1024
	ds_load_b128 v[38:41], v1 offset:1040
	s_clause 0x1
	scratch_load_b128 v[152:155], off, off offset:176
	scratch_load_b128 v[163:166], off, off offset:336
	s_mov_b32 s2, exec_lo
	ds_load_b128 v[215:218], v1 offset:1072
	s_waitcnt vmcnt(10) lgkmcnt(2)
	v_mul_f64 v[156:157], v[44:45], v[4:5]
	v_mul_f64 v[4:5], v[42:43], v[4:5]
	s_waitcnt vmcnt(9) lgkmcnt(1)
	v_mul_f64 v[219:220], v[38:39], v[8:9]
	v_mul_f64 v[8:9], v[40:41], v[8:9]
	s_delay_alu instid0(VALU_DEP_4) | instskip(NEXT) | instid1(VALU_DEP_4)
	v_fma_f64 v[156:157], v[42:43], v[2:3], -v[156:157]
	v_fma_f64 v[221:222], v[44:45], v[2:3], v[4:5]
	ds_load_b128 v[2:5], v1 offset:1056
	scratch_load_b128 v[42:45], off, off offset:352
	v_fma_f64 v[40:41], v[40:41], v[6:7], v[219:220]
	v_fma_f64 v[38:39], v[38:39], v[6:7], -v[8:9]
	scratch_load_b128 v[6:9], off, off offset:368
	s_waitcnt vmcnt(10) lgkmcnt(0)
	v_mul_f64 v[223:224], v[2:3], v[12:13]
	v_mul_f64 v[12:13], v[4:5], v[12:13]
	v_add_f64 v[156:157], v[156:157], 0
	v_add_f64 v[219:220], v[221:222], 0
	s_waitcnt vmcnt(9)
	v_mul_f64 v[221:222], v[215:216], v[16:17]
	v_mul_f64 v[16:17], v[217:218], v[16:17]
	v_fma_f64 v[223:224], v[4:5], v[10:11], v[223:224]
	v_fma_f64 v[225:226], v[2:3], v[10:11], -v[12:13]
	ds_load_b128 v[2:5], v1 offset:1088
	scratch_load_b128 v[10:13], off, off offset:384
	v_add_f64 v[156:157], v[156:157], v[38:39]
	v_add_f64 v[219:220], v[219:220], v[40:41]
	ds_load_b128 v[38:41], v1 offset:1104
	v_fma_f64 v[217:218], v[217:218], v[14:15], v[221:222]
	v_fma_f64 v[215:216], v[215:216], v[14:15], -v[16:17]
	scratch_load_b128 v[14:17], off, off offset:400
	s_waitcnt vmcnt(10) lgkmcnt(1)
	v_mul_f64 v[227:228], v[2:3], v[20:21]
	v_mul_f64 v[20:21], v[4:5], v[20:21]
	s_waitcnt vmcnt(9) lgkmcnt(0)
	v_mul_f64 v[221:222], v[38:39], v[24:25]
	v_mul_f64 v[24:25], v[40:41], v[24:25]
	v_add_f64 v[156:157], v[156:157], v[225:226]
	v_add_f64 v[219:220], v[219:220], v[223:224]
	v_fma_f64 v[223:224], v[4:5], v[18:19], v[227:228]
	v_fma_f64 v[225:226], v[2:3], v[18:19], -v[20:21]
	ds_load_b128 v[2:5], v1 offset:1120
	scratch_load_b128 v[18:21], off, off offset:416
	v_fma_f64 v[40:41], v[40:41], v[22:23], v[221:222]
	v_fma_f64 v[38:39], v[38:39], v[22:23], -v[24:25]
	scratch_load_b128 v[22:25], off, off offset:432
	v_add_f64 v[156:157], v[156:157], v[215:216]
	v_add_f64 v[219:220], v[219:220], v[217:218]
	ds_load_b128 v[215:218], v1 offset:1136
	s_waitcnt vmcnt(10) lgkmcnt(1)
	v_mul_f64 v[227:228], v[2:3], v[28:29]
	v_mul_f64 v[28:29], v[4:5], v[28:29]
	s_waitcnt vmcnt(9) lgkmcnt(0)
	v_mul_f64 v[221:222], v[215:216], v[32:33]
	v_mul_f64 v[32:33], v[217:218], v[32:33]
	v_add_f64 v[156:157], v[156:157], v[225:226]
	v_add_f64 v[219:220], v[219:220], v[223:224]
	v_fma_f64 v[223:224], v[4:5], v[26:27], v[227:228]
	v_fma_f64 v[225:226], v[2:3], v[26:27], -v[28:29]
	ds_load_b128 v[2:5], v1 offset:1152
	scratch_load_b128 v[26:29], off, off offset:448
	v_fma_f64 v[217:218], v[217:218], v[30:31], v[221:222]
	v_fma_f64 v[215:216], v[215:216], v[30:31], -v[32:33]
	scratch_load_b128 v[30:33], off, off offset:464
	v_add_f64 v[156:157], v[156:157], v[38:39]
	v_add_f64 v[219:220], v[219:220], v[40:41]
	ds_load_b128 v[38:41], v1 offset:1168
	;; [unrolled: 18-line block ×3, first 2 shown]
	s_waitcnt vmcnt(9) lgkmcnt(1)
	v_mul_f64 v[227:228], v[2:3], v[44:45]
	v_mul_f64 v[44:45], v[4:5], v[44:45]
	v_add_f64 v[156:157], v[156:157], v[225:226]
	v_add_f64 v[165:166], v[219:220], v[223:224]
	s_waitcnt vmcnt(8) lgkmcnt(0)
	v_mul_f64 v[219:220], v[215:216], v[8:9]
	v_mul_f64 v[8:9], v[217:218], v[8:9]
	v_fma_f64 v[223:224], v[4:5], v[42:43], v[227:228]
	v_fma_f64 v[225:226], v[2:3], v[42:43], -v[44:45]
	ds_load_b128 v[2:5], v1 offset:1216
	scratch_load_b128 v[42:45], off, off offset:512
	v_add_f64 v[156:157], v[156:157], v[163:164]
	v_add_f64 v[221:222], v[165:166], v[221:222]
	ds_load_b128 v[163:166], v1 offset:1232
	s_waitcnt vmcnt(8) lgkmcnt(1)
	v_mul_f64 v[227:228], v[2:3], v[12:13]
	v_mul_f64 v[12:13], v[4:5], v[12:13]
	v_fma_f64 v[217:218], v[217:218], v[6:7], v[219:220]
	v_fma_f64 v[215:216], v[215:216], v[6:7], -v[8:9]
	scratch_load_b128 v[6:9], off, off offset:528
	v_add_f64 v[156:157], v[156:157], v[225:226]
	v_add_f64 v[219:220], v[221:222], v[223:224]
	s_waitcnt vmcnt(8) lgkmcnt(0)
	v_mul_f64 v[221:222], v[163:164], v[16:17]
	v_mul_f64 v[16:17], v[165:166], v[16:17]
	v_fma_f64 v[223:224], v[4:5], v[10:11], v[227:228]
	v_fma_f64 v[225:226], v[2:3], v[10:11], -v[12:13]
	ds_load_b128 v[2:5], v1 offset:1248
	scratch_load_b128 v[10:13], off, off offset:544
	v_add_f64 v[156:157], v[156:157], v[215:216]
	v_add_f64 v[219:220], v[219:220], v[217:218]
	ds_load_b128 v[215:218], v1 offset:1264
	s_waitcnt vmcnt(8) lgkmcnt(1)
	v_mul_f64 v[227:228], v[2:3], v[20:21]
	v_mul_f64 v[20:21], v[4:5], v[20:21]
	v_fma_f64 v[165:166], v[165:166], v[14:15], v[221:222]
	v_fma_f64 v[163:164], v[163:164], v[14:15], -v[16:17]
	scratch_load_b128 v[14:17], off, off offset:560
	s_waitcnt vmcnt(8) lgkmcnt(0)
	v_mul_f64 v[221:222], v[215:216], v[24:25]
	v_mul_f64 v[24:25], v[217:218], v[24:25]
	v_add_f64 v[156:157], v[156:157], v[225:226]
	v_add_f64 v[219:220], v[219:220], v[223:224]
	v_fma_f64 v[223:224], v[4:5], v[18:19], v[227:228]
	v_fma_f64 v[225:226], v[2:3], v[18:19], -v[20:21]
	ds_load_b128 v[2:5], v1 offset:1280
	scratch_load_b128 v[18:21], off, off offset:576
	v_fma_f64 v[217:218], v[217:218], v[22:23], v[221:222]
	v_fma_f64 v[215:216], v[215:216], v[22:23], -v[24:25]
	scratch_load_b128 v[22:25], off, off offset:592
	v_add_f64 v[156:157], v[156:157], v[163:164]
	v_add_f64 v[219:220], v[219:220], v[165:166]
	ds_load_b128 v[163:166], v1 offset:1296
	s_waitcnt vmcnt(9) lgkmcnt(1)
	v_mul_f64 v[227:228], v[2:3], v[28:29]
	v_mul_f64 v[28:29], v[4:5], v[28:29]
	s_waitcnt vmcnt(8) lgkmcnt(0)
	v_mul_f64 v[221:222], v[163:164], v[32:33]
	v_mul_f64 v[32:33], v[165:166], v[32:33]
	v_add_f64 v[156:157], v[156:157], v[225:226]
	v_add_f64 v[219:220], v[219:220], v[223:224]
	v_fma_f64 v[223:224], v[4:5], v[26:27], v[227:228]
	v_fma_f64 v[225:226], v[2:3], v[26:27], -v[28:29]
	ds_load_b128 v[2:5], v1 offset:1312
	scratch_load_b128 v[26:29], off, off offset:608
	v_fma_f64 v[165:166], v[165:166], v[30:31], v[221:222]
	v_fma_f64 v[163:164], v[163:164], v[30:31], -v[32:33]
	scratch_load_b128 v[30:33], off, off offset:624
	v_add_f64 v[156:157], v[156:157], v[215:216]
	v_add_f64 v[219:220], v[219:220], v[217:218]
	ds_load_b128 v[215:218], v1 offset:1328
	s_waitcnt vmcnt(9) lgkmcnt(1)
	v_mul_f64 v[227:228], v[2:3], v[36:37]
	v_mul_f64 v[36:37], v[4:5], v[36:37]
	;; [unrolled: 18-line block ×8, first 2 shown]
	s_waitcnt vmcnt(8) lgkmcnt(0)
	v_mul_f64 v[221:222], v[215:216], v[8:9]
	v_mul_f64 v[8:9], v[217:218], v[8:9]
	v_add_f64 v[156:157], v[156:157], v[225:226]
	v_add_f64 v[219:220], v[219:220], v[223:224]
	v_fma_f64 v[223:224], v[4:5], v[42:43], v[227:228]
	v_fma_f64 v[225:226], v[2:3], v[42:43], -v[44:45]
	ds_load_b128 v[2:5], v1 offset:1536
	ds_load_b128 v[42:45], v1 offset:1552
	v_fma_f64 v[217:218], v[217:218], v[6:7], v[221:222]
	v_fma_f64 v[6:7], v[215:216], v[6:7], -v[8:9]
	v_add_f64 v[156:157], v[156:157], v[163:164]
	v_add_f64 v[163:164], v[219:220], v[165:166]
	s_waitcnt vmcnt(7) lgkmcnt(1)
	v_mul_f64 v[165:166], v[2:3], v[12:13]
	v_mul_f64 v[12:13], v[4:5], v[12:13]
	s_delay_alu instid0(VALU_DEP_4) | instskip(NEXT) | instid1(VALU_DEP_4)
	v_add_f64 v[8:9], v[156:157], v[225:226]
	v_add_f64 v[156:157], v[163:164], v[223:224]
	s_waitcnt vmcnt(6) lgkmcnt(0)
	v_mul_f64 v[163:164], v[42:43], v[16:17]
	v_mul_f64 v[16:17], v[44:45], v[16:17]
	v_fma_f64 v[165:166], v[4:5], v[10:11], v[165:166]
	v_fma_f64 v[10:11], v[2:3], v[10:11], -v[12:13]
	v_add_f64 v[12:13], v[8:9], v[6:7]
	v_add_f64 v[156:157], v[156:157], v[217:218]
	ds_load_b128 v[2:5], v1 offset:1568
	ds_load_b128 v[6:9], v1 offset:1584
	v_fma_f64 v[44:45], v[44:45], v[14:15], v[163:164]
	v_fma_f64 v[14:15], v[42:43], v[14:15], -v[16:17]
	s_waitcnt vmcnt(5) lgkmcnt(1)
	v_mul_f64 v[215:216], v[2:3], v[20:21]
	v_mul_f64 v[20:21], v[4:5], v[20:21]
	s_waitcnt vmcnt(4) lgkmcnt(0)
	v_mul_f64 v[16:17], v[6:7], v[24:25]
	v_mul_f64 v[24:25], v[8:9], v[24:25]
	v_add_f64 v[10:11], v[12:13], v[10:11]
	v_add_f64 v[12:13], v[156:157], v[165:166]
	v_fma_f64 v[42:43], v[4:5], v[18:19], v[215:216]
	v_fma_f64 v[18:19], v[2:3], v[18:19], -v[20:21]
	v_fma_f64 v[8:9], v[8:9], v[22:23], v[16:17]
	v_fma_f64 v[6:7], v[6:7], v[22:23], -v[24:25]
	v_add_f64 v[14:15], v[10:11], v[14:15]
	v_add_f64 v[20:21], v[12:13], v[44:45]
	ds_load_b128 v[2:5], v1 offset:1600
	ds_load_b128 v[10:13], v1 offset:1616
	s_waitcnt vmcnt(3) lgkmcnt(1)
	v_mul_f64 v[44:45], v[2:3], v[28:29]
	v_mul_f64 v[28:29], v[4:5], v[28:29]
	v_add_f64 v[14:15], v[14:15], v[18:19]
	v_add_f64 v[16:17], v[20:21], v[42:43]
	s_waitcnt vmcnt(2) lgkmcnt(0)
	v_mul_f64 v[18:19], v[10:11], v[32:33]
	v_mul_f64 v[20:21], v[12:13], v[32:33]
	v_fma_f64 v[22:23], v[4:5], v[26:27], v[44:45]
	v_fma_f64 v[24:25], v[2:3], v[26:27], -v[28:29]
	v_add_f64 v[14:15], v[14:15], v[6:7]
	v_add_f64 v[16:17], v[16:17], v[8:9]
	ds_load_b128 v[2:5], v1 offset:1632
	ds_load_b128 v[6:9], v1 offset:1648
	v_fma_f64 v[12:13], v[12:13], v[30:31], v[18:19]
	v_fma_f64 v[10:11], v[10:11], v[30:31], -v[20:21]
	s_waitcnt vmcnt(1) lgkmcnt(1)
	v_mul_f64 v[26:27], v[2:3], v[36:37]
	v_mul_f64 v[28:29], v[4:5], v[36:37]
	s_waitcnt vmcnt(0) lgkmcnt(0)
	v_mul_f64 v[18:19], v[6:7], v[40:41]
	v_mul_f64 v[20:21], v[8:9], v[40:41]
	v_add_f64 v[14:15], v[14:15], v[24:25]
	v_add_f64 v[16:17], v[16:17], v[22:23]
	v_fma_f64 v[4:5], v[4:5], v[34:35], v[26:27]
	v_fma_f64 v[1:2], v[2:3], v[34:35], -v[28:29]
	v_fma_f64 v[8:9], v[8:9], v[38:39], v[18:19]
	v_fma_f64 v[6:7], v[6:7], v[38:39], -v[20:21]
	v_add_f64 v[10:11], v[14:15], v[10:11]
	v_add_f64 v[12:13], v[16:17], v[12:13]
	s_delay_alu instid0(VALU_DEP_2) | instskip(NEXT) | instid1(VALU_DEP_2)
	v_add_f64 v[1:2], v[10:11], v[1:2]
	v_add_f64 v[3:4], v[12:13], v[4:5]
	s_delay_alu instid0(VALU_DEP_2) | instskip(NEXT) | instid1(VALU_DEP_2)
	;; [unrolled: 3-line block ×3, first 2 shown]
	v_add_f64 v[1:2], v[152:153], -v[1:2]
	v_add_f64 v[3:4], v[154:155], -v[3:4]
	scratch_store_b128 off, v[1:4], off offset:176
	v_cmpx_lt_u32_e32 10, v150
	s_cbranch_execz .LBB51_305
; %bb.304:
	scratch_load_b128 v[1:4], v192, off
	v_mov_b32_e32 v5, 0
	s_delay_alu instid0(VALU_DEP_1)
	v_mov_b32_e32 v6, v5
	v_mov_b32_e32 v7, v5
	;; [unrolled: 1-line block ×3, first 2 shown]
	scratch_store_b128 off, v[5:8], off offset:160
	s_waitcnt vmcnt(0)
	ds_store_b128 v202, v[1:4]
.LBB51_305:
	s_or_b32 exec_lo, exec_lo, s2
	s_waitcnt lgkmcnt(0)
	s_waitcnt_vscnt null, 0x0
	s_barrier
	buffer_gl0_inv
	s_clause 0x7
	scratch_load_b128 v[2:5], off, off offset:176
	scratch_load_b128 v[6:9], off, off offset:192
	;; [unrolled: 1-line block ×8, first 2 shown]
	v_mov_b32_e32 v1, 0
	s_mov_b32 s2, exec_lo
	ds_load_b128 v[38:41], v1 offset:1008
	s_clause 0x1
	scratch_load_b128 v[34:37], off, off offset:304
	scratch_load_b128 v[42:45], off, off offset:160
	ds_load_b128 v[152:155], v1 offset:1024
	scratch_load_b128 v[163:166], off, off offset:320
	ds_load_b128 v[215:218], v1 offset:1056
	s_waitcnt vmcnt(10) lgkmcnt(2)
	v_mul_f64 v[156:157], v[40:41], v[4:5]
	v_mul_f64 v[4:5], v[38:39], v[4:5]
	s_delay_alu instid0(VALU_DEP_2) | instskip(NEXT) | instid1(VALU_DEP_2)
	v_fma_f64 v[156:157], v[38:39], v[2:3], -v[156:157]
	v_fma_f64 v[221:222], v[40:41], v[2:3], v[4:5]
	ds_load_b128 v[2:5], v1 offset:1040
	s_waitcnt vmcnt(9) lgkmcnt(2)
	v_mul_f64 v[219:220], v[152:153], v[8:9]
	v_mul_f64 v[8:9], v[154:155], v[8:9]
	scratch_load_b128 v[38:41], off, off offset:336
	s_waitcnt vmcnt(9) lgkmcnt(0)
	v_mul_f64 v[223:224], v[2:3], v[12:13]
	v_mul_f64 v[12:13], v[4:5], v[12:13]
	v_add_f64 v[156:157], v[156:157], 0
	v_fma_f64 v[154:155], v[154:155], v[6:7], v[219:220]
	v_fma_f64 v[152:153], v[152:153], v[6:7], -v[8:9]
	v_add_f64 v[219:220], v[221:222], 0
	scratch_load_b128 v[6:9], off, off offset:352
	v_fma_f64 v[223:224], v[4:5], v[10:11], v[223:224]
	v_fma_f64 v[225:226], v[2:3], v[10:11], -v[12:13]
	scratch_load_b128 v[10:13], off, off offset:368
	ds_load_b128 v[2:5], v1 offset:1072
	s_waitcnt vmcnt(10)
	v_mul_f64 v[221:222], v[215:216], v[16:17]
	v_mul_f64 v[16:17], v[217:218], v[16:17]
	v_add_f64 v[156:157], v[156:157], v[152:153]
	v_add_f64 v[219:220], v[219:220], v[154:155]
	ds_load_b128 v[152:155], v1 offset:1088
	s_waitcnt vmcnt(9) lgkmcnt(1)
	v_mul_f64 v[227:228], v[2:3], v[20:21]
	v_mul_f64 v[20:21], v[4:5], v[20:21]
	v_fma_f64 v[217:218], v[217:218], v[14:15], v[221:222]
	v_fma_f64 v[215:216], v[215:216], v[14:15], -v[16:17]
	scratch_load_b128 v[14:17], off, off offset:384
	v_add_f64 v[156:157], v[156:157], v[225:226]
	v_add_f64 v[219:220], v[219:220], v[223:224]
	v_fma_f64 v[223:224], v[4:5], v[18:19], v[227:228]
	v_fma_f64 v[225:226], v[2:3], v[18:19], -v[20:21]
	scratch_load_b128 v[18:21], off, off offset:400
	ds_load_b128 v[2:5], v1 offset:1104
	s_waitcnt vmcnt(10) lgkmcnt(1)
	v_mul_f64 v[221:222], v[152:153], v[24:25]
	v_mul_f64 v[24:25], v[154:155], v[24:25]
	s_waitcnt vmcnt(9) lgkmcnt(0)
	v_mul_f64 v[227:228], v[2:3], v[28:29]
	v_mul_f64 v[28:29], v[4:5], v[28:29]
	v_add_f64 v[156:157], v[156:157], v[215:216]
	v_add_f64 v[219:220], v[219:220], v[217:218]
	ds_load_b128 v[215:218], v1 offset:1120
	v_fma_f64 v[154:155], v[154:155], v[22:23], v[221:222]
	v_fma_f64 v[152:153], v[152:153], v[22:23], -v[24:25]
	scratch_load_b128 v[22:25], off, off offset:416
	v_add_f64 v[156:157], v[156:157], v[225:226]
	v_add_f64 v[219:220], v[219:220], v[223:224]
	v_fma_f64 v[223:224], v[4:5], v[26:27], v[227:228]
	v_fma_f64 v[225:226], v[2:3], v[26:27], -v[28:29]
	scratch_load_b128 v[26:29], off, off offset:432
	ds_load_b128 v[2:5], v1 offset:1136
	s_waitcnt vmcnt(10) lgkmcnt(1)
	v_mul_f64 v[221:222], v[215:216], v[32:33]
	v_mul_f64 v[32:33], v[217:218], v[32:33]
	s_waitcnt vmcnt(9) lgkmcnt(0)
	v_mul_f64 v[227:228], v[2:3], v[36:37]
	v_mul_f64 v[36:37], v[4:5], v[36:37]
	v_add_f64 v[156:157], v[156:157], v[152:153]
	v_add_f64 v[219:220], v[219:220], v[154:155]
	ds_load_b128 v[152:155], v1 offset:1152
	v_fma_f64 v[217:218], v[217:218], v[30:31], v[221:222]
	v_fma_f64 v[215:216], v[215:216], v[30:31], -v[32:33]
	scratch_load_b128 v[30:33], off, off offset:448
	v_add_f64 v[156:157], v[156:157], v[225:226]
	v_add_f64 v[219:220], v[219:220], v[223:224]
	v_fma_f64 v[223:224], v[4:5], v[34:35], v[227:228]
	v_fma_f64 v[225:226], v[2:3], v[34:35], -v[36:37]
	scratch_load_b128 v[34:37], off, off offset:464
	ds_load_b128 v[2:5], v1 offset:1168
	s_waitcnt vmcnt(9) lgkmcnt(1)
	v_mul_f64 v[221:222], v[152:153], v[165:166]
	v_mul_f64 v[165:166], v[154:155], v[165:166]
	v_add_f64 v[156:157], v[156:157], v[215:216]
	v_add_f64 v[219:220], v[219:220], v[217:218]
	ds_load_b128 v[215:218], v1 offset:1184
	v_fma_f64 v[221:222], v[154:155], v[163:164], v[221:222]
	v_fma_f64 v[163:164], v[152:153], v[163:164], -v[165:166]
	scratch_load_b128 v[152:155], off, off offset:480
	s_waitcnt vmcnt(9) lgkmcnt(1)
	v_mul_f64 v[227:228], v[2:3], v[40:41]
	v_mul_f64 v[40:41], v[4:5], v[40:41]
	v_add_f64 v[156:157], v[156:157], v[225:226]
	v_add_f64 v[165:166], v[219:220], v[223:224]
	s_delay_alu instid0(VALU_DEP_4) | instskip(NEXT) | instid1(VALU_DEP_4)
	v_fma_f64 v[223:224], v[4:5], v[38:39], v[227:228]
	v_fma_f64 v[225:226], v[2:3], v[38:39], -v[40:41]
	scratch_load_b128 v[38:41], off, off offset:496
	ds_load_b128 v[2:5], v1 offset:1200
	s_waitcnt vmcnt(9) lgkmcnt(1)
	v_mul_f64 v[219:220], v[215:216], v[8:9]
	v_mul_f64 v[8:9], v[217:218], v[8:9]
	v_add_f64 v[156:157], v[156:157], v[163:164]
	v_add_f64 v[221:222], v[165:166], v[221:222]
	s_waitcnt vmcnt(8) lgkmcnt(0)
	v_mul_f64 v[227:228], v[2:3], v[12:13]
	v_mul_f64 v[12:13], v[4:5], v[12:13]
	ds_load_b128 v[163:166], v1 offset:1216
	v_fma_f64 v[217:218], v[217:218], v[6:7], v[219:220]
	v_fma_f64 v[215:216], v[215:216], v[6:7], -v[8:9]
	scratch_load_b128 v[6:9], off, off offset:512
	v_add_f64 v[156:157], v[156:157], v[225:226]
	v_add_f64 v[219:220], v[221:222], v[223:224]
	v_fma_f64 v[223:224], v[4:5], v[10:11], v[227:228]
	v_fma_f64 v[225:226], v[2:3], v[10:11], -v[12:13]
	scratch_load_b128 v[10:13], off, off offset:528
	ds_load_b128 v[2:5], v1 offset:1232
	s_waitcnt vmcnt(9) lgkmcnt(1)
	v_mul_f64 v[221:222], v[163:164], v[16:17]
	v_mul_f64 v[16:17], v[165:166], v[16:17]
	s_waitcnt vmcnt(8) lgkmcnt(0)
	v_mul_f64 v[227:228], v[2:3], v[20:21]
	v_mul_f64 v[20:21], v[4:5], v[20:21]
	v_add_f64 v[156:157], v[156:157], v[215:216]
	v_add_f64 v[219:220], v[219:220], v[217:218]
	ds_load_b128 v[215:218], v1 offset:1248
	v_fma_f64 v[165:166], v[165:166], v[14:15], v[221:222]
	v_fma_f64 v[163:164], v[163:164], v[14:15], -v[16:17]
	scratch_load_b128 v[14:17], off, off offset:544
	v_add_f64 v[156:157], v[156:157], v[225:226]
	v_add_f64 v[219:220], v[219:220], v[223:224]
	v_fma_f64 v[223:224], v[4:5], v[18:19], v[227:228]
	v_fma_f64 v[225:226], v[2:3], v[18:19], -v[20:21]
	scratch_load_b128 v[18:21], off, off offset:560
	ds_load_b128 v[2:5], v1 offset:1264
	s_waitcnt vmcnt(9) lgkmcnt(1)
	v_mul_f64 v[221:222], v[215:216], v[24:25]
	v_mul_f64 v[24:25], v[217:218], v[24:25]
	s_waitcnt vmcnt(8) lgkmcnt(0)
	v_mul_f64 v[227:228], v[2:3], v[28:29]
	v_mul_f64 v[28:29], v[4:5], v[28:29]
	v_add_f64 v[156:157], v[156:157], v[163:164]
	v_add_f64 v[219:220], v[219:220], v[165:166]
	;; [unrolled: 18-line block ×3, first 2 shown]
	ds_load_b128 v[215:218], v1 offset:1312
	v_fma_f64 v[165:166], v[165:166], v[30:31], v[221:222]
	v_fma_f64 v[163:164], v[163:164], v[30:31], -v[32:33]
	scratch_load_b128 v[30:33], off, off offset:608
	v_add_f64 v[156:157], v[156:157], v[225:226]
	v_add_f64 v[219:220], v[219:220], v[223:224]
	v_fma_f64 v[225:226], v[4:5], v[34:35], v[227:228]
	v_fma_f64 v[227:228], v[2:3], v[34:35], -v[36:37]
	scratch_load_b128 v[34:37], off, off offset:624
	ds_load_b128 v[2:5], v1 offset:1328
	s_waitcnt vmcnt(9) lgkmcnt(1)
	v_mul_f64 v[221:222], v[215:216], v[154:155]
	v_mul_f64 v[223:224], v[217:218], v[154:155]
	v_add_f64 v[163:164], v[156:157], v[163:164]
	v_add_f64 v[165:166], v[219:220], v[165:166]
	s_waitcnt vmcnt(8) lgkmcnt(0)
	v_mul_f64 v[219:220], v[2:3], v[40:41]
	v_mul_f64 v[40:41], v[4:5], v[40:41]
	ds_load_b128 v[154:157], v1 offset:1344
	v_fma_f64 v[217:218], v[217:218], v[152:153], v[221:222]
	v_fma_f64 v[152:153], v[215:216], v[152:153], -v[223:224]
	v_add_f64 v[215:216], v[163:164], v[227:228]
	v_add_f64 v[221:222], v[165:166], v[225:226]
	scratch_load_b128 v[163:166], off, off offset:640
	v_fma_f64 v[219:220], v[4:5], v[38:39], v[219:220]
	v_fma_f64 v[225:226], v[2:3], v[38:39], -v[40:41]
	scratch_load_b128 v[38:41], off, off offset:656
	ds_load_b128 v[2:5], v1 offset:1360
	s_waitcnt vmcnt(9) lgkmcnt(1)
	v_mul_f64 v[223:224], v[154:155], v[8:9]
	v_mul_f64 v[8:9], v[156:157], v[8:9]
	s_waitcnt vmcnt(8) lgkmcnt(0)
	v_mul_f64 v[227:228], v[2:3], v[12:13]
	v_mul_f64 v[12:13], v[4:5], v[12:13]
	v_add_f64 v[152:153], v[215:216], v[152:153]
	v_add_f64 v[221:222], v[221:222], v[217:218]
	ds_load_b128 v[215:218], v1 offset:1376
	v_fma_f64 v[156:157], v[156:157], v[6:7], v[223:224]
	v_fma_f64 v[154:155], v[154:155], v[6:7], -v[8:9]
	scratch_load_b128 v[6:9], off, off offset:672
	v_fma_f64 v[223:224], v[4:5], v[10:11], v[227:228]
	v_add_f64 v[152:153], v[152:153], v[225:226]
	v_add_f64 v[219:220], v[221:222], v[219:220]
	v_fma_f64 v[225:226], v[2:3], v[10:11], -v[12:13]
	scratch_load_b128 v[10:13], off, off offset:688
	ds_load_b128 v[2:5], v1 offset:1392
	s_waitcnt vmcnt(9) lgkmcnt(1)
	v_mul_f64 v[221:222], v[215:216], v[16:17]
	v_mul_f64 v[16:17], v[217:218], v[16:17]
	v_add_f64 v[227:228], v[152:153], v[154:155]
	v_add_f64 v[156:157], v[219:220], v[156:157]
	s_waitcnt vmcnt(8) lgkmcnt(0)
	v_mul_f64 v[219:220], v[2:3], v[20:21]
	v_mul_f64 v[20:21], v[4:5], v[20:21]
	ds_load_b128 v[152:155], v1 offset:1408
	v_fma_f64 v[217:218], v[217:218], v[14:15], v[221:222]
	v_fma_f64 v[215:216], v[215:216], v[14:15], -v[16:17]
	scratch_load_b128 v[14:17], off, off offset:704
	v_add_f64 v[221:222], v[227:228], v[225:226]
	v_add_f64 v[156:157], v[156:157], v[223:224]
	v_fma_f64 v[219:220], v[4:5], v[18:19], v[219:220]
	v_fma_f64 v[225:226], v[2:3], v[18:19], -v[20:21]
	scratch_load_b128 v[18:21], off, off offset:720
	ds_load_b128 v[2:5], v1 offset:1424
	s_waitcnt vmcnt(9) lgkmcnt(1)
	v_mul_f64 v[223:224], v[152:153], v[24:25]
	v_mul_f64 v[24:25], v[154:155], v[24:25]
	s_waitcnt vmcnt(8) lgkmcnt(0)
	v_mul_f64 v[227:228], v[2:3], v[28:29]
	v_mul_f64 v[28:29], v[4:5], v[28:29]
	v_add_f64 v[221:222], v[221:222], v[215:216]
	v_add_f64 v[156:157], v[156:157], v[217:218]
	ds_load_b128 v[215:218], v1 offset:1440
	v_fma_f64 v[154:155], v[154:155], v[22:23], v[223:224]
	v_fma_f64 v[152:153], v[152:153], v[22:23], -v[24:25]
	scratch_load_b128 v[22:25], off, off offset:736
	v_fma_f64 v[223:224], v[4:5], v[26:27], v[227:228]
	v_add_f64 v[221:222], v[221:222], v[225:226]
	v_add_f64 v[156:157], v[156:157], v[219:220]
	v_fma_f64 v[225:226], v[2:3], v[26:27], -v[28:29]
	scratch_load_b128 v[26:29], off, off offset:752
	ds_load_b128 v[2:5], v1 offset:1456
	s_waitcnt vmcnt(9) lgkmcnt(1)
	v_mul_f64 v[219:220], v[215:216], v[32:33]
	v_mul_f64 v[32:33], v[217:218], v[32:33]
	s_waitcnt vmcnt(8) lgkmcnt(0)
	v_mul_f64 v[227:228], v[2:3], v[36:37]
	v_mul_f64 v[36:37], v[4:5], v[36:37]
	v_add_f64 v[221:222], v[221:222], v[152:153]
	v_add_f64 v[156:157], v[156:157], v[154:155]
	ds_load_b128 v[152:155], v1 offset:1472
	v_fma_f64 v[217:218], v[217:218], v[30:31], v[219:220]
	v_fma_f64 v[215:216], v[215:216], v[30:31], -v[32:33]
	scratch_load_b128 v[30:33], off, off offset:768
	v_add_f64 v[219:220], v[221:222], v[225:226]
	v_add_f64 v[156:157], v[156:157], v[223:224]
	v_fma_f64 v[223:224], v[4:5], v[34:35], v[227:228]
	v_fma_f64 v[225:226], v[2:3], v[34:35], -v[36:37]
	scratch_load_b128 v[34:37], off, off offset:784
	ds_load_b128 v[2:5], v1 offset:1488
	s_waitcnt vmcnt(9) lgkmcnt(1)
	v_mul_f64 v[221:222], v[152:153], v[165:166]
	v_mul_f64 v[165:166], v[154:155], v[165:166]
	s_waitcnt vmcnt(8) lgkmcnt(0)
	v_mul_f64 v[227:228], v[2:3], v[40:41]
	v_mul_f64 v[40:41], v[4:5], v[40:41]
	v_add_f64 v[219:220], v[219:220], v[215:216]
	v_add_f64 v[156:157], v[156:157], v[217:218]
	ds_load_b128 v[215:218], v1 offset:1504
	v_fma_f64 v[221:222], v[154:155], v[163:164], v[221:222]
	v_fma_f64 v[163:164], v[152:153], v[163:164], -v[165:166]
	scratch_load_b128 v[152:155], off, off offset:800
	v_add_f64 v[165:166], v[219:220], v[225:226]
	v_add_f64 v[156:157], v[156:157], v[223:224]
	v_fma_f64 v[223:224], v[4:5], v[38:39], v[227:228]
	v_fma_f64 v[225:226], v[2:3], v[38:39], -v[40:41]
	scratch_load_b128 v[38:41], off, off offset:816
	ds_load_b128 v[2:5], v1 offset:1520
	s_waitcnt vmcnt(9) lgkmcnt(1)
	v_mul_f64 v[219:220], v[215:216], v[8:9]
	v_mul_f64 v[8:9], v[217:218], v[8:9]
	v_add_f64 v[227:228], v[165:166], v[163:164]
	v_add_f64 v[156:157], v[156:157], v[221:222]
	s_waitcnt vmcnt(8) lgkmcnt(0)
	v_mul_f64 v[221:222], v[2:3], v[12:13]
	v_mul_f64 v[12:13], v[4:5], v[12:13]
	ds_load_b128 v[163:166], v1 offset:1536
	v_fma_f64 v[217:218], v[217:218], v[6:7], v[219:220]
	v_fma_f64 v[6:7], v[215:216], v[6:7], -v[8:9]
	s_waitcnt vmcnt(7) lgkmcnt(0)
	v_mul_f64 v[215:216], v[163:164], v[16:17]
	v_mul_f64 v[16:17], v[165:166], v[16:17]
	v_add_f64 v[8:9], v[227:228], v[225:226]
	v_add_f64 v[156:157], v[156:157], v[223:224]
	v_fma_f64 v[219:220], v[4:5], v[10:11], v[221:222]
	v_fma_f64 v[10:11], v[2:3], v[10:11], -v[12:13]
	v_fma_f64 v[165:166], v[165:166], v[14:15], v[215:216]
	v_fma_f64 v[14:15], v[163:164], v[14:15], -v[16:17]
	v_add_f64 v[12:13], v[8:9], v[6:7]
	v_add_f64 v[156:157], v[156:157], v[217:218]
	ds_load_b128 v[2:5], v1 offset:1552
	ds_load_b128 v[6:9], v1 offset:1568
	s_waitcnt vmcnt(6) lgkmcnt(1)
	v_mul_f64 v[217:218], v[2:3], v[20:21]
	v_mul_f64 v[20:21], v[4:5], v[20:21]
	s_waitcnt vmcnt(5) lgkmcnt(0)
	v_mul_f64 v[16:17], v[6:7], v[24:25]
	v_mul_f64 v[24:25], v[8:9], v[24:25]
	v_add_f64 v[10:11], v[12:13], v[10:11]
	v_add_f64 v[12:13], v[156:157], v[219:220]
	v_fma_f64 v[156:157], v[4:5], v[18:19], v[217:218]
	v_fma_f64 v[18:19], v[2:3], v[18:19], -v[20:21]
	v_fma_f64 v[8:9], v[8:9], v[22:23], v[16:17]
	v_fma_f64 v[6:7], v[6:7], v[22:23], -v[24:25]
	v_add_f64 v[14:15], v[10:11], v[14:15]
	v_add_f64 v[20:21], v[12:13], v[165:166]
	ds_load_b128 v[2:5], v1 offset:1584
	ds_load_b128 v[10:13], v1 offset:1600
	s_waitcnt vmcnt(4) lgkmcnt(1)
	v_mul_f64 v[163:164], v[2:3], v[28:29]
	v_mul_f64 v[28:29], v[4:5], v[28:29]
	v_add_f64 v[14:15], v[14:15], v[18:19]
	v_add_f64 v[16:17], v[20:21], v[156:157]
	s_waitcnt vmcnt(3) lgkmcnt(0)
	v_mul_f64 v[18:19], v[10:11], v[32:33]
	v_mul_f64 v[20:21], v[12:13], v[32:33]
	v_fma_f64 v[22:23], v[4:5], v[26:27], v[163:164]
	v_fma_f64 v[24:25], v[2:3], v[26:27], -v[28:29]
	v_add_f64 v[14:15], v[14:15], v[6:7]
	v_add_f64 v[16:17], v[16:17], v[8:9]
	ds_load_b128 v[2:5], v1 offset:1616
	ds_load_b128 v[6:9], v1 offset:1632
	v_fma_f64 v[12:13], v[12:13], v[30:31], v[18:19]
	v_fma_f64 v[10:11], v[10:11], v[30:31], -v[20:21]
	s_waitcnt vmcnt(2) lgkmcnt(1)
	v_mul_f64 v[26:27], v[2:3], v[36:37]
	v_mul_f64 v[28:29], v[4:5], v[36:37]
	s_waitcnt vmcnt(1) lgkmcnt(0)
	v_mul_f64 v[18:19], v[6:7], v[154:155]
	v_mul_f64 v[20:21], v[8:9], v[154:155]
	v_add_f64 v[14:15], v[14:15], v[24:25]
	v_add_f64 v[16:17], v[16:17], v[22:23]
	v_fma_f64 v[22:23], v[4:5], v[34:35], v[26:27]
	v_fma_f64 v[24:25], v[2:3], v[34:35], -v[28:29]
	ds_load_b128 v[2:5], v1 offset:1648
	v_fma_f64 v[8:9], v[8:9], v[152:153], v[18:19]
	v_fma_f64 v[6:7], v[6:7], v[152:153], -v[20:21]
	v_add_f64 v[10:11], v[14:15], v[10:11]
	v_add_f64 v[12:13], v[16:17], v[12:13]
	s_waitcnt vmcnt(0) lgkmcnt(0)
	v_mul_f64 v[14:15], v[2:3], v[40:41]
	v_mul_f64 v[16:17], v[4:5], v[40:41]
	s_delay_alu instid0(VALU_DEP_4) | instskip(NEXT) | instid1(VALU_DEP_4)
	v_add_f64 v[10:11], v[10:11], v[24:25]
	v_add_f64 v[12:13], v[12:13], v[22:23]
	s_delay_alu instid0(VALU_DEP_4) | instskip(NEXT) | instid1(VALU_DEP_4)
	v_fma_f64 v[4:5], v[4:5], v[38:39], v[14:15]
	v_fma_f64 v[2:3], v[2:3], v[38:39], -v[16:17]
	s_delay_alu instid0(VALU_DEP_4) | instskip(NEXT) | instid1(VALU_DEP_4)
	v_add_f64 v[6:7], v[10:11], v[6:7]
	v_add_f64 v[8:9], v[12:13], v[8:9]
	s_delay_alu instid0(VALU_DEP_2) | instskip(NEXT) | instid1(VALU_DEP_2)
	v_add_f64 v[2:3], v[6:7], v[2:3]
	v_add_f64 v[4:5], v[8:9], v[4:5]
	s_delay_alu instid0(VALU_DEP_2) | instskip(NEXT) | instid1(VALU_DEP_2)
	v_add_f64 v[2:3], v[42:43], -v[2:3]
	v_add_f64 v[4:5], v[44:45], -v[4:5]
	scratch_store_b128 off, v[2:5], off offset:160
	v_cmpx_lt_u32_e32 9, v150
	s_cbranch_execz .LBB51_307
; %bb.306:
	scratch_load_b128 v[5:8], v193, off
	v_mov_b32_e32 v2, v1
	v_mov_b32_e32 v3, v1
	;; [unrolled: 1-line block ×3, first 2 shown]
	scratch_store_b128 off, v[1:4], off offset:144
	s_waitcnt vmcnt(0)
	ds_store_b128 v202, v[5:8]
.LBB51_307:
	s_or_b32 exec_lo, exec_lo, s2
	s_waitcnt lgkmcnt(0)
	s_waitcnt_vscnt null, 0x0
	s_barrier
	buffer_gl0_inv
	s_clause 0x8
	scratch_load_b128 v[2:5], off, off offset:160
	scratch_load_b128 v[6:9], off, off offset:176
	;; [unrolled: 1-line block ×9, first 2 shown]
	ds_load_b128 v[42:45], v1 offset:992
	ds_load_b128 v[38:41], v1 offset:1008
	s_clause 0x1
	scratch_load_b128 v[152:155], off, off offset:144
	scratch_load_b128 v[163:166], off, off offset:304
	s_mov_b32 s2, exec_lo
	ds_load_b128 v[215:218], v1 offset:1040
	s_waitcnt vmcnt(10) lgkmcnt(2)
	v_mul_f64 v[156:157], v[44:45], v[4:5]
	v_mul_f64 v[4:5], v[42:43], v[4:5]
	s_waitcnt vmcnt(9) lgkmcnt(1)
	v_mul_f64 v[219:220], v[38:39], v[8:9]
	v_mul_f64 v[8:9], v[40:41], v[8:9]
	s_delay_alu instid0(VALU_DEP_4) | instskip(NEXT) | instid1(VALU_DEP_4)
	v_fma_f64 v[156:157], v[42:43], v[2:3], -v[156:157]
	v_fma_f64 v[221:222], v[44:45], v[2:3], v[4:5]
	ds_load_b128 v[2:5], v1 offset:1024
	scratch_load_b128 v[42:45], off, off offset:320
	v_fma_f64 v[40:41], v[40:41], v[6:7], v[219:220]
	v_fma_f64 v[38:39], v[38:39], v[6:7], -v[8:9]
	scratch_load_b128 v[6:9], off, off offset:336
	s_waitcnt vmcnt(10) lgkmcnt(0)
	v_mul_f64 v[223:224], v[2:3], v[12:13]
	v_mul_f64 v[12:13], v[4:5], v[12:13]
	v_add_f64 v[156:157], v[156:157], 0
	v_add_f64 v[219:220], v[221:222], 0
	s_waitcnt vmcnt(9)
	v_mul_f64 v[221:222], v[215:216], v[16:17]
	v_mul_f64 v[16:17], v[217:218], v[16:17]
	v_fma_f64 v[223:224], v[4:5], v[10:11], v[223:224]
	v_fma_f64 v[225:226], v[2:3], v[10:11], -v[12:13]
	ds_load_b128 v[2:5], v1 offset:1056
	scratch_load_b128 v[10:13], off, off offset:352
	v_add_f64 v[156:157], v[156:157], v[38:39]
	v_add_f64 v[219:220], v[219:220], v[40:41]
	ds_load_b128 v[38:41], v1 offset:1072
	v_fma_f64 v[217:218], v[217:218], v[14:15], v[221:222]
	v_fma_f64 v[215:216], v[215:216], v[14:15], -v[16:17]
	scratch_load_b128 v[14:17], off, off offset:368
	s_waitcnt vmcnt(10) lgkmcnt(1)
	v_mul_f64 v[227:228], v[2:3], v[20:21]
	v_mul_f64 v[20:21], v[4:5], v[20:21]
	s_waitcnt vmcnt(9) lgkmcnt(0)
	v_mul_f64 v[221:222], v[38:39], v[24:25]
	v_mul_f64 v[24:25], v[40:41], v[24:25]
	v_add_f64 v[156:157], v[156:157], v[225:226]
	v_add_f64 v[219:220], v[219:220], v[223:224]
	v_fma_f64 v[223:224], v[4:5], v[18:19], v[227:228]
	v_fma_f64 v[225:226], v[2:3], v[18:19], -v[20:21]
	ds_load_b128 v[2:5], v1 offset:1088
	scratch_load_b128 v[18:21], off, off offset:384
	v_fma_f64 v[40:41], v[40:41], v[22:23], v[221:222]
	v_fma_f64 v[38:39], v[38:39], v[22:23], -v[24:25]
	scratch_load_b128 v[22:25], off, off offset:400
	v_add_f64 v[156:157], v[156:157], v[215:216]
	v_add_f64 v[219:220], v[219:220], v[217:218]
	ds_load_b128 v[215:218], v1 offset:1104
	s_waitcnt vmcnt(10) lgkmcnt(1)
	v_mul_f64 v[227:228], v[2:3], v[28:29]
	v_mul_f64 v[28:29], v[4:5], v[28:29]
	s_waitcnt vmcnt(9) lgkmcnt(0)
	v_mul_f64 v[221:222], v[215:216], v[32:33]
	v_mul_f64 v[32:33], v[217:218], v[32:33]
	v_add_f64 v[156:157], v[156:157], v[225:226]
	v_add_f64 v[219:220], v[219:220], v[223:224]
	v_fma_f64 v[223:224], v[4:5], v[26:27], v[227:228]
	v_fma_f64 v[225:226], v[2:3], v[26:27], -v[28:29]
	ds_load_b128 v[2:5], v1 offset:1120
	scratch_load_b128 v[26:29], off, off offset:416
	v_fma_f64 v[217:218], v[217:218], v[30:31], v[221:222]
	v_fma_f64 v[215:216], v[215:216], v[30:31], -v[32:33]
	scratch_load_b128 v[30:33], off, off offset:432
	v_add_f64 v[156:157], v[156:157], v[38:39]
	v_add_f64 v[219:220], v[219:220], v[40:41]
	ds_load_b128 v[38:41], v1 offset:1136
	;; [unrolled: 18-line block ×3, first 2 shown]
	s_waitcnt vmcnt(9) lgkmcnt(1)
	v_mul_f64 v[227:228], v[2:3], v[44:45]
	v_mul_f64 v[44:45], v[4:5], v[44:45]
	v_add_f64 v[156:157], v[156:157], v[225:226]
	v_add_f64 v[165:166], v[219:220], v[223:224]
	s_waitcnt vmcnt(8) lgkmcnt(0)
	v_mul_f64 v[219:220], v[215:216], v[8:9]
	v_mul_f64 v[8:9], v[217:218], v[8:9]
	v_fma_f64 v[223:224], v[4:5], v[42:43], v[227:228]
	v_fma_f64 v[225:226], v[2:3], v[42:43], -v[44:45]
	ds_load_b128 v[2:5], v1 offset:1184
	scratch_load_b128 v[42:45], off, off offset:480
	v_add_f64 v[156:157], v[156:157], v[163:164]
	v_add_f64 v[221:222], v[165:166], v[221:222]
	ds_load_b128 v[163:166], v1 offset:1200
	s_waitcnt vmcnt(8) lgkmcnt(1)
	v_mul_f64 v[227:228], v[2:3], v[12:13]
	v_mul_f64 v[12:13], v[4:5], v[12:13]
	v_fma_f64 v[217:218], v[217:218], v[6:7], v[219:220]
	v_fma_f64 v[215:216], v[215:216], v[6:7], -v[8:9]
	scratch_load_b128 v[6:9], off, off offset:496
	v_add_f64 v[156:157], v[156:157], v[225:226]
	v_add_f64 v[219:220], v[221:222], v[223:224]
	s_waitcnt vmcnt(8) lgkmcnt(0)
	v_mul_f64 v[221:222], v[163:164], v[16:17]
	v_mul_f64 v[16:17], v[165:166], v[16:17]
	v_fma_f64 v[223:224], v[4:5], v[10:11], v[227:228]
	v_fma_f64 v[225:226], v[2:3], v[10:11], -v[12:13]
	ds_load_b128 v[2:5], v1 offset:1216
	scratch_load_b128 v[10:13], off, off offset:512
	v_add_f64 v[156:157], v[156:157], v[215:216]
	v_add_f64 v[219:220], v[219:220], v[217:218]
	ds_load_b128 v[215:218], v1 offset:1232
	s_waitcnt vmcnt(8) lgkmcnt(1)
	v_mul_f64 v[227:228], v[2:3], v[20:21]
	v_mul_f64 v[20:21], v[4:5], v[20:21]
	v_fma_f64 v[165:166], v[165:166], v[14:15], v[221:222]
	v_fma_f64 v[163:164], v[163:164], v[14:15], -v[16:17]
	scratch_load_b128 v[14:17], off, off offset:528
	s_waitcnt vmcnt(8) lgkmcnt(0)
	v_mul_f64 v[221:222], v[215:216], v[24:25]
	v_mul_f64 v[24:25], v[217:218], v[24:25]
	v_add_f64 v[156:157], v[156:157], v[225:226]
	v_add_f64 v[219:220], v[219:220], v[223:224]
	v_fma_f64 v[223:224], v[4:5], v[18:19], v[227:228]
	v_fma_f64 v[225:226], v[2:3], v[18:19], -v[20:21]
	ds_load_b128 v[2:5], v1 offset:1248
	scratch_load_b128 v[18:21], off, off offset:544
	v_fma_f64 v[217:218], v[217:218], v[22:23], v[221:222]
	v_fma_f64 v[215:216], v[215:216], v[22:23], -v[24:25]
	scratch_load_b128 v[22:25], off, off offset:560
	v_add_f64 v[156:157], v[156:157], v[163:164]
	v_add_f64 v[219:220], v[219:220], v[165:166]
	ds_load_b128 v[163:166], v1 offset:1264
	s_waitcnt vmcnt(9) lgkmcnt(1)
	v_mul_f64 v[227:228], v[2:3], v[28:29]
	v_mul_f64 v[28:29], v[4:5], v[28:29]
	s_waitcnt vmcnt(8) lgkmcnt(0)
	v_mul_f64 v[221:222], v[163:164], v[32:33]
	v_mul_f64 v[32:33], v[165:166], v[32:33]
	v_add_f64 v[156:157], v[156:157], v[225:226]
	v_add_f64 v[219:220], v[219:220], v[223:224]
	v_fma_f64 v[223:224], v[4:5], v[26:27], v[227:228]
	v_fma_f64 v[225:226], v[2:3], v[26:27], -v[28:29]
	ds_load_b128 v[2:5], v1 offset:1280
	scratch_load_b128 v[26:29], off, off offset:576
	v_fma_f64 v[165:166], v[165:166], v[30:31], v[221:222]
	v_fma_f64 v[163:164], v[163:164], v[30:31], -v[32:33]
	scratch_load_b128 v[30:33], off, off offset:592
	v_add_f64 v[156:157], v[156:157], v[215:216]
	v_add_f64 v[219:220], v[219:220], v[217:218]
	ds_load_b128 v[215:218], v1 offset:1296
	s_waitcnt vmcnt(9) lgkmcnt(1)
	v_mul_f64 v[227:228], v[2:3], v[36:37]
	v_mul_f64 v[36:37], v[4:5], v[36:37]
	s_waitcnt vmcnt(8) lgkmcnt(0)
	v_mul_f64 v[221:222], v[215:216], v[40:41]
	v_mul_f64 v[40:41], v[217:218], v[40:41]
	v_add_f64 v[156:157], v[156:157], v[225:226]
	v_add_f64 v[219:220], v[219:220], v[223:224]
	v_fma_f64 v[223:224], v[4:5], v[34:35], v[227:228]
	v_fma_f64 v[225:226], v[2:3], v[34:35], -v[36:37]
	ds_load_b128 v[2:5], v1 offset:1312
	scratch_load_b128 v[34:37], off, off offset:608
	v_fma_f64 v[217:218], v[217:218], v[38:39], v[221:222]
	v_fma_f64 v[215:216], v[215:216], v[38:39], -v[40:41]
	scratch_load_b128 v[38:41], off, off offset:624
	v_add_f64 v[156:157], v[156:157], v[163:164]
	v_add_f64 v[219:220], v[219:220], v[165:166]
	ds_load_b128 v[163:166], v1 offset:1328
	s_waitcnt vmcnt(9) lgkmcnt(1)
	v_mul_f64 v[227:228], v[2:3], v[44:45]
	v_mul_f64 v[44:45], v[4:5], v[44:45]
	s_waitcnt vmcnt(8) lgkmcnt(0)
	v_mul_f64 v[221:222], v[163:164], v[8:9]
	v_mul_f64 v[8:9], v[165:166], v[8:9]
	v_add_f64 v[156:157], v[156:157], v[225:226]
	v_add_f64 v[219:220], v[219:220], v[223:224]
	v_fma_f64 v[223:224], v[4:5], v[42:43], v[227:228]
	v_fma_f64 v[225:226], v[2:3], v[42:43], -v[44:45]
	ds_load_b128 v[2:5], v1 offset:1344
	scratch_load_b128 v[42:45], off, off offset:640
	v_fma_f64 v[165:166], v[165:166], v[6:7], v[221:222]
	v_fma_f64 v[163:164], v[163:164], v[6:7], -v[8:9]
	scratch_load_b128 v[6:9], off, off offset:656
	v_add_f64 v[156:157], v[156:157], v[215:216]
	v_add_f64 v[219:220], v[219:220], v[217:218]
	ds_load_b128 v[215:218], v1 offset:1360
	s_waitcnt vmcnt(9) lgkmcnt(1)
	v_mul_f64 v[227:228], v[2:3], v[12:13]
	v_mul_f64 v[12:13], v[4:5], v[12:13]
	s_waitcnt vmcnt(8) lgkmcnt(0)
	v_mul_f64 v[221:222], v[215:216], v[16:17]
	v_mul_f64 v[16:17], v[217:218], v[16:17]
	v_add_f64 v[156:157], v[156:157], v[225:226]
	v_add_f64 v[219:220], v[219:220], v[223:224]
	v_fma_f64 v[223:224], v[4:5], v[10:11], v[227:228]
	v_fma_f64 v[225:226], v[2:3], v[10:11], -v[12:13]
	ds_load_b128 v[2:5], v1 offset:1376
	scratch_load_b128 v[10:13], off, off offset:672
	v_fma_f64 v[217:218], v[217:218], v[14:15], v[221:222]
	v_fma_f64 v[215:216], v[215:216], v[14:15], -v[16:17]
	scratch_load_b128 v[14:17], off, off offset:688
	v_add_f64 v[156:157], v[156:157], v[163:164]
	v_add_f64 v[219:220], v[219:220], v[165:166]
	ds_load_b128 v[163:166], v1 offset:1392
	s_waitcnt vmcnt(9) lgkmcnt(1)
	v_mul_f64 v[227:228], v[2:3], v[20:21]
	v_mul_f64 v[20:21], v[4:5], v[20:21]
	s_waitcnt vmcnt(8) lgkmcnt(0)
	v_mul_f64 v[221:222], v[163:164], v[24:25]
	v_mul_f64 v[24:25], v[165:166], v[24:25]
	v_add_f64 v[156:157], v[156:157], v[225:226]
	v_add_f64 v[219:220], v[219:220], v[223:224]
	v_fma_f64 v[223:224], v[4:5], v[18:19], v[227:228]
	v_fma_f64 v[225:226], v[2:3], v[18:19], -v[20:21]
	ds_load_b128 v[2:5], v1 offset:1408
	scratch_load_b128 v[18:21], off, off offset:704
	v_fma_f64 v[165:166], v[165:166], v[22:23], v[221:222]
	v_fma_f64 v[163:164], v[163:164], v[22:23], -v[24:25]
	scratch_load_b128 v[22:25], off, off offset:720
	v_add_f64 v[156:157], v[156:157], v[215:216]
	v_add_f64 v[219:220], v[219:220], v[217:218]
	ds_load_b128 v[215:218], v1 offset:1424
	s_waitcnt vmcnt(9) lgkmcnt(1)
	v_mul_f64 v[227:228], v[2:3], v[28:29]
	v_mul_f64 v[28:29], v[4:5], v[28:29]
	s_waitcnt vmcnt(8) lgkmcnt(0)
	v_mul_f64 v[221:222], v[215:216], v[32:33]
	v_mul_f64 v[32:33], v[217:218], v[32:33]
	v_add_f64 v[156:157], v[156:157], v[225:226]
	v_add_f64 v[219:220], v[219:220], v[223:224]
	v_fma_f64 v[223:224], v[4:5], v[26:27], v[227:228]
	v_fma_f64 v[225:226], v[2:3], v[26:27], -v[28:29]
	ds_load_b128 v[2:5], v1 offset:1440
	scratch_load_b128 v[26:29], off, off offset:736
	v_fma_f64 v[217:218], v[217:218], v[30:31], v[221:222]
	v_fma_f64 v[215:216], v[215:216], v[30:31], -v[32:33]
	scratch_load_b128 v[30:33], off, off offset:752
	v_add_f64 v[156:157], v[156:157], v[163:164]
	v_add_f64 v[219:220], v[219:220], v[165:166]
	ds_load_b128 v[163:166], v1 offset:1456
	s_waitcnt vmcnt(9) lgkmcnt(1)
	v_mul_f64 v[227:228], v[2:3], v[36:37]
	v_mul_f64 v[36:37], v[4:5], v[36:37]
	s_waitcnt vmcnt(8) lgkmcnt(0)
	v_mul_f64 v[221:222], v[163:164], v[40:41]
	v_mul_f64 v[40:41], v[165:166], v[40:41]
	v_add_f64 v[156:157], v[156:157], v[225:226]
	v_add_f64 v[219:220], v[219:220], v[223:224]
	v_fma_f64 v[223:224], v[4:5], v[34:35], v[227:228]
	v_fma_f64 v[225:226], v[2:3], v[34:35], -v[36:37]
	ds_load_b128 v[2:5], v1 offset:1472
	scratch_load_b128 v[34:37], off, off offset:768
	v_fma_f64 v[165:166], v[165:166], v[38:39], v[221:222]
	v_fma_f64 v[163:164], v[163:164], v[38:39], -v[40:41]
	scratch_load_b128 v[38:41], off, off offset:784
	v_add_f64 v[156:157], v[156:157], v[215:216]
	v_add_f64 v[219:220], v[219:220], v[217:218]
	ds_load_b128 v[215:218], v1 offset:1488
	s_waitcnt vmcnt(9) lgkmcnt(1)
	v_mul_f64 v[227:228], v[2:3], v[44:45]
	v_mul_f64 v[44:45], v[4:5], v[44:45]
	s_waitcnt vmcnt(8) lgkmcnt(0)
	v_mul_f64 v[221:222], v[215:216], v[8:9]
	v_mul_f64 v[8:9], v[217:218], v[8:9]
	v_add_f64 v[156:157], v[156:157], v[225:226]
	v_add_f64 v[219:220], v[219:220], v[223:224]
	v_fma_f64 v[223:224], v[4:5], v[42:43], v[227:228]
	v_fma_f64 v[225:226], v[2:3], v[42:43], -v[44:45]
	ds_load_b128 v[2:5], v1 offset:1504
	scratch_load_b128 v[42:45], off, off offset:800
	v_fma_f64 v[217:218], v[217:218], v[6:7], v[221:222]
	v_fma_f64 v[215:216], v[215:216], v[6:7], -v[8:9]
	scratch_load_b128 v[6:9], off, off offset:816
	v_add_f64 v[156:157], v[156:157], v[163:164]
	v_add_f64 v[219:220], v[219:220], v[165:166]
	ds_load_b128 v[163:166], v1 offset:1520
	s_waitcnt vmcnt(9) lgkmcnt(1)
	v_mul_f64 v[227:228], v[2:3], v[12:13]
	v_mul_f64 v[12:13], v[4:5], v[12:13]
	s_waitcnt vmcnt(8) lgkmcnt(0)
	v_mul_f64 v[221:222], v[163:164], v[16:17]
	v_mul_f64 v[16:17], v[165:166], v[16:17]
	v_add_f64 v[156:157], v[156:157], v[225:226]
	v_add_f64 v[219:220], v[219:220], v[223:224]
	v_fma_f64 v[223:224], v[4:5], v[10:11], v[227:228]
	v_fma_f64 v[225:226], v[2:3], v[10:11], -v[12:13]
	ds_load_b128 v[2:5], v1 offset:1536
	ds_load_b128 v[10:13], v1 offset:1552
	v_fma_f64 v[165:166], v[165:166], v[14:15], v[221:222]
	v_fma_f64 v[14:15], v[163:164], v[14:15], -v[16:17]
	v_add_f64 v[156:157], v[156:157], v[215:216]
	v_add_f64 v[215:216], v[219:220], v[217:218]
	s_waitcnt vmcnt(7) lgkmcnt(1)
	v_mul_f64 v[217:218], v[2:3], v[20:21]
	v_mul_f64 v[20:21], v[4:5], v[20:21]
	s_waitcnt vmcnt(6) lgkmcnt(0)
	v_mul_f64 v[163:164], v[10:11], v[24:25]
	v_mul_f64 v[24:25], v[12:13], v[24:25]
	v_add_f64 v[16:17], v[156:157], v[225:226]
	v_add_f64 v[156:157], v[215:216], v[223:224]
	v_fma_f64 v[215:216], v[4:5], v[18:19], v[217:218]
	v_fma_f64 v[18:19], v[2:3], v[18:19], -v[20:21]
	v_fma_f64 v[12:13], v[12:13], v[22:23], v[163:164]
	v_fma_f64 v[10:11], v[10:11], v[22:23], -v[24:25]
	v_add_f64 v[20:21], v[16:17], v[14:15]
	v_add_f64 v[156:157], v[156:157], v[165:166]
	ds_load_b128 v[2:5], v1 offset:1568
	ds_load_b128 v[14:17], v1 offset:1584
	s_waitcnt vmcnt(5) lgkmcnt(1)
	v_mul_f64 v[165:166], v[2:3], v[28:29]
	v_mul_f64 v[28:29], v[4:5], v[28:29]
	s_waitcnt vmcnt(4) lgkmcnt(0)
	v_mul_f64 v[22:23], v[14:15], v[32:33]
	v_mul_f64 v[24:25], v[16:17], v[32:33]
	v_add_f64 v[18:19], v[20:21], v[18:19]
	v_add_f64 v[20:21], v[156:157], v[215:216]
	v_fma_f64 v[32:33], v[4:5], v[26:27], v[165:166]
	v_fma_f64 v[26:27], v[2:3], v[26:27], -v[28:29]
	v_fma_f64 v[16:17], v[16:17], v[30:31], v[22:23]
	v_fma_f64 v[14:15], v[14:15], v[30:31], -v[24:25]
	v_add_f64 v[18:19], v[18:19], v[10:11]
	v_add_f64 v[20:21], v[20:21], v[12:13]
	ds_load_b128 v[2:5], v1 offset:1600
	ds_load_b128 v[10:13], v1 offset:1616
	;; [unrolled: 16-line block ×3, first 2 shown]
	s_waitcnt vmcnt(1) lgkmcnt(1)
	v_mul_f64 v[30:31], v[2:3], v[44:45]
	v_mul_f64 v[32:33], v[4:5], v[44:45]
	s_waitcnt vmcnt(0) lgkmcnt(0)
	v_mul_f64 v[22:23], v[14:15], v[8:9]
	v_mul_f64 v[8:9], v[16:17], v[8:9]
	v_add_f64 v[18:19], v[18:19], v[28:29]
	v_add_f64 v[20:21], v[20:21], v[26:27]
	v_fma_f64 v[4:5], v[4:5], v[42:43], v[30:31]
	v_fma_f64 v[1:2], v[2:3], v[42:43], -v[32:33]
	v_fma_f64 v[16:17], v[16:17], v[6:7], v[22:23]
	v_fma_f64 v[6:7], v[14:15], v[6:7], -v[8:9]
	v_add_f64 v[10:11], v[18:19], v[10:11]
	v_add_f64 v[12:13], v[20:21], v[12:13]
	s_delay_alu instid0(VALU_DEP_2) | instskip(NEXT) | instid1(VALU_DEP_2)
	v_add_f64 v[1:2], v[10:11], v[1:2]
	v_add_f64 v[3:4], v[12:13], v[4:5]
	s_delay_alu instid0(VALU_DEP_2) | instskip(NEXT) | instid1(VALU_DEP_2)
	;; [unrolled: 3-line block ×3, first 2 shown]
	v_add_f64 v[1:2], v[152:153], -v[1:2]
	v_add_f64 v[3:4], v[154:155], -v[3:4]
	scratch_store_b128 off, v[1:4], off offset:144
	v_cmpx_lt_u32_e32 8, v150
	s_cbranch_execz .LBB51_309
; %bb.308:
	scratch_load_b128 v[1:4], v194, off
	v_mov_b32_e32 v5, 0
	s_delay_alu instid0(VALU_DEP_1)
	v_mov_b32_e32 v6, v5
	v_mov_b32_e32 v7, v5
	;; [unrolled: 1-line block ×3, first 2 shown]
	scratch_store_b128 off, v[5:8], off offset:128
	s_waitcnt vmcnt(0)
	ds_store_b128 v202, v[1:4]
.LBB51_309:
	s_or_b32 exec_lo, exec_lo, s2
	s_waitcnt lgkmcnt(0)
	s_waitcnt_vscnt null, 0x0
	s_barrier
	buffer_gl0_inv
	s_clause 0x7
	scratch_load_b128 v[2:5], off, off offset:144
	scratch_load_b128 v[6:9], off, off offset:160
	;; [unrolled: 1-line block ×8, first 2 shown]
	v_mov_b32_e32 v1, 0
	s_mov_b32 s2, exec_lo
	ds_load_b128 v[38:41], v1 offset:976
	s_clause 0x1
	scratch_load_b128 v[34:37], off, off offset:272
	scratch_load_b128 v[42:45], off, off offset:128
	ds_load_b128 v[152:155], v1 offset:992
	scratch_load_b128 v[163:166], off, off offset:288
	ds_load_b128 v[215:218], v1 offset:1024
	s_waitcnt vmcnt(10) lgkmcnt(2)
	v_mul_f64 v[156:157], v[40:41], v[4:5]
	v_mul_f64 v[4:5], v[38:39], v[4:5]
	s_delay_alu instid0(VALU_DEP_2) | instskip(NEXT) | instid1(VALU_DEP_2)
	v_fma_f64 v[156:157], v[38:39], v[2:3], -v[156:157]
	v_fma_f64 v[221:222], v[40:41], v[2:3], v[4:5]
	ds_load_b128 v[2:5], v1 offset:1008
	s_waitcnt vmcnt(9) lgkmcnt(2)
	v_mul_f64 v[219:220], v[152:153], v[8:9]
	v_mul_f64 v[8:9], v[154:155], v[8:9]
	scratch_load_b128 v[38:41], off, off offset:304
	s_waitcnt vmcnt(9) lgkmcnt(0)
	v_mul_f64 v[223:224], v[2:3], v[12:13]
	v_mul_f64 v[12:13], v[4:5], v[12:13]
	v_add_f64 v[156:157], v[156:157], 0
	v_fma_f64 v[154:155], v[154:155], v[6:7], v[219:220]
	v_fma_f64 v[152:153], v[152:153], v[6:7], -v[8:9]
	v_add_f64 v[219:220], v[221:222], 0
	scratch_load_b128 v[6:9], off, off offset:320
	v_fma_f64 v[223:224], v[4:5], v[10:11], v[223:224]
	v_fma_f64 v[225:226], v[2:3], v[10:11], -v[12:13]
	scratch_load_b128 v[10:13], off, off offset:336
	ds_load_b128 v[2:5], v1 offset:1040
	s_waitcnt vmcnt(10)
	v_mul_f64 v[221:222], v[215:216], v[16:17]
	v_mul_f64 v[16:17], v[217:218], v[16:17]
	v_add_f64 v[156:157], v[156:157], v[152:153]
	v_add_f64 v[219:220], v[219:220], v[154:155]
	ds_load_b128 v[152:155], v1 offset:1056
	s_waitcnt vmcnt(9) lgkmcnt(1)
	v_mul_f64 v[227:228], v[2:3], v[20:21]
	v_mul_f64 v[20:21], v[4:5], v[20:21]
	v_fma_f64 v[217:218], v[217:218], v[14:15], v[221:222]
	v_fma_f64 v[215:216], v[215:216], v[14:15], -v[16:17]
	scratch_load_b128 v[14:17], off, off offset:352
	v_add_f64 v[156:157], v[156:157], v[225:226]
	v_add_f64 v[219:220], v[219:220], v[223:224]
	v_fma_f64 v[223:224], v[4:5], v[18:19], v[227:228]
	v_fma_f64 v[225:226], v[2:3], v[18:19], -v[20:21]
	scratch_load_b128 v[18:21], off, off offset:368
	ds_load_b128 v[2:5], v1 offset:1072
	s_waitcnt vmcnt(10) lgkmcnt(1)
	v_mul_f64 v[221:222], v[152:153], v[24:25]
	v_mul_f64 v[24:25], v[154:155], v[24:25]
	s_waitcnt vmcnt(9) lgkmcnt(0)
	v_mul_f64 v[227:228], v[2:3], v[28:29]
	v_mul_f64 v[28:29], v[4:5], v[28:29]
	v_add_f64 v[156:157], v[156:157], v[215:216]
	v_add_f64 v[219:220], v[219:220], v[217:218]
	ds_load_b128 v[215:218], v1 offset:1088
	v_fma_f64 v[154:155], v[154:155], v[22:23], v[221:222]
	v_fma_f64 v[152:153], v[152:153], v[22:23], -v[24:25]
	scratch_load_b128 v[22:25], off, off offset:384
	v_add_f64 v[156:157], v[156:157], v[225:226]
	v_add_f64 v[219:220], v[219:220], v[223:224]
	v_fma_f64 v[223:224], v[4:5], v[26:27], v[227:228]
	v_fma_f64 v[225:226], v[2:3], v[26:27], -v[28:29]
	scratch_load_b128 v[26:29], off, off offset:400
	ds_load_b128 v[2:5], v1 offset:1104
	s_waitcnt vmcnt(10) lgkmcnt(1)
	v_mul_f64 v[221:222], v[215:216], v[32:33]
	v_mul_f64 v[32:33], v[217:218], v[32:33]
	s_waitcnt vmcnt(9) lgkmcnt(0)
	v_mul_f64 v[227:228], v[2:3], v[36:37]
	v_mul_f64 v[36:37], v[4:5], v[36:37]
	v_add_f64 v[156:157], v[156:157], v[152:153]
	v_add_f64 v[219:220], v[219:220], v[154:155]
	ds_load_b128 v[152:155], v1 offset:1120
	v_fma_f64 v[217:218], v[217:218], v[30:31], v[221:222]
	v_fma_f64 v[215:216], v[215:216], v[30:31], -v[32:33]
	scratch_load_b128 v[30:33], off, off offset:416
	v_add_f64 v[156:157], v[156:157], v[225:226]
	v_add_f64 v[219:220], v[219:220], v[223:224]
	v_fma_f64 v[223:224], v[4:5], v[34:35], v[227:228]
	v_fma_f64 v[225:226], v[2:3], v[34:35], -v[36:37]
	scratch_load_b128 v[34:37], off, off offset:432
	ds_load_b128 v[2:5], v1 offset:1136
	s_waitcnt vmcnt(9) lgkmcnt(1)
	v_mul_f64 v[221:222], v[152:153], v[165:166]
	v_mul_f64 v[165:166], v[154:155], v[165:166]
	v_add_f64 v[156:157], v[156:157], v[215:216]
	v_add_f64 v[219:220], v[219:220], v[217:218]
	ds_load_b128 v[215:218], v1 offset:1152
	v_fma_f64 v[221:222], v[154:155], v[163:164], v[221:222]
	v_fma_f64 v[163:164], v[152:153], v[163:164], -v[165:166]
	scratch_load_b128 v[152:155], off, off offset:448
	s_waitcnt vmcnt(9) lgkmcnt(1)
	v_mul_f64 v[227:228], v[2:3], v[40:41]
	v_mul_f64 v[40:41], v[4:5], v[40:41]
	v_add_f64 v[156:157], v[156:157], v[225:226]
	v_add_f64 v[165:166], v[219:220], v[223:224]
	s_delay_alu instid0(VALU_DEP_4) | instskip(NEXT) | instid1(VALU_DEP_4)
	v_fma_f64 v[223:224], v[4:5], v[38:39], v[227:228]
	v_fma_f64 v[225:226], v[2:3], v[38:39], -v[40:41]
	scratch_load_b128 v[38:41], off, off offset:464
	ds_load_b128 v[2:5], v1 offset:1168
	s_waitcnt vmcnt(9) lgkmcnt(1)
	v_mul_f64 v[219:220], v[215:216], v[8:9]
	v_mul_f64 v[8:9], v[217:218], v[8:9]
	v_add_f64 v[156:157], v[156:157], v[163:164]
	v_add_f64 v[221:222], v[165:166], v[221:222]
	s_waitcnt vmcnt(8) lgkmcnt(0)
	v_mul_f64 v[227:228], v[2:3], v[12:13]
	v_mul_f64 v[12:13], v[4:5], v[12:13]
	ds_load_b128 v[163:166], v1 offset:1184
	v_fma_f64 v[217:218], v[217:218], v[6:7], v[219:220]
	v_fma_f64 v[215:216], v[215:216], v[6:7], -v[8:9]
	scratch_load_b128 v[6:9], off, off offset:480
	v_add_f64 v[156:157], v[156:157], v[225:226]
	v_add_f64 v[219:220], v[221:222], v[223:224]
	v_fma_f64 v[223:224], v[4:5], v[10:11], v[227:228]
	v_fma_f64 v[225:226], v[2:3], v[10:11], -v[12:13]
	scratch_load_b128 v[10:13], off, off offset:496
	ds_load_b128 v[2:5], v1 offset:1200
	s_waitcnt vmcnt(9) lgkmcnt(1)
	v_mul_f64 v[221:222], v[163:164], v[16:17]
	v_mul_f64 v[16:17], v[165:166], v[16:17]
	s_waitcnt vmcnt(8) lgkmcnt(0)
	v_mul_f64 v[227:228], v[2:3], v[20:21]
	v_mul_f64 v[20:21], v[4:5], v[20:21]
	v_add_f64 v[156:157], v[156:157], v[215:216]
	v_add_f64 v[219:220], v[219:220], v[217:218]
	ds_load_b128 v[215:218], v1 offset:1216
	v_fma_f64 v[165:166], v[165:166], v[14:15], v[221:222]
	v_fma_f64 v[163:164], v[163:164], v[14:15], -v[16:17]
	scratch_load_b128 v[14:17], off, off offset:512
	v_add_f64 v[156:157], v[156:157], v[225:226]
	v_add_f64 v[219:220], v[219:220], v[223:224]
	v_fma_f64 v[223:224], v[4:5], v[18:19], v[227:228]
	v_fma_f64 v[225:226], v[2:3], v[18:19], -v[20:21]
	scratch_load_b128 v[18:21], off, off offset:528
	ds_load_b128 v[2:5], v1 offset:1232
	s_waitcnt vmcnt(9) lgkmcnt(1)
	v_mul_f64 v[221:222], v[215:216], v[24:25]
	v_mul_f64 v[24:25], v[217:218], v[24:25]
	s_waitcnt vmcnt(8) lgkmcnt(0)
	v_mul_f64 v[227:228], v[2:3], v[28:29]
	v_mul_f64 v[28:29], v[4:5], v[28:29]
	v_add_f64 v[156:157], v[156:157], v[163:164]
	v_add_f64 v[219:220], v[219:220], v[165:166]
	;; [unrolled: 18-line block ×3, first 2 shown]
	ds_load_b128 v[215:218], v1 offset:1280
	v_fma_f64 v[165:166], v[165:166], v[30:31], v[221:222]
	v_fma_f64 v[163:164], v[163:164], v[30:31], -v[32:33]
	scratch_load_b128 v[30:33], off, off offset:576
	v_add_f64 v[156:157], v[156:157], v[225:226]
	v_add_f64 v[219:220], v[219:220], v[223:224]
	v_fma_f64 v[225:226], v[4:5], v[34:35], v[227:228]
	v_fma_f64 v[227:228], v[2:3], v[34:35], -v[36:37]
	scratch_load_b128 v[34:37], off, off offset:592
	ds_load_b128 v[2:5], v1 offset:1296
	s_waitcnt vmcnt(9) lgkmcnt(1)
	v_mul_f64 v[221:222], v[215:216], v[154:155]
	v_mul_f64 v[223:224], v[217:218], v[154:155]
	v_add_f64 v[163:164], v[156:157], v[163:164]
	v_add_f64 v[165:166], v[219:220], v[165:166]
	s_waitcnt vmcnt(8) lgkmcnt(0)
	v_mul_f64 v[219:220], v[2:3], v[40:41]
	v_mul_f64 v[40:41], v[4:5], v[40:41]
	ds_load_b128 v[154:157], v1 offset:1312
	v_fma_f64 v[217:218], v[217:218], v[152:153], v[221:222]
	v_fma_f64 v[152:153], v[215:216], v[152:153], -v[223:224]
	v_add_f64 v[215:216], v[163:164], v[227:228]
	v_add_f64 v[221:222], v[165:166], v[225:226]
	scratch_load_b128 v[163:166], off, off offset:608
	v_fma_f64 v[219:220], v[4:5], v[38:39], v[219:220]
	v_fma_f64 v[225:226], v[2:3], v[38:39], -v[40:41]
	scratch_load_b128 v[38:41], off, off offset:624
	ds_load_b128 v[2:5], v1 offset:1328
	s_waitcnt vmcnt(9) lgkmcnt(1)
	v_mul_f64 v[223:224], v[154:155], v[8:9]
	v_mul_f64 v[8:9], v[156:157], v[8:9]
	s_waitcnt vmcnt(8) lgkmcnt(0)
	v_mul_f64 v[227:228], v[2:3], v[12:13]
	v_mul_f64 v[12:13], v[4:5], v[12:13]
	v_add_f64 v[152:153], v[215:216], v[152:153]
	v_add_f64 v[221:222], v[221:222], v[217:218]
	ds_load_b128 v[215:218], v1 offset:1344
	v_fma_f64 v[156:157], v[156:157], v[6:7], v[223:224]
	v_fma_f64 v[154:155], v[154:155], v[6:7], -v[8:9]
	scratch_load_b128 v[6:9], off, off offset:640
	v_fma_f64 v[223:224], v[4:5], v[10:11], v[227:228]
	v_add_f64 v[152:153], v[152:153], v[225:226]
	v_add_f64 v[219:220], v[221:222], v[219:220]
	v_fma_f64 v[225:226], v[2:3], v[10:11], -v[12:13]
	scratch_load_b128 v[10:13], off, off offset:656
	ds_load_b128 v[2:5], v1 offset:1360
	s_waitcnt vmcnt(9) lgkmcnt(1)
	v_mul_f64 v[221:222], v[215:216], v[16:17]
	v_mul_f64 v[16:17], v[217:218], v[16:17]
	v_add_f64 v[227:228], v[152:153], v[154:155]
	v_add_f64 v[156:157], v[219:220], v[156:157]
	s_waitcnt vmcnt(8) lgkmcnt(0)
	v_mul_f64 v[219:220], v[2:3], v[20:21]
	v_mul_f64 v[20:21], v[4:5], v[20:21]
	ds_load_b128 v[152:155], v1 offset:1376
	v_fma_f64 v[217:218], v[217:218], v[14:15], v[221:222]
	v_fma_f64 v[215:216], v[215:216], v[14:15], -v[16:17]
	scratch_load_b128 v[14:17], off, off offset:672
	v_add_f64 v[221:222], v[227:228], v[225:226]
	v_add_f64 v[156:157], v[156:157], v[223:224]
	v_fma_f64 v[219:220], v[4:5], v[18:19], v[219:220]
	v_fma_f64 v[225:226], v[2:3], v[18:19], -v[20:21]
	scratch_load_b128 v[18:21], off, off offset:688
	ds_load_b128 v[2:5], v1 offset:1392
	s_waitcnt vmcnt(9) lgkmcnt(1)
	v_mul_f64 v[223:224], v[152:153], v[24:25]
	v_mul_f64 v[24:25], v[154:155], v[24:25]
	s_waitcnt vmcnt(8) lgkmcnt(0)
	v_mul_f64 v[227:228], v[2:3], v[28:29]
	v_mul_f64 v[28:29], v[4:5], v[28:29]
	v_add_f64 v[221:222], v[221:222], v[215:216]
	v_add_f64 v[156:157], v[156:157], v[217:218]
	ds_load_b128 v[215:218], v1 offset:1408
	v_fma_f64 v[154:155], v[154:155], v[22:23], v[223:224]
	v_fma_f64 v[152:153], v[152:153], v[22:23], -v[24:25]
	scratch_load_b128 v[22:25], off, off offset:704
	v_fma_f64 v[223:224], v[4:5], v[26:27], v[227:228]
	v_add_f64 v[221:222], v[221:222], v[225:226]
	v_add_f64 v[156:157], v[156:157], v[219:220]
	v_fma_f64 v[225:226], v[2:3], v[26:27], -v[28:29]
	scratch_load_b128 v[26:29], off, off offset:720
	ds_load_b128 v[2:5], v1 offset:1424
	s_waitcnt vmcnt(9) lgkmcnt(1)
	v_mul_f64 v[219:220], v[215:216], v[32:33]
	v_mul_f64 v[32:33], v[217:218], v[32:33]
	s_waitcnt vmcnt(8) lgkmcnt(0)
	v_mul_f64 v[227:228], v[2:3], v[36:37]
	v_mul_f64 v[36:37], v[4:5], v[36:37]
	v_add_f64 v[221:222], v[221:222], v[152:153]
	v_add_f64 v[156:157], v[156:157], v[154:155]
	ds_load_b128 v[152:155], v1 offset:1440
	v_fma_f64 v[217:218], v[217:218], v[30:31], v[219:220]
	v_fma_f64 v[215:216], v[215:216], v[30:31], -v[32:33]
	scratch_load_b128 v[30:33], off, off offset:736
	v_add_f64 v[219:220], v[221:222], v[225:226]
	v_add_f64 v[156:157], v[156:157], v[223:224]
	v_fma_f64 v[223:224], v[4:5], v[34:35], v[227:228]
	v_fma_f64 v[225:226], v[2:3], v[34:35], -v[36:37]
	scratch_load_b128 v[34:37], off, off offset:752
	ds_load_b128 v[2:5], v1 offset:1456
	s_waitcnt vmcnt(9) lgkmcnt(1)
	v_mul_f64 v[221:222], v[152:153], v[165:166]
	v_mul_f64 v[165:166], v[154:155], v[165:166]
	s_waitcnt vmcnt(8) lgkmcnt(0)
	v_mul_f64 v[227:228], v[2:3], v[40:41]
	v_mul_f64 v[40:41], v[4:5], v[40:41]
	v_add_f64 v[219:220], v[219:220], v[215:216]
	v_add_f64 v[156:157], v[156:157], v[217:218]
	ds_load_b128 v[215:218], v1 offset:1472
	v_fma_f64 v[221:222], v[154:155], v[163:164], v[221:222]
	v_fma_f64 v[163:164], v[152:153], v[163:164], -v[165:166]
	scratch_load_b128 v[152:155], off, off offset:768
	v_add_f64 v[165:166], v[219:220], v[225:226]
	v_add_f64 v[156:157], v[156:157], v[223:224]
	v_fma_f64 v[223:224], v[4:5], v[38:39], v[227:228]
	v_fma_f64 v[225:226], v[2:3], v[38:39], -v[40:41]
	scratch_load_b128 v[38:41], off, off offset:784
	ds_load_b128 v[2:5], v1 offset:1488
	s_waitcnt vmcnt(9) lgkmcnt(1)
	v_mul_f64 v[219:220], v[215:216], v[8:9]
	v_mul_f64 v[8:9], v[217:218], v[8:9]
	v_add_f64 v[227:228], v[165:166], v[163:164]
	v_add_f64 v[156:157], v[156:157], v[221:222]
	s_waitcnt vmcnt(8) lgkmcnt(0)
	v_mul_f64 v[221:222], v[2:3], v[12:13]
	v_mul_f64 v[12:13], v[4:5], v[12:13]
	ds_load_b128 v[163:166], v1 offset:1504
	v_fma_f64 v[217:218], v[217:218], v[6:7], v[219:220]
	v_fma_f64 v[215:216], v[215:216], v[6:7], -v[8:9]
	scratch_load_b128 v[6:9], off, off offset:800
	v_add_f64 v[219:220], v[227:228], v[225:226]
	v_add_f64 v[156:157], v[156:157], v[223:224]
	v_fma_f64 v[221:222], v[4:5], v[10:11], v[221:222]
	v_fma_f64 v[225:226], v[2:3], v[10:11], -v[12:13]
	scratch_load_b128 v[10:13], off, off offset:816
	ds_load_b128 v[2:5], v1 offset:1520
	s_waitcnt vmcnt(9) lgkmcnt(1)
	v_mul_f64 v[223:224], v[163:164], v[16:17]
	v_mul_f64 v[16:17], v[165:166], v[16:17]
	s_waitcnt vmcnt(8) lgkmcnt(0)
	v_mul_f64 v[227:228], v[2:3], v[20:21]
	v_mul_f64 v[20:21], v[4:5], v[20:21]
	v_add_f64 v[219:220], v[219:220], v[215:216]
	v_add_f64 v[156:157], v[156:157], v[217:218]
	ds_load_b128 v[215:218], v1 offset:1536
	v_fma_f64 v[165:166], v[165:166], v[14:15], v[223:224]
	v_fma_f64 v[14:15], v[163:164], v[14:15], -v[16:17]
	s_waitcnt vmcnt(7) lgkmcnt(0)
	v_mul_f64 v[163:164], v[215:216], v[24:25]
	v_mul_f64 v[24:25], v[217:218], v[24:25]
	v_add_f64 v[16:17], v[219:220], v[225:226]
	v_add_f64 v[156:157], v[156:157], v[221:222]
	v_fma_f64 v[219:220], v[4:5], v[18:19], v[227:228]
	v_fma_f64 v[18:19], v[2:3], v[18:19], -v[20:21]
	v_fma_f64 v[163:164], v[217:218], v[22:23], v[163:164]
	v_fma_f64 v[22:23], v[215:216], v[22:23], -v[24:25]
	v_add_f64 v[20:21], v[16:17], v[14:15]
	v_add_f64 v[156:157], v[156:157], v[165:166]
	ds_load_b128 v[2:5], v1 offset:1552
	ds_load_b128 v[14:17], v1 offset:1568
	s_waitcnt vmcnt(6) lgkmcnt(1)
	v_mul_f64 v[165:166], v[2:3], v[28:29]
	v_mul_f64 v[28:29], v[4:5], v[28:29]
	s_waitcnt vmcnt(5) lgkmcnt(0)
	v_mul_f64 v[24:25], v[14:15], v[32:33]
	v_mul_f64 v[32:33], v[16:17], v[32:33]
	v_add_f64 v[18:19], v[20:21], v[18:19]
	v_add_f64 v[20:21], v[156:157], v[219:220]
	v_fma_f64 v[156:157], v[4:5], v[26:27], v[165:166]
	v_fma_f64 v[26:27], v[2:3], v[26:27], -v[28:29]
	v_fma_f64 v[16:17], v[16:17], v[30:31], v[24:25]
	v_fma_f64 v[14:15], v[14:15], v[30:31], -v[32:33]
	v_add_f64 v[22:23], v[18:19], v[22:23]
	v_add_f64 v[28:29], v[20:21], v[163:164]
	ds_load_b128 v[2:5], v1 offset:1584
	ds_load_b128 v[18:21], v1 offset:1600
	s_waitcnt vmcnt(4) lgkmcnt(1)
	v_mul_f64 v[163:164], v[2:3], v[36:37]
	v_mul_f64 v[36:37], v[4:5], v[36:37]
	v_add_f64 v[22:23], v[22:23], v[26:27]
	v_add_f64 v[24:25], v[28:29], v[156:157]
	s_waitcnt vmcnt(3) lgkmcnt(0)
	v_mul_f64 v[26:27], v[18:19], v[154:155]
	v_mul_f64 v[28:29], v[20:21], v[154:155]
	v_fma_f64 v[30:31], v[4:5], v[34:35], v[163:164]
	v_fma_f64 v[32:33], v[2:3], v[34:35], -v[36:37]
	v_add_f64 v[22:23], v[22:23], v[14:15]
	v_add_f64 v[24:25], v[24:25], v[16:17]
	ds_load_b128 v[2:5], v1 offset:1616
	ds_load_b128 v[14:17], v1 offset:1632
	v_fma_f64 v[20:21], v[20:21], v[152:153], v[26:27]
	v_fma_f64 v[18:19], v[18:19], v[152:153], -v[28:29]
	s_waitcnt vmcnt(2) lgkmcnt(1)
	v_mul_f64 v[34:35], v[2:3], v[40:41]
	v_mul_f64 v[36:37], v[4:5], v[40:41]
	s_waitcnt vmcnt(1) lgkmcnt(0)
	v_mul_f64 v[26:27], v[14:15], v[8:9]
	v_mul_f64 v[8:9], v[16:17], v[8:9]
	v_add_f64 v[22:23], v[22:23], v[32:33]
	v_add_f64 v[24:25], v[24:25], v[30:31]
	v_fma_f64 v[28:29], v[4:5], v[38:39], v[34:35]
	v_fma_f64 v[30:31], v[2:3], v[38:39], -v[36:37]
	ds_load_b128 v[2:5], v1 offset:1648
	v_fma_f64 v[16:17], v[16:17], v[6:7], v[26:27]
	v_fma_f64 v[6:7], v[14:15], v[6:7], -v[8:9]
	v_add_f64 v[18:19], v[22:23], v[18:19]
	v_add_f64 v[20:21], v[24:25], v[20:21]
	s_waitcnt vmcnt(0) lgkmcnt(0)
	v_mul_f64 v[22:23], v[2:3], v[12:13]
	v_mul_f64 v[12:13], v[4:5], v[12:13]
	s_delay_alu instid0(VALU_DEP_4) | instskip(NEXT) | instid1(VALU_DEP_4)
	v_add_f64 v[8:9], v[18:19], v[30:31]
	v_add_f64 v[14:15], v[20:21], v[28:29]
	s_delay_alu instid0(VALU_DEP_4) | instskip(NEXT) | instid1(VALU_DEP_4)
	v_fma_f64 v[4:5], v[4:5], v[10:11], v[22:23]
	v_fma_f64 v[2:3], v[2:3], v[10:11], -v[12:13]
	s_delay_alu instid0(VALU_DEP_4) | instskip(NEXT) | instid1(VALU_DEP_4)
	v_add_f64 v[6:7], v[8:9], v[6:7]
	v_add_f64 v[8:9], v[14:15], v[16:17]
	s_delay_alu instid0(VALU_DEP_2) | instskip(NEXT) | instid1(VALU_DEP_2)
	v_add_f64 v[2:3], v[6:7], v[2:3]
	v_add_f64 v[4:5], v[8:9], v[4:5]
	s_delay_alu instid0(VALU_DEP_2) | instskip(NEXT) | instid1(VALU_DEP_2)
	v_add_f64 v[2:3], v[42:43], -v[2:3]
	v_add_f64 v[4:5], v[44:45], -v[4:5]
	scratch_store_b128 off, v[2:5], off offset:128
	v_cmpx_lt_u32_e32 7, v150
	s_cbranch_execz .LBB51_311
; %bb.310:
	scratch_load_b128 v[5:8], v195, off
	v_mov_b32_e32 v2, v1
	v_mov_b32_e32 v3, v1
	;; [unrolled: 1-line block ×3, first 2 shown]
	scratch_store_b128 off, v[1:4], off offset:112
	s_waitcnt vmcnt(0)
	ds_store_b128 v202, v[5:8]
.LBB51_311:
	s_or_b32 exec_lo, exec_lo, s2
	s_waitcnt lgkmcnt(0)
	s_waitcnt_vscnt null, 0x0
	s_barrier
	buffer_gl0_inv
	s_clause 0x8
	scratch_load_b128 v[2:5], off, off offset:128
	scratch_load_b128 v[6:9], off, off offset:144
	;; [unrolled: 1-line block ×9, first 2 shown]
	ds_load_b128 v[42:45], v1 offset:960
	ds_load_b128 v[38:41], v1 offset:976
	s_clause 0x1
	scratch_load_b128 v[152:155], off, off offset:112
	scratch_load_b128 v[163:166], off, off offset:272
	s_mov_b32 s2, exec_lo
	ds_load_b128 v[215:218], v1 offset:1008
	s_waitcnt vmcnt(10) lgkmcnt(2)
	v_mul_f64 v[156:157], v[44:45], v[4:5]
	v_mul_f64 v[4:5], v[42:43], v[4:5]
	s_waitcnt vmcnt(9) lgkmcnt(1)
	v_mul_f64 v[219:220], v[38:39], v[8:9]
	v_mul_f64 v[8:9], v[40:41], v[8:9]
	s_delay_alu instid0(VALU_DEP_4) | instskip(NEXT) | instid1(VALU_DEP_4)
	v_fma_f64 v[156:157], v[42:43], v[2:3], -v[156:157]
	v_fma_f64 v[221:222], v[44:45], v[2:3], v[4:5]
	ds_load_b128 v[2:5], v1 offset:992
	scratch_load_b128 v[42:45], off, off offset:288
	v_fma_f64 v[40:41], v[40:41], v[6:7], v[219:220]
	v_fma_f64 v[38:39], v[38:39], v[6:7], -v[8:9]
	scratch_load_b128 v[6:9], off, off offset:304
	s_waitcnt vmcnt(10) lgkmcnt(0)
	v_mul_f64 v[223:224], v[2:3], v[12:13]
	v_mul_f64 v[12:13], v[4:5], v[12:13]
	v_add_f64 v[156:157], v[156:157], 0
	v_add_f64 v[219:220], v[221:222], 0
	s_waitcnt vmcnt(9)
	v_mul_f64 v[221:222], v[215:216], v[16:17]
	v_mul_f64 v[16:17], v[217:218], v[16:17]
	v_fma_f64 v[223:224], v[4:5], v[10:11], v[223:224]
	v_fma_f64 v[225:226], v[2:3], v[10:11], -v[12:13]
	ds_load_b128 v[2:5], v1 offset:1024
	scratch_load_b128 v[10:13], off, off offset:320
	v_add_f64 v[156:157], v[156:157], v[38:39]
	v_add_f64 v[219:220], v[219:220], v[40:41]
	ds_load_b128 v[38:41], v1 offset:1040
	v_fma_f64 v[217:218], v[217:218], v[14:15], v[221:222]
	v_fma_f64 v[215:216], v[215:216], v[14:15], -v[16:17]
	scratch_load_b128 v[14:17], off, off offset:336
	s_waitcnt vmcnt(10) lgkmcnt(1)
	v_mul_f64 v[227:228], v[2:3], v[20:21]
	v_mul_f64 v[20:21], v[4:5], v[20:21]
	s_waitcnt vmcnt(9) lgkmcnt(0)
	v_mul_f64 v[221:222], v[38:39], v[24:25]
	v_mul_f64 v[24:25], v[40:41], v[24:25]
	v_add_f64 v[156:157], v[156:157], v[225:226]
	v_add_f64 v[219:220], v[219:220], v[223:224]
	v_fma_f64 v[223:224], v[4:5], v[18:19], v[227:228]
	v_fma_f64 v[225:226], v[2:3], v[18:19], -v[20:21]
	ds_load_b128 v[2:5], v1 offset:1056
	scratch_load_b128 v[18:21], off, off offset:352
	v_fma_f64 v[40:41], v[40:41], v[22:23], v[221:222]
	v_fma_f64 v[38:39], v[38:39], v[22:23], -v[24:25]
	scratch_load_b128 v[22:25], off, off offset:368
	v_add_f64 v[156:157], v[156:157], v[215:216]
	v_add_f64 v[219:220], v[219:220], v[217:218]
	ds_load_b128 v[215:218], v1 offset:1072
	s_waitcnt vmcnt(10) lgkmcnt(1)
	v_mul_f64 v[227:228], v[2:3], v[28:29]
	v_mul_f64 v[28:29], v[4:5], v[28:29]
	s_waitcnt vmcnt(9) lgkmcnt(0)
	v_mul_f64 v[221:222], v[215:216], v[32:33]
	v_mul_f64 v[32:33], v[217:218], v[32:33]
	v_add_f64 v[156:157], v[156:157], v[225:226]
	v_add_f64 v[219:220], v[219:220], v[223:224]
	v_fma_f64 v[223:224], v[4:5], v[26:27], v[227:228]
	v_fma_f64 v[225:226], v[2:3], v[26:27], -v[28:29]
	ds_load_b128 v[2:5], v1 offset:1088
	scratch_load_b128 v[26:29], off, off offset:384
	v_fma_f64 v[217:218], v[217:218], v[30:31], v[221:222]
	v_fma_f64 v[215:216], v[215:216], v[30:31], -v[32:33]
	scratch_load_b128 v[30:33], off, off offset:400
	v_add_f64 v[156:157], v[156:157], v[38:39]
	v_add_f64 v[219:220], v[219:220], v[40:41]
	ds_load_b128 v[38:41], v1 offset:1104
	;; [unrolled: 18-line block ×3, first 2 shown]
	s_waitcnt vmcnt(9) lgkmcnt(1)
	v_mul_f64 v[227:228], v[2:3], v[44:45]
	v_mul_f64 v[44:45], v[4:5], v[44:45]
	v_add_f64 v[156:157], v[156:157], v[225:226]
	v_add_f64 v[165:166], v[219:220], v[223:224]
	s_waitcnt vmcnt(8) lgkmcnt(0)
	v_mul_f64 v[219:220], v[215:216], v[8:9]
	v_mul_f64 v[8:9], v[217:218], v[8:9]
	v_fma_f64 v[223:224], v[4:5], v[42:43], v[227:228]
	v_fma_f64 v[225:226], v[2:3], v[42:43], -v[44:45]
	ds_load_b128 v[2:5], v1 offset:1152
	scratch_load_b128 v[42:45], off, off offset:448
	v_add_f64 v[156:157], v[156:157], v[163:164]
	v_add_f64 v[221:222], v[165:166], v[221:222]
	ds_load_b128 v[163:166], v1 offset:1168
	s_waitcnt vmcnt(8) lgkmcnt(1)
	v_mul_f64 v[227:228], v[2:3], v[12:13]
	v_mul_f64 v[12:13], v[4:5], v[12:13]
	v_fma_f64 v[217:218], v[217:218], v[6:7], v[219:220]
	v_fma_f64 v[215:216], v[215:216], v[6:7], -v[8:9]
	scratch_load_b128 v[6:9], off, off offset:464
	v_add_f64 v[156:157], v[156:157], v[225:226]
	v_add_f64 v[219:220], v[221:222], v[223:224]
	s_waitcnt vmcnt(8) lgkmcnt(0)
	v_mul_f64 v[221:222], v[163:164], v[16:17]
	v_mul_f64 v[16:17], v[165:166], v[16:17]
	v_fma_f64 v[223:224], v[4:5], v[10:11], v[227:228]
	v_fma_f64 v[225:226], v[2:3], v[10:11], -v[12:13]
	ds_load_b128 v[2:5], v1 offset:1184
	scratch_load_b128 v[10:13], off, off offset:480
	v_add_f64 v[156:157], v[156:157], v[215:216]
	v_add_f64 v[219:220], v[219:220], v[217:218]
	ds_load_b128 v[215:218], v1 offset:1200
	s_waitcnt vmcnt(8) lgkmcnt(1)
	v_mul_f64 v[227:228], v[2:3], v[20:21]
	v_mul_f64 v[20:21], v[4:5], v[20:21]
	v_fma_f64 v[165:166], v[165:166], v[14:15], v[221:222]
	v_fma_f64 v[163:164], v[163:164], v[14:15], -v[16:17]
	scratch_load_b128 v[14:17], off, off offset:496
	s_waitcnt vmcnt(8) lgkmcnt(0)
	v_mul_f64 v[221:222], v[215:216], v[24:25]
	v_mul_f64 v[24:25], v[217:218], v[24:25]
	v_add_f64 v[156:157], v[156:157], v[225:226]
	v_add_f64 v[219:220], v[219:220], v[223:224]
	v_fma_f64 v[223:224], v[4:5], v[18:19], v[227:228]
	v_fma_f64 v[225:226], v[2:3], v[18:19], -v[20:21]
	ds_load_b128 v[2:5], v1 offset:1216
	scratch_load_b128 v[18:21], off, off offset:512
	v_fma_f64 v[217:218], v[217:218], v[22:23], v[221:222]
	v_fma_f64 v[215:216], v[215:216], v[22:23], -v[24:25]
	scratch_load_b128 v[22:25], off, off offset:528
	v_add_f64 v[156:157], v[156:157], v[163:164]
	v_add_f64 v[219:220], v[219:220], v[165:166]
	ds_load_b128 v[163:166], v1 offset:1232
	s_waitcnt vmcnt(9) lgkmcnt(1)
	v_mul_f64 v[227:228], v[2:3], v[28:29]
	v_mul_f64 v[28:29], v[4:5], v[28:29]
	s_waitcnt vmcnt(8) lgkmcnt(0)
	v_mul_f64 v[221:222], v[163:164], v[32:33]
	v_mul_f64 v[32:33], v[165:166], v[32:33]
	v_add_f64 v[156:157], v[156:157], v[225:226]
	v_add_f64 v[219:220], v[219:220], v[223:224]
	v_fma_f64 v[223:224], v[4:5], v[26:27], v[227:228]
	v_fma_f64 v[225:226], v[2:3], v[26:27], -v[28:29]
	ds_load_b128 v[2:5], v1 offset:1248
	scratch_load_b128 v[26:29], off, off offset:544
	v_fma_f64 v[165:166], v[165:166], v[30:31], v[221:222]
	v_fma_f64 v[163:164], v[163:164], v[30:31], -v[32:33]
	scratch_load_b128 v[30:33], off, off offset:560
	v_add_f64 v[156:157], v[156:157], v[215:216]
	v_add_f64 v[219:220], v[219:220], v[217:218]
	ds_load_b128 v[215:218], v1 offset:1264
	s_waitcnt vmcnt(9) lgkmcnt(1)
	v_mul_f64 v[227:228], v[2:3], v[36:37]
	v_mul_f64 v[36:37], v[4:5], v[36:37]
	;; [unrolled: 18-line block ×10, first 2 shown]
	s_waitcnt vmcnt(8) lgkmcnt(0)
	v_mul_f64 v[221:222], v[215:216], v[24:25]
	v_mul_f64 v[24:25], v[217:218], v[24:25]
	v_add_f64 v[156:157], v[156:157], v[225:226]
	v_add_f64 v[219:220], v[219:220], v[223:224]
	v_fma_f64 v[223:224], v[4:5], v[18:19], v[227:228]
	v_fma_f64 v[225:226], v[2:3], v[18:19], -v[20:21]
	ds_load_b128 v[2:5], v1 offset:1536
	ds_load_b128 v[18:21], v1 offset:1552
	v_fma_f64 v[217:218], v[217:218], v[22:23], v[221:222]
	v_fma_f64 v[22:23], v[215:216], v[22:23], -v[24:25]
	v_add_f64 v[156:157], v[156:157], v[163:164]
	v_add_f64 v[163:164], v[219:220], v[165:166]
	s_waitcnt vmcnt(7) lgkmcnt(1)
	v_mul_f64 v[165:166], v[2:3], v[28:29]
	v_mul_f64 v[28:29], v[4:5], v[28:29]
	s_delay_alu instid0(VALU_DEP_4) | instskip(NEXT) | instid1(VALU_DEP_4)
	v_add_f64 v[24:25], v[156:157], v[225:226]
	v_add_f64 v[156:157], v[163:164], v[223:224]
	s_waitcnt vmcnt(6) lgkmcnt(0)
	v_mul_f64 v[163:164], v[18:19], v[32:33]
	v_mul_f64 v[32:33], v[20:21], v[32:33]
	v_fma_f64 v[165:166], v[4:5], v[26:27], v[165:166]
	v_fma_f64 v[26:27], v[2:3], v[26:27], -v[28:29]
	v_add_f64 v[28:29], v[24:25], v[22:23]
	v_add_f64 v[156:157], v[156:157], v[217:218]
	ds_load_b128 v[2:5], v1 offset:1568
	ds_load_b128 v[22:25], v1 offset:1584
	v_fma_f64 v[20:21], v[20:21], v[30:31], v[163:164]
	v_fma_f64 v[18:19], v[18:19], v[30:31], -v[32:33]
	s_waitcnt vmcnt(5) lgkmcnt(1)
	v_mul_f64 v[215:216], v[2:3], v[36:37]
	v_mul_f64 v[36:37], v[4:5], v[36:37]
	s_waitcnt vmcnt(4) lgkmcnt(0)
	v_mul_f64 v[30:31], v[22:23], v[40:41]
	v_mul_f64 v[32:33], v[24:25], v[40:41]
	v_add_f64 v[26:27], v[28:29], v[26:27]
	v_add_f64 v[28:29], v[156:157], v[165:166]
	v_fma_f64 v[40:41], v[4:5], v[34:35], v[215:216]
	v_fma_f64 v[34:35], v[2:3], v[34:35], -v[36:37]
	v_fma_f64 v[24:25], v[24:25], v[38:39], v[30:31]
	v_fma_f64 v[22:23], v[22:23], v[38:39], -v[32:33]
	v_add_f64 v[26:27], v[26:27], v[18:19]
	v_add_f64 v[28:29], v[28:29], v[20:21]
	ds_load_b128 v[2:5], v1 offset:1600
	ds_load_b128 v[18:21], v1 offset:1616
	s_waitcnt vmcnt(3) lgkmcnt(1)
	v_mul_f64 v[36:37], v[2:3], v[44:45]
	v_mul_f64 v[44:45], v[4:5], v[44:45]
	s_waitcnt vmcnt(2) lgkmcnt(0)
	v_mul_f64 v[30:31], v[18:19], v[8:9]
	v_mul_f64 v[8:9], v[20:21], v[8:9]
	v_add_f64 v[26:27], v[26:27], v[34:35]
	v_add_f64 v[28:29], v[28:29], v[40:41]
	v_fma_f64 v[32:33], v[4:5], v[42:43], v[36:37]
	v_fma_f64 v[34:35], v[2:3], v[42:43], -v[44:45]
	v_fma_f64 v[20:21], v[20:21], v[6:7], v[30:31]
	v_fma_f64 v[6:7], v[18:19], v[6:7], -v[8:9]
	v_add_f64 v[26:27], v[26:27], v[22:23]
	v_add_f64 v[28:29], v[28:29], v[24:25]
	ds_load_b128 v[2:5], v1 offset:1632
	ds_load_b128 v[22:25], v1 offset:1648
	s_waitcnt vmcnt(1) lgkmcnt(1)
	v_mul_f64 v[36:37], v[2:3], v[12:13]
	v_mul_f64 v[12:13], v[4:5], v[12:13]
	v_add_f64 v[8:9], v[26:27], v[34:35]
	v_add_f64 v[18:19], v[28:29], v[32:33]
	s_waitcnt vmcnt(0) lgkmcnt(0)
	v_mul_f64 v[26:27], v[22:23], v[16:17]
	v_mul_f64 v[16:17], v[24:25], v[16:17]
	v_fma_f64 v[4:5], v[4:5], v[10:11], v[36:37]
	v_fma_f64 v[1:2], v[2:3], v[10:11], -v[12:13]
	v_add_f64 v[6:7], v[8:9], v[6:7]
	v_add_f64 v[8:9], v[18:19], v[20:21]
	v_fma_f64 v[10:11], v[24:25], v[14:15], v[26:27]
	v_fma_f64 v[12:13], v[22:23], v[14:15], -v[16:17]
	s_delay_alu instid0(VALU_DEP_4) | instskip(NEXT) | instid1(VALU_DEP_4)
	v_add_f64 v[1:2], v[6:7], v[1:2]
	v_add_f64 v[3:4], v[8:9], v[4:5]
	s_delay_alu instid0(VALU_DEP_2) | instskip(NEXT) | instid1(VALU_DEP_2)
	v_add_f64 v[1:2], v[1:2], v[12:13]
	v_add_f64 v[3:4], v[3:4], v[10:11]
	s_delay_alu instid0(VALU_DEP_2) | instskip(NEXT) | instid1(VALU_DEP_2)
	v_add_f64 v[1:2], v[152:153], -v[1:2]
	v_add_f64 v[3:4], v[154:155], -v[3:4]
	scratch_store_b128 off, v[1:4], off offset:112
	v_cmpx_lt_u32_e32 6, v150
	s_cbranch_execz .LBB51_313
; %bb.312:
	scratch_load_b128 v[1:4], v196, off
	v_mov_b32_e32 v5, 0
	s_delay_alu instid0(VALU_DEP_1)
	v_mov_b32_e32 v6, v5
	v_mov_b32_e32 v7, v5
	;; [unrolled: 1-line block ×3, first 2 shown]
	scratch_store_b128 off, v[5:8], off offset:96
	s_waitcnt vmcnt(0)
	ds_store_b128 v202, v[1:4]
.LBB51_313:
	s_or_b32 exec_lo, exec_lo, s2
	s_waitcnt lgkmcnt(0)
	s_waitcnt_vscnt null, 0x0
	s_barrier
	buffer_gl0_inv
	s_clause 0x7
	scratch_load_b128 v[2:5], off, off offset:112
	scratch_load_b128 v[6:9], off, off offset:128
	;; [unrolled: 1-line block ×8, first 2 shown]
	v_mov_b32_e32 v1, 0
	s_mov_b32 s2, exec_lo
	ds_load_b128 v[38:41], v1 offset:944
	s_clause 0x1
	scratch_load_b128 v[34:37], off, off offset:240
	scratch_load_b128 v[42:45], off, off offset:96
	ds_load_b128 v[152:155], v1 offset:960
	scratch_load_b128 v[163:166], off, off offset:256
	ds_load_b128 v[215:218], v1 offset:992
	s_waitcnt vmcnt(10) lgkmcnt(2)
	v_mul_f64 v[156:157], v[40:41], v[4:5]
	v_mul_f64 v[4:5], v[38:39], v[4:5]
	s_delay_alu instid0(VALU_DEP_2) | instskip(NEXT) | instid1(VALU_DEP_2)
	v_fma_f64 v[156:157], v[38:39], v[2:3], -v[156:157]
	v_fma_f64 v[221:222], v[40:41], v[2:3], v[4:5]
	ds_load_b128 v[2:5], v1 offset:976
	s_waitcnt vmcnt(9) lgkmcnt(2)
	v_mul_f64 v[219:220], v[152:153], v[8:9]
	v_mul_f64 v[8:9], v[154:155], v[8:9]
	scratch_load_b128 v[38:41], off, off offset:272
	s_waitcnt vmcnt(9) lgkmcnt(0)
	v_mul_f64 v[223:224], v[2:3], v[12:13]
	v_mul_f64 v[12:13], v[4:5], v[12:13]
	v_add_f64 v[156:157], v[156:157], 0
	v_fma_f64 v[154:155], v[154:155], v[6:7], v[219:220]
	v_fma_f64 v[152:153], v[152:153], v[6:7], -v[8:9]
	v_add_f64 v[219:220], v[221:222], 0
	scratch_load_b128 v[6:9], off, off offset:288
	v_fma_f64 v[223:224], v[4:5], v[10:11], v[223:224]
	v_fma_f64 v[225:226], v[2:3], v[10:11], -v[12:13]
	scratch_load_b128 v[10:13], off, off offset:304
	ds_load_b128 v[2:5], v1 offset:1008
	s_waitcnt vmcnt(10)
	v_mul_f64 v[221:222], v[215:216], v[16:17]
	v_mul_f64 v[16:17], v[217:218], v[16:17]
	v_add_f64 v[156:157], v[156:157], v[152:153]
	v_add_f64 v[219:220], v[219:220], v[154:155]
	ds_load_b128 v[152:155], v1 offset:1024
	s_waitcnt vmcnt(9) lgkmcnt(1)
	v_mul_f64 v[227:228], v[2:3], v[20:21]
	v_mul_f64 v[20:21], v[4:5], v[20:21]
	v_fma_f64 v[217:218], v[217:218], v[14:15], v[221:222]
	v_fma_f64 v[215:216], v[215:216], v[14:15], -v[16:17]
	scratch_load_b128 v[14:17], off, off offset:320
	v_add_f64 v[156:157], v[156:157], v[225:226]
	v_add_f64 v[219:220], v[219:220], v[223:224]
	v_fma_f64 v[223:224], v[4:5], v[18:19], v[227:228]
	v_fma_f64 v[225:226], v[2:3], v[18:19], -v[20:21]
	scratch_load_b128 v[18:21], off, off offset:336
	ds_load_b128 v[2:5], v1 offset:1040
	s_waitcnt vmcnt(10) lgkmcnt(1)
	v_mul_f64 v[221:222], v[152:153], v[24:25]
	v_mul_f64 v[24:25], v[154:155], v[24:25]
	s_waitcnt vmcnt(9) lgkmcnt(0)
	v_mul_f64 v[227:228], v[2:3], v[28:29]
	v_mul_f64 v[28:29], v[4:5], v[28:29]
	v_add_f64 v[156:157], v[156:157], v[215:216]
	v_add_f64 v[219:220], v[219:220], v[217:218]
	ds_load_b128 v[215:218], v1 offset:1056
	v_fma_f64 v[154:155], v[154:155], v[22:23], v[221:222]
	v_fma_f64 v[152:153], v[152:153], v[22:23], -v[24:25]
	scratch_load_b128 v[22:25], off, off offset:352
	v_add_f64 v[156:157], v[156:157], v[225:226]
	v_add_f64 v[219:220], v[219:220], v[223:224]
	v_fma_f64 v[223:224], v[4:5], v[26:27], v[227:228]
	v_fma_f64 v[225:226], v[2:3], v[26:27], -v[28:29]
	scratch_load_b128 v[26:29], off, off offset:368
	ds_load_b128 v[2:5], v1 offset:1072
	s_waitcnt vmcnt(10) lgkmcnt(1)
	v_mul_f64 v[221:222], v[215:216], v[32:33]
	v_mul_f64 v[32:33], v[217:218], v[32:33]
	s_waitcnt vmcnt(9) lgkmcnt(0)
	v_mul_f64 v[227:228], v[2:3], v[36:37]
	v_mul_f64 v[36:37], v[4:5], v[36:37]
	v_add_f64 v[156:157], v[156:157], v[152:153]
	v_add_f64 v[219:220], v[219:220], v[154:155]
	ds_load_b128 v[152:155], v1 offset:1088
	v_fma_f64 v[217:218], v[217:218], v[30:31], v[221:222]
	v_fma_f64 v[215:216], v[215:216], v[30:31], -v[32:33]
	scratch_load_b128 v[30:33], off, off offset:384
	v_add_f64 v[156:157], v[156:157], v[225:226]
	v_add_f64 v[219:220], v[219:220], v[223:224]
	v_fma_f64 v[223:224], v[4:5], v[34:35], v[227:228]
	v_fma_f64 v[225:226], v[2:3], v[34:35], -v[36:37]
	scratch_load_b128 v[34:37], off, off offset:400
	ds_load_b128 v[2:5], v1 offset:1104
	s_waitcnt vmcnt(9) lgkmcnt(1)
	v_mul_f64 v[221:222], v[152:153], v[165:166]
	v_mul_f64 v[165:166], v[154:155], v[165:166]
	v_add_f64 v[156:157], v[156:157], v[215:216]
	v_add_f64 v[219:220], v[219:220], v[217:218]
	ds_load_b128 v[215:218], v1 offset:1120
	v_fma_f64 v[221:222], v[154:155], v[163:164], v[221:222]
	v_fma_f64 v[163:164], v[152:153], v[163:164], -v[165:166]
	scratch_load_b128 v[152:155], off, off offset:416
	s_waitcnt vmcnt(9) lgkmcnt(1)
	v_mul_f64 v[227:228], v[2:3], v[40:41]
	v_mul_f64 v[40:41], v[4:5], v[40:41]
	v_add_f64 v[156:157], v[156:157], v[225:226]
	v_add_f64 v[165:166], v[219:220], v[223:224]
	s_delay_alu instid0(VALU_DEP_4) | instskip(NEXT) | instid1(VALU_DEP_4)
	v_fma_f64 v[223:224], v[4:5], v[38:39], v[227:228]
	v_fma_f64 v[225:226], v[2:3], v[38:39], -v[40:41]
	scratch_load_b128 v[38:41], off, off offset:432
	ds_load_b128 v[2:5], v1 offset:1136
	s_waitcnt vmcnt(9) lgkmcnt(1)
	v_mul_f64 v[219:220], v[215:216], v[8:9]
	v_mul_f64 v[8:9], v[217:218], v[8:9]
	v_add_f64 v[156:157], v[156:157], v[163:164]
	v_add_f64 v[221:222], v[165:166], v[221:222]
	s_waitcnt vmcnt(8) lgkmcnt(0)
	v_mul_f64 v[227:228], v[2:3], v[12:13]
	v_mul_f64 v[12:13], v[4:5], v[12:13]
	ds_load_b128 v[163:166], v1 offset:1152
	v_fma_f64 v[217:218], v[217:218], v[6:7], v[219:220]
	v_fma_f64 v[215:216], v[215:216], v[6:7], -v[8:9]
	scratch_load_b128 v[6:9], off, off offset:448
	v_add_f64 v[156:157], v[156:157], v[225:226]
	v_add_f64 v[219:220], v[221:222], v[223:224]
	v_fma_f64 v[223:224], v[4:5], v[10:11], v[227:228]
	v_fma_f64 v[225:226], v[2:3], v[10:11], -v[12:13]
	scratch_load_b128 v[10:13], off, off offset:464
	ds_load_b128 v[2:5], v1 offset:1168
	s_waitcnt vmcnt(9) lgkmcnt(1)
	v_mul_f64 v[221:222], v[163:164], v[16:17]
	v_mul_f64 v[16:17], v[165:166], v[16:17]
	s_waitcnt vmcnt(8) lgkmcnt(0)
	v_mul_f64 v[227:228], v[2:3], v[20:21]
	v_mul_f64 v[20:21], v[4:5], v[20:21]
	v_add_f64 v[156:157], v[156:157], v[215:216]
	v_add_f64 v[219:220], v[219:220], v[217:218]
	ds_load_b128 v[215:218], v1 offset:1184
	v_fma_f64 v[165:166], v[165:166], v[14:15], v[221:222]
	v_fma_f64 v[163:164], v[163:164], v[14:15], -v[16:17]
	scratch_load_b128 v[14:17], off, off offset:480
	v_add_f64 v[156:157], v[156:157], v[225:226]
	v_add_f64 v[219:220], v[219:220], v[223:224]
	v_fma_f64 v[223:224], v[4:5], v[18:19], v[227:228]
	v_fma_f64 v[225:226], v[2:3], v[18:19], -v[20:21]
	scratch_load_b128 v[18:21], off, off offset:496
	ds_load_b128 v[2:5], v1 offset:1200
	s_waitcnt vmcnt(9) lgkmcnt(1)
	v_mul_f64 v[221:222], v[215:216], v[24:25]
	v_mul_f64 v[24:25], v[217:218], v[24:25]
	s_waitcnt vmcnt(8) lgkmcnt(0)
	v_mul_f64 v[227:228], v[2:3], v[28:29]
	v_mul_f64 v[28:29], v[4:5], v[28:29]
	v_add_f64 v[156:157], v[156:157], v[163:164]
	v_add_f64 v[219:220], v[219:220], v[165:166]
	ds_load_b128 v[163:166], v1 offset:1216
	v_fma_f64 v[217:218], v[217:218], v[22:23], v[221:222]
	v_fma_f64 v[215:216], v[215:216], v[22:23], -v[24:25]
	scratch_load_b128 v[22:25], off, off offset:512
	v_add_f64 v[156:157], v[156:157], v[225:226]
	v_add_f64 v[219:220], v[219:220], v[223:224]
	v_fma_f64 v[223:224], v[4:5], v[26:27], v[227:228]
	v_fma_f64 v[225:226], v[2:3], v[26:27], -v[28:29]
	scratch_load_b128 v[26:29], off, off offset:528
	ds_load_b128 v[2:5], v1 offset:1232
	s_waitcnt vmcnt(9) lgkmcnt(1)
	v_mul_f64 v[221:222], v[163:164], v[32:33]
	v_mul_f64 v[32:33], v[165:166], v[32:33]
	s_waitcnt vmcnt(8) lgkmcnt(0)
	v_mul_f64 v[227:228], v[2:3], v[36:37]
	v_mul_f64 v[36:37], v[4:5], v[36:37]
	v_add_f64 v[156:157], v[156:157], v[215:216]
	v_add_f64 v[219:220], v[219:220], v[217:218]
	ds_load_b128 v[215:218], v1 offset:1248
	v_fma_f64 v[165:166], v[165:166], v[30:31], v[221:222]
	v_fma_f64 v[163:164], v[163:164], v[30:31], -v[32:33]
	scratch_load_b128 v[30:33], off, off offset:544
	v_add_f64 v[156:157], v[156:157], v[225:226]
	v_add_f64 v[219:220], v[219:220], v[223:224]
	v_fma_f64 v[225:226], v[4:5], v[34:35], v[227:228]
	v_fma_f64 v[227:228], v[2:3], v[34:35], -v[36:37]
	scratch_load_b128 v[34:37], off, off offset:560
	ds_load_b128 v[2:5], v1 offset:1264
	s_waitcnt vmcnt(9) lgkmcnt(1)
	v_mul_f64 v[221:222], v[215:216], v[154:155]
	v_mul_f64 v[223:224], v[217:218], v[154:155]
	v_add_f64 v[163:164], v[156:157], v[163:164]
	v_add_f64 v[165:166], v[219:220], v[165:166]
	s_waitcnt vmcnt(8) lgkmcnt(0)
	v_mul_f64 v[219:220], v[2:3], v[40:41]
	v_mul_f64 v[40:41], v[4:5], v[40:41]
	ds_load_b128 v[154:157], v1 offset:1280
	v_fma_f64 v[217:218], v[217:218], v[152:153], v[221:222]
	v_fma_f64 v[152:153], v[215:216], v[152:153], -v[223:224]
	v_add_f64 v[215:216], v[163:164], v[227:228]
	v_add_f64 v[221:222], v[165:166], v[225:226]
	scratch_load_b128 v[163:166], off, off offset:576
	v_fma_f64 v[219:220], v[4:5], v[38:39], v[219:220]
	v_fma_f64 v[225:226], v[2:3], v[38:39], -v[40:41]
	scratch_load_b128 v[38:41], off, off offset:592
	ds_load_b128 v[2:5], v1 offset:1296
	s_waitcnt vmcnt(9) lgkmcnt(1)
	v_mul_f64 v[223:224], v[154:155], v[8:9]
	v_mul_f64 v[8:9], v[156:157], v[8:9]
	s_waitcnt vmcnt(8) lgkmcnt(0)
	v_mul_f64 v[227:228], v[2:3], v[12:13]
	v_mul_f64 v[12:13], v[4:5], v[12:13]
	v_add_f64 v[152:153], v[215:216], v[152:153]
	v_add_f64 v[221:222], v[221:222], v[217:218]
	ds_load_b128 v[215:218], v1 offset:1312
	v_fma_f64 v[156:157], v[156:157], v[6:7], v[223:224]
	v_fma_f64 v[154:155], v[154:155], v[6:7], -v[8:9]
	scratch_load_b128 v[6:9], off, off offset:608
	v_fma_f64 v[223:224], v[4:5], v[10:11], v[227:228]
	v_add_f64 v[152:153], v[152:153], v[225:226]
	v_add_f64 v[219:220], v[221:222], v[219:220]
	v_fma_f64 v[225:226], v[2:3], v[10:11], -v[12:13]
	scratch_load_b128 v[10:13], off, off offset:624
	ds_load_b128 v[2:5], v1 offset:1328
	s_waitcnt vmcnt(9) lgkmcnt(1)
	v_mul_f64 v[221:222], v[215:216], v[16:17]
	v_mul_f64 v[16:17], v[217:218], v[16:17]
	v_add_f64 v[227:228], v[152:153], v[154:155]
	v_add_f64 v[156:157], v[219:220], v[156:157]
	s_waitcnt vmcnt(8) lgkmcnt(0)
	v_mul_f64 v[219:220], v[2:3], v[20:21]
	v_mul_f64 v[20:21], v[4:5], v[20:21]
	ds_load_b128 v[152:155], v1 offset:1344
	v_fma_f64 v[217:218], v[217:218], v[14:15], v[221:222]
	v_fma_f64 v[215:216], v[215:216], v[14:15], -v[16:17]
	scratch_load_b128 v[14:17], off, off offset:640
	v_add_f64 v[221:222], v[227:228], v[225:226]
	v_add_f64 v[156:157], v[156:157], v[223:224]
	v_fma_f64 v[219:220], v[4:5], v[18:19], v[219:220]
	v_fma_f64 v[225:226], v[2:3], v[18:19], -v[20:21]
	scratch_load_b128 v[18:21], off, off offset:656
	ds_load_b128 v[2:5], v1 offset:1360
	s_waitcnt vmcnt(9) lgkmcnt(1)
	v_mul_f64 v[223:224], v[152:153], v[24:25]
	v_mul_f64 v[24:25], v[154:155], v[24:25]
	s_waitcnt vmcnt(8) lgkmcnt(0)
	v_mul_f64 v[227:228], v[2:3], v[28:29]
	v_mul_f64 v[28:29], v[4:5], v[28:29]
	v_add_f64 v[221:222], v[221:222], v[215:216]
	v_add_f64 v[156:157], v[156:157], v[217:218]
	ds_load_b128 v[215:218], v1 offset:1376
	v_fma_f64 v[154:155], v[154:155], v[22:23], v[223:224]
	v_fma_f64 v[152:153], v[152:153], v[22:23], -v[24:25]
	scratch_load_b128 v[22:25], off, off offset:672
	v_fma_f64 v[223:224], v[4:5], v[26:27], v[227:228]
	v_add_f64 v[221:222], v[221:222], v[225:226]
	v_add_f64 v[156:157], v[156:157], v[219:220]
	v_fma_f64 v[225:226], v[2:3], v[26:27], -v[28:29]
	scratch_load_b128 v[26:29], off, off offset:688
	ds_load_b128 v[2:5], v1 offset:1392
	s_waitcnt vmcnt(9) lgkmcnt(1)
	v_mul_f64 v[219:220], v[215:216], v[32:33]
	v_mul_f64 v[32:33], v[217:218], v[32:33]
	s_waitcnt vmcnt(8) lgkmcnt(0)
	v_mul_f64 v[227:228], v[2:3], v[36:37]
	v_mul_f64 v[36:37], v[4:5], v[36:37]
	v_add_f64 v[221:222], v[221:222], v[152:153]
	v_add_f64 v[156:157], v[156:157], v[154:155]
	ds_load_b128 v[152:155], v1 offset:1408
	v_fma_f64 v[217:218], v[217:218], v[30:31], v[219:220]
	v_fma_f64 v[215:216], v[215:216], v[30:31], -v[32:33]
	scratch_load_b128 v[30:33], off, off offset:704
	v_add_f64 v[219:220], v[221:222], v[225:226]
	v_add_f64 v[156:157], v[156:157], v[223:224]
	v_fma_f64 v[223:224], v[4:5], v[34:35], v[227:228]
	v_fma_f64 v[225:226], v[2:3], v[34:35], -v[36:37]
	scratch_load_b128 v[34:37], off, off offset:720
	ds_load_b128 v[2:5], v1 offset:1424
	s_waitcnt vmcnt(9) lgkmcnt(1)
	v_mul_f64 v[221:222], v[152:153], v[165:166]
	v_mul_f64 v[165:166], v[154:155], v[165:166]
	s_waitcnt vmcnt(8) lgkmcnt(0)
	v_mul_f64 v[227:228], v[2:3], v[40:41]
	v_mul_f64 v[40:41], v[4:5], v[40:41]
	v_add_f64 v[219:220], v[219:220], v[215:216]
	v_add_f64 v[156:157], v[156:157], v[217:218]
	ds_load_b128 v[215:218], v1 offset:1440
	v_fma_f64 v[221:222], v[154:155], v[163:164], v[221:222]
	v_fma_f64 v[163:164], v[152:153], v[163:164], -v[165:166]
	scratch_load_b128 v[152:155], off, off offset:736
	v_add_f64 v[165:166], v[219:220], v[225:226]
	v_add_f64 v[156:157], v[156:157], v[223:224]
	v_fma_f64 v[223:224], v[4:5], v[38:39], v[227:228]
	v_fma_f64 v[225:226], v[2:3], v[38:39], -v[40:41]
	scratch_load_b128 v[38:41], off, off offset:752
	ds_load_b128 v[2:5], v1 offset:1456
	s_waitcnt vmcnt(9) lgkmcnt(1)
	v_mul_f64 v[219:220], v[215:216], v[8:9]
	v_mul_f64 v[8:9], v[217:218], v[8:9]
	v_add_f64 v[227:228], v[165:166], v[163:164]
	v_add_f64 v[156:157], v[156:157], v[221:222]
	s_waitcnt vmcnt(8) lgkmcnt(0)
	v_mul_f64 v[221:222], v[2:3], v[12:13]
	v_mul_f64 v[12:13], v[4:5], v[12:13]
	ds_load_b128 v[163:166], v1 offset:1472
	v_fma_f64 v[217:218], v[217:218], v[6:7], v[219:220]
	v_fma_f64 v[215:216], v[215:216], v[6:7], -v[8:9]
	scratch_load_b128 v[6:9], off, off offset:768
	v_add_f64 v[219:220], v[227:228], v[225:226]
	v_add_f64 v[156:157], v[156:157], v[223:224]
	v_fma_f64 v[221:222], v[4:5], v[10:11], v[221:222]
	v_fma_f64 v[225:226], v[2:3], v[10:11], -v[12:13]
	scratch_load_b128 v[10:13], off, off offset:784
	ds_load_b128 v[2:5], v1 offset:1488
	s_waitcnt vmcnt(9) lgkmcnt(1)
	v_mul_f64 v[223:224], v[163:164], v[16:17]
	v_mul_f64 v[16:17], v[165:166], v[16:17]
	s_waitcnt vmcnt(8) lgkmcnt(0)
	v_mul_f64 v[227:228], v[2:3], v[20:21]
	v_mul_f64 v[20:21], v[4:5], v[20:21]
	v_add_f64 v[219:220], v[219:220], v[215:216]
	v_add_f64 v[156:157], v[156:157], v[217:218]
	ds_load_b128 v[215:218], v1 offset:1504
	v_fma_f64 v[165:166], v[165:166], v[14:15], v[223:224]
	v_fma_f64 v[163:164], v[163:164], v[14:15], -v[16:17]
	scratch_load_b128 v[14:17], off, off offset:800
	v_fma_f64 v[223:224], v[4:5], v[18:19], v[227:228]
	v_add_f64 v[219:220], v[219:220], v[225:226]
	v_add_f64 v[156:157], v[156:157], v[221:222]
	v_fma_f64 v[225:226], v[2:3], v[18:19], -v[20:21]
	scratch_load_b128 v[18:21], off, off offset:816
	ds_load_b128 v[2:5], v1 offset:1520
	s_waitcnt vmcnt(9) lgkmcnt(1)
	v_mul_f64 v[221:222], v[215:216], v[24:25]
	v_mul_f64 v[24:25], v[217:218], v[24:25]
	s_waitcnt vmcnt(8) lgkmcnt(0)
	v_mul_f64 v[227:228], v[2:3], v[28:29]
	v_mul_f64 v[28:29], v[4:5], v[28:29]
	v_add_f64 v[219:220], v[219:220], v[163:164]
	v_add_f64 v[156:157], v[156:157], v[165:166]
	ds_load_b128 v[163:166], v1 offset:1536
	v_fma_f64 v[217:218], v[217:218], v[22:23], v[221:222]
	v_fma_f64 v[22:23], v[215:216], v[22:23], -v[24:25]
	s_waitcnt vmcnt(7) lgkmcnt(0)
	v_mul_f64 v[215:216], v[163:164], v[32:33]
	v_mul_f64 v[32:33], v[165:166], v[32:33]
	v_add_f64 v[24:25], v[219:220], v[225:226]
	v_add_f64 v[156:157], v[156:157], v[223:224]
	v_fma_f64 v[219:220], v[4:5], v[26:27], v[227:228]
	v_fma_f64 v[26:27], v[2:3], v[26:27], -v[28:29]
	v_fma_f64 v[165:166], v[165:166], v[30:31], v[215:216]
	v_fma_f64 v[30:31], v[163:164], v[30:31], -v[32:33]
	v_add_f64 v[28:29], v[24:25], v[22:23]
	v_add_f64 v[156:157], v[156:157], v[217:218]
	ds_load_b128 v[2:5], v1 offset:1552
	ds_load_b128 v[22:25], v1 offset:1568
	s_waitcnt vmcnt(6) lgkmcnt(1)
	v_mul_f64 v[217:218], v[2:3], v[36:37]
	v_mul_f64 v[36:37], v[4:5], v[36:37]
	s_waitcnt vmcnt(5) lgkmcnt(0)
	v_mul_f64 v[32:33], v[22:23], v[154:155]
	v_mul_f64 v[154:155], v[24:25], v[154:155]
	v_add_f64 v[26:27], v[28:29], v[26:27]
	v_add_f64 v[28:29], v[156:157], v[219:220]
	v_fma_f64 v[156:157], v[4:5], v[34:35], v[217:218]
	v_fma_f64 v[34:35], v[2:3], v[34:35], -v[36:37]
	v_fma_f64 v[24:25], v[24:25], v[152:153], v[32:33]
	v_fma_f64 v[22:23], v[22:23], v[152:153], -v[154:155]
	v_add_f64 v[30:31], v[26:27], v[30:31]
	v_add_f64 v[36:37], v[28:29], v[165:166]
	ds_load_b128 v[2:5], v1 offset:1584
	ds_load_b128 v[26:29], v1 offset:1600
	s_waitcnt vmcnt(4) lgkmcnt(1)
	v_mul_f64 v[163:164], v[2:3], v[40:41]
	v_mul_f64 v[40:41], v[4:5], v[40:41]
	v_add_f64 v[30:31], v[30:31], v[34:35]
	v_add_f64 v[32:33], v[36:37], v[156:157]
	s_waitcnt vmcnt(3) lgkmcnt(0)
	v_mul_f64 v[34:35], v[26:27], v[8:9]
	v_mul_f64 v[8:9], v[28:29], v[8:9]
	v_fma_f64 v[36:37], v[4:5], v[38:39], v[163:164]
	v_fma_f64 v[38:39], v[2:3], v[38:39], -v[40:41]
	v_add_f64 v[30:31], v[30:31], v[22:23]
	v_add_f64 v[32:33], v[32:33], v[24:25]
	ds_load_b128 v[2:5], v1 offset:1616
	ds_load_b128 v[22:25], v1 offset:1632
	v_fma_f64 v[28:29], v[28:29], v[6:7], v[34:35]
	v_fma_f64 v[6:7], v[26:27], v[6:7], -v[8:9]
	s_waitcnt vmcnt(2) lgkmcnt(1)
	v_mul_f64 v[40:41], v[2:3], v[12:13]
	v_mul_f64 v[12:13], v[4:5], v[12:13]
	v_add_f64 v[8:9], v[30:31], v[38:39]
	v_add_f64 v[26:27], v[32:33], v[36:37]
	s_waitcnt vmcnt(1) lgkmcnt(0)
	v_mul_f64 v[30:31], v[22:23], v[16:17]
	v_mul_f64 v[16:17], v[24:25], v[16:17]
	v_fma_f64 v[32:33], v[4:5], v[10:11], v[40:41]
	v_fma_f64 v[10:11], v[2:3], v[10:11], -v[12:13]
	ds_load_b128 v[2:5], v1 offset:1648
	v_add_f64 v[6:7], v[8:9], v[6:7]
	v_add_f64 v[8:9], v[26:27], v[28:29]
	v_fma_f64 v[24:25], v[24:25], v[14:15], v[30:31]
	v_fma_f64 v[14:15], v[22:23], v[14:15], -v[16:17]
	s_waitcnt vmcnt(0) lgkmcnt(0)
	v_mul_f64 v[12:13], v[2:3], v[20:21]
	v_mul_f64 v[20:21], v[4:5], v[20:21]
	v_add_f64 v[6:7], v[6:7], v[10:11]
	v_add_f64 v[8:9], v[8:9], v[32:33]
	s_delay_alu instid0(VALU_DEP_4) | instskip(NEXT) | instid1(VALU_DEP_4)
	v_fma_f64 v[4:5], v[4:5], v[18:19], v[12:13]
	v_fma_f64 v[2:3], v[2:3], v[18:19], -v[20:21]
	s_delay_alu instid0(VALU_DEP_4) | instskip(NEXT) | instid1(VALU_DEP_4)
	v_add_f64 v[6:7], v[6:7], v[14:15]
	v_add_f64 v[8:9], v[8:9], v[24:25]
	s_delay_alu instid0(VALU_DEP_2) | instskip(NEXT) | instid1(VALU_DEP_2)
	v_add_f64 v[2:3], v[6:7], v[2:3]
	v_add_f64 v[4:5], v[8:9], v[4:5]
	s_delay_alu instid0(VALU_DEP_2) | instskip(NEXT) | instid1(VALU_DEP_2)
	v_add_f64 v[2:3], v[42:43], -v[2:3]
	v_add_f64 v[4:5], v[44:45], -v[4:5]
	scratch_store_b128 off, v[2:5], off offset:96
	v_cmpx_lt_u32_e32 5, v150
	s_cbranch_execz .LBB51_315
; %bb.314:
	scratch_load_b128 v[5:8], v197, off
	v_mov_b32_e32 v2, v1
	v_mov_b32_e32 v3, v1
	;; [unrolled: 1-line block ×3, first 2 shown]
	scratch_store_b128 off, v[1:4], off offset:80
	s_waitcnt vmcnt(0)
	ds_store_b128 v202, v[5:8]
.LBB51_315:
	s_or_b32 exec_lo, exec_lo, s2
	s_waitcnt lgkmcnt(0)
	s_waitcnt_vscnt null, 0x0
	s_barrier
	buffer_gl0_inv
	s_clause 0x8
	scratch_load_b128 v[2:5], off, off offset:96
	scratch_load_b128 v[6:9], off, off offset:112
	;; [unrolled: 1-line block ×9, first 2 shown]
	ds_load_b128 v[42:45], v1 offset:928
	ds_load_b128 v[38:41], v1 offset:944
	s_clause 0x1
	scratch_load_b128 v[152:155], off, off offset:80
	scratch_load_b128 v[163:166], off, off offset:240
	s_mov_b32 s2, exec_lo
	ds_load_b128 v[215:218], v1 offset:976
	s_waitcnt vmcnt(10) lgkmcnt(2)
	v_mul_f64 v[156:157], v[44:45], v[4:5]
	v_mul_f64 v[4:5], v[42:43], v[4:5]
	s_waitcnt vmcnt(9) lgkmcnt(1)
	v_mul_f64 v[219:220], v[38:39], v[8:9]
	v_mul_f64 v[8:9], v[40:41], v[8:9]
	s_delay_alu instid0(VALU_DEP_4) | instskip(NEXT) | instid1(VALU_DEP_4)
	v_fma_f64 v[156:157], v[42:43], v[2:3], -v[156:157]
	v_fma_f64 v[221:222], v[44:45], v[2:3], v[4:5]
	ds_load_b128 v[2:5], v1 offset:960
	scratch_load_b128 v[42:45], off, off offset:256
	v_fma_f64 v[40:41], v[40:41], v[6:7], v[219:220]
	v_fma_f64 v[38:39], v[38:39], v[6:7], -v[8:9]
	scratch_load_b128 v[6:9], off, off offset:272
	s_waitcnt vmcnt(10) lgkmcnt(0)
	v_mul_f64 v[223:224], v[2:3], v[12:13]
	v_mul_f64 v[12:13], v[4:5], v[12:13]
	v_add_f64 v[156:157], v[156:157], 0
	v_add_f64 v[219:220], v[221:222], 0
	s_waitcnt vmcnt(9)
	v_mul_f64 v[221:222], v[215:216], v[16:17]
	v_mul_f64 v[16:17], v[217:218], v[16:17]
	v_fma_f64 v[223:224], v[4:5], v[10:11], v[223:224]
	v_fma_f64 v[225:226], v[2:3], v[10:11], -v[12:13]
	ds_load_b128 v[2:5], v1 offset:992
	scratch_load_b128 v[10:13], off, off offset:288
	v_add_f64 v[156:157], v[156:157], v[38:39]
	v_add_f64 v[219:220], v[219:220], v[40:41]
	ds_load_b128 v[38:41], v1 offset:1008
	v_fma_f64 v[217:218], v[217:218], v[14:15], v[221:222]
	v_fma_f64 v[215:216], v[215:216], v[14:15], -v[16:17]
	scratch_load_b128 v[14:17], off, off offset:304
	s_waitcnt vmcnt(10) lgkmcnt(1)
	v_mul_f64 v[227:228], v[2:3], v[20:21]
	v_mul_f64 v[20:21], v[4:5], v[20:21]
	s_waitcnt vmcnt(9) lgkmcnt(0)
	v_mul_f64 v[221:222], v[38:39], v[24:25]
	v_mul_f64 v[24:25], v[40:41], v[24:25]
	v_add_f64 v[156:157], v[156:157], v[225:226]
	v_add_f64 v[219:220], v[219:220], v[223:224]
	v_fma_f64 v[223:224], v[4:5], v[18:19], v[227:228]
	v_fma_f64 v[225:226], v[2:3], v[18:19], -v[20:21]
	ds_load_b128 v[2:5], v1 offset:1024
	scratch_load_b128 v[18:21], off, off offset:320
	v_fma_f64 v[40:41], v[40:41], v[22:23], v[221:222]
	v_fma_f64 v[38:39], v[38:39], v[22:23], -v[24:25]
	scratch_load_b128 v[22:25], off, off offset:336
	v_add_f64 v[156:157], v[156:157], v[215:216]
	v_add_f64 v[219:220], v[219:220], v[217:218]
	ds_load_b128 v[215:218], v1 offset:1040
	s_waitcnt vmcnt(10) lgkmcnt(1)
	v_mul_f64 v[227:228], v[2:3], v[28:29]
	v_mul_f64 v[28:29], v[4:5], v[28:29]
	s_waitcnt vmcnt(9) lgkmcnt(0)
	v_mul_f64 v[221:222], v[215:216], v[32:33]
	v_mul_f64 v[32:33], v[217:218], v[32:33]
	v_add_f64 v[156:157], v[156:157], v[225:226]
	v_add_f64 v[219:220], v[219:220], v[223:224]
	v_fma_f64 v[223:224], v[4:5], v[26:27], v[227:228]
	v_fma_f64 v[225:226], v[2:3], v[26:27], -v[28:29]
	ds_load_b128 v[2:5], v1 offset:1056
	scratch_load_b128 v[26:29], off, off offset:352
	v_fma_f64 v[217:218], v[217:218], v[30:31], v[221:222]
	v_fma_f64 v[215:216], v[215:216], v[30:31], -v[32:33]
	scratch_load_b128 v[30:33], off, off offset:368
	v_add_f64 v[156:157], v[156:157], v[38:39]
	v_add_f64 v[219:220], v[219:220], v[40:41]
	ds_load_b128 v[38:41], v1 offset:1072
	;; [unrolled: 18-line block ×3, first 2 shown]
	s_waitcnt vmcnt(9) lgkmcnt(1)
	v_mul_f64 v[227:228], v[2:3], v[44:45]
	v_mul_f64 v[44:45], v[4:5], v[44:45]
	v_add_f64 v[156:157], v[156:157], v[225:226]
	v_add_f64 v[165:166], v[219:220], v[223:224]
	s_waitcnt vmcnt(8) lgkmcnt(0)
	v_mul_f64 v[219:220], v[215:216], v[8:9]
	v_mul_f64 v[8:9], v[217:218], v[8:9]
	v_fma_f64 v[223:224], v[4:5], v[42:43], v[227:228]
	v_fma_f64 v[225:226], v[2:3], v[42:43], -v[44:45]
	ds_load_b128 v[2:5], v1 offset:1120
	scratch_load_b128 v[42:45], off, off offset:416
	v_add_f64 v[156:157], v[156:157], v[163:164]
	v_add_f64 v[221:222], v[165:166], v[221:222]
	ds_load_b128 v[163:166], v1 offset:1136
	s_waitcnt vmcnt(8) lgkmcnt(1)
	v_mul_f64 v[227:228], v[2:3], v[12:13]
	v_mul_f64 v[12:13], v[4:5], v[12:13]
	v_fma_f64 v[217:218], v[217:218], v[6:7], v[219:220]
	v_fma_f64 v[215:216], v[215:216], v[6:7], -v[8:9]
	scratch_load_b128 v[6:9], off, off offset:432
	v_add_f64 v[156:157], v[156:157], v[225:226]
	v_add_f64 v[219:220], v[221:222], v[223:224]
	s_waitcnt vmcnt(8) lgkmcnt(0)
	v_mul_f64 v[221:222], v[163:164], v[16:17]
	v_mul_f64 v[16:17], v[165:166], v[16:17]
	v_fma_f64 v[223:224], v[4:5], v[10:11], v[227:228]
	v_fma_f64 v[225:226], v[2:3], v[10:11], -v[12:13]
	ds_load_b128 v[2:5], v1 offset:1152
	scratch_load_b128 v[10:13], off, off offset:448
	v_add_f64 v[156:157], v[156:157], v[215:216]
	v_add_f64 v[219:220], v[219:220], v[217:218]
	ds_load_b128 v[215:218], v1 offset:1168
	s_waitcnt vmcnt(8) lgkmcnt(1)
	v_mul_f64 v[227:228], v[2:3], v[20:21]
	v_mul_f64 v[20:21], v[4:5], v[20:21]
	v_fma_f64 v[165:166], v[165:166], v[14:15], v[221:222]
	v_fma_f64 v[163:164], v[163:164], v[14:15], -v[16:17]
	scratch_load_b128 v[14:17], off, off offset:464
	s_waitcnt vmcnt(8) lgkmcnt(0)
	v_mul_f64 v[221:222], v[215:216], v[24:25]
	v_mul_f64 v[24:25], v[217:218], v[24:25]
	v_add_f64 v[156:157], v[156:157], v[225:226]
	v_add_f64 v[219:220], v[219:220], v[223:224]
	v_fma_f64 v[223:224], v[4:5], v[18:19], v[227:228]
	v_fma_f64 v[225:226], v[2:3], v[18:19], -v[20:21]
	ds_load_b128 v[2:5], v1 offset:1184
	scratch_load_b128 v[18:21], off, off offset:480
	v_fma_f64 v[217:218], v[217:218], v[22:23], v[221:222]
	v_fma_f64 v[215:216], v[215:216], v[22:23], -v[24:25]
	scratch_load_b128 v[22:25], off, off offset:496
	v_add_f64 v[156:157], v[156:157], v[163:164]
	v_add_f64 v[219:220], v[219:220], v[165:166]
	ds_load_b128 v[163:166], v1 offset:1200
	s_waitcnt vmcnt(9) lgkmcnt(1)
	v_mul_f64 v[227:228], v[2:3], v[28:29]
	v_mul_f64 v[28:29], v[4:5], v[28:29]
	s_waitcnt vmcnt(8) lgkmcnt(0)
	v_mul_f64 v[221:222], v[163:164], v[32:33]
	v_mul_f64 v[32:33], v[165:166], v[32:33]
	v_add_f64 v[156:157], v[156:157], v[225:226]
	v_add_f64 v[219:220], v[219:220], v[223:224]
	v_fma_f64 v[223:224], v[4:5], v[26:27], v[227:228]
	v_fma_f64 v[225:226], v[2:3], v[26:27], -v[28:29]
	ds_load_b128 v[2:5], v1 offset:1216
	scratch_load_b128 v[26:29], off, off offset:512
	v_fma_f64 v[165:166], v[165:166], v[30:31], v[221:222]
	v_fma_f64 v[163:164], v[163:164], v[30:31], -v[32:33]
	scratch_load_b128 v[30:33], off, off offset:528
	v_add_f64 v[156:157], v[156:157], v[215:216]
	v_add_f64 v[219:220], v[219:220], v[217:218]
	ds_load_b128 v[215:218], v1 offset:1232
	s_waitcnt vmcnt(9) lgkmcnt(1)
	v_mul_f64 v[227:228], v[2:3], v[36:37]
	v_mul_f64 v[36:37], v[4:5], v[36:37]
	;; [unrolled: 18-line block ×11, first 2 shown]
	s_waitcnt vmcnt(8) lgkmcnt(0)
	v_mul_f64 v[221:222], v[163:164], v[32:33]
	v_mul_f64 v[32:33], v[165:166], v[32:33]
	v_add_f64 v[156:157], v[156:157], v[225:226]
	v_add_f64 v[219:220], v[219:220], v[223:224]
	v_fma_f64 v[223:224], v[4:5], v[26:27], v[227:228]
	v_fma_f64 v[225:226], v[2:3], v[26:27], -v[28:29]
	ds_load_b128 v[2:5], v1 offset:1536
	ds_load_b128 v[26:29], v1 offset:1552
	v_fma_f64 v[165:166], v[165:166], v[30:31], v[221:222]
	v_fma_f64 v[30:31], v[163:164], v[30:31], -v[32:33]
	v_add_f64 v[156:157], v[156:157], v[215:216]
	v_add_f64 v[215:216], v[219:220], v[217:218]
	s_waitcnt vmcnt(7) lgkmcnt(1)
	v_mul_f64 v[217:218], v[2:3], v[36:37]
	v_mul_f64 v[36:37], v[4:5], v[36:37]
	s_waitcnt vmcnt(6) lgkmcnt(0)
	v_mul_f64 v[163:164], v[26:27], v[40:41]
	v_mul_f64 v[40:41], v[28:29], v[40:41]
	v_add_f64 v[32:33], v[156:157], v[225:226]
	v_add_f64 v[156:157], v[215:216], v[223:224]
	v_fma_f64 v[215:216], v[4:5], v[34:35], v[217:218]
	v_fma_f64 v[34:35], v[2:3], v[34:35], -v[36:37]
	v_fma_f64 v[28:29], v[28:29], v[38:39], v[163:164]
	v_fma_f64 v[26:27], v[26:27], v[38:39], -v[40:41]
	v_add_f64 v[36:37], v[32:33], v[30:31]
	v_add_f64 v[156:157], v[156:157], v[165:166]
	ds_load_b128 v[2:5], v1 offset:1568
	ds_load_b128 v[30:33], v1 offset:1584
	s_waitcnt vmcnt(5) lgkmcnt(1)
	v_mul_f64 v[165:166], v[2:3], v[44:45]
	v_mul_f64 v[44:45], v[4:5], v[44:45]
	s_waitcnt vmcnt(4) lgkmcnt(0)
	v_mul_f64 v[38:39], v[30:31], v[8:9]
	v_mul_f64 v[8:9], v[32:33], v[8:9]
	v_add_f64 v[34:35], v[36:37], v[34:35]
	v_add_f64 v[36:37], v[156:157], v[215:216]
	v_fma_f64 v[40:41], v[4:5], v[42:43], v[165:166]
	v_fma_f64 v[42:43], v[2:3], v[42:43], -v[44:45]
	v_fma_f64 v[32:33], v[32:33], v[6:7], v[38:39]
	v_fma_f64 v[6:7], v[30:31], v[6:7], -v[8:9]
	v_add_f64 v[34:35], v[34:35], v[26:27]
	v_add_f64 v[36:37], v[36:37], v[28:29]
	ds_load_b128 v[2:5], v1 offset:1600
	ds_load_b128 v[26:29], v1 offset:1616
	s_waitcnt vmcnt(3) lgkmcnt(1)
	v_mul_f64 v[44:45], v[2:3], v[12:13]
	v_mul_f64 v[12:13], v[4:5], v[12:13]
	v_add_f64 v[8:9], v[34:35], v[42:43]
	v_add_f64 v[30:31], v[36:37], v[40:41]
	s_waitcnt vmcnt(2) lgkmcnt(0)
	v_mul_f64 v[34:35], v[26:27], v[16:17]
	v_mul_f64 v[16:17], v[28:29], v[16:17]
	v_fma_f64 v[36:37], v[4:5], v[10:11], v[44:45]
	v_fma_f64 v[10:11], v[2:3], v[10:11], -v[12:13]
	v_add_f64 v[12:13], v[8:9], v[6:7]
	v_add_f64 v[30:31], v[30:31], v[32:33]
	ds_load_b128 v[2:5], v1 offset:1632
	ds_load_b128 v[6:9], v1 offset:1648
	v_fma_f64 v[28:29], v[28:29], v[14:15], v[34:35]
	v_fma_f64 v[14:15], v[26:27], v[14:15], -v[16:17]
	s_waitcnt vmcnt(1) lgkmcnt(1)
	v_mul_f64 v[32:33], v[2:3], v[20:21]
	v_mul_f64 v[20:21], v[4:5], v[20:21]
	s_waitcnt vmcnt(0) lgkmcnt(0)
	v_mul_f64 v[16:17], v[6:7], v[24:25]
	v_mul_f64 v[24:25], v[8:9], v[24:25]
	v_add_f64 v[10:11], v[12:13], v[10:11]
	v_add_f64 v[12:13], v[30:31], v[36:37]
	v_fma_f64 v[4:5], v[4:5], v[18:19], v[32:33]
	v_fma_f64 v[1:2], v[2:3], v[18:19], -v[20:21]
	v_fma_f64 v[8:9], v[8:9], v[22:23], v[16:17]
	v_fma_f64 v[6:7], v[6:7], v[22:23], -v[24:25]
	v_add_f64 v[10:11], v[10:11], v[14:15]
	v_add_f64 v[12:13], v[12:13], v[28:29]
	s_delay_alu instid0(VALU_DEP_2) | instskip(NEXT) | instid1(VALU_DEP_2)
	v_add_f64 v[1:2], v[10:11], v[1:2]
	v_add_f64 v[3:4], v[12:13], v[4:5]
	s_delay_alu instid0(VALU_DEP_2) | instskip(NEXT) | instid1(VALU_DEP_2)
	v_add_f64 v[1:2], v[1:2], v[6:7]
	v_add_f64 v[3:4], v[3:4], v[8:9]
	s_delay_alu instid0(VALU_DEP_2) | instskip(NEXT) | instid1(VALU_DEP_2)
	v_add_f64 v[1:2], v[152:153], -v[1:2]
	v_add_f64 v[3:4], v[154:155], -v[3:4]
	scratch_store_b128 off, v[1:4], off offset:80
	v_cmpx_lt_u32_e32 4, v150
	s_cbranch_execz .LBB51_317
; %bb.316:
	scratch_load_b128 v[1:4], v198, off
	v_mov_b32_e32 v5, 0
	s_delay_alu instid0(VALU_DEP_1)
	v_mov_b32_e32 v6, v5
	v_mov_b32_e32 v7, v5
	;; [unrolled: 1-line block ×3, first 2 shown]
	scratch_store_b128 off, v[5:8], off offset:64
	s_waitcnt vmcnt(0)
	ds_store_b128 v202, v[1:4]
.LBB51_317:
	s_or_b32 exec_lo, exec_lo, s2
	s_waitcnt lgkmcnt(0)
	s_waitcnt_vscnt null, 0x0
	s_barrier
	buffer_gl0_inv
	s_clause 0x7
	scratch_load_b128 v[2:5], off, off offset:80
	scratch_load_b128 v[6:9], off, off offset:96
	;; [unrolled: 1-line block ×8, first 2 shown]
	v_mov_b32_e32 v1, 0
	s_mov_b32 s2, exec_lo
	ds_load_b128 v[38:41], v1 offset:912
	s_clause 0x1
	scratch_load_b128 v[34:37], off, off offset:208
	scratch_load_b128 v[42:45], off, off offset:64
	ds_load_b128 v[152:155], v1 offset:928
	scratch_load_b128 v[163:166], off, off offset:224
	ds_load_b128 v[215:218], v1 offset:960
	s_waitcnt vmcnt(10) lgkmcnt(2)
	v_mul_f64 v[156:157], v[40:41], v[4:5]
	v_mul_f64 v[4:5], v[38:39], v[4:5]
	s_delay_alu instid0(VALU_DEP_2) | instskip(NEXT) | instid1(VALU_DEP_2)
	v_fma_f64 v[156:157], v[38:39], v[2:3], -v[156:157]
	v_fma_f64 v[221:222], v[40:41], v[2:3], v[4:5]
	ds_load_b128 v[2:5], v1 offset:944
	s_waitcnt vmcnt(9) lgkmcnt(2)
	v_mul_f64 v[219:220], v[152:153], v[8:9]
	v_mul_f64 v[8:9], v[154:155], v[8:9]
	scratch_load_b128 v[38:41], off, off offset:240
	s_waitcnt vmcnt(9) lgkmcnt(0)
	v_mul_f64 v[223:224], v[2:3], v[12:13]
	v_mul_f64 v[12:13], v[4:5], v[12:13]
	v_add_f64 v[156:157], v[156:157], 0
	v_fma_f64 v[154:155], v[154:155], v[6:7], v[219:220]
	v_fma_f64 v[152:153], v[152:153], v[6:7], -v[8:9]
	v_add_f64 v[219:220], v[221:222], 0
	scratch_load_b128 v[6:9], off, off offset:256
	v_fma_f64 v[223:224], v[4:5], v[10:11], v[223:224]
	v_fma_f64 v[225:226], v[2:3], v[10:11], -v[12:13]
	scratch_load_b128 v[10:13], off, off offset:272
	ds_load_b128 v[2:5], v1 offset:976
	s_waitcnt vmcnt(10)
	v_mul_f64 v[221:222], v[215:216], v[16:17]
	v_mul_f64 v[16:17], v[217:218], v[16:17]
	v_add_f64 v[156:157], v[156:157], v[152:153]
	v_add_f64 v[219:220], v[219:220], v[154:155]
	ds_load_b128 v[152:155], v1 offset:992
	s_waitcnt vmcnt(9) lgkmcnt(1)
	v_mul_f64 v[227:228], v[2:3], v[20:21]
	v_mul_f64 v[20:21], v[4:5], v[20:21]
	v_fma_f64 v[217:218], v[217:218], v[14:15], v[221:222]
	v_fma_f64 v[215:216], v[215:216], v[14:15], -v[16:17]
	scratch_load_b128 v[14:17], off, off offset:288
	v_add_f64 v[156:157], v[156:157], v[225:226]
	v_add_f64 v[219:220], v[219:220], v[223:224]
	v_fma_f64 v[223:224], v[4:5], v[18:19], v[227:228]
	v_fma_f64 v[225:226], v[2:3], v[18:19], -v[20:21]
	scratch_load_b128 v[18:21], off, off offset:304
	ds_load_b128 v[2:5], v1 offset:1008
	s_waitcnt vmcnt(10) lgkmcnt(1)
	v_mul_f64 v[221:222], v[152:153], v[24:25]
	v_mul_f64 v[24:25], v[154:155], v[24:25]
	s_waitcnt vmcnt(9) lgkmcnt(0)
	v_mul_f64 v[227:228], v[2:3], v[28:29]
	v_mul_f64 v[28:29], v[4:5], v[28:29]
	v_add_f64 v[156:157], v[156:157], v[215:216]
	v_add_f64 v[219:220], v[219:220], v[217:218]
	ds_load_b128 v[215:218], v1 offset:1024
	v_fma_f64 v[154:155], v[154:155], v[22:23], v[221:222]
	v_fma_f64 v[152:153], v[152:153], v[22:23], -v[24:25]
	scratch_load_b128 v[22:25], off, off offset:320
	v_add_f64 v[156:157], v[156:157], v[225:226]
	v_add_f64 v[219:220], v[219:220], v[223:224]
	v_fma_f64 v[223:224], v[4:5], v[26:27], v[227:228]
	v_fma_f64 v[225:226], v[2:3], v[26:27], -v[28:29]
	scratch_load_b128 v[26:29], off, off offset:336
	ds_load_b128 v[2:5], v1 offset:1040
	s_waitcnt vmcnt(10) lgkmcnt(1)
	v_mul_f64 v[221:222], v[215:216], v[32:33]
	v_mul_f64 v[32:33], v[217:218], v[32:33]
	s_waitcnt vmcnt(9) lgkmcnt(0)
	v_mul_f64 v[227:228], v[2:3], v[36:37]
	v_mul_f64 v[36:37], v[4:5], v[36:37]
	v_add_f64 v[156:157], v[156:157], v[152:153]
	v_add_f64 v[219:220], v[219:220], v[154:155]
	ds_load_b128 v[152:155], v1 offset:1056
	v_fma_f64 v[217:218], v[217:218], v[30:31], v[221:222]
	v_fma_f64 v[215:216], v[215:216], v[30:31], -v[32:33]
	scratch_load_b128 v[30:33], off, off offset:352
	v_add_f64 v[156:157], v[156:157], v[225:226]
	v_add_f64 v[219:220], v[219:220], v[223:224]
	v_fma_f64 v[223:224], v[4:5], v[34:35], v[227:228]
	v_fma_f64 v[225:226], v[2:3], v[34:35], -v[36:37]
	scratch_load_b128 v[34:37], off, off offset:368
	ds_load_b128 v[2:5], v1 offset:1072
	s_waitcnt vmcnt(9) lgkmcnt(1)
	v_mul_f64 v[221:222], v[152:153], v[165:166]
	v_mul_f64 v[165:166], v[154:155], v[165:166]
	v_add_f64 v[156:157], v[156:157], v[215:216]
	v_add_f64 v[219:220], v[219:220], v[217:218]
	ds_load_b128 v[215:218], v1 offset:1088
	v_fma_f64 v[221:222], v[154:155], v[163:164], v[221:222]
	v_fma_f64 v[163:164], v[152:153], v[163:164], -v[165:166]
	scratch_load_b128 v[152:155], off, off offset:384
	s_waitcnt vmcnt(9) lgkmcnt(1)
	v_mul_f64 v[227:228], v[2:3], v[40:41]
	v_mul_f64 v[40:41], v[4:5], v[40:41]
	v_add_f64 v[156:157], v[156:157], v[225:226]
	v_add_f64 v[165:166], v[219:220], v[223:224]
	s_delay_alu instid0(VALU_DEP_4) | instskip(NEXT) | instid1(VALU_DEP_4)
	v_fma_f64 v[223:224], v[4:5], v[38:39], v[227:228]
	v_fma_f64 v[225:226], v[2:3], v[38:39], -v[40:41]
	scratch_load_b128 v[38:41], off, off offset:400
	ds_load_b128 v[2:5], v1 offset:1104
	s_waitcnt vmcnt(9) lgkmcnt(1)
	v_mul_f64 v[219:220], v[215:216], v[8:9]
	v_mul_f64 v[8:9], v[217:218], v[8:9]
	v_add_f64 v[156:157], v[156:157], v[163:164]
	v_add_f64 v[221:222], v[165:166], v[221:222]
	s_waitcnt vmcnt(8) lgkmcnt(0)
	v_mul_f64 v[227:228], v[2:3], v[12:13]
	v_mul_f64 v[12:13], v[4:5], v[12:13]
	ds_load_b128 v[163:166], v1 offset:1120
	v_fma_f64 v[217:218], v[217:218], v[6:7], v[219:220]
	v_fma_f64 v[215:216], v[215:216], v[6:7], -v[8:9]
	scratch_load_b128 v[6:9], off, off offset:416
	v_add_f64 v[156:157], v[156:157], v[225:226]
	v_add_f64 v[219:220], v[221:222], v[223:224]
	v_fma_f64 v[223:224], v[4:5], v[10:11], v[227:228]
	v_fma_f64 v[225:226], v[2:3], v[10:11], -v[12:13]
	scratch_load_b128 v[10:13], off, off offset:432
	ds_load_b128 v[2:5], v1 offset:1136
	s_waitcnt vmcnt(9) lgkmcnt(1)
	v_mul_f64 v[221:222], v[163:164], v[16:17]
	v_mul_f64 v[16:17], v[165:166], v[16:17]
	s_waitcnt vmcnt(8) lgkmcnt(0)
	v_mul_f64 v[227:228], v[2:3], v[20:21]
	v_mul_f64 v[20:21], v[4:5], v[20:21]
	v_add_f64 v[156:157], v[156:157], v[215:216]
	v_add_f64 v[219:220], v[219:220], v[217:218]
	ds_load_b128 v[215:218], v1 offset:1152
	v_fma_f64 v[165:166], v[165:166], v[14:15], v[221:222]
	v_fma_f64 v[163:164], v[163:164], v[14:15], -v[16:17]
	scratch_load_b128 v[14:17], off, off offset:448
	v_add_f64 v[156:157], v[156:157], v[225:226]
	v_add_f64 v[219:220], v[219:220], v[223:224]
	v_fma_f64 v[223:224], v[4:5], v[18:19], v[227:228]
	v_fma_f64 v[225:226], v[2:3], v[18:19], -v[20:21]
	scratch_load_b128 v[18:21], off, off offset:464
	ds_load_b128 v[2:5], v1 offset:1168
	s_waitcnt vmcnt(9) lgkmcnt(1)
	v_mul_f64 v[221:222], v[215:216], v[24:25]
	v_mul_f64 v[24:25], v[217:218], v[24:25]
	s_waitcnt vmcnt(8) lgkmcnt(0)
	v_mul_f64 v[227:228], v[2:3], v[28:29]
	v_mul_f64 v[28:29], v[4:5], v[28:29]
	v_add_f64 v[156:157], v[156:157], v[163:164]
	v_add_f64 v[219:220], v[219:220], v[165:166]
	;; [unrolled: 18-line block ×3, first 2 shown]
	ds_load_b128 v[215:218], v1 offset:1216
	v_fma_f64 v[165:166], v[165:166], v[30:31], v[221:222]
	v_fma_f64 v[163:164], v[163:164], v[30:31], -v[32:33]
	scratch_load_b128 v[30:33], off, off offset:512
	v_add_f64 v[156:157], v[156:157], v[225:226]
	v_add_f64 v[219:220], v[219:220], v[223:224]
	v_fma_f64 v[225:226], v[4:5], v[34:35], v[227:228]
	v_fma_f64 v[227:228], v[2:3], v[34:35], -v[36:37]
	scratch_load_b128 v[34:37], off, off offset:528
	ds_load_b128 v[2:5], v1 offset:1232
	s_waitcnt vmcnt(9) lgkmcnt(1)
	v_mul_f64 v[221:222], v[215:216], v[154:155]
	v_mul_f64 v[223:224], v[217:218], v[154:155]
	v_add_f64 v[163:164], v[156:157], v[163:164]
	v_add_f64 v[165:166], v[219:220], v[165:166]
	s_waitcnt vmcnt(8) lgkmcnt(0)
	v_mul_f64 v[219:220], v[2:3], v[40:41]
	v_mul_f64 v[40:41], v[4:5], v[40:41]
	ds_load_b128 v[154:157], v1 offset:1248
	v_fma_f64 v[217:218], v[217:218], v[152:153], v[221:222]
	v_fma_f64 v[152:153], v[215:216], v[152:153], -v[223:224]
	v_add_f64 v[215:216], v[163:164], v[227:228]
	v_add_f64 v[221:222], v[165:166], v[225:226]
	scratch_load_b128 v[163:166], off, off offset:544
	v_fma_f64 v[219:220], v[4:5], v[38:39], v[219:220]
	v_fma_f64 v[225:226], v[2:3], v[38:39], -v[40:41]
	scratch_load_b128 v[38:41], off, off offset:560
	ds_load_b128 v[2:5], v1 offset:1264
	s_waitcnt vmcnt(9) lgkmcnt(1)
	v_mul_f64 v[223:224], v[154:155], v[8:9]
	v_mul_f64 v[8:9], v[156:157], v[8:9]
	s_waitcnt vmcnt(8) lgkmcnt(0)
	v_mul_f64 v[227:228], v[2:3], v[12:13]
	v_mul_f64 v[12:13], v[4:5], v[12:13]
	v_add_f64 v[152:153], v[215:216], v[152:153]
	v_add_f64 v[221:222], v[221:222], v[217:218]
	ds_load_b128 v[215:218], v1 offset:1280
	v_fma_f64 v[156:157], v[156:157], v[6:7], v[223:224]
	v_fma_f64 v[154:155], v[154:155], v[6:7], -v[8:9]
	scratch_load_b128 v[6:9], off, off offset:576
	v_fma_f64 v[223:224], v[4:5], v[10:11], v[227:228]
	v_add_f64 v[152:153], v[152:153], v[225:226]
	v_add_f64 v[219:220], v[221:222], v[219:220]
	v_fma_f64 v[225:226], v[2:3], v[10:11], -v[12:13]
	scratch_load_b128 v[10:13], off, off offset:592
	ds_load_b128 v[2:5], v1 offset:1296
	s_waitcnt vmcnt(9) lgkmcnt(1)
	v_mul_f64 v[221:222], v[215:216], v[16:17]
	v_mul_f64 v[16:17], v[217:218], v[16:17]
	v_add_f64 v[227:228], v[152:153], v[154:155]
	v_add_f64 v[156:157], v[219:220], v[156:157]
	s_waitcnt vmcnt(8) lgkmcnt(0)
	v_mul_f64 v[219:220], v[2:3], v[20:21]
	v_mul_f64 v[20:21], v[4:5], v[20:21]
	ds_load_b128 v[152:155], v1 offset:1312
	v_fma_f64 v[217:218], v[217:218], v[14:15], v[221:222]
	v_fma_f64 v[215:216], v[215:216], v[14:15], -v[16:17]
	scratch_load_b128 v[14:17], off, off offset:608
	v_add_f64 v[221:222], v[227:228], v[225:226]
	v_add_f64 v[156:157], v[156:157], v[223:224]
	v_fma_f64 v[219:220], v[4:5], v[18:19], v[219:220]
	v_fma_f64 v[225:226], v[2:3], v[18:19], -v[20:21]
	scratch_load_b128 v[18:21], off, off offset:624
	ds_load_b128 v[2:5], v1 offset:1328
	s_waitcnt vmcnt(9) lgkmcnt(1)
	v_mul_f64 v[223:224], v[152:153], v[24:25]
	v_mul_f64 v[24:25], v[154:155], v[24:25]
	s_waitcnt vmcnt(8) lgkmcnt(0)
	v_mul_f64 v[227:228], v[2:3], v[28:29]
	v_mul_f64 v[28:29], v[4:5], v[28:29]
	v_add_f64 v[221:222], v[221:222], v[215:216]
	v_add_f64 v[156:157], v[156:157], v[217:218]
	ds_load_b128 v[215:218], v1 offset:1344
	v_fma_f64 v[154:155], v[154:155], v[22:23], v[223:224]
	v_fma_f64 v[152:153], v[152:153], v[22:23], -v[24:25]
	scratch_load_b128 v[22:25], off, off offset:640
	v_fma_f64 v[223:224], v[4:5], v[26:27], v[227:228]
	v_add_f64 v[221:222], v[221:222], v[225:226]
	v_add_f64 v[156:157], v[156:157], v[219:220]
	v_fma_f64 v[225:226], v[2:3], v[26:27], -v[28:29]
	scratch_load_b128 v[26:29], off, off offset:656
	ds_load_b128 v[2:5], v1 offset:1360
	s_waitcnt vmcnt(9) lgkmcnt(1)
	v_mul_f64 v[219:220], v[215:216], v[32:33]
	v_mul_f64 v[32:33], v[217:218], v[32:33]
	s_waitcnt vmcnt(8) lgkmcnt(0)
	v_mul_f64 v[227:228], v[2:3], v[36:37]
	v_mul_f64 v[36:37], v[4:5], v[36:37]
	v_add_f64 v[221:222], v[221:222], v[152:153]
	v_add_f64 v[156:157], v[156:157], v[154:155]
	ds_load_b128 v[152:155], v1 offset:1376
	v_fma_f64 v[217:218], v[217:218], v[30:31], v[219:220]
	v_fma_f64 v[215:216], v[215:216], v[30:31], -v[32:33]
	scratch_load_b128 v[30:33], off, off offset:672
	v_add_f64 v[219:220], v[221:222], v[225:226]
	v_add_f64 v[156:157], v[156:157], v[223:224]
	v_fma_f64 v[223:224], v[4:5], v[34:35], v[227:228]
	v_fma_f64 v[225:226], v[2:3], v[34:35], -v[36:37]
	scratch_load_b128 v[34:37], off, off offset:688
	ds_load_b128 v[2:5], v1 offset:1392
	s_waitcnt vmcnt(9) lgkmcnt(1)
	v_mul_f64 v[221:222], v[152:153], v[165:166]
	v_mul_f64 v[165:166], v[154:155], v[165:166]
	s_waitcnt vmcnt(8) lgkmcnt(0)
	v_mul_f64 v[227:228], v[2:3], v[40:41]
	v_mul_f64 v[40:41], v[4:5], v[40:41]
	v_add_f64 v[219:220], v[219:220], v[215:216]
	v_add_f64 v[156:157], v[156:157], v[217:218]
	ds_load_b128 v[215:218], v1 offset:1408
	v_fma_f64 v[221:222], v[154:155], v[163:164], v[221:222]
	v_fma_f64 v[163:164], v[152:153], v[163:164], -v[165:166]
	scratch_load_b128 v[152:155], off, off offset:704
	v_add_f64 v[165:166], v[219:220], v[225:226]
	v_add_f64 v[156:157], v[156:157], v[223:224]
	v_fma_f64 v[223:224], v[4:5], v[38:39], v[227:228]
	v_fma_f64 v[225:226], v[2:3], v[38:39], -v[40:41]
	scratch_load_b128 v[38:41], off, off offset:720
	ds_load_b128 v[2:5], v1 offset:1424
	s_waitcnt vmcnt(9) lgkmcnt(1)
	v_mul_f64 v[219:220], v[215:216], v[8:9]
	v_mul_f64 v[8:9], v[217:218], v[8:9]
	v_add_f64 v[227:228], v[165:166], v[163:164]
	v_add_f64 v[156:157], v[156:157], v[221:222]
	s_waitcnt vmcnt(8) lgkmcnt(0)
	v_mul_f64 v[221:222], v[2:3], v[12:13]
	v_mul_f64 v[12:13], v[4:5], v[12:13]
	ds_load_b128 v[163:166], v1 offset:1440
	v_fma_f64 v[217:218], v[217:218], v[6:7], v[219:220]
	v_fma_f64 v[215:216], v[215:216], v[6:7], -v[8:9]
	scratch_load_b128 v[6:9], off, off offset:736
	v_add_f64 v[219:220], v[227:228], v[225:226]
	v_add_f64 v[156:157], v[156:157], v[223:224]
	v_fma_f64 v[221:222], v[4:5], v[10:11], v[221:222]
	v_fma_f64 v[225:226], v[2:3], v[10:11], -v[12:13]
	scratch_load_b128 v[10:13], off, off offset:752
	ds_load_b128 v[2:5], v1 offset:1456
	s_waitcnt vmcnt(9) lgkmcnt(1)
	v_mul_f64 v[223:224], v[163:164], v[16:17]
	v_mul_f64 v[16:17], v[165:166], v[16:17]
	s_waitcnt vmcnt(8) lgkmcnt(0)
	v_mul_f64 v[227:228], v[2:3], v[20:21]
	v_mul_f64 v[20:21], v[4:5], v[20:21]
	v_add_f64 v[219:220], v[219:220], v[215:216]
	v_add_f64 v[156:157], v[156:157], v[217:218]
	ds_load_b128 v[215:218], v1 offset:1472
	v_fma_f64 v[165:166], v[165:166], v[14:15], v[223:224]
	v_fma_f64 v[163:164], v[163:164], v[14:15], -v[16:17]
	scratch_load_b128 v[14:17], off, off offset:768
	v_fma_f64 v[223:224], v[4:5], v[18:19], v[227:228]
	v_add_f64 v[219:220], v[219:220], v[225:226]
	v_add_f64 v[156:157], v[156:157], v[221:222]
	v_fma_f64 v[225:226], v[2:3], v[18:19], -v[20:21]
	scratch_load_b128 v[18:21], off, off offset:784
	ds_load_b128 v[2:5], v1 offset:1488
	s_waitcnt vmcnt(9) lgkmcnt(1)
	v_mul_f64 v[221:222], v[215:216], v[24:25]
	v_mul_f64 v[24:25], v[217:218], v[24:25]
	s_waitcnt vmcnt(8) lgkmcnt(0)
	v_mul_f64 v[227:228], v[2:3], v[28:29]
	v_mul_f64 v[28:29], v[4:5], v[28:29]
	v_add_f64 v[219:220], v[219:220], v[163:164]
	v_add_f64 v[156:157], v[156:157], v[165:166]
	ds_load_b128 v[163:166], v1 offset:1504
	v_fma_f64 v[217:218], v[217:218], v[22:23], v[221:222]
	v_fma_f64 v[215:216], v[215:216], v[22:23], -v[24:25]
	scratch_load_b128 v[22:25], off, off offset:800
	v_add_f64 v[219:220], v[219:220], v[225:226]
	v_add_f64 v[156:157], v[156:157], v[223:224]
	v_fma_f64 v[223:224], v[4:5], v[26:27], v[227:228]
	v_fma_f64 v[225:226], v[2:3], v[26:27], -v[28:29]
	scratch_load_b128 v[26:29], off, off offset:816
	ds_load_b128 v[2:5], v1 offset:1520
	s_waitcnt vmcnt(9) lgkmcnt(1)
	v_mul_f64 v[221:222], v[163:164], v[32:33]
	v_mul_f64 v[32:33], v[165:166], v[32:33]
	s_waitcnt vmcnt(8) lgkmcnt(0)
	v_mul_f64 v[227:228], v[2:3], v[36:37]
	v_mul_f64 v[36:37], v[4:5], v[36:37]
	v_add_f64 v[219:220], v[219:220], v[215:216]
	v_add_f64 v[156:157], v[156:157], v[217:218]
	ds_load_b128 v[215:218], v1 offset:1536
	v_fma_f64 v[165:166], v[165:166], v[30:31], v[221:222]
	v_fma_f64 v[30:31], v[163:164], v[30:31], -v[32:33]
	s_waitcnt vmcnt(7) lgkmcnt(0)
	v_mul_f64 v[163:164], v[215:216], v[154:155]
	v_mul_f64 v[154:155], v[217:218], v[154:155]
	v_add_f64 v[32:33], v[219:220], v[225:226]
	v_add_f64 v[156:157], v[156:157], v[223:224]
	v_fma_f64 v[219:220], v[4:5], v[34:35], v[227:228]
	v_fma_f64 v[34:35], v[2:3], v[34:35], -v[36:37]
	v_fma_f64 v[163:164], v[217:218], v[152:153], v[163:164]
	v_fma_f64 v[152:153], v[215:216], v[152:153], -v[154:155]
	v_add_f64 v[36:37], v[32:33], v[30:31]
	v_add_f64 v[156:157], v[156:157], v[165:166]
	ds_load_b128 v[2:5], v1 offset:1552
	ds_load_b128 v[30:33], v1 offset:1568
	s_waitcnt vmcnt(6) lgkmcnt(1)
	v_mul_f64 v[165:166], v[2:3], v[40:41]
	v_mul_f64 v[40:41], v[4:5], v[40:41]
	s_waitcnt vmcnt(5) lgkmcnt(0)
	v_mul_f64 v[154:155], v[30:31], v[8:9]
	v_mul_f64 v[8:9], v[32:33], v[8:9]
	v_add_f64 v[34:35], v[36:37], v[34:35]
	v_add_f64 v[36:37], v[156:157], v[219:220]
	v_fma_f64 v[156:157], v[4:5], v[38:39], v[165:166]
	v_fma_f64 v[38:39], v[2:3], v[38:39], -v[40:41]
	v_fma_f64 v[32:33], v[32:33], v[6:7], v[154:155]
	v_fma_f64 v[6:7], v[30:31], v[6:7], -v[8:9]
	v_add_f64 v[40:41], v[34:35], v[152:153]
	v_add_f64 v[152:153], v[36:37], v[163:164]
	ds_load_b128 v[2:5], v1 offset:1584
	ds_load_b128 v[34:37], v1 offset:1600
	s_waitcnt vmcnt(4) lgkmcnt(1)
	v_mul_f64 v[163:164], v[2:3], v[12:13]
	v_mul_f64 v[12:13], v[4:5], v[12:13]
	v_add_f64 v[8:9], v[40:41], v[38:39]
	v_add_f64 v[30:31], v[152:153], v[156:157]
	s_waitcnt vmcnt(3) lgkmcnt(0)
	v_mul_f64 v[38:39], v[34:35], v[16:17]
	v_mul_f64 v[16:17], v[36:37], v[16:17]
	v_fma_f64 v[40:41], v[4:5], v[10:11], v[163:164]
	v_fma_f64 v[10:11], v[2:3], v[10:11], -v[12:13]
	v_add_f64 v[12:13], v[8:9], v[6:7]
	v_add_f64 v[30:31], v[30:31], v[32:33]
	ds_load_b128 v[2:5], v1 offset:1616
	ds_load_b128 v[6:9], v1 offset:1632
	v_fma_f64 v[36:37], v[36:37], v[14:15], v[38:39]
	v_fma_f64 v[14:15], v[34:35], v[14:15], -v[16:17]
	s_waitcnt vmcnt(2) lgkmcnt(1)
	v_mul_f64 v[32:33], v[2:3], v[20:21]
	v_mul_f64 v[20:21], v[4:5], v[20:21]
	s_waitcnt vmcnt(1) lgkmcnt(0)
	v_mul_f64 v[16:17], v[6:7], v[24:25]
	v_mul_f64 v[24:25], v[8:9], v[24:25]
	v_add_f64 v[10:11], v[12:13], v[10:11]
	v_add_f64 v[12:13], v[30:31], v[40:41]
	v_fma_f64 v[30:31], v[4:5], v[18:19], v[32:33]
	v_fma_f64 v[18:19], v[2:3], v[18:19], -v[20:21]
	ds_load_b128 v[2:5], v1 offset:1648
	v_fma_f64 v[8:9], v[8:9], v[22:23], v[16:17]
	v_fma_f64 v[6:7], v[6:7], v[22:23], -v[24:25]
	v_add_f64 v[10:11], v[10:11], v[14:15]
	v_add_f64 v[12:13], v[12:13], v[36:37]
	s_waitcnt vmcnt(0) lgkmcnt(0)
	v_mul_f64 v[14:15], v[2:3], v[28:29]
	v_mul_f64 v[20:21], v[4:5], v[28:29]
	s_delay_alu instid0(VALU_DEP_4) | instskip(NEXT) | instid1(VALU_DEP_4)
	v_add_f64 v[10:11], v[10:11], v[18:19]
	v_add_f64 v[12:13], v[12:13], v[30:31]
	s_delay_alu instid0(VALU_DEP_4) | instskip(NEXT) | instid1(VALU_DEP_4)
	v_fma_f64 v[4:5], v[4:5], v[26:27], v[14:15]
	v_fma_f64 v[2:3], v[2:3], v[26:27], -v[20:21]
	s_delay_alu instid0(VALU_DEP_4) | instskip(NEXT) | instid1(VALU_DEP_4)
	v_add_f64 v[6:7], v[10:11], v[6:7]
	v_add_f64 v[8:9], v[12:13], v[8:9]
	s_delay_alu instid0(VALU_DEP_2) | instskip(NEXT) | instid1(VALU_DEP_2)
	v_add_f64 v[2:3], v[6:7], v[2:3]
	v_add_f64 v[4:5], v[8:9], v[4:5]
	s_delay_alu instid0(VALU_DEP_2) | instskip(NEXT) | instid1(VALU_DEP_2)
	v_add_f64 v[2:3], v[42:43], -v[2:3]
	v_add_f64 v[4:5], v[44:45], -v[4:5]
	scratch_store_b128 off, v[2:5], off offset:64
	v_cmpx_lt_u32_e32 3, v150
	s_cbranch_execz .LBB51_319
; %bb.318:
	scratch_load_b128 v[5:8], v199, off
	v_mov_b32_e32 v2, v1
	v_mov_b32_e32 v3, v1
	;; [unrolled: 1-line block ×3, first 2 shown]
	scratch_store_b128 off, v[1:4], off offset:48
	s_waitcnt vmcnt(0)
	ds_store_b128 v202, v[5:8]
.LBB51_319:
	s_or_b32 exec_lo, exec_lo, s2
	s_waitcnt lgkmcnt(0)
	s_waitcnt_vscnt null, 0x0
	s_barrier
	buffer_gl0_inv
	s_clause 0x8
	scratch_load_b128 v[2:5], off, off offset:64
	scratch_load_b128 v[6:9], off, off offset:80
	;; [unrolled: 1-line block ×9, first 2 shown]
	ds_load_b128 v[42:45], v1 offset:896
	ds_load_b128 v[38:41], v1 offset:912
	s_clause 0x1
	scratch_load_b128 v[152:155], off, off offset:48
	scratch_load_b128 v[163:166], off, off offset:208
	s_mov_b32 s2, exec_lo
	ds_load_b128 v[215:218], v1 offset:944
	s_waitcnt vmcnt(10) lgkmcnt(2)
	v_mul_f64 v[156:157], v[44:45], v[4:5]
	v_mul_f64 v[4:5], v[42:43], v[4:5]
	s_waitcnt vmcnt(9) lgkmcnt(1)
	v_mul_f64 v[219:220], v[38:39], v[8:9]
	v_mul_f64 v[8:9], v[40:41], v[8:9]
	s_delay_alu instid0(VALU_DEP_4) | instskip(NEXT) | instid1(VALU_DEP_4)
	v_fma_f64 v[156:157], v[42:43], v[2:3], -v[156:157]
	v_fma_f64 v[221:222], v[44:45], v[2:3], v[4:5]
	ds_load_b128 v[2:5], v1 offset:928
	scratch_load_b128 v[42:45], off, off offset:224
	v_fma_f64 v[40:41], v[40:41], v[6:7], v[219:220]
	v_fma_f64 v[38:39], v[38:39], v[6:7], -v[8:9]
	scratch_load_b128 v[6:9], off, off offset:240
	s_waitcnt vmcnt(10) lgkmcnt(0)
	v_mul_f64 v[223:224], v[2:3], v[12:13]
	v_mul_f64 v[12:13], v[4:5], v[12:13]
	v_add_f64 v[156:157], v[156:157], 0
	v_add_f64 v[219:220], v[221:222], 0
	s_waitcnt vmcnt(9)
	v_mul_f64 v[221:222], v[215:216], v[16:17]
	v_mul_f64 v[16:17], v[217:218], v[16:17]
	v_fma_f64 v[223:224], v[4:5], v[10:11], v[223:224]
	v_fma_f64 v[225:226], v[2:3], v[10:11], -v[12:13]
	ds_load_b128 v[2:5], v1 offset:960
	scratch_load_b128 v[10:13], off, off offset:256
	v_add_f64 v[156:157], v[156:157], v[38:39]
	v_add_f64 v[219:220], v[219:220], v[40:41]
	ds_load_b128 v[38:41], v1 offset:976
	v_fma_f64 v[217:218], v[217:218], v[14:15], v[221:222]
	v_fma_f64 v[215:216], v[215:216], v[14:15], -v[16:17]
	scratch_load_b128 v[14:17], off, off offset:272
	s_waitcnt vmcnt(10) lgkmcnt(1)
	v_mul_f64 v[227:228], v[2:3], v[20:21]
	v_mul_f64 v[20:21], v[4:5], v[20:21]
	s_waitcnt vmcnt(9) lgkmcnt(0)
	v_mul_f64 v[221:222], v[38:39], v[24:25]
	v_mul_f64 v[24:25], v[40:41], v[24:25]
	v_add_f64 v[156:157], v[156:157], v[225:226]
	v_add_f64 v[219:220], v[219:220], v[223:224]
	v_fma_f64 v[223:224], v[4:5], v[18:19], v[227:228]
	v_fma_f64 v[225:226], v[2:3], v[18:19], -v[20:21]
	ds_load_b128 v[2:5], v1 offset:992
	scratch_load_b128 v[18:21], off, off offset:288
	v_fma_f64 v[40:41], v[40:41], v[22:23], v[221:222]
	v_fma_f64 v[38:39], v[38:39], v[22:23], -v[24:25]
	scratch_load_b128 v[22:25], off, off offset:304
	v_add_f64 v[156:157], v[156:157], v[215:216]
	v_add_f64 v[219:220], v[219:220], v[217:218]
	ds_load_b128 v[215:218], v1 offset:1008
	s_waitcnt vmcnt(10) lgkmcnt(1)
	v_mul_f64 v[227:228], v[2:3], v[28:29]
	v_mul_f64 v[28:29], v[4:5], v[28:29]
	s_waitcnt vmcnt(9) lgkmcnt(0)
	v_mul_f64 v[221:222], v[215:216], v[32:33]
	v_mul_f64 v[32:33], v[217:218], v[32:33]
	v_add_f64 v[156:157], v[156:157], v[225:226]
	v_add_f64 v[219:220], v[219:220], v[223:224]
	v_fma_f64 v[223:224], v[4:5], v[26:27], v[227:228]
	v_fma_f64 v[225:226], v[2:3], v[26:27], -v[28:29]
	ds_load_b128 v[2:5], v1 offset:1024
	scratch_load_b128 v[26:29], off, off offset:320
	v_fma_f64 v[217:218], v[217:218], v[30:31], v[221:222]
	v_fma_f64 v[215:216], v[215:216], v[30:31], -v[32:33]
	scratch_load_b128 v[30:33], off, off offset:336
	v_add_f64 v[156:157], v[156:157], v[38:39]
	v_add_f64 v[219:220], v[219:220], v[40:41]
	ds_load_b128 v[38:41], v1 offset:1040
	;; [unrolled: 18-line block ×3, first 2 shown]
	s_waitcnt vmcnt(9) lgkmcnt(1)
	v_mul_f64 v[227:228], v[2:3], v[44:45]
	v_mul_f64 v[44:45], v[4:5], v[44:45]
	v_add_f64 v[156:157], v[156:157], v[225:226]
	v_add_f64 v[165:166], v[219:220], v[223:224]
	s_waitcnt vmcnt(8) lgkmcnt(0)
	v_mul_f64 v[219:220], v[215:216], v[8:9]
	v_mul_f64 v[8:9], v[217:218], v[8:9]
	v_fma_f64 v[223:224], v[4:5], v[42:43], v[227:228]
	v_fma_f64 v[225:226], v[2:3], v[42:43], -v[44:45]
	ds_load_b128 v[2:5], v1 offset:1088
	scratch_load_b128 v[42:45], off, off offset:384
	v_add_f64 v[156:157], v[156:157], v[163:164]
	v_add_f64 v[221:222], v[165:166], v[221:222]
	ds_load_b128 v[163:166], v1 offset:1104
	s_waitcnt vmcnt(8) lgkmcnt(1)
	v_mul_f64 v[227:228], v[2:3], v[12:13]
	v_mul_f64 v[12:13], v[4:5], v[12:13]
	v_fma_f64 v[217:218], v[217:218], v[6:7], v[219:220]
	v_fma_f64 v[215:216], v[215:216], v[6:7], -v[8:9]
	scratch_load_b128 v[6:9], off, off offset:400
	v_add_f64 v[156:157], v[156:157], v[225:226]
	v_add_f64 v[219:220], v[221:222], v[223:224]
	s_waitcnt vmcnt(8) lgkmcnt(0)
	v_mul_f64 v[221:222], v[163:164], v[16:17]
	v_mul_f64 v[16:17], v[165:166], v[16:17]
	v_fma_f64 v[223:224], v[4:5], v[10:11], v[227:228]
	v_fma_f64 v[225:226], v[2:3], v[10:11], -v[12:13]
	ds_load_b128 v[2:5], v1 offset:1120
	scratch_load_b128 v[10:13], off, off offset:416
	v_add_f64 v[156:157], v[156:157], v[215:216]
	v_add_f64 v[219:220], v[219:220], v[217:218]
	ds_load_b128 v[215:218], v1 offset:1136
	s_waitcnt vmcnt(8) lgkmcnt(1)
	v_mul_f64 v[227:228], v[2:3], v[20:21]
	v_mul_f64 v[20:21], v[4:5], v[20:21]
	v_fma_f64 v[165:166], v[165:166], v[14:15], v[221:222]
	v_fma_f64 v[163:164], v[163:164], v[14:15], -v[16:17]
	scratch_load_b128 v[14:17], off, off offset:432
	s_waitcnt vmcnt(8) lgkmcnt(0)
	v_mul_f64 v[221:222], v[215:216], v[24:25]
	v_mul_f64 v[24:25], v[217:218], v[24:25]
	v_add_f64 v[156:157], v[156:157], v[225:226]
	v_add_f64 v[219:220], v[219:220], v[223:224]
	v_fma_f64 v[223:224], v[4:5], v[18:19], v[227:228]
	v_fma_f64 v[225:226], v[2:3], v[18:19], -v[20:21]
	ds_load_b128 v[2:5], v1 offset:1152
	scratch_load_b128 v[18:21], off, off offset:448
	v_fma_f64 v[217:218], v[217:218], v[22:23], v[221:222]
	v_fma_f64 v[215:216], v[215:216], v[22:23], -v[24:25]
	scratch_load_b128 v[22:25], off, off offset:464
	v_add_f64 v[156:157], v[156:157], v[163:164]
	v_add_f64 v[219:220], v[219:220], v[165:166]
	ds_load_b128 v[163:166], v1 offset:1168
	s_waitcnt vmcnt(9) lgkmcnt(1)
	v_mul_f64 v[227:228], v[2:3], v[28:29]
	v_mul_f64 v[28:29], v[4:5], v[28:29]
	s_waitcnt vmcnt(8) lgkmcnt(0)
	v_mul_f64 v[221:222], v[163:164], v[32:33]
	v_mul_f64 v[32:33], v[165:166], v[32:33]
	v_add_f64 v[156:157], v[156:157], v[225:226]
	v_add_f64 v[219:220], v[219:220], v[223:224]
	v_fma_f64 v[223:224], v[4:5], v[26:27], v[227:228]
	v_fma_f64 v[225:226], v[2:3], v[26:27], -v[28:29]
	ds_load_b128 v[2:5], v1 offset:1184
	scratch_load_b128 v[26:29], off, off offset:480
	v_fma_f64 v[165:166], v[165:166], v[30:31], v[221:222]
	v_fma_f64 v[163:164], v[163:164], v[30:31], -v[32:33]
	scratch_load_b128 v[30:33], off, off offset:496
	v_add_f64 v[156:157], v[156:157], v[215:216]
	v_add_f64 v[219:220], v[219:220], v[217:218]
	ds_load_b128 v[215:218], v1 offset:1200
	s_waitcnt vmcnt(9) lgkmcnt(1)
	v_mul_f64 v[227:228], v[2:3], v[36:37]
	v_mul_f64 v[36:37], v[4:5], v[36:37]
	;; [unrolled: 18-line block ×12, first 2 shown]
	s_waitcnt vmcnt(8) lgkmcnt(0)
	v_mul_f64 v[221:222], v[215:216], v[40:41]
	v_mul_f64 v[40:41], v[217:218], v[40:41]
	v_add_f64 v[156:157], v[156:157], v[225:226]
	v_add_f64 v[219:220], v[219:220], v[223:224]
	v_fma_f64 v[223:224], v[4:5], v[34:35], v[227:228]
	v_fma_f64 v[225:226], v[2:3], v[34:35], -v[36:37]
	ds_load_b128 v[2:5], v1 offset:1536
	ds_load_b128 v[34:37], v1 offset:1552
	v_fma_f64 v[217:218], v[217:218], v[38:39], v[221:222]
	v_fma_f64 v[38:39], v[215:216], v[38:39], -v[40:41]
	v_add_f64 v[156:157], v[156:157], v[163:164]
	v_add_f64 v[163:164], v[219:220], v[165:166]
	s_waitcnt vmcnt(7) lgkmcnt(1)
	v_mul_f64 v[165:166], v[2:3], v[44:45]
	v_mul_f64 v[44:45], v[4:5], v[44:45]
	s_delay_alu instid0(VALU_DEP_4) | instskip(NEXT) | instid1(VALU_DEP_4)
	v_add_f64 v[40:41], v[156:157], v[225:226]
	v_add_f64 v[156:157], v[163:164], v[223:224]
	s_waitcnt vmcnt(6) lgkmcnt(0)
	v_mul_f64 v[163:164], v[34:35], v[8:9]
	v_mul_f64 v[8:9], v[36:37], v[8:9]
	v_fma_f64 v[165:166], v[4:5], v[42:43], v[165:166]
	v_fma_f64 v[42:43], v[2:3], v[42:43], -v[44:45]
	v_add_f64 v[44:45], v[40:41], v[38:39]
	v_add_f64 v[156:157], v[156:157], v[217:218]
	ds_load_b128 v[2:5], v1 offset:1568
	ds_load_b128 v[38:41], v1 offset:1584
	v_fma_f64 v[36:37], v[36:37], v[6:7], v[163:164]
	v_fma_f64 v[6:7], v[34:35], v[6:7], -v[8:9]
	s_waitcnt vmcnt(5) lgkmcnt(1)
	v_mul_f64 v[215:216], v[2:3], v[12:13]
	v_mul_f64 v[12:13], v[4:5], v[12:13]
	v_add_f64 v[8:9], v[44:45], v[42:43]
	v_add_f64 v[34:35], v[156:157], v[165:166]
	s_waitcnt vmcnt(4) lgkmcnt(0)
	v_mul_f64 v[42:43], v[38:39], v[16:17]
	v_mul_f64 v[16:17], v[40:41], v[16:17]
	v_fma_f64 v[44:45], v[4:5], v[10:11], v[215:216]
	v_fma_f64 v[10:11], v[2:3], v[10:11], -v[12:13]
	v_add_f64 v[12:13], v[8:9], v[6:7]
	v_add_f64 v[34:35], v[34:35], v[36:37]
	ds_load_b128 v[2:5], v1 offset:1600
	ds_load_b128 v[6:9], v1 offset:1616
	v_fma_f64 v[40:41], v[40:41], v[14:15], v[42:43]
	v_fma_f64 v[14:15], v[38:39], v[14:15], -v[16:17]
	s_waitcnt vmcnt(3) lgkmcnt(1)
	v_mul_f64 v[36:37], v[2:3], v[20:21]
	v_mul_f64 v[20:21], v[4:5], v[20:21]
	s_waitcnt vmcnt(2) lgkmcnt(0)
	v_mul_f64 v[16:17], v[6:7], v[24:25]
	v_mul_f64 v[24:25], v[8:9], v[24:25]
	v_add_f64 v[10:11], v[12:13], v[10:11]
	v_add_f64 v[12:13], v[34:35], v[44:45]
	v_fma_f64 v[34:35], v[4:5], v[18:19], v[36:37]
	v_fma_f64 v[18:19], v[2:3], v[18:19], -v[20:21]
	v_fma_f64 v[8:9], v[8:9], v[22:23], v[16:17]
	v_fma_f64 v[6:7], v[6:7], v[22:23], -v[24:25]
	v_add_f64 v[14:15], v[10:11], v[14:15]
	v_add_f64 v[20:21], v[12:13], v[40:41]
	ds_load_b128 v[2:5], v1 offset:1632
	ds_load_b128 v[10:13], v1 offset:1648
	s_waitcnt vmcnt(1) lgkmcnt(1)
	v_mul_f64 v[36:37], v[2:3], v[28:29]
	v_mul_f64 v[28:29], v[4:5], v[28:29]
	v_add_f64 v[14:15], v[14:15], v[18:19]
	v_add_f64 v[16:17], v[20:21], v[34:35]
	s_waitcnt vmcnt(0) lgkmcnt(0)
	v_mul_f64 v[18:19], v[10:11], v[32:33]
	v_mul_f64 v[20:21], v[12:13], v[32:33]
	v_fma_f64 v[4:5], v[4:5], v[26:27], v[36:37]
	v_fma_f64 v[1:2], v[2:3], v[26:27], -v[28:29]
	v_add_f64 v[6:7], v[14:15], v[6:7]
	v_add_f64 v[8:9], v[16:17], v[8:9]
	v_fma_f64 v[12:13], v[12:13], v[30:31], v[18:19]
	v_fma_f64 v[10:11], v[10:11], v[30:31], -v[20:21]
	s_delay_alu instid0(VALU_DEP_4) | instskip(NEXT) | instid1(VALU_DEP_4)
	v_add_f64 v[1:2], v[6:7], v[1:2]
	v_add_f64 v[3:4], v[8:9], v[4:5]
	s_delay_alu instid0(VALU_DEP_2) | instskip(NEXT) | instid1(VALU_DEP_2)
	v_add_f64 v[1:2], v[1:2], v[10:11]
	v_add_f64 v[3:4], v[3:4], v[12:13]
	s_delay_alu instid0(VALU_DEP_2) | instskip(NEXT) | instid1(VALU_DEP_2)
	v_add_f64 v[1:2], v[152:153], -v[1:2]
	v_add_f64 v[3:4], v[154:155], -v[3:4]
	scratch_store_b128 off, v[1:4], off offset:48
	v_cmpx_lt_u32_e32 2, v150
	s_cbranch_execz .LBB51_321
; %bb.320:
	scratch_load_b128 v[1:4], v200, off
	v_mov_b32_e32 v5, 0
	s_delay_alu instid0(VALU_DEP_1)
	v_mov_b32_e32 v6, v5
	v_mov_b32_e32 v7, v5
	;; [unrolled: 1-line block ×3, first 2 shown]
	scratch_store_b128 off, v[5:8], off offset:32
	s_waitcnt vmcnt(0)
	ds_store_b128 v202, v[1:4]
.LBB51_321:
	s_or_b32 exec_lo, exec_lo, s2
	s_waitcnt lgkmcnt(0)
	s_waitcnt_vscnt null, 0x0
	s_barrier
	buffer_gl0_inv
	s_clause 0x7
	scratch_load_b128 v[2:5], off, off offset:48
	scratch_load_b128 v[6:9], off, off offset:64
	;; [unrolled: 1-line block ×8, first 2 shown]
	v_mov_b32_e32 v1, 0
	s_mov_b32 s2, exec_lo
	ds_load_b128 v[38:41], v1 offset:880
	s_clause 0x1
	scratch_load_b128 v[34:37], off, off offset:176
	scratch_load_b128 v[42:45], off, off offset:32
	ds_load_b128 v[152:155], v1 offset:896
	scratch_load_b128 v[163:166], off, off offset:192
	ds_load_b128 v[215:218], v1 offset:928
	s_waitcnt vmcnt(10) lgkmcnt(2)
	v_mul_f64 v[156:157], v[40:41], v[4:5]
	v_mul_f64 v[4:5], v[38:39], v[4:5]
	s_delay_alu instid0(VALU_DEP_2) | instskip(NEXT) | instid1(VALU_DEP_2)
	v_fma_f64 v[156:157], v[38:39], v[2:3], -v[156:157]
	v_fma_f64 v[221:222], v[40:41], v[2:3], v[4:5]
	ds_load_b128 v[2:5], v1 offset:912
	s_waitcnt vmcnt(9) lgkmcnt(2)
	v_mul_f64 v[219:220], v[152:153], v[8:9]
	v_mul_f64 v[8:9], v[154:155], v[8:9]
	scratch_load_b128 v[38:41], off, off offset:208
	s_waitcnt vmcnt(9) lgkmcnt(0)
	v_mul_f64 v[223:224], v[2:3], v[12:13]
	v_mul_f64 v[12:13], v[4:5], v[12:13]
	v_add_f64 v[156:157], v[156:157], 0
	v_fma_f64 v[154:155], v[154:155], v[6:7], v[219:220]
	v_fma_f64 v[152:153], v[152:153], v[6:7], -v[8:9]
	v_add_f64 v[219:220], v[221:222], 0
	scratch_load_b128 v[6:9], off, off offset:224
	v_fma_f64 v[223:224], v[4:5], v[10:11], v[223:224]
	v_fma_f64 v[225:226], v[2:3], v[10:11], -v[12:13]
	scratch_load_b128 v[10:13], off, off offset:240
	ds_load_b128 v[2:5], v1 offset:944
	s_waitcnt vmcnt(10)
	v_mul_f64 v[221:222], v[215:216], v[16:17]
	v_mul_f64 v[16:17], v[217:218], v[16:17]
	v_add_f64 v[156:157], v[156:157], v[152:153]
	v_add_f64 v[219:220], v[219:220], v[154:155]
	ds_load_b128 v[152:155], v1 offset:960
	s_waitcnt vmcnt(9) lgkmcnt(1)
	v_mul_f64 v[227:228], v[2:3], v[20:21]
	v_mul_f64 v[20:21], v[4:5], v[20:21]
	v_fma_f64 v[217:218], v[217:218], v[14:15], v[221:222]
	v_fma_f64 v[215:216], v[215:216], v[14:15], -v[16:17]
	scratch_load_b128 v[14:17], off, off offset:256
	v_add_f64 v[156:157], v[156:157], v[225:226]
	v_add_f64 v[219:220], v[219:220], v[223:224]
	v_fma_f64 v[223:224], v[4:5], v[18:19], v[227:228]
	v_fma_f64 v[225:226], v[2:3], v[18:19], -v[20:21]
	scratch_load_b128 v[18:21], off, off offset:272
	ds_load_b128 v[2:5], v1 offset:976
	s_waitcnt vmcnt(10) lgkmcnt(1)
	v_mul_f64 v[221:222], v[152:153], v[24:25]
	v_mul_f64 v[24:25], v[154:155], v[24:25]
	s_waitcnt vmcnt(9) lgkmcnt(0)
	v_mul_f64 v[227:228], v[2:3], v[28:29]
	v_mul_f64 v[28:29], v[4:5], v[28:29]
	v_add_f64 v[156:157], v[156:157], v[215:216]
	v_add_f64 v[219:220], v[219:220], v[217:218]
	ds_load_b128 v[215:218], v1 offset:992
	v_fma_f64 v[154:155], v[154:155], v[22:23], v[221:222]
	v_fma_f64 v[152:153], v[152:153], v[22:23], -v[24:25]
	scratch_load_b128 v[22:25], off, off offset:288
	v_add_f64 v[156:157], v[156:157], v[225:226]
	v_add_f64 v[219:220], v[219:220], v[223:224]
	v_fma_f64 v[223:224], v[4:5], v[26:27], v[227:228]
	v_fma_f64 v[225:226], v[2:3], v[26:27], -v[28:29]
	scratch_load_b128 v[26:29], off, off offset:304
	ds_load_b128 v[2:5], v1 offset:1008
	s_waitcnt vmcnt(10) lgkmcnt(1)
	v_mul_f64 v[221:222], v[215:216], v[32:33]
	v_mul_f64 v[32:33], v[217:218], v[32:33]
	s_waitcnt vmcnt(9) lgkmcnt(0)
	v_mul_f64 v[227:228], v[2:3], v[36:37]
	v_mul_f64 v[36:37], v[4:5], v[36:37]
	v_add_f64 v[156:157], v[156:157], v[152:153]
	v_add_f64 v[219:220], v[219:220], v[154:155]
	ds_load_b128 v[152:155], v1 offset:1024
	v_fma_f64 v[217:218], v[217:218], v[30:31], v[221:222]
	v_fma_f64 v[215:216], v[215:216], v[30:31], -v[32:33]
	scratch_load_b128 v[30:33], off, off offset:320
	v_add_f64 v[156:157], v[156:157], v[225:226]
	v_add_f64 v[219:220], v[219:220], v[223:224]
	v_fma_f64 v[223:224], v[4:5], v[34:35], v[227:228]
	v_fma_f64 v[225:226], v[2:3], v[34:35], -v[36:37]
	scratch_load_b128 v[34:37], off, off offset:336
	ds_load_b128 v[2:5], v1 offset:1040
	s_waitcnt vmcnt(9) lgkmcnt(1)
	v_mul_f64 v[221:222], v[152:153], v[165:166]
	v_mul_f64 v[165:166], v[154:155], v[165:166]
	v_add_f64 v[156:157], v[156:157], v[215:216]
	v_add_f64 v[219:220], v[219:220], v[217:218]
	ds_load_b128 v[215:218], v1 offset:1056
	v_fma_f64 v[221:222], v[154:155], v[163:164], v[221:222]
	v_fma_f64 v[163:164], v[152:153], v[163:164], -v[165:166]
	scratch_load_b128 v[152:155], off, off offset:352
	s_waitcnt vmcnt(9) lgkmcnt(1)
	v_mul_f64 v[227:228], v[2:3], v[40:41]
	v_mul_f64 v[40:41], v[4:5], v[40:41]
	v_add_f64 v[156:157], v[156:157], v[225:226]
	v_add_f64 v[165:166], v[219:220], v[223:224]
	s_delay_alu instid0(VALU_DEP_4) | instskip(NEXT) | instid1(VALU_DEP_4)
	v_fma_f64 v[223:224], v[4:5], v[38:39], v[227:228]
	v_fma_f64 v[225:226], v[2:3], v[38:39], -v[40:41]
	scratch_load_b128 v[38:41], off, off offset:368
	ds_load_b128 v[2:5], v1 offset:1072
	s_waitcnt vmcnt(9) lgkmcnt(1)
	v_mul_f64 v[219:220], v[215:216], v[8:9]
	v_mul_f64 v[8:9], v[217:218], v[8:9]
	v_add_f64 v[156:157], v[156:157], v[163:164]
	v_add_f64 v[221:222], v[165:166], v[221:222]
	s_waitcnt vmcnt(8) lgkmcnt(0)
	v_mul_f64 v[227:228], v[2:3], v[12:13]
	v_mul_f64 v[12:13], v[4:5], v[12:13]
	ds_load_b128 v[163:166], v1 offset:1088
	v_fma_f64 v[217:218], v[217:218], v[6:7], v[219:220]
	v_fma_f64 v[215:216], v[215:216], v[6:7], -v[8:9]
	scratch_load_b128 v[6:9], off, off offset:384
	v_add_f64 v[156:157], v[156:157], v[225:226]
	v_add_f64 v[219:220], v[221:222], v[223:224]
	v_fma_f64 v[223:224], v[4:5], v[10:11], v[227:228]
	v_fma_f64 v[225:226], v[2:3], v[10:11], -v[12:13]
	scratch_load_b128 v[10:13], off, off offset:400
	ds_load_b128 v[2:5], v1 offset:1104
	s_waitcnt vmcnt(9) lgkmcnt(1)
	v_mul_f64 v[221:222], v[163:164], v[16:17]
	v_mul_f64 v[16:17], v[165:166], v[16:17]
	s_waitcnt vmcnt(8) lgkmcnt(0)
	v_mul_f64 v[227:228], v[2:3], v[20:21]
	v_mul_f64 v[20:21], v[4:5], v[20:21]
	v_add_f64 v[156:157], v[156:157], v[215:216]
	v_add_f64 v[219:220], v[219:220], v[217:218]
	ds_load_b128 v[215:218], v1 offset:1120
	v_fma_f64 v[165:166], v[165:166], v[14:15], v[221:222]
	v_fma_f64 v[163:164], v[163:164], v[14:15], -v[16:17]
	scratch_load_b128 v[14:17], off, off offset:416
	v_add_f64 v[156:157], v[156:157], v[225:226]
	v_add_f64 v[219:220], v[219:220], v[223:224]
	v_fma_f64 v[223:224], v[4:5], v[18:19], v[227:228]
	v_fma_f64 v[225:226], v[2:3], v[18:19], -v[20:21]
	scratch_load_b128 v[18:21], off, off offset:432
	ds_load_b128 v[2:5], v1 offset:1136
	s_waitcnt vmcnt(9) lgkmcnt(1)
	v_mul_f64 v[221:222], v[215:216], v[24:25]
	v_mul_f64 v[24:25], v[217:218], v[24:25]
	s_waitcnt vmcnt(8) lgkmcnt(0)
	v_mul_f64 v[227:228], v[2:3], v[28:29]
	v_mul_f64 v[28:29], v[4:5], v[28:29]
	v_add_f64 v[156:157], v[156:157], v[163:164]
	v_add_f64 v[219:220], v[219:220], v[165:166]
	;; [unrolled: 18-line block ×3, first 2 shown]
	ds_load_b128 v[215:218], v1 offset:1184
	v_fma_f64 v[165:166], v[165:166], v[30:31], v[221:222]
	v_fma_f64 v[163:164], v[163:164], v[30:31], -v[32:33]
	scratch_load_b128 v[30:33], off, off offset:480
	v_add_f64 v[156:157], v[156:157], v[225:226]
	v_add_f64 v[219:220], v[219:220], v[223:224]
	v_fma_f64 v[225:226], v[4:5], v[34:35], v[227:228]
	v_fma_f64 v[227:228], v[2:3], v[34:35], -v[36:37]
	scratch_load_b128 v[34:37], off, off offset:496
	ds_load_b128 v[2:5], v1 offset:1200
	s_waitcnt vmcnt(9) lgkmcnt(1)
	v_mul_f64 v[221:222], v[215:216], v[154:155]
	v_mul_f64 v[223:224], v[217:218], v[154:155]
	v_add_f64 v[163:164], v[156:157], v[163:164]
	v_add_f64 v[165:166], v[219:220], v[165:166]
	s_waitcnt vmcnt(8) lgkmcnt(0)
	v_mul_f64 v[219:220], v[2:3], v[40:41]
	v_mul_f64 v[40:41], v[4:5], v[40:41]
	ds_load_b128 v[154:157], v1 offset:1216
	v_fma_f64 v[217:218], v[217:218], v[152:153], v[221:222]
	v_fma_f64 v[152:153], v[215:216], v[152:153], -v[223:224]
	v_add_f64 v[215:216], v[163:164], v[227:228]
	v_add_f64 v[221:222], v[165:166], v[225:226]
	scratch_load_b128 v[163:166], off, off offset:512
	v_fma_f64 v[219:220], v[4:5], v[38:39], v[219:220]
	v_fma_f64 v[225:226], v[2:3], v[38:39], -v[40:41]
	scratch_load_b128 v[38:41], off, off offset:528
	ds_load_b128 v[2:5], v1 offset:1232
	s_waitcnt vmcnt(9) lgkmcnt(1)
	v_mul_f64 v[223:224], v[154:155], v[8:9]
	v_mul_f64 v[8:9], v[156:157], v[8:9]
	s_waitcnt vmcnt(8) lgkmcnt(0)
	v_mul_f64 v[227:228], v[2:3], v[12:13]
	v_mul_f64 v[12:13], v[4:5], v[12:13]
	v_add_f64 v[152:153], v[215:216], v[152:153]
	v_add_f64 v[221:222], v[221:222], v[217:218]
	ds_load_b128 v[215:218], v1 offset:1248
	v_fma_f64 v[156:157], v[156:157], v[6:7], v[223:224]
	v_fma_f64 v[154:155], v[154:155], v[6:7], -v[8:9]
	scratch_load_b128 v[6:9], off, off offset:544
	v_fma_f64 v[223:224], v[4:5], v[10:11], v[227:228]
	v_add_f64 v[152:153], v[152:153], v[225:226]
	v_add_f64 v[219:220], v[221:222], v[219:220]
	v_fma_f64 v[225:226], v[2:3], v[10:11], -v[12:13]
	scratch_load_b128 v[10:13], off, off offset:560
	ds_load_b128 v[2:5], v1 offset:1264
	s_waitcnt vmcnt(9) lgkmcnt(1)
	v_mul_f64 v[221:222], v[215:216], v[16:17]
	v_mul_f64 v[16:17], v[217:218], v[16:17]
	v_add_f64 v[227:228], v[152:153], v[154:155]
	v_add_f64 v[156:157], v[219:220], v[156:157]
	s_waitcnt vmcnt(8) lgkmcnt(0)
	v_mul_f64 v[219:220], v[2:3], v[20:21]
	v_mul_f64 v[20:21], v[4:5], v[20:21]
	ds_load_b128 v[152:155], v1 offset:1280
	v_fma_f64 v[217:218], v[217:218], v[14:15], v[221:222]
	v_fma_f64 v[215:216], v[215:216], v[14:15], -v[16:17]
	scratch_load_b128 v[14:17], off, off offset:576
	v_add_f64 v[221:222], v[227:228], v[225:226]
	v_add_f64 v[156:157], v[156:157], v[223:224]
	v_fma_f64 v[219:220], v[4:5], v[18:19], v[219:220]
	v_fma_f64 v[225:226], v[2:3], v[18:19], -v[20:21]
	scratch_load_b128 v[18:21], off, off offset:592
	ds_load_b128 v[2:5], v1 offset:1296
	s_waitcnt vmcnt(9) lgkmcnt(1)
	v_mul_f64 v[223:224], v[152:153], v[24:25]
	v_mul_f64 v[24:25], v[154:155], v[24:25]
	s_waitcnt vmcnt(8) lgkmcnt(0)
	v_mul_f64 v[227:228], v[2:3], v[28:29]
	v_mul_f64 v[28:29], v[4:5], v[28:29]
	v_add_f64 v[221:222], v[221:222], v[215:216]
	v_add_f64 v[156:157], v[156:157], v[217:218]
	ds_load_b128 v[215:218], v1 offset:1312
	v_fma_f64 v[154:155], v[154:155], v[22:23], v[223:224]
	v_fma_f64 v[152:153], v[152:153], v[22:23], -v[24:25]
	scratch_load_b128 v[22:25], off, off offset:608
	v_fma_f64 v[223:224], v[4:5], v[26:27], v[227:228]
	v_add_f64 v[221:222], v[221:222], v[225:226]
	v_add_f64 v[156:157], v[156:157], v[219:220]
	v_fma_f64 v[225:226], v[2:3], v[26:27], -v[28:29]
	scratch_load_b128 v[26:29], off, off offset:624
	ds_load_b128 v[2:5], v1 offset:1328
	s_waitcnt vmcnt(9) lgkmcnt(1)
	v_mul_f64 v[219:220], v[215:216], v[32:33]
	v_mul_f64 v[32:33], v[217:218], v[32:33]
	s_waitcnt vmcnt(8) lgkmcnt(0)
	v_mul_f64 v[227:228], v[2:3], v[36:37]
	v_mul_f64 v[36:37], v[4:5], v[36:37]
	v_add_f64 v[221:222], v[221:222], v[152:153]
	v_add_f64 v[156:157], v[156:157], v[154:155]
	ds_load_b128 v[152:155], v1 offset:1344
	v_fma_f64 v[217:218], v[217:218], v[30:31], v[219:220]
	v_fma_f64 v[215:216], v[215:216], v[30:31], -v[32:33]
	scratch_load_b128 v[30:33], off, off offset:640
	v_add_f64 v[219:220], v[221:222], v[225:226]
	v_add_f64 v[156:157], v[156:157], v[223:224]
	v_fma_f64 v[223:224], v[4:5], v[34:35], v[227:228]
	v_fma_f64 v[225:226], v[2:3], v[34:35], -v[36:37]
	scratch_load_b128 v[34:37], off, off offset:656
	ds_load_b128 v[2:5], v1 offset:1360
	s_waitcnt vmcnt(9) lgkmcnt(1)
	v_mul_f64 v[221:222], v[152:153], v[165:166]
	v_mul_f64 v[165:166], v[154:155], v[165:166]
	s_waitcnt vmcnt(8) lgkmcnt(0)
	v_mul_f64 v[227:228], v[2:3], v[40:41]
	v_mul_f64 v[40:41], v[4:5], v[40:41]
	v_add_f64 v[219:220], v[219:220], v[215:216]
	v_add_f64 v[156:157], v[156:157], v[217:218]
	ds_load_b128 v[215:218], v1 offset:1376
	v_fma_f64 v[221:222], v[154:155], v[163:164], v[221:222]
	v_fma_f64 v[163:164], v[152:153], v[163:164], -v[165:166]
	scratch_load_b128 v[152:155], off, off offset:672
	v_add_f64 v[165:166], v[219:220], v[225:226]
	v_add_f64 v[156:157], v[156:157], v[223:224]
	v_fma_f64 v[223:224], v[4:5], v[38:39], v[227:228]
	v_fma_f64 v[225:226], v[2:3], v[38:39], -v[40:41]
	scratch_load_b128 v[38:41], off, off offset:688
	ds_load_b128 v[2:5], v1 offset:1392
	s_waitcnt vmcnt(9) lgkmcnt(1)
	v_mul_f64 v[219:220], v[215:216], v[8:9]
	v_mul_f64 v[8:9], v[217:218], v[8:9]
	v_add_f64 v[227:228], v[165:166], v[163:164]
	v_add_f64 v[156:157], v[156:157], v[221:222]
	s_waitcnt vmcnt(8) lgkmcnt(0)
	v_mul_f64 v[221:222], v[2:3], v[12:13]
	v_mul_f64 v[12:13], v[4:5], v[12:13]
	ds_load_b128 v[163:166], v1 offset:1408
	v_fma_f64 v[217:218], v[217:218], v[6:7], v[219:220]
	v_fma_f64 v[215:216], v[215:216], v[6:7], -v[8:9]
	scratch_load_b128 v[6:9], off, off offset:704
	v_add_f64 v[219:220], v[227:228], v[225:226]
	v_add_f64 v[156:157], v[156:157], v[223:224]
	v_fma_f64 v[221:222], v[4:5], v[10:11], v[221:222]
	v_fma_f64 v[225:226], v[2:3], v[10:11], -v[12:13]
	scratch_load_b128 v[10:13], off, off offset:720
	ds_load_b128 v[2:5], v1 offset:1424
	s_waitcnt vmcnt(9) lgkmcnt(1)
	v_mul_f64 v[223:224], v[163:164], v[16:17]
	v_mul_f64 v[16:17], v[165:166], v[16:17]
	s_waitcnt vmcnt(8) lgkmcnt(0)
	v_mul_f64 v[227:228], v[2:3], v[20:21]
	v_mul_f64 v[20:21], v[4:5], v[20:21]
	v_add_f64 v[219:220], v[219:220], v[215:216]
	v_add_f64 v[156:157], v[156:157], v[217:218]
	ds_load_b128 v[215:218], v1 offset:1440
	v_fma_f64 v[165:166], v[165:166], v[14:15], v[223:224]
	v_fma_f64 v[163:164], v[163:164], v[14:15], -v[16:17]
	scratch_load_b128 v[14:17], off, off offset:736
	v_fma_f64 v[223:224], v[4:5], v[18:19], v[227:228]
	v_add_f64 v[219:220], v[219:220], v[225:226]
	v_add_f64 v[156:157], v[156:157], v[221:222]
	v_fma_f64 v[225:226], v[2:3], v[18:19], -v[20:21]
	scratch_load_b128 v[18:21], off, off offset:752
	ds_load_b128 v[2:5], v1 offset:1456
	s_waitcnt vmcnt(9) lgkmcnt(1)
	v_mul_f64 v[221:222], v[215:216], v[24:25]
	v_mul_f64 v[24:25], v[217:218], v[24:25]
	s_waitcnt vmcnt(8) lgkmcnt(0)
	v_mul_f64 v[227:228], v[2:3], v[28:29]
	v_mul_f64 v[28:29], v[4:5], v[28:29]
	v_add_f64 v[219:220], v[219:220], v[163:164]
	v_add_f64 v[156:157], v[156:157], v[165:166]
	ds_load_b128 v[163:166], v1 offset:1472
	v_fma_f64 v[217:218], v[217:218], v[22:23], v[221:222]
	v_fma_f64 v[215:216], v[215:216], v[22:23], -v[24:25]
	scratch_load_b128 v[22:25], off, off offset:768
	v_add_f64 v[219:220], v[219:220], v[225:226]
	v_add_f64 v[156:157], v[156:157], v[223:224]
	v_fma_f64 v[223:224], v[4:5], v[26:27], v[227:228]
	v_fma_f64 v[225:226], v[2:3], v[26:27], -v[28:29]
	scratch_load_b128 v[26:29], off, off offset:784
	ds_load_b128 v[2:5], v1 offset:1488
	s_waitcnt vmcnt(9) lgkmcnt(1)
	v_mul_f64 v[221:222], v[163:164], v[32:33]
	v_mul_f64 v[32:33], v[165:166], v[32:33]
	s_waitcnt vmcnt(8) lgkmcnt(0)
	v_mul_f64 v[227:228], v[2:3], v[36:37]
	v_mul_f64 v[36:37], v[4:5], v[36:37]
	v_add_f64 v[219:220], v[219:220], v[215:216]
	v_add_f64 v[156:157], v[156:157], v[217:218]
	ds_load_b128 v[215:218], v1 offset:1504
	v_fma_f64 v[165:166], v[165:166], v[30:31], v[221:222]
	v_fma_f64 v[163:164], v[163:164], v[30:31], -v[32:33]
	scratch_load_b128 v[30:33], off, off offset:800
	v_add_f64 v[219:220], v[219:220], v[225:226]
	v_add_f64 v[156:157], v[156:157], v[223:224]
	v_fma_f64 v[225:226], v[4:5], v[34:35], v[227:228]
	v_fma_f64 v[227:228], v[2:3], v[34:35], -v[36:37]
	scratch_load_b128 v[34:37], off, off offset:816
	ds_load_b128 v[2:5], v1 offset:1520
	s_waitcnt vmcnt(9) lgkmcnt(1)
	v_mul_f64 v[221:222], v[215:216], v[154:155]
	v_mul_f64 v[223:224], v[217:218], v[154:155]
	v_add_f64 v[163:164], v[219:220], v[163:164]
	v_add_f64 v[165:166], v[156:157], v[165:166]
	s_waitcnt vmcnt(8) lgkmcnt(0)
	v_mul_f64 v[219:220], v[2:3], v[40:41]
	v_mul_f64 v[40:41], v[4:5], v[40:41]
	ds_load_b128 v[154:157], v1 offset:1536
	v_fma_f64 v[217:218], v[217:218], v[152:153], v[221:222]
	v_fma_f64 v[152:153], v[215:216], v[152:153], -v[223:224]
	s_waitcnt vmcnt(7) lgkmcnt(0)
	v_mul_f64 v[215:216], v[154:155], v[8:9]
	v_mul_f64 v[8:9], v[156:157], v[8:9]
	v_add_f64 v[163:164], v[163:164], v[227:228]
	v_add_f64 v[165:166], v[165:166], v[225:226]
	v_fma_f64 v[219:220], v[4:5], v[38:39], v[219:220]
	v_fma_f64 v[221:222], v[2:3], v[38:39], -v[40:41]
	ds_load_b128 v[2:5], v1 offset:1552
	ds_load_b128 v[38:41], v1 offset:1568
	v_fma_f64 v[156:157], v[156:157], v[6:7], v[215:216]
	v_fma_f64 v[6:7], v[154:155], v[6:7], -v[8:9]
	v_add_f64 v[152:153], v[163:164], v[152:153]
	v_add_f64 v[163:164], v[165:166], v[217:218]
	s_waitcnt vmcnt(6) lgkmcnt(1)
	v_mul_f64 v[165:166], v[2:3], v[12:13]
	v_mul_f64 v[12:13], v[4:5], v[12:13]
	s_waitcnt vmcnt(5) lgkmcnt(0)
	v_mul_f64 v[154:155], v[38:39], v[16:17]
	v_mul_f64 v[16:17], v[40:41], v[16:17]
	v_add_f64 v[8:9], v[152:153], v[221:222]
	v_add_f64 v[152:153], v[163:164], v[219:220]
	v_fma_f64 v[163:164], v[4:5], v[10:11], v[165:166]
	v_fma_f64 v[10:11], v[2:3], v[10:11], -v[12:13]
	v_fma_f64 v[40:41], v[40:41], v[14:15], v[154:155]
	v_fma_f64 v[14:15], v[38:39], v[14:15], -v[16:17]
	v_add_f64 v[12:13], v[8:9], v[6:7]
	v_add_f64 v[152:153], v[152:153], v[156:157]
	ds_load_b128 v[2:5], v1 offset:1584
	ds_load_b128 v[6:9], v1 offset:1600
	s_waitcnt vmcnt(4) lgkmcnt(1)
	v_mul_f64 v[156:157], v[2:3], v[20:21]
	v_mul_f64 v[20:21], v[4:5], v[20:21]
	s_waitcnt vmcnt(3) lgkmcnt(0)
	v_mul_f64 v[16:17], v[6:7], v[24:25]
	v_mul_f64 v[24:25], v[8:9], v[24:25]
	v_add_f64 v[10:11], v[12:13], v[10:11]
	v_add_f64 v[12:13], v[152:153], v[163:164]
	v_fma_f64 v[38:39], v[4:5], v[18:19], v[156:157]
	v_fma_f64 v[18:19], v[2:3], v[18:19], -v[20:21]
	v_fma_f64 v[8:9], v[8:9], v[22:23], v[16:17]
	v_fma_f64 v[6:7], v[6:7], v[22:23], -v[24:25]
	v_add_f64 v[14:15], v[10:11], v[14:15]
	v_add_f64 v[20:21], v[12:13], v[40:41]
	ds_load_b128 v[2:5], v1 offset:1616
	ds_load_b128 v[10:13], v1 offset:1632
	s_waitcnt vmcnt(2) lgkmcnt(1)
	v_mul_f64 v[40:41], v[2:3], v[28:29]
	v_mul_f64 v[28:29], v[4:5], v[28:29]
	v_add_f64 v[14:15], v[14:15], v[18:19]
	v_add_f64 v[16:17], v[20:21], v[38:39]
	s_waitcnt vmcnt(1) lgkmcnt(0)
	v_mul_f64 v[18:19], v[10:11], v[32:33]
	v_mul_f64 v[20:21], v[12:13], v[32:33]
	v_fma_f64 v[22:23], v[4:5], v[26:27], v[40:41]
	v_fma_f64 v[24:25], v[2:3], v[26:27], -v[28:29]
	ds_load_b128 v[2:5], v1 offset:1648
	v_add_f64 v[6:7], v[14:15], v[6:7]
	v_add_f64 v[8:9], v[16:17], v[8:9]
	v_fma_f64 v[12:13], v[12:13], v[30:31], v[18:19]
	v_fma_f64 v[10:11], v[10:11], v[30:31], -v[20:21]
	s_waitcnt vmcnt(0) lgkmcnt(0)
	v_mul_f64 v[14:15], v[2:3], v[36:37]
	v_mul_f64 v[16:17], v[4:5], v[36:37]
	v_add_f64 v[6:7], v[6:7], v[24:25]
	v_add_f64 v[8:9], v[8:9], v[22:23]
	s_delay_alu instid0(VALU_DEP_4) | instskip(NEXT) | instid1(VALU_DEP_4)
	v_fma_f64 v[4:5], v[4:5], v[34:35], v[14:15]
	v_fma_f64 v[2:3], v[2:3], v[34:35], -v[16:17]
	s_delay_alu instid0(VALU_DEP_4) | instskip(NEXT) | instid1(VALU_DEP_4)
	v_add_f64 v[6:7], v[6:7], v[10:11]
	v_add_f64 v[8:9], v[8:9], v[12:13]
	s_delay_alu instid0(VALU_DEP_2) | instskip(NEXT) | instid1(VALU_DEP_2)
	v_add_f64 v[2:3], v[6:7], v[2:3]
	v_add_f64 v[4:5], v[8:9], v[4:5]
	s_delay_alu instid0(VALU_DEP_2) | instskip(NEXT) | instid1(VALU_DEP_2)
	v_add_f64 v[2:3], v[42:43], -v[2:3]
	v_add_f64 v[4:5], v[44:45], -v[4:5]
	scratch_store_b128 off, v[2:5], off offset:32
	v_cmpx_lt_u32_e32 1, v150
	s_cbranch_execz .LBB51_323
; %bb.322:
	scratch_load_b128 v[5:8], v201, off
	v_mov_b32_e32 v2, v1
	v_mov_b32_e32 v3, v1
	;; [unrolled: 1-line block ×3, first 2 shown]
	scratch_store_b128 off, v[1:4], off offset:16
	s_waitcnt vmcnt(0)
	ds_store_b128 v202, v[5:8]
.LBB51_323:
	s_or_b32 exec_lo, exec_lo, s2
	s_waitcnt lgkmcnt(0)
	s_waitcnt_vscnt null, 0x0
	s_barrier
	buffer_gl0_inv
	s_clause 0x8
	scratch_load_b128 v[2:5], off, off offset:32
	scratch_load_b128 v[6:9], off, off offset:48
	;; [unrolled: 1-line block ×9, first 2 shown]
	ds_load_b128 v[42:45], v1 offset:864
	ds_load_b128 v[38:41], v1 offset:880
	s_clause 0x1
	scratch_load_b128 v[152:155], off, off offset:16
	scratch_load_b128 v[163:166], off, off offset:176
	s_mov_b32 s2, exec_lo
	ds_load_b128 v[215:218], v1 offset:912
	s_waitcnt vmcnt(10) lgkmcnt(2)
	v_mul_f64 v[156:157], v[44:45], v[4:5]
	v_mul_f64 v[4:5], v[42:43], v[4:5]
	s_waitcnt vmcnt(9) lgkmcnt(1)
	v_mul_f64 v[219:220], v[38:39], v[8:9]
	v_mul_f64 v[8:9], v[40:41], v[8:9]
	s_delay_alu instid0(VALU_DEP_4) | instskip(NEXT) | instid1(VALU_DEP_4)
	v_fma_f64 v[156:157], v[42:43], v[2:3], -v[156:157]
	v_fma_f64 v[221:222], v[44:45], v[2:3], v[4:5]
	ds_load_b128 v[2:5], v1 offset:896
	scratch_load_b128 v[42:45], off, off offset:192
	v_fma_f64 v[40:41], v[40:41], v[6:7], v[219:220]
	v_fma_f64 v[38:39], v[38:39], v[6:7], -v[8:9]
	scratch_load_b128 v[6:9], off, off offset:208
	s_waitcnt vmcnt(10) lgkmcnt(0)
	v_mul_f64 v[223:224], v[2:3], v[12:13]
	v_mul_f64 v[12:13], v[4:5], v[12:13]
	v_add_f64 v[156:157], v[156:157], 0
	v_add_f64 v[219:220], v[221:222], 0
	s_waitcnt vmcnt(9)
	v_mul_f64 v[221:222], v[215:216], v[16:17]
	v_mul_f64 v[16:17], v[217:218], v[16:17]
	v_fma_f64 v[223:224], v[4:5], v[10:11], v[223:224]
	v_fma_f64 v[225:226], v[2:3], v[10:11], -v[12:13]
	ds_load_b128 v[2:5], v1 offset:928
	scratch_load_b128 v[10:13], off, off offset:224
	v_add_f64 v[156:157], v[156:157], v[38:39]
	v_add_f64 v[219:220], v[219:220], v[40:41]
	ds_load_b128 v[38:41], v1 offset:944
	v_fma_f64 v[217:218], v[217:218], v[14:15], v[221:222]
	v_fma_f64 v[215:216], v[215:216], v[14:15], -v[16:17]
	scratch_load_b128 v[14:17], off, off offset:240
	s_waitcnt vmcnt(10) lgkmcnt(1)
	v_mul_f64 v[227:228], v[2:3], v[20:21]
	v_mul_f64 v[20:21], v[4:5], v[20:21]
	s_waitcnt vmcnt(9) lgkmcnt(0)
	v_mul_f64 v[221:222], v[38:39], v[24:25]
	v_mul_f64 v[24:25], v[40:41], v[24:25]
	v_add_f64 v[156:157], v[156:157], v[225:226]
	v_add_f64 v[219:220], v[219:220], v[223:224]
	v_fma_f64 v[223:224], v[4:5], v[18:19], v[227:228]
	v_fma_f64 v[225:226], v[2:3], v[18:19], -v[20:21]
	ds_load_b128 v[2:5], v1 offset:960
	scratch_load_b128 v[18:21], off, off offset:256
	v_fma_f64 v[40:41], v[40:41], v[22:23], v[221:222]
	v_fma_f64 v[38:39], v[38:39], v[22:23], -v[24:25]
	scratch_load_b128 v[22:25], off, off offset:272
	v_add_f64 v[156:157], v[156:157], v[215:216]
	v_add_f64 v[219:220], v[219:220], v[217:218]
	ds_load_b128 v[215:218], v1 offset:976
	s_waitcnt vmcnt(10) lgkmcnt(1)
	v_mul_f64 v[227:228], v[2:3], v[28:29]
	v_mul_f64 v[28:29], v[4:5], v[28:29]
	s_waitcnt vmcnt(9) lgkmcnt(0)
	v_mul_f64 v[221:222], v[215:216], v[32:33]
	v_mul_f64 v[32:33], v[217:218], v[32:33]
	v_add_f64 v[156:157], v[156:157], v[225:226]
	v_add_f64 v[219:220], v[219:220], v[223:224]
	v_fma_f64 v[223:224], v[4:5], v[26:27], v[227:228]
	v_fma_f64 v[225:226], v[2:3], v[26:27], -v[28:29]
	ds_load_b128 v[2:5], v1 offset:992
	scratch_load_b128 v[26:29], off, off offset:288
	v_fma_f64 v[217:218], v[217:218], v[30:31], v[221:222]
	v_fma_f64 v[215:216], v[215:216], v[30:31], -v[32:33]
	scratch_load_b128 v[30:33], off, off offset:304
	v_add_f64 v[156:157], v[156:157], v[38:39]
	v_add_f64 v[219:220], v[219:220], v[40:41]
	ds_load_b128 v[38:41], v1 offset:1008
	;; [unrolled: 18-line block ×3, first 2 shown]
	s_waitcnt vmcnt(9) lgkmcnt(1)
	v_mul_f64 v[227:228], v[2:3], v[44:45]
	v_mul_f64 v[44:45], v[4:5], v[44:45]
	v_add_f64 v[156:157], v[156:157], v[225:226]
	v_add_f64 v[165:166], v[219:220], v[223:224]
	s_waitcnt vmcnt(8) lgkmcnt(0)
	v_mul_f64 v[219:220], v[215:216], v[8:9]
	v_mul_f64 v[8:9], v[217:218], v[8:9]
	v_fma_f64 v[223:224], v[4:5], v[42:43], v[227:228]
	v_fma_f64 v[225:226], v[2:3], v[42:43], -v[44:45]
	ds_load_b128 v[2:5], v1 offset:1056
	scratch_load_b128 v[42:45], off, off offset:352
	v_add_f64 v[156:157], v[156:157], v[163:164]
	v_add_f64 v[221:222], v[165:166], v[221:222]
	ds_load_b128 v[163:166], v1 offset:1072
	s_waitcnt vmcnt(8) lgkmcnt(1)
	v_mul_f64 v[227:228], v[2:3], v[12:13]
	v_mul_f64 v[12:13], v[4:5], v[12:13]
	v_fma_f64 v[217:218], v[217:218], v[6:7], v[219:220]
	v_fma_f64 v[215:216], v[215:216], v[6:7], -v[8:9]
	scratch_load_b128 v[6:9], off, off offset:368
	v_add_f64 v[156:157], v[156:157], v[225:226]
	v_add_f64 v[219:220], v[221:222], v[223:224]
	s_waitcnt vmcnt(8) lgkmcnt(0)
	v_mul_f64 v[221:222], v[163:164], v[16:17]
	v_mul_f64 v[16:17], v[165:166], v[16:17]
	v_fma_f64 v[223:224], v[4:5], v[10:11], v[227:228]
	v_fma_f64 v[225:226], v[2:3], v[10:11], -v[12:13]
	ds_load_b128 v[2:5], v1 offset:1088
	scratch_load_b128 v[10:13], off, off offset:384
	v_add_f64 v[156:157], v[156:157], v[215:216]
	v_add_f64 v[219:220], v[219:220], v[217:218]
	ds_load_b128 v[215:218], v1 offset:1104
	s_waitcnt vmcnt(8) lgkmcnt(1)
	v_mul_f64 v[227:228], v[2:3], v[20:21]
	v_mul_f64 v[20:21], v[4:5], v[20:21]
	v_fma_f64 v[165:166], v[165:166], v[14:15], v[221:222]
	v_fma_f64 v[163:164], v[163:164], v[14:15], -v[16:17]
	scratch_load_b128 v[14:17], off, off offset:400
	s_waitcnt vmcnt(8) lgkmcnt(0)
	v_mul_f64 v[221:222], v[215:216], v[24:25]
	v_mul_f64 v[24:25], v[217:218], v[24:25]
	v_add_f64 v[156:157], v[156:157], v[225:226]
	v_add_f64 v[219:220], v[219:220], v[223:224]
	v_fma_f64 v[223:224], v[4:5], v[18:19], v[227:228]
	v_fma_f64 v[225:226], v[2:3], v[18:19], -v[20:21]
	ds_load_b128 v[2:5], v1 offset:1120
	scratch_load_b128 v[18:21], off, off offset:416
	v_fma_f64 v[217:218], v[217:218], v[22:23], v[221:222]
	v_fma_f64 v[215:216], v[215:216], v[22:23], -v[24:25]
	scratch_load_b128 v[22:25], off, off offset:432
	v_add_f64 v[156:157], v[156:157], v[163:164]
	v_add_f64 v[219:220], v[219:220], v[165:166]
	ds_load_b128 v[163:166], v1 offset:1136
	s_waitcnt vmcnt(9) lgkmcnt(1)
	v_mul_f64 v[227:228], v[2:3], v[28:29]
	v_mul_f64 v[28:29], v[4:5], v[28:29]
	s_waitcnt vmcnt(8) lgkmcnt(0)
	v_mul_f64 v[221:222], v[163:164], v[32:33]
	v_mul_f64 v[32:33], v[165:166], v[32:33]
	v_add_f64 v[156:157], v[156:157], v[225:226]
	v_add_f64 v[219:220], v[219:220], v[223:224]
	v_fma_f64 v[223:224], v[4:5], v[26:27], v[227:228]
	v_fma_f64 v[225:226], v[2:3], v[26:27], -v[28:29]
	ds_load_b128 v[2:5], v1 offset:1152
	scratch_load_b128 v[26:29], off, off offset:448
	v_fma_f64 v[165:166], v[165:166], v[30:31], v[221:222]
	v_fma_f64 v[163:164], v[163:164], v[30:31], -v[32:33]
	scratch_load_b128 v[30:33], off, off offset:464
	v_add_f64 v[156:157], v[156:157], v[215:216]
	v_add_f64 v[219:220], v[219:220], v[217:218]
	ds_load_b128 v[215:218], v1 offset:1168
	s_waitcnt vmcnt(9) lgkmcnt(1)
	v_mul_f64 v[227:228], v[2:3], v[36:37]
	v_mul_f64 v[36:37], v[4:5], v[36:37]
	;; [unrolled: 18-line block ×13, first 2 shown]
	s_waitcnt vmcnt(8) lgkmcnt(0)
	v_mul_f64 v[221:222], v[163:164], v[8:9]
	v_mul_f64 v[8:9], v[165:166], v[8:9]
	v_add_f64 v[156:157], v[156:157], v[225:226]
	v_add_f64 v[219:220], v[219:220], v[223:224]
	v_fma_f64 v[223:224], v[4:5], v[42:43], v[227:228]
	v_fma_f64 v[225:226], v[2:3], v[42:43], -v[44:45]
	ds_load_b128 v[2:5], v1 offset:1536
	ds_load_b128 v[42:45], v1 offset:1552
	v_fma_f64 v[165:166], v[165:166], v[6:7], v[221:222]
	v_fma_f64 v[6:7], v[163:164], v[6:7], -v[8:9]
	v_add_f64 v[156:157], v[156:157], v[215:216]
	v_add_f64 v[215:216], v[219:220], v[217:218]
	s_waitcnt vmcnt(7) lgkmcnt(1)
	v_mul_f64 v[217:218], v[2:3], v[12:13]
	v_mul_f64 v[12:13], v[4:5], v[12:13]
	s_waitcnt vmcnt(6) lgkmcnt(0)
	v_mul_f64 v[163:164], v[42:43], v[16:17]
	v_mul_f64 v[16:17], v[44:45], v[16:17]
	v_add_f64 v[8:9], v[156:157], v[225:226]
	v_add_f64 v[156:157], v[215:216], v[223:224]
	v_fma_f64 v[215:216], v[4:5], v[10:11], v[217:218]
	v_fma_f64 v[10:11], v[2:3], v[10:11], -v[12:13]
	v_fma_f64 v[44:45], v[44:45], v[14:15], v[163:164]
	v_fma_f64 v[14:15], v[42:43], v[14:15], -v[16:17]
	v_add_f64 v[12:13], v[8:9], v[6:7]
	v_add_f64 v[156:157], v[156:157], v[165:166]
	ds_load_b128 v[2:5], v1 offset:1568
	ds_load_b128 v[6:9], v1 offset:1584
	s_waitcnt vmcnt(5) lgkmcnt(1)
	v_mul_f64 v[165:166], v[2:3], v[20:21]
	v_mul_f64 v[20:21], v[4:5], v[20:21]
	s_waitcnt vmcnt(4) lgkmcnt(0)
	v_mul_f64 v[16:17], v[6:7], v[24:25]
	v_mul_f64 v[24:25], v[8:9], v[24:25]
	v_add_f64 v[10:11], v[12:13], v[10:11]
	v_add_f64 v[12:13], v[156:157], v[215:216]
	v_fma_f64 v[42:43], v[4:5], v[18:19], v[165:166]
	v_fma_f64 v[18:19], v[2:3], v[18:19], -v[20:21]
	v_fma_f64 v[8:9], v[8:9], v[22:23], v[16:17]
	v_fma_f64 v[6:7], v[6:7], v[22:23], -v[24:25]
	v_add_f64 v[14:15], v[10:11], v[14:15]
	v_add_f64 v[20:21], v[12:13], v[44:45]
	ds_load_b128 v[2:5], v1 offset:1600
	ds_load_b128 v[10:13], v1 offset:1616
	s_waitcnt vmcnt(3) lgkmcnt(1)
	v_mul_f64 v[44:45], v[2:3], v[28:29]
	v_mul_f64 v[28:29], v[4:5], v[28:29]
	v_add_f64 v[14:15], v[14:15], v[18:19]
	v_add_f64 v[16:17], v[20:21], v[42:43]
	s_waitcnt vmcnt(2) lgkmcnt(0)
	v_mul_f64 v[18:19], v[10:11], v[32:33]
	v_mul_f64 v[20:21], v[12:13], v[32:33]
	v_fma_f64 v[22:23], v[4:5], v[26:27], v[44:45]
	v_fma_f64 v[24:25], v[2:3], v[26:27], -v[28:29]
	v_add_f64 v[14:15], v[14:15], v[6:7]
	v_add_f64 v[16:17], v[16:17], v[8:9]
	ds_load_b128 v[2:5], v1 offset:1632
	ds_load_b128 v[6:9], v1 offset:1648
	v_fma_f64 v[12:13], v[12:13], v[30:31], v[18:19]
	v_fma_f64 v[10:11], v[10:11], v[30:31], -v[20:21]
	s_waitcnt vmcnt(1) lgkmcnt(1)
	v_mul_f64 v[26:27], v[2:3], v[36:37]
	v_mul_f64 v[28:29], v[4:5], v[36:37]
	s_waitcnt vmcnt(0) lgkmcnt(0)
	v_mul_f64 v[18:19], v[6:7], v[40:41]
	v_mul_f64 v[20:21], v[8:9], v[40:41]
	v_add_f64 v[14:15], v[14:15], v[24:25]
	v_add_f64 v[16:17], v[16:17], v[22:23]
	v_fma_f64 v[4:5], v[4:5], v[34:35], v[26:27]
	v_fma_f64 v[1:2], v[2:3], v[34:35], -v[28:29]
	v_fma_f64 v[8:9], v[8:9], v[38:39], v[18:19]
	v_fma_f64 v[6:7], v[6:7], v[38:39], -v[20:21]
	v_add_f64 v[10:11], v[14:15], v[10:11]
	v_add_f64 v[12:13], v[16:17], v[12:13]
	s_delay_alu instid0(VALU_DEP_2) | instskip(NEXT) | instid1(VALU_DEP_2)
	v_add_f64 v[1:2], v[10:11], v[1:2]
	v_add_f64 v[3:4], v[12:13], v[4:5]
	s_delay_alu instid0(VALU_DEP_2) | instskip(NEXT) | instid1(VALU_DEP_2)
	;; [unrolled: 3-line block ×3, first 2 shown]
	v_add_f64 v[1:2], v[152:153], -v[1:2]
	v_add_f64 v[3:4], v[154:155], -v[3:4]
	scratch_store_b128 off, v[1:4], off offset:16
	v_cmpx_ne_u32_e32 0, v150
	s_cbranch_execz .LBB51_325
; %bb.324:
	scratch_load_b128 v[1:4], off, off
	v_mov_b32_e32 v5, 0
	s_delay_alu instid0(VALU_DEP_1)
	v_mov_b32_e32 v6, v5
	v_mov_b32_e32 v7, v5
	;; [unrolled: 1-line block ×3, first 2 shown]
	scratch_store_b128 off, v[5:8], off
	s_waitcnt vmcnt(0)
	ds_store_b128 v202, v[1:4]
.LBB51_325:
	s_or_b32 exec_lo, exec_lo, s2
	s_waitcnt lgkmcnt(0)
	s_waitcnt_vscnt null, 0x0
	s_barrier
	buffer_gl0_inv
	s_clause 0x7
	scratch_load_b128 v[1:4], off, off offset:16
	scratch_load_b128 v[5:8], off, off offset:32
	scratch_load_b128 v[9:12], off, off offset:48
	scratch_load_b128 v[13:16], off, off offset:64
	scratch_load_b128 v[17:20], off, off offset:80
	scratch_load_b128 v[21:24], off, off offset:96
	scratch_load_b128 v[25:28], off, off offset:112
	scratch_load_b128 v[29:32], off, off offset:128
	v_mov_b32_e32 v41, 0
	s_and_b32 vcc_lo, exec_lo, s20
	ds_load_b128 v[37:40], v41 offset:848
	s_clause 0x1
	scratch_load_b128 v[33:36], off, off offset:144
	scratch_load_b128 v[42:45], off, off
	ds_load_b128 v[152:155], v41 offset:864
	scratch_load_b128 v[163:166], off, off offset:160
	ds_load_b128 v[215:218], v41 offset:896
	s_waitcnt vmcnt(10) lgkmcnt(2)
	v_mul_f64 v[156:157], v[39:40], v[3:4]
	v_mul_f64 v[3:4], v[37:38], v[3:4]
	s_delay_alu instid0(VALU_DEP_2) | instskip(NEXT) | instid1(VALU_DEP_2)
	v_fma_f64 v[156:157], v[37:38], v[1:2], -v[156:157]
	v_fma_f64 v[221:222], v[39:40], v[1:2], v[3:4]
	ds_load_b128 v[1:4], v41 offset:880
	s_waitcnt vmcnt(9) lgkmcnt(2)
	v_mul_f64 v[219:220], v[152:153], v[7:8]
	v_mul_f64 v[7:8], v[154:155], v[7:8]
	scratch_load_b128 v[37:40], off, off offset:176
	s_waitcnt vmcnt(9) lgkmcnt(0)
	v_mul_f64 v[223:224], v[1:2], v[11:12]
	v_mul_f64 v[11:12], v[3:4], v[11:12]
	v_add_f64 v[156:157], v[156:157], 0
	v_fma_f64 v[154:155], v[154:155], v[5:6], v[219:220]
	v_fma_f64 v[152:153], v[152:153], v[5:6], -v[7:8]
	v_add_f64 v[219:220], v[221:222], 0
	scratch_load_b128 v[5:8], off, off offset:192
	v_fma_f64 v[223:224], v[3:4], v[9:10], v[223:224]
	v_fma_f64 v[225:226], v[1:2], v[9:10], -v[11:12]
	scratch_load_b128 v[9:12], off, off offset:208
	ds_load_b128 v[1:4], v41 offset:912
	s_waitcnt vmcnt(10)
	v_mul_f64 v[221:222], v[215:216], v[15:16]
	v_mul_f64 v[15:16], v[217:218], v[15:16]
	v_add_f64 v[156:157], v[156:157], v[152:153]
	v_add_f64 v[219:220], v[219:220], v[154:155]
	ds_load_b128 v[152:155], v41 offset:928
	s_waitcnt vmcnt(9) lgkmcnt(1)
	v_mul_f64 v[227:228], v[1:2], v[19:20]
	v_mul_f64 v[19:20], v[3:4], v[19:20]
	v_fma_f64 v[217:218], v[217:218], v[13:14], v[221:222]
	v_fma_f64 v[215:216], v[215:216], v[13:14], -v[15:16]
	scratch_load_b128 v[13:16], off, off offset:224
	v_add_f64 v[156:157], v[156:157], v[225:226]
	v_add_f64 v[219:220], v[219:220], v[223:224]
	v_fma_f64 v[223:224], v[3:4], v[17:18], v[227:228]
	v_fma_f64 v[225:226], v[1:2], v[17:18], -v[19:20]
	scratch_load_b128 v[17:20], off, off offset:240
	ds_load_b128 v[1:4], v41 offset:944
	s_waitcnt vmcnt(10) lgkmcnt(1)
	v_mul_f64 v[221:222], v[152:153], v[23:24]
	v_mul_f64 v[23:24], v[154:155], v[23:24]
	s_waitcnt vmcnt(9) lgkmcnt(0)
	v_mul_f64 v[227:228], v[1:2], v[27:28]
	v_mul_f64 v[27:28], v[3:4], v[27:28]
	v_add_f64 v[156:157], v[156:157], v[215:216]
	v_add_f64 v[219:220], v[219:220], v[217:218]
	ds_load_b128 v[215:218], v41 offset:960
	v_fma_f64 v[154:155], v[154:155], v[21:22], v[221:222]
	v_fma_f64 v[152:153], v[152:153], v[21:22], -v[23:24]
	scratch_load_b128 v[21:24], off, off offset:256
	v_add_f64 v[156:157], v[156:157], v[225:226]
	v_add_f64 v[219:220], v[219:220], v[223:224]
	v_fma_f64 v[223:224], v[3:4], v[25:26], v[227:228]
	v_fma_f64 v[225:226], v[1:2], v[25:26], -v[27:28]
	scratch_load_b128 v[25:28], off, off offset:272
	ds_load_b128 v[1:4], v41 offset:976
	s_waitcnt vmcnt(10) lgkmcnt(1)
	v_mul_f64 v[221:222], v[215:216], v[31:32]
	v_mul_f64 v[31:32], v[217:218], v[31:32]
	s_waitcnt vmcnt(9) lgkmcnt(0)
	v_mul_f64 v[227:228], v[1:2], v[35:36]
	v_mul_f64 v[35:36], v[3:4], v[35:36]
	v_add_f64 v[156:157], v[156:157], v[152:153]
	v_add_f64 v[219:220], v[219:220], v[154:155]
	ds_load_b128 v[152:155], v41 offset:992
	v_fma_f64 v[217:218], v[217:218], v[29:30], v[221:222]
	v_fma_f64 v[215:216], v[215:216], v[29:30], -v[31:32]
	scratch_load_b128 v[29:32], off, off offset:288
	v_add_f64 v[156:157], v[156:157], v[225:226]
	v_add_f64 v[219:220], v[219:220], v[223:224]
	v_fma_f64 v[223:224], v[3:4], v[33:34], v[227:228]
	v_fma_f64 v[225:226], v[1:2], v[33:34], -v[35:36]
	scratch_load_b128 v[33:36], off, off offset:304
	ds_load_b128 v[1:4], v41 offset:1008
	s_waitcnt vmcnt(9) lgkmcnt(1)
	v_mul_f64 v[221:222], v[152:153], v[165:166]
	v_mul_f64 v[165:166], v[154:155], v[165:166]
	v_add_f64 v[156:157], v[156:157], v[215:216]
	v_add_f64 v[219:220], v[219:220], v[217:218]
	ds_load_b128 v[215:218], v41 offset:1024
	v_fma_f64 v[221:222], v[154:155], v[163:164], v[221:222]
	v_fma_f64 v[163:164], v[152:153], v[163:164], -v[165:166]
	scratch_load_b128 v[152:155], off, off offset:320
	s_waitcnt vmcnt(9) lgkmcnt(1)
	v_mul_f64 v[227:228], v[1:2], v[39:40]
	v_mul_f64 v[39:40], v[3:4], v[39:40]
	v_add_f64 v[156:157], v[156:157], v[225:226]
	v_add_f64 v[165:166], v[219:220], v[223:224]
	s_delay_alu instid0(VALU_DEP_4) | instskip(NEXT) | instid1(VALU_DEP_4)
	v_fma_f64 v[223:224], v[3:4], v[37:38], v[227:228]
	v_fma_f64 v[225:226], v[1:2], v[37:38], -v[39:40]
	scratch_load_b128 v[37:40], off, off offset:336
	ds_load_b128 v[1:4], v41 offset:1040
	s_waitcnt vmcnt(9) lgkmcnt(1)
	v_mul_f64 v[219:220], v[215:216], v[7:8]
	v_mul_f64 v[7:8], v[217:218], v[7:8]
	v_add_f64 v[156:157], v[156:157], v[163:164]
	v_add_f64 v[221:222], v[165:166], v[221:222]
	s_waitcnt vmcnt(8) lgkmcnt(0)
	v_mul_f64 v[227:228], v[1:2], v[11:12]
	v_mul_f64 v[11:12], v[3:4], v[11:12]
	ds_load_b128 v[163:166], v41 offset:1056
	v_fma_f64 v[217:218], v[217:218], v[5:6], v[219:220]
	v_fma_f64 v[215:216], v[215:216], v[5:6], -v[7:8]
	scratch_load_b128 v[5:8], off, off offset:352
	v_add_f64 v[156:157], v[156:157], v[225:226]
	v_add_f64 v[219:220], v[221:222], v[223:224]
	v_fma_f64 v[223:224], v[3:4], v[9:10], v[227:228]
	v_fma_f64 v[225:226], v[1:2], v[9:10], -v[11:12]
	scratch_load_b128 v[9:12], off, off offset:368
	ds_load_b128 v[1:4], v41 offset:1072
	s_waitcnt vmcnt(9) lgkmcnt(1)
	v_mul_f64 v[221:222], v[163:164], v[15:16]
	v_mul_f64 v[15:16], v[165:166], v[15:16]
	s_waitcnt vmcnt(8) lgkmcnt(0)
	v_mul_f64 v[227:228], v[1:2], v[19:20]
	v_mul_f64 v[19:20], v[3:4], v[19:20]
	v_add_f64 v[156:157], v[156:157], v[215:216]
	v_add_f64 v[219:220], v[219:220], v[217:218]
	ds_load_b128 v[215:218], v41 offset:1088
	v_fma_f64 v[165:166], v[165:166], v[13:14], v[221:222]
	v_fma_f64 v[163:164], v[163:164], v[13:14], -v[15:16]
	scratch_load_b128 v[13:16], off, off offset:384
	v_add_f64 v[156:157], v[156:157], v[225:226]
	v_add_f64 v[219:220], v[219:220], v[223:224]
	v_fma_f64 v[223:224], v[3:4], v[17:18], v[227:228]
	v_fma_f64 v[225:226], v[1:2], v[17:18], -v[19:20]
	scratch_load_b128 v[17:20], off, off offset:400
	ds_load_b128 v[1:4], v41 offset:1104
	s_waitcnt vmcnt(9) lgkmcnt(1)
	v_mul_f64 v[221:222], v[215:216], v[23:24]
	v_mul_f64 v[23:24], v[217:218], v[23:24]
	s_waitcnt vmcnt(8) lgkmcnt(0)
	v_mul_f64 v[227:228], v[1:2], v[27:28]
	v_mul_f64 v[27:28], v[3:4], v[27:28]
	v_add_f64 v[156:157], v[156:157], v[163:164]
	v_add_f64 v[219:220], v[219:220], v[165:166]
	;; [unrolled: 18-line block ×3, first 2 shown]
	ds_load_b128 v[215:218], v41 offset:1152
	v_fma_f64 v[165:166], v[165:166], v[29:30], v[221:222]
	v_fma_f64 v[163:164], v[163:164], v[29:30], -v[31:32]
	scratch_load_b128 v[29:32], off, off offset:448
	v_add_f64 v[156:157], v[156:157], v[225:226]
	v_add_f64 v[219:220], v[219:220], v[223:224]
	v_fma_f64 v[225:226], v[3:4], v[33:34], v[227:228]
	v_fma_f64 v[227:228], v[1:2], v[33:34], -v[35:36]
	scratch_load_b128 v[33:36], off, off offset:464
	ds_load_b128 v[1:4], v41 offset:1168
	s_waitcnt vmcnt(9) lgkmcnt(1)
	v_mul_f64 v[221:222], v[215:216], v[154:155]
	v_mul_f64 v[223:224], v[217:218], v[154:155]
	v_add_f64 v[163:164], v[156:157], v[163:164]
	v_add_f64 v[165:166], v[219:220], v[165:166]
	s_waitcnt vmcnt(8) lgkmcnt(0)
	v_mul_f64 v[219:220], v[1:2], v[39:40]
	v_mul_f64 v[39:40], v[3:4], v[39:40]
	ds_load_b128 v[154:157], v41 offset:1184
	v_fma_f64 v[217:218], v[217:218], v[152:153], v[221:222]
	v_fma_f64 v[152:153], v[215:216], v[152:153], -v[223:224]
	v_add_f64 v[215:216], v[163:164], v[227:228]
	v_add_f64 v[221:222], v[165:166], v[225:226]
	scratch_load_b128 v[163:166], off, off offset:480
	v_fma_f64 v[219:220], v[3:4], v[37:38], v[219:220]
	v_fma_f64 v[225:226], v[1:2], v[37:38], -v[39:40]
	scratch_load_b128 v[37:40], off, off offset:496
	ds_load_b128 v[1:4], v41 offset:1200
	s_waitcnt vmcnt(9) lgkmcnt(1)
	v_mul_f64 v[223:224], v[154:155], v[7:8]
	v_mul_f64 v[7:8], v[156:157], v[7:8]
	s_waitcnt vmcnt(8) lgkmcnt(0)
	v_mul_f64 v[227:228], v[1:2], v[11:12]
	v_mul_f64 v[11:12], v[3:4], v[11:12]
	v_add_f64 v[152:153], v[215:216], v[152:153]
	v_add_f64 v[221:222], v[221:222], v[217:218]
	ds_load_b128 v[215:218], v41 offset:1216
	v_fma_f64 v[156:157], v[156:157], v[5:6], v[223:224]
	v_fma_f64 v[154:155], v[154:155], v[5:6], -v[7:8]
	scratch_load_b128 v[5:8], off, off offset:512
	v_fma_f64 v[223:224], v[3:4], v[9:10], v[227:228]
	v_add_f64 v[152:153], v[152:153], v[225:226]
	v_add_f64 v[219:220], v[221:222], v[219:220]
	v_fma_f64 v[225:226], v[1:2], v[9:10], -v[11:12]
	scratch_load_b128 v[9:12], off, off offset:528
	ds_load_b128 v[1:4], v41 offset:1232
	s_waitcnt vmcnt(9) lgkmcnt(1)
	v_mul_f64 v[221:222], v[215:216], v[15:16]
	v_mul_f64 v[15:16], v[217:218], v[15:16]
	v_add_f64 v[227:228], v[152:153], v[154:155]
	v_add_f64 v[156:157], v[219:220], v[156:157]
	s_waitcnt vmcnt(8) lgkmcnt(0)
	v_mul_f64 v[219:220], v[1:2], v[19:20]
	v_mul_f64 v[19:20], v[3:4], v[19:20]
	ds_load_b128 v[152:155], v41 offset:1248
	v_fma_f64 v[217:218], v[217:218], v[13:14], v[221:222]
	v_fma_f64 v[215:216], v[215:216], v[13:14], -v[15:16]
	scratch_load_b128 v[13:16], off, off offset:544
	v_add_f64 v[221:222], v[227:228], v[225:226]
	v_add_f64 v[156:157], v[156:157], v[223:224]
	v_fma_f64 v[219:220], v[3:4], v[17:18], v[219:220]
	v_fma_f64 v[225:226], v[1:2], v[17:18], -v[19:20]
	scratch_load_b128 v[17:20], off, off offset:560
	ds_load_b128 v[1:4], v41 offset:1264
	s_waitcnt vmcnt(9) lgkmcnt(1)
	v_mul_f64 v[223:224], v[152:153], v[23:24]
	v_mul_f64 v[23:24], v[154:155], v[23:24]
	s_waitcnt vmcnt(8) lgkmcnt(0)
	v_mul_f64 v[227:228], v[1:2], v[27:28]
	v_mul_f64 v[27:28], v[3:4], v[27:28]
	v_add_f64 v[221:222], v[221:222], v[215:216]
	v_add_f64 v[156:157], v[156:157], v[217:218]
	ds_load_b128 v[215:218], v41 offset:1280
	v_fma_f64 v[154:155], v[154:155], v[21:22], v[223:224]
	v_fma_f64 v[152:153], v[152:153], v[21:22], -v[23:24]
	scratch_load_b128 v[21:24], off, off offset:576
	v_fma_f64 v[223:224], v[3:4], v[25:26], v[227:228]
	v_add_f64 v[221:222], v[221:222], v[225:226]
	v_add_f64 v[156:157], v[156:157], v[219:220]
	v_fma_f64 v[225:226], v[1:2], v[25:26], -v[27:28]
	scratch_load_b128 v[25:28], off, off offset:592
	ds_load_b128 v[1:4], v41 offset:1296
	s_waitcnt vmcnt(9) lgkmcnt(1)
	v_mul_f64 v[219:220], v[215:216], v[31:32]
	v_mul_f64 v[31:32], v[217:218], v[31:32]
	s_waitcnt vmcnt(8) lgkmcnt(0)
	v_mul_f64 v[227:228], v[1:2], v[35:36]
	v_mul_f64 v[35:36], v[3:4], v[35:36]
	v_add_f64 v[221:222], v[221:222], v[152:153]
	v_add_f64 v[156:157], v[156:157], v[154:155]
	ds_load_b128 v[152:155], v41 offset:1312
	v_fma_f64 v[217:218], v[217:218], v[29:30], v[219:220]
	v_fma_f64 v[215:216], v[215:216], v[29:30], -v[31:32]
	scratch_load_b128 v[29:32], off, off offset:608
	v_add_f64 v[219:220], v[221:222], v[225:226]
	v_add_f64 v[156:157], v[156:157], v[223:224]
	v_fma_f64 v[223:224], v[3:4], v[33:34], v[227:228]
	v_fma_f64 v[225:226], v[1:2], v[33:34], -v[35:36]
	scratch_load_b128 v[33:36], off, off offset:624
	ds_load_b128 v[1:4], v41 offset:1328
	s_waitcnt vmcnt(9) lgkmcnt(1)
	v_mul_f64 v[221:222], v[152:153], v[165:166]
	v_mul_f64 v[165:166], v[154:155], v[165:166]
	s_waitcnt vmcnt(8) lgkmcnt(0)
	v_mul_f64 v[227:228], v[1:2], v[39:40]
	v_mul_f64 v[39:40], v[3:4], v[39:40]
	v_add_f64 v[219:220], v[219:220], v[215:216]
	v_add_f64 v[156:157], v[156:157], v[217:218]
	ds_load_b128 v[215:218], v41 offset:1344
	v_fma_f64 v[221:222], v[154:155], v[163:164], v[221:222]
	v_fma_f64 v[163:164], v[152:153], v[163:164], -v[165:166]
	scratch_load_b128 v[152:155], off, off offset:640
	v_add_f64 v[165:166], v[219:220], v[225:226]
	v_add_f64 v[156:157], v[156:157], v[223:224]
	v_fma_f64 v[223:224], v[3:4], v[37:38], v[227:228]
	v_fma_f64 v[225:226], v[1:2], v[37:38], -v[39:40]
	scratch_load_b128 v[37:40], off, off offset:656
	ds_load_b128 v[1:4], v41 offset:1360
	s_waitcnt vmcnt(9) lgkmcnt(1)
	v_mul_f64 v[219:220], v[215:216], v[7:8]
	v_mul_f64 v[7:8], v[217:218], v[7:8]
	v_add_f64 v[227:228], v[165:166], v[163:164]
	v_add_f64 v[156:157], v[156:157], v[221:222]
	s_waitcnt vmcnt(8) lgkmcnt(0)
	v_mul_f64 v[221:222], v[1:2], v[11:12]
	v_mul_f64 v[11:12], v[3:4], v[11:12]
	ds_load_b128 v[163:166], v41 offset:1376
	v_fma_f64 v[217:218], v[217:218], v[5:6], v[219:220]
	v_fma_f64 v[215:216], v[215:216], v[5:6], -v[7:8]
	scratch_load_b128 v[5:8], off, off offset:672
	v_add_f64 v[219:220], v[227:228], v[225:226]
	v_add_f64 v[156:157], v[156:157], v[223:224]
	v_fma_f64 v[221:222], v[3:4], v[9:10], v[221:222]
	v_fma_f64 v[225:226], v[1:2], v[9:10], -v[11:12]
	scratch_load_b128 v[9:12], off, off offset:688
	ds_load_b128 v[1:4], v41 offset:1392
	s_waitcnt vmcnt(9) lgkmcnt(1)
	v_mul_f64 v[223:224], v[163:164], v[15:16]
	v_mul_f64 v[15:16], v[165:166], v[15:16]
	s_waitcnt vmcnt(8) lgkmcnt(0)
	v_mul_f64 v[227:228], v[1:2], v[19:20]
	v_mul_f64 v[19:20], v[3:4], v[19:20]
	v_add_f64 v[219:220], v[219:220], v[215:216]
	v_add_f64 v[156:157], v[156:157], v[217:218]
	ds_load_b128 v[215:218], v41 offset:1408
	v_fma_f64 v[165:166], v[165:166], v[13:14], v[223:224]
	v_fma_f64 v[163:164], v[163:164], v[13:14], -v[15:16]
	scratch_load_b128 v[13:16], off, off offset:704
	v_fma_f64 v[223:224], v[3:4], v[17:18], v[227:228]
	v_add_f64 v[219:220], v[219:220], v[225:226]
	v_add_f64 v[156:157], v[156:157], v[221:222]
	v_fma_f64 v[225:226], v[1:2], v[17:18], -v[19:20]
	scratch_load_b128 v[17:20], off, off offset:720
	ds_load_b128 v[1:4], v41 offset:1424
	s_waitcnt vmcnt(9) lgkmcnt(1)
	v_mul_f64 v[221:222], v[215:216], v[23:24]
	v_mul_f64 v[23:24], v[217:218], v[23:24]
	s_waitcnt vmcnt(8) lgkmcnt(0)
	v_mul_f64 v[227:228], v[1:2], v[27:28]
	v_mul_f64 v[27:28], v[3:4], v[27:28]
	v_add_f64 v[219:220], v[219:220], v[163:164]
	v_add_f64 v[156:157], v[156:157], v[165:166]
	ds_load_b128 v[163:166], v41 offset:1440
	v_fma_f64 v[217:218], v[217:218], v[21:22], v[221:222]
	v_fma_f64 v[215:216], v[215:216], v[21:22], -v[23:24]
	scratch_load_b128 v[21:24], off, off offset:736
	v_add_f64 v[219:220], v[219:220], v[225:226]
	v_add_f64 v[156:157], v[156:157], v[223:224]
	v_fma_f64 v[223:224], v[3:4], v[25:26], v[227:228]
	v_fma_f64 v[225:226], v[1:2], v[25:26], -v[27:28]
	scratch_load_b128 v[25:28], off, off offset:752
	ds_load_b128 v[1:4], v41 offset:1456
	s_waitcnt vmcnt(9) lgkmcnt(1)
	v_mul_f64 v[221:222], v[163:164], v[31:32]
	v_mul_f64 v[31:32], v[165:166], v[31:32]
	s_waitcnt vmcnt(8) lgkmcnt(0)
	v_mul_f64 v[227:228], v[1:2], v[35:36]
	v_mul_f64 v[35:36], v[3:4], v[35:36]
	v_add_f64 v[219:220], v[219:220], v[215:216]
	v_add_f64 v[156:157], v[156:157], v[217:218]
	ds_load_b128 v[215:218], v41 offset:1472
	v_fma_f64 v[165:166], v[165:166], v[29:30], v[221:222]
	v_fma_f64 v[163:164], v[163:164], v[29:30], -v[31:32]
	scratch_load_b128 v[29:32], off, off offset:768
	v_add_f64 v[219:220], v[219:220], v[225:226]
	v_add_f64 v[156:157], v[156:157], v[223:224]
	v_fma_f64 v[225:226], v[3:4], v[33:34], v[227:228]
	v_fma_f64 v[227:228], v[1:2], v[33:34], -v[35:36]
	scratch_load_b128 v[33:36], off, off offset:784
	ds_load_b128 v[1:4], v41 offset:1488
	s_waitcnt vmcnt(9) lgkmcnt(1)
	v_mul_f64 v[221:222], v[215:216], v[154:155]
	v_mul_f64 v[223:224], v[217:218], v[154:155]
	v_add_f64 v[163:164], v[219:220], v[163:164]
	v_add_f64 v[165:166], v[156:157], v[165:166]
	s_waitcnt vmcnt(8) lgkmcnt(0)
	v_mul_f64 v[219:220], v[1:2], v[39:40]
	v_mul_f64 v[39:40], v[3:4], v[39:40]
	ds_load_b128 v[154:157], v41 offset:1504
	v_fma_f64 v[217:218], v[217:218], v[152:153], v[221:222]
	v_fma_f64 v[152:153], v[215:216], v[152:153], -v[223:224]
	v_add_f64 v[215:216], v[163:164], v[227:228]
	v_add_f64 v[221:222], v[165:166], v[225:226]
	scratch_load_b128 v[163:166], off, off offset:800
	v_fma_f64 v[219:220], v[3:4], v[37:38], v[219:220]
	v_fma_f64 v[225:226], v[1:2], v[37:38], -v[39:40]
	scratch_load_b128 v[37:40], off, off offset:816
	ds_load_b128 v[1:4], v41 offset:1520
	s_waitcnt vmcnt(9) lgkmcnt(1)
	v_mul_f64 v[223:224], v[154:155], v[7:8]
	v_mul_f64 v[7:8], v[156:157], v[7:8]
	s_waitcnt vmcnt(8) lgkmcnt(0)
	v_mul_f64 v[227:228], v[1:2], v[11:12]
	v_mul_f64 v[11:12], v[3:4], v[11:12]
	v_add_f64 v[152:153], v[215:216], v[152:153]
	v_add_f64 v[221:222], v[221:222], v[217:218]
	ds_load_b128 v[215:218], v41 offset:1536
	v_fma_f64 v[156:157], v[156:157], v[5:6], v[223:224]
	v_fma_f64 v[5:6], v[154:155], v[5:6], -v[7:8]
	s_waitcnt vmcnt(7) lgkmcnt(0)
	v_mul_f64 v[154:155], v[215:216], v[15:16]
	v_mul_f64 v[15:16], v[217:218], v[15:16]
	v_add_f64 v[7:8], v[152:153], v[225:226]
	v_add_f64 v[152:153], v[221:222], v[219:220]
	v_fma_f64 v[219:220], v[3:4], v[9:10], v[227:228]
	v_fma_f64 v[9:10], v[1:2], v[9:10], -v[11:12]
	v_fma_f64 v[154:155], v[217:218], v[13:14], v[154:155]
	v_fma_f64 v[13:14], v[215:216], v[13:14], -v[15:16]
	v_add_f64 v[11:12], v[7:8], v[5:6]
	v_add_f64 v[152:153], v[152:153], v[156:157]
	ds_load_b128 v[1:4], v41 offset:1552
	ds_load_b128 v[5:8], v41 offset:1568
	s_waitcnt vmcnt(6) lgkmcnt(1)
	v_mul_f64 v[156:157], v[1:2], v[19:20]
	v_mul_f64 v[19:20], v[3:4], v[19:20]
	s_waitcnt vmcnt(5) lgkmcnt(0)
	v_mul_f64 v[15:16], v[5:6], v[23:24]
	v_mul_f64 v[23:24], v[7:8], v[23:24]
	v_add_f64 v[9:10], v[11:12], v[9:10]
	v_add_f64 v[11:12], v[152:153], v[219:220]
	v_fma_f64 v[152:153], v[3:4], v[17:18], v[156:157]
	v_fma_f64 v[17:18], v[1:2], v[17:18], -v[19:20]
	v_fma_f64 v[7:8], v[7:8], v[21:22], v[15:16]
	v_fma_f64 v[5:6], v[5:6], v[21:22], -v[23:24]
	v_add_f64 v[13:14], v[9:10], v[13:14]
	v_add_f64 v[19:20], v[11:12], v[154:155]
	ds_load_b128 v[1:4], v41 offset:1584
	ds_load_b128 v[9:12], v41 offset:1600
	s_waitcnt vmcnt(4) lgkmcnt(1)
	v_mul_f64 v[154:155], v[1:2], v[27:28]
	v_mul_f64 v[27:28], v[3:4], v[27:28]
	v_add_f64 v[13:14], v[13:14], v[17:18]
	v_add_f64 v[15:16], v[19:20], v[152:153]
	s_waitcnt vmcnt(3) lgkmcnt(0)
	v_mul_f64 v[17:18], v[9:10], v[31:32]
	v_mul_f64 v[19:20], v[11:12], v[31:32]
	v_fma_f64 v[21:22], v[3:4], v[25:26], v[154:155]
	v_fma_f64 v[23:24], v[1:2], v[25:26], -v[27:28]
	v_add_f64 v[13:14], v[13:14], v[5:6]
	v_add_f64 v[15:16], v[15:16], v[7:8]
	ds_load_b128 v[1:4], v41 offset:1616
	ds_load_b128 v[5:8], v41 offset:1632
	v_fma_f64 v[11:12], v[11:12], v[29:30], v[17:18]
	v_fma_f64 v[9:10], v[9:10], v[29:30], -v[19:20]
	s_waitcnt vmcnt(2) lgkmcnt(1)
	v_mul_f64 v[25:26], v[1:2], v[35:36]
	v_mul_f64 v[27:28], v[3:4], v[35:36]
	v_add_f64 v[13:14], v[13:14], v[23:24]
	v_add_f64 v[15:16], v[15:16], v[21:22]
	s_waitcnt vmcnt(1) lgkmcnt(0)
	v_mul_f64 v[17:18], v[5:6], v[165:166]
	v_mul_f64 v[19:20], v[7:8], v[165:166]
	v_fma_f64 v[21:22], v[3:4], v[33:34], v[25:26]
	v_fma_f64 v[23:24], v[1:2], v[33:34], -v[27:28]
	ds_load_b128 v[1:4], v41 offset:1648
	v_add_f64 v[9:10], v[13:14], v[9:10]
	v_add_f64 v[11:12], v[15:16], v[11:12]
	s_waitcnt vmcnt(0) lgkmcnt(0)
	v_mul_f64 v[13:14], v[1:2], v[39:40]
	v_mul_f64 v[15:16], v[3:4], v[39:40]
	v_fma_f64 v[7:8], v[7:8], v[163:164], v[17:18]
	v_fma_f64 v[5:6], v[5:6], v[163:164], -v[19:20]
	v_add_f64 v[9:10], v[9:10], v[23:24]
	v_add_f64 v[11:12], v[11:12], v[21:22]
	v_fma_f64 v[3:4], v[3:4], v[37:38], v[13:14]
	v_fma_f64 v[1:2], v[1:2], v[37:38], -v[15:16]
	s_delay_alu instid0(VALU_DEP_4) | instskip(NEXT) | instid1(VALU_DEP_4)
	v_add_f64 v[5:6], v[9:10], v[5:6]
	v_add_f64 v[7:8], v[11:12], v[7:8]
	s_delay_alu instid0(VALU_DEP_2) | instskip(NEXT) | instid1(VALU_DEP_2)
	v_add_f64 v[1:2], v[5:6], v[1:2]
	v_add_f64 v[3:4], v[7:8], v[3:4]
	s_delay_alu instid0(VALU_DEP_2) | instskip(NEXT) | instid1(VALU_DEP_2)
	v_add_f64 v[1:2], v[42:43], -v[1:2]
	v_add_f64 v[3:4], v[44:45], -v[3:4]
	scratch_store_b128 off, v[1:4], off
	s_cbranch_vccz .LBB51_429
; %bb.326:
	v_dual_mov_b32 v1, s16 :: v_dual_mov_b32 v2, s17
	s_load_b64 s[0:1], s[0:1], 0x4
	flat_load_b32 v1, v[1:2] offset:200
	v_bfe_u32 v2, v0, 10, 10
	v_bfe_u32 v0, v0, 20, 10
	s_waitcnt lgkmcnt(0)
	s_lshr_b32 s0, s0, 16
	s_delay_alu instid0(VALU_DEP_2) | instskip(SKIP_1) | instid1(SALU_CYCLE_1)
	v_mul_u32_u24_e32 v2, s1, v2
	s_mul_i32 s0, s0, s1
	v_mul_u32_u24_e32 v3, s0, v150
	s_mov_b32 s0, exec_lo
	s_delay_alu instid0(VALU_DEP_1) | instskip(NEXT) | instid1(VALU_DEP_1)
	v_add3_u32 v0, v3, v2, v0
	v_lshl_add_u32 v0, v0, 4, 0x688
	s_waitcnt vmcnt(0)
	v_cmpx_ne_u32_e32 51, v1
	s_cbranch_execz .LBB51_328
; %bb.327:
	v_lshl_add_u32 v9, v1, 4, 0
	s_clause 0x1
	scratch_load_b128 v[1:4], v160, off
	scratch_load_b128 v[5:8], v9, off offset:-16
	s_waitcnt vmcnt(1)
	ds_store_2addr_b64 v0, v[1:2], v[3:4] offset1:1
	s_waitcnt vmcnt(0)
	s_clause 0x1
	scratch_store_b128 v160, v[5:8], off
	scratch_store_b128 v9, v[1:4], off offset:-16
.LBB51_328:
	s_or_b32 exec_lo, exec_lo, s0
	v_dual_mov_b32 v1, s16 :: v_dual_mov_b32 v2, s17
	s_mov_b32 s0, exec_lo
	flat_load_b32 v1, v[1:2] offset:196
	s_waitcnt vmcnt(0) lgkmcnt(0)
	v_cmpx_ne_u32_e32 50, v1
	s_cbranch_execz .LBB51_330
; %bb.329:
	v_lshl_add_u32 v9, v1, 4, 0
	s_clause 0x1
	scratch_load_b128 v[1:4], v162, off
	scratch_load_b128 v[5:8], v9, off offset:-16
	s_waitcnt vmcnt(1)
	ds_store_2addr_b64 v0, v[1:2], v[3:4] offset1:1
	s_waitcnt vmcnt(0)
	s_clause 0x1
	scratch_store_b128 v162, v[5:8], off
	scratch_store_b128 v9, v[1:4], off offset:-16
.LBB51_330:
	s_or_b32 exec_lo, exec_lo, s0
	v_dual_mov_b32 v1, s16 :: v_dual_mov_b32 v2, s17
	s_mov_b32 s0, exec_lo
	flat_load_b32 v1, v[1:2] offset:192
	s_waitcnt vmcnt(0) lgkmcnt(0)
	;; [unrolled: 19-line block ×49, first 2 shown]
	v_cmpx_ne_u32_e32 2, v1
	s_cbranch_execz .LBB51_426
; %bb.425:
	v_lshl_add_u32 v9, v1, 4, 0
	s_clause 0x1
	scratch_load_b128 v[1:4], v201, off
	scratch_load_b128 v[5:8], v9, off offset:-16
	s_waitcnt vmcnt(1)
	ds_store_2addr_b64 v0, v[1:2], v[3:4] offset1:1
	s_waitcnt vmcnt(0)
	s_clause 0x1
	scratch_store_b128 v201, v[5:8], off
	scratch_store_b128 v9, v[1:4], off offset:-16
.LBB51_426:
	s_or_b32 exec_lo, exec_lo, s0
	v_dual_mov_b32 v1, s16 :: v_dual_mov_b32 v2, s17
	s_mov_b32 s0, exec_lo
	flat_load_b32 v1, v[1:2]
	s_waitcnt vmcnt(0) lgkmcnt(0)
	v_cmpx_ne_u32_e32 1, v1
	s_cbranch_execz .LBB51_428
; %bb.427:
	v_lshl_add_u32 v9, v1, 4, 0
	scratch_load_b128 v[1:4], off, off
	scratch_load_b128 v[5:8], v9, off offset:-16
	s_waitcnt vmcnt(1)
	ds_store_2addr_b64 v0, v[1:2], v[3:4] offset1:1
	s_waitcnt vmcnt(0)
	scratch_store_b128 off, v[5:8], off
	scratch_store_b128 v9, v[1:4], off offset:-16
.LBB51_428:
	s_or_b32 exec_lo, exec_lo, s0
.LBB51_429:
	scratch_load_b128 v[0:3], off, off
	s_clause 0x18
	scratch_load_b128 v[4:7], v201, off
	scratch_load_b128 v[8:11], v200, off
	;; [unrolled: 1-line block ×25, first 2 shown]
	s_waitcnt vmcnt(25)
	global_store_b128 v[46:47], v[0:3], off
	s_clause 0x1
	scratch_load_b128 v[0:3], v176, off
	scratch_load_b128 v[44:47], v175, off
	s_waitcnt vmcnt(26)
	global_store_b128 v[48:49], v[4:7], off
	s_clause 0x1
	scratch_load_b128 v[4:7], v174, off
	scratch_load_b128 v[173:176], v173, off
	;; [unrolled: 5-line block ×13, first 2 shown]
	s_waitcnt vmcnt(38)
	global_store_b128 v[72:73], v[189:192], off
	s_waitcnt vmcnt(37)
	global_store_b128 v[74:75], v[193:196], off
	;; [unrolled: 2-line block ×39, first 2 shown]
	s_endpgm
	.section	.rodata,"a",@progbits
	.p2align	6, 0x0
	.amdhsa_kernel _ZN9rocsolver6v33100L18getri_kernel_smallILi52E19rocblas_complex_numIdEPS3_EEvT1_iilPiilS6_bb
		.amdhsa_group_segment_fixed_size 2696
		.amdhsa_private_segment_fixed_size 848
		.amdhsa_kernarg_size 60
		.amdhsa_user_sgpr_count 15
		.amdhsa_user_sgpr_dispatch_ptr 1
		.amdhsa_user_sgpr_queue_ptr 0
		.amdhsa_user_sgpr_kernarg_segment_ptr 1
		.amdhsa_user_sgpr_dispatch_id 0
		.amdhsa_user_sgpr_private_segment_size 0
		.amdhsa_wavefront_size32 1
		.amdhsa_uses_dynamic_stack 0
		.amdhsa_enable_private_segment 1
		.amdhsa_system_sgpr_workgroup_id_x 1
		.amdhsa_system_sgpr_workgroup_id_y 0
		.amdhsa_system_sgpr_workgroup_id_z 0
		.amdhsa_system_sgpr_workgroup_info 0
		.amdhsa_system_vgpr_workitem_id 2
		.amdhsa_next_free_vgpr 256
		.amdhsa_next_free_sgpr 58
		.amdhsa_reserve_vcc 1
		.amdhsa_float_round_mode_32 0
		.amdhsa_float_round_mode_16_64 0
		.amdhsa_float_denorm_mode_32 3
		.amdhsa_float_denorm_mode_16_64 3
		.amdhsa_dx10_clamp 1
		.amdhsa_ieee_mode 1
		.amdhsa_fp16_overflow 0
		.amdhsa_workgroup_processor_mode 1
		.amdhsa_memory_ordered 1
		.amdhsa_forward_progress 0
		.amdhsa_shared_vgpr_count 0
		.amdhsa_exception_fp_ieee_invalid_op 0
		.amdhsa_exception_fp_denorm_src 0
		.amdhsa_exception_fp_ieee_div_zero 0
		.amdhsa_exception_fp_ieee_overflow 0
		.amdhsa_exception_fp_ieee_underflow 0
		.amdhsa_exception_fp_ieee_inexact 0
		.amdhsa_exception_int_div_zero 0
	.end_amdhsa_kernel
	.section	.text._ZN9rocsolver6v33100L18getri_kernel_smallILi52E19rocblas_complex_numIdEPS3_EEvT1_iilPiilS6_bb,"axG",@progbits,_ZN9rocsolver6v33100L18getri_kernel_smallILi52E19rocblas_complex_numIdEPS3_EEvT1_iilPiilS6_bb,comdat
.Lfunc_end51:
	.size	_ZN9rocsolver6v33100L18getri_kernel_smallILi52E19rocblas_complex_numIdEPS3_EEvT1_iilPiilS6_bb, .Lfunc_end51-_ZN9rocsolver6v33100L18getri_kernel_smallILi52E19rocblas_complex_numIdEPS3_EEvT1_iilPiilS6_bb
                                        ; -- End function
	.section	.AMDGPU.csdata,"",@progbits
; Kernel info:
; codeLenInByte = 122396
; NumSgprs: 60
; NumVgprs: 256
; ScratchSize: 848
; MemoryBound: 0
; FloatMode: 240
; IeeeMode: 1
; LDSByteSize: 2696 bytes/workgroup (compile time only)
; SGPRBlocks: 7
; VGPRBlocks: 31
; NumSGPRsForWavesPerEU: 60
; NumVGPRsForWavesPerEU: 256
; Occupancy: 5
; WaveLimiterHint : 1
; COMPUTE_PGM_RSRC2:SCRATCH_EN: 1
; COMPUTE_PGM_RSRC2:USER_SGPR: 15
; COMPUTE_PGM_RSRC2:TRAP_HANDLER: 0
; COMPUTE_PGM_RSRC2:TGID_X_EN: 1
; COMPUTE_PGM_RSRC2:TGID_Y_EN: 0
; COMPUTE_PGM_RSRC2:TGID_Z_EN: 0
; COMPUTE_PGM_RSRC2:TIDIG_COMP_CNT: 2
	.section	.text._ZN9rocsolver6v33100L18getri_kernel_smallILi53E19rocblas_complex_numIdEPS3_EEvT1_iilPiilS6_bb,"axG",@progbits,_ZN9rocsolver6v33100L18getri_kernel_smallILi53E19rocblas_complex_numIdEPS3_EEvT1_iilPiilS6_bb,comdat
	.globl	_ZN9rocsolver6v33100L18getri_kernel_smallILi53E19rocblas_complex_numIdEPS3_EEvT1_iilPiilS6_bb ; -- Begin function _ZN9rocsolver6v33100L18getri_kernel_smallILi53E19rocblas_complex_numIdEPS3_EEvT1_iilPiilS6_bb
	.p2align	8
	.type	_ZN9rocsolver6v33100L18getri_kernel_smallILi53E19rocblas_complex_numIdEPS3_EEvT1_iilPiilS6_bb,@function
_ZN9rocsolver6v33100L18getri_kernel_smallILi53E19rocblas_complex_numIdEPS3_EEvT1_iilPiilS6_bb: ; @_ZN9rocsolver6v33100L18getri_kernel_smallILi53E19rocblas_complex_numIdEPS3_EEvT1_iilPiilS6_bb
; %bb.0:
	v_and_b32_e32 v152, 0x3ff, v0
	s_mov_b32 s4, exec_lo
	s_delay_alu instid0(VALU_DEP_1)
	v_cmpx_gt_u32_e32 53, v152
	s_cbranch_execz .LBB52_226
; %bb.1:
	s_mov_b32 s18, s15
	s_clause 0x2
	s_load_b32 s21, s[2:3], 0x38
	s_load_b128 s[12:15], s[2:3], 0x10
	s_load_b128 s[4:7], s[2:3], 0x28
                                        ; implicit-def: $sgpr16_sgpr17
	s_waitcnt lgkmcnt(0)
	s_bitcmp1_b32 s21, 8
	s_cselect_b32 s20, -1, 0
	s_bfe_u32 s8, s21, 0x10008
	s_ashr_i32 s19, s18, 31
	s_cmp_eq_u32 s8, 0
	s_cbranch_scc1 .LBB52_3
; %bb.2:
	s_load_b32 s8, s[2:3], 0x20
	s_mul_i32 s5, s18, s5
	s_mul_hi_u32 s9, s18, s4
	s_mul_i32 s10, s19, s4
	s_add_i32 s5, s9, s5
	s_mul_i32 s4, s18, s4
	s_add_i32 s5, s5, s10
	s_delay_alu instid0(SALU_CYCLE_1)
	s_lshl_b64 s[4:5], s[4:5], 2
	s_waitcnt lgkmcnt(0)
	s_ashr_i32 s9, s8, 31
	s_add_u32 s10, s14, s4
	s_addc_u32 s11, s15, s5
	s_lshl_b64 s[4:5], s[8:9], 2
	s_delay_alu instid0(SALU_CYCLE_1)
	s_add_u32 s16, s10, s4
	s_addc_u32 s17, s11, s5
.LBB52_3:
	s_load_b128 s[8:11], s[2:3], 0x0
	s_mul_i32 s2, s18, s13
	s_mul_hi_u32 s3, s18, s12
	s_mul_i32 s4, s19, s12
	s_add_i32 s3, s3, s2
	s_mul_i32 s2, s18, s12
	s_add_i32 s3, s3, s4
	v_lshlrev_b32_e32 v13, 4, v152
	s_lshl_b64 s[2:3], s[2:3], 4
	s_movk_i32 s12, 0xd0
	s_movk_i32 s13, 0xe0
	;; [unrolled: 1-line block ×11, first 2 shown]
	s_waitcnt lgkmcnt(0)
	v_add3_u32 v5, s11, s11, v152
	s_ashr_i32 s5, s10, 31
	s_mov_b32 s4, s10
	s_add_u32 s8, s8, s2
	s_addc_u32 s9, s9, s3
	v_add_nc_u32_e32 v7, s11, v5
	s_lshl_b64 s[2:3], s[4:5], 4
	v_ashrrev_i32_e32 v6, 31, v5
	s_add_u32 s2, s8, s2
	s_addc_u32 s3, s9, s3
	v_add_co_u32 v46, s8, s2, v13
	v_add_nc_u32_e32 v9, s11, v7
	s_mov_b32 s4, s11
	s_ashr_i32 s5, s11, 31
	v_add_co_ci_u32_e64 v47, null, s3, 0, s8
	v_ashrrev_i32_e32 v8, 31, v7
	v_lshlrev_b64 v[5:6], 4, v[5:6]
	s_lshl_b64 s[4:5], s[4:5], 4
	v_ashrrev_i32_e32 v10, 31, v9
	v_add_co_u32 v48, vcc_lo, v46, s4
	v_add_nc_u32_e32 v11, s11, v9
	v_add_co_ci_u32_e32 v49, vcc_lo, s5, v47, vcc_lo
	v_lshlrev_b64 v[7:8], 4, v[7:8]
	v_add_co_u32 v50, vcc_lo, s2, v5
	v_add_co_ci_u32_e32 v51, vcc_lo, s3, v6, vcc_lo
	v_lshlrev_b64 v[5:6], 4, v[9:10]
	v_ashrrev_i32_e32 v12, 31, v11
	v_add_nc_u32_e32 v9, s11, v11
	v_add_co_u32 v52, vcc_lo, s2, v7
	v_add_co_ci_u32_e32 v53, vcc_lo, s3, v8, vcc_lo
	s_delay_alu instid0(VALU_DEP_4) | instskip(NEXT) | instid1(VALU_DEP_4)
	v_lshlrev_b64 v[7:8], 4, v[11:12]
	v_ashrrev_i32_e32 v10, 31, v9
	v_add_nc_u32_e32 v11, s11, v9
	v_add_co_u32 v54, vcc_lo, s2, v5
	v_add_co_ci_u32_e32 v55, vcc_lo, s3, v6, vcc_lo
	s_delay_alu instid0(VALU_DEP_4) | instskip(NEXT) | instid1(VALU_DEP_4)
	;; [unrolled: 6-line block ×3, first 2 shown]
	v_lshlrev_b64 v[7:8], 4, v[11:12]
	v_add_nc_u32_e32 v11, s11, v9
	v_ashrrev_i32_e32 v10, 31, v9
	v_add_co_u32 v58, vcc_lo, s2, v5
	v_add_co_ci_u32_e32 v59, vcc_lo, s3, v6, vcc_lo
	s_delay_alu instid0(VALU_DEP_4) | instskip(SKIP_3) | instid1(VALU_DEP_4)
	v_add_nc_u32_e32 v16, s11, v11
	v_ashrrev_i32_e32 v12, 31, v11
	v_lshlrev_b64 v[14:15], 4, v[9:10]
	v_add_co_u32 v60, vcc_lo, s2, v7
	v_add_nc_u32_e32 v20, s11, v16
	v_ashrrev_i32_e32 v17, 31, v16
	v_lshlrev_b64 v[18:19], 4, v[11:12]
	global_load_b128 v[1:4], v13, s[2:3]
	v_add_co_ci_u32_e32 v61, vcc_lo, s3, v8, vcc_lo
	s_clause 0x1
	global_load_b128 v[5:8], v[48:49], off
	global_load_b128 v[9:12], v[50:51], off
	v_add_nc_u32_e32 v26, s11, v20
	v_add_co_u32 v62, vcc_lo, s2, v14
	v_lshlrev_b64 v[22:23], 4, v[16:17]
	v_add_co_ci_u32_e32 v63, vcc_lo, s3, v15, vcc_lo
	v_ashrrev_i32_e32 v21, 31, v20
	v_add_co_u32 v64, vcc_lo, s2, v18
	v_ashrrev_i32_e32 v27, 31, v26
	v_add_nc_u32_e32 v32, s11, v26
	v_add_co_ci_u32_e32 v65, vcc_lo, s3, v19, vcc_lo
	v_add_co_u32 v66, vcc_lo, s2, v22
	global_load_b128 v[14:17], v[52:53], off
	v_lshlrev_b64 v[30:31], 4, v[20:21]
	v_add_co_ci_u32_e32 v67, vcc_lo, s3, v23, vcc_lo
	s_clause 0x1
	global_load_b128 v[18:21], v[54:55], off
	global_load_b128 v[22:25], v[56:57], off
	v_lshlrev_b64 v[34:35], 4, v[26:27]
	v_add_nc_u32_e32 v36, s11, v32
	global_load_b128 v[26:29], v[58:59], off
	v_ashrrev_i32_e32 v33, 31, v32
	v_add_co_u32 v68, vcc_lo, s2, v30
	v_ashrrev_i32_e32 v37, 31, v36
	v_add_nc_u32_e32 v42, s11, v36
	v_add_co_ci_u32_e32 v69, vcc_lo, s3, v31, vcc_lo
	v_lshlrev_b64 v[38:39], 4, v[32:33]
	v_add_co_u32 v70, vcc_lo, s2, v34
	v_add_co_ci_u32_e32 v71, vcc_lo, s3, v35, vcc_lo
	v_lshlrev_b64 v[44:45], 4, v[36:37]
	s_clause 0x1
	global_load_b128 v[30:33], v[60:61], off
	global_load_b128 v[34:37], v[62:63], off
	v_add_nc_u32_e32 v76, s11, v42
	v_ashrrev_i32_e32 v43, 31, v42
	v_add_co_u32 v72, vcc_lo, s2, v38
	v_add_co_ci_u32_e32 v73, vcc_lo, s3, v39, vcc_lo
	s_delay_alu instid0(VALU_DEP_4)
	v_add_nc_u32_e32 v80, s11, v76
	v_add_co_u32 v74, vcc_lo, s2, v44
	global_load_b128 v[38:41], v[64:65], off
	v_lshlrev_b64 v[78:79], 4, v[42:43]
	v_ashrrev_i32_e32 v77, 31, v76
	v_add_co_ci_u32_e32 v75, vcc_lo, s3, v45, vcc_lo
	s_clause 0x1
	global_load_b128 v[42:45], v[66:67], off
	global_load_b128 v[142:145], v[68:69], off
	v_add_nc_u32_e32 v84, s11, v80
	global_load_b128 v[146:149], v[70:71], off
	v_lshlrev_b64 v[82:83], 4, v[76:77]
	v_ashrrev_i32_e32 v81, 31, v80
	v_add_co_u32 v76, vcc_lo, s2, v78
	v_add_nc_u32_e32 v86, s11, v84
	v_ashrrev_i32_e32 v85, 31, v84
	v_add_co_ci_u32_e32 v77, vcc_lo, s3, v79, vcc_lo
	v_lshlrev_b64 v[80:81], 4, v[80:81]
	v_add_co_u32 v78, vcc_lo, s2, v82
	v_ashrrev_i32_e32 v87, 31, v86
	v_add_co_ci_u32_e32 v79, vcc_lo, s3, v83, vcc_lo
	v_lshlrev_b64 v[82:83], 4, v[84:85]
	v_add_co_u32 v80, vcc_lo, s2, v80
	s_delay_alu instid0(VALU_DEP_4) | instskip(SKIP_1) | instid1(VALU_DEP_4)
	v_lshlrev_b64 v[84:85], 4, v[86:87]
	v_add_co_ci_u32_e32 v81, vcc_lo, s3, v81, vcc_lo
	v_add_co_u32 v82, vcc_lo, s2, v82
	v_add_co_ci_u32_e32 v83, vcc_lo, s3, v83, vcc_lo
	s_clause 0x1
	global_load_b128 v[153:156], v[72:73], off
	global_load_b128 v[157:160], v[74:75], off
	v_add_co_u32 v84, vcc_lo, s2, v84
	s_clause 0x1
	global_load_b128 v[161:164], v[76:77], off
	global_load_b128 v[165:168], v[78:79], off
	v_add_co_ci_u32_e32 v85, vcc_lo, s3, v85, vcc_lo
	s_clause 0x2
	global_load_b128 v[169:172], v[80:81], off
	global_load_b128 v[173:176], v[82:83], off
	;; [unrolled: 1-line block ×3, first 2 shown]
	v_add_nc_u32_e32 v88, s11, v86
	s_movk_i32 s4, 0x70
	s_movk_i32 s5, 0x80
	;; [unrolled: 1-line block ×4, first 2 shown]
	v_ashrrev_i32_e32 v89, 31, v88
	s_movk_i32 s10, 0xb0
	s_movk_i32 s29, 0x180
	;; [unrolled: 1-line block ×4, first 2 shown]
	v_lshlrev_b64 v[86:87], 4, v[88:89]
	v_add_nc_u32_e32 v88, s11, v88
	s_movk_i32 s33, 0x1b0
	s_movk_i32 s34, 0x1c0
	;; [unrolled: 1-line block ×4, first 2 shown]
	v_add_nc_u32_e32 v90, s11, v88
	v_ashrrev_i32_e32 v89, 31, v88
	v_add_co_u32 v86, vcc_lo, s2, v86
	v_add_co_ci_u32_e32 v87, vcc_lo, s3, v87, vcc_lo
	s_delay_alu instid0(VALU_DEP_4)
	v_add_nc_u32_e32 v92, s11, v90
	v_ashrrev_i32_e32 v91, 31, v90
	v_lshlrev_b64 v[88:89], 4, v[88:89]
	global_load_b128 v[181:184], v[86:87], off
	s_movk_i32 s37, 0x1f0
	v_add_nc_u32_e32 v94, s11, v92
	v_ashrrev_i32_e32 v93, 31, v92
	v_lshlrev_b64 v[90:91], 4, v[90:91]
	v_add_co_u32 v88, vcc_lo, s2, v88
	s_delay_alu instid0(VALU_DEP_4) | instskip(SKIP_3) | instid1(VALU_DEP_4)
	v_add_nc_u32_e32 v96, s11, v94
	v_ashrrev_i32_e32 v95, 31, v94
	v_lshlrev_b64 v[92:93], 4, v[92:93]
	v_add_co_ci_u32_e32 v89, vcc_lo, s3, v89, vcc_lo
	v_add_nc_u32_e32 v98, s11, v96
	v_ashrrev_i32_e32 v97, 31, v96
	v_add_co_u32 v90, vcc_lo, s2, v90
	v_lshlrev_b64 v[94:95], 4, v[94:95]
	s_delay_alu instid0(VALU_DEP_4) | instskip(SKIP_3) | instid1(VALU_DEP_4)
	v_add_nc_u32_e32 v100, s11, v98
	v_ashrrev_i32_e32 v99, 31, v98
	v_add_co_ci_u32_e32 v91, vcc_lo, s3, v91, vcc_lo
	v_add_co_u32 v92, vcc_lo, s2, v92
	v_add_nc_u32_e32 v102, s11, v100
	v_lshlrev_b64 v[96:97], 4, v[96:97]
	v_ashrrev_i32_e32 v101, 31, v100
	v_add_co_ci_u32_e32 v93, vcc_lo, s3, v93, vcc_lo
	s_delay_alu instid0(VALU_DEP_4) | instskip(SKIP_3) | instid1(VALU_DEP_4)
	v_add_nc_u32_e32 v104, s11, v102
	v_add_co_u32 v94, vcc_lo, s2, v94
	v_lshlrev_b64 v[98:99], 4, v[98:99]
	v_ashrrev_i32_e32 v103, 31, v102
	v_add_nc_u32_e32 v106, s11, v104
	v_add_co_ci_u32_e32 v95, vcc_lo, s3, v95, vcc_lo
	v_add_co_u32 v96, vcc_lo, s2, v96
	s_delay_alu instid0(VALU_DEP_3) | instskip(SKIP_3) | instid1(VALU_DEP_4)
	v_add_nc_u32_e32 v108, s11, v106
	v_lshlrev_b64 v[100:101], 4, v[100:101]
	v_ashrrev_i32_e32 v105, 31, v104
	v_add_co_ci_u32_e32 v97, vcc_lo, s3, v97, vcc_lo
	v_add_nc_u32_e32 v110, s11, v108
	v_add_co_u32 v98, vcc_lo, s2, v98
	v_lshlrev_b64 v[102:103], 4, v[102:103]
	v_ashrrev_i32_e32 v107, 31, v106
	s_delay_alu instid0(VALU_DEP_4) | instskip(SKIP_2) | instid1(VALU_DEP_3)
	v_add_nc_u32_e32 v112, s11, v110
	v_add_co_ci_u32_e32 v99, vcc_lo, s3, v99, vcc_lo
	v_add_co_u32 v100, vcc_lo, s2, v100
	v_add_nc_u32_e32 v114, s11, v112
	v_lshlrev_b64 v[104:105], 4, v[104:105]
	v_ashrrev_i32_e32 v109, 31, v108
	v_add_co_ci_u32_e32 v101, vcc_lo, s3, v101, vcc_lo
	s_delay_alu instid0(VALU_DEP_4) | instskip(SKIP_3) | instid1(VALU_DEP_4)
	v_add_nc_u32_e32 v116, s11, v114
	v_add_co_u32 v102, vcc_lo, s2, v102
	v_lshlrev_b64 v[106:107], 4, v[106:107]
	v_ashrrev_i32_e32 v111, 31, v110
	v_add_nc_u32_e32 v118, s11, v116
	v_add_co_ci_u32_e32 v103, vcc_lo, s3, v103, vcc_lo
	v_add_co_u32 v104, vcc_lo, s2, v104
	s_delay_alu instid0(VALU_DEP_3) | instskip(SKIP_3) | instid1(VALU_DEP_4)
	v_add_nc_u32_e32 v120, s11, v118
	v_lshlrev_b64 v[108:109], 4, v[108:109]
	v_ashrrev_i32_e32 v113, 31, v112
	v_add_co_ci_u32_e32 v105, vcc_lo, s3, v105, vcc_lo
	v_add_nc_u32_e32 v122, s11, v120
	v_add_co_u32 v106, vcc_lo, s2, v106
	v_lshlrev_b64 v[110:111], 4, v[110:111]
	v_ashrrev_i32_e32 v115, 31, v114
	s_delay_alu instid0(VALU_DEP_4)
	v_add_nc_u32_e32 v124, s11, v122
	v_add_co_ci_u32_e32 v107, vcc_lo, s3, v107, vcc_lo
	v_add_co_u32 v108, vcc_lo, s2, v108
	v_lshlrev_b64 v[112:113], 4, v[112:113]
	v_ashrrev_i32_e32 v117, 31, v116
	v_add_co_ci_u32_e32 v109, vcc_lo, s3, v109, vcc_lo
	v_add_co_u32 v110, vcc_lo, s2, v110
	v_lshlrev_b64 v[114:115], 4, v[114:115]
	v_add_nc_u32_e32 v126, s11, v124
	v_ashrrev_i32_e32 v119, 31, v118
	v_add_co_ci_u32_e32 v111, vcc_lo, s3, v111, vcc_lo
	v_add_co_u32 v112, vcc_lo, s2, v112
	v_lshlrev_b64 v[116:117], 4, v[116:117]
	v_ashrrev_i32_e32 v121, 31, v120
	v_add_co_ci_u32_e32 v113, vcc_lo, s3, v113, vcc_lo
	v_add_nc_u32_e32 v128, s11, v126
	v_add_co_u32 v114, vcc_lo, s2, v114
	v_lshlrev_b64 v[118:119], 4, v[118:119]
	v_ashrrev_i32_e32 v123, 31, v122
	v_add_co_ci_u32_e32 v115, vcc_lo, s3, v115, vcc_lo
	v_add_co_u32 v116, vcc_lo, s2, v116
	v_lshlrev_b64 v[120:121], 4, v[120:121]
	v_ashrrev_i32_e32 v125, 31, v124
	v_add_nc_u32_e32 v130, s11, v128
	v_add_co_ci_u32_e32 v117, vcc_lo, s3, v117, vcc_lo
	v_add_co_u32 v118, vcc_lo, s2, v118
	v_lshlrev_b64 v[122:123], 4, v[122:123]
	v_ashrrev_i32_e32 v127, 31, v126
	v_add_co_ci_u32_e32 v119, vcc_lo, s3, v119, vcc_lo
	v_add_co_u32 v120, vcc_lo, s2, v120
	v_lshlrev_b64 v[124:125], 4, v[124:125]
	v_add_nc_u32_e32 v132, s11, v130
	v_ashrrev_i32_e32 v129, 31, v128
	v_add_co_ci_u32_e32 v121, vcc_lo, s3, v121, vcc_lo
	v_add_co_u32 v122, vcc_lo, s2, v122
	v_lshlrev_b64 v[126:127], 4, v[126:127]
	v_ashrrev_i32_e32 v131, 31, v130
	v_add_co_ci_u32_e32 v123, vcc_lo, s3, v123, vcc_lo
	v_add_nc_u32_e32 v134, s11, v132
	v_add_co_u32 v124, vcc_lo, s2, v124
	v_lshlrev_b64 v[128:129], 4, v[128:129]
	v_ashrrev_i32_e32 v133, 31, v132
	v_add_co_ci_u32_e32 v125, vcc_lo, s3, v125, vcc_lo
	s_clause 0xf
	global_load_b128 v[185:188], v[88:89], off
	global_load_b128 v[189:192], v[90:91], off
	;; [unrolled: 1-line block ×16, first 2 shown]
	v_add_co_u32 v126, vcc_lo, s2, v126
	v_add_nc_u32_e32 v136, s11, v134
	v_add_co_ci_u32_e32 v127, vcc_lo, s3, v127, vcc_lo
	v_add_co_u32 v128, vcc_lo, s2, v128
	v_add_co_ci_u32_e32 v129, vcc_lo, s3, v129, vcc_lo
	s_delay_alu instid0(VALU_DEP_4)
	v_add_nc_u32_e32 v138, s11, v136
	v_ashrrev_i32_e32 v135, 31, v134
	v_ashrrev_i32_e32 v137, 31, v136
	s_movk_i32 s38, 0x200
	s_movk_i32 s39, 0x210
	v_ashrrev_i32_e32 v139, 31, v138
	s_movk_i32 s40, 0x220
	s_movk_i32 s41, 0x230
	;; [unrolled: 1-line block ×19, first 2 shown]
	v_add_nc_u32_e64 v204, 0, 16
	v_add_nc_u32_e64 v203, 0, 32
	;; [unrolled: 1-line block ×6, first 2 shown]
	s_bitcmp0_b32 s21, 0
	s_waitcnt vmcnt(36)
	scratch_store_b128 off, v[1:4], off
	s_waitcnt vmcnt(35)
	scratch_store_b128 off, v[5:8], off offset:16
	s_waitcnt vmcnt(34)
	scratch_store_b128 off, v[9:12], off offset:32
	v_lshlrev_b64 v[9:10], 4, v[130:131]
	v_lshlrev_b64 v[11:12], 4, v[132:133]
	s_clause 0x1
	global_load_b128 v[1:4], v[120:121], off
	global_load_b128 v[5:8], v[122:123], off
	v_add_co_u32 v130, vcc_lo, s2, v9
	v_add_co_ci_u32_e32 v131, vcc_lo, s3, v10, vcc_lo
	v_add_co_u32 v132, vcc_lo, s2, v11
	v_add_co_ci_u32_e32 v133, vcc_lo, s3, v12, vcc_lo
	s_waitcnt vmcnt(35)
	scratch_store_b128 off, v[14:17], off offset:48
	s_waitcnt vmcnt(34)
	scratch_store_b128 off, v[18:21], off offset:64
	;; [unrolled: 2-line block ×3, first 2 shown]
	s_clause 0x1
	global_load_b128 v[9:12], v[124:125], off
	global_load_b128 v[14:17], v[126:127], off
	v_lshlrev_b64 v[18:19], 4, v[134:135]
	s_waitcnt vmcnt(34)
	scratch_store_b128 off, v[26:29], off offset:96
	v_add_nc_u32_e32 v26, s11, v138
	v_lshlrev_b64 v[20:21], 4, v[136:137]
	v_lshlrev_b64 v[28:29], 4, v[138:139]
	s_waitcnt vmcnt(33)
	scratch_store_b128 off, v[30:33], off offset:112
	s_waitcnt vmcnt(32)
	scratch_store_b128 off, v[34:37], off offset:128
	v_add_nc_u32_e32 v150, s11, v26
	v_ashrrev_i32_e32 v27, 31, v26
	v_add_co_u32 v134, vcc_lo, s2, v18
	v_add_co_ci_u32_e32 v135, vcc_lo, s3, v19, vcc_lo
	s_delay_alu instid0(VALU_DEP_4)
	v_add_nc_u32_e32 v34, s11, v150
	v_add_co_u32 v136, vcc_lo, s2, v20
	v_lshlrev_b64 v[26:27], 4, v[26:27]
	v_add_co_ci_u32_e32 v137, vcc_lo, s3, v21, vcc_lo
	v_add_co_u32 v138, vcc_lo, s2, v28
	v_add_nc_u32_e32 v36, s11, v34
	v_add_co_ci_u32_e32 v139, vcc_lo, s3, v29, vcc_lo
	v_ashrrev_i32_e32 v151, 31, v150
	v_add_co_u32 v140, vcc_lo, s2, v26
	s_clause 0x1
	global_load_b128 v[18:21], v[128:129], off
	global_load_b128 v[22:25], v[130:131], off
	s_waitcnt vmcnt(33)
	scratch_store_b128 off, v[38:41], off offset:144
	s_waitcnt vmcnt(32)
	scratch_store_b128 off, v[42:45], off offset:160
	;; [unrolled: 2-line block ×3, first 2 shown]
	v_add_co_ci_u32_e32 v141, vcc_lo, s3, v27, vcc_lo
	s_clause 0x1
	global_load_b128 v[26:29], v[132:133], off
	global_load_b128 v[30:33], v[134:135], off
	s_waitcnt vmcnt(32)
	scratch_store_b128 off, v[146:149], off offset:192
	v_add_nc_u32_e32 v148, s11, v36
	v_ashrrev_i32_e32 v35, 31, v34
	v_lshlrev_b64 v[38:39], 4, v[150:151]
	v_ashrrev_i32_e32 v37, 31, v36
	s_waitcnt vmcnt(31)
	scratch_store_b128 off, v[153:156], off offset:208
	s_waitcnt vmcnt(30)
	scratch_store_b128 off, v[157:160], off offset:224
	v_add_nc_u32_e32 v150, s11, v148
	v_lshlrev_b64 v[34:35], 4, v[34:35]
	v_ashrrev_i32_e32 v149, 31, v148
	v_add_co_u32 v142, vcc_lo, s2, v38
	v_lshlrev_b64 v[36:37], 4, v[36:37]
	v_ashrrev_i32_e32 v151, 31, v150
	v_add_co_ci_u32_e32 v143, vcc_lo, s3, v39, vcc_lo
	v_add_co_u32 v144, vcc_lo, s2, v34
	v_lshlrev_b64 v[148:149], 4, v[148:149]
	v_add_co_ci_u32_e32 v145, vcc_lo, s3, v35, vcc_lo
	v_add_co_u32 v146, vcc_lo, s2, v36
	v_lshlrev_b64 v[150:151], 4, v[150:151]
	v_add_co_ci_u32_e32 v147, vcc_lo, s3, v37, vcc_lo
	v_add_co_u32 v148, vcc_lo, s2, v148
	v_add_co_ci_u32_e32 v149, vcc_lo, s3, v149, vcc_lo
	s_delay_alu instid0(VALU_DEP_4)
	v_add_co_u32 v150, vcc_lo, s2, v150
	s_clause 0x1
	global_load_b128 v[34:37], v[136:137], off
	global_load_b128 v[38:41], v[138:139], off
	s_waitcnt vmcnt(31)
	scratch_store_b128 off, v[161:164], off offset:240
	s_waitcnt vmcnt(30)
	scratch_store_b128 off, v[165:168], off offset:256
	s_clause 0x1
	global_load_b128 v[42:45], v[140:141], off
	global_load_b128 v[156:159], v[142:143], off
	v_add_co_ci_u32_e32 v151, vcc_lo, s3, v151, vcc_lo
	s_waitcnt vmcnt(31)
	scratch_store_b128 off, v[169:172], off offset:272
	global_load_b128 v[160:163], v[144:145], off
	s_waitcnt vmcnt(31)
	scratch_store_b128 off, v[173:176], off offset:288
	s_waitcnt vmcnt(30)
	scratch_store_b128 off, v[177:180], off offset:304
	s_clause 0x2
	global_load_b128 v[164:167], v[146:147], off
	global_load_b128 v[168:171], v[148:149], off
	;; [unrolled: 1-line block ×3, first 2 shown]
	s_movk_i32 s2, 0x50
	s_movk_i32 s3, 0x60
	;; [unrolled: 1-line block ×3, first 2 shown]
	s_waitcnt vmcnt(32)
	scratch_store_b128 off, v[181:184], off offset:320
	v_add_nc_u32_e64 v155, s2, 0
	v_add_nc_u32_e64 v255, s3, 0
	;; [unrolled: 1-line block ×13, first 2 shown]
	s_mov_b32 s3, -1
	s_waitcnt vmcnt(31)
	scratch_store_b128 off, v[185:188], off offset:336
	s_waitcnt vmcnt(30)
	scratch_store_b128 off, v[189:192], off offset:352
	;; [unrolled: 2-line block ×3, first 2 shown]
	v_add_nc_u32_e64 v196, s8, 0
	v_add_nc_u32_e64 v195, s9, 0
	;; [unrolled: 1-line block ×4, first 2 shown]
	s_waitcnt vmcnt(28)
	scratch_store_b128 off, v[205:208], off offset:384
	s_waitcnt vmcnt(27)
	scratch_store_b128 off, v[209:212], off offset:400
	v_add_nc_u32_e64 v192, s12, 0
	v_add_nc_u32_e64 v191, s13, 0
	;; [unrolled: 1-line block ×8, first 2 shown]
	s_waitcnt vmcnt(26)
	scratch_store_b128 off, v[213:216], off offset:416
	s_waitcnt vmcnt(25)
	scratch_store_b128 off, v[217:220], off offset:432
	;; [unrolled: 2-line block ×4, first 2 shown]
	v_add_nc_u32_e64 v216, s35, 0
	v_add_nc_u32_e64 v215, s36, 0
	;; [unrolled: 1-line block ×8, first 2 shown]
	s_waitcnt vmcnt(22)
	scratch_store_b128 off, v[229:232], off offset:480
	s_waitcnt vmcnt(21)
	scratch_store_b128 off, v[233:236], off offset:496
	v_add_nc_u32_e64 v208, s43, 0
	v_add_nc_u32_e64 v207, s44, 0
	;; [unrolled: 1-line block ×3, first 2 shown]
	s_waitcnt vmcnt(20)
	scratch_store_b128 off, v[237:240], off offset:512
	s_waitcnt vmcnt(19)
	scratch_store_b128 off, v[241:244], off offset:528
	;; [unrolled: 2-line block ×18, first 2 shown]
	v_add_nc_u32_e64 v198, s49, 0
	v_add_nc_u32_e64 v163, s50, 0
	v_add_nc_u32_e64 v162, s51, 0
	v_add_nc_u32_e64 v160, s52, 0
	v_add_nc_u32_e64 v158, s53, 0
	v_add_nc_u32_e64 v156, s54, 0
	v_add_nc_u32_e64 v161, s55, 0
	v_add_nc_u32_e64 v159, s56, 0
	v_add_nc_u32_e64 v157, s57, 0
	v_add_nc_u32_e64 v197, s58, 0
	s_waitcnt vmcnt(2)
	scratch_store_b128 off, v[164:167], off offset:800
	s_waitcnt vmcnt(1)
	scratch_store_b128 off, v[168:171], off offset:816
	;; [unrolled: 2-line block ×3, first 2 shown]
	s_cbranch_scc1 .LBB52_224
; %bb.4:
	v_cmp_eq_u32_e64 s2, 0, v152
	s_delay_alu instid0(VALU_DEP_1)
	s_and_saveexec_b32 s3, s2
	s_cbranch_execz .LBB52_6
; %bb.5:
	v_mov_b32_e32 v1, 0
	ds_store_b32 v1, v1 offset:1696
.LBB52_6:
	s_or_b32 exec_lo, exec_lo, s3
	s_waitcnt lgkmcnt(0)
	s_waitcnt_vscnt null, 0x0
	s_barrier
	buffer_gl0_inv
	scratch_load_b128 v[1:4], v13, off
	s_waitcnt vmcnt(0)
	v_cmp_eq_f64_e32 vcc_lo, 0, v[1:2]
	v_cmp_eq_f64_e64 s3, 0, v[3:4]
	s_delay_alu instid0(VALU_DEP_1) | instskip(NEXT) | instid1(SALU_CYCLE_1)
	s_and_b32 s3, vcc_lo, s3
	s_and_saveexec_b32 s4, s3
	s_cbranch_execz .LBB52_10
; %bb.7:
	v_mov_b32_e32 v1, 0
	s_mov_b32 s5, 0
	ds_load_b32 v2, v1 offset:1696
	s_waitcnt lgkmcnt(0)
	v_readfirstlane_b32 s3, v2
	v_add_nc_u32_e32 v2, 1, v152
	s_delay_alu instid0(VALU_DEP_2) | instskip(NEXT) | instid1(VALU_DEP_1)
	s_cmp_eq_u32 s3, 0
	v_cmp_gt_i32_e32 vcc_lo, s3, v2
	s_cselect_b32 s8, -1, 0
	s_delay_alu instid0(SALU_CYCLE_1) | instskip(NEXT) | instid1(SALU_CYCLE_1)
	s_or_b32 s8, s8, vcc_lo
	s_and_b32 exec_lo, exec_lo, s8
	s_cbranch_execz .LBB52_10
; %bb.8:
	v_mov_b32_e32 v3, s3
.LBB52_9:                               ; =>This Inner Loop Header: Depth=1
	ds_cmpstore_rtn_b32 v3, v1, v2, v3 offset:1696
	s_waitcnt lgkmcnt(0)
	v_cmp_ne_u32_e32 vcc_lo, 0, v3
	v_cmp_le_i32_e64 s3, v3, v2
	s_delay_alu instid0(VALU_DEP_1) | instskip(NEXT) | instid1(SALU_CYCLE_1)
	s_and_b32 s3, vcc_lo, s3
	s_and_b32 s3, exec_lo, s3
	s_delay_alu instid0(SALU_CYCLE_1) | instskip(NEXT) | instid1(SALU_CYCLE_1)
	s_or_b32 s5, s3, s5
	s_and_not1_b32 exec_lo, exec_lo, s5
	s_cbranch_execnz .LBB52_9
.LBB52_10:
	s_or_b32 exec_lo, exec_lo, s4
	v_mov_b32_e32 v1, 0
	s_barrier
	buffer_gl0_inv
	ds_load_b32 v2, v1 offset:1696
	s_and_saveexec_b32 s3, s2
	s_cbranch_execz .LBB52_12
; %bb.11:
	s_lshl_b64 s[4:5], s[18:19], 2
	s_delay_alu instid0(SALU_CYCLE_1)
	s_add_u32 s4, s6, s4
	s_addc_u32 s5, s7, s5
	s_waitcnt lgkmcnt(0)
	global_store_b32 v1, v2, s[4:5]
.LBB52_12:
	s_or_b32 exec_lo, exec_lo, s3
	s_waitcnt lgkmcnt(0)
	v_cmp_ne_u32_e32 vcc_lo, 0, v2
	s_mov_b32 s3, 0
	s_cbranch_vccnz .LBB52_224
; %bb.13:
	v_add_nc_u32_e32 v14, 0, v13
                                        ; implicit-def: $vgpr9_vgpr10
	scratch_load_b128 v[1:4], v14, off
	s_waitcnt vmcnt(0)
	v_mov_b32_e32 v5, v1
	v_cmp_gt_f64_e32 vcc_lo, 0, v[1:2]
	v_xor_b32_e32 v6, 0x80000000, v2
	v_xor_b32_e32 v7, 0x80000000, v4
	s_delay_alu instid0(VALU_DEP_2) | instskip(SKIP_1) | instid1(VALU_DEP_3)
	v_cndmask_b32_e32 v6, v2, v6, vcc_lo
	v_cmp_gt_f64_e32 vcc_lo, 0, v[3:4]
	v_dual_cndmask_b32 v8, v4, v7 :: v_dual_mov_b32 v7, v3
	s_delay_alu instid0(VALU_DEP_1) | instskip(SKIP_1) | instid1(SALU_CYCLE_1)
	v_cmp_ngt_f64_e32 vcc_lo, v[5:6], v[7:8]
                                        ; implicit-def: $vgpr5_vgpr6
	s_and_saveexec_b32 s3, vcc_lo
	s_xor_b32 s3, exec_lo, s3
	s_cbranch_execz .LBB52_15
; %bb.14:
	v_div_scale_f64 v[5:6], null, v[3:4], v[3:4], v[1:2]
	v_div_scale_f64 v[11:12], vcc_lo, v[1:2], v[3:4], v[1:2]
	s_delay_alu instid0(VALU_DEP_2) | instskip(SKIP_2) | instid1(VALU_DEP_1)
	v_rcp_f64_e32 v[7:8], v[5:6]
	s_waitcnt_depctr 0xfff
	v_fma_f64 v[9:10], -v[5:6], v[7:8], 1.0
	v_fma_f64 v[7:8], v[7:8], v[9:10], v[7:8]
	s_delay_alu instid0(VALU_DEP_1) | instskip(NEXT) | instid1(VALU_DEP_1)
	v_fma_f64 v[9:10], -v[5:6], v[7:8], 1.0
	v_fma_f64 v[7:8], v[7:8], v[9:10], v[7:8]
	s_delay_alu instid0(VALU_DEP_1) | instskip(NEXT) | instid1(VALU_DEP_1)
	v_mul_f64 v[9:10], v[11:12], v[7:8]
	v_fma_f64 v[5:6], -v[5:6], v[9:10], v[11:12]
	s_delay_alu instid0(VALU_DEP_1) | instskip(NEXT) | instid1(VALU_DEP_1)
	v_div_fmas_f64 v[5:6], v[5:6], v[7:8], v[9:10]
	v_div_fixup_f64 v[5:6], v[5:6], v[3:4], v[1:2]
	s_delay_alu instid0(VALU_DEP_1) | instskip(NEXT) | instid1(VALU_DEP_1)
	v_fma_f64 v[1:2], v[1:2], v[5:6], v[3:4]
	v_div_scale_f64 v[3:4], null, v[1:2], v[1:2], 1.0
	v_div_scale_f64 v[11:12], vcc_lo, 1.0, v[1:2], 1.0
	s_delay_alu instid0(VALU_DEP_2) | instskip(SKIP_2) | instid1(VALU_DEP_1)
	v_rcp_f64_e32 v[7:8], v[3:4]
	s_waitcnt_depctr 0xfff
	v_fma_f64 v[9:10], -v[3:4], v[7:8], 1.0
	v_fma_f64 v[7:8], v[7:8], v[9:10], v[7:8]
	s_delay_alu instid0(VALU_DEP_1) | instskip(NEXT) | instid1(VALU_DEP_1)
	v_fma_f64 v[9:10], -v[3:4], v[7:8], 1.0
	v_fma_f64 v[7:8], v[7:8], v[9:10], v[7:8]
	s_delay_alu instid0(VALU_DEP_1) | instskip(NEXT) | instid1(VALU_DEP_1)
	v_mul_f64 v[9:10], v[11:12], v[7:8]
	v_fma_f64 v[3:4], -v[3:4], v[9:10], v[11:12]
	s_delay_alu instid0(VALU_DEP_1) | instskip(NEXT) | instid1(VALU_DEP_1)
	v_div_fmas_f64 v[3:4], v[3:4], v[7:8], v[9:10]
	v_div_fixup_f64 v[7:8], v[3:4], v[1:2], 1.0
                                        ; implicit-def: $vgpr1_vgpr2
	s_delay_alu instid0(VALU_DEP_1) | instskip(SKIP_1) | instid1(VALU_DEP_2)
	v_mul_f64 v[5:6], v[5:6], v[7:8]
	v_xor_b32_e32 v8, 0x80000000, v8
	v_xor_b32_e32 v10, 0x80000000, v6
	s_delay_alu instid0(VALU_DEP_3)
	v_mov_b32_e32 v9, v5
.LBB52_15:
	s_and_not1_saveexec_b32 s3, s3
	s_cbranch_execz .LBB52_17
; %bb.16:
	v_div_scale_f64 v[5:6], null, v[1:2], v[1:2], v[3:4]
	v_div_scale_f64 v[11:12], vcc_lo, v[3:4], v[1:2], v[3:4]
	s_delay_alu instid0(VALU_DEP_2) | instskip(SKIP_2) | instid1(VALU_DEP_1)
	v_rcp_f64_e32 v[7:8], v[5:6]
	s_waitcnt_depctr 0xfff
	v_fma_f64 v[9:10], -v[5:6], v[7:8], 1.0
	v_fma_f64 v[7:8], v[7:8], v[9:10], v[7:8]
	s_delay_alu instid0(VALU_DEP_1) | instskip(NEXT) | instid1(VALU_DEP_1)
	v_fma_f64 v[9:10], -v[5:6], v[7:8], 1.0
	v_fma_f64 v[7:8], v[7:8], v[9:10], v[7:8]
	s_delay_alu instid0(VALU_DEP_1) | instskip(NEXT) | instid1(VALU_DEP_1)
	v_mul_f64 v[9:10], v[11:12], v[7:8]
	v_fma_f64 v[5:6], -v[5:6], v[9:10], v[11:12]
	s_delay_alu instid0(VALU_DEP_1) | instskip(NEXT) | instid1(VALU_DEP_1)
	v_div_fmas_f64 v[5:6], v[5:6], v[7:8], v[9:10]
	v_div_fixup_f64 v[7:8], v[5:6], v[1:2], v[3:4]
	s_delay_alu instid0(VALU_DEP_1) | instskip(NEXT) | instid1(VALU_DEP_1)
	v_fma_f64 v[1:2], v[3:4], v[7:8], v[1:2]
	v_div_scale_f64 v[3:4], null, v[1:2], v[1:2], 1.0
	s_delay_alu instid0(VALU_DEP_1) | instskip(SKIP_2) | instid1(VALU_DEP_1)
	v_rcp_f64_e32 v[5:6], v[3:4]
	s_waitcnt_depctr 0xfff
	v_fma_f64 v[9:10], -v[3:4], v[5:6], 1.0
	v_fma_f64 v[5:6], v[5:6], v[9:10], v[5:6]
	s_delay_alu instid0(VALU_DEP_1) | instskip(NEXT) | instid1(VALU_DEP_1)
	v_fma_f64 v[9:10], -v[3:4], v[5:6], 1.0
	v_fma_f64 v[5:6], v[5:6], v[9:10], v[5:6]
	v_div_scale_f64 v[9:10], vcc_lo, 1.0, v[1:2], 1.0
	s_delay_alu instid0(VALU_DEP_1) | instskip(NEXT) | instid1(VALU_DEP_1)
	v_mul_f64 v[11:12], v[9:10], v[5:6]
	v_fma_f64 v[3:4], -v[3:4], v[11:12], v[9:10]
	s_delay_alu instid0(VALU_DEP_1) | instskip(NEXT) | instid1(VALU_DEP_1)
	v_div_fmas_f64 v[3:4], v[3:4], v[5:6], v[11:12]
	v_div_fixup_f64 v[5:6], v[3:4], v[1:2], 1.0
	s_delay_alu instid0(VALU_DEP_1)
	v_mul_f64 v[7:8], v[7:8], -v[5:6]
	v_xor_b32_e32 v10, 0x80000000, v6
	v_mov_b32_e32 v9, v5
.LBB52_17:
	s_or_b32 exec_lo, exec_lo, s3
	scratch_store_b128 v14, v[5:8], off
	scratch_load_b128 v[1:4], v204, off
	v_xor_b32_e32 v12, 0x80000000, v8
	v_mov_b32_e32 v11, v7
	v_add_nc_u32_e32 v5, 0x350, v13
	ds_store_b128 v13, v[9:12]
	s_waitcnt vmcnt(0)
	ds_store_b128 v13, v[1:4] offset:848
	s_waitcnt lgkmcnt(0)
	s_waitcnt_vscnt null, 0x0
	s_barrier
	buffer_gl0_inv
	s_and_saveexec_b32 s3, s2
	s_cbranch_execz .LBB52_19
; %bb.18:
	scratch_load_b128 v[1:4], v14, off
	ds_load_b128 v[6:9], v5
	v_mov_b32_e32 v10, 0
	ds_load_b128 v[15:18], v10 offset:16
	s_waitcnt vmcnt(0) lgkmcnt(1)
	v_mul_f64 v[10:11], v[6:7], v[3:4]
	v_mul_f64 v[3:4], v[8:9], v[3:4]
	s_delay_alu instid0(VALU_DEP_2) | instskip(NEXT) | instid1(VALU_DEP_2)
	v_fma_f64 v[8:9], v[8:9], v[1:2], v[10:11]
	v_fma_f64 v[1:2], v[6:7], v[1:2], -v[3:4]
	s_delay_alu instid0(VALU_DEP_2) | instskip(NEXT) | instid1(VALU_DEP_2)
	v_add_f64 v[3:4], v[8:9], 0
	v_add_f64 v[1:2], v[1:2], 0
	s_waitcnt lgkmcnt(0)
	s_delay_alu instid0(VALU_DEP_2) | instskip(NEXT) | instid1(VALU_DEP_2)
	v_mul_f64 v[6:7], v[3:4], v[17:18]
	v_mul_f64 v[8:9], v[1:2], v[17:18]
	s_delay_alu instid0(VALU_DEP_2) | instskip(NEXT) | instid1(VALU_DEP_2)
	v_fma_f64 v[1:2], v[1:2], v[15:16], -v[6:7]
	v_fma_f64 v[3:4], v[3:4], v[15:16], v[8:9]
	scratch_store_b128 off, v[1:4], off offset:16
.LBB52_19:
	s_or_b32 exec_lo, exec_lo, s3
	s_waitcnt_vscnt null, 0x0
	s_barrier
	buffer_gl0_inv
	scratch_load_b128 v[1:4], v203, off
	s_mov_b32 s3, exec_lo
	s_waitcnt vmcnt(0)
	ds_store_b128 v5, v[1:4]
	s_waitcnt lgkmcnt(0)
	s_barrier
	buffer_gl0_inv
	v_cmpx_gt_u32_e32 2, v152
	s_cbranch_execz .LBB52_23
; %bb.20:
	scratch_load_b128 v[1:4], v14, off
	ds_load_b128 v[6:9], v5
	s_waitcnt vmcnt(0) lgkmcnt(0)
	v_mul_f64 v[10:11], v[8:9], v[3:4]
	v_mul_f64 v[3:4], v[6:7], v[3:4]
	s_delay_alu instid0(VALU_DEP_2) | instskip(NEXT) | instid1(VALU_DEP_2)
	v_fma_f64 v[6:7], v[6:7], v[1:2], -v[10:11]
	v_fma_f64 v[3:4], v[8:9], v[1:2], v[3:4]
	s_delay_alu instid0(VALU_DEP_2) | instskip(NEXT) | instid1(VALU_DEP_2)
	v_add_f64 v[1:2], v[6:7], 0
	v_add_f64 v[3:4], v[3:4], 0
	s_and_saveexec_b32 s4, s2
	s_cbranch_execz .LBB52_22
; %bb.21:
	scratch_load_b128 v[6:9], off, off offset:16
	v_mov_b32_e32 v10, 0
	ds_load_b128 v[15:18], v10 offset:864
	s_waitcnt vmcnt(0) lgkmcnt(0)
	v_mul_f64 v[10:11], v[15:16], v[8:9]
	v_mul_f64 v[8:9], v[17:18], v[8:9]
	s_delay_alu instid0(VALU_DEP_2) | instskip(NEXT) | instid1(VALU_DEP_2)
	v_fma_f64 v[10:11], v[17:18], v[6:7], v[10:11]
	v_fma_f64 v[6:7], v[15:16], v[6:7], -v[8:9]
	s_delay_alu instid0(VALU_DEP_2) | instskip(NEXT) | instid1(VALU_DEP_2)
	v_add_f64 v[3:4], v[3:4], v[10:11]
	v_add_f64 v[1:2], v[1:2], v[6:7]
.LBB52_22:
	s_or_b32 exec_lo, exec_lo, s4
	v_mov_b32_e32 v6, 0
	ds_load_b128 v[6:9], v6 offset:32
	s_waitcnt lgkmcnt(0)
	v_mul_f64 v[10:11], v[3:4], v[8:9]
	v_mul_f64 v[8:9], v[1:2], v[8:9]
	s_delay_alu instid0(VALU_DEP_2) | instskip(NEXT) | instid1(VALU_DEP_2)
	v_fma_f64 v[1:2], v[1:2], v[6:7], -v[10:11]
	v_fma_f64 v[3:4], v[3:4], v[6:7], v[8:9]
	scratch_store_b128 off, v[1:4], off offset:32
.LBB52_23:
	s_or_b32 exec_lo, exec_lo, s3
	s_waitcnt_vscnt null, 0x0
	s_barrier
	buffer_gl0_inv
	scratch_load_b128 v[1:4], v202, off
	v_add_nc_u32_e32 v6, -1, v152
	s_mov_b32 s2, exec_lo
	s_waitcnt vmcnt(0)
	ds_store_b128 v5, v[1:4]
	s_waitcnt lgkmcnt(0)
	s_barrier
	buffer_gl0_inv
	v_cmpx_gt_u32_e32 3, v152
	s_cbranch_execz .LBB52_27
; %bb.24:
	v_dual_mov_b32 v1, 0 :: v_dual_add_nc_u32 v8, 0x350, v13
	v_dual_mov_b32 v2, 0 :: v_dual_add_nc_u32 v7, -1, v152
	v_or_b32_e32 v9, 8, v14
	s_mov_b32 s3, 0
	s_delay_alu instid0(VALU_DEP_2)
	v_dual_mov_b32 v4, v2 :: v_dual_mov_b32 v3, v1
	.p2align	6
.LBB52_25:                              ; =>This Inner Loop Header: Depth=1
	scratch_load_b128 v[15:18], v9, off offset:-8
	ds_load_b128 v[19:22], v8
	v_add_nc_u32_e32 v7, 1, v7
	v_add_nc_u32_e32 v8, 16, v8
	;; [unrolled: 1-line block ×3, first 2 shown]
	s_delay_alu instid0(VALU_DEP_3) | instskip(SKIP_4) | instid1(VALU_DEP_2)
	v_cmp_lt_u32_e32 vcc_lo, 1, v7
	s_or_b32 s3, vcc_lo, s3
	s_waitcnt vmcnt(0) lgkmcnt(0)
	v_mul_f64 v[10:11], v[21:22], v[17:18]
	v_mul_f64 v[17:18], v[19:20], v[17:18]
	v_fma_f64 v[10:11], v[19:20], v[15:16], -v[10:11]
	s_delay_alu instid0(VALU_DEP_2) | instskip(NEXT) | instid1(VALU_DEP_2)
	v_fma_f64 v[15:16], v[21:22], v[15:16], v[17:18]
	v_add_f64 v[3:4], v[3:4], v[10:11]
	s_delay_alu instid0(VALU_DEP_2)
	v_add_f64 v[1:2], v[1:2], v[15:16]
	s_and_not1_b32 exec_lo, exec_lo, s3
	s_cbranch_execnz .LBB52_25
; %bb.26:
	s_or_b32 exec_lo, exec_lo, s3
	v_mov_b32_e32 v7, 0
	ds_load_b128 v[7:10], v7 offset:48
	s_waitcnt lgkmcnt(0)
	v_mul_f64 v[11:12], v[1:2], v[9:10]
	v_mul_f64 v[15:16], v[3:4], v[9:10]
	s_delay_alu instid0(VALU_DEP_2) | instskip(NEXT) | instid1(VALU_DEP_2)
	v_fma_f64 v[9:10], v[3:4], v[7:8], -v[11:12]
	v_fma_f64 v[11:12], v[1:2], v[7:8], v[15:16]
	scratch_store_b128 off, v[9:12], off offset:48
.LBB52_27:
	s_or_b32 exec_lo, exec_lo, s2
	s_waitcnt_vscnt null, 0x0
	s_barrier
	buffer_gl0_inv
	scratch_load_b128 v[1:4], v201, off
	s_mov_b32 s2, exec_lo
	s_waitcnt vmcnt(0)
	ds_store_b128 v5, v[1:4]
	s_waitcnt lgkmcnt(0)
	s_barrier
	buffer_gl0_inv
	v_cmpx_gt_u32_e32 4, v152
	s_cbranch_execz .LBB52_31
; %bb.28:
	v_dual_mov_b32 v1, 0 :: v_dual_add_nc_u32 v8, 0x350, v13
	v_dual_mov_b32 v2, 0 :: v_dual_add_nc_u32 v7, -1, v152
	v_or_b32_e32 v9, 8, v14
	s_mov_b32 s3, 0
	s_delay_alu instid0(VALU_DEP_2)
	v_dual_mov_b32 v4, v2 :: v_dual_mov_b32 v3, v1
	.p2align	6
.LBB52_29:                              ; =>This Inner Loop Header: Depth=1
	scratch_load_b128 v[15:18], v9, off offset:-8
	ds_load_b128 v[19:22], v8
	v_add_nc_u32_e32 v7, 1, v7
	v_add_nc_u32_e32 v8, 16, v8
	;; [unrolled: 1-line block ×3, first 2 shown]
	s_delay_alu instid0(VALU_DEP_3) | instskip(SKIP_4) | instid1(VALU_DEP_2)
	v_cmp_lt_u32_e32 vcc_lo, 2, v7
	s_or_b32 s3, vcc_lo, s3
	s_waitcnt vmcnt(0) lgkmcnt(0)
	v_mul_f64 v[10:11], v[21:22], v[17:18]
	v_mul_f64 v[17:18], v[19:20], v[17:18]
	v_fma_f64 v[10:11], v[19:20], v[15:16], -v[10:11]
	s_delay_alu instid0(VALU_DEP_2) | instskip(NEXT) | instid1(VALU_DEP_2)
	v_fma_f64 v[15:16], v[21:22], v[15:16], v[17:18]
	v_add_f64 v[3:4], v[3:4], v[10:11]
	s_delay_alu instid0(VALU_DEP_2)
	v_add_f64 v[1:2], v[1:2], v[15:16]
	s_and_not1_b32 exec_lo, exec_lo, s3
	s_cbranch_execnz .LBB52_29
; %bb.30:
	s_or_b32 exec_lo, exec_lo, s3
	v_mov_b32_e32 v7, 0
	ds_load_b128 v[7:10], v7 offset:64
	s_waitcnt lgkmcnt(0)
	v_mul_f64 v[11:12], v[1:2], v[9:10]
	v_mul_f64 v[15:16], v[3:4], v[9:10]
	s_delay_alu instid0(VALU_DEP_2) | instskip(NEXT) | instid1(VALU_DEP_2)
	v_fma_f64 v[9:10], v[3:4], v[7:8], -v[11:12]
	v_fma_f64 v[11:12], v[1:2], v[7:8], v[15:16]
	scratch_store_b128 off, v[9:12], off offset:64
.LBB52_31:
	s_or_b32 exec_lo, exec_lo, s2
	s_waitcnt_vscnt null, 0x0
	s_barrier
	buffer_gl0_inv
	scratch_load_b128 v[1:4], v155, off
	s_mov_b32 s2, exec_lo
	s_waitcnt vmcnt(0)
	ds_store_b128 v5, v[1:4]
	s_waitcnt lgkmcnt(0)
	s_barrier
	buffer_gl0_inv
	v_cmpx_gt_u32_e32 5, v152
	s_cbranch_execz .LBB52_35
; %bb.32:
	v_dual_mov_b32 v1, 0 :: v_dual_add_nc_u32 v8, 0x350, v13
	v_dual_mov_b32 v2, 0 :: v_dual_add_nc_u32 v7, -1, v152
	v_or_b32_e32 v9, 8, v14
	s_mov_b32 s3, 0
	s_delay_alu instid0(VALU_DEP_2)
	v_dual_mov_b32 v4, v2 :: v_dual_mov_b32 v3, v1
	.p2align	6
.LBB52_33:                              ; =>This Inner Loop Header: Depth=1
	scratch_load_b128 v[15:18], v9, off offset:-8
	ds_load_b128 v[19:22], v8
	v_add_nc_u32_e32 v7, 1, v7
	v_add_nc_u32_e32 v8, 16, v8
	;; [unrolled: 1-line block ×3, first 2 shown]
	s_delay_alu instid0(VALU_DEP_3) | instskip(SKIP_4) | instid1(VALU_DEP_2)
	v_cmp_lt_u32_e32 vcc_lo, 3, v7
	s_or_b32 s3, vcc_lo, s3
	s_waitcnt vmcnt(0) lgkmcnt(0)
	v_mul_f64 v[10:11], v[21:22], v[17:18]
	v_mul_f64 v[17:18], v[19:20], v[17:18]
	v_fma_f64 v[10:11], v[19:20], v[15:16], -v[10:11]
	s_delay_alu instid0(VALU_DEP_2) | instskip(NEXT) | instid1(VALU_DEP_2)
	v_fma_f64 v[15:16], v[21:22], v[15:16], v[17:18]
	v_add_f64 v[3:4], v[3:4], v[10:11]
	s_delay_alu instid0(VALU_DEP_2)
	v_add_f64 v[1:2], v[1:2], v[15:16]
	s_and_not1_b32 exec_lo, exec_lo, s3
	s_cbranch_execnz .LBB52_33
; %bb.34:
	s_or_b32 exec_lo, exec_lo, s3
	v_mov_b32_e32 v7, 0
	ds_load_b128 v[7:10], v7 offset:80
	s_waitcnt lgkmcnt(0)
	v_mul_f64 v[11:12], v[1:2], v[9:10]
	v_mul_f64 v[15:16], v[3:4], v[9:10]
	s_delay_alu instid0(VALU_DEP_2) | instskip(NEXT) | instid1(VALU_DEP_2)
	v_fma_f64 v[9:10], v[3:4], v[7:8], -v[11:12]
	v_fma_f64 v[11:12], v[1:2], v[7:8], v[15:16]
	scratch_store_b128 off, v[9:12], off offset:80
.LBB52_35:
	s_or_b32 exec_lo, exec_lo, s2
	s_waitcnt_vscnt null, 0x0
	s_barrier
	buffer_gl0_inv
	scratch_load_b128 v[1:4], v255, off
	s_mov_b32 s2, exec_lo
	s_waitcnt vmcnt(0)
	ds_store_b128 v5, v[1:4]
	s_waitcnt lgkmcnt(0)
	s_barrier
	buffer_gl0_inv
	v_cmpx_gt_u32_e32 6, v152
	s_cbranch_execz .LBB52_39
; %bb.36:
	v_dual_mov_b32 v1, 0 :: v_dual_add_nc_u32 v8, 0x350, v13
	v_dual_mov_b32 v2, 0 :: v_dual_add_nc_u32 v7, -1, v152
	v_or_b32_e32 v9, 8, v14
	s_mov_b32 s3, 0
	s_delay_alu instid0(VALU_DEP_2)
	v_dual_mov_b32 v4, v2 :: v_dual_mov_b32 v3, v1
	.p2align	6
.LBB52_37:                              ; =>This Inner Loop Header: Depth=1
	scratch_load_b128 v[15:18], v9, off offset:-8
	ds_load_b128 v[19:22], v8
	v_add_nc_u32_e32 v7, 1, v7
	v_add_nc_u32_e32 v8, 16, v8
	v_add_nc_u32_e32 v9, 16, v9
	s_delay_alu instid0(VALU_DEP_3) | instskip(SKIP_4) | instid1(VALU_DEP_2)
	v_cmp_lt_u32_e32 vcc_lo, 4, v7
	s_or_b32 s3, vcc_lo, s3
	s_waitcnt vmcnt(0) lgkmcnt(0)
	v_mul_f64 v[10:11], v[21:22], v[17:18]
	v_mul_f64 v[17:18], v[19:20], v[17:18]
	v_fma_f64 v[10:11], v[19:20], v[15:16], -v[10:11]
	s_delay_alu instid0(VALU_DEP_2) | instskip(NEXT) | instid1(VALU_DEP_2)
	v_fma_f64 v[15:16], v[21:22], v[15:16], v[17:18]
	v_add_f64 v[3:4], v[3:4], v[10:11]
	s_delay_alu instid0(VALU_DEP_2)
	v_add_f64 v[1:2], v[1:2], v[15:16]
	s_and_not1_b32 exec_lo, exec_lo, s3
	s_cbranch_execnz .LBB52_37
; %bb.38:
	s_or_b32 exec_lo, exec_lo, s3
	v_mov_b32_e32 v7, 0
	ds_load_b128 v[7:10], v7 offset:96
	s_waitcnt lgkmcnt(0)
	v_mul_f64 v[11:12], v[1:2], v[9:10]
	v_mul_f64 v[15:16], v[3:4], v[9:10]
	s_delay_alu instid0(VALU_DEP_2) | instskip(NEXT) | instid1(VALU_DEP_2)
	v_fma_f64 v[9:10], v[3:4], v[7:8], -v[11:12]
	v_fma_f64 v[11:12], v[1:2], v[7:8], v[15:16]
	scratch_store_b128 off, v[9:12], off offset:96
.LBB52_39:
	s_or_b32 exec_lo, exec_lo, s2
	s_waitcnt_vscnt null, 0x0
	s_barrier
	buffer_gl0_inv
	scratch_load_b128 v[1:4], v254, off
	s_mov_b32 s2, exec_lo
	s_waitcnt vmcnt(0)
	ds_store_b128 v5, v[1:4]
	s_waitcnt lgkmcnt(0)
	s_barrier
	buffer_gl0_inv
	v_cmpx_gt_u32_e32 7, v152
	s_cbranch_execz .LBB52_43
; %bb.40:
	v_dual_mov_b32 v1, 0 :: v_dual_add_nc_u32 v8, 0x350, v13
	v_dual_mov_b32 v2, 0 :: v_dual_add_nc_u32 v7, -1, v152
	v_or_b32_e32 v9, 8, v14
	s_mov_b32 s3, 0
	s_delay_alu instid0(VALU_DEP_2)
	v_dual_mov_b32 v4, v2 :: v_dual_mov_b32 v3, v1
	.p2align	6
.LBB52_41:                              ; =>This Inner Loop Header: Depth=1
	scratch_load_b128 v[15:18], v9, off offset:-8
	ds_load_b128 v[19:22], v8
	v_add_nc_u32_e32 v7, 1, v7
	v_add_nc_u32_e32 v8, 16, v8
	;; [unrolled: 1-line block ×3, first 2 shown]
	s_delay_alu instid0(VALU_DEP_3) | instskip(SKIP_4) | instid1(VALU_DEP_2)
	v_cmp_lt_u32_e32 vcc_lo, 5, v7
	s_or_b32 s3, vcc_lo, s3
	s_waitcnt vmcnt(0) lgkmcnt(0)
	v_mul_f64 v[10:11], v[21:22], v[17:18]
	v_mul_f64 v[17:18], v[19:20], v[17:18]
	v_fma_f64 v[10:11], v[19:20], v[15:16], -v[10:11]
	s_delay_alu instid0(VALU_DEP_2) | instskip(NEXT) | instid1(VALU_DEP_2)
	v_fma_f64 v[15:16], v[21:22], v[15:16], v[17:18]
	v_add_f64 v[3:4], v[3:4], v[10:11]
	s_delay_alu instid0(VALU_DEP_2)
	v_add_f64 v[1:2], v[1:2], v[15:16]
	s_and_not1_b32 exec_lo, exec_lo, s3
	s_cbranch_execnz .LBB52_41
; %bb.42:
	s_or_b32 exec_lo, exec_lo, s3
	v_mov_b32_e32 v7, 0
	ds_load_b128 v[7:10], v7 offset:112
	s_waitcnt lgkmcnt(0)
	v_mul_f64 v[11:12], v[1:2], v[9:10]
	v_mul_f64 v[15:16], v[3:4], v[9:10]
	s_delay_alu instid0(VALU_DEP_2) | instskip(NEXT) | instid1(VALU_DEP_2)
	v_fma_f64 v[9:10], v[3:4], v[7:8], -v[11:12]
	v_fma_f64 v[11:12], v[1:2], v[7:8], v[15:16]
	scratch_store_b128 off, v[9:12], off offset:112
.LBB52_43:
	s_or_b32 exec_lo, exec_lo, s2
	s_waitcnt_vscnt null, 0x0
	s_barrier
	buffer_gl0_inv
	scratch_load_b128 v[1:4], v253, off
	s_mov_b32 s2, exec_lo
	s_waitcnt vmcnt(0)
	ds_store_b128 v5, v[1:4]
	s_waitcnt lgkmcnt(0)
	s_barrier
	buffer_gl0_inv
	v_cmpx_gt_u32_e32 8, v152
	s_cbranch_execz .LBB52_47
; %bb.44:
	v_dual_mov_b32 v1, 0 :: v_dual_add_nc_u32 v8, 0x350, v13
	v_dual_mov_b32 v2, 0 :: v_dual_add_nc_u32 v7, -1, v152
	v_or_b32_e32 v9, 8, v14
	s_mov_b32 s3, 0
	s_delay_alu instid0(VALU_DEP_2)
	v_dual_mov_b32 v4, v2 :: v_dual_mov_b32 v3, v1
	.p2align	6
.LBB52_45:                              ; =>This Inner Loop Header: Depth=1
	scratch_load_b128 v[15:18], v9, off offset:-8
	ds_load_b128 v[19:22], v8
	v_add_nc_u32_e32 v7, 1, v7
	v_add_nc_u32_e32 v8, 16, v8
	;; [unrolled: 1-line block ×3, first 2 shown]
	s_delay_alu instid0(VALU_DEP_3) | instskip(SKIP_4) | instid1(VALU_DEP_2)
	v_cmp_lt_u32_e32 vcc_lo, 6, v7
	s_or_b32 s3, vcc_lo, s3
	s_waitcnt vmcnt(0) lgkmcnt(0)
	v_mul_f64 v[10:11], v[21:22], v[17:18]
	v_mul_f64 v[17:18], v[19:20], v[17:18]
	v_fma_f64 v[10:11], v[19:20], v[15:16], -v[10:11]
	s_delay_alu instid0(VALU_DEP_2) | instskip(NEXT) | instid1(VALU_DEP_2)
	v_fma_f64 v[15:16], v[21:22], v[15:16], v[17:18]
	v_add_f64 v[3:4], v[3:4], v[10:11]
	s_delay_alu instid0(VALU_DEP_2)
	v_add_f64 v[1:2], v[1:2], v[15:16]
	s_and_not1_b32 exec_lo, exec_lo, s3
	s_cbranch_execnz .LBB52_45
; %bb.46:
	s_or_b32 exec_lo, exec_lo, s3
	v_mov_b32_e32 v7, 0
	ds_load_b128 v[7:10], v7 offset:128
	s_waitcnt lgkmcnt(0)
	v_mul_f64 v[11:12], v[1:2], v[9:10]
	v_mul_f64 v[15:16], v[3:4], v[9:10]
	s_delay_alu instid0(VALU_DEP_2) | instskip(NEXT) | instid1(VALU_DEP_2)
	v_fma_f64 v[9:10], v[3:4], v[7:8], -v[11:12]
	v_fma_f64 v[11:12], v[1:2], v[7:8], v[15:16]
	scratch_store_b128 off, v[9:12], off offset:128
.LBB52_47:
	s_or_b32 exec_lo, exec_lo, s2
	s_waitcnt_vscnt null, 0x0
	s_barrier
	buffer_gl0_inv
	scratch_load_b128 v[1:4], v196, off
	s_mov_b32 s2, exec_lo
	s_waitcnt vmcnt(0)
	ds_store_b128 v5, v[1:4]
	s_waitcnt lgkmcnt(0)
	s_barrier
	buffer_gl0_inv
	v_cmpx_gt_u32_e32 9, v152
	s_cbranch_execz .LBB52_51
; %bb.48:
	v_dual_mov_b32 v1, 0 :: v_dual_add_nc_u32 v8, 0x350, v13
	v_dual_mov_b32 v2, 0 :: v_dual_add_nc_u32 v7, -1, v152
	v_or_b32_e32 v9, 8, v14
	s_mov_b32 s3, 0
	s_delay_alu instid0(VALU_DEP_2)
	v_dual_mov_b32 v4, v2 :: v_dual_mov_b32 v3, v1
	.p2align	6
.LBB52_49:                              ; =>This Inner Loop Header: Depth=1
	scratch_load_b128 v[15:18], v9, off offset:-8
	ds_load_b128 v[19:22], v8
	v_add_nc_u32_e32 v7, 1, v7
	v_add_nc_u32_e32 v8, 16, v8
	;; [unrolled: 1-line block ×3, first 2 shown]
	s_delay_alu instid0(VALU_DEP_3) | instskip(SKIP_4) | instid1(VALU_DEP_2)
	v_cmp_lt_u32_e32 vcc_lo, 7, v7
	s_or_b32 s3, vcc_lo, s3
	s_waitcnt vmcnt(0) lgkmcnt(0)
	v_mul_f64 v[10:11], v[21:22], v[17:18]
	v_mul_f64 v[17:18], v[19:20], v[17:18]
	v_fma_f64 v[10:11], v[19:20], v[15:16], -v[10:11]
	s_delay_alu instid0(VALU_DEP_2) | instskip(NEXT) | instid1(VALU_DEP_2)
	v_fma_f64 v[15:16], v[21:22], v[15:16], v[17:18]
	v_add_f64 v[3:4], v[3:4], v[10:11]
	s_delay_alu instid0(VALU_DEP_2)
	v_add_f64 v[1:2], v[1:2], v[15:16]
	s_and_not1_b32 exec_lo, exec_lo, s3
	s_cbranch_execnz .LBB52_49
; %bb.50:
	s_or_b32 exec_lo, exec_lo, s3
	v_mov_b32_e32 v7, 0
	ds_load_b128 v[7:10], v7 offset:144
	s_waitcnt lgkmcnt(0)
	v_mul_f64 v[11:12], v[1:2], v[9:10]
	v_mul_f64 v[15:16], v[3:4], v[9:10]
	s_delay_alu instid0(VALU_DEP_2) | instskip(NEXT) | instid1(VALU_DEP_2)
	v_fma_f64 v[9:10], v[3:4], v[7:8], -v[11:12]
	v_fma_f64 v[11:12], v[1:2], v[7:8], v[15:16]
	scratch_store_b128 off, v[9:12], off offset:144
.LBB52_51:
	s_or_b32 exec_lo, exec_lo, s2
	s_waitcnt_vscnt null, 0x0
	s_barrier
	buffer_gl0_inv
	scratch_load_b128 v[1:4], v195, off
	s_mov_b32 s2, exec_lo
	s_waitcnt vmcnt(0)
	ds_store_b128 v5, v[1:4]
	s_waitcnt lgkmcnt(0)
	s_barrier
	buffer_gl0_inv
	v_cmpx_gt_u32_e32 10, v152
	s_cbranch_execz .LBB52_55
; %bb.52:
	v_dual_mov_b32 v1, 0 :: v_dual_add_nc_u32 v8, 0x350, v13
	v_dual_mov_b32 v2, 0 :: v_dual_add_nc_u32 v7, -1, v152
	v_or_b32_e32 v9, 8, v14
	s_mov_b32 s3, 0
	s_delay_alu instid0(VALU_DEP_2)
	v_dual_mov_b32 v4, v2 :: v_dual_mov_b32 v3, v1
	.p2align	6
.LBB52_53:                              ; =>This Inner Loop Header: Depth=1
	scratch_load_b128 v[15:18], v9, off offset:-8
	ds_load_b128 v[19:22], v8
	v_add_nc_u32_e32 v7, 1, v7
	v_add_nc_u32_e32 v8, 16, v8
	;; [unrolled: 1-line block ×3, first 2 shown]
	s_delay_alu instid0(VALU_DEP_3) | instskip(SKIP_4) | instid1(VALU_DEP_2)
	v_cmp_lt_u32_e32 vcc_lo, 8, v7
	s_or_b32 s3, vcc_lo, s3
	s_waitcnt vmcnt(0) lgkmcnt(0)
	v_mul_f64 v[10:11], v[21:22], v[17:18]
	v_mul_f64 v[17:18], v[19:20], v[17:18]
	v_fma_f64 v[10:11], v[19:20], v[15:16], -v[10:11]
	s_delay_alu instid0(VALU_DEP_2) | instskip(NEXT) | instid1(VALU_DEP_2)
	v_fma_f64 v[15:16], v[21:22], v[15:16], v[17:18]
	v_add_f64 v[3:4], v[3:4], v[10:11]
	s_delay_alu instid0(VALU_DEP_2)
	v_add_f64 v[1:2], v[1:2], v[15:16]
	s_and_not1_b32 exec_lo, exec_lo, s3
	s_cbranch_execnz .LBB52_53
; %bb.54:
	s_or_b32 exec_lo, exec_lo, s3
	v_mov_b32_e32 v7, 0
	ds_load_b128 v[7:10], v7 offset:160
	s_waitcnt lgkmcnt(0)
	v_mul_f64 v[11:12], v[1:2], v[9:10]
	v_mul_f64 v[15:16], v[3:4], v[9:10]
	s_delay_alu instid0(VALU_DEP_2) | instskip(NEXT) | instid1(VALU_DEP_2)
	v_fma_f64 v[9:10], v[3:4], v[7:8], -v[11:12]
	v_fma_f64 v[11:12], v[1:2], v[7:8], v[15:16]
	scratch_store_b128 off, v[9:12], off offset:160
.LBB52_55:
	s_or_b32 exec_lo, exec_lo, s2
	s_waitcnt_vscnt null, 0x0
	s_barrier
	buffer_gl0_inv
	scratch_load_b128 v[1:4], v194, off
	s_mov_b32 s2, exec_lo
	s_waitcnt vmcnt(0)
	ds_store_b128 v5, v[1:4]
	s_waitcnt lgkmcnt(0)
	s_barrier
	buffer_gl0_inv
	v_cmpx_gt_u32_e32 11, v152
	s_cbranch_execz .LBB52_59
; %bb.56:
	v_dual_mov_b32 v1, 0 :: v_dual_add_nc_u32 v8, 0x350, v13
	v_dual_mov_b32 v2, 0 :: v_dual_add_nc_u32 v7, -1, v152
	v_or_b32_e32 v9, 8, v14
	s_mov_b32 s3, 0
	s_delay_alu instid0(VALU_DEP_2)
	v_dual_mov_b32 v4, v2 :: v_dual_mov_b32 v3, v1
	.p2align	6
.LBB52_57:                              ; =>This Inner Loop Header: Depth=1
	scratch_load_b128 v[15:18], v9, off offset:-8
	ds_load_b128 v[19:22], v8
	v_add_nc_u32_e32 v7, 1, v7
	v_add_nc_u32_e32 v8, 16, v8
	;; [unrolled: 1-line block ×3, first 2 shown]
	s_delay_alu instid0(VALU_DEP_3) | instskip(SKIP_4) | instid1(VALU_DEP_2)
	v_cmp_lt_u32_e32 vcc_lo, 9, v7
	s_or_b32 s3, vcc_lo, s3
	s_waitcnt vmcnt(0) lgkmcnt(0)
	v_mul_f64 v[10:11], v[21:22], v[17:18]
	v_mul_f64 v[17:18], v[19:20], v[17:18]
	v_fma_f64 v[10:11], v[19:20], v[15:16], -v[10:11]
	s_delay_alu instid0(VALU_DEP_2) | instskip(NEXT) | instid1(VALU_DEP_2)
	v_fma_f64 v[15:16], v[21:22], v[15:16], v[17:18]
	v_add_f64 v[3:4], v[3:4], v[10:11]
	s_delay_alu instid0(VALU_DEP_2)
	v_add_f64 v[1:2], v[1:2], v[15:16]
	s_and_not1_b32 exec_lo, exec_lo, s3
	s_cbranch_execnz .LBB52_57
; %bb.58:
	s_or_b32 exec_lo, exec_lo, s3
	v_mov_b32_e32 v7, 0
	ds_load_b128 v[7:10], v7 offset:176
	s_waitcnt lgkmcnt(0)
	v_mul_f64 v[11:12], v[1:2], v[9:10]
	v_mul_f64 v[15:16], v[3:4], v[9:10]
	s_delay_alu instid0(VALU_DEP_2) | instskip(NEXT) | instid1(VALU_DEP_2)
	v_fma_f64 v[9:10], v[3:4], v[7:8], -v[11:12]
	v_fma_f64 v[11:12], v[1:2], v[7:8], v[15:16]
	scratch_store_b128 off, v[9:12], off offset:176
.LBB52_59:
	s_or_b32 exec_lo, exec_lo, s2
	s_waitcnt_vscnt null, 0x0
	s_barrier
	buffer_gl0_inv
	scratch_load_b128 v[1:4], v193, off
	s_mov_b32 s2, exec_lo
	s_waitcnt vmcnt(0)
	ds_store_b128 v5, v[1:4]
	s_waitcnt lgkmcnt(0)
	s_barrier
	buffer_gl0_inv
	v_cmpx_gt_u32_e32 12, v152
	s_cbranch_execz .LBB52_63
; %bb.60:
	v_dual_mov_b32 v1, 0 :: v_dual_add_nc_u32 v8, 0x350, v13
	v_dual_mov_b32 v2, 0 :: v_dual_add_nc_u32 v7, -1, v152
	v_or_b32_e32 v9, 8, v14
	s_mov_b32 s3, 0
	s_delay_alu instid0(VALU_DEP_2)
	v_dual_mov_b32 v4, v2 :: v_dual_mov_b32 v3, v1
	.p2align	6
.LBB52_61:                              ; =>This Inner Loop Header: Depth=1
	scratch_load_b128 v[15:18], v9, off offset:-8
	ds_load_b128 v[19:22], v8
	v_add_nc_u32_e32 v7, 1, v7
	v_add_nc_u32_e32 v8, 16, v8
	;; [unrolled: 1-line block ×3, first 2 shown]
	s_delay_alu instid0(VALU_DEP_3) | instskip(SKIP_4) | instid1(VALU_DEP_2)
	v_cmp_lt_u32_e32 vcc_lo, 10, v7
	s_or_b32 s3, vcc_lo, s3
	s_waitcnt vmcnt(0) lgkmcnt(0)
	v_mul_f64 v[10:11], v[21:22], v[17:18]
	v_mul_f64 v[17:18], v[19:20], v[17:18]
	v_fma_f64 v[10:11], v[19:20], v[15:16], -v[10:11]
	s_delay_alu instid0(VALU_DEP_2) | instskip(NEXT) | instid1(VALU_DEP_2)
	v_fma_f64 v[15:16], v[21:22], v[15:16], v[17:18]
	v_add_f64 v[3:4], v[3:4], v[10:11]
	s_delay_alu instid0(VALU_DEP_2)
	v_add_f64 v[1:2], v[1:2], v[15:16]
	s_and_not1_b32 exec_lo, exec_lo, s3
	s_cbranch_execnz .LBB52_61
; %bb.62:
	s_or_b32 exec_lo, exec_lo, s3
	v_mov_b32_e32 v7, 0
	ds_load_b128 v[7:10], v7 offset:192
	s_waitcnt lgkmcnt(0)
	v_mul_f64 v[11:12], v[1:2], v[9:10]
	v_mul_f64 v[15:16], v[3:4], v[9:10]
	s_delay_alu instid0(VALU_DEP_2) | instskip(NEXT) | instid1(VALU_DEP_2)
	v_fma_f64 v[9:10], v[3:4], v[7:8], -v[11:12]
	v_fma_f64 v[11:12], v[1:2], v[7:8], v[15:16]
	scratch_store_b128 off, v[9:12], off offset:192
.LBB52_63:
	s_or_b32 exec_lo, exec_lo, s2
	s_waitcnt_vscnt null, 0x0
	s_barrier
	buffer_gl0_inv
	scratch_load_b128 v[1:4], v192, off
	s_mov_b32 s2, exec_lo
	s_waitcnt vmcnt(0)
	ds_store_b128 v5, v[1:4]
	s_waitcnt lgkmcnt(0)
	s_barrier
	buffer_gl0_inv
	v_cmpx_gt_u32_e32 13, v152
	s_cbranch_execz .LBB52_67
; %bb.64:
	v_dual_mov_b32 v1, 0 :: v_dual_add_nc_u32 v8, 0x350, v13
	v_dual_mov_b32 v2, 0 :: v_dual_add_nc_u32 v7, -1, v152
	v_or_b32_e32 v9, 8, v14
	s_mov_b32 s3, 0
	s_delay_alu instid0(VALU_DEP_2)
	v_dual_mov_b32 v4, v2 :: v_dual_mov_b32 v3, v1
	.p2align	6
.LBB52_65:                              ; =>This Inner Loop Header: Depth=1
	scratch_load_b128 v[15:18], v9, off offset:-8
	ds_load_b128 v[19:22], v8
	v_add_nc_u32_e32 v7, 1, v7
	v_add_nc_u32_e32 v8, 16, v8
	;; [unrolled: 1-line block ×3, first 2 shown]
	s_delay_alu instid0(VALU_DEP_3) | instskip(SKIP_4) | instid1(VALU_DEP_2)
	v_cmp_lt_u32_e32 vcc_lo, 11, v7
	s_or_b32 s3, vcc_lo, s3
	s_waitcnt vmcnt(0) lgkmcnt(0)
	v_mul_f64 v[10:11], v[21:22], v[17:18]
	v_mul_f64 v[17:18], v[19:20], v[17:18]
	v_fma_f64 v[10:11], v[19:20], v[15:16], -v[10:11]
	s_delay_alu instid0(VALU_DEP_2) | instskip(NEXT) | instid1(VALU_DEP_2)
	v_fma_f64 v[15:16], v[21:22], v[15:16], v[17:18]
	v_add_f64 v[3:4], v[3:4], v[10:11]
	s_delay_alu instid0(VALU_DEP_2)
	v_add_f64 v[1:2], v[1:2], v[15:16]
	s_and_not1_b32 exec_lo, exec_lo, s3
	s_cbranch_execnz .LBB52_65
; %bb.66:
	s_or_b32 exec_lo, exec_lo, s3
	v_mov_b32_e32 v7, 0
	ds_load_b128 v[7:10], v7 offset:208
	s_waitcnt lgkmcnt(0)
	v_mul_f64 v[11:12], v[1:2], v[9:10]
	v_mul_f64 v[15:16], v[3:4], v[9:10]
	s_delay_alu instid0(VALU_DEP_2) | instskip(NEXT) | instid1(VALU_DEP_2)
	v_fma_f64 v[9:10], v[3:4], v[7:8], -v[11:12]
	v_fma_f64 v[11:12], v[1:2], v[7:8], v[15:16]
	scratch_store_b128 off, v[9:12], off offset:208
.LBB52_67:
	s_or_b32 exec_lo, exec_lo, s2
	s_waitcnt_vscnt null, 0x0
	s_barrier
	buffer_gl0_inv
	scratch_load_b128 v[1:4], v191, off
	s_mov_b32 s2, exec_lo
	s_waitcnt vmcnt(0)
	ds_store_b128 v5, v[1:4]
	s_waitcnt lgkmcnt(0)
	s_barrier
	buffer_gl0_inv
	v_cmpx_gt_u32_e32 14, v152
	s_cbranch_execz .LBB52_71
; %bb.68:
	v_dual_mov_b32 v1, 0 :: v_dual_add_nc_u32 v8, 0x350, v13
	v_dual_mov_b32 v2, 0 :: v_dual_add_nc_u32 v7, -1, v152
	v_or_b32_e32 v9, 8, v14
	s_mov_b32 s3, 0
	s_delay_alu instid0(VALU_DEP_2)
	v_dual_mov_b32 v4, v2 :: v_dual_mov_b32 v3, v1
	.p2align	6
.LBB52_69:                              ; =>This Inner Loop Header: Depth=1
	scratch_load_b128 v[15:18], v9, off offset:-8
	ds_load_b128 v[19:22], v8
	v_add_nc_u32_e32 v7, 1, v7
	v_add_nc_u32_e32 v8, 16, v8
	v_add_nc_u32_e32 v9, 16, v9
	s_delay_alu instid0(VALU_DEP_3) | instskip(SKIP_4) | instid1(VALU_DEP_2)
	v_cmp_lt_u32_e32 vcc_lo, 12, v7
	s_or_b32 s3, vcc_lo, s3
	s_waitcnt vmcnt(0) lgkmcnt(0)
	v_mul_f64 v[10:11], v[21:22], v[17:18]
	v_mul_f64 v[17:18], v[19:20], v[17:18]
	v_fma_f64 v[10:11], v[19:20], v[15:16], -v[10:11]
	s_delay_alu instid0(VALU_DEP_2) | instskip(NEXT) | instid1(VALU_DEP_2)
	v_fma_f64 v[15:16], v[21:22], v[15:16], v[17:18]
	v_add_f64 v[3:4], v[3:4], v[10:11]
	s_delay_alu instid0(VALU_DEP_2)
	v_add_f64 v[1:2], v[1:2], v[15:16]
	s_and_not1_b32 exec_lo, exec_lo, s3
	s_cbranch_execnz .LBB52_69
; %bb.70:
	s_or_b32 exec_lo, exec_lo, s3
	v_mov_b32_e32 v7, 0
	ds_load_b128 v[7:10], v7 offset:224
	s_waitcnt lgkmcnt(0)
	v_mul_f64 v[11:12], v[1:2], v[9:10]
	v_mul_f64 v[15:16], v[3:4], v[9:10]
	s_delay_alu instid0(VALU_DEP_2) | instskip(NEXT) | instid1(VALU_DEP_2)
	v_fma_f64 v[9:10], v[3:4], v[7:8], -v[11:12]
	v_fma_f64 v[11:12], v[1:2], v[7:8], v[15:16]
	scratch_store_b128 off, v[9:12], off offset:224
.LBB52_71:
	s_or_b32 exec_lo, exec_lo, s2
	s_waitcnt_vscnt null, 0x0
	s_barrier
	buffer_gl0_inv
	scratch_load_b128 v[1:4], v190, off
	s_mov_b32 s2, exec_lo
	s_waitcnt vmcnt(0)
	ds_store_b128 v5, v[1:4]
	s_waitcnt lgkmcnt(0)
	s_barrier
	buffer_gl0_inv
	v_cmpx_gt_u32_e32 15, v152
	s_cbranch_execz .LBB52_75
; %bb.72:
	v_dual_mov_b32 v1, 0 :: v_dual_add_nc_u32 v8, 0x350, v13
	v_dual_mov_b32 v2, 0 :: v_dual_add_nc_u32 v7, -1, v152
	v_or_b32_e32 v9, 8, v14
	s_mov_b32 s3, 0
	s_delay_alu instid0(VALU_DEP_2)
	v_dual_mov_b32 v4, v2 :: v_dual_mov_b32 v3, v1
	.p2align	6
.LBB52_73:                              ; =>This Inner Loop Header: Depth=1
	scratch_load_b128 v[15:18], v9, off offset:-8
	ds_load_b128 v[19:22], v8
	v_add_nc_u32_e32 v7, 1, v7
	v_add_nc_u32_e32 v8, 16, v8
	;; [unrolled: 1-line block ×3, first 2 shown]
	s_delay_alu instid0(VALU_DEP_3) | instskip(SKIP_4) | instid1(VALU_DEP_2)
	v_cmp_lt_u32_e32 vcc_lo, 13, v7
	s_or_b32 s3, vcc_lo, s3
	s_waitcnt vmcnt(0) lgkmcnt(0)
	v_mul_f64 v[10:11], v[21:22], v[17:18]
	v_mul_f64 v[17:18], v[19:20], v[17:18]
	v_fma_f64 v[10:11], v[19:20], v[15:16], -v[10:11]
	s_delay_alu instid0(VALU_DEP_2) | instskip(NEXT) | instid1(VALU_DEP_2)
	v_fma_f64 v[15:16], v[21:22], v[15:16], v[17:18]
	v_add_f64 v[3:4], v[3:4], v[10:11]
	s_delay_alu instid0(VALU_DEP_2)
	v_add_f64 v[1:2], v[1:2], v[15:16]
	s_and_not1_b32 exec_lo, exec_lo, s3
	s_cbranch_execnz .LBB52_73
; %bb.74:
	s_or_b32 exec_lo, exec_lo, s3
	v_mov_b32_e32 v7, 0
	ds_load_b128 v[7:10], v7 offset:240
	s_waitcnt lgkmcnt(0)
	v_mul_f64 v[11:12], v[1:2], v[9:10]
	v_mul_f64 v[15:16], v[3:4], v[9:10]
	s_delay_alu instid0(VALU_DEP_2) | instskip(NEXT) | instid1(VALU_DEP_2)
	v_fma_f64 v[9:10], v[3:4], v[7:8], -v[11:12]
	v_fma_f64 v[11:12], v[1:2], v[7:8], v[15:16]
	scratch_store_b128 off, v[9:12], off offset:240
.LBB52_75:
	s_or_b32 exec_lo, exec_lo, s2
	s_waitcnt_vscnt null, 0x0
	s_barrier
	buffer_gl0_inv
	scratch_load_b128 v[1:4], v189, off
	s_mov_b32 s2, exec_lo
	s_waitcnt vmcnt(0)
	ds_store_b128 v5, v[1:4]
	s_waitcnt lgkmcnt(0)
	s_barrier
	buffer_gl0_inv
	v_cmpx_gt_u32_e32 16, v152
	s_cbranch_execz .LBB52_79
; %bb.76:
	v_dual_mov_b32 v1, 0 :: v_dual_add_nc_u32 v8, 0x350, v13
	v_dual_mov_b32 v2, 0 :: v_dual_add_nc_u32 v7, -1, v152
	v_or_b32_e32 v9, 8, v14
	s_mov_b32 s3, 0
	s_delay_alu instid0(VALU_DEP_2)
	v_dual_mov_b32 v4, v2 :: v_dual_mov_b32 v3, v1
	.p2align	6
.LBB52_77:                              ; =>This Inner Loop Header: Depth=1
	scratch_load_b128 v[15:18], v9, off offset:-8
	ds_load_b128 v[19:22], v8
	v_add_nc_u32_e32 v7, 1, v7
	v_add_nc_u32_e32 v8, 16, v8
	v_add_nc_u32_e32 v9, 16, v9
	s_delay_alu instid0(VALU_DEP_3) | instskip(SKIP_4) | instid1(VALU_DEP_2)
	v_cmp_lt_u32_e32 vcc_lo, 14, v7
	s_or_b32 s3, vcc_lo, s3
	s_waitcnt vmcnt(0) lgkmcnt(0)
	v_mul_f64 v[10:11], v[21:22], v[17:18]
	v_mul_f64 v[17:18], v[19:20], v[17:18]
	v_fma_f64 v[10:11], v[19:20], v[15:16], -v[10:11]
	s_delay_alu instid0(VALU_DEP_2) | instskip(NEXT) | instid1(VALU_DEP_2)
	v_fma_f64 v[15:16], v[21:22], v[15:16], v[17:18]
	v_add_f64 v[3:4], v[3:4], v[10:11]
	s_delay_alu instid0(VALU_DEP_2)
	v_add_f64 v[1:2], v[1:2], v[15:16]
	s_and_not1_b32 exec_lo, exec_lo, s3
	s_cbranch_execnz .LBB52_77
; %bb.78:
	s_or_b32 exec_lo, exec_lo, s3
	v_mov_b32_e32 v7, 0
	ds_load_b128 v[7:10], v7 offset:256
	s_waitcnt lgkmcnt(0)
	v_mul_f64 v[11:12], v[1:2], v[9:10]
	v_mul_f64 v[15:16], v[3:4], v[9:10]
	s_delay_alu instid0(VALU_DEP_2) | instskip(NEXT) | instid1(VALU_DEP_2)
	v_fma_f64 v[9:10], v[3:4], v[7:8], -v[11:12]
	v_fma_f64 v[11:12], v[1:2], v[7:8], v[15:16]
	scratch_store_b128 off, v[9:12], off offset:256
.LBB52_79:
	s_or_b32 exec_lo, exec_lo, s2
	s_waitcnt_vscnt null, 0x0
	s_barrier
	buffer_gl0_inv
	scratch_load_b128 v[1:4], v188, off
	s_mov_b32 s2, exec_lo
	s_waitcnt vmcnt(0)
	ds_store_b128 v5, v[1:4]
	s_waitcnt lgkmcnt(0)
	s_barrier
	buffer_gl0_inv
	v_cmpx_gt_u32_e32 17, v152
	s_cbranch_execz .LBB52_83
; %bb.80:
	v_dual_mov_b32 v1, 0 :: v_dual_add_nc_u32 v8, 0x350, v13
	v_dual_mov_b32 v2, 0 :: v_dual_add_nc_u32 v7, -1, v152
	v_or_b32_e32 v9, 8, v14
	s_mov_b32 s3, 0
	s_delay_alu instid0(VALU_DEP_2)
	v_dual_mov_b32 v4, v2 :: v_dual_mov_b32 v3, v1
	.p2align	6
.LBB52_81:                              ; =>This Inner Loop Header: Depth=1
	scratch_load_b128 v[15:18], v9, off offset:-8
	ds_load_b128 v[19:22], v8
	v_add_nc_u32_e32 v7, 1, v7
	v_add_nc_u32_e32 v8, 16, v8
	;; [unrolled: 1-line block ×3, first 2 shown]
	s_delay_alu instid0(VALU_DEP_3) | instskip(SKIP_4) | instid1(VALU_DEP_2)
	v_cmp_lt_u32_e32 vcc_lo, 15, v7
	s_or_b32 s3, vcc_lo, s3
	s_waitcnt vmcnt(0) lgkmcnt(0)
	v_mul_f64 v[10:11], v[21:22], v[17:18]
	v_mul_f64 v[17:18], v[19:20], v[17:18]
	v_fma_f64 v[10:11], v[19:20], v[15:16], -v[10:11]
	s_delay_alu instid0(VALU_DEP_2) | instskip(NEXT) | instid1(VALU_DEP_2)
	v_fma_f64 v[15:16], v[21:22], v[15:16], v[17:18]
	v_add_f64 v[3:4], v[3:4], v[10:11]
	s_delay_alu instid0(VALU_DEP_2)
	v_add_f64 v[1:2], v[1:2], v[15:16]
	s_and_not1_b32 exec_lo, exec_lo, s3
	s_cbranch_execnz .LBB52_81
; %bb.82:
	s_or_b32 exec_lo, exec_lo, s3
	v_mov_b32_e32 v7, 0
	ds_load_b128 v[7:10], v7 offset:272
	s_waitcnt lgkmcnt(0)
	v_mul_f64 v[11:12], v[1:2], v[9:10]
	v_mul_f64 v[15:16], v[3:4], v[9:10]
	s_delay_alu instid0(VALU_DEP_2) | instskip(NEXT) | instid1(VALU_DEP_2)
	v_fma_f64 v[9:10], v[3:4], v[7:8], -v[11:12]
	v_fma_f64 v[11:12], v[1:2], v[7:8], v[15:16]
	scratch_store_b128 off, v[9:12], off offset:272
.LBB52_83:
	s_or_b32 exec_lo, exec_lo, s2
	s_waitcnt_vscnt null, 0x0
	s_barrier
	buffer_gl0_inv
	scratch_load_b128 v[1:4], v187, off
	s_mov_b32 s2, exec_lo
	s_waitcnt vmcnt(0)
	ds_store_b128 v5, v[1:4]
	s_waitcnt lgkmcnt(0)
	s_barrier
	buffer_gl0_inv
	v_cmpx_gt_u32_e32 18, v152
	s_cbranch_execz .LBB52_87
; %bb.84:
	v_dual_mov_b32 v1, 0 :: v_dual_add_nc_u32 v8, 0x350, v13
	v_dual_mov_b32 v2, 0 :: v_dual_add_nc_u32 v7, -1, v152
	v_or_b32_e32 v9, 8, v14
	s_mov_b32 s3, 0
	s_delay_alu instid0(VALU_DEP_2)
	v_dual_mov_b32 v4, v2 :: v_dual_mov_b32 v3, v1
	.p2align	6
.LBB52_85:                              ; =>This Inner Loop Header: Depth=1
	scratch_load_b128 v[15:18], v9, off offset:-8
	ds_load_b128 v[19:22], v8
	v_add_nc_u32_e32 v7, 1, v7
	v_add_nc_u32_e32 v8, 16, v8
	;; [unrolled: 1-line block ×3, first 2 shown]
	s_delay_alu instid0(VALU_DEP_3) | instskip(SKIP_4) | instid1(VALU_DEP_2)
	v_cmp_lt_u32_e32 vcc_lo, 16, v7
	s_or_b32 s3, vcc_lo, s3
	s_waitcnt vmcnt(0) lgkmcnt(0)
	v_mul_f64 v[10:11], v[21:22], v[17:18]
	v_mul_f64 v[17:18], v[19:20], v[17:18]
	v_fma_f64 v[10:11], v[19:20], v[15:16], -v[10:11]
	s_delay_alu instid0(VALU_DEP_2) | instskip(NEXT) | instid1(VALU_DEP_2)
	v_fma_f64 v[15:16], v[21:22], v[15:16], v[17:18]
	v_add_f64 v[3:4], v[3:4], v[10:11]
	s_delay_alu instid0(VALU_DEP_2)
	v_add_f64 v[1:2], v[1:2], v[15:16]
	s_and_not1_b32 exec_lo, exec_lo, s3
	s_cbranch_execnz .LBB52_85
; %bb.86:
	s_or_b32 exec_lo, exec_lo, s3
	v_mov_b32_e32 v7, 0
	ds_load_b128 v[7:10], v7 offset:288
	s_waitcnt lgkmcnt(0)
	v_mul_f64 v[11:12], v[1:2], v[9:10]
	v_mul_f64 v[15:16], v[3:4], v[9:10]
	s_delay_alu instid0(VALU_DEP_2) | instskip(NEXT) | instid1(VALU_DEP_2)
	v_fma_f64 v[9:10], v[3:4], v[7:8], -v[11:12]
	v_fma_f64 v[11:12], v[1:2], v[7:8], v[15:16]
	scratch_store_b128 off, v[9:12], off offset:288
.LBB52_87:
	s_or_b32 exec_lo, exec_lo, s2
	s_waitcnt_vscnt null, 0x0
	s_barrier
	buffer_gl0_inv
	scratch_load_b128 v[1:4], v186, off
	s_mov_b32 s2, exec_lo
	s_waitcnt vmcnt(0)
	ds_store_b128 v5, v[1:4]
	s_waitcnt lgkmcnt(0)
	s_barrier
	buffer_gl0_inv
	v_cmpx_gt_u32_e32 19, v152
	s_cbranch_execz .LBB52_91
; %bb.88:
	v_dual_mov_b32 v1, 0 :: v_dual_add_nc_u32 v8, 0x350, v13
	v_dual_mov_b32 v2, 0 :: v_dual_add_nc_u32 v7, -1, v152
	v_or_b32_e32 v9, 8, v14
	s_mov_b32 s3, 0
	s_delay_alu instid0(VALU_DEP_2)
	v_dual_mov_b32 v4, v2 :: v_dual_mov_b32 v3, v1
	.p2align	6
.LBB52_89:                              ; =>This Inner Loop Header: Depth=1
	scratch_load_b128 v[15:18], v9, off offset:-8
	ds_load_b128 v[19:22], v8
	v_add_nc_u32_e32 v7, 1, v7
	v_add_nc_u32_e32 v8, 16, v8
	;; [unrolled: 1-line block ×3, first 2 shown]
	s_delay_alu instid0(VALU_DEP_3) | instskip(SKIP_4) | instid1(VALU_DEP_2)
	v_cmp_lt_u32_e32 vcc_lo, 17, v7
	s_or_b32 s3, vcc_lo, s3
	s_waitcnt vmcnt(0) lgkmcnt(0)
	v_mul_f64 v[10:11], v[21:22], v[17:18]
	v_mul_f64 v[17:18], v[19:20], v[17:18]
	v_fma_f64 v[10:11], v[19:20], v[15:16], -v[10:11]
	s_delay_alu instid0(VALU_DEP_2) | instskip(NEXT) | instid1(VALU_DEP_2)
	v_fma_f64 v[15:16], v[21:22], v[15:16], v[17:18]
	v_add_f64 v[3:4], v[3:4], v[10:11]
	s_delay_alu instid0(VALU_DEP_2)
	v_add_f64 v[1:2], v[1:2], v[15:16]
	s_and_not1_b32 exec_lo, exec_lo, s3
	s_cbranch_execnz .LBB52_89
; %bb.90:
	s_or_b32 exec_lo, exec_lo, s3
	v_mov_b32_e32 v7, 0
	ds_load_b128 v[7:10], v7 offset:304
	s_waitcnt lgkmcnt(0)
	v_mul_f64 v[11:12], v[1:2], v[9:10]
	v_mul_f64 v[15:16], v[3:4], v[9:10]
	s_delay_alu instid0(VALU_DEP_2) | instskip(NEXT) | instid1(VALU_DEP_2)
	v_fma_f64 v[9:10], v[3:4], v[7:8], -v[11:12]
	v_fma_f64 v[11:12], v[1:2], v[7:8], v[15:16]
	scratch_store_b128 off, v[9:12], off offset:304
.LBB52_91:
	s_or_b32 exec_lo, exec_lo, s2
	s_waitcnt_vscnt null, 0x0
	s_barrier
	buffer_gl0_inv
	scratch_load_b128 v[1:4], v185, off
	s_mov_b32 s2, exec_lo
	s_waitcnt vmcnt(0)
	ds_store_b128 v5, v[1:4]
	s_waitcnt lgkmcnt(0)
	s_barrier
	buffer_gl0_inv
	v_cmpx_gt_u32_e32 20, v152
	s_cbranch_execz .LBB52_95
; %bb.92:
	v_dual_mov_b32 v1, 0 :: v_dual_add_nc_u32 v8, 0x350, v13
	v_dual_mov_b32 v2, 0 :: v_dual_add_nc_u32 v7, -1, v152
	v_or_b32_e32 v9, 8, v14
	s_mov_b32 s3, 0
	s_delay_alu instid0(VALU_DEP_2)
	v_dual_mov_b32 v4, v2 :: v_dual_mov_b32 v3, v1
	.p2align	6
.LBB52_93:                              ; =>This Inner Loop Header: Depth=1
	scratch_load_b128 v[15:18], v9, off offset:-8
	ds_load_b128 v[19:22], v8
	v_add_nc_u32_e32 v7, 1, v7
	v_add_nc_u32_e32 v8, 16, v8
	;; [unrolled: 1-line block ×3, first 2 shown]
	s_delay_alu instid0(VALU_DEP_3) | instskip(SKIP_4) | instid1(VALU_DEP_2)
	v_cmp_lt_u32_e32 vcc_lo, 18, v7
	s_or_b32 s3, vcc_lo, s3
	s_waitcnt vmcnt(0) lgkmcnt(0)
	v_mul_f64 v[10:11], v[21:22], v[17:18]
	v_mul_f64 v[17:18], v[19:20], v[17:18]
	v_fma_f64 v[10:11], v[19:20], v[15:16], -v[10:11]
	s_delay_alu instid0(VALU_DEP_2) | instskip(NEXT) | instid1(VALU_DEP_2)
	v_fma_f64 v[15:16], v[21:22], v[15:16], v[17:18]
	v_add_f64 v[3:4], v[3:4], v[10:11]
	s_delay_alu instid0(VALU_DEP_2)
	v_add_f64 v[1:2], v[1:2], v[15:16]
	s_and_not1_b32 exec_lo, exec_lo, s3
	s_cbranch_execnz .LBB52_93
; %bb.94:
	s_or_b32 exec_lo, exec_lo, s3
	v_mov_b32_e32 v7, 0
	ds_load_b128 v[7:10], v7 offset:320
	s_waitcnt lgkmcnt(0)
	v_mul_f64 v[11:12], v[1:2], v[9:10]
	v_mul_f64 v[15:16], v[3:4], v[9:10]
	s_delay_alu instid0(VALU_DEP_2) | instskip(NEXT) | instid1(VALU_DEP_2)
	v_fma_f64 v[9:10], v[3:4], v[7:8], -v[11:12]
	v_fma_f64 v[11:12], v[1:2], v[7:8], v[15:16]
	scratch_store_b128 off, v[9:12], off offset:320
.LBB52_95:
	s_or_b32 exec_lo, exec_lo, s2
	s_waitcnt_vscnt null, 0x0
	s_barrier
	buffer_gl0_inv
	scratch_load_b128 v[1:4], v184, off
	s_mov_b32 s2, exec_lo
	s_waitcnt vmcnt(0)
	ds_store_b128 v5, v[1:4]
	s_waitcnt lgkmcnt(0)
	s_barrier
	buffer_gl0_inv
	v_cmpx_gt_u32_e32 21, v152
	s_cbranch_execz .LBB52_99
; %bb.96:
	v_dual_mov_b32 v1, 0 :: v_dual_add_nc_u32 v8, 0x350, v13
	v_dual_mov_b32 v2, 0 :: v_dual_add_nc_u32 v7, -1, v152
	v_or_b32_e32 v9, 8, v14
	s_mov_b32 s3, 0
	s_delay_alu instid0(VALU_DEP_2)
	v_dual_mov_b32 v4, v2 :: v_dual_mov_b32 v3, v1
	.p2align	6
.LBB52_97:                              ; =>This Inner Loop Header: Depth=1
	scratch_load_b128 v[15:18], v9, off offset:-8
	ds_load_b128 v[19:22], v8
	v_add_nc_u32_e32 v7, 1, v7
	v_add_nc_u32_e32 v8, 16, v8
	v_add_nc_u32_e32 v9, 16, v9
	s_delay_alu instid0(VALU_DEP_3) | instskip(SKIP_4) | instid1(VALU_DEP_2)
	v_cmp_lt_u32_e32 vcc_lo, 19, v7
	s_or_b32 s3, vcc_lo, s3
	s_waitcnt vmcnt(0) lgkmcnt(0)
	v_mul_f64 v[10:11], v[21:22], v[17:18]
	v_mul_f64 v[17:18], v[19:20], v[17:18]
	v_fma_f64 v[10:11], v[19:20], v[15:16], -v[10:11]
	s_delay_alu instid0(VALU_DEP_2) | instskip(NEXT) | instid1(VALU_DEP_2)
	v_fma_f64 v[15:16], v[21:22], v[15:16], v[17:18]
	v_add_f64 v[3:4], v[3:4], v[10:11]
	s_delay_alu instid0(VALU_DEP_2)
	v_add_f64 v[1:2], v[1:2], v[15:16]
	s_and_not1_b32 exec_lo, exec_lo, s3
	s_cbranch_execnz .LBB52_97
; %bb.98:
	s_or_b32 exec_lo, exec_lo, s3
	v_mov_b32_e32 v7, 0
	ds_load_b128 v[7:10], v7 offset:336
	s_waitcnt lgkmcnt(0)
	v_mul_f64 v[11:12], v[1:2], v[9:10]
	v_mul_f64 v[15:16], v[3:4], v[9:10]
	s_delay_alu instid0(VALU_DEP_2) | instskip(NEXT) | instid1(VALU_DEP_2)
	v_fma_f64 v[9:10], v[3:4], v[7:8], -v[11:12]
	v_fma_f64 v[11:12], v[1:2], v[7:8], v[15:16]
	scratch_store_b128 off, v[9:12], off offset:336
.LBB52_99:
	s_or_b32 exec_lo, exec_lo, s2
	s_waitcnt_vscnt null, 0x0
	s_barrier
	buffer_gl0_inv
	scratch_load_b128 v[1:4], v183, off
	s_mov_b32 s2, exec_lo
	s_waitcnt vmcnt(0)
	ds_store_b128 v5, v[1:4]
	s_waitcnt lgkmcnt(0)
	s_barrier
	buffer_gl0_inv
	v_cmpx_gt_u32_e32 22, v152
	s_cbranch_execz .LBB52_103
; %bb.100:
	v_dual_mov_b32 v1, 0 :: v_dual_add_nc_u32 v8, 0x350, v13
	v_dual_mov_b32 v2, 0 :: v_dual_add_nc_u32 v7, -1, v152
	v_or_b32_e32 v9, 8, v14
	s_mov_b32 s3, 0
	s_delay_alu instid0(VALU_DEP_2)
	v_dual_mov_b32 v4, v2 :: v_dual_mov_b32 v3, v1
	.p2align	6
.LBB52_101:                             ; =>This Inner Loop Header: Depth=1
	scratch_load_b128 v[15:18], v9, off offset:-8
	ds_load_b128 v[19:22], v8
	v_add_nc_u32_e32 v7, 1, v7
	v_add_nc_u32_e32 v8, 16, v8
	v_add_nc_u32_e32 v9, 16, v9
	s_delay_alu instid0(VALU_DEP_3) | instskip(SKIP_4) | instid1(VALU_DEP_2)
	v_cmp_lt_u32_e32 vcc_lo, 20, v7
	s_or_b32 s3, vcc_lo, s3
	s_waitcnt vmcnt(0) lgkmcnt(0)
	v_mul_f64 v[10:11], v[21:22], v[17:18]
	v_mul_f64 v[17:18], v[19:20], v[17:18]
	v_fma_f64 v[10:11], v[19:20], v[15:16], -v[10:11]
	s_delay_alu instid0(VALU_DEP_2) | instskip(NEXT) | instid1(VALU_DEP_2)
	v_fma_f64 v[15:16], v[21:22], v[15:16], v[17:18]
	v_add_f64 v[3:4], v[3:4], v[10:11]
	s_delay_alu instid0(VALU_DEP_2)
	v_add_f64 v[1:2], v[1:2], v[15:16]
	s_and_not1_b32 exec_lo, exec_lo, s3
	s_cbranch_execnz .LBB52_101
; %bb.102:
	s_or_b32 exec_lo, exec_lo, s3
	v_mov_b32_e32 v7, 0
	ds_load_b128 v[7:10], v7 offset:352
	s_waitcnt lgkmcnt(0)
	v_mul_f64 v[11:12], v[1:2], v[9:10]
	v_mul_f64 v[15:16], v[3:4], v[9:10]
	s_delay_alu instid0(VALU_DEP_2) | instskip(NEXT) | instid1(VALU_DEP_2)
	v_fma_f64 v[9:10], v[3:4], v[7:8], -v[11:12]
	v_fma_f64 v[11:12], v[1:2], v[7:8], v[15:16]
	scratch_store_b128 off, v[9:12], off offset:352
.LBB52_103:
	s_or_b32 exec_lo, exec_lo, s2
	s_waitcnt_vscnt null, 0x0
	s_barrier
	buffer_gl0_inv
	scratch_load_b128 v[1:4], v182, off
	s_mov_b32 s2, exec_lo
	s_waitcnt vmcnt(0)
	ds_store_b128 v5, v[1:4]
	s_waitcnt lgkmcnt(0)
	s_barrier
	buffer_gl0_inv
	v_cmpx_gt_u32_e32 23, v152
	s_cbranch_execz .LBB52_107
; %bb.104:
	v_dual_mov_b32 v1, 0 :: v_dual_add_nc_u32 v8, 0x350, v13
	v_dual_mov_b32 v2, 0 :: v_dual_add_nc_u32 v7, -1, v152
	v_or_b32_e32 v9, 8, v14
	s_mov_b32 s3, 0
	s_delay_alu instid0(VALU_DEP_2)
	v_dual_mov_b32 v4, v2 :: v_dual_mov_b32 v3, v1
	.p2align	6
.LBB52_105:                             ; =>This Inner Loop Header: Depth=1
	scratch_load_b128 v[15:18], v9, off offset:-8
	ds_load_b128 v[19:22], v8
	v_add_nc_u32_e32 v7, 1, v7
	v_add_nc_u32_e32 v8, 16, v8
	;; [unrolled: 1-line block ×3, first 2 shown]
	s_delay_alu instid0(VALU_DEP_3) | instskip(SKIP_4) | instid1(VALU_DEP_2)
	v_cmp_lt_u32_e32 vcc_lo, 21, v7
	s_or_b32 s3, vcc_lo, s3
	s_waitcnt vmcnt(0) lgkmcnt(0)
	v_mul_f64 v[10:11], v[21:22], v[17:18]
	v_mul_f64 v[17:18], v[19:20], v[17:18]
	v_fma_f64 v[10:11], v[19:20], v[15:16], -v[10:11]
	s_delay_alu instid0(VALU_DEP_2) | instskip(NEXT) | instid1(VALU_DEP_2)
	v_fma_f64 v[15:16], v[21:22], v[15:16], v[17:18]
	v_add_f64 v[3:4], v[3:4], v[10:11]
	s_delay_alu instid0(VALU_DEP_2)
	v_add_f64 v[1:2], v[1:2], v[15:16]
	s_and_not1_b32 exec_lo, exec_lo, s3
	s_cbranch_execnz .LBB52_105
; %bb.106:
	s_or_b32 exec_lo, exec_lo, s3
	v_mov_b32_e32 v7, 0
	ds_load_b128 v[7:10], v7 offset:368
	s_waitcnt lgkmcnt(0)
	v_mul_f64 v[11:12], v[1:2], v[9:10]
	v_mul_f64 v[15:16], v[3:4], v[9:10]
	s_delay_alu instid0(VALU_DEP_2) | instskip(NEXT) | instid1(VALU_DEP_2)
	v_fma_f64 v[9:10], v[3:4], v[7:8], -v[11:12]
	v_fma_f64 v[11:12], v[1:2], v[7:8], v[15:16]
	scratch_store_b128 off, v[9:12], off offset:368
.LBB52_107:
	s_or_b32 exec_lo, exec_lo, s2
	s_waitcnt_vscnt null, 0x0
	s_barrier
	buffer_gl0_inv
	scratch_load_b128 v[1:4], v181, off
	s_mov_b32 s2, exec_lo
	s_waitcnt vmcnt(0)
	ds_store_b128 v5, v[1:4]
	s_waitcnt lgkmcnt(0)
	s_barrier
	buffer_gl0_inv
	v_cmpx_gt_u32_e32 24, v152
	s_cbranch_execz .LBB52_111
; %bb.108:
	v_dual_mov_b32 v1, 0 :: v_dual_add_nc_u32 v8, 0x350, v13
	v_dual_mov_b32 v2, 0 :: v_dual_add_nc_u32 v7, -1, v152
	v_or_b32_e32 v9, 8, v14
	s_mov_b32 s3, 0
	s_delay_alu instid0(VALU_DEP_2)
	v_dual_mov_b32 v4, v2 :: v_dual_mov_b32 v3, v1
	.p2align	6
.LBB52_109:                             ; =>This Inner Loop Header: Depth=1
	scratch_load_b128 v[15:18], v9, off offset:-8
	ds_load_b128 v[19:22], v8
	v_add_nc_u32_e32 v7, 1, v7
	v_add_nc_u32_e32 v8, 16, v8
	;; [unrolled: 1-line block ×3, first 2 shown]
	s_delay_alu instid0(VALU_DEP_3) | instskip(SKIP_4) | instid1(VALU_DEP_2)
	v_cmp_lt_u32_e32 vcc_lo, 22, v7
	s_or_b32 s3, vcc_lo, s3
	s_waitcnt vmcnt(0) lgkmcnt(0)
	v_mul_f64 v[10:11], v[21:22], v[17:18]
	v_mul_f64 v[17:18], v[19:20], v[17:18]
	v_fma_f64 v[10:11], v[19:20], v[15:16], -v[10:11]
	s_delay_alu instid0(VALU_DEP_2) | instskip(NEXT) | instid1(VALU_DEP_2)
	v_fma_f64 v[15:16], v[21:22], v[15:16], v[17:18]
	v_add_f64 v[3:4], v[3:4], v[10:11]
	s_delay_alu instid0(VALU_DEP_2)
	v_add_f64 v[1:2], v[1:2], v[15:16]
	s_and_not1_b32 exec_lo, exec_lo, s3
	s_cbranch_execnz .LBB52_109
; %bb.110:
	s_or_b32 exec_lo, exec_lo, s3
	v_mov_b32_e32 v7, 0
	ds_load_b128 v[7:10], v7 offset:384
	s_waitcnt lgkmcnt(0)
	v_mul_f64 v[11:12], v[1:2], v[9:10]
	v_mul_f64 v[15:16], v[3:4], v[9:10]
	s_delay_alu instid0(VALU_DEP_2) | instskip(NEXT) | instid1(VALU_DEP_2)
	v_fma_f64 v[9:10], v[3:4], v[7:8], -v[11:12]
	v_fma_f64 v[11:12], v[1:2], v[7:8], v[15:16]
	scratch_store_b128 off, v[9:12], off offset:384
.LBB52_111:
	s_or_b32 exec_lo, exec_lo, s2
	s_waitcnt_vscnt null, 0x0
	s_barrier
	buffer_gl0_inv
	scratch_load_b128 v[1:4], v180, off
	s_mov_b32 s2, exec_lo
	s_waitcnt vmcnt(0)
	ds_store_b128 v5, v[1:4]
	s_waitcnt lgkmcnt(0)
	s_barrier
	buffer_gl0_inv
	v_cmpx_gt_u32_e32 25, v152
	s_cbranch_execz .LBB52_115
; %bb.112:
	v_dual_mov_b32 v1, 0 :: v_dual_add_nc_u32 v8, 0x350, v13
	v_dual_mov_b32 v2, 0 :: v_dual_add_nc_u32 v7, -1, v152
	v_or_b32_e32 v9, 8, v14
	s_mov_b32 s3, 0
	s_delay_alu instid0(VALU_DEP_2)
	v_dual_mov_b32 v4, v2 :: v_dual_mov_b32 v3, v1
	.p2align	6
.LBB52_113:                             ; =>This Inner Loop Header: Depth=1
	scratch_load_b128 v[15:18], v9, off offset:-8
	ds_load_b128 v[19:22], v8
	v_add_nc_u32_e32 v7, 1, v7
	v_add_nc_u32_e32 v8, 16, v8
	;; [unrolled: 1-line block ×3, first 2 shown]
	s_delay_alu instid0(VALU_DEP_3) | instskip(SKIP_4) | instid1(VALU_DEP_2)
	v_cmp_lt_u32_e32 vcc_lo, 23, v7
	s_or_b32 s3, vcc_lo, s3
	s_waitcnt vmcnt(0) lgkmcnt(0)
	v_mul_f64 v[10:11], v[21:22], v[17:18]
	v_mul_f64 v[17:18], v[19:20], v[17:18]
	v_fma_f64 v[10:11], v[19:20], v[15:16], -v[10:11]
	s_delay_alu instid0(VALU_DEP_2) | instskip(NEXT) | instid1(VALU_DEP_2)
	v_fma_f64 v[15:16], v[21:22], v[15:16], v[17:18]
	v_add_f64 v[3:4], v[3:4], v[10:11]
	s_delay_alu instid0(VALU_DEP_2)
	v_add_f64 v[1:2], v[1:2], v[15:16]
	s_and_not1_b32 exec_lo, exec_lo, s3
	s_cbranch_execnz .LBB52_113
; %bb.114:
	s_or_b32 exec_lo, exec_lo, s3
	v_mov_b32_e32 v7, 0
	ds_load_b128 v[7:10], v7 offset:400
	s_waitcnt lgkmcnt(0)
	v_mul_f64 v[11:12], v[1:2], v[9:10]
	v_mul_f64 v[15:16], v[3:4], v[9:10]
	s_delay_alu instid0(VALU_DEP_2) | instskip(NEXT) | instid1(VALU_DEP_2)
	v_fma_f64 v[9:10], v[3:4], v[7:8], -v[11:12]
	v_fma_f64 v[11:12], v[1:2], v[7:8], v[15:16]
	scratch_store_b128 off, v[9:12], off offset:400
.LBB52_115:
	s_or_b32 exec_lo, exec_lo, s2
	s_waitcnt_vscnt null, 0x0
	s_barrier
	buffer_gl0_inv
	scratch_load_b128 v[1:4], v179, off
	s_mov_b32 s2, exec_lo
	s_waitcnt vmcnt(0)
	ds_store_b128 v5, v[1:4]
	s_waitcnt lgkmcnt(0)
	s_barrier
	buffer_gl0_inv
	v_cmpx_gt_u32_e32 26, v152
	s_cbranch_execz .LBB52_119
; %bb.116:
	v_dual_mov_b32 v1, 0 :: v_dual_add_nc_u32 v8, 0x350, v13
	v_dual_mov_b32 v2, 0 :: v_dual_add_nc_u32 v7, -1, v152
	v_or_b32_e32 v9, 8, v14
	s_mov_b32 s3, 0
	s_delay_alu instid0(VALU_DEP_2)
	v_dual_mov_b32 v4, v2 :: v_dual_mov_b32 v3, v1
	.p2align	6
.LBB52_117:                             ; =>This Inner Loop Header: Depth=1
	scratch_load_b128 v[15:18], v9, off offset:-8
	ds_load_b128 v[19:22], v8
	v_add_nc_u32_e32 v7, 1, v7
	v_add_nc_u32_e32 v8, 16, v8
	;; [unrolled: 1-line block ×3, first 2 shown]
	s_delay_alu instid0(VALU_DEP_3) | instskip(SKIP_4) | instid1(VALU_DEP_2)
	v_cmp_lt_u32_e32 vcc_lo, 24, v7
	s_or_b32 s3, vcc_lo, s3
	s_waitcnt vmcnt(0) lgkmcnt(0)
	v_mul_f64 v[10:11], v[21:22], v[17:18]
	v_mul_f64 v[17:18], v[19:20], v[17:18]
	v_fma_f64 v[10:11], v[19:20], v[15:16], -v[10:11]
	s_delay_alu instid0(VALU_DEP_2) | instskip(NEXT) | instid1(VALU_DEP_2)
	v_fma_f64 v[15:16], v[21:22], v[15:16], v[17:18]
	v_add_f64 v[3:4], v[3:4], v[10:11]
	s_delay_alu instid0(VALU_DEP_2)
	v_add_f64 v[1:2], v[1:2], v[15:16]
	s_and_not1_b32 exec_lo, exec_lo, s3
	s_cbranch_execnz .LBB52_117
; %bb.118:
	s_or_b32 exec_lo, exec_lo, s3
	v_mov_b32_e32 v7, 0
	ds_load_b128 v[7:10], v7 offset:416
	s_waitcnt lgkmcnt(0)
	v_mul_f64 v[11:12], v[1:2], v[9:10]
	v_mul_f64 v[15:16], v[3:4], v[9:10]
	s_delay_alu instid0(VALU_DEP_2) | instskip(NEXT) | instid1(VALU_DEP_2)
	v_fma_f64 v[9:10], v[3:4], v[7:8], -v[11:12]
	v_fma_f64 v[11:12], v[1:2], v[7:8], v[15:16]
	scratch_store_b128 off, v[9:12], off offset:416
.LBB52_119:
	s_or_b32 exec_lo, exec_lo, s2
	s_waitcnt_vscnt null, 0x0
	s_barrier
	buffer_gl0_inv
	scratch_load_b128 v[1:4], v178, off
	s_mov_b32 s2, exec_lo
	s_waitcnt vmcnt(0)
	ds_store_b128 v5, v[1:4]
	s_waitcnt lgkmcnt(0)
	s_barrier
	buffer_gl0_inv
	v_cmpx_gt_u32_e32 27, v152
	s_cbranch_execz .LBB52_123
; %bb.120:
	v_dual_mov_b32 v1, 0 :: v_dual_add_nc_u32 v8, 0x350, v13
	v_dual_mov_b32 v2, 0 :: v_dual_add_nc_u32 v7, -1, v152
	v_or_b32_e32 v9, 8, v14
	s_mov_b32 s3, 0
	s_delay_alu instid0(VALU_DEP_2)
	v_dual_mov_b32 v4, v2 :: v_dual_mov_b32 v3, v1
	.p2align	6
.LBB52_121:                             ; =>This Inner Loop Header: Depth=1
	scratch_load_b128 v[15:18], v9, off offset:-8
	ds_load_b128 v[19:22], v8
	v_add_nc_u32_e32 v7, 1, v7
	v_add_nc_u32_e32 v8, 16, v8
	;; [unrolled: 1-line block ×3, first 2 shown]
	s_delay_alu instid0(VALU_DEP_3) | instskip(SKIP_4) | instid1(VALU_DEP_2)
	v_cmp_lt_u32_e32 vcc_lo, 25, v7
	s_or_b32 s3, vcc_lo, s3
	s_waitcnt vmcnt(0) lgkmcnt(0)
	v_mul_f64 v[10:11], v[21:22], v[17:18]
	v_mul_f64 v[17:18], v[19:20], v[17:18]
	v_fma_f64 v[10:11], v[19:20], v[15:16], -v[10:11]
	s_delay_alu instid0(VALU_DEP_2) | instskip(NEXT) | instid1(VALU_DEP_2)
	v_fma_f64 v[15:16], v[21:22], v[15:16], v[17:18]
	v_add_f64 v[3:4], v[3:4], v[10:11]
	s_delay_alu instid0(VALU_DEP_2)
	v_add_f64 v[1:2], v[1:2], v[15:16]
	s_and_not1_b32 exec_lo, exec_lo, s3
	s_cbranch_execnz .LBB52_121
; %bb.122:
	s_or_b32 exec_lo, exec_lo, s3
	v_mov_b32_e32 v7, 0
	ds_load_b128 v[7:10], v7 offset:432
	s_waitcnt lgkmcnt(0)
	v_mul_f64 v[11:12], v[1:2], v[9:10]
	v_mul_f64 v[15:16], v[3:4], v[9:10]
	s_delay_alu instid0(VALU_DEP_2) | instskip(NEXT) | instid1(VALU_DEP_2)
	v_fma_f64 v[9:10], v[3:4], v[7:8], -v[11:12]
	v_fma_f64 v[11:12], v[1:2], v[7:8], v[15:16]
	scratch_store_b128 off, v[9:12], off offset:432
.LBB52_123:
	s_or_b32 exec_lo, exec_lo, s2
	s_waitcnt_vscnt null, 0x0
	s_barrier
	buffer_gl0_inv
	scratch_load_b128 v[1:4], v176, off
	s_mov_b32 s2, exec_lo
	s_waitcnt vmcnt(0)
	ds_store_b128 v5, v[1:4]
	s_waitcnt lgkmcnt(0)
	s_barrier
	buffer_gl0_inv
	v_cmpx_gt_u32_e32 28, v152
	s_cbranch_execz .LBB52_127
; %bb.124:
	v_dual_mov_b32 v1, 0 :: v_dual_add_nc_u32 v8, 0x350, v13
	v_dual_mov_b32 v2, 0 :: v_dual_add_nc_u32 v7, -1, v152
	v_or_b32_e32 v9, 8, v14
	s_mov_b32 s3, 0
	s_delay_alu instid0(VALU_DEP_2)
	v_dual_mov_b32 v4, v2 :: v_dual_mov_b32 v3, v1
	.p2align	6
.LBB52_125:                             ; =>This Inner Loop Header: Depth=1
	scratch_load_b128 v[15:18], v9, off offset:-8
	ds_load_b128 v[19:22], v8
	v_add_nc_u32_e32 v7, 1, v7
	v_add_nc_u32_e32 v8, 16, v8
	;; [unrolled: 1-line block ×3, first 2 shown]
	s_delay_alu instid0(VALU_DEP_3) | instskip(SKIP_4) | instid1(VALU_DEP_2)
	v_cmp_lt_u32_e32 vcc_lo, 26, v7
	s_or_b32 s3, vcc_lo, s3
	s_waitcnt vmcnt(0) lgkmcnt(0)
	v_mul_f64 v[10:11], v[21:22], v[17:18]
	v_mul_f64 v[17:18], v[19:20], v[17:18]
	v_fma_f64 v[10:11], v[19:20], v[15:16], -v[10:11]
	s_delay_alu instid0(VALU_DEP_2) | instskip(NEXT) | instid1(VALU_DEP_2)
	v_fma_f64 v[15:16], v[21:22], v[15:16], v[17:18]
	v_add_f64 v[3:4], v[3:4], v[10:11]
	s_delay_alu instid0(VALU_DEP_2)
	v_add_f64 v[1:2], v[1:2], v[15:16]
	s_and_not1_b32 exec_lo, exec_lo, s3
	s_cbranch_execnz .LBB52_125
; %bb.126:
	s_or_b32 exec_lo, exec_lo, s3
	v_mov_b32_e32 v7, 0
	ds_load_b128 v[7:10], v7 offset:448
	s_waitcnt lgkmcnt(0)
	v_mul_f64 v[11:12], v[1:2], v[9:10]
	v_mul_f64 v[15:16], v[3:4], v[9:10]
	s_delay_alu instid0(VALU_DEP_2) | instskip(NEXT) | instid1(VALU_DEP_2)
	v_fma_f64 v[9:10], v[3:4], v[7:8], -v[11:12]
	v_fma_f64 v[11:12], v[1:2], v[7:8], v[15:16]
	scratch_store_b128 off, v[9:12], off offset:448
.LBB52_127:
	s_or_b32 exec_lo, exec_lo, s2
	s_waitcnt_vscnt null, 0x0
	s_barrier
	buffer_gl0_inv
	scratch_load_b128 v[1:4], v216, off
	s_mov_b32 s2, exec_lo
	s_waitcnt vmcnt(0)
	ds_store_b128 v5, v[1:4]
	s_waitcnt lgkmcnt(0)
	s_barrier
	buffer_gl0_inv
	v_cmpx_gt_u32_e32 29, v152
	s_cbranch_execz .LBB52_131
; %bb.128:
	v_dual_mov_b32 v1, 0 :: v_dual_add_nc_u32 v8, 0x350, v13
	v_dual_mov_b32 v2, 0 :: v_dual_add_nc_u32 v7, -1, v152
	v_or_b32_e32 v9, 8, v14
	s_mov_b32 s3, 0
	s_delay_alu instid0(VALU_DEP_2)
	v_dual_mov_b32 v4, v2 :: v_dual_mov_b32 v3, v1
	.p2align	6
.LBB52_129:                             ; =>This Inner Loop Header: Depth=1
	scratch_load_b128 v[15:18], v9, off offset:-8
	ds_load_b128 v[19:22], v8
	v_add_nc_u32_e32 v7, 1, v7
	v_add_nc_u32_e32 v8, 16, v8
	;; [unrolled: 1-line block ×3, first 2 shown]
	s_delay_alu instid0(VALU_DEP_3) | instskip(SKIP_4) | instid1(VALU_DEP_2)
	v_cmp_lt_u32_e32 vcc_lo, 27, v7
	s_or_b32 s3, vcc_lo, s3
	s_waitcnt vmcnt(0) lgkmcnt(0)
	v_mul_f64 v[10:11], v[21:22], v[17:18]
	v_mul_f64 v[17:18], v[19:20], v[17:18]
	v_fma_f64 v[10:11], v[19:20], v[15:16], -v[10:11]
	s_delay_alu instid0(VALU_DEP_2) | instskip(NEXT) | instid1(VALU_DEP_2)
	v_fma_f64 v[15:16], v[21:22], v[15:16], v[17:18]
	v_add_f64 v[3:4], v[3:4], v[10:11]
	s_delay_alu instid0(VALU_DEP_2)
	v_add_f64 v[1:2], v[1:2], v[15:16]
	s_and_not1_b32 exec_lo, exec_lo, s3
	s_cbranch_execnz .LBB52_129
; %bb.130:
	s_or_b32 exec_lo, exec_lo, s3
	v_mov_b32_e32 v7, 0
	ds_load_b128 v[7:10], v7 offset:464
	s_waitcnt lgkmcnt(0)
	v_mul_f64 v[11:12], v[1:2], v[9:10]
	v_mul_f64 v[15:16], v[3:4], v[9:10]
	s_delay_alu instid0(VALU_DEP_2) | instskip(NEXT) | instid1(VALU_DEP_2)
	v_fma_f64 v[9:10], v[3:4], v[7:8], -v[11:12]
	v_fma_f64 v[11:12], v[1:2], v[7:8], v[15:16]
	scratch_store_b128 off, v[9:12], off offset:464
.LBB52_131:
	s_or_b32 exec_lo, exec_lo, s2
	s_waitcnt_vscnt null, 0x0
	s_barrier
	buffer_gl0_inv
	scratch_load_b128 v[1:4], v215, off
	s_mov_b32 s2, exec_lo
	s_waitcnt vmcnt(0)
	ds_store_b128 v5, v[1:4]
	s_waitcnt lgkmcnt(0)
	s_barrier
	buffer_gl0_inv
	v_cmpx_gt_u32_e32 30, v152
	s_cbranch_execz .LBB52_135
; %bb.132:
	v_dual_mov_b32 v1, 0 :: v_dual_add_nc_u32 v8, 0x350, v13
	v_dual_mov_b32 v2, 0 :: v_dual_add_nc_u32 v7, -1, v152
	v_or_b32_e32 v9, 8, v14
	s_mov_b32 s3, 0
	s_delay_alu instid0(VALU_DEP_2)
	v_dual_mov_b32 v4, v2 :: v_dual_mov_b32 v3, v1
	.p2align	6
.LBB52_133:                             ; =>This Inner Loop Header: Depth=1
	scratch_load_b128 v[15:18], v9, off offset:-8
	ds_load_b128 v[19:22], v8
	v_add_nc_u32_e32 v7, 1, v7
	v_add_nc_u32_e32 v8, 16, v8
	;; [unrolled: 1-line block ×3, first 2 shown]
	s_delay_alu instid0(VALU_DEP_3) | instskip(SKIP_4) | instid1(VALU_DEP_2)
	v_cmp_lt_u32_e32 vcc_lo, 28, v7
	s_or_b32 s3, vcc_lo, s3
	s_waitcnt vmcnt(0) lgkmcnt(0)
	v_mul_f64 v[10:11], v[21:22], v[17:18]
	v_mul_f64 v[17:18], v[19:20], v[17:18]
	v_fma_f64 v[10:11], v[19:20], v[15:16], -v[10:11]
	s_delay_alu instid0(VALU_DEP_2) | instskip(NEXT) | instid1(VALU_DEP_2)
	v_fma_f64 v[15:16], v[21:22], v[15:16], v[17:18]
	v_add_f64 v[3:4], v[3:4], v[10:11]
	s_delay_alu instid0(VALU_DEP_2)
	v_add_f64 v[1:2], v[1:2], v[15:16]
	s_and_not1_b32 exec_lo, exec_lo, s3
	s_cbranch_execnz .LBB52_133
; %bb.134:
	s_or_b32 exec_lo, exec_lo, s3
	v_mov_b32_e32 v7, 0
	ds_load_b128 v[7:10], v7 offset:480
	s_waitcnt lgkmcnt(0)
	v_mul_f64 v[11:12], v[1:2], v[9:10]
	v_mul_f64 v[15:16], v[3:4], v[9:10]
	s_delay_alu instid0(VALU_DEP_2) | instskip(NEXT) | instid1(VALU_DEP_2)
	v_fma_f64 v[9:10], v[3:4], v[7:8], -v[11:12]
	v_fma_f64 v[11:12], v[1:2], v[7:8], v[15:16]
	scratch_store_b128 off, v[9:12], off offset:480
.LBB52_135:
	s_or_b32 exec_lo, exec_lo, s2
	s_waitcnt_vscnt null, 0x0
	s_barrier
	buffer_gl0_inv
	scratch_load_b128 v[1:4], v214, off
	s_mov_b32 s2, exec_lo
	s_waitcnt vmcnt(0)
	ds_store_b128 v5, v[1:4]
	s_waitcnt lgkmcnt(0)
	s_barrier
	buffer_gl0_inv
	v_cmpx_gt_u32_e32 31, v152
	s_cbranch_execz .LBB52_139
; %bb.136:
	v_dual_mov_b32 v1, 0 :: v_dual_add_nc_u32 v8, 0x350, v13
	v_dual_mov_b32 v2, 0 :: v_dual_add_nc_u32 v7, -1, v152
	v_or_b32_e32 v9, 8, v14
	s_mov_b32 s3, 0
	s_delay_alu instid0(VALU_DEP_2)
	v_dual_mov_b32 v4, v2 :: v_dual_mov_b32 v3, v1
	.p2align	6
.LBB52_137:                             ; =>This Inner Loop Header: Depth=1
	scratch_load_b128 v[15:18], v9, off offset:-8
	ds_load_b128 v[19:22], v8
	v_add_nc_u32_e32 v7, 1, v7
	v_add_nc_u32_e32 v8, 16, v8
	;; [unrolled: 1-line block ×3, first 2 shown]
	s_delay_alu instid0(VALU_DEP_3) | instskip(SKIP_4) | instid1(VALU_DEP_2)
	v_cmp_lt_u32_e32 vcc_lo, 29, v7
	s_or_b32 s3, vcc_lo, s3
	s_waitcnt vmcnt(0) lgkmcnt(0)
	v_mul_f64 v[10:11], v[21:22], v[17:18]
	v_mul_f64 v[17:18], v[19:20], v[17:18]
	v_fma_f64 v[10:11], v[19:20], v[15:16], -v[10:11]
	s_delay_alu instid0(VALU_DEP_2) | instskip(NEXT) | instid1(VALU_DEP_2)
	v_fma_f64 v[15:16], v[21:22], v[15:16], v[17:18]
	v_add_f64 v[3:4], v[3:4], v[10:11]
	s_delay_alu instid0(VALU_DEP_2)
	v_add_f64 v[1:2], v[1:2], v[15:16]
	s_and_not1_b32 exec_lo, exec_lo, s3
	s_cbranch_execnz .LBB52_137
; %bb.138:
	s_or_b32 exec_lo, exec_lo, s3
	v_mov_b32_e32 v7, 0
	ds_load_b128 v[7:10], v7 offset:496
	s_waitcnt lgkmcnt(0)
	v_mul_f64 v[11:12], v[1:2], v[9:10]
	v_mul_f64 v[15:16], v[3:4], v[9:10]
	s_delay_alu instid0(VALU_DEP_2) | instskip(NEXT) | instid1(VALU_DEP_2)
	v_fma_f64 v[9:10], v[3:4], v[7:8], -v[11:12]
	v_fma_f64 v[11:12], v[1:2], v[7:8], v[15:16]
	scratch_store_b128 off, v[9:12], off offset:496
.LBB52_139:
	s_or_b32 exec_lo, exec_lo, s2
	s_waitcnt_vscnt null, 0x0
	s_barrier
	buffer_gl0_inv
	scratch_load_b128 v[1:4], v213, off
	s_mov_b32 s2, exec_lo
	s_waitcnt vmcnt(0)
	ds_store_b128 v5, v[1:4]
	s_waitcnt lgkmcnt(0)
	s_barrier
	buffer_gl0_inv
	v_cmpx_gt_u32_e32 32, v152
	s_cbranch_execz .LBB52_143
; %bb.140:
	v_dual_mov_b32 v1, 0 :: v_dual_add_nc_u32 v8, 0x350, v13
	v_dual_mov_b32 v2, 0 :: v_dual_add_nc_u32 v7, -1, v152
	v_or_b32_e32 v9, 8, v14
	s_mov_b32 s3, 0
	s_delay_alu instid0(VALU_DEP_2)
	v_dual_mov_b32 v4, v2 :: v_dual_mov_b32 v3, v1
	.p2align	6
.LBB52_141:                             ; =>This Inner Loop Header: Depth=1
	scratch_load_b128 v[15:18], v9, off offset:-8
	ds_load_b128 v[19:22], v8
	v_add_nc_u32_e32 v7, 1, v7
	v_add_nc_u32_e32 v8, 16, v8
	;; [unrolled: 1-line block ×3, first 2 shown]
	s_delay_alu instid0(VALU_DEP_3) | instskip(SKIP_4) | instid1(VALU_DEP_2)
	v_cmp_lt_u32_e32 vcc_lo, 30, v7
	s_or_b32 s3, vcc_lo, s3
	s_waitcnt vmcnt(0) lgkmcnt(0)
	v_mul_f64 v[10:11], v[21:22], v[17:18]
	v_mul_f64 v[17:18], v[19:20], v[17:18]
	v_fma_f64 v[10:11], v[19:20], v[15:16], -v[10:11]
	s_delay_alu instid0(VALU_DEP_2) | instskip(NEXT) | instid1(VALU_DEP_2)
	v_fma_f64 v[15:16], v[21:22], v[15:16], v[17:18]
	v_add_f64 v[3:4], v[3:4], v[10:11]
	s_delay_alu instid0(VALU_DEP_2)
	v_add_f64 v[1:2], v[1:2], v[15:16]
	s_and_not1_b32 exec_lo, exec_lo, s3
	s_cbranch_execnz .LBB52_141
; %bb.142:
	s_or_b32 exec_lo, exec_lo, s3
	v_mov_b32_e32 v7, 0
	ds_load_b128 v[7:10], v7 offset:512
	s_waitcnt lgkmcnt(0)
	v_mul_f64 v[11:12], v[1:2], v[9:10]
	v_mul_f64 v[15:16], v[3:4], v[9:10]
	s_delay_alu instid0(VALU_DEP_2) | instskip(NEXT) | instid1(VALU_DEP_2)
	v_fma_f64 v[9:10], v[3:4], v[7:8], -v[11:12]
	v_fma_f64 v[11:12], v[1:2], v[7:8], v[15:16]
	scratch_store_b128 off, v[9:12], off offset:512
.LBB52_143:
	s_or_b32 exec_lo, exec_lo, s2
	s_waitcnt_vscnt null, 0x0
	s_barrier
	buffer_gl0_inv
	scratch_load_b128 v[1:4], v212, off
	s_mov_b32 s2, exec_lo
	s_waitcnt vmcnt(0)
	ds_store_b128 v5, v[1:4]
	s_waitcnt lgkmcnt(0)
	s_barrier
	buffer_gl0_inv
	v_cmpx_gt_u32_e32 33, v152
	s_cbranch_execz .LBB52_147
; %bb.144:
	v_dual_mov_b32 v1, 0 :: v_dual_add_nc_u32 v8, 0x350, v13
	v_dual_mov_b32 v2, 0 :: v_dual_add_nc_u32 v7, -1, v152
	v_or_b32_e32 v9, 8, v14
	s_mov_b32 s3, 0
	s_delay_alu instid0(VALU_DEP_2)
	v_dual_mov_b32 v4, v2 :: v_dual_mov_b32 v3, v1
	.p2align	6
.LBB52_145:                             ; =>This Inner Loop Header: Depth=1
	scratch_load_b128 v[15:18], v9, off offset:-8
	ds_load_b128 v[19:22], v8
	v_add_nc_u32_e32 v7, 1, v7
	v_add_nc_u32_e32 v8, 16, v8
	;; [unrolled: 1-line block ×3, first 2 shown]
	s_delay_alu instid0(VALU_DEP_3) | instskip(SKIP_4) | instid1(VALU_DEP_2)
	v_cmp_lt_u32_e32 vcc_lo, 31, v7
	s_or_b32 s3, vcc_lo, s3
	s_waitcnt vmcnt(0) lgkmcnt(0)
	v_mul_f64 v[10:11], v[21:22], v[17:18]
	v_mul_f64 v[17:18], v[19:20], v[17:18]
	v_fma_f64 v[10:11], v[19:20], v[15:16], -v[10:11]
	s_delay_alu instid0(VALU_DEP_2) | instskip(NEXT) | instid1(VALU_DEP_2)
	v_fma_f64 v[15:16], v[21:22], v[15:16], v[17:18]
	v_add_f64 v[3:4], v[3:4], v[10:11]
	s_delay_alu instid0(VALU_DEP_2)
	v_add_f64 v[1:2], v[1:2], v[15:16]
	s_and_not1_b32 exec_lo, exec_lo, s3
	s_cbranch_execnz .LBB52_145
; %bb.146:
	s_or_b32 exec_lo, exec_lo, s3
	v_mov_b32_e32 v7, 0
	ds_load_b128 v[7:10], v7 offset:528
	s_waitcnt lgkmcnt(0)
	v_mul_f64 v[11:12], v[1:2], v[9:10]
	v_mul_f64 v[15:16], v[3:4], v[9:10]
	s_delay_alu instid0(VALU_DEP_2) | instskip(NEXT) | instid1(VALU_DEP_2)
	v_fma_f64 v[9:10], v[3:4], v[7:8], -v[11:12]
	v_fma_f64 v[11:12], v[1:2], v[7:8], v[15:16]
	scratch_store_b128 off, v[9:12], off offset:528
.LBB52_147:
	s_or_b32 exec_lo, exec_lo, s2
	s_waitcnt_vscnt null, 0x0
	s_barrier
	buffer_gl0_inv
	scratch_load_b128 v[1:4], v211, off
	s_mov_b32 s2, exec_lo
	s_waitcnt vmcnt(0)
	ds_store_b128 v5, v[1:4]
	s_waitcnt lgkmcnt(0)
	s_barrier
	buffer_gl0_inv
	v_cmpx_gt_u32_e32 34, v152
	s_cbranch_execz .LBB52_151
; %bb.148:
	v_dual_mov_b32 v1, 0 :: v_dual_add_nc_u32 v8, 0x350, v13
	v_dual_mov_b32 v2, 0 :: v_dual_add_nc_u32 v7, -1, v152
	v_or_b32_e32 v9, 8, v14
	s_mov_b32 s3, 0
	s_delay_alu instid0(VALU_DEP_2)
	v_dual_mov_b32 v4, v2 :: v_dual_mov_b32 v3, v1
	.p2align	6
.LBB52_149:                             ; =>This Inner Loop Header: Depth=1
	scratch_load_b128 v[15:18], v9, off offset:-8
	ds_load_b128 v[19:22], v8
	v_add_nc_u32_e32 v7, 1, v7
	v_add_nc_u32_e32 v8, 16, v8
	;; [unrolled: 1-line block ×3, first 2 shown]
	s_delay_alu instid0(VALU_DEP_3) | instskip(SKIP_4) | instid1(VALU_DEP_2)
	v_cmp_lt_u32_e32 vcc_lo, 32, v7
	s_or_b32 s3, vcc_lo, s3
	s_waitcnt vmcnt(0) lgkmcnt(0)
	v_mul_f64 v[10:11], v[21:22], v[17:18]
	v_mul_f64 v[17:18], v[19:20], v[17:18]
	v_fma_f64 v[10:11], v[19:20], v[15:16], -v[10:11]
	s_delay_alu instid0(VALU_DEP_2) | instskip(NEXT) | instid1(VALU_DEP_2)
	v_fma_f64 v[15:16], v[21:22], v[15:16], v[17:18]
	v_add_f64 v[3:4], v[3:4], v[10:11]
	s_delay_alu instid0(VALU_DEP_2)
	v_add_f64 v[1:2], v[1:2], v[15:16]
	s_and_not1_b32 exec_lo, exec_lo, s3
	s_cbranch_execnz .LBB52_149
; %bb.150:
	s_or_b32 exec_lo, exec_lo, s3
	v_mov_b32_e32 v7, 0
	ds_load_b128 v[7:10], v7 offset:544
	s_waitcnt lgkmcnt(0)
	v_mul_f64 v[11:12], v[1:2], v[9:10]
	v_mul_f64 v[15:16], v[3:4], v[9:10]
	s_delay_alu instid0(VALU_DEP_2) | instskip(NEXT) | instid1(VALU_DEP_2)
	v_fma_f64 v[9:10], v[3:4], v[7:8], -v[11:12]
	v_fma_f64 v[11:12], v[1:2], v[7:8], v[15:16]
	scratch_store_b128 off, v[9:12], off offset:544
.LBB52_151:
	s_or_b32 exec_lo, exec_lo, s2
	s_waitcnt_vscnt null, 0x0
	s_barrier
	buffer_gl0_inv
	scratch_load_b128 v[1:4], v210, off
	s_mov_b32 s2, exec_lo
	s_waitcnt vmcnt(0)
	ds_store_b128 v5, v[1:4]
	s_waitcnt lgkmcnt(0)
	s_barrier
	buffer_gl0_inv
	v_cmpx_gt_u32_e32 35, v152
	s_cbranch_execz .LBB52_155
; %bb.152:
	v_dual_mov_b32 v1, 0 :: v_dual_add_nc_u32 v8, 0x350, v13
	v_dual_mov_b32 v2, 0 :: v_dual_add_nc_u32 v7, -1, v152
	v_or_b32_e32 v9, 8, v14
	s_mov_b32 s3, 0
	s_delay_alu instid0(VALU_DEP_2)
	v_dual_mov_b32 v4, v2 :: v_dual_mov_b32 v3, v1
	.p2align	6
.LBB52_153:                             ; =>This Inner Loop Header: Depth=1
	scratch_load_b128 v[15:18], v9, off offset:-8
	ds_load_b128 v[19:22], v8
	v_add_nc_u32_e32 v7, 1, v7
	v_add_nc_u32_e32 v8, 16, v8
	;; [unrolled: 1-line block ×3, first 2 shown]
	s_delay_alu instid0(VALU_DEP_3) | instskip(SKIP_4) | instid1(VALU_DEP_2)
	v_cmp_lt_u32_e32 vcc_lo, 33, v7
	s_or_b32 s3, vcc_lo, s3
	s_waitcnt vmcnt(0) lgkmcnt(0)
	v_mul_f64 v[10:11], v[21:22], v[17:18]
	v_mul_f64 v[17:18], v[19:20], v[17:18]
	v_fma_f64 v[10:11], v[19:20], v[15:16], -v[10:11]
	s_delay_alu instid0(VALU_DEP_2) | instskip(NEXT) | instid1(VALU_DEP_2)
	v_fma_f64 v[15:16], v[21:22], v[15:16], v[17:18]
	v_add_f64 v[3:4], v[3:4], v[10:11]
	s_delay_alu instid0(VALU_DEP_2)
	v_add_f64 v[1:2], v[1:2], v[15:16]
	s_and_not1_b32 exec_lo, exec_lo, s3
	s_cbranch_execnz .LBB52_153
; %bb.154:
	s_or_b32 exec_lo, exec_lo, s3
	v_mov_b32_e32 v7, 0
	ds_load_b128 v[7:10], v7 offset:560
	s_waitcnt lgkmcnt(0)
	v_mul_f64 v[11:12], v[1:2], v[9:10]
	v_mul_f64 v[15:16], v[3:4], v[9:10]
	s_delay_alu instid0(VALU_DEP_2) | instskip(NEXT) | instid1(VALU_DEP_2)
	v_fma_f64 v[9:10], v[3:4], v[7:8], -v[11:12]
	v_fma_f64 v[11:12], v[1:2], v[7:8], v[15:16]
	scratch_store_b128 off, v[9:12], off offset:560
.LBB52_155:
	s_or_b32 exec_lo, exec_lo, s2
	s_waitcnt_vscnt null, 0x0
	s_barrier
	buffer_gl0_inv
	scratch_load_b128 v[1:4], v209, off
	s_mov_b32 s2, exec_lo
	s_waitcnt vmcnt(0)
	ds_store_b128 v5, v[1:4]
	s_waitcnt lgkmcnt(0)
	s_barrier
	buffer_gl0_inv
	v_cmpx_gt_u32_e32 36, v152
	s_cbranch_execz .LBB52_159
; %bb.156:
	v_dual_mov_b32 v1, 0 :: v_dual_add_nc_u32 v8, 0x350, v13
	v_dual_mov_b32 v2, 0 :: v_dual_add_nc_u32 v7, -1, v152
	v_or_b32_e32 v9, 8, v14
	s_mov_b32 s3, 0
	s_delay_alu instid0(VALU_DEP_2)
	v_dual_mov_b32 v4, v2 :: v_dual_mov_b32 v3, v1
	.p2align	6
.LBB52_157:                             ; =>This Inner Loop Header: Depth=1
	scratch_load_b128 v[15:18], v9, off offset:-8
	ds_load_b128 v[19:22], v8
	v_add_nc_u32_e32 v7, 1, v7
	v_add_nc_u32_e32 v8, 16, v8
	;; [unrolled: 1-line block ×3, first 2 shown]
	s_delay_alu instid0(VALU_DEP_3) | instskip(SKIP_4) | instid1(VALU_DEP_2)
	v_cmp_lt_u32_e32 vcc_lo, 34, v7
	s_or_b32 s3, vcc_lo, s3
	s_waitcnt vmcnt(0) lgkmcnt(0)
	v_mul_f64 v[10:11], v[21:22], v[17:18]
	v_mul_f64 v[17:18], v[19:20], v[17:18]
	v_fma_f64 v[10:11], v[19:20], v[15:16], -v[10:11]
	s_delay_alu instid0(VALU_DEP_2) | instskip(NEXT) | instid1(VALU_DEP_2)
	v_fma_f64 v[15:16], v[21:22], v[15:16], v[17:18]
	v_add_f64 v[3:4], v[3:4], v[10:11]
	s_delay_alu instid0(VALU_DEP_2)
	v_add_f64 v[1:2], v[1:2], v[15:16]
	s_and_not1_b32 exec_lo, exec_lo, s3
	s_cbranch_execnz .LBB52_157
; %bb.158:
	s_or_b32 exec_lo, exec_lo, s3
	v_mov_b32_e32 v7, 0
	ds_load_b128 v[7:10], v7 offset:576
	s_waitcnt lgkmcnt(0)
	v_mul_f64 v[11:12], v[1:2], v[9:10]
	v_mul_f64 v[15:16], v[3:4], v[9:10]
	s_delay_alu instid0(VALU_DEP_2) | instskip(NEXT) | instid1(VALU_DEP_2)
	v_fma_f64 v[9:10], v[3:4], v[7:8], -v[11:12]
	v_fma_f64 v[11:12], v[1:2], v[7:8], v[15:16]
	scratch_store_b128 off, v[9:12], off offset:576
.LBB52_159:
	s_or_b32 exec_lo, exec_lo, s2
	s_waitcnt_vscnt null, 0x0
	s_barrier
	buffer_gl0_inv
	scratch_load_b128 v[1:4], v208, off
	s_mov_b32 s2, exec_lo
	s_waitcnt vmcnt(0)
	ds_store_b128 v5, v[1:4]
	s_waitcnt lgkmcnt(0)
	s_barrier
	buffer_gl0_inv
	v_cmpx_gt_u32_e32 37, v152
	s_cbranch_execz .LBB52_163
; %bb.160:
	v_dual_mov_b32 v1, 0 :: v_dual_add_nc_u32 v8, 0x350, v13
	v_dual_mov_b32 v2, 0 :: v_dual_add_nc_u32 v7, -1, v152
	v_or_b32_e32 v9, 8, v14
	s_mov_b32 s3, 0
	s_delay_alu instid0(VALU_DEP_2)
	v_dual_mov_b32 v4, v2 :: v_dual_mov_b32 v3, v1
	.p2align	6
.LBB52_161:                             ; =>This Inner Loop Header: Depth=1
	scratch_load_b128 v[15:18], v9, off offset:-8
	ds_load_b128 v[19:22], v8
	v_add_nc_u32_e32 v7, 1, v7
	v_add_nc_u32_e32 v8, 16, v8
	;; [unrolled: 1-line block ×3, first 2 shown]
	s_delay_alu instid0(VALU_DEP_3) | instskip(SKIP_4) | instid1(VALU_DEP_2)
	v_cmp_lt_u32_e32 vcc_lo, 35, v7
	s_or_b32 s3, vcc_lo, s3
	s_waitcnt vmcnt(0) lgkmcnt(0)
	v_mul_f64 v[10:11], v[21:22], v[17:18]
	v_mul_f64 v[17:18], v[19:20], v[17:18]
	v_fma_f64 v[10:11], v[19:20], v[15:16], -v[10:11]
	s_delay_alu instid0(VALU_DEP_2) | instskip(NEXT) | instid1(VALU_DEP_2)
	v_fma_f64 v[15:16], v[21:22], v[15:16], v[17:18]
	v_add_f64 v[3:4], v[3:4], v[10:11]
	s_delay_alu instid0(VALU_DEP_2)
	v_add_f64 v[1:2], v[1:2], v[15:16]
	s_and_not1_b32 exec_lo, exec_lo, s3
	s_cbranch_execnz .LBB52_161
; %bb.162:
	s_or_b32 exec_lo, exec_lo, s3
	v_mov_b32_e32 v7, 0
	ds_load_b128 v[7:10], v7 offset:592
	s_waitcnt lgkmcnt(0)
	v_mul_f64 v[11:12], v[1:2], v[9:10]
	v_mul_f64 v[15:16], v[3:4], v[9:10]
	s_delay_alu instid0(VALU_DEP_2) | instskip(NEXT) | instid1(VALU_DEP_2)
	v_fma_f64 v[9:10], v[3:4], v[7:8], -v[11:12]
	v_fma_f64 v[11:12], v[1:2], v[7:8], v[15:16]
	scratch_store_b128 off, v[9:12], off offset:592
.LBB52_163:
	s_or_b32 exec_lo, exec_lo, s2
	s_waitcnt_vscnt null, 0x0
	s_barrier
	buffer_gl0_inv
	scratch_load_b128 v[1:4], v207, off
	s_mov_b32 s2, exec_lo
	s_waitcnt vmcnt(0)
	ds_store_b128 v5, v[1:4]
	s_waitcnt lgkmcnt(0)
	s_barrier
	buffer_gl0_inv
	v_cmpx_gt_u32_e32 38, v152
	s_cbranch_execz .LBB52_167
; %bb.164:
	v_dual_mov_b32 v1, 0 :: v_dual_add_nc_u32 v8, 0x350, v13
	v_dual_mov_b32 v2, 0 :: v_dual_add_nc_u32 v7, -1, v152
	v_or_b32_e32 v9, 8, v14
	s_mov_b32 s3, 0
	s_delay_alu instid0(VALU_DEP_2)
	v_dual_mov_b32 v4, v2 :: v_dual_mov_b32 v3, v1
	.p2align	6
.LBB52_165:                             ; =>This Inner Loop Header: Depth=1
	scratch_load_b128 v[15:18], v9, off offset:-8
	ds_load_b128 v[19:22], v8
	v_add_nc_u32_e32 v7, 1, v7
	v_add_nc_u32_e32 v8, 16, v8
	;; [unrolled: 1-line block ×3, first 2 shown]
	s_delay_alu instid0(VALU_DEP_3) | instskip(SKIP_4) | instid1(VALU_DEP_2)
	v_cmp_lt_u32_e32 vcc_lo, 36, v7
	s_or_b32 s3, vcc_lo, s3
	s_waitcnt vmcnt(0) lgkmcnt(0)
	v_mul_f64 v[10:11], v[21:22], v[17:18]
	v_mul_f64 v[17:18], v[19:20], v[17:18]
	v_fma_f64 v[10:11], v[19:20], v[15:16], -v[10:11]
	s_delay_alu instid0(VALU_DEP_2) | instskip(NEXT) | instid1(VALU_DEP_2)
	v_fma_f64 v[15:16], v[21:22], v[15:16], v[17:18]
	v_add_f64 v[3:4], v[3:4], v[10:11]
	s_delay_alu instid0(VALU_DEP_2)
	v_add_f64 v[1:2], v[1:2], v[15:16]
	s_and_not1_b32 exec_lo, exec_lo, s3
	s_cbranch_execnz .LBB52_165
; %bb.166:
	s_or_b32 exec_lo, exec_lo, s3
	v_mov_b32_e32 v7, 0
	ds_load_b128 v[7:10], v7 offset:608
	s_waitcnt lgkmcnt(0)
	v_mul_f64 v[11:12], v[1:2], v[9:10]
	v_mul_f64 v[15:16], v[3:4], v[9:10]
	s_delay_alu instid0(VALU_DEP_2) | instskip(NEXT) | instid1(VALU_DEP_2)
	v_fma_f64 v[9:10], v[3:4], v[7:8], -v[11:12]
	v_fma_f64 v[11:12], v[1:2], v[7:8], v[15:16]
	scratch_store_b128 off, v[9:12], off offset:608
.LBB52_167:
	s_or_b32 exec_lo, exec_lo, s2
	s_waitcnt_vscnt null, 0x0
	s_barrier
	buffer_gl0_inv
	scratch_load_b128 v[1:4], v206, off
	s_mov_b32 s2, exec_lo
	s_waitcnt vmcnt(0)
	ds_store_b128 v5, v[1:4]
	s_waitcnt lgkmcnt(0)
	s_barrier
	buffer_gl0_inv
	v_cmpx_gt_u32_e32 39, v152
	s_cbranch_execz .LBB52_171
; %bb.168:
	v_dual_mov_b32 v1, 0 :: v_dual_add_nc_u32 v8, 0x350, v13
	v_dual_mov_b32 v2, 0 :: v_dual_add_nc_u32 v7, -1, v152
	v_or_b32_e32 v9, 8, v14
	s_mov_b32 s3, 0
	s_delay_alu instid0(VALU_DEP_2)
	v_dual_mov_b32 v4, v2 :: v_dual_mov_b32 v3, v1
	.p2align	6
.LBB52_169:                             ; =>This Inner Loop Header: Depth=1
	scratch_load_b128 v[15:18], v9, off offset:-8
	ds_load_b128 v[19:22], v8
	v_add_nc_u32_e32 v7, 1, v7
	v_add_nc_u32_e32 v8, 16, v8
	v_add_nc_u32_e32 v9, 16, v9
	s_delay_alu instid0(VALU_DEP_3) | instskip(SKIP_4) | instid1(VALU_DEP_2)
	v_cmp_lt_u32_e32 vcc_lo, 37, v7
	s_or_b32 s3, vcc_lo, s3
	s_waitcnt vmcnt(0) lgkmcnt(0)
	v_mul_f64 v[10:11], v[21:22], v[17:18]
	v_mul_f64 v[17:18], v[19:20], v[17:18]
	v_fma_f64 v[10:11], v[19:20], v[15:16], -v[10:11]
	s_delay_alu instid0(VALU_DEP_2) | instskip(NEXT) | instid1(VALU_DEP_2)
	v_fma_f64 v[15:16], v[21:22], v[15:16], v[17:18]
	v_add_f64 v[3:4], v[3:4], v[10:11]
	s_delay_alu instid0(VALU_DEP_2)
	v_add_f64 v[1:2], v[1:2], v[15:16]
	s_and_not1_b32 exec_lo, exec_lo, s3
	s_cbranch_execnz .LBB52_169
; %bb.170:
	s_or_b32 exec_lo, exec_lo, s3
	v_mov_b32_e32 v7, 0
	ds_load_b128 v[7:10], v7 offset:624
	s_waitcnt lgkmcnt(0)
	v_mul_f64 v[11:12], v[1:2], v[9:10]
	v_mul_f64 v[15:16], v[3:4], v[9:10]
	s_delay_alu instid0(VALU_DEP_2) | instskip(NEXT) | instid1(VALU_DEP_2)
	v_fma_f64 v[9:10], v[3:4], v[7:8], -v[11:12]
	v_fma_f64 v[11:12], v[1:2], v[7:8], v[15:16]
	scratch_store_b128 off, v[9:12], off offset:624
.LBB52_171:
	s_or_b32 exec_lo, exec_lo, s2
	s_waitcnt_vscnt null, 0x0
	s_barrier
	buffer_gl0_inv
	scratch_load_b128 v[1:4], v154, off
	s_mov_b32 s2, exec_lo
	s_waitcnt vmcnt(0)
	ds_store_b128 v5, v[1:4]
	s_waitcnt lgkmcnt(0)
	s_barrier
	buffer_gl0_inv
	v_cmpx_gt_u32_e32 40, v152
	s_cbranch_execz .LBB52_175
; %bb.172:
	v_dual_mov_b32 v1, 0 :: v_dual_add_nc_u32 v8, 0x350, v13
	v_dual_mov_b32 v2, 0 :: v_dual_add_nc_u32 v7, -1, v152
	v_or_b32_e32 v9, 8, v14
	s_mov_b32 s3, 0
	s_delay_alu instid0(VALU_DEP_2)
	v_dual_mov_b32 v4, v2 :: v_dual_mov_b32 v3, v1
	.p2align	6
.LBB52_173:                             ; =>This Inner Loop Header: Depth=1
	scratch_load_b128 v[15:18], v9, off offset:-8
	ds_load_b128 v[19:22], v8
	v_add_nc_u32_e32 v7, 1, v7
	v_add_nc_u32_e32 v8, 16, v8
	;; [unrolled: 1-line block ×3, first 2 shown]
	s_delay_alu instid0(VALU_DEP_3) | instskip(SKIP_4) | instid1(VALU_DEP_2)
	v_cmp_lt_u32_e32 vcc_lo, 38, v7
	s_or_b32 s3, vcc_lo, s3
	s_waitcnt vmcnt(0) lgkmcnt(0)
	v_mul_f64 v[10:11], v[21:22], v[17:18]
	v_mul_f64 v[17:18], v[19:20], v[17:18]
	v_fma_f64 v[10:11], v[19:20], v[15:16], -v[10:11]
	s_delay_alu instid0(VALU_DEP_2) | instskip(NEXT) | instid1(VALU_DEP_2)
	v_fma_f64 v[15:16], v[21:22], v[15:16], v[17:18]
	v_add_f64 v[3:4], v[3:4], v[10:11]
	s_delay_alu instid0(VALU_DEP_2)
	v_add_f64 v[1:2], v[1:2], v[15:16]
	s_and_not1_b32 exec_lo, exec_lo, s3
	s_cbranch_execnz .LBB52_173
; %bb.174:
	s_or_b32 exec_lo, exec_lo, s3
	v_mov_b32_e32 v7, 0
	ds_load_b128 v[7:10], v7 offset:640
	s_waitcnt lgkmcnt(0)
	v_mul_f64 v[11:12], v[1:2], v[9:10]
	v_mul_f64 v[15:16], v[3:4], v[9:10]
	s_delay_alu instid0(VALU_DEP_2) | instskip(NEXT) | instid1(VALU_DEP_2)
	v_fma_f64 v[9:10], v[3:4], v[7:8], -v[11:12]
	v_fma_f64 v[11:12], v[1:2], v[7:8], v[15:16]
	scratch_store_b128 off, v[9:12], off offset:640
.LBB52_175:
	s_or_b32 exec_lo, exec_lo, s2
	s_waitcnt_vscnt null, 0x0
	s_barrier
	buffer_gl0_inv
	scratch_load_b128 v[1:4], v153, off
	s_mov_b32 s2, exec_lo
	s_waitcnt vmcnt(0)
	ds_store_b128 v5, v[1:4]
	s_waitcnt lgkmcnt(0)
	s_barrier
	buffer_gl0_inv
	v_cmpx_gt_u32_e32 41, v152
	s_cbranch_execz .LBB52_179
; %bb.176:
	v_dual_mov_b32 v1, 0 :: v_dual_add_nc_u32 v8, 0x350, v13
	v_dual_mov_b32 v2, 0 :: v_dual_add_nc_u32 v7, -1, v152
	v_or_b32_e32 v9, 8, v14
	s_mov_b32 s3, 0
	s_delay_alu instid0(VALU_DEP_2)
	v_dual_mov_b32 v4, v2 :: v_dual_mov_b32 v3, v1
	.p2align	6
.LBB52_177:                             ; =>This Inner Loop Header: Depth=1
	scratch_load_b128 v[15:18], v9, off offset:-8
	ds_load_b128 v[19:22], v8
	v_add_nc_u32_e32 v7, 1, v7
	v_add_nc_u32_e32 v8, 16, v8
	;; [unrolled: 1-line block ×3, first 2 shown]
	s_delay_alu instid0(VALU_DEP_3) | instskip(SKIP_4) | instid1(VALU_DEP_2)
	v_cmp_lt_u32_e32 vcc_lo, 39, v7
	s_or_b32 s3, vcc_lo, s3
	s_waitcnt vmcnt(0) lgkmcnt(0)
	v_mul_f64 v[10:11], v[21:22], v[17:18]
	v_mul_f64 v[17:18], v[19:20], v[17:18]
	v_fma_f64 v[10:11], v[19:20], v[15:16], -v[10:11]
	s_delay_alu instid0(VALU_DEP_2) | instskip(NEXT) | instid1(VALU_DEP_2)
	v_fma_f64 v[15:16], v[21:22], v[15:16], v[17:18]
	v_add_f64 v[3:4], v[3:4], v[10:11]
	s_delay_alu instid0(VALU_DEP_2)
	v_add_f64 v[1:2], v[1:2], v[15:16]
	s_and_not1_b32 exec_lo, exec_lo, s3
	s_cbranch_execnz .LBB52_177
; %bb.178:
	s_or_b32 exec_lo, exec_lo, s3
	v_mov_b32_e32 v7, 0
	ds_load_b128 v[7:10], v7 offset:656
	s_waitcnt lgkmcnt(0)
	v_mul_f64 v[11:12], v[1:2], v[9:10]
	v_mul_f64 v[15:16], v[3:4], v[9:10]
	s_delay_alu instid0(VALU_DEP_2) | instskip(NEXT) | instid1(VALU_DEP_2)
	v_fma_f64 v[9:10], v[3:4], v[7:8], -v[11:12]
	v_fma_f64 v[11:12], v[1:2], v[7:8], v[15:16]
	scratch_store_b128 off, v[9:12], off offset:656
.LBB52_179:
	s_or_b32 exec_lo, exec_lo, s2
	s_waitcnt_vscnt null, 0x0
	s_barrier
	buffer_gl0_inv
	scratch_load_b128 v[1:4], v177, off
	s_mov_b32 s2, exec_lo
	s_waitcnt vmcnt(0)
	ds_store_b128 v5, v[1:4]
	s_waitcnt lgkmcnt(0)
	s_barrier
	buffer_gl0_inv
	v_cmpx_gt_u32_e32 42, v152
	s_cbranch_execz .LBB52_183
; %bb.180:
	v_dual_mov_b32 v1, 0 :: v_dual_add_nc_u32 v8, 0x350, v13
	v_dual_mov_b32 v2, 0 :: v_dual_add_nc_u32 v7, -1, v152
	v_or_b32_e32 v9, 8, v14
	s_mov_b32 s3, 0
	s_delay_alu instid0(VALU_DEP_2)
	v_dual_mov_b32 v4, v2 :: v_dual_mov_b32 v3, v1
	.p2align	6
.LBB52_181:                             ; =>This Inner Loop Header: Depth=1
	scratch_load_b128 v[15:18], v9, off offset:-8
	ds_load_b128 v[19:22], v8
	v_add_nc_u32_e32 v7, 1, v7
	v_add_nc_u32_e32 v8, 16, v8
	v_add_nc_u32_e32 v9, 16, v9
	s_delay_alu instid0(VALU_DEP_3) | instskip(SKIP_4) | instid1(VALU_DEP_2)
	v_cmp_lt_u32_e32 vcc_lo, 40, v7
	s_or_b32 s3, vcc_lo, s3
	s_waitcnt vmcnt(0) lgkmcnt(0)
	v_mul_f64 v[10:11], v[21:22], v[17:18]
	v_mul_f64 v[17:18], v[19:20], v[17:18]
	v_fma_f64 v[10:11], v[19:20], v[15:16], -v[10:11]
	s_delay_alu instid0(VALU_DEP_2) | instskip(NEXT) | instid1(VALU_DEP_2)
	v_fma_f64 v[15:16], v[21:22], v[15:16], v[17:18]
	v_add_f64 v[3:4], v[3:4], v[10:11]
	s_delay_alu instid0(VALU_DEP_2)
	v_add_f64 v[1:2], v[1:2], v[15:16]
	s_and_not1_b32 exec_lo, exec_lo, s3
	s_cbranch_execnz .LBB52_181
; %bb.182:
	s_or_b32 exec_lo, exec_lo, s3
	v_mov_b32_e32 v7, 0
	ds_load_b128 v[7:10], v7 offset:672
	s_waitcnt lgkmcnt(0)
	v_mul_f64 v[11:12], v[1:2], v[9:10]
	v_mul_f64 v[15:16], v[3:4], v[9:10]
	s_delay_alu instid0(VALU_DEP_2) | instskip(NEXT) | instid1(VALU_DEP_2)
	v_fma_f64 v[9:10], v[3:4], v[7:8], -v[11:12]
	v_fma_f64 v[11:12], v[1:2], v[7:8], v[15:16]
	scratch_store_b128 off, v[9:12], off offset:672
.LBB52_183:
	s_or_b32 exec_lo, exec_lo, s2
	s_waitcnt_vscnt null, 0x0
	s_barrier
	buffer_gl0_inv
	scratch_load_b128 v[1:4], v198, off
	s_mov_b32 s2, exec_lo
	s_waitcnt vmcnt(0)
	ds_store_b128 v5, v[1:4]
	s_waitcnt lgkmcnt(0)
	s_barrier
	buffer_gl0_inv
	v_cmpx_gt_u32_e32 43, v152
	s_cbranch_execz .LBB52_187
; %bb.184:
	v_dual_mov_b32 v1, 0 :: v_dual_add_nc_u32 v8, 0x350, v13
	v_dual_mov_b32 v2, 0 :: v_dual_add_nc_u32 v7, -1, v152
	v_or_b32_e32 v9, 8, v14
	s_mov_b32 s3, 0
	s_delay_alu instid0(VALU_DEP_2)
	v_dual_mov_b32 v4, v2 :: v_dual_mov_b32 v3, v1
	.p2align	6
.LBB52_185:                             ; =>This Inner Loop Header: Depth=1
	scratch_load_b128 v[15:18], v9, off offset:-8
	ds_load_b128 v[19:22], v8
	v_add_nc_u32_e32 v7, 1, v7
	v_add_nc_u32_e32 v8, 16, v8
	;; [unrolled: 1-line block ×3, first 2 shown]
	s_delay_alu instid0(VALU_DEP_3) | instskip(SKIP_4) | instid1(VALU_DEP_2)
	v_cmp_lt_u32_e32 vcc_lo, 41, v7
	s_or_b32 s3, vcc_lo, s3
	s_waitcnt vmcnt(0) lgkmcnt(0)
	v_mul_f64 v[10:11], v[21:22], v[17:18]
	v_mul_f64 v[17:18], v[19:20], v[17:18]
	v_fma_f64 v[10:11], v[19:20], v[15:16], -v[10:11]
	s_delay_alu instid0(VALU_DEP_2) | instskip(NEXT) | instid1(VALU_DEP_2)
	v_fma_f64 v[15:16], v[21:22], v[15:16], v[17:18]
	v_add_f64 v[3:4], v[3:4], v[10:11]
	s_delay_alu instid0(VALU_DEP_2)
	v_add_f64 v[1:2], v[1:2], v[15:16]
	s_and_not1_b32 exec_lo, exec_lo, s3
	s_cbranch_execnz .LBB52_185
; %bb.186:
	s_or_b32 exec_lo, exec_lo, s3
	v_mov_b32_e32 v7, 0
	ds_load_b128 v[7:10], v7 offset:688
	s_waitcnt lgkmcnt(0)
	v_mul_f64 v[11:12], v[1:2], v[9:10]
	v_mul_f64 v[15:16], v[3:4], v[9:10]
	s_delay_alu instid0(VALU_DEP_2) | instskip(NEXT) | instid1(VALU_DEP_2)
	v_fma_f64 v[9:10], v[3:4], v[7:8], -v[11:12]
	v_fma_f64 v[11:12], v[1:2], v[7:8], v[15:16]
	scratch_store_b128 off, v[9:12], off offset:688
.LBB52_187:
	s_or_b32 exec_lo, exec_lo, s2
	s_waitcnt_vscnt null, 0x0
	s_barrier
	buffer_gl0_inv
	scratch_load_b128 v[1:4], v163, off
	s_mov_b32 s2, exec_lo
	s_waitcnt vmcnt(0)
	ds_store_b128 v5, v[1:4]
	s_waitcnt lgkmcnt(0)
	s_barrier
	buffer_gl0_inv
	v_cmpx_gt_u32_e32 44, v152
	s_cbranch_execz .LBB52_191
; %bb.188:
	v_dual_mov_b32 v1, 0 :: v_dual_add_nc_u32 v8, 0x350, v13
	v_dual_mov_b32 v2, 0 :: v_dual_add_nc_u32 v7, -1, v152
	v_or_b32_e32 v9, 8, v14
	s_mov_b32 s3, 0
	s_delay_alu instid0(VALU_DEP_2)
	v_dual_mov_b32 v4, v2 :: v_dual_mov_b32 v3, v1
	.p2align	6
.LBB52_189:                             ; =>This Inner Loop Header: Depth=1
	scratch_load_b128 v[15:18], v9, off offset:-8
	ds_load_b128 v[19:22], v8
	v_add_nc_u32_e32 v7, 1, v7
	v_add_nc_u32_e32 v8, 16, v8
	;; [unrolled: 1-line block ×3, first 2 shown]
	s_delay_alu instid0(VALU_DEP_3) | instskip(SKIP_4) | instid1(VALU_DEP_2)
	v_cmp_lt_u32_e32 vcc_lo, 42, v7
	s_or_b32 s3, vcc_lo, s3
	s_waitcnt vmcnt(0) lgkmcnt(0)
	v_mul_f64 v[10:11], v[21:22], v[17:18]
	v_mul_f64 v[17:18], v[19:20], v[17:18]
	v_fma_f64 v[10:11], v[19:20], v[15:16], -v[10:11]
	s_delay_alu instid0(VALU_DEP_2) | instskip(NEXT) | instid1(VALU_DEP_2)
	v_fma_f64 v[15:16], v[21:22], v[15:16], v[17:18]
	v_add_f64 v[3:4], v[3:4], v[10:11]
	s_delay_alu instid0(VALU_DEP_2)
	v_add_f64 v[1:2], v[1:2], v[15:16]
	s_and_not1_b32 exec_lo, exec_lo, s3
	s_cbranch_execnz .LBB52_189
; %bb.190:
	s_or_b32 exec_lo, exec_lo, s3
	v_mov_b32_e32 v7, 0
	ds_load_b128 v[7:10], v7 offset:704
	s_waitcnt lgkmcnt(0)
	v_mul_f64 v[11:12], v[1:2], v[9:10]
	v_mul_f64 v[15:16], v[3:4], v[9:10]
	s_delay_alu instid0(VALU_DEP_2) | instskip(NEXT) | instid1(VALU_DEP_2)
	v_fma_f64 v[9:10], v[3:4], v[7:8], -v[11:12]
	v_fma_f64 v[11:12], v[1:2], v[7:8], v[15:16]
	scratch_store_b128 off, v[9:12], off offset:704
.LBB52_191:
	s_or_b32 exec_lo, exec_lo, s2
	s_waitcnt_vscnt null, 0x0
	s_barrier
	buffer_gl0_inv
	scratch_load_b128 v[1:4], v162, off
	s_mov_b32 s2, exec_lo
	s_waitcnt vmcnt(0)
	ds_store_b128 v5, v[1:4]
	s_waitcnt lgkmcnt(0)
	s_barrier
	buffer_gl0_inv
	v_cmpx_gt_u32_e32 45, v152
	s_cbranch_execz .LBB52_195
; %bb.192:
	v_dual_mov_b32 v1, 0 :: v_dual_add_nc_u32 v8, 0x350, v13
	v_dual_mov_b32 v2, 0 :: v_dual_add_nc_u32 v7, -1, v152
	v_or_b32_e32 v9, 8, v14
	s_mov_b32 s3, 0
	s_delay_alu instid0(VALU_DEP_2)
	v_dual_mov_b32 v4, v2 :: v_dual_mov_b32 v3, v1
	.p2align	6
.LBB52_193:                             ; =>This Inner Loop Header: Depth=1
	scratch_load_b128 v[15:18], v9, off offset:-8
	ds_load_b128 v[19:22], v8
	v_add_nc_u32_e32 v7, 1, v7
	v_add_nc_u32_e32 v8, 16, v8
	;; [unrolled: 1-line block ×3, first 2 shown]
	s_delay_alu instid0(VALU_DEP_3) | instskip(SKIP_4) | instid1(VALU_DEP_2)
	v_cmp_lt_u32_e32 vcc_lo, 43, v7
	s_or_b32 s3, vcc_lo, s3
	s_waitcnt vmcnt(0) lgkmcnt(0)
	v_mul_f64 v[10:11], v[21:22], v[17:18]
	v_mul_f64 v[17:18], v[19:20], v[17:18]
	v_fma_f64 v[10:11], v[19:20], v[15:16], -v[10:11]
	s_delay_alu instid0(VALU_DEP_2) | instskip(NEXT) | instid1(VALU_DEP_2)
	v_fma_f64 v[15:16], v[21:22], v[15:16], v[17:18]
	v_add_f64 v[3:4], v[3:4], v[10:11]
	s_delay_alu instid0(VALU_DEP_2)
	v_add_f64 v[1:2], v[1:2], v[15:16]
	s_and_not1_b32 exec_lo, exec_lo, s3
	s_cbranch_execnz .LBB52_193
; %bb.194:
	s_or_b32 exec_lo, exec_lo, s3
	v_mov_b32_e32 v7, 0
	ds_load_b128 v[7:10], v7 offset:720
	s_waitcnt lgkmcnt(0)
	v_mul_f64 v[11:12], v[1:2], v[9:10]
	v_mul_f64 v[15:16], v[3:4], v[9:10]
	s_delay_alu instid0(VALU_DEP_2) | instskip(NEXT) | instid1(VALU_DEP_2)
	v_fma_f64 v[9:10], v[3:4], v[7:8], -v[11:12]
	v_fma_f64 v[11:12], v[1:2], v[7:8], v[15:16]
	scratch_store_b128 off, v[9:12], off offset:720
.LBB52_195:
	s_or_b32 exec_lo, exec_lo, s2
	s_waitcnt_vscnt null, 0x0
	s_barrier
	buffer_gl0_inv
	scratch_load_b128 v[1:4], v160, off
	s_mov_b32 s2, exec_lo
	s_waitcnt vmcnt(0)
	ds_store_b128 v5, v[1:4]
	s_waitcnt lgkmcnt(0)
	s_barrier
	buffer_gl0_inv
	v_cmpx_gt_u32_e32 46, v152
	s_cbranch_execz .LBB52_199
; %bb.196:
	v_dual_mov_b32 v1, 0 :: v_dual_add_nc_u32 v8, 0x350, v13
	v_dual_mov_b32 v2, 0 :: v_dual_add_nc_u32 v7, -1, v152
	v_or_b32_e32 v9, 8, v14
	s_mov_b32 s3, 0
	s_delay_alu instid0(VALU_DEP_2)
	v_dual_mov_b32 v4, v2 :: v_dual_mov_b32 v3, v1
	.p2align	6
.LBB52_197:                             ; =>This Inner Loop Header: Depth=1
	scratch_load_b128 v[15:18], v9, off offset:-8
	ds_load_b128 v[19:22], v8
	v_add_nc_u32_e32 v7, 1, v7
	v_add_nc_u32_e32 v8, 16, v8
	;; [unrolled: 1-line block ×3, first 2 shown]
	s_delay_alu instid0(VALU_DEP_3) | instskip(SKIP_4) | instid1(VALU_DEP_2)
	v_cmp_lt_u32_e32 vcc_lo, 44, v7
	s_or_b32 s3, vcc_lo, s3
	s_waitcnt vmcnt(0) lgkmcnt(0)
	v_mul_f64 v[10:11], v[21:22], v[17:18]
	v_mul_f64 v[17:18], v[19:20], v[17:18]
	v_fma_f64 v[10:11], v[19:20], v[15:16], -v[10:11]
	s_delay_alu instid0(VALU_DEP_2) | instskip(NEXT) | instid1(VALU_DEP_2)
	v_fma_f64 v[15:16], v[21:22], v[15:16], v[17:18]
	v_add_f64 v[3:4], v[3:4], v[10:11]
	s_delay_alu instid0(VALU_DEP_2)
	v_add_f64 v[1:2], v[1:2], v[15:16]
	s_and_not1_b32 exec_lo, exec_lo, s3
	s_cbranch_execnz .LBB52_197
; %bb.198:
	s_or_b32 exec_lo, exec_lo, s3
	v_mov_b32_e32 v7, 0
	ds_load_b128 v[7:10], v7 offset:736
	s_waitcnt lgkmcnt(0)
	v_mul_f64 v[11:12], v[1:2], v[9:10]
	v_mul_f64 v[15:16], v[3:4], v[9:10]
	s_delay_alu instid0(VALU_DEP_2) | instskip(NEXT) | instid1(VALU_DEP_2)
	v_fma_f64 v[9:10], v[3:4], v[7:8], -v[11:12]
	v_fma_f64 v[11:12], v[1:2], v[7:8], v[15:16]
	scratch_store_b128 off, v[9:12], off offset:736
.LBB52_199:
	s_or_b32 exec_lo, exec_lo, s2
	s_waitcnt_vscnt null, 0x0
	s_barrier
	buffer_gl0_inv
	scratch_load_b128 v[1:4], v158, off
	s_mov_b32 s2, exec_lo
	s_waitcnt vmcnt(0)
	ds_store_b128 v5, v[1:4]
	s_waitcnt lgkmcnt(0)
	s_barrier
	buffer_gl0_inv
	v_cmpx_gt_u32_e32 47, v152
	s_cbranch_execz .LBB52_203
; %bb.200:
	v_dual_mov_b32 v1, 0 :: v_dual_add_nc_u32 v8, 0x350, v13
	v_dual_mov_b32 v2, 0 :: v_dual_add_nc_u32 v7, -1, v152
	v_or_b32_e32 v9, 8, v14
	s_mov_b32 s3, 0
	s_delay_alu instid0(VALU_DEP_2)
	v_dual_mov_b32 v4, v2 :: v_dual_mov_b32 v3, v1
	.p2align	6
.LBB52_201:                             ; =>This Inner Loop Header: Depth=1
	scratch_load_b128 v[15:18], v9, off offset:-8
	ds_load_b128 v[19:22], v8
	v_add_nc_u32_e32 v7, 1, v7
	v_add_nc_u32_e32 v8, 16, v8
	;; [unrolled: 1-line block ×3, first 2 shown]
	s_delay_alu instid0(VALU_DEP_3) | instskip(SKIP_4) | instid1(VALU_DEP_2)
	v_cmp_lt_u32_e32 vcc_lo, 45, v7
	s_or_b32 s3, vcc_lo, s3
	s_waitcnt vmcnt(0) lgkmcnt(0)
	v_mul_f64 v[10:11], v[21:22], v[17:18]
	v_mul_f64 v[17:18], v[19:20], v[17:18]
	v_fma_f64 v[10:11], v[19:20], v[15:16], -v[10:11]
	s_delay_alu instid0(VALU_DEP_2) | instskip(NEXT) | instid1(VALU_DEP_2)
	v_fma_f64 v[15:16], v[21:22], v[15:16], v[17:18]
	v_add_f64 v[3:4], v[3:4], v[10:11]
	s_delay_alu instid0(VALU_DEP_2)
	v_add_f64 v[1:2], v[1:2], v[15:16]
	s_and_not1_b32 exec_lo, exec_lo, s3
	s_cbranch_execnz .LBB52_201
; %bb.202:
	s_or_b32 exec_lo, exec_lo, s3
	v_mov_b32_e32 v7, 0
	ds_load_b128 v[7:10], v7 offset:752
	s_waitcnt lgkmcnt(0)
	v_mul_f64 v[11:12], v[1:2], v[9:10]
	v_mul_f64 v[15:16], v[3:4], v[9:10]
	s_delay_alu instid0(VALU_DEP_2) | instskip(NEXT) | instid1(VALU_DEP_2)
	v_fma_f64 v[9:10], v[3:4], v[7:8], -v[11:12]
	v_fma_f64 v[11:12], v[1:2], v[7:8], v[15:16]
	scratch_store_b128 off, v[9:12], off offset:752
.LBB52_203:
	s_or_b32 exec_lo, exec_lo, s2
	s_waitcnt_vscnt null, 0x0
	s_barrier
	buffer_gl0_inv
	scratch_load_b128 v[1:4], v156, off
	s_mov_b32 s2, exec_lo
	s_waitcnt vmcnt(0)
	ds_store_b128 v5, v[1:4]
	s_waitcnt lgkmcnt(0)
	s_barrier
	buffer_gl0_inv
	v_cmpx_gt_u32_e32 48, v152
	s_cbranch_execz .LBB52_207
; %bb.204:
	v_dual_mov_b32 v1, 0 :: v_dual_add_nc_u32 v8, 0x350, v13
	v_dual_mov_b32 v2, 0 :: v_dual_add_nc_u32 v7, -1, v152
	v_or_b32_e32 v9, 8, v14
	s_mov_b32 s3, 0
	s_delay_alu instid0(VALU_DEP_2)
	v_dual_mov_b32 v4, v2 :: v_dual_mov_b32 v3, v1
	.p2align	6
.LBB52_205:                             ; =>This Inner Loop Header: Depth=1
	scratch_load_b128 v[15:18], v9, off offset:-8
	ds_load_b128 v[19:22], v8
	v_add_nc_u32_e32 v7, 1, v7
	v_add_nc_u32_e32 v8, 16, v8
	;; [unrolled: 1-line block ×3, first 2 shown]
	s_delay_alu instid0(VALU_DEP_3) | instskip(SKIP_4) | instid1(VALU_DEP_2)
	v_cmp_lt_u32_e32 vcc_lo, 46, v7
	s_or_b32 s3, vcc_lo, s3
	s_waitcnt vmcnt(0) lgkmcnt(0)
	v_mul_f64 v[10:11], v[21:22], v[17:18]
	v_mul_f64 v[17:18], v[19:20], v[17:18]
	v_fma_f64 v[10:11], v[19:20], v[15:16], -v[10:11]
	s_delay_alu instid0(VALU_DEP_2) | instskip(NEXT) | instid1(VALU_DEP_2)
	v_fma_f64 v[15:16], v[21:22], v[15:16], v[17:18]
	v_add_f64 v[3:4], v[3:4], v[10:11]
	s_delay_alu instid0(VALU_DEP_2)
	v_add_f64 v[1:2], v[1:2], v[15:16]
	s_and_not1_b32 exec_lo, exec_lo, s3
	s_cbranch_execnz .LBB52_205
; %bb.206:
	s_or_b32 exec_lo, exec_lo, s3
	v_mov_b32_e32 v7, 0
	ds_load_b128 v[7:10], v7 offset:768
	s_waitcnt lgkmcnt(0)
	v_mul_f64 v[11:12], v[1:2], v[9:10]
	v_mul_f64 v[15:16], v[3:4], v[9:10]
	s_delay_alu instid0(VALU_DEP_2) | instskip(NEXT) | instid1(VALU_DEP_2)
	v_fma_f64 v[9:10], v[3:4], v[7:8], -v[11:12]
	v_fma_f64 v[11:12], v[1:2], v[7:8], v[15:16]
	scratch_store_b128 off, v[9:12], off offset:768
.LBB52_207:
	s_or_b32 exec_lo, exec_lo, s2
	s_waitcnt_vscnt null, 0x0
	s_barrier
	buffer_gl0_inv
	scratch_load_b128 v[1:4], v161, off
	s_mov_b32 s2, exec_lo
	s_waitcnt vmcnt(0)
	ds_store_b128 v5, v[1:4]
	s_waitcnt lgkmcnt(0)
	s_barrier
	buffer_gl0_inv
	v_cmpx_gt_u32_e32 49, v152
	s_cbranch_execz .LBB52_211
; %bb.208:
	v_dual_mov_b32 v1, 0 :: v_dual_add_nc_u32 v8, 0x350, v13
	v_dual_mov_b32 v2, 0 :: v_dual_add_nc_u32 v7, -1, v152
	v_or_b32_e32 v9, 8, v14
	s_mov_b32 s3, 0
	s_delay_alu instid0(VALU_DEP_2)
	v_dual_mov_b32 v4, v2 :: v_dual_mov_b32 v3, v1
	.p2align	6
.LBB52_209:                             ; =>This Inner Loop Header: Depth=1
	scratch_load_b128 v[15:18], v9, off offset:-8
	ds_load_b128 v[19:22], v8
	v_add_nc_u32_e32 v7, 1, v7
	v_add_nc_u32_e32 v8, 16, v8
	;; [unrolled: 1-line block ×3, first 2 shown]
	s_delay_alu instid0(VALU_DEP_3) | instskip(SKIP_4) | instid1(VALU_DEP_2)
	v_cmp_lt_u32_e32 vcc_lo, 47, v7
	s_or_b32 s3, vcc_lo, s3
	s_waitcnt vmcnt(0) lgkmcnt(0)
	v_mul_f64 v[10:11], v[21:22], v[17:18]
	v_mul_f64 v[17:18], v[19:20], v[17:18]
	v_fma_f64 v[10:11], v[19:20], v[15:16], -v[10:11]
	s_delay_alu instid0(VALU_DEP_2) | instskip(NEXT) | instid1(VALU_DEP_2)
	v_fma_f64 v[15:16], v[21:22], v[15:16], v[17:18]
	v_add_f64 v[3:4], v[3:4], v[10:11]
	s_delay_alu instid0(VALU_DEP_2)
	v_add_f64 v[1:2], v[1:2], v[15:16]
	s_and_not1_b32 exec_lo, exec_lo, s3
	s_cbranch_execnz .LBB52_209
; %bb.210:
	s_or_b32 exec_lo, exec_lo, s3
	v_mov_b32_e32 v7, 0
	ds_load_b128 v[7:10], v7 offset:784
	s_waitcnt lgkmcnt(0)
	v_mul_f64 v[11:12], v[1:2], v[9:10]
	v_mul_f64 v[15:16], v[3:4], v[9:10]
	s_delay_alu instid0(VALU_DEP_2) | instskip(NEXT) | instid1(VALU_DEP_2)
	v_fma_f64 v[9:10], v[3:4], v[7:8], -v[11:12]
	v_fma_f64 v[11:12], v[1:2], v[7:8], v[15:16]
	scratch_store_b128 off, v[9:12], off offset:784
.LBB52_211:
	s_or_b32 exec_lo, exec_lo, s2
	s_waitcnt_vscnt null, 0x0
	s_barrier
	buffer_gl0_inv
	scratch_load_b128 v[1:4], v159, off
	s_mov_b32 s2, exec_lo
	s_waitcnt vmcnt(0)
	ds_store_b128 v5, v[1:4]
	s_waitcnt lgkmcnt(0)
	s_barrier
	buffer_gl0_inv
	v_cmpx_gt_u32_e32 50, v152
	s_cbranch_execz .LBB52_215
; %bb.212:
	v_dual_mov_b32 v1, 0 :: v_dual_add_nc_u32 v8, 0x350, v13
	v_dual_mov_b32 v2, 0 :: v_dual_add_nc_u32 v7, -1, v152
	v_or_b32_e32 v9, 8, v14
	s_mov_b32 s3, 0
	s_delay_alu instid0(VALU_DEP_2)
	v_dual_mov_b32 v4, v2 :: v_dual_mov_b32 v3, v1
	.p2align	6
.LBB52_213:                             ; =>This Inner Loop Header: Depth=1
	scratch_load_b128 v[15:18], v9, off offset:-8
	ds_load_b128 v[19:22], v8
	v_add_nc_u32_e32 v7, 1, v7
	v_add_nc_u32_e32 v8, 16, v8
	;; [unrolled: 1-line block ×3, first 2 shown]
	s_delay_alu instid0(VALU_DEP_3) | instskip(SKIP_4) | instid1(VALU_DEP_2)
	v_cmp_lt_u32_e32 vcc_lo, 48, v7
	s_or_b32 s3, vcc_lo, s3
	s_waitcnt vmcnt(0) lgkmcnt(0)
	v_mul_f64 v[10:11], v[21:22], v[17:18]
	v_mul_f64 v[17:18], v[19:20], v[17:18]
	v_fma_f64 v[10:11], v[19:20], v[15:16], -v[10:11]
	s_delay_alu instid0(VALU_DEP_2) | instskip(NEXT) | instid1(VALU_DEP_2)
	v_fma_f64 v[15:16], v[21:22], v[15:16], v[17:18]
	v_add_f64 v[3:4], v[3:4], v[10:11]
	s_delay_alu instid0(VALU_DEP_2)
	v_add_f64 v[1:2], v[1:2], v[15:16]
	s_and_not1_b32 exec_lo, exec_lo, s3
	s_cbranch_execnz .LBB52_213
; %bb.214:
	s_or_b32 exec_lo, exec_lo, s3
	v_mov_b32_e32 v7, 0
	ds_load_b128 v[7:10], v7 offset:800
	s_waitcnt lgkmcnt(0)
	v_mul_f64 v[11:12], v[1:2], v[9:10]
	v_mul_f64 v[15:16], v[3:4], v[9:10]
	s_delay_alu instid0(VALU_DEP_2) | instskip(NEXT) | instid1(VALU_DEP_2)
	v_fma_f64 v[9:10], v[3:4], v[7:8], -v[11:12]
	v_fma_f64 v[11:12], v[1:2], v[7:8], v[15:16]
	scratch_store_b128 off, v[9:12], off offset:800
.LBB52_215:
	s_or_b32 exec_lo, exec_lo, s2
	s_waitcnt_vscnt null, 0x0
	s_barrier
	buffer_gl0_inv
	scratch_load_b128 v[1:4], v157, off
	s_mov_b32 s2, exec_lo
	s_waitcnt vmcnt(0)
	ds_store_b128 v5, v[1:4]
	s_waitcnt lgkmcnt(0)
	s_barrier
	buffer_gl0_inv
	v_cmpx_gt_u32_e32 51, v152
	s_cbranch_execz .LBB52_219
; %bb.216:
	v_dual_mov_b32 v1, 0 :: v_dual_add_nc_u32 v8, 0x350, v13
	v_dual_mov_b32 v2, 0 :: v_dual_add_nc_u32 v7, -1, v152
	v_or_b32_e32 v9, 8, v14
	s_mov_b32 s3, 0
	s_delay_alu instid0(VALU_DEP_2)
	v_dual_mov_b32 v4, v2 :: v_dual_mov_b32 v3, v1
	.p2align	6
.LBB52_217:                             ; =>This Inner Loop Header: Depth=1
	scratch_load_b128 v[10:13], v9, off offset:-8
	ds_load_b128 v[15:18], v8
	v_add_nc_u32_e32 v7, 1, v7
	v_add_nc_u32_e32 v8, 16, v8
	;; [unrolled: 1-line block ×3, first 2 shown]
	s_delay_alu instid0(VALU_DEP_3) | instskip(SKIP_4) | instid1(VALU_DEP_2)
	v_cmp_lt_u32_e32 vcc_lo, 49, v7
	s_or_b32 s3, vcc_lo, s3
	s_waitcnt vmcnt(0) lgkmcnt(0)
	v_mul_f64 v[19:20], v[17:18], v[12:13]
	v_mul_f64 v[12:13], v[15:16], v[12:13]
	v_fma_f64 v[15:16], v[15:16], v[10:11], -v[19:20]
	s_delay_alu instid0(VALU_DEP_2) | instskip(NEXT) | instid1(VALU_DEP_2)
	v_fma_f64 v[10:11], v[17:18], v[10:11], v[12:13]
	v_add_f64 v[3:4], v[3:4], v[15:16]
	s_delay_alu instid0(VALU_DEP_2)
	v_add_f64 v[1:2], v[1:2], v[10:11]
	s_and_not1_b32 exec_lo, exec_lo, s3
	s_cbranch_execnz .LBB52_217
; %bb.218:
	s_or_b32 exec_lo, exec_lo, s3
	v_mov_b32_e32 v7, 0
	ds_load_b128 v[7:10], v7 offset:816
	s_waitcnt lgkmcnt(0)
	v_mul_f64 v[11:12], v[1:2], v[9:10]
	v_mul_f64 v[15:16], v[3:4], v[9:10]
	s_delay_alu instid0(VALU_DEP_2) | instskip(NEXT) | instid1(VALU_DEP_2)
	v_fma_f64 v[9:10], v[3:4], v[7:8], -v[11:12]
	v_fma_f64 v[11:12], v[1:2], v[7:8], v[15:16]
	scratch_store_b128 off, v[9:12], off offset:816
.LBB52_219:
	s_or_b32 exec_lo, exec_lo, s2
	s_waitcnt_vscnt null, 0x0
	s_barrier
	buffer_gl0_inv
	scratch_load_b128 v[1:4], v197, off
	s_mov_b32 s2, exec_lo
	s_waitcnt vmcnt(0)
	ds_store_b128 v5, v[1:4]
	s_waitcnt lgkmcnt(0)
	s_barrier
	buffer_gl0_inv
	v_cmpx_ne_u32_e32 52, v152
	s_cbranch_execz .LBB52_223
; %bb.220:
	v_mov_b32_e32 v1, 0
	v_mov_b32_e32 v2, 0
	v_or_b32_e32 v7, 8, v14
	s_mov_b32 s3, 0
	s_delay_alu instid0(VALU_DEP_2)
	v_dual_mov_b32 v4, v2 :: v_dual_mov_b32 v3, v1
	.p2align	6
.LBB52_221:                             ; =>This Inner Loop Header: Depth=1
	scratch_load_b128 v[8:11], v7, off offset:-8
	ds_load_b128 v[12:15], v5
	v_add_nc_u32_e32 v6, 1, v6
	v_add_nc_u32_e32 v5, 16, v5
	;; [unrolled: 1-line block ×3, first 2 shown]
	s_delay_alu instid0(VALU_DEP_3) | instskip(SKIP_4) | instid1(VALU_DEP_2)
	v_cmp_lt_u32_e32 vcc_lo, 50, v6
	s_or_b32 s3, vcc_lo, s3
	s_waitcnt vmcnt(0) lgkmcnt(0)
	v_mul_f64 v[16:17], v[14:15], v[10:11]
	v_mul_f64 v[10:11], v[12:13], v[10:11]
	v_fma_f64 v[12:13], v[12:13], v[8:9], -v[16:17]
	s_delay_alu instid0(VALU_DEP_2) | instskip(NEXT) | instid1(VALU_DEP_2)
	v_fma_f64 v[8:9], v[14:15], v[8:9], v[10:11]
	v_add_f64 v[3:4], v[3:4], v[12:13]
	s_delay_alu instid0(VALU_DEP_2)
	v_add_f64 v[1:2], v[1:2], v[8:9]
	s_and_not1_b32 exec_lo, exec_lo, s3
	s_cbranch_execnz .LBB52_221
; %bb.222:
	s_or_b32 exec_lo, exec_lo, s3
	v_mov_b32_e32 v5, 0
	ds_load_b128 v[5:8], v5 offset:832
	s_waitcnt lgkmcnt(0)
	v_mul_f64 v[9:10], v[1:2], v[7:8]
	v_mul_f64 v[7:8], v[3:4], v[7:8]
	s_delay_alu instid0(VALU_DEP_2) | instskip(NEXT) | instid1(VALU_DEP_2)
	v_fma_f64 v[3:4], v[3:4], v[5:6], -v[9:10]
	v_fma_f64 v[5:6], v[1:2], v[5:6], v[7:8]
	scratch_store_b128 off, v[3:6], off offset:832
.LBB52_223:
	s_or_b32 exec_lo, exec_lo, s2
	s_mov_b32 s3, -1
	s_waitcnt_vscnt null, 0x0
	s_barrier
	buffer_gl0_inv
.LBB52_224:
	s_and_b32 vcc_lo, exec_lo, s3
	s_cbranch_vccz .LBB52_226
; %bb.225:
	s_lshl_b64 s[2:3], s[18:19], 2
	v_mov_b32_e32 v1, 0
	s_add_u32 s2, s6, s2
	s_addc_u32 s3, s7, s3
	global_load_b32 v1, v1, s[2:3]
	s_waitcnt vmcnt(0)
	v_cmp_ne_u32_e32 vcc_lo, 0, v1
	s_cbranch_vccz .LBB52_227
.LBB52_226:
	s_endpgm
.LBB52_227:
	v_lshl_add_u32 v205, v152, 4, 0x350
	s_mov_b32 s2, exec_lo
	v_cmpx_eq_u32_e32 52, v152
	s_cbranch_execz .LBB52_229
; %bb.228:
	scratch_load_b128 v[1:4], v157, off
	v_mov_b32_e32 v5, 0
	s_delay_alu instid0(VALU_DEP_1)
	v_mov_b32_e32 v6, v5
	v_mov_b32_e32 v7, v5
	;; [unrolled: 1-line block ×3, first 2 shown]
	scratch_store_b128 off, v[5:8], off offset:816
	s_waitcnt vmcnt(0)
	ds_store_b128 v205, v[1:4]
.LBB52_229:
	s_or_b32 exec_lo, exec_lo, s2
	s_waitcnt lgkmcnt(0)
	s_waitcnt_vscnt null, 0x0
	s_barrier
	buffer_gl0_inv
	s_clause 0x1
	scratch_load_b128 v[2:5], off, off offset:832
	scratch_load_b128 v[6:9], off, off offset:816
	v_mov_b32_e32 v1, 0
	s_mov_b32 s2, exec_lo
	ds_load_b128 v[10:13], v1 offset:1680
	s_waitcnt vmcnt(1) lgkmcnt(0)
	v_mul_f64 v[14:15], v[12:13], v[4:5]
	v_mul_f64 v[4:5], v[10:11], v[4:5]
	s_delay_alu instid0(VALU_DEP_2) | instskip(NEXT) | instid1(VALU_DEP_2)
	v_fma_f64 v[10:11], v[10:11], v[2:3], -v[14:15]
	v_fma_f64 v[2:3], v[12:13], v[2:3], v[4:5]
	s_delay_alu instid0(VALU_DEP_2) | instskip(NEXT) | instid1(VALU_DEP_2)
	v_add_f64 v[4:5], v[10:11], 0
	v_add_f64 v[10:11], v[2:3], 0
	s_waitcnt vmcnt(0)
	s_delay_alu instid0(VALU_DEP_2) | instskip(NEXT) | instid1(VALU_DEP_2)
	v_add_f64 v[2:3], v[6:7], -v[4:5]
	v_add_f64 v[4:5], v[8:9], -v[10:11]
	scratch_store_b128 off, v[2:5], off offset:816
	v_cmpx_lt_u32_e32 50, v152
	s_cbranch_execz .LBB52_231
; %bb.230:
	scratch_load_b128 v[5:8], v159, off
	v_mov_b32_e32 v2, v1
	v_mov_b32_e32 v3, v1
	v_mov_b32_e32 v4, v1
	scratch_store_b128 off, v[1:4], off offset:800
	s_waitcnt vmcnt(0)
	ds_store_b128 v205, v[5:8]
.LBB52_231:
	s_or_b32 exec_lo, exec_lo, s2
	s_waitcnt lgkmcnt(0)
	s_waitcnt_vscnt null, 0x0
	s_barrier
	buffer_gl0_inv
	s_clause 0x2
	scratch_load_b128 v[2:5], off, off offset:816
	scratch_load_b128 v[6:9], off, off offset:832
	;; [unrolled: 1-line block ×3, first 2 shown]
	ds_load_b128 v[14:17], v1 offset:1664
	ds_load_b128 v[18:21], v1 offset:1680
	s_mov_b32 s2, exec_lo
	s_waitcnt vmcnt(2) lgkmcnt(1)
	v_mul_f64 v[22:23], v[16:17], v[4:5]
	v_mul_f64 v[4:5], v[14:15], v[4:5]
	s_waitcnt vmcnt(1) lgkmcnt(0)
	v_mul_f64 v[24:25], v[18:19], v[8:9]
	v_mul_f64 v[8:9], v[20:21], v[8:9]
	s_delay_alu instid0(VALU_DEP_4) | instskip(NEXT) | instid1(VALU_DEP_4)
	v_fma_f64 v[14:15], v[14:15], v[2:3], -v[22:23]
	v_fma_f64 v[1:2], v[16:17], v[2:3], v[4:5]
	s_delay_alu instid0(VALU_DEP_4) | instskip(NEXT) | instid1(VALU_DEP_4)
	v_fma_f64 v[3:4], v[20:21], v[6:7], v[24:25]
	v_fma_f64 v[5:6], v[18:19], v[6:7], -v[8:9]
	s_delay_alu instid0(VALU_DEP_4) | instskip(NEXT) | instid1(VALU_DEP_4)
	v_add_f64 v[7:8], v[14:15], 0
	v_add_f64 v[1:2], v[1:2], 0
	s_delay_alu instid0(VALU_DEP_2) | instskip(NEXT) | instid1(VALU_DEP_2)
	v_add_f64 v[5:6], v[7:8], v[5:6]
	v_add_f64 v[3:4], v[1:2], v[3:4]
	s_waitcnt vmcnt(0)
	s_delay_alu instid0(VALU_DEP_2) | instskip(NEXT) | instid1(VALU_DEP_2)
	v_add_f64 v[1:2], v[10:11], -v[5:6]
	v_add_f64 v[3:4], v[12:13], -v[3:4]
	scratch_store_b128 off, v[1:4], off offset:800
	v_cmpx_lt_u32_e32 49, v152
	s_cbranch_execz .LBB52_233
; %bb.232:
	scratch_load_b128 v[1:4], v161, off
	v_mov_b32_e32 v5, 0
	s_delay_alu instid0(VALU_DEP_1)
	v_mov_b32_e32 v6, v5
	v_mov_b32_e32 v7, v5
	;; [unrolled: 1-line block ×3, first 2 shown]
	scratch_store_b128 off, v[5:8], off offset:784
	s_waitcnt vmcnt(0)
	ds_store_b128 v205, v[1:4]
.LBB52_233:
	s_or_b32 exec_lo, exec_lo, s2
	s_waitcnt lgkmcnt(0)
	s_waitcnt_vscnt null, 0x0
	s_barrier
	buffer_gl0_inv
	s_clause 0x3
	scratch_load_b128 v[2:5], off, off offset:800
	scratch_load_b128 v[6:9], off, off offset:816
	;; [unrolled: 1-line block ×4, first 2 shown]
	v_mov_b32_e32 v1, 0
	ds_load_b128 v[18:21], v1 offset:1648
	ds_load_b128 v[22:25], v1 offset:1664
	s_mov_b32 s2, exec_lo
	s_waitcnt vmcnt(3) lgkmcnt(1)
	v_mul_f64 v[26:27], v[20:21], v[4:5]
	v_mul_f64 v[4:5], v[18:19], v[4:5]
	s_waitcnt vmcnt(2) lgkmcnt(0)
	v_mul_f64 v[28:29], v[22:23], v[8:9]
	v_mul_f64 v[8:9], v[24:25], v[8:9]
	s_delay_alu instid0(VALU_DEP_4) | instskip(NEXT) | instid1(VALU_DEP_4)
	v_fma_f64 v[18:19], v[18:19], v[2:3], -v[26:27]
	v_fma_f64 v[20:21], v[20:21], v[2:3], v[4:5]
	ds_load_b128 v[2:5], v1 offset:1680
	v_fma_f64 v[24:25], v[24:25], v[6:7], v[28:29]
	v_fma_f64 v[6:7], v[22:23], v[6:7], -v[8:9]
	s_waitcnt vmcnt(1) lgkmcnt(0)
	v_mul_f64 v[26:27], v[2:3], v[12:13]
	v_mul_f64 v[12:13], v[4:5], v[12:13]
	v_add_f64 v[8:9], v[18:19], 0
	v_add_f64 v[18:19], v[20:21], 0
	s_delay_alu instid0(VALU_DEP_4) | instskip(NEXT) | instid1(VALU_DEP_4)
	v_fma_f64 v[4:5], v[4:5], v[10:11], v[26:27]
	v_fma_f64 v[2:3], v[2:3], v[10:11], -v[12:13]
	s_delay_alu instid0(VALU_DEP_4) | instskip(NEXT) | instid1(VALU_DEP_4)
	v_add_f64 v[6:7], v[8:9], v[6:7]
	v_add_f64 v[8:9], v[18:19], v[24:25]
	s_delay_alu instid0(VALU_DEP_2) | instskip(NEXT) | instid1(VALU_DEP_2)
	v_add_f64 v[2:3], v[6:7], v[2:3]
	v_add_f64 v[4:5], v[8:9], v[4:5]
	s_waitcnt vmcnt(0)
	s_delay_alu instid0(VALU_DEP_2) | instskip(NEXT) | instid1(VALU_DEP_2)
	v_add_f64 v[2:3], v[14:15], -v[2:3]
	v_add_f64 v[4:5], v[16:17], -v[4:5]
	scratch_store_b128 off, v[2:5], off offset:784
	v_cmpx_lt_u32_e32 48, v152
	s_cbranch_execz .LBB52_235
; %bb.234:
	scratch_load_b128 v[5:8], v156, off
	v_mov_b32_e32 v2, v1
	v_mov_b32_e32 v3, v1
	v_mov_b32_e32 v4, v1
	scratch_store_b128 off, v[1:4], off offset:768
	s_waitcnt vmcnt(0)
	ds_store_b128 v205, v[5:8]
.LBB52_235:
	s_or_b32 exec_lo, exec_lo, s2
	s_waitcnt lgkmcnt(0)
	s_waitcnt_vscnt null, 0x0
	s_barrier
	buffer_gl0_inv
	s_clause 0x4
	scratch_load_b128 v[2:5], off, off offset:784
	scratch_load_b128 v[6:9], off, off offset:800
	;; [unrolled: 1-line block ×5, first 2 shown]
	ds_load_b128 v[22:25], v1 offset:1632
	ds_load_b128 v[26:29], v1 offset:1648
	s_mov_b32 s2, exec_lo
	s_waitcnt vmcnt(4) lgkmcnt(1)
	v_mul_f64 v[30:31], v[24:25], v[4:5]
	v_mul_f64 v[4:5], v[22:23], v[4:5]
	s_waitcnt vmcnt(3) lgkmcnt(0)
	v_mul_f64 v[32:33], v[26:27], v[8:9]
	v_mul_f64 v[8:9], v[28:29], v[8:9]
	s_delay_alu instid0(VALU_DEP_4) | instskip(NEXT) | instid1(VALU_DEP_4)
	v_fma_f64 v[30:31], v[22:23], v[2:3], -v[30:31]
	v_fma_f64 v[34:35], v[24:25], v[2:3], v[4:5]
	ds_load_b128 v[2:5], v1 offset:1664
	ds_load_b128 v[22:25], v1 offset:1680
	v_fma_f64 v[28:29], v[28:29], v[6:7], v[32:33]
	v_fma_f64 v[6:7], v[26:27], v[6:7], -v[8:9]
	s_waitcnt vmcnt(2) lgkmcnt(1)
	v_mul_f64 v[36:37], v[2:3], v[12:13]
	v_mul_f64 v[12:13], v[4:5], v[12:13]
	v_add_f64 v[8:9], v[30:31], 0
	v_add_f64 v[26:27], v[34:35], 0
	s_waitcnt vmcnt(1) lgkmcnt(0)
	v_mul_f64 v[30:31], v[22:23], v[16:17]
	v_mul_f64 v[16:17], v[24:25], v[16:17]
	v_fma_f64 v[4:5], v[4:5], v[10:11], v[36:37]
	v_fma_f64 v[1:2], v[2:3], v[10:11], -v[12:13]
	v_add_f64 v[6:7], v[8:9], v[6:7]
	v_add_f64 v[8:9], v[26:27], v[28:29]
	v_fma_f64 v[10:11], v[24:25], v[14:15], v[30:31]
	v_fma_f64 v[12:13], v[22:23], v[14:15], -v[16:17]
	s_delay_alu instid0(VALU_DEP_4) | instskip(NEXT) | instid1(VALU_DEP_4)
	v_add_f64 v[1:2], v[6:7], v[1:2]
	v_add_f64 v[3:4], v[8:9], v[4:5]
	s_delay_alu instid0(VALU_DEP_2) | instskip(NEXT) | instid1(VALU_DEP_2)
	v_add_f64 v[1:2], v[1:2], v[12:13]
	v_add_f64 v[3:4], v[3:4], v[10:11]
	s_waitcnt vmcnt(0)
	s_delay_alu instid0(VALU_DEP_2) | instskip(NEXT) | instid1(VALU_DEP_2)
	v_add_f64 v[1:2], v[18:19], -v[1:2]
	v_add_f64 v[3:4], v[20:21], -v[3:4]
	scratch_store_b128 off, v[1:4], off offset:768
	v_cmpx_lt_u32_e32 47, v152
	s_cbranch_execz .LBB52_237
; %bb.236:
	scratch_load_b128 v[1:4], v158, off
	v_mov_b32_e32 v5, 0
	s_delay_alu instid0(VALU_DEP_1)
	v_mov_b32_e32 v6, v5
	v_mov_b32_e32 v7, v5
	;; [unrolled: 1-line block ×3, first 2 shown]
	scratch_store_b128 off, v[5:8], off offset:752
	s_waitcnt vmcnt(0)
	ds_store_b128 v205, v[1:4]
.LBB52_237:
	s_or_b32 exec_lo, exec_lo, s2
	s_waitcnt lgkmcnt(0)
	s_waitcnt_vscnt null, 0x0
	s_barrier
	buffer_gl0_inv
	s_clause 0x5
	scratch_load_b128 v[2:5], off, off offset:768
	scratch_load_b128 v[6:9], off, off offset:784
	;; [unrolled: 1-line block ×6, first 2 shown]
	v_mov_b32_e32 v1, 0
	ds_load_b128 v[26:29], v1 offset:1616
	ds_load_b128 v[30:33], v1 offset:1632
	s_mov_b32 s2, exec_lo
	s_waitcnt vmcnt(5) lgkmcnt(1)
	v_mul_f64 v[34:35], v[28:29], v[4:5]
	v_mul_f64 v[4:5], v[26:27], v[4:5]
	s_waitcnt vmcnt(4) lgkmcnt(0)
	v_mul_f64 v[36:37], v[30:31], v[8:9]
	v_mul_f64 v[8:9], v[32:33], v[8:9]
	s_delay_alu instid0(VALU_DEP_4) | instskip(NEXT) | instid1(VALU_DEP_4)
	v_fma_f64 v[34:35], v[26:27], v[2:3], -v[34:35]
	v_fma_f64 v[38:39], v[28:29], v[2:3], v[4:5]
	ds_load_b128 v[2:5], v1 offset:1648
	ds_load_b128 v[26:29], v1 offset:1664
	v_fma_f64 v[32:33], v[32:33], v[6:7], v[36:37]
	v_fma_f64 v[6:7], v[30:31], v[6:7], -v[8:9]
	s_waitcnt vmcnt(3) lgkmcnt(1)
	v_mul_f64 v[40:41], v[2:3], v[12:13]
	v_mul_f64 v[12:13], v[4:5], v[12:13]
	v_add_f64 v[8:9], v[34:35], 0
	v_add_f64 v[30:31], v[38:39], 0
	s_waitcnt vmcnt(2) lgkmcnt(0)
	v_mul_f64 v[34:35], v[26:27], v[16:17]
	v_mul_f64 v[16:17], v[28:29], v[16:17]
	v_fma_f64 v[36:37], v[4:5], v[10:11], v[40:41]
	v_fma_f64 v[10:11], v[2:3], v[10:11], -v[12:13]
	ds_load_b128 v[2:5], v1 offset:1680
	v_add_f64 v[6:7], v[8:9], v[6:7]
	v_add_f64 v[8:9], v[30:31], v[32:33]
	v_fma_f64 v[28:29], v[28:29], v[14:15], v[34:35]
	v_fma_f64 v[14:15], v[26:27], v[14:15], -v[16:17]
	s_waitcnt vmcnt(1) lgkmcnt(0)
	v_mul_f64 v[12:13], v[2:3], v[20:21]
	v_mul_f64 v[20:21], v[4:5], v[20:21]
	v_add_f64 v[6:7], v[6:7], v[10:11]
	v_add_f64 v[8:9], v[8:9], v[36:37]
	s_delay_alu instid0(VALU_DEP_4) | instskip(NEXT) | instid1(VALU_DEP_4)
	v_fma_f64 v[4:5], v[4:5], v[18:19], v[12:13]
	v_fma_f64 v[2:3], v[2:3], v[18:19], -v[20:21]
	s_delay_alu instid0(VALU_DEP_4) | instskip(NEXT) | instid1(VALU_DEP_4)
	v_add_f64 v[6:7], v[6:7], v[14:15]
	v_add_f64 v[8:9], v[8:9], v[28:29]
	s_delay_alu instid0(VALU_DEP_2) | instskip(NEXT) | instid1(VALU_DEP_2)
	v_add_f64 v[2:3], v[6:7], v[2:3]
	v_add_f64 v[4:5], v[8:9], v[4:5]
	s_waitcnt vmcnt(0)
	s_delay_alu instid0(VALU_DEP_2) | instskip(NEXT) | instid1(VALU_DEP_2)
	v_add_f64 v[2:3], v[22:23], -v[2:3]
	v_add_f64 v[4:5], v[24:25], -v[4:5]
	scratch_store_b128 off, v[2:5], off offset:752
	v_cmpx_lt_u32_e32 46, v152
	s_cbranch_execz .LBB52_239
; %bb.238:
	scratch_load_b128 v[5:8], v160, off
	v_mov_b32_e32 v2, v1
	v_mov_b32_e32 v3, v1
	;; [unrolled: 1-line block ×3, first 2 shown]
	scratch_store_b128 off, v[1:4], off offset:736
	s_waitcnt vmcnt(0)
	ds_store_b128 v205, v[5:8]
.LBB52_239:
	s_or_b32 exec_lo, exec_lo, s2
	s_waitcnt lgkmcnt(0)
	s_waitcnt_vscnt null, 0x0
	s_barrier
	buffer_gl0_inv
	s_clause 0x5
	scratch_load_b128 v[2:5], off, off offset:752
	scratch_load_b128 v[6:9], off, off offset:768
	;; [unrolled: 1-line block ×6, first 2 shown]
	ds_load_b128 v[26:29], v1 offset:1600
	ds_load_b128 v[34:37], v1 offset:1616
	scratch_load_b128 v[30:33], off, off offset:736
	s_mov_b32 s2, exec_lo
	s_waitcnt vmcnt(6) lgkmcnt(1)
	v_mul_f64 v[38:39], v[28:29], v[4:5]
	v_mul_f64 v[4:5], v[26:27], v[4:5]
	s_waitcnt vmcnt(5) lgkmcnt(0)
	v_mul_f64 v[40:41], v[34:35], v[8:9]
	v_mul_f64 v[8:9], v[36:37], v[8:9]
	s_delay_alu instid0(VALU_DEP_4) | instskip(NEXT) | instid1(VALU_DEP_4)
	v_fma_f64 v[38:39], v[26:27], v[2:3], -v[38:39]
	v_fma_f64 v[42:43], v[28:29], v[2:3], v[4:5]
	ds_load_b128 v[2:5], v1 offset:1632
	ds_load_b128 v[26:29], v1 offset:1648
	v_fma_f64 v[36:37], v[36:37], v[6:7], v[40:41]
	v_fma_f64 v[6:7], v[34:35], v[6:7], -v[8:9]
	s_waitcnt vmcnt(4) lgkmcnt(1)
	v_mul_f64 v[44:45], v[2:3], v[12:13]
	v_mul_f64 v[12:13], v[4:5], v[12:13]
	v_add_f64 v[8:9], v[38:39], 0
	v_add_f64 v[34:35], v[42:43], 0
	s_waitcnt vmcnt(3) lgkmcnt(0)
	v_mul_f64 v[38:39], v[26:27], v[16:17]
	v_mul_f64 v[16:17], v[28:29], v[16:17]
	v_fma_f64 v[40:41], v[4:5], v[10:11], v[44:45]
	v_fma_f64 v[10:11], v[2:3], v[10:11], -v[12:13]
	v_add_f64 v[12:13], v[8:9], v[6:7]
	v_add_f64 v[34:35], v[34:35], v[36:37]
	ds_load_b128 v[2:5], v1 offset:1664
	ds_load_b128 v[6:9], v1 offset:1680
	v_fma_f64 v[28:29], v[28:29], v[14:15], v[38:39]
	v_fma_f64 v[14:15], v[26:27], v[14:15], -v[16:17]
	s_waitcnt vmcnt(2) lgkmcnt(1)
	v_mul_f64 v[36:37], v[2:3], v[20:21]
	v_mul_f64 v[20:21], v[4:5], v[20:21]
	s_waitcnt vmcnt(1) lgkmcnt(0)
	v_mul_f64 v[16:17], v[6:7], v[24:25]
	v_mul_f64 v[24:25], v[8:9], v[24:25]
	v_add_f64 v[10:11], v[12:13], v[10:11]
	v_add_f64 v[12:13], v[34:35], v[40:41]
	v_fma_f64 v[4:5], v[4:5], v[18:19], v[36:37]
	v_fma_f64 v[1:2], v[2:3], v[18:19], -v[20:21]
	v_fma_f64 v[8:9], v[8:9], v[22:23], v[16:17]
	v_fma_f64 v[6:7], v[6:7], v[22:23], -v[24:25]
	v_add_f64 v[10:11], v[10:11], v[14:15]
	v_add_f64 v[12:13], v[12:13], v[28:29]
	s_delay_alu instid0(VALU_DEP_2) | instskip(NEXT) | instid1(VALU_DEP_2)
	v_add_f64 v[1:2], v[10:11], v[1:2]
	v_add_f64 v[3:4], v[12:13], v[4:5]
	s_delay_alu instid0(VALU_DEP_2) | instskip(NEXT) | instid1(VALU_DEP_2)
	v_add_f64 v[1:2], v[1:2], v[6:7]
	v_add_f64 v[3:4], v[3:4], v[8:9]
	s_waitcnt vmcnt(0)
	s_delay_alu instid0(VALU_DEP_2) | instskip(NEXT) | instid1(VALU_DEP_2)
	v_add_f64 v[1:2], v[30:31], -v[1:2]
	v_add_f64 v[3:4], v[32:33], -v[3:4]
	scratch_store_b128 off, v[1:4], off offset:736
	v_cmpx_lt_u32_e32 45, v152
	s_cbranch_execz .LBB52_241
; %bb.240:
	scratch_load_b128 v[1:4], v162, off
	v_mov_b32_e32 v5, 0
	s_delay_alu instid0(VALU_DEP_1)
	v_mov_b32_e32 v6, v5
	v_mov_b32_e32 v7, v5
	v_mov_b32_e32 v8, v5
	scratch_store_b128 off, v[5:8], off offset:720
	s_waitcnt vmcnt(0)
	ds_store_b128 v205, v[1:4]
.LBB52_241:
	s_or_b32 exec_lo, exec_lo, s2
	s_waitcnt lgkmcnt(0)
	s_waitcnt_vscnt null, 0x0
	s_barrier
	buffer_gl0_inv
	s_clause 0x6
	scratch_load_b128 v[2:5], off, off offset:736
	scratch_load_b128 v[6:9], off, off offset:752
	;; [unrolled: 1-line block ×7, first 2 shown]
	v_mov_b32_e32 v1, 0
	scratch_load_b128 v[34:37], off, off offset:720
	s_mov_b32 s2, exec_lo
	ds_load_b128 v[30:33], v1 offset:1584
	ds_load_b128 v[38:41], v1 offset:1600
	s_waitcnt vmcnt(7) lgkmcnt(1)
	v_mul_f64 v[42:43], v[32:33], v[4:5]
	v_mul_f64 v[4:5], v[30:31], v[4:5]
	s_waitcnt vmcnt(6) lgkmcnt(0)
	v_mul_f64 v[44:45], v[38:39], v[8:9]
	v_mul_f64 v[8:9], v[40:41], v[8:9]
	s_delay_alu instid0(VALU_DEP_4) | instskip(NEXT) | instid1(VALU_DEP_4)
	v_fma_f64 v[42:43], v[30:31], v[2:3], -v[42:43]
	v_fma_f64 v[164:165], v[32:33], v[2:3], v[4:5]
	ds_load_b128 v[2:5], v1 offset:1616
	ds_load_b128 v[30:33], v1 offset:1632
	v_fma_f64 v[40:41], v[40:41], v[6:7], v[44:45]
	v_fma_f64 v[6:7], v[38:39], v[6:7], -v[8:9]
	s_waitcnt vmcnt(5) lgkmcnt(1)
	v_mul_f64 v[166:167], v[2:3], v[12:13]
	v_mul_f64 v[12:13], v[4:5], v[12:13]
	v_add_f64 v[8:9], v[42:43], 0
	v_add_f64 v[38:39], v[164:165], 0
	s_waitcnt vmcnt(4) lgkmcnt(0)
	v_mul_f64 v[42:43], v[30:31], v[16:17]
	v_mul_f64 v[16:17], v[32:33], v[16:17]
	v_fma_f64 v[44:45], v[4:5], v[10:11], v[166:167]
	v_fma_f64 v[10:11], v[2:3], v[10:11], -v[12:13]
	v_add_f64 v[12:13], v[8:9], v[6:7]
	v_add_f64 v[38:39], v[38:39], v[40:41]
	ds_load_b128 v[2:5], v1 offset:1648
	ds_load_b128 v[6:9], v1 offset:1664
	v_fma_f64 v[32:33], v[32:33], v[14:15], v[42:43]
	v_fma_f64 v[14:15], v[30:31], v[14:15], -v[16:17]
	s_waitcnt vmcnt(3) lgkmcnt(1)
	v_mul_f64 v[40:41], v[2:3], v[20:21]
	v_mul_f64 v[20:21], v[4:5], v[20:21]
	s_waitcnt vmcnt(2) lgkmcnt(0)
	v_mul_f64 v[16:17], v[6:7], v[24:25]
	v_mul_f64 v[24:25], v[8:9], v[24:25]
	v_add_f64 v[10:11], v[12:13], v[10:11]
	v_add_f64 v[12:13], v[38:39], v[44:45]
	v_fma_f64 v[30:31], v[4:5], v[18:19], v[40:41]
	v_fma_f64 v[18:19], v[2:3], v[18:19], -v[20:21]
	ds_load_b128 v[2:5], v1 offset:1680
	v_fma_f64 v[8:9], v[8:9], v[22:23], v[16:17]
	v_fma_f64 v[6:7], v[6:7], v[22:23], -v[24:25]
	v_add_f64 v[10:11], v[10:11], v[14:15]
	v_add_f64 v[12:13], v[12:13], v[32:33]
	s_waitcnt vmcnt(1) lgkmcnt(0)
	v_mul_f64 v[14:15], v[2:3], v[28:29]
	v_mul_f64 v[20:21], v[4:5], v[28:29]
	s_delay_alu instid0(VALU_DEP_4) | instskip(NEXT) | instid1(VALU_DEP_4)
	v_add_f64 v[10:11], v[10:11], v[18:19]
	v_add_f64 v[12:13], v[12:13], v[30:31]
	s_delay_alu instid0(VALU_DEP_4) | instskip(NEXT) | instid1(VALU_DEP_4)
	v_fma_f64 v[4:5], v[4:5], v[26:27], v[14:15]
	v_fma_f64 v[2:3], v[2:3], v[26:27], -v[20:21]
	s_delay_alu instid0(VALU_DEP_4) | instskip(NEXT) | instid1(VALU_DEP_4)
	v_add_f64 v[6:7], v[10:11], v[6:7]
	v_add_f64 v[8:9], v[12:13], v[8:9]
	s_delay_alu instid0(VALU_DEP_2) | instskip(NEXT) | instid1(VALU_DEP_2)
	v_add_f64 v[2:3], v[6:7], v[2:3]
	v_add_f64 v[4:5], v[8:9], v[4:5]
	s_waitcnt vmcnt(0)
	s_delay_alu instid0(VALU_DEP_2) | instskip(NEXT) | instid1(VALU_DEP_2)
	v_add_f64 v[2:3], v[34:35], -v[2:3]
	v_add_f64 v[4:5], v[36:37], -v[4:5]
	scratch_store_b128 off, v[2:5], off offset:720
	v_cmpx_lt_u32_e32 44, v152
	s_cbranch_execz .LBB52_243
; %bb.242:
	scratch_load_b128 v[5:8], v163, off
	v_mov_b32_e32 v2, v1
	v_mov_b32_e32 v3, v1
	;; [unrolled: 1-line block ×3, first 2 shown]
	scratch_store_b128 off, v[1:4], off offset:704
	s_waitcnt vmcnt(0)
	ds_store_b128 v205, v[5:8]
.LBB52_243:
	s_or_b32 exec_lo, exec_lo, s2
	s_waitcnt lgkmcnt(0)
	s_waitcnt_vscnt null, 0x0
	s_barrier
	buffer_gl0_inv
	s_clause 0x7
	scratch_load_b128 v[2:5], off, off offset:720
	scratch_load_b128 v[6:9], off, off offset:736
	;; [unrolled: 1-line block ×8, first 2 shown]
	ds_load_b128 v[34:37], v1 offset:1568
	ds_load_b128 v[38:41], v1 offset:1584
	scratch_load_b128 v[42:45], off, off offset:704
	s_mov_b32 s2, exec_lo
	s_waitcnt vmcnt(8) lgkmcnt(1)
	v_mul_f64 v[164:165], v[36:37], v[4:5]
	v_mul_f64 v[4:5], v[34:35], v[4:5]
	s_waitcnt vmcnt(7) lgkmcnt(0)
	v_mul_f64 v[166:167], v[38:39], v[8:9]
	v_mul_f64 v[8:9], v[40:41], v[8:9]
	s_delay_alu instid0(VALU_DEP_4) | instskip(NEXT) | instid1(VALU_DEP_4)
	v_fma_f64 v[164:165], v[34:35], v[2:3], -v[164:165]
	v_fma_f64 v[168:169], v[36:37], v[2:3], v[4:5]
	ds_load_b128 v[2:5], v1 offset:1600
	ds_load_b128 v[34:37], v1 offset:1616
	v_fma_f64 v[40:41], v[40:41], v[6:7], v[166:167]
	v_fma_f64 v[6:7], v[38:39], v[6:7], -v[8:9]
	s_waitcnt vmcnt(6) lgkmcnt(1)
	v_mul_f64 v[170:171], v[2:3], v[12:13]
	v_mul_f64 v[12:13], v[4:5], v[12:13]
	v_add_f64 v[8:9], v[164:165], 0
	v_add_f64 v[38:39], v[168:169], 0
	s_waitcnt vmcnt(5) lgkmcnt(0)
	v_mul_f64 v[164:165], v[34:35], v[16:17]
	v_mul_f64 v[16:17], v[36:37], v[16:17]
	v_fma_f64 v[166:167], v[4:5], v[10:11], v[170:171]
	v_fma_f64 v[10:11], v[2:3], v[10:11], -v[12:13]
	v_add_f64 v[12:13], v[8:9], v[6:7]
	v_add_f64 v[38:39], v[38:39], v[40:41]
	ds_load_b128 v[2:5], v1 offset:1632
	ds_load_b128 v[6:9], v1 offset:1648
	v_fma_f64 v[36:37], v[36:37], v[14:15], v[164:165]
	v_fma_f64 v[14:15], v[34:35], v[14:15], -v[16:17]
	s_waitcnt vmcnt(4) lgkmcnt(1)
	v_mul_f64 v[40:41], v[2:3], v[20:21]
	v_mul_f64 v[20:21], v[4:5], v[20:21]
	s_waitcnt vmcnt(3) lgkmcnt(0)
	v_mul_f64 v[16:17], v[6:7], v[24:25]
	v_mul_f64 v[24:25], v[8:9], v[24:25]
	v_add_f64 v[10:11], v[12:13], v[10:11]
	v_add_f64 v[12:13], v[38:39], v[166:167]
	v_fma_f64 v[34:35], v[4:5], v[18:19], v[40:41]
	v_fma_f64 v[18:19], v[2:3], v[18:19], -v[20:21]
	v_fma_f64 v[8:9], v[8:9], v[22:23], v[16:17]
	v_fma_f64 v[6:7], v[6:7], v[22:23], -v[24:25]
	v_add_f64 v[14:15], v[10:11], v[14:15]
	v_add_f64 v[20:21], v[12:13], v[36:37]
	ds_load_b128 v[2:5], v1 offset:1664
	ds_load_b128 v[10:13], v1 offset:1680
	s_waitcnt vmcnt(2) lgkmcnt(1)
	v_mul_f64 v[36:37], v[2:3], v[28:29]
	v_mul_f64 v[28:29], v[4:5], v[28:29]
	v_add_f64 v[14:15], v[14:15], v[18:19]
	v_add_f64 v[16:17], v[20:21], v[34:35]
	s_waitcnt vmcnt(1) lgkmcnt(0)
	v_mul_f64 v[18:19], v[10:11], v[32:33]
	v_mul_f64 v[20:21], v[12:13], v[32:33]
	v_fma_f64 v[4:5], v[4:5], v[26:27], v[36:37]
	v_fma_f64 v[1:2], v[2:3], v[26:27], -v[28:29]
	v_add_f64 v[6:7], v[14:15], v[6:7]
	v_add_f64 v[8:9], v[16:17], v[8:9]
	v_fma_f64 v[12:13], v[12:13], v[30:31], v[18:19]
	v_fma_f64 v[10:11], v[10:11], v[30:31], -v[20:21]
	s_delay_alu instid0(VALU_DEP_4) | instskip(NEXT) | instid1(VALU_DEP_4)
	v_add_f64 v[1:2], v[6:7], v[1:2]
	v_add_f64 v[3:4], v[8:9], v[4:5]
	s_delay_alu instid0(VALU_DEP_2) | instskip(NEXT) | instid1(VALU_DEP_2)
	v_add_f64 v[1:2], v[1:2], v[10:11]
	v_add_f64 v[3:4], v[3:4], v[12:13]
	s_waitcnt vmcnt(0)
	s_delay_alu instid0(VALU_DEP_2) | instskip(NEXT) | instid1(VALU_DEP_2)
	v_add_f64 v[1:2], v[42:43], -v[1:2]
	v_add_f64 v[3:4], v[44:45], -v[3:4]
	scratch_store_b128 off, v[1:4], off offset:704
	v_cmpx_lt_u32_e32 43, v152
	s_cbranch_execz .LBB52_245
; %bb.244:
	scratch_load_b128 v[1:4], v198, off
	v_mov_b32_e32 v5, 0
	s_delay_alu instid0(VALU_DEP_1)
	v_mov_b32_e32 v6, v5
	v_mov_b32_e32 v7, v5
	;; [unrolled: 1-line block ×3, first 2 shown]
	scratch_store_b128 off, v[5:8], off offset:688
	s_waitcnt vmcnt(0)
	ds_store_b128 v205, v[1:4]
.LBB52_245:
	s_or_b32 exec_lo, exec_lo, s2
	s_waitcnt lgkmcnt(0)
	s_waitcnt_vscnt null, 0x0
	s_barrier
	buffer_gl0_inv
	s_clause 0x7
	scratch_load_b128 v[2:5], off, off offset:704
	scratch_load_b128 v[6:9], off, off offset:720
	;; [unrolled: 1-line block ×8, first 2 shown]
	v_mov_b32_e32 v1, 0
	scratch_load_b128 v[38:41], off, off offset:832
	s_mov_b32 s2, exec_lo
	ds_load_b128 v[34:37], v1 offset:1552
	ds_load_b128 v[42:45], v1 offset:1568
	s_waitcnt vmcnt(8) lgkmcnt(1)
	v_mul_f64 v[164:165], v[36:37], v[4:5]
	v_mul_f64 v[4:5], v[34:35], v[4:5]
	s_waitcnt vmcnt(7) lgkmcnt(0)
	v_mul_f64 v[166:167], v[42:43], v[8:9]
	v_mul_f64 v[8:9], v[44:45], v[8:9]
	s_delay_alu instid0(VALU_DEP_4) | instskip(NEXT) | instid1(VALU_DEP_4)
	v_fma_f64 v[34:35], v[34:35], v[2:3], -v[164:165]
	v_fma_f64 v[36:37], v[36:37], v[2:3], v[4:5]
	ds_load_b128 v[2:5], v1 offset:1584
	v_fma_f64 v[44:45], v[44:45], v[6:7], v[166:167]
	v_fma_f64 v[42:43], v[42:43], v[6:7], -v[8:9]
	ds_load_b128 v[6:9], v1 offset:1600
	s_waitcnt vmcnt(6) lgkmcnt(1)
	v_mul_f64 v[164:165], v[2:3], v[12:13]
	v_mul_f64 v[12:13], v[4:5], v[12:13]
	s_waitcnt vmcnt(5) lgkmcnt(0)
	v_mul_f64 v[170:171], v[6:7], v[16:17]
	v_mul_f64 v[16:17], v[8:9], v[16:17]
	v_add_f64 v[166:167], v[34:35], 0
	v_add_f64 v[168:169], v[36:37], 0
	scratch_load_b128 v[34:37], off, off offset:688
	v_fma_f64 v[164:165], v[4:5], v[10:11], v[164:165]
	v_fma_f64 v[10:11], v[2:3], v[10:11], -v[12:13]
	ds_load_b128 v[2:5], v1 offset:1616
	v_add_f64 v[12:13], v[166:167], v[42:43]
	v_add_f64 v[42:43], v[168:169], v[44:45]
	v_fma_f64 v[166:167], v[8:9], v[14:15], v[170:171]
	v_fma_f64 v[14:15], v[6:7], v[14:15], -v[16:17]
	ds_load_b128 v[6:9], v1 offset:1632
	s_waitcnt vmcnt(5) lgkmcnt(1)
	v_mul_f64 v[44:45], v[2:3], v[20:21]
	v_mul_f64 v[20:21], v[4:5], v[20:21]
	s_waitcnt vmcnt(4) lgkmcnt(0)
	v_mul_f64 v[16:17], v[6:7], v[24:25]
	v_mul_f64 v[24:25], v[8:9], v[24:25]
	v_add_f64 v[10:11], v[12:13], v[10:11]
	v_add_f64 v[12:13], v[42:43], v[164:165]
	v_fma_f64 v[42:43], v[4:5], v[18:19], v[44:45]
	v_fma_f64 v[18:19], v[2:3], v[18:19], -v[20:21]
	ds_load_b128 v[2:5], v1 offset:1648
	v_fma_f64 v[16:17], v[8:9], v[22:23], v[16:17]
	v_fma_f64 v[22:23], v[6:7], v[22:23], -v[24:25]
	ds_load_b128 v[6:9], v1 offset:1664
	s_waitcnt vmcnt(3) lgkmcnt(1)
	v_mul_f64 v[20:21], v[4:5], v[28:29]
	v_add_f64 v[10:11], v[10:11], v[14:15]
	v_add_f64 v[12:13], v[12:13], v[166:167]
	v_mul_f64 v[14:15], v[2:3], v[28:29]
	s_waitcnt vmcnt(2) lgkmcnt(0)
	v_mul_f64 v[24:25], v[8:9], v[32:33]
	v_fma_f64 v[20:21], v[2:3], v[26:27], -v[20:21]
	v_add_f64 v[10:11], v[10:11], v[18:19]
	v_add_f64 v[12:13], v[12:13], v[42:43]
	v_mul_f64 v[18:19], v[6:7], v[32:33]
	v_fma_f64 v[14:15], v[4:5], v[26:27], v[14:15]
	ds_load_b128 v[2:5], v1 offset:1680
	v_fma_f64 v[6:7], v[6:7], v[30:31], -v[24:25]
	v_add_f64 v[10:11], v[10:11], v[22:23]
	v_add_f64 v[12:13], v[12:13], v[16:17]
	s_waitcnt vmcnt(1) lgkmcnt(0)
	v_mul_f64 v[16:17], v[2:3], v[40:41]
	v_mul_f64 v[22:23], v[4:5], v[40:41]
	v_fma_f64 v[8:9], v[8:9], v[30:31], v[18:19]
	v_add_f64 v[10:11], v[10:11], v[20:21]
	v_add_f64 v[12:13], v[12:13], v[14:15]
	v_fma_f64 v[4:5], v[4:5], v[38:39], v[16:17]
	v_fma_f64 v[2:3], v[2:3], v[38:39], -v[22:23]
	s_delay_alu instid0(VALU_DEP_4) | instskip(NEXT) | instid1(VALU_DEP_4)
	v_add_f64 v[6:7], v[10:11], v[6:7]
	v_add_f64 v[8:9], v[12:13], v[8:9]
	s_delay_alu instid0(VALU_DEP_2) | instskip(NEXT) | instid1(VALU_DEP_2)
	v_add_f64 v[2:3], v[6:7], v[2:3]
	v_add_f64 v[4:5], v[8:9], v[4:5]
	s_waitcnt vmcnt(0)
	s_delay_alu instid0(VALU_DEP_2) | instskip(NEXT) | instid1(VALU_DEP_2)
	v_add_f64 v[2:3], v[34:35], -v[2:3]
	v_add_f64 v[4:5], v[36:37], -v[4:5]
	scratch_store_b128 off, v[2:5], off offset:688
	v_cmpx_lt_u32_e32 42, v152
	s_cbranch_execz .LBB52_247
; %bb.246:
	scratch_load_b128 v[5:8], v177, off
	v_mov_b32_e32 v2, v1
	v_mov_b32_e32 v3, v1
	;; [unrolled: 1-line block ×3, first 2 shown]
	scratch_store_b128 off, v[1:4], off offset:672
	s_waitcnt vmcnt(0)
	ds_store_b128 v205, v[5:8]
.LBB52_247:
	s_or_b32 exec_lo, exec_lo, s2
	s_waitcnt lgkmcnt(0)
	s_waitcnt_vscnt null, 0x0
	s_barrier
	buffer_gl0_inv
	s_clause 0x7
	scratch_load_b128 v[2:5], off, off offset:688
	scratch_load_b128 v[6:9], off, off offset:704
	;; [unrolled: 1-line block ×8, first 2 shown]
	ds_load_b128 v[34:37], v1 offset:1536
	ds_load_b128 v[42:45], v1 offset:1552
	s_clause 0x1
	scratch_load_b128 v[38:41], off, off offset:816
	scratch_load_b128 v[164:167], off, off offset:832
	s_mov_b32 s2, exec_lo
	s_waitcnt vmcnt(9) lgkmcnt(1)
	v_mul_f64 v[168:169], v[36:37], v[4:5]
	v_mul_f64 v[4:5], v[34:35], v[4:5]
	s_waitcnt vmcnt(8) lgkmcnt(0)
	v_mul_f64 v[170:171], v[42:43], v[8:9]
	v_mul_f64 v[8:9], v[44:45], v[8:9]
	s_delay_alu instid0(VALU_DEP_4) | instskip(NEXT) | instid1(VALU_DEP_4)
	v_fma_f64 v[34:35], v[34:35], v[2:3], -v[168:169]
	v_fma_f64 v[36:37], v[36:37], v[2:3], v[4:5]
	ds_load_b128 v[2:5], v1 offset:1568
	v_fma_f64 v[44:45], v[44:45], v[6:7], v[170:171]
	v_fma_f64 v[42:43], v[42:43], v[6:7], -v[8:9]
	ds_load_b128 v[6:9], v1 offset:1584
	s_waitcnt vmcnt(7) lgkmcnt(1)
	v_mul_f64 v[168:169], v[2:3], v[12:13]
	v_mul_f64 v[12:13], v[4:5], v[12:13]
	s_waitcnt vmcnt(6) lgkmcnt(0)
	v_mul_f64 v[170:171], v[6:7], v[16:17]
	v_mul_f64 v[16:17], v[8:9], v[16:17]
	v_add_f64 v[34:35], v[34:35], 0
	v_add_f64 v[36:37], v[36:37], 0
	v_fma_f64 v[168:169], v[4:5], v[10:11], v[168:169]
	v_fma_f64 v[172:173], v[2:3], v[10:11], -v[12:13]
	ds_load_b128 v[2:5], v1 offset:1600
	scratch_load_b128 v[10:13], off, off offset:672
	v_add_f64 v[34:35], v[34:35], v[42:43]
	v_add_f64 v[36:37], v[36:37], v[44:45]
	v_fma_f64 v[44:45], v[8:9], v[14:15], v[170:171]
	v_fma_f64 v[14:15], v[6:7], v[14:15], -v[16:17]
	ds_load_b128 v[6:9], v1 offset:1616
	s_waitcnt vmcnt(6) lgkmcnt(1)
	v_mul_f64 v[42:43], v[2:3], v[20:21]
	v_mul_f64 v[20:21], v[4:5], v[20:21]
	v_add_f64 v[16:17], v[34:35], v[172:173]
	v_add_f64 v[34:35], v[36:37], v[168:169]
	s_waitcnt vmcnt(5) lgkmcnt(0)
	v_mul_f64 v[36:37], v[6:7], v[24:25]
	v_mul_f64 v[24:25], v[8:9], v[24:25]
	v_fma_f64 v[42:43], v[4:5], v[18:19], v[42:43]
	v_fma_f64 v[18:19], v[2:3], v[18:19], -v[20:21]
	ds_load_b128 v[2:5], v1 offset:1632
	v_add_f64 v[14:15], v[16:17], v[14:15]
	v_add_f64 v[16:17], v[34:35], v[44:45]
	v_fma_f64 v[34:35], v[8:9], v[22:23], v[36:37]
	v_fma_f64 v[22:23], v[6:7], v[22:23], -v[24:25]
	ds_load_b128 v[6:9], v1 offset:1648
	s_waitcnt vmcnt(4) lgkmcnt(1)
	v_mul_f64 v[20:21], v[2:3], v[28:29]
	v_mul_f64 v[28:29], v[4:5], v[28:29]
	s_waitcnt vmcnt(3) lgkmcnt(0)
	v_mul_f64 v[24:25], v[8:9], v[32:33]
	v_add_f64 v[14:15], v[14:15], v[18:19]
	v_add_f64 v[16:17], v[16:17], v[42:43]
	v_mul_f64 v[18:19], v[6:7], v[32:33]
	v_fma_f64 v[20:21], v[4:5], v[26:27], v[20:21]
	v_fma_f64 v[26:27], v[2:3], v[26:27], -v[28:29]
	ds_load_b128 v[2:5], v1 offset:1664
	v_fma_f64 v[24:25], v[6:7], v[30:31], -v[24:25]
	v_add_f64 v[14:15], v[14:15], v[22:23]
	v_add_f64 v[16:17], v[16:17], v[34:35]
	v_fma_f64 v[18:19], v[8:9], v[30:31], v[18:19]
	ds_load_b128 v[6:9], v1 offset:1680
	s_waitcnt vmcnt(2) lgkmcnt(1)
	v_mul_f64 v[22:23], v[2:3], v[40:41]
	v_mul_f64 v[28:29], v[4:5], v[40:41]
	v_add_f64 v[14:15], v[14:15], v[26:27]
	v_add_f64 v[16:17], v[16:17], v[20:21]
	s_waitcnt vmcnt(1) lgkmcnt(0)
	v_mul_f64 v[20:21], v[6:7], v[166:167]
	v_mul_f64 v[26:27], v[8:9], v[166:167]
	v_fma_f64 v[4:5], v[4:5], v[38:39], v[22:23]
	v_fma_f64 v[1:2], v[2:3], v[38:39], -v[28:29]
	v_add_f64 v[14:15], v[14:15], v[24:25]
	v_add_f64 v[16:17], v[16:17], v[18:19]
	v_fma_f64 v[8:9], v[8:9], v[164:165], v[20:21]
	v_fma_f64 v[6:7], v[6:7], v[164:165], -v[26:27]
	s_delay_alu instid0(VALU_DEP_4) | instskip(NEXT) | instid1(VALU_DEP_4)
	v_add_f64 v[1:2], v[14:15], v[1:2]
	v_add_f64 v[3:4], v[16:17], v[4:5]
	s_delay_alu instid0(VALU_DEP_2) | instskip(NEXT) | instid1(VALU_DEP_2)
	v_add_f64 v[1:2], v[1:2], v[6:7]
	v_add_f64 v[3:4], v[3:4], v[8:9]
	s_waitcnt vmcnt(0)
	s_delay_alu instid0(VALU_DEP_2) | instskip(NEXT) | instid1(VALU_DEP_2)
	v_add_f64 v[1:2], v[10:11], -v[1:2]
	v_add_f64 v[3:4], v[12:13], -v[3:4]
	scratch_store_b128 off, v[1:4], off offset:672
	v_cmpx_lt_u32_e32 41, v152
	s_cbranch_execz .LBB52_249
; %bb.248:
	scratch_load_b128 v[1:4], v153, off
	v_mov_b32_e32 v5, 0
	s_delay_alu instid0(VALU_DEP_1)
	v_mov_b32_e32 v6, v5
	v_mov_b32_e32 v7, v5
	;; [unrolled: 1-line block ×3, first 2 shown]
	scratch_store_b128 off, v[5:8], off offset:656
	s_waitcnt vmcnt(0)
	ds_store_b128 v205, v[1:4]
.LBB52_249:
	s_or_b32 exec_lo, exec_lo, s2
	s_waitcnt lgkmcnt(0)
	s_waitcnt_vscnt null, 0x0
	s_barrier
	buffer_gl0_inv
	s_clause 0x7
	scratch_load_b128 v[2:5], off, off offset:672
	scratch_load_b128 v[6:9], off, off offset:688
	;; [unrolled: 1-line block ×8, first 2 shown]
	v_mov_b32_e32 v1, 0
	s_clause 0x1
	scratch_load_b128 v[38:41], off, off offset:800
	scratch_load_b128 v[164:167], off, off offset:816
	s_mov_b32 s2, exec_lo
	ds_load_b128 v[34:37], v1 offset:1520
	ds_load_b128 v[42:45], v1 offset:1536
	s_waitcnt vmcnt(9) lgkmcnt(1)
	v_mul_f64 v[168:169], v[36:37], v[4:5]
	v_mul_f64 v[4:5], v[34:35], v[4:5]
	s_waitcnt vmcnt(8) lgkmcnt(0)
	v_mul_f64 v[170:171], v[42:43], v[8:9]
	v_mul_f64 v[8:9], v[44:45], v[8:9]
	s_delay_alu instid0(VALU_DEP_4) | instskip(NEXT) | instid1(VALU_DEP_4)
	v_fma_f64 v[168:169], v[34:35], v[2:3], -v[168:169]
	v_fma_f64 v[172:173], v[36:37], v[2:3], v[4:5]
	ds_load_b128 v[2:5], v1 offset:1552
	scratch_load_b128 v[34:37], off, off offset:832
	v_fma_f64 v[44:45], v[44:45], v[6:7], v[170:171]
	v_fma_f64 v[42:43], v[42:43], v[6:7], -v[8:9]
	ds_load_b128 v[6:9], v1 offset:1568
	s_waitcnt vmcnt(8) lgkmcnt(1)
	v_mul_f64 v[174:175], v[2:3], v[12:13]
	v_mul_f64 v[12:13], v[4:5], v[12:13]
	v_add_f64 v[168:169], v[168:169], 0
	v_add_f64 v[170:171], v[172:173], 0
	s_waitcnt vmcnt(7) lgkmcnt(0)
	v_mul_f64 v[172:173], v[6:7], v[16:17]
	v_mul_f64 v[16:17], v[8:9], v[16:17]
	v_fma_f64 v[174:175], v[4:5], v[10:11], v[174:175]
	v_fma_f64 v[10:11], v[2:3], v[10:11], -v[12:13]
	ds_load_b128 v[2:5], v1 offset:1584
	v_add_f64 v[12:13], v[168:169], v[42:43]
	v_add_f64 v[42:43], v[170:171], v[44:45]
	v_fma_f64 v[168:169], v[8:9], v[14:15], v[172:173]
	v_fma_f64 v[14:15], v[6:7], v[14:15], -v[16:17]
	ds_load_b128 v[6:9], v1 offset:1600
	s_waitcnt vmcnt(6) lgkmcnt(1)
	v_mul_f64 v[44:45], v[2:3], v[20:21]
	v_mul_f64 v[20:21], v[4:5], v[20:21]
	s_waitcnt vmcnt(5) lgkmcnt(0)
	v_mul_f64 v[170:171], v[6:7], v[24:25]
	v_mul_f64 v[24:25], v[8:9], v[24:25]
	v_add_f64 v[16:17], v[12:13], v[10:11]
	v_add_f64 v[42:43], v[42:43], v[174:175]
	scratch_load_b128 v[10:13], off, off offset:656
	v_fma_f64 v[44:45], v[4:5], v[18:19], v[44:45]
	v_fma_f64 v[18:19], v[2:3], v[18:19], -v[20:21]
	ds_load_b128 v[2:5], v1 offset:1616
	v_add_f64 v[14:15], v[16:17], v[14:15]
	v_add_f64 v[16:17], v[42:43], v[168:169]
	v_fma_f64 v[42:43], v[8:9], v[22:23], v[170:171]
	v_fma_f64 v[22:23], v[6:7], v[22:23], -v[24:25]
	ds_load_b128 v[6:9], v1 offset:1632
	s_waitcnt vmcnt(5) lgkmcnt(1)
	v_mul_f64 v[20:21], v[2:3], v[28:29]
	v_mul_f64 v[28:29], v[4:5], v[28:29]
	s_waitcnt vmcnt(4) lgkmcnt(0)
	v_mul_f64 v[24:25], v[8:9], v[32:33]
	v_add_f64 v[14:15], v[14:15], v[18:19]
	v_add_f64 v[16:17], v[16:17], v[44:45]
	v_mul_f64 v[18:19], v[6:7], v[32:33]
	v_fma_f64 v[20:21], v[4:5], v[26:27], v[20:21]
	v_fma_f64 v[26:27], v[2:3], v[26:27], -v[28:29]
	ds_load_b128 v[2:5], v1 offset:1648
	v_fma_f64 v[24:25], v[6:7], v[30:31], -v[24:25]
	v_add_f64 v[14:15], v[14:15], v[22:23]
	v_add_f64 v[16:17], v[16:17], v[42:43]
	v_fma_f64 v[18:19], v[8:9], v[30:31], v[18:19]
	ds_load_b128 v[6:9], v1 offset:1664
	s_waitcnt vmcnt(3) lgkmcnt(1)
	v_mul_f64 v[22:23], v[2:3], v[40:41]
	v_mul_f64 v[28:29], v[4:5], v[40:41]
	v_add_f64 v[14:15], v[14:15], v[26:27]
	v_add_f64 v[16:17], v[16:17], v[20:21]
	s_waitcnt vmcnt(2) lgkmcnt(0)
	v_mul_f64 v[20:21], v[6:7], v[166:167]
	v_mul_f64 v[26:27], v[8:9], v[166:167]
	v_fma_f64 v[22:23], v[4:5], v[38:39], v[22:23]
	v_fma_f64 v[28:29], v[2:3], v[38:39], -v[28:29]
	ds_load_b128 v[2:5], v1 offset:1680
	v_add_f64 v[14:15], v[14:15], v[24:25]
	v_add_f64 v[16:17], v[16:17], v[18:19]
	v_fma_f64 v[8:9], v[8:9], v[164:165], v[20:21]
	v_fma_f64 v[6:7], v[6:7], v[164:165], -v[26:27]
	s_waitcnt vmcnt(1) lgkmcnt(0)
	v_mul_f64 v[18:19], v[2:3], v[36:37]
	v_mul_f64 v[24:25], v[4:5], v[36:37]
	v_add_f64 v[14:15], v[14:15], v[28:29]
	v_add_f64 v[16:17], v[16:17], v[22:23]
	s_delay_alu instid0(VALU_DEP_4) | instskip(NEXT) | instid1(VALU_DEP_4)
	v_fma_f64 v[4:5], v[4:5], v[34:35], v[18:19]
	v_fma_f64 v[2:3], v[2:3], v[34:35], -v[24:25]
	s_delay_alu instid0(VALU_DEP_4) | instskip(NEXT) | instid1(VALU_DEP_4)
	v_add_f64 v[6:7], v[14:15], v[6:7]
	v_add_f64 v[8:9], v[16:17], v[8:9]
	s_delay_alu instid0(VALU_DEP_2) | instskip(NEXT) | instid1(VALU_DEP_2)
	v_add_f64 v[2:3], v[6:7], v[2:3]
	v_add_f64 v[4:5], v[8:9], v[4:5]
	s_waitcnt vmcnt(0)
	s_delay_alu instid0(VALU_DEP_2) | instskip(NEXT) | instid1(VALU_DEP_2)
	v_add_f64 v[2:3], v[10:11], -v[2:3]
	v_add_f64 v[4:5], v[12:13], -v[4:5]
	scratch_store_b128 off, v[2:5], off offset:656
	v_cmpx_lt_u32_e32 40, v152
	s_cbranch_execz .LBB52_251
; %bb.250:
	scratch_load_b128 v[5:8], v154, off
	v_mov_b32_e32 v2, v1
	v_mov_b32_e32 v3, v1
	;; [unrolled: 1-line block ×3, first 2 shown]
	scratch_store_b128 off, v[1:4], off offset:640
	s_waitcnt vmcnt(0)
	ds_store_b128 v205, v[5:8]
.LBB52_251:
	s_or_b32 exec_lo, exec_lo, s2
	s_waitcnt lgkmcnt(0)
	s_waitcnt_vscnt null, 0x0
	s_barrier
	buffer_gl0_inv
	s_clause 0x8
	scratch_load_b128 v[2:5], off, off offset:656
	scratch_load_b128 v[6:9], off, off offset:672
	;; [unrolled: 1-line block ×9, first 2 shown]
	ds_load_b128 v[38:41], v1 offset:1504
	ds_load_b128 v[42:45], v1 offset:1520
	s_clause 0x1
	scratch_load_b128 v[164:167], off, off offset:640
	scratch_load_b128 v[168:171], off, off offset:800
	s_mov_b32 s2, exec_lo
	s_waitcnt vmcnt(10) lgkmcnt(1)
	v_mul_f64 v[172:173], v[40:41], v[4:5]
	v_mul_f64 v[4:5], v[38:39], v[4:5]
	s_waitcnt vmcnt(9) lgkmcnt(0)
	v_mul_f64 v[199:200], v[42:43], v[8:9]
	v_mul_f64 v[8:9], v[44:45], v[8:9]
	s_delay_alu instid0(VALU_DEP_4) | instskip(NEXT) | instid1(VALU_DEP_4)
	v_fma_f64 v[217:218], v[38:39], v[2:3], -v[172:173]
	v_fma_f64 v[219:220], v[40:41], v[2:3], v[4:5]
	ds_load_b128 v[2:5], v1 offset:1536
	ds_load_b128 v[172:175], v1 offset:1552
	scratch_load_b128 v[38:41], off, off offset:816
	v_fma_f64 v[44:45], v[44:45], v[6:7], v[199:200]
	v_fma_f64 v[42:43], v[42:43], v[6:7], -v[8:9]
	scratch_load_b128 v[6:9], off, off offset:832
	s_waitcnt vmcnt(10) lgkmcnt(1)
	v_mul_f64 v[221:222], v[2:3], v[12:13]
	v_mul_f64 v[12:13], v[4:5], v[12:13]
	v_add_f64 v[199:200], v[217:218], 0
	v_add_f64 v[217:218], v[219:220], 0
	s_waitcnt vmcnt(9) lgkmcnt(0)
	v_mul_f64 v[219:220], v[172:173], v[16:17]
	v_mul_f64 v[16:17], v[174:175], v[16:17]
	v_fma_f64 v[221:222], v[4:5], v[10:11], v[221:222]
	v_fma_f64 v[223:224], v[2:3], v[10:11], -v[12:13]
	ds_load_b128 v[2:5], v1 offset:1568
	ds_load_b128 v[10:13], v1 offset:1584
	v_add_f64 v[42:43], v[199:200], v[42:43]
	v_add_f64 v[44:45], v[217:218], v[44:45]
	v_fma_f64 v[174:175], v[174:175], v[14:15], v[219:220]
	v_fma_f64 v[14:15], v[172:173], v[14:15], -v[16:17]
	s_waitcnt vmcnt(8) lgkmcnt(1)
	v_mul_f64 v[199:200], v[2:3], v[20:21]
	v_mul_f64 v[20:21], v[4:5], v[20:21]
	v_add_f64 v[16:17], v[42:43], v[223:224]
	v_add_f64 v[42:43], v[44:45], v[221:222]
	s_waitcnt vmcnt(7) lgkmcnt(0)
	v_mul_f64 v[44:45], v[10:11], v[24:25]
	v_mul_f64 v[24:25], v[12:13], v[24:25]
	v_fma_f64 v[172:173], v[4:5], v[18:19], v[199:200]
	v_fma_f64 v[18:19], v[2:3], v[18:19], -v[20:21]
	v_add_f64 v[20:21], v[16:17], v[14:15]
	v_add_f64 v[42:43], v[42:43], v[174:175]
	ds_load_b128 v[2:5], v1 offset:1600
	ds_load_b128 v[14:17], v1 offset:1616
	v_fma_f64 v[12:13], v[12:13], v[22:23], v[44:45]
	v_fma_f64 v[10:11], v[10:11], v[22:23], -v[24:25]
	s_waitcnt vmcnt(6) lgkmcnt(1)
	v_mul_f64 v[174:175], v[2:3], v[28:29]
	v_mul_f64 v[28:29], v[4:5], v[28:29]
	s_waitcnt vmcnt(5) lgkmcnt(0)
	v_mul_f64 v[22:23], v[14:15], v[32:33]
	v_mul_f64 v[24:25], v[16:17], v[32:33]
	v_add_f64 v[18:19], v[20:21], v[18:19]
	v_add_f64 v[20:21], v[42:43], v[172:173]
	v_fma_f64 v[32:33], v[4:5], v[26:27], v[174:175]
	v_fma_f64 v[26:27], v[2:3], v[26:27], -v[28:29]
	v_fma_f64 v[16:17], v[16:17], v[30:31], v[22:23]
	v_fma_f64 v[14:15], v[14:15], v[30:31], -v[24:25]
	v_add_f64 v[18:19], v[18:19], v[10:11]
	v_add_f64 v[20:21], v[20:21], v[12:13]
	ds_load_b128 v[2:5], v1 offset:1632
	ds_load_b128 v[10:13], v1 offset:1648
	s_waitcnt vmcnt(4) lgkmcnt(1)
	v_mul_f64 v[28:29], v[2:3], v[36:37]
	v_mul_f64 v[36:37], v[4:5], v[36:37]
	s_waitcnt vmcnt(2) lgkmcnt(0)
	v_mul_f64 v[22:23], v[10:11], v[170:171]
	v_mul_f64 v[24:25], v[12:13], v[170:171]
	v_add_f64 v[18:19], v[18:19], v[26:27]
	v_add_f64 v[20:21], v[20:21], v[32:33]
	v_fma_f64 v[26:27], v[4:5], v[34:35], v[28:29]
	v_fma_f64 v[28:29], v[2:3], v[34:35], -v[36:37]
	v_fma_f64 v[12:13], v[12:13], v[168:169], v[22:23]
	v_fma_f64 v[10:11], v[10:11], v[168:169], -v[24:25]
	v_add_f64 v[18:19], v[18:19], v[14:15]
	v_add_f64 v[20:21], v[20:21], v[16:17]
	ds_load_b128 v[2:5], v1 offset:1664
	ds_load_b128 v[14:17], v1 offset:1680
	s_waitcnt vmcnt(1) lgkmcnt(1)
	v_mul_f64 v[30:31], v[2:3], v[40:41]
	v_mul_f64 v[32:33], v[4:5], v[40:41]
	s_waitcnt vmcnt(0) lgkmcnt(0)
	v_mul_f64 v[22:23], v[14:15], v[8:9]
	v_mul_f64 v[8:9], v[16:17], v[8:9]
	v_add_f64 v[18:19], v[18:19], v[28:29]
	v_add_f64 v[20:21], v[20:21], v[26:27]
	v_fma_f64 v[4:5], v[4:5], v[38:39], v[30:31]
	v_fma_f64 v[1:2], v[2:3], v[38:39], -v[32:33]
	v_fma_f64 v[16:17], v[16:17], v[6:7], v[22:23]
	v_fma_f64 v[6:7], v[14:15], v[6:7], -v[8:9]
	v_add_f64 v[10:11], v[18:19], v[10:11]
	v_add_f64 v[12:13], v[20:21], v[12:13]
	s_delay_alu instid0(VALU_DEP_2) | instskip(NEXT) | instid1(VALU_DEP_2)
	v_add_f64 v[1:2], v[10:11], v[1:2]
	v_add_f64 v[3:4], v[12:13], v[4:5]
	s_delay_alu instid0(VALU_DEP_2) | instskip(NEXT) | instid1(VALU_DEP_2)
	;; [unrolled: 3-line block ×3, first 2 shown]
	v_add_f64 v[1:2], v[164:165], -v[1:2]
	v_add_f64 v[3:4], v[166:167], -v[3:4]
	scratch_store_b128 off, v[1:4], off offset:640
	v_cmpx_lt_u32_e32 39, v152
	s_cbranch_execz .LBB52_253
; %bb.252:
	scratch_load_b128 v[1:4], v206, off
	v_mov_b32_e32 v5, 0
	s_delay_alu instid0(VALU_DEP_1)
	v_mov_b32_e32 v6, v5
	v_mov_b32_e32 v7, v5
	;; [unrolled: 1-line block ×3, first 2 shown]
	scratch_store_b128 off, v[5:8], off offset:624
	s_waitcnt vmcnt(0)
	ds_store_b128 v205, v[1:4]
.LBB52_253:
	s_or_b32 exec_lo, exec_lo, s2
	s_waitcnt lgkmcnt(0)
	s_waitcnt_vscnt null, 0x0
	s_barrier
	buffer_gl0_inv
	s_clause 0x7
	scratch_load_b128 v[2:5], off, off offset:640
	scratch_load_b128 v[6:9], off, off offset:656
	;; [unrolled: 1-line block ×8, first 2 shown]
	v_mov_b32_e32 v1, 0
	s_mov_b32 s2, exec_lo
	ds_load_b128 v[34:37], v1 offset:1488
	s_clause 0x1
	scratch_load_b128 v[38:41], off, off offset:768
	scratch_load_b128 v[42:45], off, off offset:624
	ds_load_b128 v[164:167], v1 offset:1504
	scratch_load_b128 v[168:171], off, off offset:784
	s_waitcnt vmcnt(10) lgkmcnt(1)
	v_mul_f64 v[172:173], v[36:37], v[4:5]
	v_mul_f64 v[4:5], v[34:35], v[4:5]
	s_delay_alu instid0(VALU_DEP_2) | instskip(NEXT) | instid1(VALU_DEP_2)
	v_fma_f64 v[217:218], v[34:35], v[2:3], -v[172:173]
	v_fma_f64 v[219:220], v[36:37], v[2:3], v[4:5]
	scratch_load_b128 v[34:37], off, off offset:800
	ds_load_b128 v[2:5], v1 offset:1520
	s_waitcnt vmcnt(10) lgkmcnt(1)
	v_mul_f64 v[199:200], v[164:165], v[8:9]
	v_mul_f64 v[8:9], v[166:167], v[8:9]
	ds_load_b128 v[172:175], v1 offset:1536
	s_waitcnt vmcnt(9) lgkmcnt(1)
	v_mul_f64 v[221:222], v[2:3], v[12:13]
	v_mul_f64 v[12:13], v[4:5], v[12:13]
	v_fma_f64 v[166:167], v[166:167], v[6:7], v[199:200]
	v_fma_f64 v[164:165], v[164:165], v[6:7], -v[8:9]
	v_add_f64 v[199:200], v[217:218], 0
	v_add_f64 v[217:218], v[219:220], 0
	scratch_load_b128 v[6:9], off, off offset:816
	v_fma_f64 v[221:222], v[4:5], v[10:11], v[221:222]
	v_fma_f64 v[223:224], v[2:3], v[10:11], -v[12:13]
	scratch_load_b128 v[10:13], off, off offset:832
	ds_load_b128 v[2:5], v1 offset:1552
	s_waitcnt vmcnt(10) lgkmcnt(1)
	v_mul_f64 v[219:220], v[172:173], v[16:17]
	v_mul_f64 v[16:17], v[174:175], v[16:17]
	v_add_f64 v[199:200], v[199:200], v[164:165]
	v_add_f64 v[217:218], v[217:218], v[166:167]
	s_waitcnt vmcnt(9) lgkmcnt(0)
	v_mul_f64 v[225:226], v[2:3], v[20:21]
	v_mul_f64 v[20:21], v[4:5], v[20:21]
	ds_load_b128 v[164:167], v1 offset:1568
	v_fma_f64 v[174:175], v[174:175], v[14:15], v[219:220]
	v_fma_f64 v[14:15], v[172:173], v[14:15], -v[16:17]
	v_add_f64 v[16:17], v[199:200], v[223:224]
	v_add_f64 v[172:173], v[217:218], v[221:222]
	s_waitcnt vmcnt(8) lgkmcnt(0)
	v_mul_f64 v[199:200], v[164:165], v[24:25]
	v_mul_f64 v[24:25], v[166:167], v[24:25]
	v_fma_f64 v[217:218], v[4:5], v[18:19], v[225:226]
	v_fma_f64 v[18:19], v[2:3], v[18:19], -v[20:21]
	v_add_f64 v[20:21], v[16:17], v[14:15]
	v_add_f64 v[172:173], v[172:173], v[174:175]
	ds_load_b128 v[2:5], v1 offset:1584
	ds_load_b128 v[14:17], v1 offset:1600
	v_fma_f64 v[166:167], v[166:167], v[22:23], v[199:200]
	v_fma_f64 v[22:23], v[164:165], v[22:23], -v[24:25]
	s_waitcnt vmcnt(7) lgkmcnt(1)
	v_mul_f64 v[174:175], v[2:3], v[28:29]
	v_mul_f64 v[28:29], v[4:5], v[28:29]
	s_waitcnt vmcnt(6) lgkmcnt(0)
	v_mul_f64 v[24:25], v[14:15], v[32:33]
	v_mul_f64 v[32:33], v[16:17], v[32:33]
	v_add_f64 v[18:19], v[20:21], v[18:19]
	v_add_f64 v[20:21], v[172:173], v[217:218]
	v_fma_f64 v[164:165], v[4:5], v[26:27], v[174:175]
	v_fma_f64 v[26:27], v[2:3], v[26:27], -v[28:29]
	v_fma_f64 v[16:17], v[16:17], v[30:31], v[24:25]
	v_fma_f64 v[14:15], v[14:15], v[30:31], -v[32:33]
	v_add_f64 v[22:23], v[18:19], v[22:23]
	v_add_f64 v[28:29], v[20:21], v[166:167]
	ds_load_b128 v[2:5], v1 offset:1616
	ds_load_b128 v[18:21], v1 offset:1632
	s_waitcnt vmcnt(5) lgkmcnt(1)
	v_mul_f64 v[166:167], v[2:3], v[40:41]
	v_mul_f64 v[40:41], v[4:5], v[40:41]
	v_add_f64 v[22:23], v[22:23], v[26:27]
	v_add_f64 v[24:25], v[28:29], v[164:165]
	s_waitcnt vmcnt(3) lgkmcnt(0)
	v_mul_f64 v[26:27], v[18:19], v[170:171]
	v_mul_f64 v[28:29], v[20:21], v[170:171]
	v_fma_f64 v[30:31], v[4:5], v[38:39], v[166:167]
	v_fma_f64 v[32:33], v[2:3], v[38:39], -v[40:41]
	v_add_f64 v[22:23], v[22:23], v[14:15]
	v_add_f64 v[24:25], v[24:25], v[16:17]
	ds_load_b128 v[2:5], v1 offset:1648
	ds_load_b128 v[14:17], v1 offset:1664
	v_fma_f64 v[20:21], v[20:21], v[168:169], v[26:27]
	v_fma_f64 v[18:19], v[18:19], v[168:169], -v[28:29]
	s_waitcnt vmcnt(2) lgkmcnt(1)
	v_mul_f64 v[38:39], v[2:3], v[36:37]
	v_mul_f64 v[36:37], v[4:5], v[36:37]
	v_add_f64 v[22:23], v[22:23], v[32:33]
	v_add_f64 v[24:25], v[24:25], v[30:31]
	s_waitcnt vmcnt(1) lgkmcnt(0)
	v_mul_f64 v[26:27], v[14:15], v[8:9]
	v_mul_f64 v[8:9], v[16:17], v[8:9]
	v_fma_f64 v[28:29], v[4:5], v[34:35], v[38:39]
	v_fma_f64 v[30:31], v[2:3], v[34:35], -v[36:37]
	ds_load_b128 v[2:5], v1 offset:1680
	v_add_f64 v[18:19], v[22:23], v[18:19]
	v_add_f64 v[20:21], v[24:25], v[20:21]
	s_waitcnt vmcnt(0) lgkmcnt(0)
	v_mul_f64 v[22:23], v[2:3], v[12:13]
	v_mul_f64 v[12:13], v[4:5], v[12:13]
	v_fma_f64 v[16:17], v[16:17], v[6:7], v[26:27]
	v_fma_f64 v[6:7], v[14:15], v[6:7], -v[8:9]
	v_add_f64 v[8:9], v[18:19], v[30:31]
	v_add_f64 v[14:15], v[20:21], v[28:29]
	v_fma_f64 v[4:5], v[4:5], v[10:11], v[22:23]
	v_fma_f64 v[2:3], v[2:3], v[10:11], -v[12:13]
	s_delay_alu instid0(VALU_DEP_4) | instskip(NEXT) | instid1(VALU_DEP_4)
	v_add_f64 v[6:7], v[8:9], v[6:7]
	v_add_f64 v[8:9], v[14:15], v[16:17]
	s_delay_alu instid0(VALU_DEP_2) | instskip(NEXT) | instid1(VALU_DEP_2)
	v_add_f64 v[2:3], v[6:7], v[2:3]
	v_add_f64 v[4:5], v[8:9], v[4:5]
	s_delay_alu instid0(VALU_DEP_2) | instskip(NEXT) | instid1(VALU_DEP_2)
	v_add_f64 v[2:3], v[42:43], -v[2:3]
	v_add_f64 v[4:5], v[44:45], -v[4:5]
	scratch_store_b128 off, v[2:5], off offset:624
	v_cmpx_lt_u32_e32 38, v152
	s_cbranch_execz .LBB52_255
; %bb.254:
	scratch_load_b128 v[5:8], v207, off
	v_mov_b32_e32 v2, v1
	v_mov_b32_e32 v3, v1
	;; [unrolled: 1-line block ×3, first 2 shown]
	scratch_store_b128 off, v[1:4], off offset:608
	s_waitcnt vmcnt(0)
	ds_store_b128 v205, v[5:8]
.LBB52_255:
	s_or_b32 exec_lo, exec_lo, s2
	s_waitcnt lgkmcnt(0)
	s_waitcnt_vscnt null, 0x0
	s_barrier
	buffer_gl0_inv
	s_clause 0x8
	scratch_load_b128 v[2:5], off, off offset:624
	scratch_load_b128 v[6:9], off, off offset:640
	;; [unrolled: 1-line block ×9, first 2 shown]
	ds_load_b128 v[38:41], v1 offset:1472
	ds_load_b128 v[42:45], v1 offset:1488
	s_clause 0x1
	scratch_load_b128 v[164:167], off, off offset:608
	scratch_load_b128 v[168:171], off, off offset:768
	s_mov_b32 s2, exec_lo
	s_waitcnt vmcnt(10) lgkmcnt(1)
	v_mul_f64 v[172:173], v[40:41], v[4:5]
	v_mul_f64 v[4:5], v[38:39], v[4:5]
	s_waitcnt vmcnt(9) lgkmcnt(0)
	v_mul_f64 v[199:200], v[42:43], v[8:9]
	v_mul_f64 v[8:9], v[44:45], v[8:9]
	s_delay_alu instid0(VALU_DEP_4) | instskip(NEXT) | instid1(VALU_DEP_4)
	v_fma_f64 v[217:218], v[38:39], v[2:3], -v[172:173]
	v_fma_f64 v[219:220], v[40:41], v[2:3], v[4:5]
	ds_load_b128 v[2:5], v1 offset:1504
	ds_load_b128 v[172:175], v1 offset:1520
	scratch_load_b128 v[38:41], off, off offset:784
	v_fma_f64 v[44:45], v[44:45], v[6:7], v[199:200]
	v_fma_f64 v[42:43], v[42:43], v[6:7], -v[8:9]
	scratch_load_b128 v[6:9], off, off offset:800
	s_waitcnt vmcnt(10) lgkmcnt(1)
	v_mul_f64 v[221:222], v[2:3], v[12:13]
	v_mul_f64 v[12:13], v[4:5], v[12:13]
	v_add_f64 v[199:200], v[217:218], 0
	v_add_f64 v[217:218], v[219:220], 0
	s_waitcnt vmcnt(9) lgkmcnt(0)
	v_mul_f64 v[219:220], v[172:173], v[16:17]
	v_mul_f64 v[16:17], v[174:175], v[16:17]
	v_fma_f64 v[221:222], v[4:5], v[10:11], v[221:222]
	v_fma_f64 v[223:224], v[2:3], v[10:11], -v[12:13]
	ds_load_b128 v[2:5], v1 offset:1536
	scratch_load_b128 v[10:13], off, off offset:816
	v_add_f64 v[199:200], v[199:200], v[42:43]
	v_add_f64 v[217:218], v[217:218], v[44:45]
	ds_load_b128 v[42:45], v1 offset:1552
	v_fma_f64 v[174:175], v[174:175], v[14:15], v[219:220]
	v_fma_f64 v[172:173], v[172:173], v[14:15], -v[16:17]
	scratch_load_b128 v[14:17], off, off offset:832
	s_waitcnt vmcnt(10) lgkmcnt(1)
	v_mul_f64 v[225:226], v[2:3], v[20:21]
	v_mul_f64 v[20:21], v[4:5], v[20:21]
	s_waitcnt vmcnt(9) lgkmcnt(0)
	v_mul_f64 v[219:220], v[42:43], v[24:25]
	v_mul_f64 v[24:25], v[44:45], v[24:25]
	v_add_f64 v[199:200], v[199:200], v[223:224]
	v_add_f64 v[217:218], v[217:218], v[221:222]
	v_fma_f64 v[221:222], v[4:5], v[18:19], v[225:226]
	v_fma_f64 v[223:224], v[2:3], v[18:19], -v[20:21]
	ds_load_b128 v[2:5], v1 offset:1568
	ds_load_b128 v[18:21], v1 offset:1584
	v_fma_f64 v[44:45], v[44:45], v[22:23], v[219:220]
	v_fma_f64 v[22:23], v[42:43], v[22:23], -v[24:25]
	v_add_f64 v[172:173], v[199:200], v[172:173]
	v_add_f64 v[174:175], v[217:218], v[174:175]
	s_waitcnt vmcnt(8) lgkmcnt(1)
	v_mul_f64 v[199:200], v[2:3], v[28:29]
	v_mul_f64 v[28:29], v[4:5], v[28:29]
	s_delay_alu instid0(VALU_DEP_4) | instskip(NEXT) | instid1(VALU_DEP_4)
	v_add_f64 v[24:25], v[172:173], v[223:224]
	v_add_f64 v[42:43], v[174:175], v[221:222]
	s_waitcnt vmcnt(7) lgkmcnt(0)
	v_mul_f64 v[172:173], v[18:19], v[32:33]
	v_mul_f64 v[32:33], v[20:21], v[32:33]
	v_fma_f64 v[174:175], v[4:5], v[26:27], v[199:200]
	v_fma_f64 v[26:27], v[2:3], v[26:27], -v[28:29]
	v_add_f64 v[28:29], v[24:25], v[22:23]
	v_add_f64 v[42:43], v[42:43], v[44:45]
	ds_load_b128 v[2:5], v1 offset:1600
	ds_load_b128 v[22:25], v1 offset:1616
	v_fma_f64 v[20:21], v[20:21], v[30:31], v[172:173]
	v_fma_f64 v[18:19], v[18:19], v[30:31], -v[32:33]
	s_waitcnt vmcnt(6) lgkmcnt(1)
	v_mul_f64 v[44:45], v[2:3], v[36:37]
	v_mul_f64 v[36:37], v[4:5], v[36:37]
	s_waitcnt vmcnt(4) lgkmcnt(0)
	v_mul_f64 v[30:31], v[22:23], v[170:171]
	v_mul_f64 v[32:33], v[24:25], v[170:171]
	v_add_f64 v[26:27], v[28:29], v[26:27]
	v_add_f64 v[28:29], v[42:43], v[174:175]
	v_fma_f64 v[42:43], v[4:5], v[34:35], v[44:45]
	v_fma_f64 v[34:35], v[2:3], v[34:35], -v[36:37]
	v_fma_f64 v[24:25], v[24:25], v[168:169], v[30:31]
	v_fma_f64 v[22:23], v[22:23], v[168:169], -v[32:33]
	v_add_f64 v[26:27], v[26:27], v[18:19]
	v_add_f64 v[28:29], v[28:29], v[20:21]
	ds_load_b128 v[2:5], v1 offset:1632
	ds_load_b128 v[18:21], v1 offset:1648
	s_waitcnt vmcnt(3) lgkmcnt(1)
	v_mul_f64 v[36:37], v[2:3], v[40:41]
	v_mul_f64 v[40:41], v[4:5], v[40:41]
	s_waitcnt vmcnt(2) lgkmcnt(0)
	v_mul_f64 v[30:31], v[18:19], v[8:9]
	v_mul_f64 v[8:9], v[20:21], v[8:9]
	v_add_f64 v[26:27], v[26:27], v[34:35]
	v_add_f64 v[28:29], v[28:29], v[42:43]
	v_fma_f64 v[32:33], v[4:5], v[38:39], v[36:37]
	v_fma_f64 v[34:35], v[2:3], v[38:39], -v[40:41]
	v_fma_f64 v[20:21], v[20:21], v[6:7], v[30:31]
	v_fma_f64 v[6:7], v[18:19], v[6:7], -v[8:9]
	v_add_f64 v[26:27], v[26:27], v[22:23]
	v_add_f64 v[28:29], v[28:29], v[24:25]
	ds_load_b128 v[2:5], v1 offset:1664
	ds_load_b128 v[22:25], v1 offset:1680
	s_waitcnt vmcnt(1) lgkmcnt(1)
	v_mul_f64 v[36:37], v[2:3], v[12:13]
	v_mul_f64 v[12:13], v[4:5], v[12:13]
	v_add_f64 v[8:9], v[26:27], v[34:35]
	v_add_f64 v[18:19], v[28:29], v[32:33]
	s_waitcnt vmcnt(0) lgkmcnt(0)
	v_mul_f64 v[26:27], v[22:23], v[16:17]
	v_mul_f64 v[16:17], v[24:25], v[16:17]
	v_fma_f64 v[4:5], v[4:5], v[10:11], v[36:37]
	v_fma_f64 v[1:2], v[2:3], v[10:11], -v[12:13]
	v_add_f64 v[6:7], v[8:9], v[6:7]
	v_add_f64 v[8:9], v[18:19], v[20:21]
	v_fma_f64 v[10:11], v[24:25], v[14:15], v[26:27]
	v_fma_f64 v[12:13], v[22:23], v[14:15], -v[16:17]
	s_delay_alu instid0(VALU_DEP_4) | instskip(NEXT) | instid1(VALU_DEP_4)
	v_add_f64 v[1:2], v[6:7], v[1:2]
	v_add_f64 v[3:4], v[8:9], v[4:5]
	s_delay_alu instid0(VALU_DEP_2) | instskip(NEXT) | instid1(VALU_DEP_2)
	v_add_f64 v[1:2], v[1:2], v[12:13]
	v_add_f64 v[3:4], v[3:4], v[10:11]
	s_delay_alu instid0(VALU_DEP_2) | instskip(NEXT) | instid1(VALU_DEP_2)
	v_add_f64 v[1:2], v[164:165], -v[1:2]
	v_add_f64 v[3:4], v[166:167], -v[3:4]
	scratch_store_b128 off, v[1:4], off offset:608
	v_cmpx_lt_u32_e32 37, v152
	s_cbranch_execz .LBB52_257
; %bb.256:
	scratch_load_b128 v[1:4], v208, off
	v_mov_b32_e32 v5, 0
	s_delay_alu instid0(VALU_DEP_1)
	v_mov_b32_e32 v6, v5
	v_mov_b32_e32 v7, v5
	;; [unrolled: 1-line block ×3, first 2 shown]
	scratch_store_b128 off, v[5:8], off offset:592
	s_waitcnt vmcnt(0)
	ds_store_b128 v205, v[1:4]
.LBB52_257:
	s_or_b32 exec_lo, exec_lo, s2
	s_waitcnt lgkmcnt(0)
	s_waitcnt_vscnt null, 0x0
	s_barrier
	buffer_gl0_inv
	s_clause 0x7
	scratch_load_b128 v[2:5], off, off offset:608
	scratch_load_b128 v[6:9], off, off offset:624
	;; [unrolled: 1-line block ×8, first 2 shown]
	v_mov_b32_e32 v1, 0
	s_mov_b32 s2, exec_lo
	ds_load_b128 v[34:37], v1 offset:1456
	s_clause 0x1
	scratch_load_b128 v[38:41], off, off offset:736
	scratch_load_b128 v[42:45], off, off offset:592
	ds_load_b128 v[164:167], v1 offset:1472
	scratch_load_b128 v[168:171], off, off offset:752
	s_waitcnt vmcnt(10) lgkmcnt(1)
	v_mul_f64 v[172:173], v[36:37], v[4:5]
	v_mul_f64 v[4:5], v[34:35], v[4:5]
	s_delay_alu instid0(VALU_DEP_2) | instskip(NEXT) | instid1(VALU_DEP_2)
	v_fma_f64 v[217:218], v[34:35], v[2:3], -v[172:173]
	v_fma_f64 v[219:220], v[36:37], v[2:3], v[4:5]
	scratch_load_b128 v[34:37], off, off offset:768
	ds_load_b128 v[2:5], v1 offset:1488
	s_waitcnt vmcnt(10) lgkmcnt(1)
	v_mul_f64 v[199:200], v[164:165], v[8:9]
	v_mul_f64 v[8:9], v[166:167], v[8:9]
	ds_load_b128 v[172:175], v1 offset:1504
	s_waitcnt vmcnt(9) lgkmcnt(1)
	v_mul_f64 v[221:222], v[2:3], v[12:13]
	v_mul_f64 v[12:13], v[4:5], v[12:13]
	v_fma_f64 v[166:167], v[166:167], v[6:7], v[199:200]
	v_fma_f64 v[164:165], v[164:165], v[6:7], -v[8:9]
	v_add_f64 v[199:200], v[217:218], 0
	v_add_f64 v[217:218], v[219:220], 0
	scratch_load_b128 v[6:9], off, off offset:784
	v_fma_f64 v[221:222], v[4:5], v[10:11], v[221:222]
	v_fma_f64 v[223:224], v[2:3], v[10:11], -v[12:13]
	scratch_load_b128 v[10:13], off, off offset:800
	ds_load_b128 v[2:5], v1 offset:1520
	s_waitcnt vmcnt(10) lgkmcnt(1)
	v_mul_f64 v[219:220], v[172:173], v[16:17]
	v_mul_f64 v[16:17], v[174:175], v[16:17]
	v_add_f64 v[199:200], v[199:200], v[164:165]
	v_add_f64 v[217:218], v[217:218], v[166:167]
	s_waitcnt vmcnt(9) lgkmcnt(0)
	v_mul_f64 v[225:226], v[2:3], v[20:21]
	v_mul_f64 v[20:21], v[4:5], v[20:21]
	ds_load_b128 v[164:167], v1 offset:1536
	v_fma_f64 v[174:175], v[174:175], v[14:15], v[219:220]
	v_fma_f64 v[172:173], v[172:173], v[14:15], -v[16:17]
	scratch_load_b128 v[14:17], off, off offset:816
	v_add_f64 v[199:200], v[199:200], v[223:224]
	v_add_f64 v[217:218], v[217:218], v[221:222]
	v_fma_f64 v[221:222], v[4:5], v[18:19], v[225:226]
	v_fma_f64 v[223:224], v[2:3], v[18:19], -v[20:21]
	scratch_load_b128 v[18:21], off, off offset:832
	ds_load_b128 v[2:5], v1 offset:1552
	s_waitcnt vmcnt(10) lgkmcnt(1)
	v_mul_f64 v[219:220], v[164:165], v[24:25]
	v_mul_f64 v[24:25], v[166:167], v[24:25]
	s_waitcnt vmcnt(9) lgkmcnt(0)
	v_mul_f64 v[225:226], v[2:3], v[28:29]
	v_mul_f64 v[28:29], v[4:5], v[28:29]
	v_add_f64 v[199:200], v[199:200], v[172:173]
	v_add_f64 v[217:218], v[217:218], v[174:175]
	ds_load_b128 v[172:175], v1 offset:1568
	v_fma_f64 v[166:167], v[166:167], v[22:23], v[219:220]
	v_fma_f64 v[22:23], v[164:165], v[22:23], -v[24:25]
	v_add_f64 v[24:25], v[199:200], v[223:224]
	v_add_f64 v[164:165], v[217:218], v[221:222]
	s_waitcnt vmcnt(8) lgkmcnt(0)
	v_mul_f64 v[199:200], v[172:173], v[32:33]
	v_mul_f64 v[32:33], v[174:175], v[32:33]
	v_fma_f64 v[217:218], v[4:5], v[26:27], v[225:226]
	v_fma_f64 v[26:27], v[2:3], v[26:27], -v[28:29]
	v_add_f64 v[28:29], v[24:25], v[22:23]
	v_add_f64 v[164:165], v[164:165], v[166:167]
	ds_load_b128 v[2:5], v1 offset:1584
	ds_load_b128 v[22:25], v1 offset:1600
	v_fma_f64 v[174:175], v[174:175], v[30:31], v[199:200]
	v_fma_f64 v[30:31], v[172:173], v[30:31], -v[32:33]
	s_waitcnt vmcnt(7) lgkmcnt(1)
	v_mul_f64 v[166:167], v[2:3], v[40:41]
	v_mul_f64 v[40:41], v[4:5], v[40:41]
	s_waitcnt vmcnt(5) lgkmcnt(0)
	v_mul_f64 v[32:33], v[22:23], v[170:171]
	v_add_f64 v[26:27], v[28:29], v[26:27]
	v_add_f64 v[28:29], v[164:165], v[217:218]
	v_mul_f64 v[164:165], v[24:25], v[170:171]
	v_fma_f64 v[166:167], v[4:5], v[38:39], v[166:167]
	v_fma_f64 v[38:39], v[2:3], v[38:39], -v[40:41]
	v_fma_f64 v[24:25], v[24:25], v[168:169], v[32:33]
	v_add_f64 v[30:31], v[26:27], v[30:31]
	v_add_f64 v[40:41], v[28:29], v[174:175]
	ds_load_b128 v[2:5], v1 offset:1616
	ds_load_b128 v[26:29], v1 offset:1632
	v_fma_f64 v[22:23], v[22:23], v[168:169], -v[164:165]
	s_waitcnt vmcnt(4) lgkmcnt(1)
	v_mul_f64 v[170:171], v[2:3], v[36:37]
	v_mul_f64 v[36:37], v[4:5], v[36:37]
	v_add_f64 v[30:31], v[30:31], v[38:39]
	v_add_f64 v[32:33], v[40:41], v[166:167]
	s_waitcnt vmcnt(3) lgkmcnt(0)
	v_mul_f64 v[38:39], v[26:27], v[8:9]
	v_mul_f64 v[8:9], v[28:29], v[8:9]
	v_fma_f64 v[40:41], v[4:5], v[34:35], v[170:171]
	v_fma_f64 v[34:35], v[2:3], v[34:35], -v[36:37]
	v_add_f64 v[30:31], v[30:31], v[22:23]
	v_add_f64 v[32:33], v[32:33], v[24:25]
	ds_load_b128 v[2:5], v1 offset:1648
	ds_load_b128 v[22:25], v1 offset:1664
	v_fma_f64 v[28:29], v[28:29], v[6:7], v[38:39]
	v_fma_f64 v[6:7], v[26:27], v[6:7], -v[8:9]
	s_waitcnt vmcnt(2) lgkmcnt(1)
	v_mul_f64 v[36:37], v[2:3], v[12:13]
	v_mul_f64 v[12:13], v[4:5], v[12:13]
	v_add_f64 v[8:9], v[30:31], v[34:35]
	v_add_f64 v[26:27], v[32:33], v[40:41]
	s_waitcnt vmcnt(1) lgkmcnt(0)
	v_mul_f64 v[30:31], v[22:23], v[16:17]
	v_mul_f64 v[16:17], v[24:25], v[16:17]
	v_fma_f64 v[32:33], v[4:5], v[10:11], v[36:37]
	v_fma_f64 v[10:11], v[2:3], v[10:11], -v[12:13]
	ds_load_b128 v[2:5], v1 offset:1680
	v_add_f64 v[6:7], v[8:9], v[6:7]
	v_add_f64 v[8:9], v[26:27], v[28:29]
	v_fma_f64 v[24:25], v[24:25], v[14:15], v[30:31]
	v_fma_f64 v[14:15], v[22:23], v[14:15], -v[16:17]
	s_waitcnt vmcnt(0) lgkmcnt(0)
	v_mul_f64 v[12:13], v[2:3], v[20:21]
	v_mul_f64 v[20:21], v[4:5], v[20:21]
	v_add_f64 v[6:7], v[6:7], v[10:11]
	v_add_f64 v[8:9], v[8:9], v[32:33]
	s_delay_alu instid0(VALU_DEP_4) | instskip(NEXT) | instid1(VALU_DEP_4)
	v_fma_f64 v[4:5], v[4:5], v[18:19], v[12:13]
	v_fma_f64 v[2:3], v[2:3], v[18:19], -v[20:21]
	s_delay_alu instid0(VALU_DEP_4) | instskip(NEXT) | instid1(VALU_DEP_4)
	v_add_f64 v[6:7], v[6:7], v[14:15]
	v_add_f64 v[8:9], v[8:9], v[24:25]
	s_delay_alu instid0(VALU_DEP_2) | instskip(NEXT) | instid1(VALU_DEP_2)
	v_add_f64 v[2:3], v[6:7], v[2:3]
	v_add_f64 v[4:5], v[8:9], v[4:5]
	s_delay_alu instid0(VALU_DEP_2) | instskip(NEXT) | instid1(VALU_DEP_2)
	v_add_f64 v[2:3], v[42:43], -v[2:3]
	v_add_f64 v[4:5], v[44:45], -v[4:5]
	scratch_store_b128 off, v[2:5], off offset:592
	v_cmpx_lt_u32_e32 36, v152
	s_cbranch_execz .LBB52_259
; %bb.258:
	scratch_load_b128 v[5:8], v209, off
	v_mov_b32_e32 v2, v1
	v_mov_b32_e32 v3, v1
	;; [unrolled: 1-line block ×3, first 2 shown]
	scratch_store_b128 off, v[1:4], off offset:576
	s_waitcnt vmcnt(0)
	ds_store_b128 v205, v[5:8]
.LBB52_259:
	s_or_b32 exec_lo, exec_lo, s2
	s_waitcnt lgkmcnt(0)
	s_waitcnt_vscnt null, 0x0
	s_barrier
	buffer_gl0_inv
	s_clause 0x8
	scratch_load_b128 v[2:5], off, off offset:592
	scratch_load_b128 v[6:9], off, off offset:608
	;; [unrolled: 1-line block ×9, first 2 shown]
	ds_load_b128 v[38:41], v1 offset:1440
	ds_load_b128 v[42:45], v1 offset:1456
	s_clause 0x1
	scratch_load_b128 v[164:167], off, off offset:576
	scratch_load_b128 v[168:171], off, off offset:736
	s_mov_b32 s2, exec_lo
	s_waitcnt vmcnt(10) lgkmcnt(1)
	v_mul_f64 v[172:173], v[40:41], v[4:5]
	v_mul_f64 v[4:5], v[38:39], v[4:5]
	s_waitcnt vmcnt(9) lgkmcnt(0)
	v_mul_f64 v[199:200], v[42:43], v[8:9]
	v_mul_f64 v[8:9], v[44:45], v[8:9]
	s_delay_alu instid0(VALU_DEP_4) | instskip(NEXT) | instid1(VALU_DEP_4)
	v_fma_f64 v[217:218], v[38:39], v[2:3], -v[172:173]
	v_fma_f64 v[219:220], v[40:41], v[2:3], v[4:5]
	ds_load_b128 v[2:5], v1 offset:1472
	ds_load_b128 v[172:175], v1 offset:1488
	scratch_load_b128 v[38:41], off, off offset:752
	v_fma_f64 v[44:45], v[44:45], v[6:7], v[199:200]
	v_fma_f64 v[42:43], v[42:43], v[6:7], -v[8:9]
	scratch_load_b128 v[6:9], off, off offset:768
	s_waitcnt vmcnt(10) lgkmcnt(1)
	v_mul_f64 v[221:222], v[2:3], v[12:13]
	v_mul_f64 v[12:13], v[4:5], v[12:13]
	v_add_f64 v[199:200], v[217:218], 0
	v_add_f64 v[217:218], v[219:220], 0
	s_waitcnt vmcnt(9) lgkmcnt(0)
	v_mul_f64 v[219:220], v[172:173], v[16:17]
	v_mul_f64 v[16:17], v[174:175], v[16:17]
	v_fma_f64 v[221:222], v[4:5], v[10:11], v[221:222]
	v_fma_f64 v[223:224], v[2:3], v[10:11], -v[12:13]
	ds_load_b128 v[2:5], v1 offset:1504
	scratch_load_b128 v[10:13], off, off offset:784
	v_add_f64 v[199:200], v[199:200], v[42:43]
	v_add_f64 v[217:218], v[217:218], v[44:45]
	ds_load_b128 v[42:45], v1 offset:1520
	v_fma_f64 v[174:175], v[174:175], v[14:15], v[219:220]
	v_fma_f64 v[172:173], v[172:173], v[14:15], -v[16:17]
	scratch_load_b128 v[14:17], off, off offset:800
	s_waitcnt vmcnt(10) lgkmcnt(1)
	v_mul_f64 v[225:226], v[2:3], v[20:21]
	v_mul_f64 v[20:21], v[4:5], v[20:21]
	s_waitcnt vmcnt(9) lgkmcnt(0)
	v_mul_f64 v[219:220], v[42:43], v[24:25]
	v_mul_f64 v[24:25], v[44:45], v[24:25]
	v_add_f64 v[199:200], v[199:200], v[223:224]
	v_add_f64 v[217:218], v[217:218], v[221:222]
	v_fma_f64 v[221:222], v[4:5], v[18:19], v[225:226]
	v_fma_f64 v[223:224], v[2:3], v[18:19], -v[20:21]
	ds_load_b128 v[2:5], v1 offset:1536
	scratch_load_b128 v[18:21], off, off offset:816
	v_fma_f64 v[44:45], v[44:45], v[22:23], v[219:220]
	v_fma_f64 v[42:43], v[42:43], v[22:23], -v[24:25]
	scratch_load_b128 v[22:25], off, off offset:832
	v_add_f64 v[199:200], v[199:200], v[172:173]
	v_add_f64 v[217:218], v[217:218], v[174:175]
	ds_load_b128 v[172:175], v1 offset:1552
	s_waitcnt vmcnt(10) lgkmcnt(1)
	v_mul_f64 v[225:226], v[2:3], v[28:29]
	v_mul_f64 v[28:29], v[4:5], v[28:29]
	s_waitcnt vmcnt(9) lgkmcnt(0)
	v_mul_f64 v[219:220], v[172:173], v[32:33]
	v_mul_f64 v[32:33], v[174:175], v[32:33]
	v_add_f64 v[199:200], v[199:200], v[223:224]
	v_add_f64 v[217:218], v[217:218], v[221:222]
	v_fma_f64 v[221:222], v[4:5], v[26:27], v[225:226]
	v_fma_f64 v[223:224], v[2:3], v[26:27], -v[28:29]
	ds_load_b128 v[2:5], v1 offset:1568
	ds_load_b128 v[26:29], v1 offset:1584
	v_fma_f64 v[174:175], v[174:175], v[30:31], v[219:220]
	v_fma_f64 v[30:31], v[172:173], v[30:31], -v[32:33]
	v_add_f64 v[42:43], v[199:200], v[42:43]
	v_add_f64 v[44:45], v[217:218], v[44:45]
	s_waitcnt vmcnt(8) lgkmcnt(1)
	v_mul_f64 v[199:200], v[2:3], v[36:37]
	v_mul_f64 v[36:37], v[4:5], v[36:37]
	s_delay_alu instid0(VALU_DEP_4) | instskip(NEXT) | instid1(VALU_DEP_4)
	v_add_f64 v[32:33], v[42:43], v[223:224]
	v_add_f64 v[42:43], v[44:45], v[221:222]
	s_waitcnt vmcnt(6) lgkmcnt(0)
	v_mul_f64 v[44:45], v[26:27], v[170:171]
	v_mul_f64 v[170:171], v[28:29], v[170:171]
	v_fma_f64 v[172:173], v[4:5], v[34:35], v[199:200]
	v_fma_f64 v[34:35], v[2:3], v[34:35], -v[36:37]
	v_add_f64 v[36:37], v[32:33], v[30:31]
	v_add_f64 v[42:43], v[42:43], v[174:175]
	ds_load_b128 v[2:5], v1 offset:1600
	ds_load_b128 v[30:33], v1 offset:1616
	v_fma_f64 v[28:29], v[28:29], v[168:169], v[44:45]
	v_fma_f64 v[26:27], v[26:27], v[168:169], -v[170:171]
	s_waitcnt vmcnt(5) lgkmcnt(1)
	v_mul_f64 v[174:175], v[2:3], v[40:41]
	v_mul_f64 v[40:41], v[4:5], v[40:41]
	v_add_f64 v[34:35], v[36:37], v[34:35]
	v_add_f64 v[36:37], v[42:43], v[172:173]
	s_waitcnt vmcnt(4) lgkmcnt(0)
	v_mul_f64 v[42:43], v[30:31], v[8:9]
	v_mul_f64 v[8:9], v[32:33], v[8:9]
	v_fma_f64 v[44:45], v[4:5], v[38:39], v[174:175]
	v_fma_f64 v[38:39], v[2:3], v[38:39], -v[40:41]
	v_add_f64 v[34:35], v[34:35], v[26:27]
	v_add_f64 v[36:37], v[36:37], v[28:29]
	ds_load_b128 v[2:5], v1 offset:1632
	ds_load_b128 v[26:29], v1 offset:1648
	v_fma_f64 v[32:33], v[32:33], v[6:7], v[42:43]
	v_fma_f64 v[6:7], v[30:31], v[6:7], -v[8:9]
	s_waitcnt vmcnt(3) lgkmcnt(1)
	v_mul_f64 v[40:41], v[2:3], v[12:13]
	v_mul_f64 v[12:13], v[4:5], v[12:13]
	;; [unrolled: 16-line block ×3, first 2 shown]
	s_waitcnt vmcnt(0) lgkmcnt(0)
	v_mul_f64 v[16:17], v[6:7], v[24:25]
	v_mul_f64 v[24:25], v[8:9], v[24:25]
	v_add_f64 v[10:11], v[12:13], v[10:11]
	v_add_f64 v[12:13], v[30:31], v[36:37]
	v_fma_f64 v[4:5], v[4:5], v[18:19], v[32:33]
	v_fma_f64 v[1:2], v[2:3], v[18:19], -v[20:21]
	v_fma_f64 v[8:9], v[8:9], v[22:23], v[16:17]
	v_fma_f64 v[6:7], v[6:7], v[22:23], -v[24:25]
	v_add_f64 v[10:11], v[10:11], v[14:15]
	v_add_f64 v[12:13], v[12:13], v[28:29]
	s_delay_alu instid0(VALU_DEP_2) | instskip(NEXT) | instid1(VALU_DEP_2)
	v_add_f64 v[1:2], v[10:11], v[1:2]
	v_add_f64 v[3:4], v[12:13], v[4:5]
	s_delay_alu instid0(VALU_DEP_2) | instskip(NEXT) | instid1(VALU_DEP_2)
	;; [unrolled: 3-line block ×3, first 2 shown]
	v_add_f64 v[1:2], v[164:165], -v[1:2]
	v_add_f64 v[3:4], v[166:167], -v[3:4]
	scratch_store_b128 off, v[1:4], off offset:576
	v_cmpx_lt_u32_e32 35, v152
	s_cbranch_execz .LBB52_261
; %bb.260:
	scratch_load_b128 v[1:4], v210, off
	v_mov_b32_e32 v5, 0
	s_delay_alu instid0(VALU_DEP_1)
	v_mov_b32_e32 v6, v5
	v_mov_b32_e32 v7, v5
	;; [unrolled: 1-line block ×3, first 2 shown]
	scratch_store_b128 off, v[5:8], off offset:560
	s_waitcnt vmcnt(0)
	ds_store_b128 v205, v[1:4]
.LBB52_261:
	s_or_b32 exec_lo, exec_lo, s2
	s_waitcnt lgkmcnt(0)
	s_waitcnt_vscnt null, 0x0
	s_barrier
	buffer_gl0_inv
	s_clause 0x7
	scratch_load_b128 v[2:5], off, off offset:576
	scratch_load_b128 v[6:9], off, off offset:592
	;; [unrolled: 1-line block ×8, first 2 shown]
	v_mov_b32_e32 v1, 0
	s_mov_b32 s2, exec_lo
	ds_load_b128 v[34:37], v1 offset:1424
	s_clause 0x1
	scratch_load_b128 v[38:41], off, off offset:704
	scratch_load_b128 v[42:45], off, off offset:560
	ds_load_b128 v[164:167], v1 offset:1440
	scratch_load_b128 v[168:171], off, off offset:720
	s_waitcnt vmcnt(10) lgkmcnt(1)
	v_mul_f64 v[172:173], v[36:37], v[4:5]
	v_mul_f64 v[4:5], v[34:35], v[4:5]
	s_delay_alu instid0(VALU_DEP_2) | instskip(NEXT) | instid1(VALU_DEP_2)
	v_fma_f64 v[217:218], v[34:35], v[2:3], -v[172:173]
	v_fma_f64 v[219:220], v[36:37], v[2:3], v[4:5]
	scratch_load_b128 v[34:37], off, off offset:736
	ds_load_b128 v[2:5], v1 offset:1456
	s_waitcnt vmcnt(10) lgkmcnt(1)
	v_mul_f64 v[199:200], v[164:165], v[8:9]
	v_mul_f64 v[8:9], v[166:167], v[8:9]
	ds_load_b128 v[172:175], v1 offset:1472
	s_waitcnt vmcnt(9) lgkmcnt(1)
	v_mul_f64 v[221:222], v[2:3], v[12:13]
	v_mul_f64 v[12:13], v[4:5], v[12:13]
	v_fma_f64 v[166:167], v[166:167], v[6:7], v[199:200]
	v_fma_f64 v[164:165], v[164:165], v[6:7], -v[8:9]
	v_add_f64 v[199:200], v[217:218], 0
	v_add_f64 v[217:218], v[219:220], 0
	scratch_load_b128 v[6:9], off, off offset:752
	v_fma_f64 v[221:222], v[4:5], v[10:11], v[221:222]
	v_fma_f64 v[223:224], v[2:3], v[10:11], -v[12:13]
	scratch_load_b128 v[10:13], off, off offset:768
	ds_load_b128 v[2:5], v1 offset:1488
	s_waitcnt vmcnt(10) lgkmcnt(1)
	v_mul_f64 v[219:220], v[172:173], v[16:17]
	v_mul_f64 v[16:17], v[174:175], v[16:17]
	v_add_f64 v[199:200], v[199:200], v[164:165]
	v_add_f64 v[217:218], v[217:218], v[166:167]
	s_waitcnt vmcnt(9) lgkmcnt(0)
	v_mul_f64 v[225:226], v[2:3], v[20:21]
	v_mul_f64 v[20:21], v[4:5], v[20:21]
	ds_load_b128 v[164:167], v1 offset:1504
	v_fma_f64 v[174:175], v[174:175], v[14:15], v[219:220]
	v_fma_f64 v[172:173], v[172:173], v[14:15], -v[16:17]
	scratch_load_b128 v[14:17], off, off offset:784
	v_add_f64 v[199:200], v[199:200], v[223:224]
	v_add_f64 v[217:218], v[217:218], v[221:222]
	v_fma_f64 v[221:222], v[4:5], v[18:19], v[225:226]
	v_fma_f64 v[223:224], v[2:3], v[18:19], -v[20:21]
	scratch_load_b128 v[18:21], off, off offset:800
	ds_load_b128 v[2:5], v1 offset:1520
	s_waitcnt vmcnt(10) lgkmcnt(1)
	v_mul_f64 v[219:220], v[164:165], v[24:25]
	v_mul_f64 v[24:25], v[166:167], v[24:25]
	s_waitcnt vmcnt(9) lgkmcnt(0)
	v_mul_f64 v[225:226], v[2:3], v[28:29]
	v_mul_f64 v[28:29], v[4:5], v[28:29]
	v_add_f64 v[199:200], v[199:200], v[172:173]
	v_add_f64 v[217:218], v[217:218], v[174:175]
	ds_load_b128 v[172:175], v1 offset:1536
	v_fma_f64 v[166:167], v[166:167], v[22:23], v[219:220]
	v_fma_f64 v[164:165], v[164:165], v[22:23], -v[24:25]
	scratch_load_b128 v[22:25], off, off offset:816
	v_add_f64 v[199:200], v[199:200], v[223:224]
	v_add_f64 v[217:218], v[217:218], v[221:222]
	v_fma_f64 v[221:222], v[4:5], v[26:27], v[225:226]
	v_fma_f64 v[223:224], v[2:3], v[26:27], -v[28:29]
	scratch_load_b128 v[26:29], off, off offset:832
	ds_load_b128 v[2:5], v1 offset:1552
	s_waitcnt vmcnt(10) lgkmcnt(1)
	v_mul_f64 v[219:220], v[172:173], v[32:33]
	v_mul_f64 v[32:33], v[174:175], v[32:33]
	s_waitcnt vmcnt(9) lgkmcnt(0)
	v_mul_f64 v[225:226], v[2:3], v[40:41]
	v_mul_f64 v[40:41], v[4:5], v[40:41]
	v_add_f64 v[199:200], v[199:200], v[164:165]
	v_add_f64 v[217:218], v[217:218], v[166:167]
	ds_load_b128 v[164:167], v1 offset:1568
	v_fma_f64 v[174:175], v[174:175], v[30:31], v[219:220]
	v_fma_f64 v[30:31], v[172:173], v[30:31], -v[32:33]
	v_add_f64 v[32:33], v[199:200], v[223:224]
	v_add_f64 v[172:173], v[217:218], v[221:222]
	s_waitcnt vmcnt(7) lgkmcnt(0)
	v_mul_f64 v[199:200], v[164:165], v[170:171]
	v_mul_f64 v[170:171], v[166:167], v[170:171]
	v_fma_f64 v[217:218], v[4:5], v[38:39], v[225:226]
	v_fma_f64 v[38:39], v[2:3], v[38:39], -v[40:41]
	v_add_f64 v[40:41], v[32:33], v[30:31]
	v_add_f64 v[172:173], v[172:173], v[174:175]
	ds_load_b128 v[2:5], v1 offset:1584
	ds_load_b128 v[30:33], v1 offset:1600
	v_fma_f64 v[166:167], v[166:167], v[168:169], v[199:200]
	v_fma_f64 v[164:165], v[164:165], v[168:169], -v[170:171]
	s_waitcnt vmcnt(6) lgkmcnt(1)
	v_mul_f64 v[174:175], v[2:3], v[36:37]
	v_mul_f64 v[36:37], v[4:5], v[36:37]
	v_add_f64 v[38:39], v[40:41], v[38:39]
	v_add_f64 v[40:41], v[172:173], v[217:218]
	s_waitcnt vmcnt(5) lgkmcnt(0)
	v_mul_f64 v[168:169], v[30:31], v[8:9]
	v_mul_f64 v[8:9], v[32:33], v[8:9]
	v_fma_f64 v[170:171], v[4:5], v[34:35], v[174:175]
	v_fma_f64 v[172:173], v[2:3], v[34:35], -v[36:37]
	ds_load_b128 v[2:5], v1 offset:1616
	ds_load_b128 v[34:37], v1 offset:1632
	v_add_f64 v[38:39], v[38:39], v[164:165]
	v_add_f64 v[40:41], v[40:41], v[166:167]
	s_waitcnt vmcnt(4) lgkmcnt(1)
	v_mul_f64 v[164:165], v[2:3], v[12:13]
	v_mul_f64 v[12:13], v[4:5], v[12:13]
	v_fma_f64 v[32:33], v[32:33], v[6:7], v[168:169]
	v_fma_f64 v[6:7], v[30:31], v[6:7], -v[8:9]
	v_add_f64 v[8:9], v[38:39], v[172:173]
	v_add_f64 v[30:31], v[40:41], v[170:171]
	s_waitcnt vmcnt(3) lgkmcnt(0)
	v_mul_f64 v[38:39], v[34:35], v[16:17]
	v_mul_f64 v[16:17], v[36:37], v[16:17]
	v_fma_f64 v[40:41], v[4:5], v[10:11], v[164:165]
	v_fma_f64 v[10:11], v[2:3], v[10:11], -v[12:13]
	v_add_f64 v[12:13], v[8:9], v[6:7]
	v_add_f64 v[30:31], v[30:31], v[32:33]
	ds_load_b128 v[2:5], v1 offset:1648
	ds_load_b128 v[6:9], v1 offset:1664
	v_fma_f64 v[36:37], v[36:37], v[14:15], v[38:39]
	v_fma_f64 v[14:15], v[34:35], v[14:15], -v[16:17]
	s_waitcnt vmcnt(2) lgkmcnt(1)
	v_mul_f64 v[32:33], v[2:3], v[20:21]
	v_mul_f64 v[20:21], v[4:5], v[20:21]
	s_waitcnt vmcnt(1) lgkmcnt(0)
	v_mul_f64 v[16:17], v[6:7], v[24:25]
	v_mul_f64 v[24:25], v[8:9], v[24:25]
	v_add_f64 v[10:11], v[12:13], v[10:11]
	v_add_f64 v[12:13], v[30:31], v[40:41]
	v_fma_f64 v[30:31], v[4:5], v[18:19], v[32:33]
	v_fma_f64 v[18:19], v[2:3], v[18:19], -v[20:21]
	ds_load_b128 v[2:5], v1 offset:1680
	v_fma_f64 v[8:9], v[8:9], v[22:23], v[16:17]
	v_fma_f64 v[6:7], v[6:7], v[22:23], -v[24:25]
	v_add_f64 v[10:11], v[10:11], v[14:15]
	v_add_f64 v[12:13], v[12:13], v[36:37]
	s_waitcnt vmcnt(0) lgkmcnt(0)
	v_mul_f64 v[14:15], v[2:3], v[28:29]
	v_mul_f64 v[20:21], v[4:5], v[28:29]
	s_delay_alu instid0(VALU_DEP_4) | instskip(NEXT) | instid1(VALU_DEP_4)
	v_add_f64 v[10:11], v[10:11], v[18:19]
	v_add_f64 v[12:13], v[12:13], v[30:31]
	s_delay_alu instid0(VALU_DEP_4) | instskip(NEXT) | instid1(VALU_DEP_4)
	v_fma_f64 v[4:5], v[4:5], v[26:27], v[14:15]
	v_fma_f64 v[2:3], v[2:3], v[26:27], -v[20:21]
	s_delay_alu instid0(VALU_DEP_4) | instskip(NEXT) | instid1(VALU_DEP_4)
	v_add_f64 v[6:7], v[10:11], v[6:7]
	v_add_f64 v[8:9], v[12:13], v[8:9]
	s_delay_alu instid0(VALU_DEP_2) | instskip(NEXT) | instid1(VALU_DEP_2)
	v_add_f64 v[2:3], v[6:7], v[2:3]
	v_add_f64 v[4:5], v[8:9], v[4:5]
	s_delay_alu instid0(VALU_DEP_2) | instskip(NEXT) | instid1(VALU_DEP_2)
	v_add_f64 v[2:3], v[42:43], -v[2:3]
	v_add_f64 v[4:5], v[44:45], -v[4:5]
	scratch_store_b128 off, v[2:5], off offset:560
	v_cmpx_lt_u32_e32 34, v152
	s_cbranch_execz .LBB52_263
; %bb.262:
	scratch_load_b128 v[5:8], v211, off
	v_mov_b32_e32 v2, v1
	v_mov_b32_e32 v3, v1
	;; [unrolled: 1-line block ×3, first 2 shown]
	scratch_store_b128 off, v[1:4], off offset:544
	s_waitcnt vmcnt(0)
	ds_store_b128 v205, v[5:8]
.LBB52_263:
	s_or_b32 exec_lo, exec_lo, s2
	s_waitcnt lgkmcnt(0)
	s_waitcnt_vscnt null, 0x0
	s_barrier
	buffer_gl0_inv
	s_clause 0x8
	scratch_load_b128 v[2:5], off, off offset:560
	scratch_load_b128 v[6:9], off, off offset:576
	;; [unrolled: 1-line block ×9, first 2 shown]
	ds_load_b128 v[38:41], v1 offset:1408
	ds_load_b128 v[42:45], v1 offset:1424
	s_clause 0x1
	scratch_load_b128 v[164:167], off, off offset:544
	scratch_load_b128 v[168:171], off, off offset:704
	s_mov_b32 s2, exec_lo
	s_waitcnt vmcnt(10) lgkmcnt(1)
	v_mul_f64 v[172:173], v[40:41], v[4:5]
	v_mul_f64 v[4:5], v[38:39], v[4:5]
	s_waitcnt vmcnt(9) lgkmcnt(0)
	v_mul_f64 v[199:200], v[42:43], v[8:9]
	v_mul_f64 v[8:9], v[44:45], v[8:9]
	s_delay_alu instid0(VALU_DEP_4) | instskip(NEXT) | instid1(VALU_DEP_4)
	v_fma_f64 v[217:218], v[38:39], v[2:3], -v[172:173]
	v_fma_f64 v[219:220], v[40:41], v[2:3], v[4:5]
	ds_load_b128 v[2:5], v1 offset:1440
	ds_load_b128 v[172:175], v1 offset:1456
	scratch_load_b128 v[38:41], off, off offset:720
	v_fma_f64 v[44:45], v[44:45], v[6:7], v[199:200]
	v_fma_f64 v[42:43], v[42:43], v[6:7], -v[8:9]
	scratch_load_b128 v[6:9], off, off offset:736
	s_waitcnt vmcnt(10) lgkmcnt(1)
	v_mul_f64 v[221:222], v[2:3], v[12:13]
	v_mul_f64 v[12:13], v[4:5], v[12:13]
	v_add_f64 v[199:200], v[217:218], 0
	v_add_f64 v[217:218], v[219:220], 0
	s_waitcnt vmcnt(9) lgkmcnt(0)
	v_mul_f64 v[219:220], v[172:173], v[16:17]
	v_mul_f64 v[16:17], v[174:175], v[16:17]
	v_fma_f64 v[221:222], v[4:5], v[10:11], v[221:222]
	v_fma_f64 v[223:224], v[2:3], v[10:11], -v[12:13]
	ds_load_b128 v[2:5], v1 offset:1472
	scratch_load_b128 v[10:13], off, off offset:752
	v_add_f64 v[199:200], v[199:200], v[42:43]
	v_add_f64 v[217:218], v[217:218], v[44:45]
	ds_load_b128 v[42:45], v1 offset:1488
	v_fma_f64 v[174:175], v[174:175], v[14:15], v[219:220]
	v_fma_f64 v[172:173], v[172:173], v[14:15], -v[16:17]
	scratch_load_b128 v[14:17], off, off offset:768
	s_waitcnt vmcnt(10) lgkmcnt(1)
	v_mul_f64 v[225:226], v[2:3], v[20:21]
	v_mul_f64 v[20:21], v[4:5], v[20:21]
	s_waitcnt vmcnt(9) lgkmcnt(0)
	v_mul_f64 v[219:220], v[42:43], v[24:25]
	v_mul_f64 v[24:25], v[44:45], v[24:25]
	v_add_f64 v[199:200], v[199:200], v[223:224]
	v_add_f64 v[217:218], v[217:218], v[221:222]
	v_fma_f64 v[221:222], v[4:5], v[18:19], v[225:226]
	v_fma_f64 v[223:224], v[2:3], v[18:19], -v[20:21]
	ds_load_b128 v[2:5], v1 offset:1504
	scratch_load_b128 v[18:21], off, off offset:784
	v_fma_f64 v[44:45], v[44:45], v[22:23], v[219:220]
	v_fma_f64 v[42:43], v[42:43], v[22:23], -v[24:25]
	scratch_load_b128 v[22:25], off, off offset:800
	v_add_f64 v[199:200], v[199:200], v[172:173]
	v_add_f64 v[217:218], v[217:218], v[174:175]
	ds_load_b128 v[172:175], v1 offset:1520
	s_waitcnt vmcnt(10) lgkmcnt(1)
	v_mul_f64 v[225:226], v[2:3], v[28:29]
	v_mul_f64 v[28:29], v[4:5], v[28:29]
	s_waitcnt vmcnt(9) lgkmcnt(0)
	v_mul_f64 v[219:220], v[172:173], v[32:33]
	v_mul_f64 v[32:33], v[174:175], v[32:33]
	v_add_f64 v[199:200], v[199:200], v[223:224]
	v_add_f64 v[217:218], v[217:218], v[221:222]
	v_fma_f64 v[221:222], v[4:5], v[26:27], v[225:226]
	v_fma_f64 v[223:224], v[2:3], v[26:27], -v[28:29]
	ds_load_b128 v[2:5], v1 offset:1536
	scratch_load_b128 v[26:29], off, off offset:816
	v_fma_f64 v[174:175], v[174:175], v[30:31], v[219:220]
	v_fma_f64 v[172:173], v[172:173], v[30:31], -v[32:33]
	scratch_load_b128 v[30:33], off, off offset:832
	v_add_f64 v[199:200], v[199:200], v[42:43]
	v_add_f64 v[217:218], v[217:218], v[44:45]
	ds_load_b128 v[42:45], v1 offset:1552
	s_waitcnt vmcnt(10) lgkmcnt(1)
	v_mul_f64 v[225:226], v[2:3], v[36:37]
	v_mul_f64 v[36:37], v[4:5], v[36:37]
	s_waitcnt vmcnt(8) lgkmcnt(0)
	v_mul_f64 v[219:220], v[42:43], v[170:171]
	v_mul_f64 v[170:171], v[44:45], v[170:171]
	v_add_f64 v[199:200], v[199:200], v[223:224]
	v_add_f64 v[217:218], v[217:218], v[221:222]
	v_fma_f64 v[221:222], v[4:5], v[34:35], v[225:226]
	v_fma_f64 v[223:224], v[2:3], v[34:35], -v[36:37]
	ds_load_b128 v[2:5], v1 offset:1568
	ds_load_b128 v[34:37], v1 offset:1584
	v_fma_f64 v[44:45], v[44:45], v[168:169], v[219:220]
	v_fma_f64 v[42:43], v[42:43], v[168:169], -v[170:171]
	v_add_f64 v[172:173], v[199:200], v[172:173]
	v_add_f64 v[174:175], v[217:218], v[174:175]
	s_waitcnt vmcnt(7) lgkmcnt(1)
	v_mul_f64 v[199:200], v[2:3], v[40:41]
	v_mul_f64 v[40:41], v[4:5], v[40:41]
	s_delay_alu instid0(VALU_DEP_4) | instskip(NEXT) | instid1(VALU_DEP_4)
	v_add_f64 v[168:169], v[172:173], v[223:224]
	v_add_f64 v[170:171], v[174:175], v[221:222]
	s_waitcnt vmcnt(6) lgkmcnt(0)
	v_mul_f64 v[172:173], v[34:35], v[8:9]
	v_mul_f64 v[8:9], v[36:37], v[8:9]
	v_fma_f64 v[174:175], v[4:5], v[38:39], v[199:200]
	v_fma_f64 v[199:200], v[2:3], v[38:39], -v[40:41]
	ds_load_b128 v[2:5], v1 offset:1600
	ds_load_b128 v[38:41], v1 offset:1616
	v_add_f64 v[42:43], v[168:169], v[42:43]
	v_add_f64 v[44:45], v[170:171], v[44:45]
	v_fma_f64 v[36:37], v[36:37], v[6:7], v[172:173]
	s_waitcnt vmcnt(5) lgkmcnt(1)
	v_mul_f64 v[168:169], v[2:3], v[12:13]
	v_mul_f64 v[12:13], v[4:5], v[12:13]
	v_fma_f64 v[6:7], v[34:35], v[6:7], -v[8:9]
	v_add_f64 v[8:9], v[42:43], v[199:200]
	v_add_f64 v[34:35], v[44:45], v[174:175]
	s_waitcnt vmcnt(4) lgkmcnt(0)
	v_mul_f64 v[42:43], v[38:39], v[16:17]
	v_mul_f64 v[16:17], v[40:41], v[16:17]
	v_fma_f64 v[44:45], v[4:5], v[10:11], v[168:169]
	v_fma_f64 v[10:11], v[2:3], v[10:11], -v[12:13]
	v_add_f64 v[12:13], v[8:9], v[6:7]
	v_add_f64 v[34:35], v[34:35], v[36:37]
	ds_load_b128 v[2:5], v1 offset:1632
	ds_load_b128 v[6:9], v1 offset:1648
	v_fma_f64 v[40:41], v[40:41], v[14:15], v[42:43]
	v_fma_f64 v[14:15], v[38:39], v[14:15], -v[16:17]
	s_waitcnt vmcnt(3) lgkmcnt(1)
	v_mul_f64 v[36:37], v[2:3], v[20:21]
	v_mul_f64 v[20:21], v[4:5], v[20:21]
	s_waitcnt vmcnt(2) lgkmcnt(0)
	v_mul_f64 v[16:17], v[6:7], v[24:25]
	v_mul_f64 v[24:25], v[8:9], v[24:25]
	v_add_f64 v[10:11], v[12:13], v[10:11]
	v_add_f64 v[12:13], v[34:35], v[44:45]
	v_fma_f64 v[34:35], v[4:5], v[18:19], v[36:37]
	v_fma_f64 v[18:19], v[2:3], v[18:19], -v[20:21]
	v_fma_f64 v[8:9], v[8:9], v[22:23], v[16:17]
	v_fma_f64 v[6:7], v[6:7], v[22:23], -v[24:25]
	v_add_f64 v[14:15], v[10:11], v[14:15]
	v_add_f64 v[20:21], v[12:13], v[40:41]
	ds_load_b128 v[2:5], v1 offset:1664
	ds_load_b128 v[10:13], v1 offset:1680
	s_waitcnt vmcnt(1) lgkmcnt(1)
	v_mul_f64 v[36:37], v[2:3], v[28:29]
	v_mul_f64 v[28:29], v[4:5], v[28:29]
	v_add_f64 v[14:15], v[14:15], v[18:19]
	v_add_f64 v[16:17], v[20:21], v[34:35]
	s_waitcnt vmcnt(0) lgkmcnt(0)
	v_mul_f64 v[18:19], v[10:11], v[32:33]
	v_mul_f64 v[20:21], v[12:13], v[32:33]
	v_fma_f64 v[4:5], v[4:5], v[26:27], v[36:37]
	v_fma_f64 v[1:2], v[2:3], v[26:27], -v[28:29]
	v_add_f64 v[6:7], v[14:15], v[6:7]
	v_add_f64 v[8:9], v[16:17], v[8:9]
	v_fma_f64 v[12:13], v[12:13], v[30:31], v[18:19]
	v_fma_f64 v[10:11], v[10:11], v[30:31], -v[20:21]
	s_delay_alu instid0(VALU_DEP_4) | instskip(NEXT) | instid1(VALU_DEP_4)
	v_add_f64 v[1:2], v[6:7], v[1:2]
	v_add_f64 v[3:4], v[8:9], v[4:5]
	s_delay_alu instid0(VALU_DEP_2) | instskip(NEXT) | instid1(VALU_DEP_2)
	v_add_f64 v[1:2], v[1:2], v[10:11]
	v_add_f64 v[3:4], v[3:4], v[12:13]
	s_delay_alu instid0(VALU_DEP_2) | instskip(NEXT) | instid1(VALU_DEP_2)
	v_add_f64 v[1:2], v[164:165], -v[1:2]
	v_add_f64 v[3:4], v[166:167], -v[3:4]
	scratch_store_b128 off, v[1:4], off offset:544
	v_cmpx_lt_u32_e32 33, v152
	s_cbranch_execz .LBB52_265
; %bb.264:
	scratch_load_b128 v[1:4], v212, off
	v_mov_b32_e32 v5, 0
	s_delay_alu instid0(VALU_DEP_1)
	v_mov_b32_e32 v6, v5
	v_mov_b32_e32 v7, v5
	;; [unrolled: 1-line block ×3, first 2 shown]
	scratch_store_b128 off, v[5:8], off offset:528
	s_waitcnt vmcnt(0)
	ds_store_b128 v205, v[1:4]
.LBB52_265:
	s_or_b32 exec_lo, exec_lo, s2
	s_waitcnt lgkmcnt(0)
	s_waitcnt_vscnt null, 0x0
	s_barrier
	buffer_gl0_inv
	s_clause 0x7
	scratch_load_b128 v[2:5], off, off offset:544
	scratch_load_b128 v[6:9], off, off offset:560
	;; [unrolled: 1-line block ×8, first 2 shown]
	v_mov_b32_e32 v1, 0
	s_mov_b32 s2, exec_lo
	ds_load_b128 v[34:37], v1 offset:1392
	s_clause 0x1
	scratch_load_b128 v[38:41], off, off offset:672
	scratch_load_b128 v[42:45], off, off offset:528
	ds_load_b128 v[164:167], v1 offset:1408
	scratch_load_b128 v[168:171], off, off offset:688
	s_waitcnt vmcnt(10) lgkmcnt(1)
	v_mul_f64 v[172:173], v[36:37], v[4:5]
	v_mul_f64 v[4:5], v[34:35], v[4:5]
	s_delay_alu instid0(VALU_DEP_2) | instskip(NEXT) | instid1(VALU_DEP_2)
	v_fma_f64 v[217:218], v[34:35], v[2:3], -v[172:173]
	v_fma_f64 v[219:220], v[36:37], v[2:3], v[4:5]
	scratch_load_b128 v[34:37], off, off offset:704
	ds_load_b128 v[2:5], v1 offset:1424
	s_waitcnt vmcnt(10) lgkmcnt(1)
	v_mul_f64 v[199:200], v[164:165], v[8:9]
	v_mul_f64 v[8:9], v[166:167], v[8:9]
	ds_load_b128 v[172:175], v1 offset:1440
	s_waitcnt vmcnt(9) lgkmcnt(1)
	v_mul_f64 v[221:222], v[2:3], v[12:13]
	v_mul_f64 v[12:13], v[4:5], v[12:13]
	v_fma_f64 v[166:167], v[166:167], v[6:7], v[199:200]
	v_fma_f64 v[164:165], v[164:165], v[6:7], -v[8:9]
	v_add_f64 v[199:200], v[217:218], 0
	v_add_f64 v[217:218], v[219:220], 0
	scratch_load_b128 v[6:9], off, off offset:720
	v_fma_f64 v[221:222], v[4:5], v[10:11], v[221:222]
	v_fma_f64 v[223:224], v[2:3], v[10:11], -v[12:13]
	scratch_load_b128 v[10:13], off, off offset:736
	ds_load_b128 v[2:5], v1 offset:1456
	s_waitcnt vmcnt(10) lgkmcnt(1)
	v_mul_f64 v[219:220], v[172:173], v[16:17]
	v_mul_f64 v[16:17], v[174:175], v[16:17]
	v_add_f64 v[199:200], v[199:200], v[164:165]
	v_add_f64 v[217:218], v[217:218], v[166:167]
	s_waitcnt vmcnt(9) lgkmcnt(0)
	v_mul_f64 v[225:226], v[2:3], v[20:21]
	v_mul_f64 v[20:21], v[4:5], v[20:21]
	ds_load_b128 v[164:167], v1 offset:1472
	v_fma_f64 v[174:175], v[174:175], v[14:15], v[219:220]
	v_fma_f64 v[172:173], v[172:173], v[14:15], -v[16:17]
	scratch_load_b128 v[14:17], off, off offset:752
	v_add_f64 v[199:200], v[199:200], v[223:224]
	v_add_f64 v[217:218], v[217:218], v[221:222]
	v_fma_f64 v[221:222], v[4:5], v[18:19], v[225:226]
	v_fma_f64 v[223:224], v[2:3], v[18:19], -v[20:21]
	scratch_load_b128 v[18:21], off, off offset:768
	ds_load_b128 v[2:5], v1 offset:1488
	s_waitcnt vmcnt(10) lgkmcnt(1)
	v_mul_f64 v[219:220], v[164:165], v[24:25]
	v_mul_f64 v[24:25], v[166:167], v[24:25]
	s_waitcnt vmcnt(9) lgkmcnt(0)
	v_mul_f64 v[225:226], v[2:3], v[28:29]
	v_mul_f64 v[28:29], v[4:5], v[28:29]
	v_add_f64 v[199:200], v[199:200], v[172:173]
	v_add_f64 v[217:218], v[217:218], v[174:175]
	ds_load_b128 v[172:175], v1 offset:1504
	v_fma_f64 v[166:167], v[166:167], v[22:23], v[219:220]
	v_fma_f64 v[164:165], v[164:165], v[22:23], -v[24:25]
	scratch_load_b128 v[22:25], off, off offset:784
	v_add_f64 v[199:200], v[199:200], v[223:224]
	v_add_f64 v[217:218], v[217:218], v[221:222]
	v_fma_f64 v[221:222], v[4:5], v[26:27], v[225:226]
	v_fma_f64 v[223:224], v[2:3], v[26:27], -v[28:29]
	scratch_load_b128 v[26:29], off, off offset:800
	ds_load_b128 v[2:5], v1 offset:1520
	s_waitcnt vmcnt(10) lgkmcnt(1)
	v_mul_f64 v[219:220], v[172:173], v[32:33]
	v_mul_f64 v[32:33], v[174:175], v[32:33]
	s_waitcnt vmcnt(9) lgkmcnt(0)
	v_mul_f64 v[225:226], v[2:3], v[40:41]
	v_mul_f64 v[40:41], v[4:5], v[40:41]
	v_add_f64 v[199:200], v[199:200], v[164:165]
	v_add_f64 v[217:218], v[217:218], v[166:167]
	ds_load_b128 v[164:167], v1 offset:1536
	v_fma_f64 v[174:175], v[174:175], v[30:31], v[219:220]
	v_fma_f64 v[172:173], v[172:173], v[30:31], -v[32:33]
	scratch_load_b128 v[30:33], off, off offset:816
	v_add_f64 v[199:200], v[199:200], v[223:224]
	v_add_f64 v[217:218], v[217:218], v[221:222]
	v_fma_f64 v[223:224], v[4:5], v[38:39], v[225:226]
	v_fma_f64 v[225:226], v[2:3], v[38:39], -v[40:41]
	scratch_load_b128 v[38:41], off, off offset:832
	ds_load_b128 v[2:5], v1 offset:1552
	s_waitcnt vmcnt(9) lgkmcnt(1)
	v_mul_f64 v[219:220], v[164:165], v[170:171]
	v_mul_f64 v[221:222], v[166:167], v[170:171]
	v_add_f64 v[199:200], v[199:200], v[172:173]
	v_add_f64 v[174:175], v[217:218], v[174:175]
	ds_load_b128 v[170:173], v1 offset:1568
	v_fma_f64 v[166:167], v[166:167], v[168:169], v[219:220]
	v_fma_f64 v[164:165], v[164:165], v[168:169], -v[221:222]
	s_waitcnt vmcnt(8) lgkmcnt(1)
	v_mul_f64 v[217:218], v[2:3], v[36:37]
	v_mul_f64 v[36:37], v[4:5], v[36:37]
	v_add_f64 v[168:169], v[199:200], v[225:226]
	v_add_f64 v[174:175], v[174:175], v[223:224]
	s_delay_alu instid0(VALU_DEP_4) | instskip(NEXT) | instid1(VALU_DEP_4)
	v_fma_f64 v[217:218], v[4:5], v[34:35], v[217:218]
	v_fma_f64 v[219:220], v[2:3], v[34:35], -v[36:37]
	ds_load_b128 v[2:5], v1 offset:1584
	ds_load_b128 v[34:37], v1 offset:1600
	s_waitcnt vmcnt(7) lgkmcnt(2)
	v_mul_f64 v[199:200], v[170:171], v[8:9]
	v_mul_f64 v[8:9], v[172:173], v[8:9]
	v_add_f64 v[164:165], v[168:169], v[164:165]
	v_add_f64 v[166:167], v[174:175], v[166:167]
	s_waitcnt vmcnt(6) lgkmcnt(1)
	v_mul_f64 v[168:169], v[2:3], v[12:13]
	v_mul_f64 v[12:13], v[4:5], v[12:13]
	v_fma_f64 v[172:173], v[172:173], v[6:7], v[199:200]
	v_fma_f64 v[6:7], v[170:171], v[6:7], -v[8:9]
	v_add_f64 v[8:9], v[164:165], v[219:220]
	v_add_f64 v[164:165], v[166:167], v[217:218]
	s_waitcnt vmcnt(5) lgkmcnt(0)
	v_mul_f64 v[166:167], v[34:35], v[16:17]
	v_mul_f64 v[16:17], v[36:37], v[16:17]
	v_fma_f64 v[168:169], v[4:5], v[10:11], v[168:169]
	v_fma_f64 v[10:11], v[2:3], v[10:11], -v[12:13]
	v_add_f64 v[12:13], v[8:9], v[6:7]
	v_add_f64 v[164:165], v[164:165], v[172:173]
	ds_load_b128 v[2:5], v1 offset:1616
	ds_load_b128 v[6:9], v1 offset:1632
	v_fma_f64 v[36:37], v[36:37], v[14:15], v[166:167]
	v_fma_f64 v[14:15], v[34:35], v[14:15], -v[16:17]
	s_waitcnt vmcnt(4) lgkmcnt(1)
	v_mul_f64 v[170:171], v[2:3], v[20:21]
	v_mul_f64 v[20:21], v[4:5], v[20:21]
	s_waitcnt vmcnt(3) lgkmcnt(0)
	v_mul_f64 v[16:17], v[6:7], v[24:25]
	v_mul_f64 v[24:25], v[8:9], v[24:25]
	v_add_f64 v[10:11], v[12:13], v[10:11]
	v_add_f64 v[12:13], v[164:165], v[168:169]
	v_fma_f64 v[34:35], v[4:5], v[18:19], v[170:171]
	v_fma_f64 v[18:19], v[2:3], v[18:19], -v[20:21]
	v_fma_f64 v[8:9], v[8:9], v[22:23], v[16:17]
	v_fma_f64 v[6:7], v[6:7], v[22:23], -v[24:25]
	v_add_f64 v[14:15], v[10:11], v[14:15]
	v_add_f64 v[20:21], v[12:13], v[36:37]
	ds_load_b128 v[2:5], v1 offset:1648
	ds_load_b128 v[10:13], v1 offset:1664
	s_waitcnt vmcnt(2) lgkmcnt(1)
	v_mul_f64 v[36:37], v[2:3], v[28:29]
	v_mul_f64 v[28:29], v[4:5], v[28:29]
	v_add_f64 v[14:15], v[14:15], v[18:19]
	v_add_f64 v[16:17], v[20:21], v[34:35]
	s_waitcnt vmcnt(1) lgkmcnt(0)
	v_mul_f64 v[18:19], v[10:11], v[32:33]
	v_mul_f64 v[20:21], v[12:13], v[32:33]
	v_fma_f64 v[22:23], v[4:5], v[26:27], v[36:37]
	v_fma_f64 v[24:25], v[2:3], v[26:27], -v[28:29]
	ds_load_b128 v[2:5], v1 offset:1680
	v_add_f64 v[6:7], v[14:15], v[6:7]
	v_add_f64 v[8:9], v[16:17], v[8:9]
	v_fma_f64 v[12:13], v[12:13], v[30:31], v[18:19]
	v_fma_f64 v[10:11], v[10:11], v[30:31], -v[20:21]
	s_waitcnt vmcnt(0) lgkmcnt(0)
	v_mul_f64 v[14:15], v[2:3], v[40:41]
	v_mul_f64 v[16:17], v[4:5], v[40:41]
	v_add_f64 v[6:7], v[6:7], v[24:25]
	v_add_f64 v[8:9], v[8:9], v[22:23]
	s_delay_alu instid0(VALU_DEP_4) | instskip(NEXT) | instid1(VALU_DEP_4)
	v_fma_f64 v[4:5], v[4:5], v[38:39], v[14:15]
	v_fma_f64 v[2:3], v[2:3], v[38:39], -v[16:17]
	s_delay_alu instid0(VALU_DEP_4) | instskip(NEXT) | instid1(VALU_DEP_4)
	v_add_f64 v[6:7], v[6:7], v[10:11]
	v_add_f64 v[8:9], v[8:9], v[12:13]
	s_delay_alu instid0(VALU_DEP_2) | instskip(NEXT) | instid1(VALU_DEP_2)
	v_add_f64 v[2:3], v[6:7], v[2:3]
	v_add_f64 v[4:5], v[8:9], v[4:5]
	s_delay_alu instid0(VALU_DEP_2) | instskip(NEXT) | instid1(VALU_DEP_2)
	v_add_f64 v[2:3], v[42:43], -v[2:3]
	v_add_f64 v[4:5], v[44:45], -v[4:5]
	scratch_store_b128 off, v[2:5], off offset:528
	v_cmpx_lt_u32_e32 32, v152
	s_cbranch_execz .LBB52_267
; %bb.266:
	scratch_load_b128 v[5:8], v213, off
	v_mov_b32_e32 v2, v1
	v_mov_b32_e32 v3, v1
	v_mov_b32_e32 v4, v1
	scratch_store_b128 off, v[1:4], off offset:512
	s_waitcnt vmcnt(0)
	ds_store_b128 v205, v[5:8]
.LBB52_267:
	s_or_b32 exec_lo, exec_lo, s2
	s_waitcnt lgkmcnt(0)
	s_waitcnt_vscnt null, 0x0
	s_barrier
	buffer_gl0_inv
	s_clause 0x8
	scratch_load_b128 v[2:5], off, off offset:528
	scratch_load_b128 v[6:9], off, off offset:544
	;; [unrolled: 1-line block ×9, first 2 shown]
	ds_load_b128 v[38:41], v1 offset:1376
	ds_load_b128 v[42:45], v1 offset:1392
	s_clause 0x1
	scratch_load_b128 v[164:167], off, off offset:512
	scratch_load_b128 v[168:171], off, off offset:672
	s_mov_b32 s2, exec_lo
	s_waitcnt vmcnt(10) lgkmcnt(1)
	v_mul_f64 v[172:173], v[40:41], v[4:5]
	v_mul_f64 v[4:5], v[38:39], v[4:5]
	s_waitcnt vmcnt(9) lgkmcnt(0)
	v_mul_f64 v[199:200], v[42:43], v[8:9]
	v_mul_f64 v[8:9], v[44:45], v[8:9]
	s_delay_alu instid0(VALU_DEP_4) | instskip(NEXT) | instid1(VALU_DEP_4)
	v_fma_f64 v[217:218], v[38:39], v[2:3], -v[172:173]
	v_fma_f64 v[219:220], v[40:41], v[2:3], v[4:5]
	ds_load_b128 v[2:5], v1 offset:1408
	ds_load_b128 v[172:175], v1 offset:1424
	scratch_load_b128 v[38:41], off, off offset:688
	v_fma_f64 v[44:45], v[44:45], v[6:7], v[199:200]
	v_fma_f64 v[42:43], v[42:43], v[6:7], -v[8:9]
	scratch_load_b128 v[6:9], off, off offset:704
	s_waitcnt vmcnt(10) lgkmcnt(1)
	v_mul_f64 v[221:222], v[2:3], v[12:13]
	v_mul_f64 v[12:13], v[4:5], v[12:13]
	v_add_f64 v[199:200], v[217:218], 0
	v_add_f64 v[217:218], v[219:220], 0
	s_waitcnt vmcnt(9) lgkmcnt(0)
	v_mul_f64 v[219:220], v[172:173], v[16:17]
	v_mul_f64 v[16:17], v[174:175], v[16:17]
	v_fma_f64 v[221:222], v[4:5], v[10:11], v[221:222]
	v_fma_f64 v[223:224], v[2:3], v[10:11], -v[12:13]
	ds_load_b128 v[2:5], v1 offset:1440
	scratch_load_b128 v[10:13], off, off offset:720
	v_add_f64 v[199:200], v[199:200], v[42:43]
	v_add_f64 v[217:218], v[217:218], v[44:45]
	ds_load_b128 v[42:45], v1 offset:1456
	v_fma_f64 v[174:175], v[174:175], v[14:15], v[219:220]
	v_fma_f64 v[172:173], v[172:173], v[14:15], -v[16:17]
	scratch_load_b128 v[14:17], off, off offset:736
	s_waitcnt vmcnt(10) lgkmcnt(1)
	v_mul_f64 v[225:226], v[2:3], v[20:21]
	v_mul_f64 v[20:21], v[4:5], v[20:21]
	s_waitcnt vmcnt(9) lgkmcnt(0)
	v_mul_f64 v[219:220], v[42:43], v[24:25]
	v_mul_f64 v[24:25], v[44:45], v[24:25]
	v_add_f64 v[199:200], v[199:200], v[223:224]
	v_add_f64 v[217:218], v[217:218], v[221:222]
	v_fma_f64 v[221:222], v[4:5], v[18:19], v[225:226]
	v_fma_f64 v[223:224], v[2:3], v[18:19], -v[20:21]
	ds_load_b128 v[2:5], v1 offset:1472
	scratch_load_b128 v[18:21], off, off offset:752
	v_fma_f64 v[44:45], v[44:45], v[22:23], v[219:220]
	v_fma_f64 v[42:43], v[42:43], v[22:23], -v[24:25]
	scratch_load_b128 v[22:25], off, off offset:768
	v_add_f64 v[199:200], v[199:200], v[172:173]
	v_add_f64 v[217:218], v[217:218], v[174:175]
	ds_load_b128 v[172:175], v1 offset:1488
	s_waitcnt vmcnt(10) lgkmcnt(1)
	v_mul_f64 v[225:226], v[2:3], v[28:29]
	v_mul_f64 v[28:29], v[4:5], v[28:29]
	s_waitcnt vmcnt(9) lgkmcnt(0)
	v_mul_f64 v[219:220], v[172:173], v[32:33]
	v_mul_f64 v[32:33], v[174:175], v[32:33]
	v_add_f64 v[199:200], v[199:200], v[223:224]
	v_add_f64 v[217:218], v[217:218], v[221:222]
	v_fma_f64 v[221:222], v[4:5], v[26:27], v[225:226]
	v_fma_f64 v[223:224], v[2:3], v[26:27], -v[28:29]
	ds_load_b128 v[2:5], v1 offset:1504
	scratch_load_b128 v[26:29], off, off offset:784
	v_fma_f64 v[174:175], v[174:175], v[30:31], v[219:220]
	v_fma_f64 v[172:173], v[172:173], v[30:31], -v[32:33]
	scratch_load_b128 v[30:33], off, off offset:800
	v_add_f64 v[199:200], v[199:200], v[42:43]
	v_add_f64 v[217:218], v[217:218], v[44:45]
	ds_load_b128 v[42:45], v1 offset:1520
	s_waitcnt vmcnt(10) lgkmcnt(1)
	v_mul_f64 v[225:226], v[2:3], v[36:37]
	v_mul_f64 v[36:37], v[4:5], v[36:37]
	s_waitcnt vmcnt(8) lgkmcnt(0)
	v_mul_f64 v[219:220], v[42:43], v[170:171]
	v_add_f64 v[199:200], v[199:200], v[223:224]
	v_add_f64 v[217:218], v[217:218], v[221:222]
	v_mul_f64 v[221:222], v[44:45], v[170:171]
	v_fma_f64 v[223:224], v[4:5], v[34:35], v[225:226]
	v_fma_f64 v[225:226], v[2:3], v[34:35], -v[36:37]
	ds_load_b128 v[2:5], v1 offset:1536
	scratch_load_b128 v[34:37], off, off offset:816
	v_fma_f64 v[44:45], v[44:45], v[168:169], v[219:220]
	v_add_f64 v[199:200], v[199:200], v[172:173]
	v_add_f64 v[174:175], v[217:218], v[174:175]
	ds_load_b128 v[170:173], v1 offset:1552
	v_fma_f64 v[168:169], v[42:43], v[168:169], -v[221:222]
	s_waitcnt vmcnt(8) lgkmcnt(1)
	v_mul_f64 v[217:218], v[2:3], v[40:41]
	v_mul_f64 v[227:228], v[4:5], v[40:41]
	scratch_load_b128 v[40:43], off, off offset:832
	s_waitcnt vmcnt(8) lgkmcnt(0)
	v_mul_f64 v[221:222], v[170:171], v[8:9]
	v_mul_f64 v[8:9], v[172:173], v[8:9]
	v_add_f64 v[199:200], v[199:200], v[225:226]
	v_add_f64 v[174:175], v[174:175], v[223:224]
	v_fma_f64 v[223:224], v[4:5], v[38:39], v[217:218]
	v_fma_f64 v[38:39], v[2:3], v[38:39], -v[227:228]
	ds_load_b128 v[2:5], v1 offset:1568
	ds_load_b128 v[217:220], v1 offset:1584
	v_fma_f64 v[172:173], v[172:173], v[6:7], v[221:222]
	v_fma_f64 v[6:7], v[170:171], v[6:7], -v[8:9]
	v_add_f64 v[168:169], v[199:200], v[168:169]
	v_add_f64 v[44:45], v[174:175], v[44:45]
	s_waitcnt vmcnt(7) lgkmcnt(1)
	v_mul_f64 v[174:175], v[2:3], v[12:13]
	v_mul_f64 v[12:13], v[4:5], v[12:13]
	s_delay_alu instid0(VALU_DEP_4) | instskip(NEXT) | instid1(VALU_DEP_4)
	v_add_f64 v[8:9], v[168:169], v[38:39]
	v_add_f64 v[38:39], v[44:45], v[223:224]
	s_waitcnt vmcnt(6) lgkmcnt(0)
	v_mul_f64 v[44:45], v[217:218], v[16:17]
	v_mul_f64 v[16:17], v[219:220], v[16:17]
	v_fma_f64 v[168:169], v[4:5], v[10:11], v[174:175]
	v_fma_f64 v[10:11], v[2:3], v[10:11], -v[12:13]
	v_add_f64 v[12:13], v[8:9], v[6:7]
	v_add_f64 v[38:39], v[38:39], v[172:173]
	ds_load_b128 v[2:5], v1 offset:1600
	ds_load_b128 v[6:9], v1 offset:1616
	v_fma_f64 v[44:45], v[219:220], v[14:15], v[44:45]
	v_fma_f64 v[14:15], v[217:218], v[14:15], -v[16:17]
	s_waitcnt vmcnt(5) lgkmcnt(1)
	v_mul_f64 v[170:171], v[2:3], v[20:21]
	v_mul_f64 v[20:21], v[4:5], v[20:21]
	s_waitcnt vmcnt(4) lgkmcnt(0)
	v_mul_f64 v[16:17], v[6:7], v[24:25]
	v_mul_f64 v[24:25], v[8:9], v[24:25]
	v_add_f64 v[10:11], v[12:13], v[10:11]
	v_add_f64 v[12:13], v[38:39], v[168:169]
	v_fma_f64 v[38:39], v[4:5], v[18:19], v[170:171]
	v_fma_f64 v[18:19], v[2:3], v[18:19], -v[20:21]
	v_fma_f64 v[8:9], v[8:9], v[22:23], v[16:17]
	v_fma_f64 v[6:7], v[6:7], v[22:23], -v[24:25]
	v_add_f64 v[14:15], v[10:11], v[14:15]
	v_add_f64 v[20:21], v[12:13], v[44:45]
	ds_load_b128 v[2:5], v1 offset:1632
	ds_load_b128 v[10:13], v1 offset:1648
	s_waitcnt vmcnt(3) lgkmcnt(1)
	v_mul_f64 v[44:45], v[2:3], v[28:29]
	v_mul_f64 v[28:29], v[4:5], v[28:29]
	v_add_f64 v[14:15], v[14:15], v[18:19]
	v_add_f64 v[16:17], v[20:21], v[38:39]
	s_waitcnt vmcnt(2) lgkmcnt(0)
	v_mul_f64 v[18:19], v[10:11], v[32:33]
	v_mul_f64 v[20:21], v[12:13], v[32:33]
	v_fma_f64 v[22:23], v[4:5], v[26:27], v[44:45]
	v_fma_f64 v[24:25], v[2:3], v[26:27], -v[28:29]
	v_add_f64 v[14:15], v[14:15], v[6:7]
	v_add_f64 v[16:17], v[16:17], v[8:9]
	ds_load_b128 v[2:5], v1 offset:1664
	ds_load_b128 v[6:9], v1 offset:1680
	v_fma_f64 v[12:13], v[12:13], v[30:31], v[18:19]
	v_fma_f64 v[10:11], v[10:11], v[30:31], -v[20:21]
	s_waitcnt vmcnt(1) lgkmcnt(1)
	v_mul_f64 v[26:27], v[2:3], v[36:37]
	v_mul_f64 v[28:29], v[4:5], v[36:37]
	s_waitcnt vmcnt(0) lgkmcnt(0)
	v_mul_f64 v[18:19], v[6:7], v[42:43]
	v_add_f64 v[14:15], v[14:15], v[24:25]
	v_add_f64 v[16:17], v[16:17], v[22:23]
	v_mul_f64 v[20:21], v[8:9], v[42:43]
	v_fma_f64 v[4:5], v[4:5], v[34:35], v[26:27]
	v_fma_f64 v[1:2], v[2:3], v[34:35], -v[28:29]
	v_fma_f64 v[8:9], v[8:9], v[40:41], v[18:19]
	v_add_f64 v[10:11], v[14:15], v[10:11]
	v_add_f64 v[12:13], v[16:17], v[12:13]
	v_fma_f64 v[6:7], v[6:7], v[40:41], -v[20:21]
	s_delay_alu instid0(VALU_DEP_3) | instskip(NEXT) | instid1(VALU_DEP_3)
	v_add_f64 v[1:2], v[10:11], v[1:2]
	v_add_f64 v[3:4], v[12:13], v[4:5]
	s_delay_alu instid0(VALU_DEP_2) | instskip(NEXT) | instid1(VALU_DEP_2)
	v_add_f64 v[1:2], v[1:2], v[6:7]
	v_add_f64 v[3:4], v[3:4], v[8:9]
	s_delay_alu instid0(VALU_DEP_2) | instskip(NEXT) | instid1(VALU_DEP_2)
	v_add_f64 v[1:2], v[164:165], -v[1:2]
	v_add_f64 v[3:4], v[166:167], -v[3:4]
	scratch_store_b128 off, v[1:4], off offset:512
	v_cmpx_lt_u32_e32 31, v152
	s_cbranch_execz .LBB52_269
; %bb.268:
	scratch_load_b128 v[1:4], v214, off
	v_mov_b32_e32 v5, 0
	s_delay_alu instid0(VALU_DEP_1)
	v_mov_b32_e32 v6, v5
	v_mov_b32_e32 v7, v5
	;; [unrolled: 1-line block ×3, first 2 shown]
	scratch_store_b128 off, v[5:8], off offset:496
	s_waitcnt vmcnt(0)
	ds_store_b128 v205, v[1:4]
.LBB52_269:
	s_or_b32 exec_lo, exec_lo, s2
	s_waitcnt lgkmcnt(0)
	s_waitcnt_vscnt null, 0x0
	s_barrier
	buffer_gl0_inv
	s_clause 0x7
	scratch_load_b128 v[2:5], off, off offset:512
	scratch_load_b128 v[6:9], off, off offset:528
	;; [unrolled: 1-line block ×8, first 2 shown]
	v_mov_b32_e32 v1, 0
	s_mov_b32 s2, exec_lo
	ds_load_b128 v[34:37], v1 offset:1360
	s_clause 0x1
	scratch_load_b128 v[38:41], off, off offset:640
	scratch_load_b128 v[42:45], off, off offset:496
	ds_load_b128 v[164:167], v1 offset:1376
	scratch_load_b128 v[168:171], off, off offset:656
	s_waitcnt vmcnt(10) lgkmcnt(1)
	v_mul_f64 v[172:173], v[36:37], v[4:5]
	v_mul_f64 v[4:5], v[34:35], v[4:5]
	s_delay_alu instid0(VALU_DEP_2) | instskip(NEXT) | instid1(VALU_DEP_2)
	v_fma_f64 v[217:218], v[34:35], v[2:3], -v[172:173]
	v_fma_f64 v[219:220], v[36:37], v[2:3], v[4:5]
	scratch_load_b128 v[34:37], off, off offset:672
	ds_load_b128 v[2:5], v1 offset:1392
	s_waitcnt vmcnt(10) lgkmcnt(1)
	v_mul_f64 v[199:200], v[164:165], v[8:9]
	v_mul_f64 v[8:9], v[166:167], v[8:9]
	ds_load_b128 v[172:175], v1 offset:1408
	s_waitcnt vmcnt(9) lgkmcnt(1)
	v_mul_f64 v[221:222], v[2:3], v[12:13]
	v_mul_f64 v[12:13], v[4:5], v[12:13]
	v_fma_f64 v[166:167], v[166:167], v[6:7], v[199:200]
	v_fma_f64 v[164:165], v[164:165], v[6:7], -v[8:9]
	v_add_f64 v[199:200], v[217:218], 0
	v_add_f64 v[217:218], v[219:220], 0
	scratch_load_b128 v[6:9], off, off offset:688
	v_fma_f64 v[221:222], v[4:5], v[10:11], v[221:222]
	v_fma_f64 v[223:224], v[2:3], v[10:11], -v[12:13]
	scratch_load_b128 v[10:13], off, off offset:704
	ds_load_b128 v[2:5], v1 offset:1424
	s_waitcnt vmcnt(10) lgkmcnt(1)
	v_mul_f64 v[219:220], v[172:173], v[16:17]
	v_mul_f64 v[16:17], v[174:175], v[16:17]
	v_add_f64 v[199:200], v[199:200], v[164:165]
	v_add_f64 v[217:218], v[217:218], v[166:167]
	s_waitcnt vmcnt(9) lgkmcnt(0)
	v_mul_f64 v[225:226], v[2:3], v[20:21]
	v_mul_f64 v[20:21], v[4:5], v[20:21]
	ds_load_b128 v[164:167], v1 offset:1440
	v_fma_f64 v[174:175], v[174:175], v[14:15], v[219:220]
	v_fma_f64 v[172:173], v[172:173], v[14:15], -v[16:17]
	scratch_load_b128 v[14:17], off, off offset:720
	v_add_f64 v[199:200], v[199:200], v[223:224]
	v_add_f64 v[217:218], v[217:218], v[221:222]
	v_fma_f64 v[221:222], v[4:5], v[18:19], v[225:226]
	v_fma_f64 v[223:224], v[2:3], v[18:19], -v[20:21]
	scratch_load_b128 v[18:21], off, off offset:736
	ds_load_b128 v[2:5], v1 offset:1456
	s_waitcnt vmcnt(10) lgkmcnt(1)
	v_mul_f64 v[219:220], v[164:165], v[24:25]
	v_mul_f64 v[24:25], v[166:167], v[24:25]
	s_waitcnt vmcnt(9) lgkmcnt(0)
	v_mul_f64 v[225:226], v[2:3], v[28:29]
	v_mul_f64 v[28:29], v[4:5], v[28:29]
	v_add_f64 v[199:200], v[199:200], v[172:173]
	v_add_f64 v[217:218], v[217:218], v[174:175]
	ds_load_b128 v[172:175], v1 offset:1472
	v_fma_f64 v[166:167], v[166:167], v[22:23], v[219:220]
	v_fma_f64 v[164:165], v[164:165], v[22:23], -v[24:25]
	scratch_load_b128 v[22:25], off, off offset:752
	v_add_f64 v[199:200], v[199:200], v[223:224]
	v_add_f64 v[217:218], v[217:218], v[221:222]
	v_fma_f64 v[221:222], v[4:5], v[26:27], v[225:226]
	v_fma_f64 v[223:224], v[2:3], v[26:27], -v[28:29]
	scratch_load_b128 v[26:29], off, off offset:768
	ds_load_b128 v[2:5], v1 offset:1488
	s_waitcnt vmcnt(10) lgkmcnt(1)
	v_mul_f64 v[219:220], v[172:173], v[32:33]
	v_mul_f64 v[32:33], v[174:175], v[32:33]
	s_waitcnt vmcnt(9) lgkmcnt(0)
	v_mul_f64 v[225:226], v[2:3], v[40:41]
	v_mul_f64 v[40:41], v[4:5], v[40:41]
	v_add_f64 v[199:200], v[199:200], v[164:165]
	v_add_f64 v[217:218], v[217:218], v[166:167]
	ds_load_b128 v[164:167], v1 offset:1504
	v_fma_f64 v[174:175], v[174:175], v[30:31], v[219:220]
	v_fma_f64 v[172:173], v[172:173], v[30:31], -v[32:33]
	scratch_load_b128 v[30:33], off, off offset:784
	v_add_f64 v[199:200], v[199:200], v[223:224]
	v_add_f64 v[217:218], v[217:218], v[221:222]
	v_fma_f64 v[223:224], v[4:5], v[38:39], v[225:226]
	v_fma_f64 v[225:226], v[2:3], v[38:39], -v[40:41]
	scratch_load_b128 v[38:41], off, off offset:800
	ds_load_b128 v[2:5], v1 offset:1520
	s_waitcnt vmcnt(9) lgkmcnt(1)
	v_mul_f64 v[219:220], v[164:165], v[170:171]
	v_mul_f64 v[221:222], v[166:167], v[170:171]
	v_add_f64 v[199:200], v[199:200], v[172:173]
	v_add_f64 v[174:175], v[217:218], v[174:175]
	ds_load_b128 v[170:173], v1 offset:1536
	v_fma_f64 v[219:220], v[166:167], v[168:169], v[219:220]
	v_fma_f64 v[168:169], v[164:165], v[168:169], -v[221:222]
	scratch_load_b128 v[164:167], off, off offset:816
	s_waitcnt vmcnt(9) lgkmcnt(1)
	v_mul_f64 v[217:218], v[2:3], v[36:37]
	v_mul_f64 v[36:37], v[4:5], v[36:37]
	v_add_f64 v[199:200], v[199:200], v[225:226]
	v_add_f64 v[174:175], v[174:175], v[223:224]
	s_delay_alu instid0(VALU_DEP_4) | instskip(NEXT) | instid1(VALU_DEP_4)
	v_fma_f64 v[223:224], v[4:5], v[34:35], v[217:218]
	v_fma_f64 v[225:226], v[2:3], v[34:35], -v[36:37]
	scratch_load_b128 v[34:37], off, off offset:832
	ds_load_b128 v[2:5], v1 offset:1552
	s_waitcnt vmcnt(9) lgkmcnt(1)
	v_mul_f64 v[221:222], v[170:171], v[8:9]
	v_mul_f64 v[8:9], v[172:173], v[8:9]
	v_add_f64 v[168:169], v[199:200], v[168:169]
	v_add_f64 v[174:175], v[174:175], v[219:220]
	s_waitcnt vmcnt(8) lgkmcnt(0)
	v_mul_f64 v[199:200], v[2:3], v[12:13]
	v_mul_f64 v[12:13], v[4:5], v[12:13]
	ds_load_b128 v[217:220], v1 offset:1568
	v_fma_f64 v[172:173], v[172:173], v[6:7], v[221:222]
	v_fma_f64 v[6:7], v[170:171], v[6:7], -v[8:9]
	v_add_f64 v[8:9], v[168:169], v[225:226]
	v_add_f64 v[168:169], v[174:175], v[223:224]
	s_waitcnt vmcnt(7) lgkmcnt(0)
	v_mul_f64 v[170:171], v[217:218], v[16:17]
	v_mul_f64 v[16:17], v[219:220], v[16:17]
	v_fma_f64 v[174:175], v[4:5], v[10:11], v[199:200]
	v_fma_f64 v[10:11], v[2:3], v[10:11], -v[12:13]
	v_add_f64 v[12:13], v[8:9], v[6:7]
	v_add_f64 v[168:169], v[168:169], v[172:173]
	ds_load_b128 v[2:5], v1 offset:1584
	ds_load_b128 v[6:9], v1 offset:1600
	v_fma_f64 v[170:171], v[219:220], v[14:15], v[170:171]
	v_fma_f64 v[14:15], v[217:218], v[14:15], -v[16:17]
	s_waitcnt vmcnt(6) lgkmcnt(1)
	v_mul_f64 v[172:173], v[2:3], v[20:21]
	v_mul_f64 v[20:21], v[4:5], v[20:21]
	s_waitcnt vmcnt(5) lgkmcnt(0)
	v_mul_f64 v[16:17], v[6:7], v[24:25]
	v_mul_f64 v[24:25], v[8:9], v[24:25]
	v_add_f64 v[10:11], v[12:13], v[10:11]
	v_add_f64 v[12:13], v[168:169], v[174:175]
	v_fma_f64 v[168:169], v[4:5], v[18:19], v[172:173]
	v_fma_f64 v[18:19], v[2:3], v[18:19], -v[20:21]
	v_fma_f64 v[8:9], v[8:9], v[22:23], v[16:17]
	v_fma_f64 v[6:7], v[6:7], v[22:23], -v[24:25]
	v_add_f64 v[14:15], v[10:11], v[14:15]
	v_add_f64 v[20:21], v[12:13], v[170:171]
	ds_load_b128 v[2:5], v1 offset:1616
	ds_load_b128 v[10:13], v1 offset:1632
	s_waitcnt vmcnt(4) lgkmcnt(1)
	v_mul_f64 v[170:171], v[2:3], v[28:29]
	v_mul_f64 v[28:29], v[4:5], v[28:29]
	v_add_f64 v[14:15], v[14:15], v[18:19]
	v_add_f64 v[16:17], v[20:21], v[168:169]
	s_waitcnt vmcnt(3) lgkmcnt(0)
	v_mul_f64 v[18:19], v[10:11], v[32:33]
	v_mul_f64 v[20:21], v[12:13], v[32:33]
	v_fma_f64 v[22:23], v[4:5], v[26:27], v[170:171]
	v_fma_f64 v[24:25], v[2:3], v[26:27], -v[28:29]
	v_add_f64 v[14:15], v[14:15], v[6:7]
	v_add_f64 v[16:17], v[16:17], v[8:9]
	ds_load_b128 v[2:5], v1 offset:1648
	ds_load_b128 v[6:9], v1 offset:1664
	v_fma_f64 v[12:13], v[12:13], v[30:31], v[18:19]
	v_fma_f64 v[10:11], v[10:11], v[30:31], -v[20:21]
	s_waitcnt vmcnt(2) lgkmcnt(1)
	v_mul_f64 v[26:27], v[2:3], v[40:41]
	v_mul_f64 v[28:29], v[4:5], v[40:41]
	s_waitcnt vmcnt(1) lgkmcnt(0)
	v_mul_f64 v[18:19], v[6:7], v[166:167]
	v_mul_f64 v[20:21], v[8:9], v[166:167]
	v_add_f64 v[14:15], v[14:15], v[24:25]
	v_add_f64 v[16:17], v[16:17], v[22:23]
	v_fma_f64 v[22:23], v[4:5], v[38:39], v[26:27]
	v_fma_f64 v[24:25], v[2:3], v[38:39], -v[28:29]
	ds_load_b128 v[2:5], v1 offset:1680
	v_fma_f64 v[8:9], v[8:9], v[164:165], v[18:19]
	v_fma_f64 v[6:7], v[6:7], v[164:165], -v[20:21]
	v_add_f64 v[10:11], v[14:15], v[10:11]
	v_add_f64 v[12:13], v[16:17], v[12:13]
	s_waitcnt vmcnt(0) lgkmcnt(0)
	v_mul_f64 v[14:15], v[2:3], v[36:37]
	v_mul_f64 v[16:17], v[4:5], v[36:37]
	s_delay_alu instid0(VALU_DEP_4) | instskip(NEXT) | instid1(VALU_DEP_4)
	v_add_f64 v[10:11], v[10:11], v[24:25]
	v_add_f64 v[12:13], v[12:13], v[22:23]
	s_delay_alu instid0(VALU_DEP_4) | instskip(NEXT) | instid1(VALU_DEP_4)
	v_fma_f64 v[4:5], v[4:5], v[34:35], v[14:15]
	v_fma_f64 v[2:3], v[2:3], v[34:35], -v[16:17]
	s_delay_alu instid0(VALU_DEP_4) | instskip(NEXT) | instid1(VALU_DEP_4)
	v_add_f64 v[6:7], v[10:11], v[6:7]
	v_add_f64 v[8:9], v[12:13], v[8:9]
	s_delay_alu instid0(VALU_DEP_2) | instskip(NEXT) | instid1(VALU_DEP_2)
	v_add_f64 v[2:3], v[6:7], v[2:3]
	v_add_f64 v[4:5], v[8:9], v[4:5]
	s_delay_alu instid0(VALU_DEP_2) | instskip(NEXT) | instid1(VALU_DEP_2)
	v_add_f64 v[2:3], v[42:43], -v[2:3]
	v_add_f64 v[4:5], v[44:45], -v[4:5]
	scratch_store_b128 off, v[2:5], off offset:496
	v_cmpx_lt_u32_e32 30, v152
	s_cbranch_execz .LBB52_271
; %bb.270:
	scratch_load_b128 v[5:8], v215, off
	v_mov_b32_e32 v2, v1
	v_mov_b32_e32 v3, v1
	;; [unrolled: 1-line block ×3, first 2 shown]
	scratch_store_b128 off, v[1:4], off offset:480
	s_waitcnt vmcnt(0)
	ds_store_b128 v205, v[5:8]
.LBB52_271:
	s_or_b32 exec_lo, exec_lo, s2
	s_waitcnt lgkmcnt(0)
	s_waitcnt_vscnt null, 0x0
	s_barrier
	buffer_gl0_inv
	s_clause 0x8
	scratch_load_b128 v[2:5], off, off offset:496
	scratch_load_b128 v[6:9], off, off offset:512
	;; [unrolled: 1-line block ×9, first 2 shown]
	ds_load_b128 v[38:41], v1 offset:1344
	ds_load_b128 v[42:45], v1 offset:1360
	s_clause 0x1
	scratch_load_b128 v[164:167], off, off offset:480
	scratch_load_b128 v[168:171], off, off offset:640
	s_mov_b32 s2, exec_lo
	s_waitcnt vmcnt(10) lgkmcnt(1)
	v_mul_f64 v[172:173], v[40:41], v[4:5]
	v_mul_f64 v[4:5], v[38:39], v[4:5]
	s_waitcnt vmcnt(9) lgkmcnt(0)
	v_mul_f64 v[199:200], v[42:43], v[8:9]
	v_mul_f64 v[8:9], v[44:45], v[8:9]
	s_delay_alu instid0(VALU_DEP_4) | instskip(NEXT) | instid1(VALU_DEP_4)
	v_fma_f64 v[217:218], v[38:39], v[2:3], -v[172:173]
	v_fma_f64 v[219:220], v[40:41], v[2:3], v[4:5]
	ds_load_b128 v[2:5], v1 offset:1376
	ds_load_b128 v[172:175], v1 offset:1392
	scratch_load_b128 v[38:41], off, off offset:656
	v_fma_f64 v[44:45], v[44:45], v[6:7], v[199:200]
	v_fma_f64 v[42:43], v[42:43], v[6:7], -v[8:9]
	scratch_load_b128 v[6:9], off, off offset:672
	s_waitcnt vmcnt(10) lgkmcnt(1)
	v_mul_f64 v[221:222], v[2:3], v[12:13]
	v_mul_f64 v[12:13], v[4:5], v[12:13]
	v_add_f64 v[199:200], v[217:218], 0
	v_add_f64 v[217:218], v[219:220], 0
	s_waitcnt vmcnt(9) lgkmcnt(0)
	v_mul_f64 v[219:220], v[172:173], v[16:17]
	v_mul_f64 v[16:17], v[174:175], v[16:17]
	v_fma_f64 v[221:222], v[4:5], v[10:11], v[221:222]
	v_fma_f64 v[223:224], v[2:3], v[10:11], -v[12:13]
	ds_load_b128 v[2:5], v1 offset:1408
	scratch_load_b128 v[10:13], off, off offset:688
	v_add_f64 v[199:200], v[199:200], v[42:43]
	v_add_f64 v[217:218], v[217:218], v[44:45]
	ds_load_b128 v[42:45], v1 offset:1424
	v_fma_f64 v[174:175], v[174:175], v[14:15], v[219:220]
	v_fma_f64 v[172:173], v[172:173], v[14:15], -v[16:17]
	scratch_load_b128 v[14:17], off, off offset:704
	s_waitcnt vmcnt(10) lgkmcnt(1)
	v_mul_f64 v[225:226], v[2:3], v[20:21]
	v_mul_f64 v[20:21], v[4:5], v[20:21]
	s_waitcnt vmcnt(9) lgkmcnt(0)
	v_mul_f64 v[219:220], v[42:43], v[24:25]
	v_mul_f64 v[24:25], v[44:45], v[24:25]
	v_add_f64 v[199:200], v[199:200], v[223:224]
	v_add_f64 v[217:218], v[217:218], v[221:222]
	v_fma_f64 v[221:222], v[4:5], v[18:19], v[225:226]
	v_fma_f64 v[223:224], v[2:3], v[18:19], -v[20:21]
	ds_load_b128 v[2:5], v1 offset:1440
	scratch_load_b128 v[18:21], off, off offset:720
	v_fma_f64 v[44:45], v[44:45], v[22:23], v[219:220]
	v_fma_f64 v[42:43], v[42:43], v[22:23], -v[24:25]
	scratch_load_b128 v[22:25], off, off offset:736
	v_add_f64 v[199:200], v[199:200], v[172:173]
	v_add_f64 v[217:218], v[217:218], v[174:175]
	ds_load_b128 v[172:175], v1 offset:1456
	s_waitcnt vmcnt(10) lgkmcnt(1)
	v_mul_f64 v[225:226], v[2:3], v[28:29]
	v_mul_f64 v[28:29], v[4:5], v[28:29]
	s_waitcnt vmcnt(9) lgkmcnt(0)
	v_mul_f64 v[219:220], v[172:173], v[32:33]
	v_mul_f64 v[32:33], v[174:175], v[32:33]
	v_add_f64 v[199:200], v[199:200], v[223:224]
	v_add_f64 v[217:218], v[217:218], v[221:222]
	v_fma_f64 v[221:222], v[4:5], v[26:27], v[225:226]
	v_fma_f64 v[223:224], v[2:3], v[26:27], -v[28:29]
	ds_load_b128 v[2:5], v1 offset:1472
	scratch_load_b128 v[26:29], off, off offset:752
	v_fma_f64 v[174:175], v[174:175], v[30:31], v[219:220]
	v_fma_f64 v[172:173], v[172:173], v[30:31], -v[32:33]
	scratch_load_b128 v[30:33], off, off offset:768
	v_add_f64 v[199:200], v[199:200], v[42:43]
	v_add_f64 v[217:218], v[217:218], v[44:45]
	ds_load_b128 v[42:45], v1 offset:1488
	s_waitcnt vmcnt(10) lgkmcnt(1)
	v_mul_f64 v[225:226], v[2:3], v[36:37]
	v_mul_f64 v[36:37], v[4:5], v[36:37]
	s_waitcnt vmcnt(8) lgkmcnt(0)
	v_mul_f64 v[219:220], v[42:43], v[170:171]
	v_add_f64 v[199:200], v[199:200], v[223:224]
	v_add_f64 v[217:218], v[217:218], v[221:222]
	v_mul_f64 v[221:222], v[44:45], v[170:171]
	v_fma_f64 v[223:224], v[4:5], v[34:35], v[225:226]
	v_fma_f64 v[225:226], v[2:3], v[34:35], -v[36:37]
	ds_load_b128 v[2:5], v1 offset:1504
	scratch_load_b128 v[34:37], off, off offset:784
	v_fma_f64 v[44:45], v[44:45], v[168:169], v[219:220]
	v_add_f64 v[199:200], v[199:200], v[172:173]
	v_add_f64 v[174:175], v[217:218], v[174:175]
	ds_load_b128 v[170:173], v1 offset:1520
	v_fma_f64 v[168:169], v[42:43], v[168:169], -v[221:222]
	s_waitcnt vmcnt(8) lgkmcnt(1)
	v_mul_f64 v[217:218], v[2:3], v[40:41]
	v_mul_f64 v[227:228], v[4:5], v[40:41]
	scratch_load_b128 v[40:43], off, off offset:800
	v_add_f64 v[199:200], v[199:200], v[225:226]
	v_add_f64 v[174:175], v[174:175], v[223:224]
	s_waitcnt vmcnt(8) lgkmcnt(0)
	v_mul_f64 v[225:226], v[170:171], v[8:9]
	v_mul_f64 v[8:9], v[172:173], v[8:9]
	ds_load_b128 v[221:224], v1 offset:1552
	v_fma_f64 v[229:230], v[4:5], v[38:39], v[217:218]
	v_fma_f64 v[38:39], v[2:3], v[38:39], -v[227:228]
	ds_load_b128 v[2:5], v1 offset:1536
	scratch_load_b128 v[217:220], off, off offset:816
	v_add_f64 v[168:169], v[199:200], v[168:169]
	v_add_f64 v[44:45], v[174:175], v[44:45]
	v_fma_f64 v[172:173], v[172:173], v[6:7], v[225:226]
	v_fma_f64 v[170:171], v[170:171], v[6:7], -v[8:9]
	scratch_load_b128 v[6:9], off, off offset:832
	s_waitcnt vmcnt(9) lgkmcnt(0)
	v_mul_f64 v[174:175], v[2:3], v[12:13]
	v_mul_f64 v[12:13], v[4:5], v[12:13]
	v_add_f64 v[38:39], v[168:169], v[38:39]
	v_add_f64 v[44:45], v[44:45], v[229:230]
	s_waitcnt vmcnt(8)
	v_mul_f64 v[168:169], v[221:222], v[16:17]
	v_mul_f64 v[16:17], v[223:224], v[16:17]
	v_fma_f64 v[174:175], v[4:5], v[10:11], v[174:175]
	v_fma_f64 v[199:200], v[2:3], v[10:11], -v[12:13]
	ds_load_b128 v[2:5], v1 offset:1568
	ds_load_b128 v[10:13], v1 offset:1584
	v_add_f64 v[38:39], v[38:39], v[170:171]
	v_add_f64 v[44:45], v[44:45], v[172:173]
	s_waitcnt vmcnt(7) lgkmcnt(1)
	v_mul_f64 v[170:171], v[2:3], v[20:21]
	v_mul_f64 v[20:21], v[4:5], v[20:21]
	v_fma_f64 v[168:169], v[223:224], v[14:15], v[168:169]
	v_fma_f64 v[14:15], v[221:222], v[14:15], -v[16:17]
	v_add_f64 v[16:17], v[38:39], v[199:200]
	v_add_f64 v[38:39], v[44:45], v[174:175]
	s_waitcnt vmcnt(6) lgkmcnt(0)
	v_mul_f64 v[44:45], v[10:11], v[24:25]
	v_mul_f64 v[24:25], v[12:13], v[24:25]
	v_fma_f64 v[170:171], v[4:5], v[18:19], v[170:171]
	v_fma_f64 v[18:19], v[2:3], v[18:19], -v[20:21]
	v_add_f64 v[20:21], v[16:17], v[14:15]
	v_add_f64 v[38:39], v[38:39], v[168:169]
	ds_load_b128 v[2:5], v1 offset:1600
	ds_load_b128 v[14:17], v1 offset:1616
	v_fma_f64 v[12:13], v[12:13], v[22:23], v[44:45]
	v_fma_f64 v[10:11], v[10:11], v[22:23], -v[24:25]
	s_waitcnt vmcnt(5) lgkmcnt(1)
	v_mul_f64 v[168:169], v[2:3], v[28:29]
	v_mul_f64 v[28:29], v[4:5], v[28:29]
	s_waitcnt vmcnt(4) lgkmcnt(0)
	v_mul_f64 v[22:23], v[14:15], v[32:33]
	v_mul_f64 v[24:25], v[16:17], v[32:33]
	v_add_f64 v[18:19], v[20:21], v[18:19]
	v_add_f64 v[20:21], v[38:39], v[170:171]
	v_fma_f64 v[32:33], v[4:5], v[26:27], v[168:169]
	v_fma_f64 v[26:27], v[2:3], v[26:27], -v[28:29]
	v_fma_f64 v[16:17], v[16:17], v[30:31], v[22:23]
	v_fma_f64 v[14:15], v[14:15], v[30:31], -v[24:25]
	v_add_f64 v[18:19], v[18:19], v[10:11]
	v_add_f64 v[20:21], v[20:21], v[12:13]
	ds_load_b128 v[2:5], v1 offset:1632
	ds_load_b128 v[10:13], v1 offset:1648
	s_waitcnt vmcnt(3) lgkmcnt(1)
	v_mul_f64 v[28:29], v[2:3], v[36:37]
	v_mul_f64 v[36:37], v[4:5], v[36:37]
	s_waitcnt vmcnt(2) lgkmcnt(0)
	v_mul_f64 v[22:23], v[10:11], v[42:43]
	v_add_f64 v[18:19], v[18:19], v[26:27]
	v_add_f64 v[20:21], v[20:21], v[32:33]
	v_mul_f64 v[24:25], v[12:13], v[42:43]
	v_fma_f64 v[26:27], v[4:5], v[34:35], v[28:29]
	v_fma_f64 v[28:29], v[2:3], v[34:35], -v[36:37]
	v_fma_f64 v[12:13], v[12:13], v[40:41], v[22:23]
	v_add_f64 v[18:19], v[18:19], v[14:15]
	v_add_f64 v[20:21], v[20:21], v[16:17]
	ds_load_b128 v[2:5], v1 offset:1664
	ds_load_b128 v[14:17], v1 offset:1680
	v_fma_f64 v[10:11], v[10:11], v[40:41], -v[24:25]
	s_waitcnt vmcnt(1) lgkmcnt(1)
	v_mul_f64 v[30:31], v[2:3], v[219:220]
	v_mul_f64 v[32:33], v[4:5], v[219:220]
	s_waitcnt vmcnt(0) lgkmcnt(0)
	v_mul_f64 v[22:23], v[14:15], v[8:9]
	v_mul_f64 v[8:9], v[16:17], v[8:9]
	v_add_f64 v[18:19], v[18:19], v[28:29]
	v_add_f64 v[20:21], v[20:21], v[26:27]
	v_fma_f64 v[4:5], v[4:5], v[217:218], v[30:31]
	v_fma_f64 v[1:2], v[2:3], v[217:218], -v[32:33]
	v_fma_f64 v[16:17], v[16:17], v[6:7], v[22:23]
	v_fma_f64 v[6:7], v[14:15], v[6:7], -v[8:9]
	v_add_f64 v[10:11], v[18:19], v[10:11]
	v_add_f64 v[12:13], v[20:21], v[12:13]
	s_delay_alu instid0(VALU_DEP_2) | instskip(NEXT) | instid1(VALU_DEP_2)
	v_add_f64 v[1:2], v[10:11], v[1:2]
	v_add_f64 v[3:4], v[12:13], v[4:5]
	s_delay_alu instid0(VALU_DEP_2) | instskip(NEXT) | instid1(VALU_DEP_2)
	;; [unrolled: 3-line block ×3, first 2 shown]
	v_add_f64 v[1:2], v[164:165], -v[1:2]
	v_add_f64 v[3:4], v[166:167], -v[3:4]
	scratch_store_b128 off, v[1:4], off offset:480
	v_cmpx_lt_u32_e32 29, v152
	s_cbranch_execz .LBB52_273
; %bb.272:
	scratch_load_b128 v[1:4], v216, off
	v_mov_b32_e32 v5, 0
	s_delay_alu instid0(VALU_DEP_1)
	v_mov_b32_e32 v6, v5
	v_mov_b32_e32 v7, v5
	v_mov_b32_e32 v8, v5
	scratch_store_b128 off, v[5:8], off offset:464
	s_waitcnt vmcnt(0)
	ds_store_b128 v205, v[1:4]
.LBB52_273:
	s_or_b32 exec_lo, exec_lo, s2
	s_waitcnt lgkmcnt(0)
	s_waitcnt_vscnt null, 0x0
	s_barrier
	buffer_gl0_inv
	s_clause 0x7
	scratch_load_b128 v[2:5], off, off offset:480
	scratch_load_b128 v[6:9], off, off offset:496
	;; [unrolled: 1-line block ×8, first 2 shown]
	v_mov_b32_e32 v1, 0
	s_mov_b32 s2, exec_lo
	ds_load_b128 v[34:37], v1 offset:1328
	s_clause 0x1
	scratch_load_b128 v[38:41], off, off offset:608
	scratch_load_b128 v[42:45], off, off offset:464
	ds_load_b128 v[164:167], v1 offset:1344
	scratch_load_b128 v[168:171], off, off offset:624
	s_waitcnt vmcnt(10) lgkmcnt(1)
	v_mul_f64 v[172:173], v[36:37], v[4:5]
	v_mul_f64 v[4:5], v[34:35], v[4:5]
	s_delay_alu instid0(VALU_DEP_2) | instskip(NEXT) | instid1(VALU_DEP_2)
	v_fma_f64 v[217:218], v[34:35], v[2:3], -v[172:173]
	v_fma_f64 v[219:220], v[36:37], v[2:3], v[4:5]
	scratch_load_b128 v[34:37], off, off offset:640
	ds_load_b128 v[2:5], v1 offset:1360
	s_waitcnt vmcnt(10) lgkmcnt(1)
	v_mul_f64 v[199:200], v[164:165], v[8:9]
	v_mul_f64 v[8:9], v[166:167], v[8:9]
	ds_load_b128 v[172:175], v1 offset:1376
	s_waitcnt vmcnt(9) lgkmcnt(1)
	v_mul_f64 v[221:222], v[2:3], v[12:13]
	v_mul_f64 v[12:13], v[4:5], v[12:13]
	v_fma_f64 v[166:167], v[166:167], v[6:7], v[199:200]
	v_fma_f64 v[164:165], v[164:165], v[6:7], -v[8:9]
	v_add_f64 v[199:200], v[217:218], 0
	v_add_f64 v[217:218], v[219:220], 0
	scratch_load_b128 v[6:9], off, off offset:656
	v_fma_f64 v[221:222], v[4:5], v[10:11], v[221:222]
	v_fma_f64 v[223:224], v[2:3], v[10:11], -v[12:13]
	scratch_load_b128 v[10:13], off, off offset:672
	ds_load_b128 v[2:5], v1 offset:1392
	s_waitcnt vmcnt(10) lgkmcnt(1)
	v_mul_f64 v[219:220], v[172:173], v[16:17]
	v_mul_f64 v[16:17], v[174:175], v[16:17]
	v_add_f64 v[199:200], v[199:200], v[164:165]
	v_add_f64 v[217:218], v[217:218], v[166:167]
	s_waitcnt vmcnt(9) lgkmcnt(0)
	v_mul_f64 v[225:226], v[2:3], v[20:21]
	v_mul_f64 v[20:21], v[4:5], v[20:21]
	ds_load_b128 v[164:167], v1 offset:1408
	v_fma_f64 v[174:175], v[174:175], v[14:15], v[219:220]
	v_fma_f64 v[172:173], v[172:173], v[14:15], -v[16:17]
	scratch_load_b128 v[14:17], off, off offset:688
	v_add_f64 v[199:200], v[199:200], v[223:224]
	v_add_f64 v[217:218], v[217:218], v[221:222]
	v_fma_f64 v[221:222], v[4:5], v[18:19], v[225:226]
	v_fma_f64 v[223:224], v[2:3], v[18:19], -v[20:21]
	scratch_load_b128 v[18:21], off, off offset:704
	ds_load_b128 v[2:5], v1 offset:1424
	s_waitcnt vmcnt(10) lgkmcnt(1)
	v_mul_f64 v[219:220], v[164:165], v[24:25]
	v_mul_f64 v[24:25], v[166:167], v[24:25]
	s_waitcnt vmcnt(9) lgkmcnt(0)
	v_mul_f64 v[225:226], v[2:3], v[28:29]
	v_mul_f64 v[28:29], v[4:5], v[28:29]
	v_add_f64 v[199:200], v[199:200], v[172:173]
	v_add_f64 v[217:218], v[217:218], v[174:175]
	ds_load_b128 v[172:175], v1 offset:1440
	v_fma_f64 v[166:167], v[166:167], v[22:23], v[219:220]
	v_fma_f64 v[164:165], v[164:165], v[22:23], -v[24:25]
	scratch_load_b128 v[22:25], off, off offset:720
	v_add_f64 v[199:200], v[199:200], v[223:224]
	v_add_f64 v[217:218], v[217:218], v[221:222]
	v_fma_f64 v[221:222], v[4:5], v[26:27], v[225:226]
	v_fma_f64 v[223:224], v[2:3], v[26:27], -v[28:29]
	scratch_load_b128 v[26:29], off, off offset:736
	ds_load_b128 v[2:5], v1 offset:1456
	s_waitcnt vmcnt(10) lgkmcnt(1)
	v_mul_f64 v[219:220], v[172:173], v[32:33]
	v_mul_f64 v[32:33], v[174:175], v[32:33]
	s_waitcnt vmcnt(9) lgkmcnt(0)
	v_mul_f64 v[225:226], v[2:3], v[40:41]
	v_mul_f64 v[40:41], v[4:5], v[40:41]
	v_add_f64 v[199:200], v[199:200], v[164:165]
	v_add_f64 v[217:218], v[217:218], v[166:167]
	ds_load_b128 v[164:167], v1 offset:1472
	v_fma_f64 v[174:175], v[174:175], v[30:31], v[219:220]
	v_fma_f64 v[172:173], v[172:173], v[30:31], -v[32:33]
	scratch_load_b128 v[30:33], off, off offset:752
	v_add_f64 v[199:200], v[199:200], v[223:224]
	v_add_f64 v[217:218], v[217:218], v[221:222]
	v_fma_f64 v[223:224], v[4:5], v[38:39], v[225:226]
	v_fma_f64 v[225:226], v[2:3], v[38:39], -v[40:41]
	scratch_load_b128 v[38:41], off, off offset:768
	ds_load_b128 v[2:5], v1 offset:1488
	s_waitcnt vmcnt(9) lgkmcnt(1)
	v_mul_f64 v[219:220], v[164:165], v[170:171]
	v_mul_f64 v[221:222], v[166:167], v[170:171]
	v_add_f64 v[199:200], v[199:200], v[172:173]
	v_add_f64 v[174:175], v[217:218], v[174:175]
	ds_load_b128 v[170:173], v1 offset:1504
	v_fma_f64 v[219:220], v[166:167], v[168:169], v[219:220]
	v_fma_f64 v[168:169], v[164:165], v[168:169], -v[221:222]
	scratch_load_b128 v[164:167], off, off offset:784
	s_waitcnt vmcnt(9) lgkmcnt(1)
	v_mul_f64 v[217:218], v[2:3], v[36:37]
	v_mul_f64 v[36:37], v[4:5], v[36:37]
	v_add_f64 v[199:200], v[199:200], v[225:226]
	v_add_f64 v[174:175], v[174:175], v[223:224]
	s_delay_alu instid0(VALU_DEP_4) | instskip(NEXT) | instid1(VALU_DEP_4)
	v_fma_f64 v[223:224], v[4:5], v[34:35], v[217:218]
	v_fma_f64 v[225:226], v[2:3], v[34:35], -v[36:37]
	scratch_load_b128 v[34:37], off, off offset:800
	ds_load_b128 v[2:5], v1 offset:1520
	s_waitcnt vmcnt(9) lgkmcnt(1)
	v_mul_f64 v[221:222], v[170:171], v[8:9]
	v_mul_f64 v[8:9], v[172:173], v[8:9]
	v_add_f64 v[168:169], v[199:200], v[168:169]
	v_add_f64 v[174:175], v[174:175], v[219:220]
	s_waitcnt vmcnt(8) lgkmcnt(0)
	v_mul_f64 v[199:200], v[2:3], v[12:13]
	v_mul_f64 v[12:13], v[4:5], v[12:13]
	ds_load_b128 v[217:220], v1 offset:1536
	v_fma_f64 v[172:173], v[172:173], v[6:7], v[221:222]
	v_fma_f64 v[170:171], v[170:171], v[6:7], -v[8:9]
	scratch_load_b128 v[6:9], off, off offset:816
	v_add_f64 v[168:169], v[168:169], v[225:226]
	v_add_f64 v[174:175], v[174:175], v[223:224]
	v_fma_f64 v[199:200], v[4:5], v[10:11], v[199:200]
	v_fma_f64 v[223:224], v[2:3], v[10:11], -v[12:13]
	scratch_load_b128 v[10:13], off, off offset:832
	ds_load_b128 v[2:5], v1 offset:1552
	s_waitcnt vmcnt(9) lgkmcnt(1)
	v_mul_f64 v[221:222], v[217:218], v[16:17]
	v_mul_f64 v[16:17], v[219:220], v[16:17]
	v_add_f64 v[225:226], v[168:169], v[170:171]
	v_add_f64 v[172:173], v[174:175], v[172:173]
	s_waitcnt vmcnt(8) lgkmcnt(0)
	v_mul_f64 v[174:175], v[2:3], v[20:21]
	v_mul_f64 v[20:21], v[4:5], v[20:21]
	ds_load_b128 v[168:171], v1 offset:1568
	v_fma_f64 v[219:220], v[219:220], v[14:15], v[221:222]
	v_fma_f64 v[14:15], v[217:218], v[14:15], -v[16:17]
	v_add_f64 v[16:17], v[225:226], v[223:224]
	v_add_f64 v[172:173], v[172:173], v[199:200]
	s_waitcnt vmcnt(7) lgkmcnt(0)
	v_mul_f64 v[199:200], v[168:169], v[24:25]
	v_mul_f64 v[24:25], v[170:171], v[24:25]
	v_fma_f64 v[174:175], v[4:5], v[18:19], v[174:175]
	v_fma_f64 v[18:19], v[2:3], v[18:19], -v[20:21]
	v_add_f64 v[20:21], v[16:17], v[14:15]
	v_add_f64 v[172:173], v[172:173], v[219:220]
	ds_load_b128 v[2:5], v1 offset:1584
	ds_load_b128 v[14:17], v1 offset:1600
	v_fma_f64 v[170:171], v[170:171], v[22:23], v[199:200]
	v_fma_f64 v[22:23], v[168:169], v[22:23], -v[24:25]
	s_waitcnt vmcnt(6) lgkmcnt(1)
	v_mul_f64 v[217:218], v[2:3], v[28:29]
	v_mul_f64 v[28:29], v[4:5], v[28:29]
	s_waitcnt vmcnt(5) lgkmcnt(0)
	v_mul_f64 v[24:25], v[14:15], v[32:33]
	v_mul_f64 v[32:33], v[16:17], v[32:33]
	v_add_f64 v[18:19], v[20:21], v[18:19]
	v_add_f64 v[20:21], v[172:173], v[174:175]
	v_fma_f64 v[168:169], v[4:5], v[26:27], v[217:218]
	v_fma_f64 v[26:27], v[2:3], v[26:27], -v[28:29]
	v_fma_f64 v[16:17], v[16:17], v[30:31], v[24:25]
	v_fma_f64 v[14:15], v[14:15], v[30:31], -v[32:33]
	v_add_f64 v[22:23], v[18:19], v[22:23]
	v_add_f64 v[28:29], v[20:21], v[170:171]
	ds_load_b128 v[2:5], v1 offset:1616
	ds_load_b128 v[18:21], v1 offset:1632
	s_waitcnt vmcnt(4) lgkmcnt(1)
	v_mul_f64 v[170:171], v[2:3], v[40:41]
	v_mul_f64 v[40:41], v[4:5], v[40:41]
	v_add_f64 v[22:23], v[22:23], v[26:27]
	v_add_f64 v[24:25], v[28:29], v[168:169]
	s_waitcnt vmcnt(3) lgkmcnt(0)
	v_mul_f64 v[26:27], v[18:19], v[166:167]
	v_mul_f64 v[28:29], v[20:21], v[166:167]
	v_fma_f64 v[30:31], v[4:5], v[38:39], v[170:171]
	v_fma_f64 v[32:33], v[2:3], v[38:39], -v[40:41]
	v_add_f64 v[22:23], v[22:23], v[14:15]
	v_add_f64 v[24:25], v[24:25], v[16:17]
	ds_load_b128 v[2:5], v1 offset:1648
	ds_load_b128 v[14:17], v1 offset:1664
	v_fma_f64 v[20:21], v[20:21], v[164:165], v[26:27]
	v_fma_f64 v[18:19], v[18:19], v[164:165], -v[28:29]
	s_waitcnt vmcnt(2) lgkmcnt(1)
	v_mul_f64 v[38:39], v[2:3], v[36:37]
	v_mul_f64 v[36:37], v[4:5], v[36:37]
	s_waitcnt vmcnt(1) lgkmcnt(0)
	v_mul_f64 v[26:27], v[14:15], v[8:9]
	v_mul_f64 v[8:9], v[16:17], v[8:9]
	v_add_f64 v[22:23], v[22:23], v[32:33]
	v_add_f64 v[24:25], v[24:25], v[30:31]
	v_fma_f64 v[28:29], v[4:5], v[34:35], v[38:39]
	v_fma_f64 v[30:31], v[2:3], v[34:35], -v[36:37]
	ds_load_b128 v[2:5], v1 offset:1680
	v_fma_f64 v[16:17], v[16:17], v[6:7], v[26:27]
	v_fma_f64 v[6:7], v[14:15], v[6:7], -v[8:9]
	v_add_f64 v[18:19], v[22:23], v[18:19]
	v_add_f64 v[20:21], v[24:25], v[20:21]
	s_waitcnt vmcnt(0) lgkmcnt(0)
	v_mul_f64 v[22:23], v[2:3], v[12:13]
	v_mul_f64 v[12:13], v[4:5], v[12:13]
	s_delay_alu instid0(VALU_DEP_4) | instskip(NEXT) | instid1(VALU_DEP_4)
	v_add_f64 v[8:9], v[18:19], v[30:31]
	v_add_f64 v[14:15], v[20:21], v[28:29]
	s_delay_alu instid0(VALU_DEP_4) | instskip(NEXT) | instid1(VALU_DEP_4)
	v_fma_f64 v[4:5], v[4:5], v[10:11], v[22:23]
	v_fma_f64 v[2:3], v[2:3], v[10:11], -v[12:13]
	s_delay_alu instid0(VALU_DEP_4) | instskip(NEXT) | instid1(VALU_DEP_4)
	v_add_f64 v[6:7], v[8:9], v[6:7]
	v_add_f64 v[8:9], v[14:15], v[16:17]
	s_delay_alu instid0(VALU_DEP_2) | instskip(NEXT) | instid1(VALU_DEP_2)
	v_add_f64 v[2:3], v[6:7], v[2:3]
	v_add_f64 v[4:5], v[8:9], v[4:5]
	s_delay_alu instid0(VALU_DEP_2) | instskip(NEXT) | instid1(VALU_DEP_2)
	v_add_f64 v[2:3], v[42:43], -v[2:3]
	v_add_f64 v[4:5], v[44:45], -v[4:5]
	scratch_store_b128 off, v[2:5], off offset:464
	v_cmpx_lt_u32_e32 28, v152
	s_cbranch_execz .LBB52_275
; %bb.274:
	scratch_load_b128 v[5:8], v176, off
	v_mov_b32_e32 v2, v1
	v_mov_b32_e32 v3, v1
	;; [unrolled: 1-line block ×3, first 2 shown]
	scratch_store_b128 off, v[1:4], off offset:448
	s_waitcnt vmcnt(0)
	ds_store_b128 v205, v[5:8]
.LBB52_275:
	s_or_b32 exec_lo, exec_lo, s2
	s_waitcnt lgkmcnt(0)
	s_waitcnt_vscnt null, 0x0
	s_barrier
	buffer_gl0_inv
	s_clause 0x8
	scratch_load_b128 v[2:5], off, off offset:464
	scratch_load_b128 v[6:9], off, off offset:480
	;; [unrolled: 1-line block ×9, first 2 shown]
	ds_load_b128 v[38:41], v1 offset:1312
	ds_load_b128 v[42:45], v1 offset:1328
	s_clause 0x1
	scratch_load_b128 v[164:167], off, off offset:448
	scratch_load_b128 v[168:171], off, off offset:608
	s_mov_b32 s2, exec_lo
	s_waitcnt vmcnt(10) lgkmcnt(1)
	v_mul_f64 v[172:173], v[40:41], v[4:5]
	v_mul_f64 v[4:5], v[38:39], v[4:5]
	s_waitcnt vmcnt(9) lgkmcnt(0)
	v_mul_f64 v[199:200], v[42:43], v[8:9]
	v_mul_f64 v[8:9], v[44:45], v[8:9]
	s_delay_alu instid0(VALU_DEP_4) | instskip(NEXT) | instid1(VALU_DEP_4)
	v_fma_f64 v[217:218], v[38:39], v[2:3], -v[172:173]
	v_fma_f64 v[219:220], v[40:41], v[2:3], v[4:5]
	ds_load_b128 v[2:5], v1 offset:1344
	ds_load_b128 v[172:175], v1 offset:1360
	scratch_load_b128 v[38:41], off, off offset:624
	v_fma_f64 v[44:45], v[44:45], v[6:7], v[199:200]
	v_fma_f64 v[42:43], v[42:43], v[6:7], -v[8:9]
	scratch_load_b128 v[6:9], off, off offset:640
	s_waitcnt vmcnt(10) lgkmcnt(1)
	v_mul_f64 v[221:222], v[2:3], v[12:13]
	v_mul_f64 v[12:13], v[4:5], v[12:13]
	v_add_f64 v[199:200], v[217:218], 0
	v_add_f64 v[217:218], v[219:220], 0
	s_waitcnt vmcnt(9) lgkmcnt(0)
	v_mul_f64 v[219:220], v[172:173], v[16:17]
	v_mul_f64 v[16:17], v[174:175], v[16:17]
	v_fma_f64 v[221:222], v[4:5], v[10:11], v[221:222]
	v_fma_f64 v[223:224], v[2:3], v[10:11], -v[12:13]
	ds_load_b128 v[2:5], v1 offset:1376
	scratch_load_b128 v[10:13], off, off offset:656
	v_add_f64 v[199:200], v[199:200], v[42:43]
	v_add_f64 v[217:218], v[217:218], v[44:45]
	ds_load_b128 v[42:45], v1 offset:1392
	v_fma_f64 v[174:175], v[174:175], v[14:15], v[219:220]
	v_fma_f64 v[172:173], v[172:173], v[14:15], -v[16:17]
	scratch_load_b128 v[14:17], off, off offset:672
	s_waitcnt vmcnt(10) lgkmcnt(1)
	v_mul_f64 v[225:226], v[2:3], v[20:21]
	v_mul_f64 v[20:21], v[4:5], v[20:21]
	s_waitcnt vmcnt(9) lgkmcnt(0)
	v_mul_f64 v[219:220], v[42:43], v[24:25]
	v_mul_f64 v[24:25], v[44:45], v[24:25]
	v_add_f64 v[199:200], v[199:200], v[223:224]
	v_add_f64 v[217:218], v[217:218], v[221:222]
	v_fma_f64 v[221:222], v[4:5], v[18:19], v[225:226]
	v_fma_f64 v[223:224], v[2:3], v[18:19], -v[20:21]
	ds_load_b128 v[2:5], v1 offset:1408
	scratch_load_b128 v[18:21], off, off offset:688
	v_fma_f64 v[44:45], v[44:45], v[22:23], v[219:220]
	v_fma_f64 v[42:43], v[42:43], v[22:23], -v[24:25]
	scratch_load_b128 v[22:25], off, off offset:704
	v_add_f64 v[199:200], v[199:200], v[172:173]
	v_add_f64 v[217:218], v[217:218], v[174:175]
	ds_load_b128 v[172:175], v1 offset:1424
	s_waitcnt vmcnt(10) lgkmcnt(1)
	v_mul_f64 v[225:226], v[2:3], v[28:29]
	v_mul_f64 v[28:29], v[4:5], v[28:29]
	s_waitcnt vmcnt(9) lgkmcnt(0)
	v_mul_f64 v[219:220], v[172:173], v[32:33]
	v_mul_f64 v[32:33], v[174:175], v[32:33]
	v_add_f64 v[199:200], v[199:200], v[223:224]
	v_add_f64 v[217:218], v[217:218], v[221:222]
	v_fma_f64 v[221:222], v[4:5], v[26:27], v[225:226]
	v_fma_f64 v[223:224], v[2:3], v[26:27], -v[28:29]
	ds_load_b128 v[2:5], v1 offset:1440
	scratch_load_b128 v[26:29], off, off offset:720
	v_fma_f64 v[174:175], v[174:175], v[30:31], v[219:220]
	v_fma_f64 v[172:173], v[172:173], v[30:31], -v[32:33]
	scratch_load_b128 v[30:33], off, off offset:736
	v_add_f64 v[199:200], v[199:200], v[42:43]
	v_add_f64 v[217:218], v[217:218], v[44:45]
	ds_load_b128 v[42:45], v1 offset:1456
	s_waitcnt vmcnt(10) lgkmcnt(1)
	v_mul_f64 v[225:226], v[2:3], v[36:37]
	v_mul_f64 v[36:37], v[4:5], v[36:37]
	s_waitcnt vmcnt(8) lgkmcnt(0)
	v_mul_f64 v[219:220], v[42:43], v[170:171]
	v_add_f64 v[199:200], v[199:200], v[223:224]
	v_add_f64 v[217:218], v[217:218], v[221:222]
	v_mul_f64 v[221:222], v[44:45], v[170:171]
	v_fma_f64 v[223:224], v[4:5], v[34:35], v[225:226]
	v_fma_f64 v[225:226], v[2:3], v[34:35], -v[36:37]
	ds_load_b128 v[2:5], v1 offset:1472
	scratch_load_b128 v[34:37], off, off offset:752
	v_fma_f64 v[44:45], v[44:45], v[168:169], v[219:220]
	v_add_f64 v[199:200], v[199:200], v[172:173]
	v_add_f64 v[174:175], v[217:218], v[174:175]
	ds_load_b128 v[170:173], v1 offset:1488
	v_fma_f64 v[168:169], v[42:43], v[168:169], -v[221:222]
	s_waitcnt vmcnt(8) lgkmcnt(1)
	v_mul_f64 v[217:218], v[2:3], v[40:41]
	v_mul_f64 v[227:228], v[4:5], v[40:41]
	scratch_load_b128 v[40:43], off, off offset:768
	v_add_f64 v[199:200], v[199:200], v[225:226]
	v_add_f64 v[174:175], v[174:175], v[223:224]
	s_waitcnt vmcnt(8) lgkmcnt(0)
	v_mul_f64 v[225:226], v[170:171], v[8:9]
	v_mul_f64 v[8:9], v[172:173], v[8:9]
	ds_load_b128 v[221:224], v1 offset:1520
	v_fma_f64 v[229:230], v[4:5], v[38:39], v[217:218]
	v_fma_f64 v[38:39], v[2:3], v[38:39], -v[227:228]
	ds_load_b128 v[2:5], v1 offset:1504
	scratch_load_b128 v[217:220], off, off offset:784
	v_add_f64 v[168:169], v[199:200], v[168:169]
	v_add_f64 v[44:45], v[174:175], v[44:45]
	v_fma_f64 v[172:173], v[172:173], v[6:7], v[225:226]
	v_fma_f64 v[170:171], v[170:171], v[6:7], -v[8:9]
	scratch_load_b128 v[6:9], off, off offset:800
	s_waitcnt vmcnt(9) lgkmcnt(0)
	v_mul_f64 v[174:175], v[2:3], v[12:13]
	v_mul_f64 v[12:13], v[4:5], v[12:13]
	s_waitcnt vmcnt(8)
	v_mul_f64 v[199:200], v[221:222], v[16:17]
	v_mul_f64 v[16:17], v[223:224], v[16:17]
	v_add_f64 v[38:39], v[168:169], v[38:39]
	v_add_f64 v[44:45], v[44:45], v[229:230]
	v_fma_f64 v[174:175], v[4:5], v[10:11], v[174:175]
	v_fma_f64 v[225:226], v[2:3], v[10:11], -v[12:13]
	ds_load_b128 v[2:5], v1 offset:1536
	scratch_load_b128 v[10:13], off, off offset:816
	v_fma_f64 v[199:200], v[223:224], v[14:15], v[199:200]
	v_fma_f64 v[221:222], v[221:222], v[14:15], -v[16:17]
	scratch_load_b128 v[14:17], off, off offset:832
	v_add_f64 v[38:39], v[38:39], v[170:171]
	v_add_f64 v[44:45], v[44:45], v[172:173]
	ds_load_b128 v[168:171], v1 offset:1552
	s_waitcnt vmcnt(9) lgkmcnt(1)
	v_mul_f64 v[172:173], v[2:3], v[20:21]
	v_mul_f64 v[20:21], v[4:5], v[20:21]
	v_add_f64 v[38:39], v[38:39], v[225:226]
	v_add_f64 v[44:45], v[44:45], v[174:175]
	s_waitcnt vmcnt(8) lgkmcnt(0)
	v_mul_f64 v[174:175], v[168:169], v[24:25]
	v_mul_f64 v[24:25], v[170:171], v[24:25]
	v_fma_f64 v[172:173], v[4:5], v[18:19], v[172:173]
	v_fma_f64 v[223:224], v[2:3], v[18:19], -v[20:21]
	ds_load_b128 v[2:5], v1 offset:1568
	ds_load_b128 v[18:21], v1 offset:1584
	v_add_f64 v[38:39], v[38:39], v[221:222]
	v_add_f64 v[44:45], v[44:45], v[199:200]
	s_waitcnt vmcnt(7) lgkmcnt(1)
	v_mul_f64 v[199:200], v[2:3], v[28:29]
	v_mul_f64 v[28:29], v[4:5], v[28:29]
	v_fma_f64 v[170:171], v[170:171], v[22:23], v[174:175]
	v_fma_f64 v[22:23], v[168:169], v[22:23], -v[24:25]
	v_add_f64 v[24:25], v[38:39], v[223:224]
	v_add_f64 v[38:39], v[44:45], v[172:173]
	s_waitcnt vmcnt(6) lgkmcnt(0)
	v_mul_f64 v[44:45], v[18:19], v[32:33]
	v_mul_f64 v[32:33], v[20:21], v[32:33]
	v_fma_f64 v[168:169], v[4:5], v[26:27], v[199:200]
	v_fma_f64 v[26:27], v[2:3], v[26:27], -v[28:29]
	v_add_f64 v[28:29], v[24:25], v[22:23]
	v_add_f64 v[38:39], v[38:39], v[170:171]
	ds_load_b128 v[2:5], v1 offset:1600
	ds_load_b128 v[22:25], v1 offset:1616
	v_fma_f64 v[20:21], v[20:21], v[30:31], v[44:45]
	v_fma_f64 v[18:19], v[18:19], v[30:31], -v[32:33]
	s_waitcnt vmcnt(5) lgkmcnt(1)
	v_mul_f64 v[170:171], v[2:3], v[36:37]
	v_mul_f64 v[36:37], v[4:5], v[36:37]
	s_waitcnt vmcnt(4) lgkmcnt(0)
	v_mul_f64 v[30:31], v[22:23], v[42:43]
	v_add_f64 v[26:27], v[28:29], v[26:27]
	v_add_f64 v[28:29], v[38:39], v[168:169]
	v_mul_f64 v[32:33], v[24:25], v[42:43]
	v_fma_f64 v[38:39], v[4:5], v[34:35], v[170:171]
	v_fma_f64 v[34:35], v[2:3], v[34:35], -v[36:37]
	v_fma_f64 v[24:25], v[24:25], v[40:41], v[30:31]
	v_add_f64 v[26:27], v[26:27], v[18:19]
	v_add_f64 v[28:29], v[28:29], v[20:21]
	ds_load_b128 v[2:5], v1 offset:1632
	ds_load_b128 v[18:21], v1 offset:1648
	v_fma_f64 v[22:23], v[22:23], v[40:41], -v[32:33]
	s_waitcnt vmcnt(3) lgkmcnt(1)
	v_mul_f64 v[36:37], v[2:3], v[219:220]
	v_mul_f64 v[42:43], v[4:5], v[219:220]
	s_waitcnt vmcnt(2) lgkmcnt(0)
	v_mul_f64 v[30:31], v[18:19], v[8:9]
	v_mul_f64 v[8:9], v[20:21], v[8:9]
	v_add_f64 v[26:27], v[26:27], v[34:35]
	v_add_f64 v[28:29], v[28:29], v[38:39]
	v_fma_f64 v[32:33], v[4:5], v[217:218], v[36:37]
	v_fma_f64 v[34:35], v[2:3], v[217:218], -v[42:43]
	v_fma_f64 v[20:21], v[20:21], v[6:7], v[30:31]
	v_fma_f64 v[6:7], v[18:19], v[6:7], -v[8:9]
	v_add_f64 v[26:27], v[26:27], v[22:23]
	v_add_f64 v[28:29], v[28:29], v[24:25]
	ds_load_b128 v[2:5], v1 offset:1664
	ds_load_b128 v[22:25], v1 offset:1680
	s_waitcnt vmcnt(1) lgkmcnt(1)
	v_mul_f64 v[36:37], v[2:3], v[12:13]
	v_mul_f64 v[12:13], v[4:5], v[12:13]
	v_add_f64 v[8:9], v[26:27], v[34:35]
	v_add_f64 v[18:19], v[28:29], v[32:33]
	s_waitcnt vmcnt(0) lgkmcnt(0)
	v_mul_f64 v[26:27], v[22:23], v[16:17]
	v_mul_f64 v[16:17], v[24:25], v[16:17]
	v_fma_f64 v[4:5], v[4:5], v[10:11], v[36:37]
	v_fma_f64 v[1:2], v[2:3], v[10:11], -v[12:13]
	v_add_f64 v[6:7], v[8:9], v[6:7]
	v_add_f64 v[8:9], v[18:19], v[20:21]
	v_fma_f64 v[10:11], v[24:25], v[14:15], v[26:27]
	v_fma_f64 v[12:13], v[22:23], v[14:15], -v[16:17]
	s_delay_alu instid0(VALU_DEP_4) | instskip(NEXT) | instid1(VALU_DEP_4)
	v_add_f64 v[1:2], v[6:7], v[1:2]
	v_add_f64 v[3:4], v[8:9], v[4:5]
	s_delay_alu instid0(VALU_DEP_2) | instskip(NEXT) | instid1(VALU_DEP_2)
	v_add_f64 v[1:2], v[1:2], v[12:13]
	v_add_f64 v[3:4], v[3:4], v[10:11]
	s_delay_alu instid0(VALU_DEP_2) | instskip(NEXT) | instid1(VALU_DEP_2)
	v_add_f64 v[1:2], v[164:165], -v[1:2]
	v_add_f64 v[3:4], v[166:167], -v[3:4]
	scratch_store_b128 off, v[1:4], off offset:448
	v_cmpx_lt_u32_e32 27, v152
	s_cbranch_execz .LBB52_277
; %bb.276:
	scratch_load_b128 v[1:4], v178, off
	v_mov_b32_e32 v5, 0
	s_delay_alu instid0(VALU_DEP_1)
	v_mov_b32_e32 v6, v5
	v_mov_b32_e32 v7, v5
	;; [unrolled: 1-line block ×3, first 2 shown]
	scratch_store_b128 off, v[5:8], off offset:432
	s_waitcnt vmcnt(0)
	ds_store_b128 v205, v[1:4]
.LBB52_277:
	s_or_b32 exec_lo, exec_lo, s2
	s_waitcnt lgkmcnt(0)
	s_waitcnt_vscnt null, 0x0
	s_barrier
	buffer_gl0_inv
	s_clause 0x7
	scratch_load_b128 v[2:5], off, off offset:448
	scratch_load_b128 v[6:9], off, off offset:464
	;; [unrolled: 1-line block ×8, first 2 shown]
	v_mov_b32_e32 v1, 0
	s_mov_b32 s2, exec_lo
	ds_load_b128 v[34:37], v1 offset:1296
	s_clause 0x1
	scratch_load_b128 v[38:41], off, off offset:576
	scratch_load_b128 v[42:45], off, off offset:432
	ds_load_b128 v[164:167], v1 offset:1312
	scratch_load_b128 v[168:171], off, off offset:592
	s_waitcnt vmcnt(10) lgkmcnt(1)
	v_mul_f64 v[172:173], v[36:37], v[4:5]
	v_mul_f64 v[4:5], v[34:35], v[4:5]
	s_delay_alu instid0(VALU_DEP_2) | instskip(NEXT) | instid1(VALU_DEP_2)
	v_fma_f64 v[217:218], v[34:35], v[2:3], -v[172:173]
	v_fma_f64 v[219:220], v[36:37], v[2:3], v[4:5]
	scratch_load_b128 v[34:37], off, off offset:608
	ds_load_b128 v[2:5], v1 offset:1328
	s_waitcnt vmcnt(10) lgkmcnt(1)
	v_mul_f64 v[199:200], v[164:165], v[8:9]
	v_mul_f64 v[8:9], v[166:167], v[8:9]
	ds_load_b128 v[172:175], v1 offset:1344
	s_waitcnt vmcnt(9) lgkmcnt(1)
	v_mul_f64 v[221:222], v[2:3], v[12:13]
	v_mul_f64 v[12:13], v[4:5], v[12:13]
	v_fma_f64 v[166:167], v[166:167], v[6:7], v[199:200]
	v_fma_f64 v[164:165], v[164:165], v[6:7], -v[8:9]
	v_add_f64 v[199:200], v[217:218], 0
	v_add_f64 v[217:218], v[219:220], 0
	scratch_load_b128 v[6:9], off, off offset:624
	v_fma_f64 v[221:222], v[4:5], v[10:11], v[221:222]
	v_fma_f64 v[223:224], v[2:3], v[10:11], -v[12:13]
	scratch_load_b128 v[10:13], off, off offset:640
	ds_load_b128 v[2:5], v1 offset:1360
	s_waitcnt vmcnt(10) lgkmcnt(1)
	v_mul_f64 v[219:220], v[172:173], v[16:17]
	v_mul_f64 v[16:17], v[174:175], v[16:17]
	v_add_f64 v[199:200], v[199:200], v[164:165]
	v_add_f64 v[217:218], v[217:218], v[166:167]
	s_waitcnt vmcnt(9) lgkmcnt(0)
	v_mul_f64 v[225:226], v[2:3], v[20:21]
	v_mul_f64 v[20:21], v[4:5], v[20:21]
	ds_load_b128 v[164:167], v1 offset:1376
	v_fma_f64 v[174:175], v[174:175], v[14:15], v[219:220]
	v_fma_f64 v[172:173], v[172:173], v[14:15], -v[16:17]
	scratch_load_b128 v[14:17], off, off offset:656
	v_add_f64 v[199:200], v[199:200], v[223:224]
	v_add_f64 v[217:218], v[217:218], v[221:222]
	v_fma_f64 v[221:222], v[4:5], v[18:19], v[225:226]
	v_fma_f64 v[223:224], v[2:3], v[18:19], -v[20:21]
	scratch_load_b128 v[18:21], off, off offset:672
	ds_load_b128 v[2:5], v1 offset:1392
	s_waitcnt vmcnt(10) lgkmcnt(1)
	v_mul_f64 v[219:220], v[164:165], v[24:25]
	v_mul_f64 v[24:25], v[166:167], v[24:25]
	s_waitcnt vmcnt(9) lgkmcnt(0)
	v_mul_f64 v[225:226], v[2:3], v[28:29]
	v_mul_f64 v[28:29], v[4:5], v[28:29]
	v_add_f64 v[199:200], v[199:200], v[172:173]
	v_add_f64 v[217:218], v[217:218], v[174:175]
	ds_load_b128 v[172:175], v1 offset:1408
	v_fma_f64 v[166:167], v[166:167], v[22:23], v[219:220]
	v_fma_f64 v[164:165], v[164:165], v[22:23], -v[24:25]
	scratch_load_b128 v[22:25], off, off offset:688
	v_add_f64 v[199:200], v[199:200], v[223:224]
	v_add_f64 v[217:218], v[217:218], v[221:222]
	v_fma_f64 v[221:222], v[4:5], v[26:27], v[225:226]
	v_fma_f64 v[223:224], v[2:3], v[26:27], -v[28:29]
	scratch_load_b128 v[26:29], off, off offset:704
	ds_load_b128 v[2:5], v1 offset:1424
	s_waitcnt vmcnt(10) lgkmcnt(1)
	v_mul_f64 v[219:220], v[172:173], v[32:33]
	v_mul_f64 v[32:33], v[174:175], v[32:33]
	s_waitcnt vmcnt(9) lgkmcnt(0)
	v_mul_f64 v[225:226], v[2:3], v[40:41]
	v_mul_f64 v[40:41], v[4:5], v[40:41]
	v_add_f64 v[199:200], v[199:200], v[164:165]
	v_add_f64 v[217:218], v[217:218], v[166:167]
	ds_load_b128 v[164:167], v1 offset:1440
	v_fma_f64 v[174:175], v[174:175], v[30:31], v[219:220]
	v_fma_f64 v[172:173], v[172:173], v[30:31], -v[32:33]
	scratch_load_b128 v[30:33], off, off offset:720
	v_add_f64 v[199:200], v[199:200], v[223:224]
	v_add_f64 v[217:218], v[217:218], v[221:222]
	v_fma_f64 v[223:224], v[4:5], v[38:39], v[225:226]
	v_fma_f64 v[225:226], v[2:3], v[38:39], -v[40:41]
	scratch_load_b128 v[38:41], off, off offset:736
	ds_load_b128 v[2:5], v1 offset:1456
	s_waitcnt vmcnt(9) lgkmcnt(1)
	v_mul_f64 v[219:220], v[164:165], v[170:171]
	v_mul_f64 v[221:222], v[166:167], v[170:171]
	v_add_f64 v[199:200], v[199:200], v[172:173]
	v_add_f64 v[174:175], v[217:218], v[174:175]
	ds_load_b128 v[170:173], v1 offset:1472
	v_fma_f64 v[219:220], v[166:167], v[168:169], v[219:220]
	v_fma_f64 v[168:169], v[164:165], v[168:169], -v[221:222]
	scratch_load_b128 v[164:167], off, off offset:752
	s_waitcnt vmcnt(9) lgkmcnt(1)
	v_mul_f64 v[217:218], v[2:3], v[36:37]
	v_mul_f64 v[36:37], v[4:5], v[36:37]
	v_add_f64 v[199:200], v[199:200], v[225:226]
	v_add_f64 v[174:175], v[174:175], v[223:224]
	s_delay_alu instid0(VALU_DEP_4) | instskip(NEXT) | instid1(VALU_DEP_4)
	v_fma_f64 v[223:224], v[4:5], v[34:35], v[217:218]
	v_fma_f64 v[225:226], v[2:3], v[34:35], -v[36:37]
	scratch_load_b128 v[34:37], off, off offset:768
	ds_load_b128 v[2:5], v1 offset:1488
	s_waitcnt vmcnt(9) lgkmcnt(1)
	v_mul_f64 v[221:222], v[170:171], v[8:9]
	v_mul_f64 v[8:9], v[172:173], v[8:9]
	v_add_f64 v[168:169], v[199:200], v[168:169]
	v_add_f64 v[174:175], v[174:175], v[219:220]
	s_waitcnt vmcnt(8) lgkmcnt(0)
	v_mul_f64 v[199:200], v[2:3], v[12:13]
	v_mul_f64 v[12:13], v[4:5], v[12:13]
	ds_load_b128 v[217:220], v1 offset:1504
	v_fma_f64 v[172:173], v[172:173], v[6:7], v[221:222]
	v_fma_f64 v[170:171], v[170:171], v[6:7], -v[8:9]
	scratch_load_b128 v[6:9], off, off offset:784
	v_add_f64 v[168:169], v[168:169], v[225:226]
	v_add_f64 v[174:175], v[174:175], v[223:224]
	v_fma_f64 v[199:200], v[4:5], v[10:11], v[199:200]
	v_fma_f64 v[223:224], v[2:3], v[10:11], -v[12:13]
	scratch_load_b128 v[10:13], off, off offset:800
	ds_load_b128 v[2:5], v1 offset:1520
	s_waitcnt vmcnt(9) lgkmcnt(1)
	v_mul_f64 v[221:222], v[217:218], v[16:17]
	v_mul_f64 v[16:17], v[219:220], v[16:17]
	v_add_f64 v[225:226], v[168:169], v[170:171]
	v_add_f64 v[172:173], v[174:175], v[172:173]
	s_waitcnt vmcnt(8) lgkmcnt(0)
	v_mul_f64 v[174:175], v[2:3], v[20:21]
	v_mul_f64 v[20:21], v[4:5], v[20:21]
	ds_load_b128 v[168:171], v1 offset:1536
	v_fma_f64 v[219:220], v[219:220], v[14:15], v[221:222]
	v_fma_f64 v[217:218], v[217:218], v[14:15], -v[16:17]
	scratch_load_b128 v[14:17], off, off offset:816
	v_add_f64 v[221:222], v[225:226], v[223:224]
	v_add_f64 v[172:173], v[172:173], v[199:200]
	v_fma_f64 v[223:224], v[4:5], v[18:19], v[174:175]
	v_fma_f64 v[225:226], v[2:3], v[18:19], -v[20:21]
	scratch_load_b128 v[18:21], off, off offset:832
	ds_load_b128 v[2:5], v1 offset:1552
	s_waitcnt vmcnt(9) lgkmcnt(1)
	v_mul_f64 v[199:200], v[168:169], v[24:25]
	v_mul_f64 v[24:25], v[170:171], v[24:25]
	v_add_f64 v[217:218], v[221:222], v[217:218]
	v_add_f64 v[219:220], v[172:173], v[219:220]
	s_waitcnt vmcnt(8) lgkmcnt(0)
	v_mul_f64 v[221:222], v[2:3], v[28:29]
	v_mul_f64 v[28:29], v[4:5], v[28:29]
	ds_load_b128 v[172:175], v1 offset:1568
	v_fma_f64 v[170:171], v[170:171], v[22:23], v[199:200]
	v_fma_f64 v[22:23], v[168:169], v[22:23], -v[24:25]
	s_waitcnt vmcnt(7) lgkmcnt(0)
	v_mul_f64 v[199:200], v[172:173], v[32:33]
	v_mul_f64 v[32:33], v[174:175], v[32:33]
	v_add_f64 v[24:25], v[217:218], v[225:226]
	v_add_f64 v[168:169], v[219:220], v[223:224]
	v_fma_f64 v[217:218], v[4:5], v[26:27], v[221:222]
	v_fma_f64 v[26:27], v[2:3], v[26:27], -v[28:29]
	v_fma_f64 v[174:175], v[174:175], v[30:31], v[199:200]
	v_fma_f64 v[30:31], v[172:173], v[30:31], -v[32:33]
	v_add_f64 v[28:29], v[24:25], v[22:23]
	v_add_f64 v[168:169], v[168:169], v[170:171]
	ds_load_b128 v[2:5], v1 offset:1584
	ds_load_b128 v[22:25], v1 offset:1600
	s_waitcnt vmcnt(6) lgkmcnt(1)
	v_mul_f64 v[170:171], v[2:3], v[40:41]
	v_mul_f64 v[40:41], v[4:5], v[40:41]
	s_waitcnt vmcnt(5) lgkmcnt(0)
	v_mul_f64 v[32:33], v[22:23], v[166:167]
	v_mul_f64 v[166:167], v[24:25], v[166:167]
	v_add_f64 v[26:27], v[28:29], v[26:27]
	v_add_f64 v[28:29], v[168:169], v[217:218]
	v_fma_f64 v[168:169], v[4:5], v[38:39], v[170:171]
	v_fma_f64 v[38:39], v[2:3], v[38:39], -v[40:41]
	v_fma_f64 v[24:25], v[24:25], v[164:165], v[32:33]
	v_fma_f64 v[22:23], v[22:23], v[164:165], -v[166:167]
	v_add_f64 v[30:31], v[26:27], v[30:31]
	v_add_f64 v[40:41], v[28:29], v[174:175]
	ds_load_b128 v[2:5], v1 offset:1616
	ds_load_b128 v[26:29], v1 offset:1632
	s_waitcnt vmcnt(4) lgkmcnt(1)
	v_mul_f64 v[170:171], v[2:3], v[36:37]
	v_mul_f64 v[36:37], v[4:5], v[36:37]
	v_add_f64 v[30:31], v[30:31], v[38:39]
	v_add_f64 v[32:33], v[40:41], v[168:169]
	s_waitcnt vmcnt(3) lgkmcnt(0)
	v_mul_f64 v[38:39], v[26:27], v[8:9]
	v_mul_f64 v[8:9], v[28:29], v[8:9]
	v_fma_f64 v[40:41], v[4:5], v[34:35], v[170:171]
	v_fma_f64 v[34:35], v[2:3], v[34:35], -v[36:37]
	v_add_f64 v[30:31], v[30:31], v[22:23]
	v_add_f64 v[32:33], v[32:33], v[24:25]
	ds_load_b128 v[2:5], v1 offset:1648
	ds_load_b128 v[22:25], v1 offset:1664
	v_fma_f64 v[28:29], v[28:29], v[6:7], v[38:39]
	v_fma_f64 v[6:7], v[26:27], v[6:7], -v[8:9]
	s_waitcnt vmcnt(2) lgkmcnt(1)
	v_mul_f64 v[36:37], v[2:3], v[12:13]
	v_mul_f64 v[12:13], v[4:5], v[12:13]
	v_add_f64 v[8:9], v[30:31], v[34:35]
	v_add_f64 v[26:27], v[32:33], v[40:41]
	s_waitcnt vmcnt(1) lgkmcnt(0)
	v_mul_f64 v[30:31], v[22:23], v[16:17]
	v_mul_f64 v[16:17], v[24:25], v[16:17]
	v_fma_f64 v[32:33], v[4:5], v[10:11], v[36:37]
	v_fma_f64 v[10:11], v[2:3], v[10:11], -v[12:13]
	ds_load_b128 v[2:5], v1 offset:1680
	v_add_f64 v[6:7], v[8:9], v[6:7]
	v_add_f64 v[8:9], v[26:27], v[28:29]
	v_fma_f64 v[24:25], v[24:25], v[14:15], v[30:31]
	v_fma_f64 v[14:15], v[22:23], v[14:15], -v[16:17]
	s_waitcnt vmcnt(0) lgkmcnt(0)
	v_mul_f64 v[12:13], v[2:3], v[20:21]
	v_mul_f64 v[20:21], v[4:5], v[20:21]
	v_add_f64 v[6:7], v[6:7], v[10:11]
	v_add_f64 v[8:9], v[8:9], v[32:33]
	s_delay_alu instid0(VALU_DEP_4) | instskip(NEXT) | instid1(VALU_DEP_4)
	v_fma_f64 v[4:5], v[4:5], v[18:19], v[12:13]
	v_fma_f64 v[2:3], v[2:3], v[18:19], -v[20:21]
	s_delay_alu instid0(VALU_DEP_4) | instskip(NEXT) | instid1(VALU_DEP_4)
	v_add_f64 v[6:7], v[6:7], v[14:15]
	v_add_f64 v[8:9], v[8:9], v[24:25]
	s_delay_alu instid0(VALU_DEP_2) | instskip(NEXT) | instid1(VALU_DEP_2)
	v_add_f64 v[2:3], v[6:7], v[2:3]
	v_add_f64 v[4:5], v[8:9], v[4:5]
	s_delay_alu instid0(VALU_DEP_2) | instskip(NEXT) | instid1(VALU_DEP_2)
	v_add_f64 v[2:3], v[42:43], -v[2:3]
	v_add_f64 v[4:5], v[44:45], -v[4:5]
	scratch_store_b128 off, v[2:5], off offset:432
	v_cmpx_lt_u32_e32 26, v152
	s_cbranch_execz .LBB52_279
; %bb.278:
	scratch_load_b128 v[5:8], v179, off
	v_mov_b32_e32 v2, v1
	v_mov_b32_e32 v3, v1
	;; [unrolled: 1-line block ×3, first 2 shown]
	scratch_store_b128 off, v[1:4], off offset:416
	s_waitcnt vmcnt(0)
	ds_store_b128 v205, v[5:8]
.LBB52_279:
	s_or_b32 exec_lo, exec_lo, s2
	s_waitcnt lgkmcnt(0)
	s_waitcnt_vscnt null, 0x0
	s_barrier
	buffer_gl0_inv
	s_clause 0x8
	scratch_load_b128 v[2:5], off, off offset:432
	scratch_load_b128 v[6:9], off, off offset:448
	;; [unrolled: 1-line block ×9, first 2 shown]
	ds_load_b128 v[38:41], v1 offset:1280
	ds_load_b128 v[42:45], v1 offset:1296
	s_clause 0x1
	scratch_load_b128 v[164:167], off, off offset:416
	scratch_load_b128 v[168:171], off, off offset:576
	s_mov_b32 s2, exec_lo
	s_waitcnt vmcnt(10) lgkmcnt(1)
	v_mul_f64 v[172:173], v[40:41], v[4:5]
	v_mul_f64 v[4:5], v[38:39], v[4:5]
	s_waitcnt vmcnt(9) lgkmcnt(0)
	v_mul_f64 v[199:200], v[42:43], v[8:9]
	v_mul_f64 v[8:9], v[44:45], v[8:9]
	s_delay_alu instid0(VALU_DEP_4) | instskip(NEXT) | instid1(VALU_DEP_4)
	v_fma_f64 v[217:218], v[38:39], v[2:3], -v[172:173]
	v_fma_f64 v[219:220], v[40:41], v[2:3], v[4:5]
	ds_load_b128 v[2:5], v1 offset:1312
	ds_load_b128 v[172:175], v1 offset:1328
	scratch_load_b128 v[38:41], off, off offset:592
	v_fma_f64 v[44:45], v[44:45], v[6:7], v[199:200]
	v_fma_f64 v[42:43], v[42:43], v[6:7], -v[8:9]
	scratch_load_b128 v[6:9], off, off offset:608
	s_waitcnt vmcnt(10) lgkmcnt(1)
	v_mul_f64 v[221:222], v[2:3], v[12:13]
	v_mul_f64 v[12:13], v[4:5], v[12:13]
	v_add_f64 v[199:200], v[217:218], 0
	v_add_f64 v[217:218], v[219:220], 0
	s_waitcnt vmcnt(9) lgkmcnt(0)
	v_mul_f64 v[219:220], v[172:173], v[16:17]
	v_mul_f64 v[16:17], v[174:175], v[16:17]
	v_fma_f64 v[221:222], v[4:5], v[10:11], v[221:222]
	v_fma_f64 v[223:224], v[2:3], v[10:11], -v[12:13]
	ds_load_b128 v[2:5], v1 offset:1344
	scratch_load_b128 v[10:13], off, off offset:624
	v_add_f64 v[199:200], v[199:200], v[42:43]
	v_add_f64 v[217:218], v[217:218], v[44:45]
	ds_load_b128 v[42:45], v1 offset:1360
	v_fma_f64 v[174:175], v[174:175], v[14:15], v[219:220]
	v_fma_f64 v[172:173], v[172:173], v[14:15], -v[16:17]
	scratch_load_b128 v[14:17], off, off offset:640
	s_waitcnt vmcnt(10) lgkmcnt(1)
	v_mul_f64 v[225:226], v[2:3], v[20:21]
	v_mul_f64 v[20:21], v[4:5], v[20:21]
	s_waitcnt vmcnt(9) lgkmcnt(0)
	v_mul_f64 v[219:220], v[42:43], v[24:25]
	v_mul_f64 v[24:25], v[44:45], v[24:25]
	v_add_f64 v[199:200], v[199:200], v[223:224]
	v_add_f64 v[217:218], v[217:218], v[221:222]
	v_fma_f64 v[221:222], v[4:5], v[18:19], v[225:226]
	v_fma_f64 v[223:224], v[2:3], v[18:19], -v[20:21]
	ds_load_b128 v[2:5], v1 offset:1376
	scratch_load_b128 v[18:21], off, off offset:656
	v_fma_f64 v[44:45], v[44:45], v[22:23], v[219:220]
	v_fma_f64 v[42:43], v[42:43], v[22:23], -v[24:25]
	scratch_load_b128 v[22:25], off, off offset:672
	v_add_f64 v[199:200], v[199:200], v[172:173]
	v_add_f64 v[217:218], v[217:218], v[174:175]
	ds_load_b128 v[172:175], v1 offset:1392
	s_waitcnt vmcnt(10) lgkmcnt(1)
	v_mul_f64 v[225:226], v[2:3], v[28:29]
	v_mul_f64 v[28:29], v[4:5], v[28:29]
	s_waitcnt vmcnt(9) lgkmcnt(0)
	v_mul_f64 v[219:220], v[172:173], v[32:33]
	v_mul_f64 v[32:33], v[174:175], v[32:33]
	v_add_f64 v[199:200], v[199:200], v[223:224]
	v_add_f64 v[217:218], v[217:218], v[221:222]
	v_fma_f64 v[221:222], v[4:5], v[26:27], v[225:226]
	v_fma_f64 v[223:224], v[2:3], v[26:27], -v[28:29]
	ds_load_b128 v[2:5], v1 offset:1408
	scratch_load_b128 v[26:29], off, off offset:688
	v_fma_f64 v[174:175], v[174:175], v[30:31], v[219:220]
	v_fma_f64 v[172:173], v[172:173], v[30:31], -v[32:33]
	scratch_load_b128 v[30:33], off, off offset:704
	v_add_f64 v[199:200], v[199:200], v[42:43]
	v_add_f64 v[217:218], v[217:218], v[44:45]
	ds_load_b128 v[42:45], v1 offset:1424
	s_waitcnt vmcnt(10) lgkmcnt(1)
	v_mul_f64 v[225:226], v[2:3], v[36:37]
	v_mul_f64 v[36:37], v[4:5], v[36:37]
	s_waitcnt vmcnt(8) lgkmcnt(0)
	v_mul_f64 v[219:220], v[42:43], v[170:171]
	v_add_f64 v[199:200], v[199:200], v[223:224]
	v_add_f64 v[217:218], v[217:218], v[221:222]
	v_mul_f64 v[221:222], v[44:45], v[170:171]
	v_fma_f64 v[223:224], v[4:5], v[34:35], v[225:226]
	v_fma_f64 v[225:226], v[2:3], v[34:35], -v[36:37]
	ds_load_b128 v[2:5], v1 offset:1440
	scratch_load_b128 v[34:37], off, off offset:720
	v_fma_f64 v[44:45], v[44:45], v[168:169], v[219:220]
	v_add_f64 v[199:200], v[199:200], v[172:173]
	v_add_f64 v[174:175], v[217:218], v[174:175]
	ds_load_b128 v[170:173], v1 offset:1456
	v_fma_f64 v[168:169], v[42:43], v[168:169], -v[221:222]
	s_waitcnt vmcnt(8) lgkmcnt(1)
	v_mul_f64 v[217:218], v[2:3], v[40:41]
	v_mul_f64 v[227:228], v[4:5], v[40:41]
	scratch_load_b128 v[40:43], off, off offset:736
	v_add_f64 v[199:200], v[199:200], v[225:226]
	v_add_f64 v[174:175], v[174:175], v[223:224]
	s_waitcnt vmcnt(8) lgkmcnt(0)
	v_mul_f64 v[225:226], v[170:171], v[8:9]
	v_mul_f64 v[8:9], v[172:173], v[8:9]
	ds_load_b128 v[221:224], v1 offset:1488
	v_fma_f64 v[229:230], v[4:5], v[38:39], v[217:218]
	v_fma_f64 v[38:39], v[2:3], v[38:39], -v[227:228]
	ds_load_b128 v[2:5], v1 offset:1472
	scratch_load_b128 v[217:220], off, off offset:752
	v_add_f64 v[168:169], v[199:200], v[168:169]
	v_add_f64 v[44:45], v[174:175], v[44:45]
	v_fma_f64 v[172:173], v[172:173], v[6:7], v[225:226]
	v_fma_f64 v[170:171], v[170:171], v[6:7], -v[8:9]
	scratch_load_b128 v[6:9], off, off offset:768
	s_waitcnt vmcnt(9) lgkmcnt(0)
	v_mul_f64 v[174:175], v[2:3], v[12:13]
	v_mul_f64 v[12:13], v[4:5], v[12:13]
	s_waitcnt vmcnt(8)
	v_mul_f64 v[199:200], v[221:222], v[16:17]
	v_mul_f64 v[16:17], v[223:224], v[16:17]
	v_add_f64 v[38:39], v[168:169], v[38:39]
	v_add_f64 v[44:45], v[44:45], v[229:230]
	v_fma_f64 v[174:175], v[4:5], v[10:11], v[174:175]
	v_fma_f64 v[225:226], v[2:3], v[10:11], -v[12:13]
	ds_load_b128 v[2:5], v1 offset:1504
	scratch_load_b128 v[10:13], off, off offset:784
	v_fma_f64 v[199:200], v[223:224], v[14:15], v[199:200]
	v_fma_f64 v[221:222], v[221:222], v[14:15], -v[16:17]
	scratch_load_b128 v[14:17], off, off offset:800
	v_add_f64 v[38:39], v[38:39], v[170:171]
	v_add_f64 v[44:45], v[44:45], v[172:173]
	ds_load_b128 v[168:171], v1 offset:1520
	s_waitcnt vmcnt(9) lgkmcnt(1)
	v_mul_f64 v[172:173], v[2:3], v[20:21]
	v_mul_f64 v[20:21], v[4:5], v[20:21]
	s_waitcnt vmcnt(8) lgkmcnt(0)
	v_mul_f64 v[223:224], v[168:169], v[24:25]
	v_mul_f64 v[24:25], v[170:171], v[24:25]
	v_add_f64 v[38:39], v[38:39], v[225:226]
	v_add_f64 v[44:45], v[44:45], v[174:175]
	v_fma_f64 v[225:226], v[4:5], v[18:19], v[172:173]
	v_fma_f64 v[227:228], v[2:3], v[18:19], -v[20:21]
	ds_load_b128 v[2:5], v1 offset:1536
	ds_load_b128 v[172:175], v1 offset:1552
	scratch_load_b128 v[18:21], off, off offset:816
	v_fma_f64 v[170:171], v[170:171], v[22:23], v[223:224]
	v_fma_f64 v[168:169], v[168:169], v[22:23], -v[24:25]
	scratch_load_b128 v[22:25], off, off offset:832
	v_add_f64 v[38:39], v[38:39], v[221:222]
	v_add_f64 v[44:45], v[44:45], v[199:200]
	s_waitcnt vmcnt(9) lgkmcnt(1)
	v_mul_f64 v[199:200], v[2:3], v[28:29]
	v_mul_f64 v[28:29], v[4:5], v[28:29]
	s_waitcnt vmcnt(8) lgkmcnt(0)
	v_mul_f64 v[221:222], v[172:173], v[32:33]
	v_mul_f64 v[32:33], v[174:175], v[32:33]
	v_add_f64 v[38:39], v[38:39], v[227:228]
	v_add_f64 v[44:45], v[44:45], v[225:226]
	v_fma_f64 v[199:200], v[4:5], v[26:27], v[199:200]
	v_fma_f64 v[223:224], v[2:3], v[26:27], -v[28:29]
	ds_load_b128 v[2:5], v1 offset:1568
	ds_load_b128 v[26:29], v1 offset:1584
	v_add_f64 v[38:39], v[38:39], v[168:169]
	v_add_f64 v[44:45], v[44:45], v[170:171]
	s_waitcnt vmcnt(7) lgkmcnt(1)
	v_mul_f64 v[168:169], v[2:3], v[36:37]
	v_mul_f64 v[36:37], v[4:5], v[36:37]
	v_fma_f64 v[170:171], v[174:175], v[30:31], v[221:222]
	v_fma_f64 v[30:31], v[172:173], v[30:31], -v[32:33]
	v_add_f64 v[32:33], v[38:39], v[223:224]
	v_add_f64 v[38:39], v[44:45], v[199:200]
	s_waitcnt vmcnt(6) lgkmcnt(0)
	v_mul_f64 v[44:45], v[26:27], v[42:43]
	v_mul_f64 v[42:43], v[28:29], v[42:43]
	v_fma_f64 v[168:169], v[4:5], v[34:35], v[168:169]
	v_fma_f64 v[34:35], v[2:3], v[34:35], -v[36:37]
	v_add_f64 v[36:37], v[32:33], v[30:31]
	v_add_f64 v[38:39], v[38:39], v[170:171]
	ds_load_b128 v[2:5], v1 offset:1600
	ds_load_b128 v[30:33], v1 offset:1616
	v_fma_f64 v[28:29], v[28:29], v[40:41], v[44:45]
	v_fma_f64 v[26:27], v[26:27], v[40:41], -v[42:43]
	s_waitcnt vmcnt(5) lgkmcnt(1)
	v_mul_f64 v[170:171], v[2:3], v[219:220]
	v_mul_f64 v[172:173], v[4:5], v[219:220]
	v_add_f64 v[34:35], v[36:37], v[34:35]
	v_add_f64 v[36:37], v[38:39], v[168:169]
	s_waitcnt vmcnt(4) lgkmcnt(0)
	v_mul_f64 v[38:39], v[30:31], v[8:9]
	v_mul_f64 v[8:9], v[32:33], v[8:9]
	v_fma_f64 v[40:41], v[4:5], v[217:218], v[170:171]
	v_fma_f64 v[42:43], v[2:3], v[217:218], -v[172:173]
	v_add_f64 v[34:35], v[34:35], v[26:27]
	v_add_f64 v[36:37], v[36:37], v[28:29]
	ds_load_b128 v[2:5], v1 offset:1632
	ds_load_b128 v[26:29], v1 offset:1648
	v_fma_f64 v[32:33], v[32:33], v[6:7], v[38:39]
	v_fma_f64 v[6:7], v[30:31], v[6:7], -v[8:9]
	s_waitcnt vmcnt(3) lgkmcnt(1)
	v_mul_f64 v[44:45], v[2:3], v[12:13]
	v_mul_f64 v[12:13], v[4:5], v[12:13]
	;; [unrolled: 16-line block ×3, first 2 shown]
	s_waitcnt vmcnt(0) lgkmcnt(0)
	v_mul_f64 v[16:17], v[6:7], v[24:25]
	v_mul_f64 v[24:25], v[8:9], v[24:25]
	v_add_f64 v[10:11], v[12:13], v[10:11]
	v_add_f64 v[12:13], v[30:31], v[36:37]
	v_fma_f64 v[4:5], v[4:5], v[18:19], v[32:33]
	v_fma_f64 v[1:2], v[2:3], v[18:19], -v[20:21]
	v_fma_f64 v[8:9], v[8:9], v[22:23], v[16:17]
	v_fma_f64 v[6:7], v[6:7], v[22:23], -v[24:25]
	v_add_f64 v[10:11], v[10:11], v[14:15]
	v_add_f64 v[12:13], v[12:13], v[28:29]
	s_delay_alu instid0(VALU_DEP_2) | instskip(NEXT) | instid1(VALU_DEP_2)
	v_add_f64 v[1:2], v[10:11], v[1:2]
	v_add_f64 v[3:4], v[12:13], v[4:5]
	s_delay_alu instid0(VALU_DEP_2) | instskip(NEXT) | instid1(VALU_DEP_2)
	;; [unrolled: 3-line block ×3, first 2 shown]
	v_add_f64 v[1:2], v[164:165], -v[1:2]
	v_add_f64 v[3:4], v[166:167], -v[3:4]
	scratch_store_b128 off, v[1:4], off offset:416
	v_cmpx_lt_u32_e32 25, v152
	s_cbranch_execz .LBB52_281
; %bb.280:
	scratch_load_b128 v[1:4], v180, off
	v_mov_b32_e32 v5, 0
	s_delay_alu instid0(VALU_DEP_1)
	v_mov_b32_e32 v6, v5
	v_mov_b32_e32 v7, v5
	;; [unrolled: 1-line block ×3, first 2 shown]
	scratch_store_b128 off, v[5:8], off offset:400
	s_waitcnt vmcnt(0)
	ds_store_b128 v205, v[1:4]
.LBB52_281:
	s_or_b32 exec_lo, exec_lo, s2
	s_waitcnt lgkmcnt(0)
	s_waitcnt_vscnt null, 0x0
	s_barrier
	buffer_gl0_inv
	s_clause 0x7
	scratch_load_b128 v[2:5], off, off offset:416
	scratch_load_b128 v[6:9], off, off offset:432
	;; [unrolled: 1-line block ×8, first 2 shown]
	v_mov_b32_e32 v1, 0
	s_mov_b32 s2, exec_lo
	ds_load_b128 v[38:41], v1 offset:1264
	s_clause 0x1
	scratch_load_b128 v[34:37], off, off offset:544
	scratch_load_b128 v[42:45], off, off offset:400
	ds_load_b128 v[164:167], v1 offset:1280
	scratch_load_b128 v[168:171], off, off offset:560
	s_waitcnt vmcnt(10) lgkmcnt(1)
	v_mul_f64 v[172:173], v[40:41], v[4:5]
	v_mul_f64 v[4:5], v[38:39], v[4:5]
	s_delay_alu instid0(VALU_DEP_2) | instskip(NEXT) | instid1(VALU_DEP_2)
	v_fma_f64 v[217:218], v[38:39], v[2:3], -v[172:173]
	v_fma_f64 v[219:220], v[40:41], v[2:3], v[4:5]
	scratch_load_b128 v[38:41], off, off offset:576
	ds_load_b128 v[2:5], v1 offset:1296
	s_waitcnt vmcnt(10) lgkmcnt(1)
	v_mul_f64 v[199:200], v[164:165], v[8:9]
	v_mul_f64 v[8:9], v[166:167], v[8:9]
	ds_load_b128 v[172:175], v1 offset:1312
	s_waitcnt vmcnt(9) lgkmcnt(1)
	v_mul_f64 v[221:222], v[2:3], v[12:13]
	v_mul_f64 v[12:13], v[4:5], v[12:13]
	v_fma_f64 v[166:167], v[166:167], v[6:7], v[199:200]
	v_fma_f64 v[164:165], v[164:165], v[6:7], -v[8:9]
	v_add_f64 v[199:200], v[217:218], 0
	v_add_f64 v[217:218], v[219:220], 0
	scratch_load_b128 v[6:9], off, off offset:592
	v_fma_f64 v[221:222], v[4:5], v[10:11], v[221:222]
	v_fma_f64 v[223:224], v[2:3], v[10:11], -v[12:13]
	scratch_load_b128 v[10:13], off, off offset:608
	ds_load_b128 v[2:5], v1 offset:1328
	s_waitcnt vmcnt(10) lgkmcnt(1)
	v_mul_f64 v[219:220], v[172:173], v[16:17]
	v_mul_f64 v[16:17], v[174:175], v[16:17]
	v_add_f64 v[199:200], v[199:200], v[164:165]
	v_add_f64 v[217:218], v[217:218], v[166:167]
	s_waitcnt vmcnt(9) lgkmcnt(0)
	v_mul_f64 v[225:226], v[2:3], v[20:21]
	v_mul_f64 v[20:21], v[4:5], v[20:21]
	ds_load_b128 v[164:167], v1 offset:1344
	v_fma_f64 v[174:175], v[174:175], v[14:15], v[219:220]
	v_fma_f64 v[172:173], v[172:173], v[14:15], -v[16:17]
	scratch_load_b128 v[14:17], off, off offset:624
	v_add_f64 v[199:200], v[199:200], v[223:224]
	v_add_f64 v[217:218], v[217:218], v[221:222]
	v_fma_f64 v[221:222], v[4:5], v[18:19], v[225:226]
	v_fma_f64 v[223:224], v[2:3], v[18:19], -v[20:21]
	scratch_load_b128 v[18:21], off, off offset:640
	ds_load_b128 v[2:5], v1 offset:1360
	s_waitcnt vmcnt(10) lgkmcnt(1)
	v_mul_f64 v[219:220], v[164:165], v[24:25]
	v_mul_f64 v[24:25], v[166:167], v[24:25]
	s_waitcnt vmcnt(9) lgkmcnt(0)
	v_mul_f64 v[225:226], v[2:3], v[28:29]
	v_mul_f64 v[28:29], v[4:5], v[28:29]
	v_add_f64 v[199:200], v[199:200], v[172:173]
	v_add_f64 v[217:218], v[217:218], v[174:175]
	ds_load_b128 v[172:175], v1 offset:1376
	v_fma_f64 v[166:167], v[166:167], v[22:23], v[219:220]
	v_fma_f64 v[164:165], v[164:165], v[22:23], -v[24:25]
	scratch_load_b128 v[22:25], off, off offset:656
	v_add_f64 v[199:200], v[199:200], v[223:224]
	v_add_f64 v[217:218], v[217:218], v[221:222]
	v_fma_f64 v[221:222], v[4:5], v[26:27], v[225:226]
	v_fma_f64 v[223:224], v[2:3], v[26:27], -v[28:29]
	scratch_load_b128 v[26:29], off, off offset:672
	ds_load_b128 v[2:5], v1 offset:1392
	s_waitcnt vmcnt(10) lgkmcnt(1)
	v_mul_f64 v[219:220], v[172:173], v[32:33]
	v_mul_f64 v[32:33], v[174:175], v[32:33]
	s_waitcnt vmcnt(9) lgkmcnt(0)
	v_mul_f64 v[225:226], v[2:3], v[36:37]
	v_mul_f64 v[36:37], v[4:5], v[36:37]
	v_add_f64 v[199:200], v[199:200], v[164:165]
	v_add_f64 v[217:218], v[217:218], v[166:167]
	ds_load_b128 v[164:167], v1 offset:1408
	v_fma_f64 v[174:175], v[174:175], v[30:31], v[219:220]
	v_fma_f64 v[172:173], v[172:173], v[30:31], -v[32:33]
	scratch_load_b128 v[30:33], off, off offset:688
	v_add_f64 v[199:200], v[199:200], v[223:224]
	v_add_f64 v[217:218], v[217:218], v[221:222]
	v_fma_f64 v[223:224], v[4:5], v[34:35], v[225:226]
	v_fma_f64 v[225:226], v[2:3], v[34:35], -v[36:37]
	scratch_load_b128 v[34:37], off, off offset:704
	ds_load_b128 v[2:5], v1 offset:1424
	s_waitcnt vmcnt(9) lgkmcnt(1)
	v_mul_f64 v[219:220], v[164:165], v[170:171]
	v_mul_f64 v[221:222], v[166:167], v[170:171]
	v_add_f64 v[199:200], v[199:200], v[172:173]
	v_add_f64 v[174:175], v[217:218], v[174:175]
	ds_load_b128 v[170:173], v1 offset:1440
	v_fma_f64 v[219:220], v[166:167], v[168:169], v[219:220]
	v_fma_f64 v[168:169], v[164:165], v[168:169], -v[221:222]
	scratch_load_b128 v[164:167], off, off offset:720
	s_waitcnt vmcnt(9) lgkmcnt(1)
	v_mul_f64 v[217:218], v[2:3], v[40:41]
	v_mul_f64 v[40:41], v[4:5], v[40:41]
	v_add_f64 v[199:200], v[199:200], v[225:226]
	v_add_f64 v[174:175], v[174:175], v[223:224]
	s_delay_alu instid0(VALU_DEP_4) | instskip(NEXT) | instid1(VALU_DEP_4)
	v_fma_f64 v[223:224], v[4:5], v[38:39], v[217:218]
	v_fma_f64 v[225:226], v[2:3], v[38:39], -v[40:41]
	scratch_load_b128 v[38:41], off, off offset:736
	ds_load_b128 v[2:5], v1 offset:1456
	s_waitcnt vmcnt(9) lgkmcnt(1)
	v_mul_f64 v[221:222], v[170:171], v[8:9]
	v_mul_f64 v[8:9], v[172:173], v[8:9]
	v_add_f64 v[168:169], v[199:200], v[168:169]
	v_add_f64 v[174:175], v[174:175], v[219:220]
	s_waitcnt vmcnt(8) lgkmcnt(0)
	v_mul_f64 v[199:200], v[2:3], v[12:13]
	v_mul_f64 v[12:13], v[4:5], v[12:13]
	ds_load_b128 v[217:220], v1 offset:1472
	v_fma_f64 v[172:173], v[172:173], v[6:7], v[221:222]
	v_fma_f64 v[170:171], v[170:171], v[6:7], -v[8:9]
	scratch_load_b128 v[6:9], off, off offset:752
	v_add_f64 v[168:169], v[168:169], v[225:226]
	v_add_f64 v[174:175], v[174:175], v[223:224]
	v_fma_f64 v[199:200], v[4:5], v[10:11], v[199:200]
	v_fma_f64 v[223:224], v[2:3], v[10:11], -v[12:13]
	scratch_load_b128 v[10:13], off, off offset:768
	ds_load_b128 v[2:5], v1 offset:1488
	s_waitcnt vmcnt(9) lgkmcnt(1)
	v_mul_f64 v[221:222], v[217:218], v[16:17]
	v_mul_f64 v[16:17], v[219:220], v[16:17]
	v_add_f64 v[225:226], v[168:169], v[170:171]
	v_add_f64 v[172:173], v[174:175], v[172:173]
	s_waitcnt vmcnt(8) lgkmcnt(0)
	v_mul_f64 v[174:175], v[2:3], v[20:21]
	v_mul_f64 v[20:21], v[4:5], v[20:21]
	ds_load_b128 v[168:171], v1 offset:1504
	v_fma_f64 v[219:220], v[219:220], v[14:15], v[221:222]
	v_fma_f64 v[217:218], v[217:218], v[14:15], -v[16:17]
	scratch_load_b128 v[14:17], off, off offset:784
	v_add_f64 v[221:222], v[225:226], v[223:224]
	v_add_f64 v[172:173], v[172:173], v[199:200]
	v_fma_f64 v[223:224], v[4:5], v[18:19], v[174:175]
	v_fma_f64 v[225:226], v[2:3], v[18:19], -v[20:21]
	scratch_load_b128 v[18:21], off, off offset:800
	ds_load_b128 v[2:5], v1 offset:1520
	s_waitcnt vmcnt(9) lgkmcnt(1)
	v_mul_f64 v[199:200], v[168:169], v[24:25]
	v_mul_f64 v[24:25], v[170:171], v[24:25]
	v_add_f64 v[217:218], v[221:222], v[217:218]
	v_add_f64 v[219:220], v[172:173], v[219:220]
	s_waitcnt vmcnt(8) lgkmcnt(0)
	v_mul_f64 v[221:222], v[2:3], v[28:29]
	v_mul_f64 v[28:29], v[4:5], v[28:29]
	ds_load_b128 v[172:175], v1 offset:1536
	v_fma_f64 v[170:171], v[170:171], v[22:23], v[199:200]
	v_fma_f64 v[168:169], v[168:169], v[22:23], -v[24:25]
	scratch_load_b128 v[22:25], off, off offset:816
	v_add_f64 v[199:200], v[217:218], v[225:226]
	v_add_f64 v[217:218], v[219:220], v[223:224]
	v_fma_f64 v[221:222], v[4:5], v[26:27], v[221:222]
	v_fma_f64 v[223:224], v[2:3], v[26:27], -v[28:29]
	scratch_load_b128 v[26:29], off, off offset:832
	ds_load_b128 v[2:5], v1 offset:1552
	s_waitcnt vmcnt(9) lgkmcnt(1)
	v_mul_f64 v[219:220], v[172:173], v[32:33]
	v_mul_f64 v[32:33], v[174:175], v[32:33]
	s_waitcnt vmcnt(8) lgkmcnt(0)
	v_mul_f64 v[225:226], v[2:3], v[36:37]
	v_mul_f64 v[36:37], v[4:5], v[36:37]
	v_add_f64 v[199:200], v[199:200], v[168:169]
	v_add_f64 v[217:218], v[217:218], v[170:171]
	ds_load_b128 v[168:171], v1 offset:1568
	v_fma_f64 v[174:175], v[174:175], v[30:31], v[219:220]
	v_fma_f64 v[30:31], v[172:173], v[30:31], -v[32:33]
	v_add_f64 v[32:33], v[199:200], v[223:224]
	v_add_f64 v[172:173], v[217:218], v[221:222]
	s_waitcnt vmcnt(7) lgkmcnt(0)
	v_mul_f64 v[199:200], v[168:169], v[166:167]
	v_mul_f64 v[166:167], v[170:171], v[166:167]
	v_fma_f64 v[217:218], v[4:5], v[34:35], v[225:226]
	v_fma_f64 v[34:35], v[2:3], v[34:35], -v[36:37]
	v_add_f64 v[36:37], v[32:33], v[30:31]
	v_add_f64 v[172:173], v[172:173], v[174:175]
	ds_load_b128 v[2:5], v1 offset:1584
	ds_load_b128 v[30:33], v1 offset:1600
	v_fma_f64 v[170:171], v[170:171], v[164:165], v[199:200]
	v_fma_f64 v[164:165], v[168:169], v[164:165], -v[166:167]
	s_waitcnt vmcnt(6) lgkmcnt(1)
	v_mul_f64 v[174:175], v[2:3], v[40:41]
	v_mul_f64 v[40:41], v[4:5], v[40:41]
	s_waitcnt vmcnt(5) lgkmcnt(0)
	v_mul_f64 v[166:167], v[30:31], v[8:9]
	v_mul_f64 v[8:9], v[32:33], v[8:9]
	v_add_f64 v[34:35], v[36:37], v[34:35]
	v_add_f64 v[36:37], v[172:173], v[217:218]
	v_fma_f64 v[168:169], v[4:5], v[38:39], v[174:175]
	v_fma_f64 v[38:39], v[2:3], v[38:39], -v[40:41]
	v_fma_f64 v[32:33], v[32:33], v[6:7], v[166:167]
	v_fma_f64 v[6:7], v[30:31], v[6:7], -v[8:9]
	v_add_f64 v[40:41], v[34:35], v[164:165]
	v_add_f64 v[164:165], v[36:37], v[170:171]
	ds_load_b128 v[2:5], v1 offset:1616
	ds_load_b128 v[34:37], v1 offset:1632
	s_waitcnt vmcnt(4) lgkmcnt(1)
	v_mul_f64 v[170:171], v[2:3], v[12:13]
	v_mul_f64 v[12:13], v[4:5], v[12:13]
	v_add_f64 v[8:9], v[40:41], v[38:39]
	v_add_f64 v[30:31], v[164:165], v[168:169]
	s_waitcnt vmcnt(3) lgkmcnt(0)
	v_mul_f64 v[38:39], v[34:35], v[16:17]
	v_mul_f64 v[16:17], v[36:37], v[16:17]
	v_fma_f64 v[40:41], v[4:5], v[10:11], v[170:171]
	v_fma_f64 v[10:11], v[2:3], v[10:11], -v[12:13]
	v_add_f64 v[12:13], v[8:9], v[6:7]
	v_add_f64 v[30:31], v[30:31], v[32:33]
	ds_load_b128 v[2:5], v1 offset:1648
	ds_load_b128 v[6:9], v1 offset:1664
	v_fma_f64 v[36:37], v[36:37], v[14:15], v[38:39]
	v_fma_f64 v[14:15], v[34:35], v[14:15], -v[16:17]
	s_waitcnt vmcnt(2) lgkmcnt(1)
	v_mul_f64 v[32:33], v[2:3], v[20:21]
	v_mul_f64 v[20:21], v[4:5], v[20:21]
	s_waitcnt vmcnt(1) lgkmcnt(0)
	v_mul_f64 v[16:17], v[6:7], v[24:25]
	v_mul_f64 v[24:25], v[8:9], v[24:25]
	v_add_f64 v[10:11], v[12:13], v[10:11]
	v_add_f64 v[12:13], v[30:31], v[40:41]
	v_fma_f64 v[30:31], v[4:5], v[18:19], v[32:33]
	v_fma_f64 v[18:19], v[2:3], v[18:19], -v[20:21]
	ds_load_b128 v[2:5], v1 offset:1680
	v_fma_f64 v[8:9], v[8:9], v[22:23], v[16:17]
	v_fma_f64 v[6:7], v[6:7], v[22:23], -v[24:25]
	v_add_f64 v[10:11], v[10:11], v[14:15]
	v_add_f64 v[12:13], v[12:13], v[36:37]
	s_waitcnt vmcnt(0) lgkmcnt(0)
	v_mul_f64 v[14:15], v[2:3], v[28:29]
	v_mul_f64 v[20:21], v[4:5], v[28:29]
	s_delay_alu instid0(VALU_DEP_4) | instskip(NEXT) | instid1(VALU_DEP_4)
	v_add_f64 v[10:11], v[10:11], v[18:19]
	v_add_f64 v[12:13], v[12:13], v[30:31]
	s_delay_alu instid0(VALU_DEP_4) | instskip(NEXT) | instid1(VALU_DEP_4)
	v_fma_f64 v[4:5], v[4:5], v[26:27], v[14:15]
	v_fma_f64 v[2:3], v[2:3], v[26:27], -v[20:21]
	s_delay_alu instid0(VALU_DEP_4) | instskip(NEXT) | instid1(VALU_DEP_4)
	v_add_f64 v[6:7], v[10:11], v[6:7]
	v_add_f64 v[8:9], v[12:13], v[8:9]
	s_delay_alu instid0(VALU_DEP_2) | instskip(NEXT) | instid1(VALU_DEP_2)
	v_add_f64 v[2:3], v[6:7], v[2:3]
	v_add_f64 v[4:5], v[8:9], v[4:5]
	s_delay_alu instid0(VALU_DEP_2) | instskip(NEXT) | instid1(VALU_DEP_2)
	v_add_f64 v[2:3], v[42:43], -v[2:3]
	v_add_f64 v[4:5], v[44:45], -v[4:5]
	scratch_store_b128 off, v[2:5], off offset:400
	v_cmpx_lt_u32_e32 24, v152
	s_cbranch_execz .LBB52_283
; %bb.282:
	scratch_load_b128 v[5:8], v181, off
	v_mov_b32_e32 v2, v1
	v_mov_b32_e32 v3, v1
	;; [unrolled: 1-line block ×3, first 2 shown]
	scratch_store_b128 off, v[1:4], off offset:384
	s_waitcnt vmcnt(0)
	ds_store_b128 v205, v[5:8]
.LBB52_283:
	s_or_b32 exec_lo, exec_lo, s2
	s_waitcnt lgkmcnt(0)
	s_waitcnt_vscnt null, 0x0
	s_barrier
	buffer_gl0_inv
	s_clause 0x8
	scratch_load_b128 v[2:5], off, off offset:400
	scratch_load_b128 v[6:9], off, off offset:416
	;; [unrolled: 1-line block ×9, first 2 shown]
	ds_load_b128 v[42:45], v1 offset:1248
	ds_load_b128 v[38:41], v1 offset:1264
	s_clause 0x1
	scratch_load_b128 v[164:167], off, off offset:384
	scratch_load_b128 v[168:171], off, off offset:544
	s_mov_b32 s2, exec_lo
	s_waitcnt vmcnt(10) lgkmcnt(1)
	v_mul_f64 v[172:173], v[44:45], v[4:5]
	v_mul_f64 v[4:5], v[42:43], v[4:5]
	s_waitcnt vmcnt(9) lgkmcnt(0)
	v_mul_f64 v[199:200], v[38:39], v[8:9]
	v_mul_f64 v[8:9], v[40:41], v[8:9]
	s_delay_alu instid0(VALU_DEP_4) | instskip(NEXT) | instid1(VALU_DEP_4)
	v_fma_f64 v[217:218], v[42:43], v[2:3], -v[172:173]
	v_fma_f64 v[219:220], v[44:45], v[2:3], v[4:5]
	ds_load_b128 v[2:5], v1 offset:1280
	ds_load_b128 v[172:175], v1 offset:1296
	scratch_load_b128 v[42:45], off, off offset:560
	v_fma_f64 v[40:41], v[40:41], v[6:7], v[199:200]
	v_fma_f64 v[38:39], v[38:39], v[6:7], -v[8:9]
	scratch_load_b128 v[6:9], off, off offset:576
	s_waitcnt vmcnt(10) lgkmcnt(1)
	v_mul_f64 v[221:222], v[2:3], v[12:13]
	v_mul_f64 v[12:13], v[4:5], v[12:13]
	v_add_f64 v[199:200], v[217:218], 0
	v_add_f64 v[217:218], v[219:220], 0
	s_waitcnt vmcnt(9) lgkmcnt(0)
	v_mul_f64 v[219:220], v[172:173], v[16:17]
	v_mul_f64 v[16:17], v[174:175], v[16:17]
	v_fma_f64 v[221:222], v[4:5], v[10:11], v[221:222]
	v_fma_f64 v[223:224], v[2:3], v[10:11], -v[12:13]
	ds_load_b128 v[2:5], v1 offset:1312
	scratch_load_b128 v[10:13], off, off offset:592
	v_add_f64 v[199:200], v[199:200], v[38:39]
	v_add_f64 v[217:218], v[217:218], v[40:41]
	ds_load_b128 v[38:41], v1 offset:1328
	v_fma_f64 v[174:175], v[174:175], v[14:15], v[219:220]
	v_fma_f64 v[172:173], v[172:173], v[14:15], -v[16:17]
	scratch_load_b128 v[14:17], off, off offset:608
	s_waitcnt vmcnt(10) lgkmcnt(1)
	v_mul_f64 v[225:226], v[2:3], v[20:21]
	v_mul_f64 v[20:21], v[4:5], v[20:21]
	s_waitcnt vmcnt(9) lgkmcnt(0)
	v_mul_f64 v[219:220], v[38:39], v[24:25]
	v_mul_f64 v[24:25], v[40:41], v[24:25]
	v_add_f64 v[199:200], v[199:200], v[223:224]
	v_add_f64 v[217:218], v[217:218], v[221:222]
	v_fma_f64 v[221:222], v[4:5], v[18:19], v[225:226]
	v_fma_f64 v[223:224], v[2:3], v[18:19], -v[20:21]
	ds_load_b128 v[2:5], v1 offset:1344
	scratch_load_b128 v[18:21], off, off offset:624
	v_fma_f64 v[40:41], v[40:41], v[22:23], v[219:220]
	v_fma_f64 v[38:39], v[38:39], v[22:23], -v[24:25]
	scratch_load_b128 v[22:25], off, off offset:640
	v_add_f64 v[199:200], v[199:200], v[172:173]
	v_add_f64 v[217:218], v[217:218], v[174:175]
	ds_load_b128 v[172:175], v1 offset:1360
	s_waitcnt vmcnt(10) lgkmcnt(1)
	v_mul_f64 v[225:226], v[2:3], v[28:29]
	v_mul_f64 v[28:29], v[4:5], v[28:29]
	s_waitcnt vmcnt(9) lgkmcnt(0)
	v_mul_f64 v[219:220], v[172:173], v[32:33]
	v_mul_f64 v[32:33], v[174:175], v[32:33]
	v_add_f64 v[199:200], v[199:200], v[223:224]
	v_add_f64 v[217:218], v[217:218], v[221:222]
	v_fma_f64 v[221:222], v[4:5], v[26:27], v[225:226]
	v_fma_f64 v[223:224], v[2:3], v[26:27], -v[28:29]
	ds_load_b128 v[2:5], v1 offset:1376
	scratch_load_b128 v[26:29], off, off offset:656
	v_fma_f64 v[174:175], v[174:175], v[30:31], v[219:220]
	v_fma_f64 v[172:173], v[172:173], v[30:31], -v[32:33]
	scratch_load_b128 v[30:33], off, off offset:672
	v_add_f64 v[199:200], v[199:200], v[38:39]
	v_add_f64 v[217:218], v[217:218], v[40:41]
	ds_load_b128 v[38:41], v1 offset:1392
	s_waitcnt vmcnt(10) lgkmcnt(1)
	v_mul_f64 v[225:226], v[2:3], v[36:37]
	v_mul_f64 v[36:37], v[4:5], v[36:37]
	s_waitcnt vmcnt(8) lgkmcnt(0)
	v_mul_f64 v[219:220], v[38:39], v[170:171]
	v_add_f64 v[199:200], v[199:200], v[223:224]
	v_add_f64 v[217:218], v[217:218], v[221:222]
	v_mul_f64 v[221:222], v[40:41], v[170:171]
	v_fma_f64 v[223:224], v[4:5], v[34:35], v[225:226]
	v_fma_f64 v[225:226], v[2:3], v[34:35], -v[36:37]
	ds_load_b128 v[2:5], v1 offset:1408
	scratch_load_b128 v[34:37], off, off offset:688
	v_fma_f64 v[219:220], v[40:41], v[168:169], v[219:220]
	v_add_f64 v[199:200], v[199:200], v[172:173]
	v_add_f64 v[174:175], v[217:218], v[174:175]
	ds_load_b128 v[170:173], v1 offset:1424
	v_fma_f64 v[168:169], v[38:39], v[168:169], -v[221:222]
	scratch_load_b128 v[38:41], off, off offset:704
	s_waitcnt vmcnt(9) lgkmcnt(1)
	v_mul_f64 v[217:218], v[2:3], v[44:45]
	v_mul_f64 v[44:45], v[4:5], v[44:45]
	s_waitcnt vmcnt(8) lgkmcnt(0)
	v_mul_f64 v[221:222], v[170:171], v[8:9]
	v_mul_f64 v[8:9], v[172:173], v[8:9]
	v_add_f64 v[199:200], v[199:200], v[225:226]
	v_add_f64 v[174:175], v[174:175], v[223:224]
	v_fma_f64 v[223:224], v[4:5], v[42:43], v[217:218]
	v_fma_f64 v[225:226], v[2:3], v[42:43], -v[44:45]
	ds_load_b128 v[2:5], v1 offset:1440
	scratch_load_b128 v[42:45], off, off offset:720
	v_fma_f64 v[172:173], v[172:173], v[6:7], v[221:222]
	v_fma_f64 v[170:171], v[170:171], v[6:7], -v[8:9]
	scratch_load_b128 v[6:9], off, off offset:736
	v_add_f64 v[168:169], v[199:200], v[168:169]
	v_add_f64 v[174:175], v[174:175], v[219:220]
	ds_load_b128 v[217:220], v1 offset:1456
	s_waitcnt vmcnt(9) lgkmcnt(1)
	v_mul_f64 v[199:200], v[2:3], v[12:13]
	v_mul_f64 v[12:13], v[4:5], v[12:13]
	s_waitcnt vmcnt(8) lgkmcnt(0)
	v_mul_f64 v[221:222], v[217:218], v[16:17]
	v_mul_f64 v[16:17], v[219:220], v[16:17]
	v_add_f64 v[168:169], v[168:169], v[225:226]
	v_add_f64 v[174:175], v[174:175], v[223:224]
	v_fma_f64 v[199:200], v[4:5], v[10:11], v[199:200]
	v_fma_f64 v[223:224], v[2:3], v[10:11], -v[12:13]
	ds_load_b128 v[2:5], v1 offset:1472
	scratch_load_b128 v[10:13], off, off offset:752
	v_fma_f64 v[219:220], v[219:220], v[14:15], v[221:222]
	v_fma_f64 v[217:218], v[217:218], v[14:15], -v[16:17]
	scratch_load_b128 v[14:17], off, off offset:768
	v_add_f64 v[225:226], v[168:169], v[170:171]
	v_add_f64 v[172:173], v[174:175], v[172:173]
	ds_load_b128 v[168:171], v1 offset:1488
	s_waitcnt vmcnt(9) lgkmcnt(1)
	v_mul_f64 v[174:175], v[2:3], v[20:21]
	v_mul_f64 v[20:21], v[4:5], v[20:21]
	v_add_f64 v[221:222], v[225:226], v[223:224]
	v_add_f64 v[172:173], v[172:173], v[199:200]
	s_waitcnt vmcnt(8) lgkmcnt(0)
	v_mul_f64 v[199:200], v[168:169], v[24:25]
	v_mul_f64 v[24:25], v[170:171], v[24:25]
	v_fma_f64 v[223:224], v[4:5], v[18:19], v[174:175]
	v_fma_f64 v[225:226], v[2:3], v[18:19], -v[20:21]
	ds_load_b128 v[2:5], v1 offset:1504
	scratch_load_b128 v[18:21], off, off offset:784
	v_add_f64 v[217:218], v[221:222], v[217:218]
	v_add_f64 v[219:220], v[172:173], v[219:220]
	ds_load_b128 v[172:175], v1 offset:1520
	s_waitcnt vmcnt(8) lgkmcnt(1)
	v_mul_f64 v[221:222], v[2:3], v[28:29]
	v_mul_f64 v[28:29], v[4:5], v[28:29]
	v_fma_f64 v[170:171], v[170:171], v[22:23], v[199:200]
	v_fma_f64 v[168:169], v[168:169], v[22:23], -v[24:25]
	scratch_load_b128 v[22:25], off, off offset:800
	v_add_f64 v[199:200], v[217:218], v[225:226]
	v_add_f64 v[217:218], v[219:220], v[223:224]
	s_waitcnt vmcnt(8) lgkmcnt(0)
	v_mul_f64 v[219:220], v[172:173], v[32:33]
	v_mul_f64 v[32:33], v[174:175], v[32:33]
	v_fma_f64 v[221:222], v[4:5], v[26:27], v[221:222]
	v_fma_f64 v[223:224], v[2:3], v[26:27], -v[28:29]
	ds_load_b128 v[2:5], v1 offset:1536
	scratch_load_b128 v[26:29], off, off offset:816
	v_add_f64 v[199:200], v[199:200], v[168:169]
	v_add_f64 v[217:218], v[217:218], v[170:171]
	ds_load_b128 v[168:171], v1 offset:1552
	s_waitcnt vmcnt(8) lgkmcnt(1)
	v_mul_f64 v[225:226], v[2:3], v[36:37]
	v_mul_f64 v[36:37], v[4:5], v[36:37]
	v_fma_f64 v[174:175], v[174:175], v[30:31], v[219:220]
	v_fma_f64 v[172:173], v[172:173], v[30:31], -v[32:33]
	scratch_load_b128 v[30:33], off, off offset:832
	s_waitcnt vmcnt(8) lgkmcnt(0)
	v_mul_f64 v[219:220], v[168:169], v[40:41]
	v_mul_f64 v[40:41], v[170:171], v[40:41]
	v_add_f64 v[199:200], v[199:200], v[223:224]
	v_add_f64 v[217:218], v[217:218], v[221:222]
	v_fma_f64 v[221:222], v[4:5], v[34:35], v[225:226]
	v_fma_f64 v[223:224], v[2:3], v[34:35], -v[36:37]
	ds_load_b128 v[2:5], v1 offset:1568
	ds_load_b128 v[34:37], v1 offset:1584
	v_fma_f64 v[170:171], v[170:171], v[38:39], v[219:220]
	v_fma_f64 v[38:39], v[168:169], v[38:39], -v[40:41]
	v_add_f64 v[172:173], v[199:200], v[172:173]
	v_add_f64 v[174:175], v[217:218], v[174:175]
	s_waitcnt vmcnt(7) lgkmcnt(1)
	v_mul_f64 v[199:200], v[2:3], v[44:45]
	v_mul_f64 v[44:45], v[4:5], v[44:45]
	s_delay_alu instid0(VALU_DEP_4) | instskip(NEXT) | instid1(VALU_DEP_4)
	v_add_f64 v[40:41], v[172:173], v[223:224]
	v_add_f64 v[168:169], v[174:175], v[221:222]
	s_waitcnt vmcnt(6) lgkmcnt(0)
	v_mul_f64 v[172:173], v[34:35], v[8:9]
	v_mul_f64 v[8:9], v[36:37], v[8:9]
	v_fma_f64 v[174:175], v[4:5], v[42:43], v[199:200]
	v_fma_f64 v[42:43], v[2:3], v[42:43], -v[44:45]
	v_add_f64 v[44:45], v[40:41], v[38:39]
	v_add_f64 v[168:169], v[168:169], v[170:171]
	ds_load_b128 v[2:5], v1 offset:1600
	ds_load_b128 v[38:41], v1 offset:1616
	v_fma_f64 v[36:37], v[36:37], v[6:7], v[172:173]
	v_fma_f64 v[6:7], v[34:35], v[6:7], -v[8:9]
	s_waitcnt vmcnt(5) lgkmcnt(1)
	v_mul_f64 v[170:171], v[2:3], v[12:13]
	v_mul_f64 v[12:13], v[4:5], v[12:13]
	v_add_f64 v[8:9], v[44:45], v[42:43]
	v_add_f64 v[34:35], v[168:169], v[174:175]
	s_waitcnt vmcnt(4) lgkmcnt(0)
	v_mul_f64 v[42:43], v[38:39], v[16:17]
	v_mul_f64 v[16:17], v[40:41], v[16:17]
	v_fma_f64 v[44:45], v[4:5], v[10:11], v[170:171]
	v_fma_f64 v[10:11], v[2:3], v[10:11], -v[12:13]
	v_add_f64 v[12:13], v[8:9], v[6:7]
	v_add_f64 v[34:35], v[34:35], v[36:37]
	ds_load_b128 v[2:5], v1 offset:1632
	ds_load_b128 v[6:9], v1 offset:1648
	v_fma_f64 v[40:41], v[40:41], v[14:15], v[42:43]
	v_fma_f64 v[14:15], v[38:39], v[14:15], -v[16:17]
	s_waitcnt vmcnt(3) lgkmcnt(1)
	v_mul_f64 v[36:37], v[2:3], v[20:21]
	v_mul_f64 v[20:21], v[4:5], v[20:21]
	s_waitcnt vmcnt(2) lgkmcnt(0)
	v_mul_f64 v[16:17], v[6:7], v[24:25]
	v_mul_f64 v[24:25], v[8:9], v[24:25]
	v_add_f64 v[10:11], v[12:13], v[10:11]
	v_add_f64 v[12:13], v[34:35], v[44:45]
	v_fma_f64 v[34:35], v[4:5], v[18:19], v[36:37]
	v_fma_f64 v[18:19], v[2:3], v[18:19], -v[20:21]
	v_fma_f64 v[8:9], v[8:9], v[22:23], v[16:17]
	v_fma_f64 v[6:7], v[6:7], v[22:23], -v[24:25]
	v_add_f64 v[14:15], v[10:11], v[14:15]
	v_add_f64 v[20:21], v[12:13], v[40:41]
	ds_load_b128 v[2:5], v1 offset:1664
	ds_load_b128 v[10:13], v1 offset:1680
	s_waitcnt vmcnt(1) lgkmcnt(1)
	v_mul_f64 v[36:37], v[2:3], v[28:29]
	v_mul_f64 v[28:29], v[4:5], v[28:29]
	v_add_f64 v[14:15], v[14:15], v[18:19]
	v_add_f64 v[16:17], v[20:21], v[34:35]
	s_waitcnt vmcnt(0) lgkmcnt(0)
	v_mul_f64 v[18:19], v[10:11], v[32:33]
	v_mul_f64 v[20:21], v[12:13], v[32:33]
	v_fma_f64 v[4:5], v[4:5], v[26:27], v[36:37]
	v_fma_f64 v[1:2], v[2:3], v[26:27], -v[28:29]
	v_add_f64 v[6:7], v[14:15], v[6:7]
	v_add_f64 v[8:9], v[16:17], v[8:9]
	v_fma_f64 v[12:13], v[12:13], v[30:31], v[18:19]
	v_fma_f64 v[10:11], v[10:11], v[30:31], -v[20:21]
	s_delay_alu instid0(VALU_DEP_4) | instskip(NEXT) | instid1(VALU_DEP_4)
	v_add_f64 v[1:2], v[6:7], v[1:2]
	v_add_f64 v[3:4], v[8:9], v[4:5]
	s_delay_alu instid0(VALU_DEP_2) | instskip(NEXT) | instid1(VALU_DEP_2)
	v_add_f64 v[1:2], v[1:2], v[10:11]
	v_add_f64 v[3:4], v[3:4], v[12:13]
	s_delay_alu instid0(VALU_DEP_2) | instskip(NEXT) | instid1(VALU_DEP_2)
	v_add_f64 v[1:2], v[164:165], -v[1:2]
	v_add_f64 v[3:4], v[166:167], -v[3:4]
	scratch_store_b128 off, v[1:4], off offset:384
	v_cmpx_lt_u32_e32 23, v152
	s_cbranch_execz .LBB52_285
; %bb.284:
	scratch_load_b128 v[1:4], v182, off
	v_mov_b32_e32 v5, 0
	s_delay_alu instid0(VALU_DEP_1)
	v_mov_b32_e32 v6, v5
	v_mov_b32_e32 v7, v5
	;; [unrolled: 1-line block ×3, first 2 shown]
	scratch_store_b128 off, v[5:8], off offset:368
	s_waitcnt vmcnt(0)
	ds_store_b128 v205, v[1:4]
.LBB52_285:
	s_or_b32 exec_lo, exec_lo, s2
	s_waitcnt lgkmcnt(0)
	s_waitcnt_vscnt null, 0x0
	s_barrier
	buffer_gl0_inv
	s_clause 0x7
	scratch_load_b128 v[2:5], off, off offset:384
	scratch_load_b128 v[6:9], off, off offset:400
	;; [unrolled: 1-line block ×8, first 2 shown]
	v_mov_b32_e32 v1, 0
	s_mov_b32 s2, exec_lo
	ds_load_b128 v[38:41], v1 offset:1232
	s_clause 0x1
	scratch_load_b128 v[34:37], off, off offset:512
	scratch_load_b128 v[42:45], off, off offset:368
	ds_load_b128 v[164:167], v1 offset:1248
	scratch_load_b128 v[168:171], off, off offset:528
	s_waitcnt vmcnt(10) lgkmcnt(1)
	v_mul_f64 v[172:173], v[40:41], v[4:5]
	v_mul_f64 v[4:5], v[38:39], v[4:5]
	s_delay_alu instid0(VALU_DEP_2) | instskip(NEXT) | instid1(VALU_DEP_2)
	v_fma_f64 v[217:218], v[38:39], v[2:3], -v[172:173]
	v_fma_f64 v[219:220], v[40:41], v[2:3], v[4:5]
	scratch_load_b128 v[38:41], off, off offset:544
	ds_load_b128 v[2:5], v1 offset:1264
	s_waitcnt vmcnt(10) lgkmcnt(1)
	v_mul_f64 v[199:200], v[164:165], v[8:9]
	v_mul_f64 v[8:9], v[166:167], v[8:9]
	ds_load_b128 v[172:175], v1 offset:1280
	s_waitcnt vmcnt(9) lgkmcnt(1)
	v_mul_f64 v[221:222], v[2:3], v[12:13]
	v_mul_f64 v[12:13], v[4:5], v[12:13]
	v_fma_f64 v[166:167], v[166:167], v[6:7], v[199:200]
	v_fma_f64 v[164:165], v[164:165], v[6:7], -v[8:9]
	v_add_f64 v[199:200], v[217:218], 0
	v_add_f64 v[217:218], v[219:220], 0
	scratch_load_b128 v[6:9], off, off offset:560
	v_fma_f64 v[221:222], v[4:5], v[10:11], v[221:222]
	v_fma_f64 v[223:224], v[2:3], v[10:11], -v[12:13]
	scratch_load_b128 v[10:13], off, off offset:576
	ds_load_b128 v[2:5], v1 offset:1296
	s_waitcnt vmcnt(10) lgkmcnt(1)
	v_mul_f64 v[219:220], v[172:173], v[16:17]
	v_mul_f64 v[16:17], v[174:175], v[16:17]
	v_add_f64 v[199:200], v[199:200], v[164:165]
	v_add_f64 v[217:218], v[217:218], v[166:167]
	s_waitcnt vmcnt(9) lgkmcnt(0)
	v_mul_f64 v[225:226], v[2:3], v[20:21]
	v_mul_f64 v[20:21], v[4:5], v[20:21]
	ds_load_b128 v[164:167], v1 offset:1312
	v_fma_f64 v[174:175], v[174:175], v[14:15], v[219:220]
	v_fma_f64 v[172:173], v[172:173], v[14:15], -v[16:17]
	scratch_load_b128 v[14:17], off, off offset:592
	v_add_f64 v[199:200], v[199:200], v[223:224]
	v_add_f64 v[217:218], v[217:218], v[221:222]
	v_fma_f64 v[221:222], v[4:5], v[18:19], v[225:226]
	v_fma_f64 v[223:224], v[2:3], v[18:19], -v[20:21]
	scratch_load_b128 v[18:21], off, off offset:608
	ds_load_b128 v[2:5], v1 offset:1328
	s_waitcnt vmcnt(10) lgkmcnt(1)
	v_mul_f64 v[219:220], v[164:165], v[24:25]
	v_mul_f64 v[24:25], v[166:167], v[24:25]
	s_waitcnt vmcnt(9) lgkmcnt(0)
	v_mul_f64 v[225:226], v[2:3], v[28:29]
	v_mul_f64 v[28:29], v[4:5], v[28:29]
	v_add_f64 v[199:200], v[199:200], v[172:173]
	v_add_f64 v[217:218], v[217:218], v[174:175]
	ds_load_b128 v[172:175], v1 offset:1344
	v_fma_f64 v[166:167], v[166:167], v[22:23], v[219:220]
	v_fma_f64 v[164:165], v[164:165], v[22:23], -v[24:25]
	scratch_load_b128 v[22:25], off, off offset:624
	v_add_f64 v[199:200], v[199:200], v[223:224]
	v_add_f64 v[217:218], v[217:218], v[221:222]
	v_fma_f64 v[221:222], v[4:5], v[26:27], v[225:226]
	v_fma_f64 v[223:224], v[2:3], v[26:27], -v[28:29]
	scratch_load_b128 v[26:29], off, off offset:640
	ds_load_b128 v[2:5], v1 offset:1360
	s_waitcnt vmcnt(10) lgkmcnt(1)
	v_mul_f64 v[219:220], v[172:173], v[32:33]
	v_mul_f64 v[32:33], v[174:175], v[32:33]
	s_waitcnt vmcnt(9) lgkmcnt(0)
	v_mul_f64 v[225:226], v[2:3], v[36:37]
	v_mul_f64 v[36:37], v[4:5], v[36:37]
	v_add_f64 v[199:200], v[199:200], v[164:165]
	v_add_f64 v[217:218], v[217:218], v[166:167]
	ds_load_b128 v[164:167], v1 offset:1376
	v_fma_f64 v[174:175], v[174:175], v[30:31], v[219:220]
	v_fma_f64 v[172:173], v[172:173], v[30:31], -v[32:33]
	scratch_load_b128 v[30:33], off, off offset:656
	v_add_f64 v[199:200], v[199:200], v[223:224]
	v_add_f64 v[217:218], v[217:218], v[221:222]
	v_fma_f64 v[223:224], v[4:5], v[34:35], v[225:226]
	v_fma_f64 v[225:226], v[2:3], v[34:35], -v[36:37]
	scratch_load_b128 v[34:37], off, off offset:672
	ds_load_b128 v[2:5], v1 offset:1392
	s_waitcnt vmcnt(9) lgkmcnt(1)
	v_mul_f64 v[219:220], v[164:165], v[170:171]
	v_mul_f64 v[221:222], v[166:167], v[170:171]
	v_add_f64 v[199:200], v[199:200], v[172:173]
	v_add_f64 v[174:175], v[217:218], v[174:175]
	ds_load_b128 v[170:173], v1 offset:1408
	v_fma_f64 v[219:220], v[166:167], v[168:169], v[219:220]
	v_fma_f64 v[168:169], v[164:165], v[168:169], -v[221:222]
	scratch_load_b128 v[164:167], off, off offset:688
	s_waitcnt vmcnt(9) lgkmcnt(1)
	v_mul_f64 v[217:218], v[2:3], v[40:41]
	v_mul_f64 v[40:41], v[4:5], v[40:41]
	v_add_f64 v[199:200], v[199:200], v[225:226]
	v_add_f64 v[174:175], v[174:175], v[223:224]
	s_delay_alu instid0(VALU_DEP_4) | instskip(NEXT) | instid1(VALU_DEP_4)
	v_fma_f64 v[223:224], v[4:5], v[38:39], v[217:218]
	v_fma_f64 v[225:226], v[2:3], v[38:39], -v[40:41]
	scratch_load_b128 v[38:41], off, off offset:704
	ds_load_b128 v[2:5], v1 offset:1424
	s_waitcnt vmcnt(9) lgkmcnt(1)
	v_mul_f64 v[221:222], v[170:171], v[8:9]
	v_mul_f64 v[8:9], v[172:173], v[8:9]
	v_add_f64 v[168:169], v[199:200], v[168:169]
	v_add_f64 v[174:175], v[174:175], v[219:220]
	s_waitcnt vmcnt(8) lgkmcnt(0)
	v_mul_f64 v[199:200], v[2:3], v[12:13]
	v_mul_f64 v[12:13], v[4:5], v[12:13]
	ds_load_b128 v[217:220], v1 offset:1440
	v_fma_f64 v[172:173], v[172:173], v[6:7], v[221:222]
	v_fma_f64 v[170:171], v[170:171], v[6:7], -v[8:9]
	scratch_load_b128 v[6:9], off, off offset:720
	v_add_f64 v[168:169], v[168:169], v[225:226]
	v_add_f64 v[174:175], v[174:175], v[223:224]
	v_fma_f64 v[199:200], v[4:5], v[10:11], v[199:200]
	v_fma_f64 v[223:224], v[2:3], v[10:11], -v[12:13]
	scratch_load_b128 v[10:13], off, off offset:736
	ds_load_b128 v[2:5], v1 offset:1456
	s_waitcnt vmcnt(9) lgkmcnt(1)
	v_mul_f64 v[221:222], v[217:218], v[16:17]
	v_mul_f64 v[16:17], v[219:220], v[16:17]
	v_add_f64 v[225:226], v[168:169], v[170:171]
	v_add_f64 v[172:173], v[174:175], v[172:173]
	s_waitcnt vmcnt(8) lgkmcnt(0)
	v_mul_f64 v[174:175], v[2:3], v[20:21]
	v_mul_f64 v[20:21], v[4:5], v[20:21]
	ds_load_b128 v[168:171], v1 offset:1472
	v_fma_f64 v[219:220], v[219:220], v[14:15], v[221:222]
	v_fma_f64 v[217:218], v[217:218], v[14:15], -v[16:17]
	scratch_load_b128 v[14:17], off, off offset:752
	v_add_f64 v[221:222], v[225:226], v[223:224]
	v_add_f64 v[172:173], v[172:173], v[199:200]
	;; [unrolled: 18-line block ×3, first 2 shown]
	v_fma_f64 v[221:222], v[4:5], v[26:27], v[221:222]
	v_fma_f64 v[223:224], v[2:3], v[26:27], -v[28:29]
	scratch_load_b128 v[26:29], off, off offset:800
	ds_load_b128 v[2:5], v1 offset:1520
	s_waitcnt vmcnt(9) lgkmcnt(1)
	v_mul_f64 v[219:220], v[172:173], v[32:33]
	v_mul_f64 v[32:33], v[174:175], v[32:33]
	s_waitcnt vmcnt(8) lgkmcnt(0)
	v_mul_f64 v[225:226], v[2:3], v[36:37]
	v_mul_f64 v[36:37], v[4:5], v[36:37]
	v_add_f64 v[199:200], v[199:200], v[168:169]
	v_add_f64 v[217:218], v[217:218], v[170:171]
	ds_load_b128 v[168:171], v1 offset:1536
	v_fma_f64 v[174:175], v[174:175], v[30:31], v[219:220]
	v_fma_f64 v[172:173], v[172:173], v[30:31], -v[32:33]
	scratch_load_b128 v[30:33], off, off offset:816
	v_add_f64 v[199:200], v[199:200], v[223:224]
	v_add_f64 v[217:218], v[217:218], v[221:222]
	v_fma_f64 v[221:222], v[4:5], v[34:35], v[225:226]
	v_fma_f64 v[223:224], v[2:3], v[34:35], -v[36:37]
	scratch_load_b128 v[34:37], off, off offset:832
	ds_load_b128 v[2:5], v1 offset:1552
	s_waitcnt vmcnt(9) lgkmcnt(1)
	v_mul_f64 v[219:220], v[168:169], v[166:167]
	v_mul_f64 v[166:167], v[170:171], v[166:167]
	s_waitcnt vmcnt(8) lgkmcnt(0)
	v_mul_f64 v[225:226], v[2:3], v[40:41]
	v_mul_f64 v[40:41], v[4:5], v[40:41]
	v_add_f64 v[199:200], v[199:200], v[172:173]
	v_add_f64 v[217:218], v[217:218], v[174:175]
	ds_load_b128 v[172:175], v1 offset:1568
	v_fma_f64 v[170:171], v[170:171], v[164:165], v[219:220]
	v_fma_f64 v[164:165], v[168:169], v[164:165], -v[166:167]
	v_fma_f64 v[219:220], v[2:3], v[38:39], -v[40:41]
	v_add_f64 v[166:167], v[199:200], v[223:224]
	v_add_f64 v[168:169], v[217:218], v[221:222]
	s_waitcnt vmcnt(7) lgkmcnt(0)
	v_mul_f64 v[199:200], v[172:173], v[8:9]
	v_mul_f64 v[8:9], v[174:175], v[8:9]
	v_fma_f64 v[217:218], v[4:5], v[38:39], v[225:226]
	ds_load_b128 v[2:5], v1 offset:1584
	ds_load_b128 v[38:41], v1 offset:1600
	v_add_f64 v[164:165], v[166:167], v[164:165]
	v_add_f64 v[166:167], v[168:169], v[170:171]
	s_waitcnt vmcnt(6) lgkmcnt(1)
	v_mul_f64 v[168:169], v[2:3], v[12:13]
	v_mul_f64 v[12:13], v[4:5], v[12:13]
	v_fma_f64 v[170:171], v[174:175], v[6:7], v[199:200]
	v_fma_f64 v[6:7], v[172:173], v[6:7], -v[8:9]
	v_add_f64 v[8:9], v[164:165], v[219:220]
	v_add_f64 v[164:165], v[166:167], v[217:218]
	s_waitcnt vmcnt(5) lgkmcnt(0)
	v_mul_f64 v[166:167], v[38:39], v[16:17]
	v_mul_f64 v[16:17], v[40:41], v[16:17]
	v_fma_f64 v[168:169], v[4:5], v[10:11], v[168:169]
	v_fma_f64 v[10:11], v[2:3], v[10:11], -v[12:13]
	v_add_f64 v[12:13], v[8:9], v[6:7]
	v_add_f64 v[164:165], v[164:165], v[170:171]
	ds_load_b128 v[2:5], v1 offset:1616
	ds_load_b128 v[6:9], v1 offset:1632
	v_fma_f64 v[40:41], v[40:41], v[14:15], v[166:167]
	v_fma_f64 v[14:15], v[38:39], v[14:15], -v[16:17]
	s_waitcnt vmcnt(4) lgkmcnt(1)
	v_mul_f64 v[170:171], v[2:3], v[20:21]
	v_mul_f64 v[20:21], v[4:5], v[20:21]
	s_waitcnt vmcnt(3) lgkmcnt(0)
	v_mul_f64 v[16:17], v[6:7], v[24:25]
	v_mul_f64 v[24:25], v[8:9], v[24:25]
	v_add_f64 v[10:11], v[12:13], v[10:11]
	v_add_f64 v[12:13], v[164:165], v[168:169]
	v_fma_f64 v[38:39], v[4:5], v[18:19], v[170:171]
	v_fma_f64 v[18:19], v[2:3], v[18:19], -v[20:21]
	v_fma_f64 v[8:9], v[8:9], v[22:23], v[16:17]
	v_fma_f64 v[6:7], v[6:7], v[22:23], -v[24:25]
	v_add_f64 v[14:15], v[10:11], v[14:15]
	v_add_f64 v[20:21], v[12:13], v[40:41]
	ds_load_b128 v[2:5], v1 offset:1648
	ds_load_b128 v[10:13], v1 offset:1664
	s_waitcnt vmcnt(2) lgkmcnt(1)
	v_mul_f64 v[40:41], v[2:3], v[28:29]
	v_mul_f64 v[28:29], v[4:5], v[28:29]
	v_add_f64 v[14:15], v[14:15], v[18:19]
	v_add_f64 v[16:17], v[20:21], v[38:39]
	s_waitcnt vmcnt(1) lgkmcnt(0)
	v_mul_f64 v[18:19], v[10:11], v[32:33]
	v_mul_f64 v[20:21], v[12:13], v[32:33]
	v_fma_f64 v[22:23], v[4:5], v[26:27], v[40:41]
	v_fma_f64 v[24:25], v[2:3], v[26:27], -v[28:29]
	ds_load_b128 v[2:5], v1 offset:1680
	v_add_f64 v[6:7], v[14:15], v[6:7]
	v_add_f64 v[8:9], v[16:17], v[8:9]
	v_fma_f64 v[12:13], v[12:13], v[30:31], v[18:19]
	v_fma_f64 v[10:11], v[10:11], v[30:31], -v[20:21]
	s_waitcnt vmcnt(0) lgkmcnt(0)
	v_mul_f64 v[14:15], v[2:3], v[36:37]
	v_mul_f64 v[16:17], v[4:5], v[36:37]
	v_add_f64 v[6:7], v[6:7], v[24:25]
	v_add_f64 v[8:9], v[8:9], v[22:23]
	s_delay_alu instid0(VALU_DEP_4) | instskip(NEXT) | instid1(VALU_DEP_4)
	v_fma_f64 v[4:5], v[4:5], v[34:35], v[14:15]
	v_fma_f64 v[2:3], v[2:3], v[34:35], -v[16:17]
	s_delay_alu instid0(VALU_DEP_4) | instskip(NEXT) | instid1(VALU_DEP_4)
	v_add_f64 v[6:7], v[6:7], v[10:11]
	v_add_f64 v[8:9], v[8:9], v[12:13]
	s_delay_alu instid0(VALU_DEP_2) | instskip(NEXT) | instid1(VALU_DEP_2)
	v_add_f64 v[2:3], v[6:7], v[2:3]
	v_add_f64 v[4:5], v[8:9], v[4:5]
	s_delay_alu instid0(VALU_DEP_2) | instskip(NEXT) | instid1(VALU_DEP_2)
	v_add_f64 v[2:3], v[42:43], -v[2:3]
	v_add_f64 v[4:5], v[44:45], -v[4:5]
	scratch_store_b128 off, v[2:5], off offset:368
	v_cmpx_lt_u32_e32 22, v152
	s_cbranch_execz .LBB52_287
; %bb.286:
	scratch_load_b128 v[5:8], v183, off
	v_mov_b32_e32 v2, v1
	v_mov_b32_e32 v3, v1
	;; [unrolled: 1-line block ×3, first 2 shown]
	scratch_store_b128 off, v[1:4], off offset:352
	s_waitcnt vmcnt(0)
	ds_store_b128 v205, v[5:8]
.LBB52_287:
	s_or_b32 exec_lo, exec_lo, s2
	s_waitcnt lgkmcnt(0)
	s_waitcnt_vscnt null, 0x0
	s_barrier
	buffer_gl0_inv
	s_clause 0x8
	scratch_load_b128 v[2:5], off, off offset:368
	scratch_load_b128 v[6:9], off, off offset:384
	;; [unrolled: 1-line block ×9, first 2 shown]
	ds_load_b128 v[42:45], v1 offset:1216
	ds_load_b128 v[38:41], v1 offset:1232
	s_clause 0x1
	scratch_load_b128 v[164:167], off, off offset:352
	scratch_load_b128 v[168:171], off, off offset:512
	s_mov_b32 s2, exec_lo
	s_waitcnt vmcnt(10) lgkmcnt(1)
	v_mul_f64 v[172:173], v[44:45], v[4:5]
	v_mul_f64 v[4:5], v[42:43], v[4:5]
	s_waitcnt vmcnt(9) lgkmcnt(0)
	v_mul_f64 v[199:200], v[38:39], v[8:9]
	v_mul_f64 v[8:9], v[40:41], v[8:9]
	s_delay_alu instid0(VALU_DEP_4) | instskip(NEXT) | instid1(VALU_DEP_4)
	v_fma_f64 v[217:218], v[42:43], v[2:3], -v[172:173]
	v_fma_f64 v[219:220], v[44:45], v[2:3], v[4:5]
	ds_load_b128 v[2:5], v1 offset:1248
	ds_load_b128 v[172:175], v1 offset:1264
	scratch_load_b128 v[42:45], off, off offset:528
	v_fma_f64 v[40:41], v[40:41], v[6:7], v[199:200]
	v_fma_f64 v[38:39], v[38:39], v[6:7], -v[8:9]
	scratch_load_b128 v[6:9], off, off offset:544
	s_waitcnt vmcnt(10) lgkmcnt(1)
	v_mul_f64 v[221:222], v[2:3], v[12:13]
	v_mul_f64 v[12:13], v[4:5], v[12:13]
	v_add_f64 v[199:200], v[217:218], 0
	v_add_f64 v[217:218], v[219:220], 0
	s_waitcnt vmcnt(9) lgkmcnt(0)
	v_mul_f64 v[219:220], v[172:173], v[16:17]
	v_mul_f64 v[16:17], v[174:175], v[16:17]
	v_fma_f64 v[221:222], v[4:5], v[10:11], v[221:222]
	v_fma_f64 v[223:224], v[2:3], v[10:11], -v[12:13]
	ds_load_b128 v[2:5], v1 offset:1280
	scratch_load_b128 v[10:13], off, off offset:560
	v_add_f64 v[199:200], v[199:200], v[38:39]
	v_add_f64 v[217:218], v[217:218], v[40:41]
	ds_load_b128 v[38:41], v1 offset:1296
	v_fma_f64 v[174:175], v[174:175], v[14:15], v[219:220]
	v_fma_f64 v[172:173], v[172:173], v[14:15], -v[16:17]
	scratch_load_b128 v[14:17], off, off offset:576
	s_waitcnt vmcnt(10) lgkmcnt(1)
	v_mul_f64 v[225:226], v[2:3], v[20:21]
	v_mul_f64 v[20:21], v[4:5], v[20:21]
	s_waitcnt vmcnt(9) lgkmcnt(0)
	v_mul_f64 v[219:220], v[38:39], v[24:25]
	v_mul_f64 v[24:25], v[40:41], v[24:25]
	v_add_f64 v[199:200], v[199:200], v[223:224]
	v_add_f64 v[217:218], v[217:218], v[221:222]
	v_fma_f64 v[221:222], v[4:5], v[18:19], v[225:226]
	v_fma_f64 v[223:224], v[2:3], v[18:19], -v[20:21]
	ds_load_b128 v[2:5], v1 offset:1312
	scratch_load_b128 v[18:21], off, off offset:592
	v_fma_f64 v[40:41], v[40:41], v[22:23], v[219:220]
	v_fma_f64 v[38:39], v[38:39], v[22:23], -v[24:25]
	scratch_load_b128 v[22:25], off, off offset:608
	v_add_f64 v[199:200], v[199:200], v[172:173]
	v_add_f64 v[217:218], v[217:218], v[174:175]
	ds_load_b128 v[172:175], v1 offset:1328
	s_waitcnt vmcnt(10) lgkmcnt(1)
	v_mul_f64 v[225:226], v[2:3], v[28:29]
	v_mul_f64 v[28:29], v[4:5], v[28:29]
	s_waitcnt vmcnt(9) lgkmcnt(0)
	v_mul_f64 v[219:220], v[172:173], v[32:33]
	v_mul_f64 v[32:33], v[174:175], v[32:33]
	v_add_f64 v[199:200], v[199:200], v[223:224]
	v_add_f64 v[217:218], v[217:218], v[221:222]
	v_fma_f64 v[221:222], v[4:5], v[26:27], v[225:226]
	v_fma_f64 v[223:224], v[2:3], v[26:27], -v[28:29]
	ds_load_b128 v[2:5], v1 offset:1344
	scratch_load_b128 v[26:29], off, off offset:624
	v_fma_f64 v[174:175], v[174:175], v[30:31], v[219:220]
	v_fma_f64 v[172:173], v[172:173], v[30:31], -v[32:33]
	scratch_load_b128 v[30:33], off, off offset:640
	v_add_f64 v[199:200], v[199:200], v[38:39]
	v_add_f64 v[217:218], v[217:218], v[40:41]
	ds_load_b128 v[38:41], v1 offset:1360
	s_waitcnt vmcnt(10) lgkmcnt(1)
	v_mul_f64 v[225:226], v[2:3], v[36:37]
	v_mul_f64 v[36:37], v[4:5], v[36:37]
	s_waitcnt vmcnt(8) lgkmcnt(0)
	v_mul_f64 v[219:220], v[38:39], v[170:171]
	v_add_f64 v[199:200], v[199:200], v[223:224]
	v_add_f64 v[217:218], v[217:218], v[221:222]
	v_mul_f64 v[221:222], v[40:41], v[170:171]
	v_fma_f64 v[223:224], v[4:5], v[34:35], v[225:226]
	v_fma_f64 v[225:226], v[2:3], v[34:35], -v[36:37]
	ds_load_b128 v[2:5], v1 offset:1376
	scratch_load_b128 v[34:37], off, off offset:656
	v_fma_f64 v[219:220], v[40:41], v[168:169], v[219:220]
	v_add_f64 v[199:200], v[199:200], v[172:173]
	v_add_f64 v[174:175], v[217:218], v[174:175]
	ds_load_b128 v[170:173], v1 offset:1392
	v_fma_f64 v[168:169], v[38:39], v[168:169], -v[221:222]
	scratch_load_b128 v[38:41], off, off offset:672
	s_waitcnt vmcnt(9) lgkmcnt(1)
	v_mul_f64 v[217:218], v[2:3], v[44:45]
	v_mul_f64 v[44:45], v[4:5], v[44:45]
	s_waitcnt vmcnt(8) lgkmcnt(0)
	v_mul_f64 v[221:222], v[170:171], v[8:9]
	v_mul_f64 v[8:9], v[172:173], v[8:9]
	v_add_f64 v[199:200], v[199:200], v[225:226]
	v_add_f64 v[174:175], v[174:175], v[223:224]
	v_fma_f64 v[223:224], v[4:5], v[42:43], v[217:218]
	v_fma_f64 v[225:226], v[2:3], v[42:43], -v[44:45]
	ds_load_b128 v[2:5], v1 offset:1408
	scratch_load_b128 v[42:45], off, off offset:688
	v_fma_f64 v[172:173], v[172:173], v[6:7], v[221:222]
	v_fma_f64 v[170:171], v[170:171], v[6:7], -v[8:9]
	scratch_load_b128 v[6:9], off, off offset:704
	v_add_f64 v[168:169], v[199:200], v[168:169]
	v_add_f64 v[174:175], v[174:175], v[219:220]
	ds_load_b128 v[217:220], v1 offset:1424
	s_waitcnt vmcnt(9) lgkmcnt(1)
	v_mul_f64 v[199:200], v[2:3], v[12:13]
	v_mul_f64 v[12:13], v[4:5], v[12:13]
	s_waitcnt vmcnt(8) lgkmcnt(0)
	v_mul_f64 v[221:222], v[217:218], v[16:17]
	v_mul_f64 v[16:17], v[219:220], v[16:17]
	v_add_f64 v[168:169], v[168:169], v[225:226]
	v_add_f64 v[174:175], v[174:175], v[223:224]
	v_fma_f64 v[199:200], v[4:5], v[10:11], v[199:200]
	v_fma_f64 v[223:224], v[2:3], v[10:11], -v[12:13]
	ds_load_b128 v[2:5], v1 offset:1440
	scratch_load_b128 v[10:13], off, off offset:720
	v_fma_f64 v[219:220], v[219:220], v[14:15], v[221:222]
	v_fma_f64 v[217:218], v[217:218], v[14:15], -v[16:17]
	scratch_load_b128 v[14:17], off, off offset:736
	v_add_f64 v[225:226], v[168:169], v[170:171]
	v_add_f64 v[172:173], v[174:175], v[172:173]
	ds_load_b128 v[168:171], v1 offset:1456
	s_waitcnt vmcnt(9) lgkmcnt(1)
	v_mul_f64 v[174:175], v[2:3], v[20:21]
	v_mul_f64 v[20:21], v[4:5], v[20:21]
	v_add_f64 v[221:222], v[225:226], v[223:224]
	v_add_f64 v[172:173], v[172:173], v[199:200]
	s_waitcnt vmcnt(8) lgkmcnt(0)
	v_mul_f64 v[199:200], v[168:169], v[24:25]
	v_mul_f64 v[24:25], v[170:171], v[24:25]
	v_fma_f64 v[223:224], v[4:5], v[18:19], v[174:175]
	v_fma_f64 v[225:226], v[2:3], v[18:19], -v[20:21]
	ds_load_b128 v[2:5], v1 offset:1472
	scratch_load_b128 v[18:21], off, off offset:752
	v_add_f64 v[217:218], v[221:222], v[217:218]
	v_add_f64 v[219:220], v[172:173], v[219:220]
	ds_load_b128 v[172:175], v1 offset:1488
	s_waitcnt vmcnt(8) lgkmcnt(1)
	v_mul_f64 v[221:222], v[2:3], v[28:29]
	v_mul_f64 v[28:29], v[4:5], v[28:29]
	v_fma_f64 v[170:171], v[170:171], v[22:23], v[199:200]
	v_fma_f64 v[168:169], v[168:169], v[22:23], -v[24:25]
	scratch_load_b128 v[22:25], off, off offset:768
	v_add_f64 v[199:200], v[217:218], v[225:226]
	v_add_f64 v[217:218], v[219:220], v[223:224]
	s_waitcnt vmcnt(8) lgkmcnt(0)
	v_mul_f64 v[219:220], v[172:173], v[32:33]
	v_mul_f64 v[32:33], v[174:175], v[32:33]
	v_fma_f64 v[221:222], v[4:5], v[26:27], v[221:222]
	v_fma_f64 v[223:224], v[2:3], v[26:27], -v[28:29]
	ds_load_b128 v[2:5], v1 offset:1504
	scratch_load_b128 v[26:29], off, off offset:784
	v_add_f64 v[199:200], v[199:200], v[168:169]
	v_add_f64 v[217:218], v[217:218], v[170:171]
	ds_load_b128 v[168:171], v1 offset:1520
	s_waitcnt vmcnt(8) lgkmcnt(1)
	v_mul_f64 v[225:226], v[2:3], v[36:37]
	v_mul_f64 v[36:37], v[4:5], v[36:37]
	v_fma_f64 v[174:175], v[174:175], v[30:31], v[219:220]
	v_fma_f64 v[172:173], v[172:173], v[30:31], -v[32:33]
	scratch_load_b128 v[30:33], off, off offset:800
	s_waitcnt vmcnt(8) lgkmcnt(0)
	v_mul_f64 v[219:220], v[168:169], v[40:41]
	v_mul_f64 v[40:41], v[170:171], v[40:41]
	v_add_f64 v[199:200], v[199:200], v[223:224]
	v_add_f64 v[217:218], v[217:218], v[221:222]
	v_fma_f64 v[221:222], v[4:5], v[34:35], v[225:226]
	v_fma_f64 v[223:224], v[2:3], v[34:35], -v[36:37]
	ds_load_b128 v[2:5], v1 offset:1536
	scratch_load_b128 v[34:37], off, off offset:816
	v_fma_f64 v[170:171], v[170:171], v[38:39], v[219:220]
	v_fma_f64 v[168:169], v[168:169], v[38:39], -v[40:41]
	scratch_load_b128 v[38:41], off, off offset:832
	v_add_f64 v[199:200], v[199:200], v[172:173]
	v_add_f64 v[217:218], v[217:218], v[174:175]
	ds_load_b128 v[172:175], v1 offset:1552
	s_waitcnt vmcnt(9) lgkmcnt(1)
	v_mul_f64 v[225:226], v[2:3], v[44:45]
	v_mul_f64 v[44:45], v[4:5], v[44:45]
	s_waitcnt vmcnt(8) lgkmcnt(0)
	v_mul_f64 v[219:220], v[172:173], v[8:9]
	v_mul_f64 v[8:9], v[174:175], v[8:9]
	v_add_f64 v[199:200], v[199:200], v[223:224]
	v_add_f64 v[217:218], v[217:218], v[221:222]
	v_fma_f64 v[221:222], v[4:5], v[42:43], v[225:226]
	v_fma_f64 v[223:224], v[2:3], v[42:43], -v[44:45]
	ds_load_b128 v[2:5], v1 offset:1568
	ds_load_b128 v[42:45], v1 offset:1584
	v_fma_f64 v[174:175], v[174:175], v[6:7], v[219:220]
	v_fma_f64 v[6:7], v[172:173], v[6:7], -v[8:9]
	v_add_f64 v[168:169], v[199:200], v[168:169]
	v_add_f64 v[170:171], v[217:218], v[170:171]
	s_waitcnt vmcnt(7) lgkmcnt(1)
	v_mul_f64 v[199:200], v[2:3], v[12:13]
	v_mul_f64 v[12:13], v[4:5], v[12:13]
	s_delay_alu instid0(VALU_DEP_4) | instskip(NEXT) | instid1(VALU_DEP_4)
	v_add_f64 v[8:9], v[168:169], v[223:224]
	v_add_f64 v[168:169], v[170:171], v[221:222]
	s_waitcnt vmcnt(6) lgkmcnt(0)
	v_mul_f64 v[170:171], v[42:43], v[16:17]
	v_mul_f64 v[16:17], v[44:45], v[16:17]
	v_fma_f64 v[172:173], v[4:5], v[10:11], v[199:200]
	v_fma_f64 v[10:11], v[2:3], v[10:11], -v[12:13]
	v_add_f64 v[12:13], v[8:9], v[6:7]
	v_add_f64 v[168:169], v[168:169], v[174:175]
	ds_load_b128 v[2:5], v1 offset:1600
	ds_load_b128 v[6:9], v1 offset:1616
	v_fma_f64 v[44:45], v[44:45], v[14:15], v[170:171]
	v_fma_f64 v[14:15], v[42:43], v[14:15], -v[16:17]
	s_waitcnt vmcnt(5) lgkmcnt(1)
	v_mul_f64 v[174:175], v[2:3], v[20:21]
	v_mul_f64 v[20:21], v[4:5], v[20:21]
	s_waitcnt vmcnt(4) lgkmcnt(0)
	v_mul_f64 v[16:17], v[6:7], v[24:25]
	v_mul_f64 v[24:25], v[8:9], v[24:25]
	v_add_f64 v[10:11], v[12:13], v[10:11]
	v_add_f64 v[12:13], v[168:169], v[172:173]
	v_fma_f64 v[42:43], v[4:5], v[18:19], v[174:175]
	v_fma_f64 v[18:19], v[2:3], v[18:19], -v[20:21]
	v_fma_f64 v[8:9], v[8:9], v[22:23], v[16:17]
	v_fma_f64 v[6:7], v[6:7], v[22:23], -v[24:25]
	v_add_f64 v[14:15], v[10:11], v[14:15]
	v_add_f64 v[20:21], v[12:13], v[44:45]
	ds_load_b128 v[2:5], v1 offset:1632
	ds_load_b128 v[10:13], v1 offset:1648
	s_waitcnt vmcnt(3) lgkmcnt(1)
	v_mul_f64 v[44:45], v[2:3], v[28:29]
	v_mul_f64 v[28:29], v[4:5], v[28:29]
	v_add_f64 v[14:15], v[14:15], v[18:19]
	v_add_f64 v[16:17], v[20:21], v[42:43]
	s_waitcnt vmcnt(2) lgkmcnt(0)
	v_mul_f64 v[18:19], v[10:11], v[32:33]
	v_mul_f64 v[20:21], v[12:13], v[32:33]
	v_fma_f64 v[22:23], v[4:5], v[26:27], v[44:45]
	v_fma_f64 v[24:25], v[2:3], v[26:27], -v[28:29]
	v_add_f64 v[14:15], v[14:15], v[6:7]
	v_add_f64 v[16:17], v[16:17], v[8:9]
	ds_load_b128 v[2:5], v1 offset:1664
	ds_load_b128 v[6:9], v1 offset:1680
	v_fma_f64 v[12:13], v[12:13], v[30:31], v[18:19]
	v_fma_f64 v[10:11], v[10:11], v[30:31], -v[20:21]
	s_waitcnt vmcnt(1) lgkmcnt(1)
	v_mul_f64 v[26:27], v[2:3], v[36:37]
	v_mul_f64 v[28:29], v[4:5], v[36:37]
	s_waitcnt vmcnt(0) lgkmcnt(0)
	v_mul_f64 v[18:19], v[6:7], v[40:41]
	v_mul_f64 v[20:21], v[8:9], v[40:41]
	v_add_f64 v[14:15], v[14:15], v[24:25]
	v_add_f64 v[16:17], v[16:17], v[22:23]
	v_fma_f64 v[4:5], v[4:5], v[34:35], v[26:27]
	v_fma_f64 v[1:2], v[2:3], v[34:35], -v[28:29]
	v_fma_f64 v[8:9], v[8:9], v[38:39], v[18:19]
	v_fma_f64 v[6:7], v[6:7], v[38:39], -v[20:21]
	v_add_f64 v[10:11], v[14:15], v[10:11]
	v_add_f64 v[12:13], v[16:17], v[12:13]
	s_delay_alu instid0(VALU_DEP_2) | instskip(NEXT) | instid1(VALU_DEP_2)
	v_add_f64 v[1:2], v[10:11], v[1:2]
	v_add_f64 v[3:4], v[12:13], v[4:5]
	s_delay_alu instid0(VALU_DEP_2) | instskip(NEXT) | instid1(VALU_DEP_2)
	;; [unrolled: 3-line block ×3, first 2 shown]
	v_add_f64 v[1:2], v[164:165], -v[1:2]
	v_add_f64 v[3:4], v[166:167], -v[3:4]
	scratch_store_b128 off, v[1:4], off offset:352
	v_cmpx_lt_u32_e32 21, v152
	s_cbranch_execz .LBB52_289
; %bb.288:
	scratch_load_b128 v[1:4], v184, off
	v_mov_b32_e32 v5, 0
	s_delay_alu instid0(VALU_DEP_1)
	v_mov_b32_e32 v6, v5
	v_mov_b32_e32 v7, v5
	;; [unrolled: 1-line block ×3, first 2 shown]
	scratch_store_b128 off, v[5:8], off offset:336
	s_waitcnt vmcnt(0)
	ds_store_b128 v205, v[1:4]
.LBB52_289:
	s_or_b32 exec_lo, exec_lo, s2
	s_waitcnt lgkmcnt(0)
	s_waitcnt_vscnt null, 0x0
	s_barrier
	buffer_gl0_inv
	s_clause 0x7
	scratch_load_b128 v[2:5], off, off offset:352
	scratch_load_b128 v[6:9], off, off offset:368
	;; [unrolled: 1-line block ×8, first 2 shown]
	v_mov_b32_e32 v1, 0
	s_mov_b32 s2, exec_lo
	ds_load_b128 v[38:41], v1 offset:1200
	s_clause 0x1
	scratch_load_b128 v[34:37], off, off offset:480
	scratch_load_b128 v[42:45], off, off offset:336
	ds_load_b128 v[164:167], v1 offset:1216
	scratch_load_b128 v[168:171], off, off offset:496
	s_waitcnt vmcnt(10) lgkmcnt(1)
	v_mul_f64 v[172:173], v[40:41], v[4:5]
	v_mul_f64 v[4:5], v[38:39], v[4:5]
	s_delay_alu instid0(VALU_DEP_2) | instskip(NEXT) | instid1(VALU_DEP_2)
	v_fma_f64 v[217:218], v[38:39], v[2:3], -v[172:173]
	v_fma_f64 v[219:220], v[40:41], v[2:3], v[4:5]
	scratch_load_b128 v[38:41], off, off offset:512
	ds_load_b128 v[2:5], v1 offset:1232
	s_waitcnt vmcnt(10) lgkmcnt(1)
	v_mul_f64 v[199:200], v[164:165], v[8:9]
	v_mul_f64 v[8:9], v[166:167], v[8:9]
	ds_load_b128 v[172:175], v1 offset:1248
	s_waitcnt vmcnt(9) lgkmcnt(1)
	v_mul_f64 v[221:222], v[2:3], v[12:13]
	v_mul_f64 v[12:13], v[4:5], v[12:13]
	v_fma_f64 v[166:167], v[166:167], v[6:7], v[199:200]
	v_fma_f64 v[164:165], v[164:165], v[6:7], -v[8:9]
	v_add_f64 v[199:200], v[217:218], 0
	v_add_f64 v[217:218], v[219:220], 0
	scratch_load_b128 v[6:9], off, off offset:528
	v_fma_f64 v[221:222], v[4:5], v[10:11], v[221:222]
	v_fma_f64 v[223:224], v[2:3], v[10:11], -v[12:13]
	scratch_load_b128 v[10:13], off, off offset:544
	ds_load_b128 v[2:5], v1 offset:1264
	s_waitcnt vmcnt(10) lgkmcnt(1)
	v_mul_f64 v[219:220], v[172:173], v[16:17]
	v_mul_f64 v[16:17], v[174:175], v[16:17]
	v_add_f64 v[199:200], v[199:200], v[164:165]
	v_add_f64 v[217:218], v[217:218], v[166:167]
	s_waitcnt vmcnt(9) lgkmcnt(0)
	v_mul_f64 v[225:226], v[2:3], v[20:21]
	v_mul_f64 v[20:21], v[4:5], v[20:21]
	ds_load_b128 v[164:167], v1 offset:1280
	v_fma_f64 v[174:175], v[174:175], v[14:15], v[219:220]
	v_fma_f64 v[172:173], v[172:173], v[14:15], -v[16:17]
	scratch_load_b128 v[14:17], off, off offset:560
	v_add_f64 v[199:200], v[199:200], v[223:224]
	v_add_f64 v[217:218], v[217:218], v[221:222]
	v_fma_f64 v[221:222], v[4:5], v[18:19], v[225:226]
	v_fma_f64 v[223:224], v[2:3], v[18:19], -v[20:21]
	scratch_load_b128 v[18:21], off, off offset:576
	ds_load_b128 v[2:5], v1 offset:1296
	s_waitcnt vmcnt(10) lgkmcnt(1)
	v_mul_f64 v[219:220], v[164:165], v[24:25]
	v_mul_f64 v[24:25], v[166:167], v[24:25]
	s_waitcnt vmcnt(9) lgkmcnt(0)
	v_mul_f64 v[225:226], v[2:3], v[28:29]
	v_mul_f64 v[28:29], v[4:5], v[28:29]
	v_add_f64 v[199:200], v[199:200], v[172:173]
	v_add_f64 v[217:218], v[217:218], v[174:175]
	ds_load_b128 v[172:175], v1 offset:1312
	v_fma_f64 v[166:167], v[166:167], v[22:23], v[219:220]
	v_fma_f64 v[164:165], v[164:165], v[22:23], -v[24:25]
	scratch_load_b128 v[22:25], off, off offset:592
	v_add_f64 v[199:200], v[199:200], v[223:224]
	v_add_f64 v[217:218], v[217:218], v[221:222]
	v_fma_f64 v[221:222], v[4:5], v[26:27], v[225:226]
	v_fma_f64 v[223:224], v[2:3], v[26:27], -v[28:29]
	scratch_load_b128 v[26:29], off, off offset:608
	ds_load_b128 v[2:5], v1 offset:1328
	s_waitcnt vmcnt(10) lgkmcnt(1)
	v_mul_f64 v[219:220], v[172:173], v[32:33]
	v_mul_f64 v[32:33], v[174:175], v[32:33]
	s_waitcnt vmcnt(9) lgkmcnt(0)
	v_mul_f64 v[225:226], v[2:3], v[36:37]
	v_mul_f64 v[36:37], v[4:5], v[36:37]
	v_add_f64 v[199:200], v[199:200], v[164:165]
	v_add_f64 v[217:218], v[217:218], v[166:167]
	ds_load_b128 v[164:167], v1 offset:1344
	v_fma_f64 v[174:175], v[174:175], v[30:31], v[219:220]
	v_fma_f64 v[172:173], v[172:173], v[30:31], -v[32:33]
	scratch_load_b128 v[30:33], off, off offset:624
	v_add_f64 v[199:200], v[199:200], v[223:224]
	v_add_f64 v[217:218], v[217:218], v[221:222]
	v_fma_f64 v[223:224], v[4:5], v[34:35], v[225:226]
	v_fma_f64 v[225:226], v[2:3], v[34:35], -v[36:37]
	scratch_load_b128 v[34:37], off, off offset:640
	ds_load_b128 v[2:5], v1 offset:1360
	s_waitcnt vmcnt(9) lgkmcnt(1)
	v_mul_f64 v[219:220], v[164:165], v[170:171]
	v_mul_f64 v[221:222], v[166:167], v[170:171]
	v_add_f64 v[199:200], v[199:200], v[172:173]
	v_add_f64 v[174:175], v[217:218], v[174:175]
	ds_load_b128 v[170:173], v1 offset:1376
	v_fma_f64 v[219:220], v[166:167], v[168:169], v[219:220]
	v_fma_f64 v[168:169], v[164:165], v[168:169], -v[221:222]
	scratch_load_b128 v[164:167], off, off offset:656
	s_waitcnt vmcnt(9) lgkmcnt(1)
	v_mul_f64 v[217:218], v[2:3], v[40:41]
	v_mul_f64 v[40:41], v[4:5], v[40:41]
	v_add_f64 v[199:200], v[199:200], v[225:226]
	v_add_f64 v[174:175], v[174:175], v[223:224]
	s_delay_alu instid0(VALU_DEP_4) | instskip(NEXT) | instid1(VALU_DEP_4)
	v_fma_f64 v[223:224], v[4:5], v[38:39], v[217:218]
	v_fma_f64 v[225:226], v[2:3], v[38:39], -v[40:41]
	scratch_load_b128 v[38:41], off, off offset:672
	ds_load_b128 v[2:5], v1 offset:1392
	s_waitcnt vmcnt(9) lgkmcnt(1)
	v_mul_f64 v[221:222], v[170:171], v[8:9]
	v_mul_f64 v[8:9], v[172:173], v[8:9]
	v_add_f64 v[168:169], v[199:200], v[168:169]
	v_add_f64 v[174:175], v[174:175], v[219:220]
	s_waitcnt vmcnt(8) lgkmcnt(0)
	v_mul_f64 v[199:200], v[2:3], v[12:13]
	v_mul_f64 v[12:13], v[4:5], v[12:13]
	ds_load_b128 v[217:220], v1 offset:1408
	v_fma_f64 v[172:173], v[172:173], v[6:7], v[221:222]
	v_fma_f64 v[170:171], v[170:171], v[6:7], -v[8:9]
	scratch_load_b128 v[6:9], off, off offset:688
	v_add_f64 v[168:169], v[168:169], v[225:226]
	v_add_f64 v[174:175], v[174:175], v[223:224]
	v_fma_f64 v[199:200], v[4:5], v[10:11], v[199:200]
	v_fma_f64 v[223:224], v[2:3], v[10:11], -v[12:13]
	scratch_load_b128 v[10:13], off, off offset:704
	ds_load_b128 v[2:5], v1 offset:1424
	s_waitcnt vmcnt(9) lgkmcnt(1)
	v_mul_f64 v[221:222], v[217:218], v[16:17]
	v_mul_f64 v[16:17], v[219:220], v[16:17]
	v_add_f64 v[225:226], v[168:169], v[170:171]
	v_add_f64 v[172:173], v[174:175], v[172:173]
	s_waitcnt vmcnt(8) lgkmcnt(0)
	v_mul_f64 v[174:175], v[2:3], v[20:21]
	v_mul_f64 v[20:21], v[4:5], v[20:21]
	ds_load_b128 v[168:171], v1 offset:1440
	v_fma_f64 v[219:220], v[219:220], v[14:15], v[221:222]
	v_fma_f64 v[217:218], v[217:218], v[14:15], -v[16:17]
	scratch_load_b128 v[14:17], off, off offset:720
	v_add_f64 v[221:222], v[225:226], v[223:224]
	v_add_f64 v[172:173], v[172:173], v[199:200]
	;; [unrolled: 18-line block ×3, first 2 shown]
	v_fma_f64 v[221:222], v[4:5], v[26:27], v[221:222]
	v_fma_f64 v[223:224], v[2:3], v[26:27], -v[28:29]
	scratch_load_b128 v[26:29], off, off offset:768
	ds_load_b128 v[2:5], v1 offset:1488
	s_waitcnt vmcnt(9) lgkmcnt(1)
	v_mul_f64 v[219:220], v[172:173], v[32:33]
	v_mul_f64 v[32:33], v[174:175], v[32:33]
	s_waitcnt vmcnt(8) lgkmcnt(0)
	v_mul_f64 v[225:226], v[2:3], v[36:37]
	v_mul_f64 v[36:37], v[4:5], v[36:37]
	v_add_f64 v[199:200], v[199:200], v[168:169]
	v_add_f64 v[217:218], v[217:218], v[170:171]
	ds_load_b128 v[168:171], v1 offset:1504
	v_fma_f64 v[174:175], v[174:175], v[30:31], v[219:220]
	v_fma_f64 v[172:173], v[172:173], v[30:31], -v[32:33]
	scratch_load_b128 v[30:33], off, off offset:784
	v_add_f64 v[199:200], v[199:200], v[223:224]
	v_add_f64 v[217:218], v[217:218], v[221:222]
	v_fma_f64 v[221:222], v[4:5], v[34:35], v[225:226]
	v_fma_f64 v[223:224], v[2:3], v[34:35], -v[36:37]
	scratch_load_b128 v[34:37], off, off offset:800
	ds_load_b128 v[2:5], v1 offset:1520
	s_waitcnt vmcnt(9) lgkmcnt(1)
	v_mul_f64 v[219:220], v[168:169], v[166:167]
	v_mul_f64 v[166:167], v[170:171], v[166:167]
	s_waitcnt vmcnt(8) lgkmcnt(0)
	v_mul_f64 v[225:226], v[2:3], v[40:41]
	v_mul_f64 v[40:41], v[4:5], v[40:41]
	v_add_f64 v[199:200], v[199:200], v[172:173]
	v_add_f64 v[217:218], v[217:218], v[174:175]
	ds_load_b128 v[172:175], v1 offset:1536
	v_fma_f64 v[170:171], v[170:171], v[164:165], v[219:220]
	v_fma_f64 v[168:169], v[168:169], v[164:165], -v[166:167]
	scratch_load_b128 v[164:167], off, off offset:816
	v_add_f64 v[199:200], v[199:200], v[223:224]
	v_add_f64 v[217:218], v[217:218], v[221:222]
	v_fma_f64 v[221:222], v[4:5], v[38:39], v[225:226]
	v_fma_f64 v[223:224], v[2:3], v[38:39], -v[40:41]
	scratch_load_b128 v[38:41], off, off offset:832
	ds_load_b128 v[2:5], v1 offset:1552
	s_waitcnt vmcnt(9) lgkmcnt(1)
	v_mul_f64 v[219:220], v[172:173], v[8:9]
	v_mul_f64 v[8:9], v[174:175], v[8:9]
	s_waitcnt vmcnt(8) lgkmcnt(0)
	v_mul_f64 v[225:226], v[2:3], v[12:13]
	v_mul_f64 v[12:13], v[4:5], v[12:13]
	v_add_f64 v[199:200], v[199:200], v[168:169]
	v_add_f64 v[217:218], v[217:218], v[170:171]
	ds_load_b128 v[168:171], v1 offset:1568
	v_fma_f64 v[174:175], v[174:175], v[6:7], v[219:220]
	v_fma_f64 v[6:7], v[172:173], v[6:7], -v[8:9]
	v_add_f64 v[8:9], v[199:200], v[223:224]
	v_add_f64 v[172:173], v[217:218], v[221:222]
	s_waitcnt vmcnt(7) lgkmcnt(0)
	v_mul_f64 v[199:200], v[168:169], v[16:17]
	v_mul_f64 v[16:17], v[170:171], v[16:17]
	v_fma_f64 v[217:218], v[4:5], v[10:11], v[225:226]
	v_fma_f64 v[10:11], v[2:3], v[10:11], -v[12:13]
	v_add_f64 v[12:13], v[8:9], v[6:7]
	v_add_f64 v[172:173], v[172:173], v[174:175]
	ds_load_b128 v[2:5], v1 offset:1584
	ds_load_b128 v[6:9], v1 offset:1600
	v_fma_f64 v[170:171], v[170:171], v[14:15], v[199:200]
	v_fma_f64 v[14:15], v[168:169], v[14:15], -v[16:17]
	s_waitcnt vmcnt(6) lgkmcnt(1)
	v_mul_f64 v[174:175], v[2:3], v[20:21]
	v_mul_f64 v[20:21], v[4:5], v[20:21]
	s_waitcnt vmcnt(5) lgkmcnt(0)
	v_mul_f64 v[16:17], v[6:7], v[24:25]
	v_mul_f64 v[24:25], v[8:9], v[24:25]
	v_add_f64 v[10:11], v[12:13], v[10:11]
	v_add_f64 v[12:13], v[172:173], v[217:218]
	v_fma_f64 v[168:169], v[4:5], v[18:19], v[174:175]
	v_fma_f64 v[18:19], v[2:3], v[18:19], -v[20:21]
	v_fma_f64 v[8:9], v[8:9], v[22:23], v[16:17]
	v_fma_f64 v[6:7], v[6:7], v[22:23], -v[24:25]
	v_add_f64 v[14:15], v[10:11], v[14:15]
	v_add_f64 v[20:21], v[12:13], v[170:171]
	ds_load_b128 v[2:5], v1 offset:1616
	ds_load_b128 v[10:13], v1 offset:1632
	s_waitcnt vmcnt(4) lgkmcnt(1)
	v_mul_f64 v[170:171], v[2:3], v[28:29]
	v_mul_f64 v[28:29], v[4:5], v[28:29]
	v_add_f64 v[14:15], v[14:15], v[18:19]
	v_add_f64 v[16:17], v[20:21], v[168:169]
	s_waitcnt vmcnt(3) lgkmcnt(0)
	v_mul_f64 v[18:19], v[10:11], v[32:33]
	v_mul_f64 v[20:21], v[12:13], v[32:33]
	v_fma_f64 v[22:23], v[4:5], v[26:27], v[170:171]
	v_fma_f64 v[24:25], v[2:3], v[26:27], -v[28:29]
	v_add_f64 v[14:15], v[14:15], v[6:7]
	v_add_f64 v[16:17], v[16:17], v[8:9]
	ds_load_b128 v[2:5], v1 offset:1648
	ds_load_b128 v[6:9], v1 offset:1664
	v_fma_f64 v[12:13], v[12:13], v[30:31], v[18:19]
	v_fma_f64 v[10:11], v[10:11], v[30:31], -v[20:21]
	s_waitcnt vmcnt(2) lgkmcnt(1)
	v_mul_f64 v[26:27], v[2:3], v[36:37]
	v_mul_f64 v[28:29], v[4:5], v[36:37]
	s_waitcnt vmcnt(1) lgkmcnt(0)
	v_mul_f64 v[18:19], v[6:7], v[166:167]
	v_mul_f64 v[20:21], v[8:9], v[166:167]
	v_add_f64 v[14:15], v[14:15], v[24:25]
	v_add_f64 v[16:17], v[16:17], v[22:23]
	v_fma_f64 v[22:23], v[4:5], v[34:35], v[26:27]
	v_fma_f64 v[24:25], v[2:3], v[34:35], -v[28:29]
	ds_load_b128 v[2:5], v1 offset:1680
	v_fma_f64 v[8:9], v[8:9], v[164:165], v[18:19]
	v_fma_f64 v[6:7], v[6:7], v[164:165], -v[20:21]
	v_add_f64 v[10:11], v[14:15], v[10:11]
	v_add_f64 v[12:13], v[16:17], v[12:13]
	s_waitcnt vmcnt(0) lgkmcnt(0)
	v_mul_f64 v[14:15], v[2:3], v[40:41]
	v_mul_f64 v[16:17], v[4:5], v[40:41]
	s_delay_alu instid0(VALU_DEP_4) | instskip(NEXT) | instid1(VALU_DEP_4)
	v_add_f64 v[10:11], v[10:11], v[24:25]
	v_add_f64 v[12:13], v[12:13], v[22:23]
	s_delay_alu instid0(VALU_DEP_4) | instskip(NEXT) | instid1(VALU_DEP_4)
	v_fma_f64 v[4:5], v[4:5], v[38:39], v[14:15]
	v_fma_f64 v[2:3], v[2:3], v[38:39], -v[16:17]
	s_delay_alu instid0(VALU_DEP_4) | instskip(NEXT) | instid1(VALU_DEP_4)
	v_add_f64 v[6:7], v[10:11], v[6:7]
	v_add_f64 v[8:9], v[12:13], v[8:9]
	s_delay_alu instid0(VALU_DEP_2) | instskip(NEXT) | instid1(VALU_DEP_2)
	v_add_f64 v[2:3], v[6:7], v[2:3]
	v_add_f64 v[4:5], v[8:9], v[4:5]
	s_delay_alu instid0(VALU_DEP_2) | instskip(NEXT) | instid1(VALU_DEP_2)
	v_add_f64 v[2:3], v[42:43], -v[2:3]
	v_add_f64 v[4:5], v[44:45], -v[4:5]
	scratch_store_b128 off, v[2:5], off offset:336
	v_cmpx_lt_u32_e32 20, v152
	s_cbranch_execz .LBB52_291
; %bb.290:
	scratch_load_b128 v[5:8], v185, off
	v_mov_b32_e32 v2, v1
	v_mov_b32_e32 v3, v1
	v_mov_b32_e32 v4, v1
	scratch_store_b128 off, v[1:4], off offset:320
	s_waitcnt vmcnt(0)
	ds_store_b128 v205, v[5:8]
.LBB52_291:
	s_or_b32 exec_lo, exec_lo, s2
	s_waitcnt lgkmcnt(0)
	s_waitcnt_vscnt null, 0x0
	s_barrier
	buffer_gl0_inv
	s_clause 0x8
	scratch_load_b128 v[2:5], off, off offset:336
	scratch_load_b128 v[6:9], off, off offset:352
	;; [unrolled: 1-line block ×9, first 2 shown]
	ds_load_b128 v[42:45], v1 offset:1184
	ds_load_b128 v[38:41], v1 offset:1200
	s_clause 0x1
	scratch_load_b128 v[164:167], off, off offset:320
	scratch_load_b128 v[168:171], off, off offset:480
	s_mov_b32 s2, exec_lo
	s_waitcnt vmcnt(10) lgkmcnt(1)
	v_mul_f64 v[172:173], v[44:45], v[4:5]
	v_mul_f64 v[4:5], v[42:43], v[4:5]
	s_waitcnt vmcnt(9) lgkmcnt(0)
	v_mul_f64 v[199:200], v[38:39], v[8:9]
	v_mul_f64 v[8:9], v[40:41], v[8:9]
	s_delay_alu instid0(VALU_DEP_4) | instskip(NEXT) | instid1(VALU_DEP_4)
	v_fma_f64 v[217:218], v[42:43], v[2:3], -v[172:173]
	v_fma_f64 v[219:220], v[44:45], v[2:3], v[4:5]
	ds_load_b128 v[2:5], v1 offset:1216
	ds_load_b128 v[172:175], v1 offset:1232
	scratch_load_b128 v[42:45], off, off offset:496
	v_fma_f64 v[40:41], v[40:41], v[6:7], v[199:200]
	v_fma_f64 v[38:39], v[38:39], v[6:7], -v[8:9]
	scratch_load_b128 v[6:9], off, off offset:512
	s_waitcnt vmcnt(10) lgkmcnt(1)
	v_mul_f64 v[221:222], v[2:3], v[12:13]
	v_mul_f64 v[12:13], v[4:5], v[12:13]
	v_add_f64 v[199:200], v[217:218], 0
	v_add_f64 v[217:218], v[219:220], 0
	s_waitcnt vmcnt(9) lgkmcnt(0)
	v_mul_f64 v[219:220], v[172:173], v[16:17]
	v_mul_f64 v[16:17], v[174:175], v[16:17]
	v_fma_f64 v[221:222], v[4:5], v[10:11], v[221:222]
	v_fma_f64 v[223:224], v[2:3], v[10:11], -v[12:13]
	ds_load_b128 v[2:5], v1 offset:1248
	scratch_load_b128 v[10:13], off, off offset:528
	v_add_f64 v[199:200], v[199:200], v[38:39]
	v_add_f64 v[217:218], v[217:218], v[40:41]
	ds_load_b128 v[38:41], v1 offset:1264
	v_fma_f64 v[174:175], v[174:175], v[14:15], v[219:220]
	v_fma_f64 v[172:173], v[172:173], v[14:15], -v[16:17]
	scratch_load_b128 v[14:17], off, off offset:544
	s_waitcnt vmcnt(10) lgkmcnt(1)
	v_mul_f64 v[225:226], v[2:3], v[20:21]
	v_mul_f64 v[20:21], v[4:5], v[20:21]
	s_waitcnt vmcnt(9) lgkmcnt(0)
	v_mul_f64 v[219:220], v[38:39], v[24:25]
	v_mul_f64 v[24:25], v[40:41], v[24:25]
	v_add_f64 v[199:200], v[199:200], v[223:224]
	v_add_f64 v[217:218], v[217:218], v[221:222]
	v_fma_f64 v[221:222], v[4:5], v[18:19], v[225:226]
	v_fma_f64 v[223:224], v[2:3], v[18:19], -v[20:21]
	ds_load_b128 v[2:5], v1 offset:1280
	scratch_load_b128 v[18:21], off, off offset:560
	v_fma_f64 v[40:41], v[40:41], v[22:23], v[219:220]
	v_fma_f64 v[38:39], v[38:39], v[22:23], -v[24:25]
	scratch_load_b128 v[22:25], off, off offset:576
	v_add_f64 v[199:200], v[199:200], v[172:173]
	v_add_f64 v[217:218], v[217:218], v[174:175]
	ds_load_b128 v[172:175], v1 offset:1296
	s_waitcnt vmcnt(10) lgkmcnt(1)
	v_mul_f64 v[225:226], v[2:3], v[28:29]
	v_mul_f64 v[28:29], v[4:5], v[28:29]
	s_waitcnt vmcnt(9) lgkmcnt(0)
	v_mul_f64 v[219:220], v[172:173], v[32:33]
	v_mul_f64 v[32:33], v[174:175], v[32:33]
	v_add_f64 v[199:200], v[199:200], v[223:224]
	v_add_f64 v[217:218], v[217:218], v[221:222]
	v_fma_f64 v[221:222], v[4:5], v[26:27], v[225:226]
	v_fma_f64 v[223:224], v[2:3], v[26:27], -v[28:29]
	ds_load_b128 v[2:5], v1 offset:1312
	scratch_load_b128 v[26:29], off, off offset:592
	v_fma_f64 v[174:175], v[174:175], v[30:31], v[219:220]
	v_fma_f64 v[172:173], v[172:173], v[30:31], -v[32:33]
	scratch_load_b128 v[30:33], off, off offset:608
	v_add_f64 v[199:200], v[199:200], v[38:39]
	v_add_f64 v[217:218], v[217:218], v[40:41]
	ds_load_b128 v[38:41], v1 offset:1328
	s_waitcnt vmcnt(10) lgkmcnt(1)
	v_mul_f64 v[225:226], v[2:3], v[36:37]
	v_mul_f64 v[36:37], v[4:5], v[36:37]
	s_waitcnt vmcnt(8) lgkmcnt(0)
	v_mul_f64 v[219:220], v[38:39], v[170:171]
	v_add_f64 v[199:200], v[199:200], v[223:224]
	v_add_f64 v[217:218], v[217:218], v[221:222]
	v_mul_f64 v[221:222], v[40:41], v[170:171]
	v_fma_f64 v[223:224], v[4:5], v[34:35], v[225:226]
	v_fma_f64 v[225:226], v[2:3], v[34:35], -v[36:37]
	ds_load_b128 v[2:5], v1 offset:1344
	scratch_load_b128 v[34:37], off, off offset:624
	v_fma_f64 v[219:220], v[40:41], v[168:169], v[219:220]
	v_add_f64 v[199:200], v[199:200], v[172:173]
	v_add_f64 v[174:175], v[217:218], v[174:175]
	ds_load_b128 v[170:173], v1 offset:1360
	v_fma_f64 v[168:169], v[38:39], v[168:169], -v[221:222]
	scratch_load_b128 v[38:41], off, off offset:640
	s_waitcnt vmcnt(9) lgkmcnt(1)
	v_mul_f64 v[217:218], v[2:3], v[44:45]
	v_mul_f64 v[44:45], v[4:5], v[44:45]
	s_waitcnt vmcnt(8) lgkmcnt(0)
	v_mul_f64 v[221:222], v[170:171], v[8:9]
	v_mul_f64 v[8:9], v[172:173], v[8:9]
	v_add_f64 v[199:200], v[199:200], v[225:226]
	v_add_f64 v[174:175], v[174:175], v[223:224]
	v_fma_f64 v[223:224], v[4:5], v[42:43], v[217:218]
	v_fma_f64 v[225:226], v[2:3], v[42:43], -v[44:45]
	ds_load_b128 v[2:5], v1 offset:1376
	scratch_load_b128 v[42:45], off, off offset:656
	v_fma_f64 v[172:173], v[172:173], v[6:7], v[221:222]
	v_fma_f64 v[170:171], v[170:171], v[6:7], -v[8:9]
	scratch_load_b128 v[6:9], off, off offset:672
	v_add_f64 v[168:169], v[199:200], v[168:169]
	v_add_f64 v[174:175], v[174:175], v[219:220]
	ds_load_b128 v[217:220], v1 offset:1392
	s_waitcnt vmcnt(9) lgkmcnt(1)
	v_mul_f64 v[199:200], v[2:3], v[12:13]
	v_mul_f64 v[12:13], v[4:5], v[12:13]
	s_waitcnt vmcnt(8) lgkmcnt(0)
	v_mul_f64 v[221:222], v[217:218], v[16:17]
	v_mul_f64 v[16:17], v[219:220], v[16:17]
	v_add_f64 v[168:169], v[168:169], v[225:226]
	v_add_f64 v[174:175], v[174:175], v[223:224]
	v_fma_f64 v[199:200], v[4:5], v[10:11], v[199:200]
	v_fma_f64 v[223:224], v[2:3], v[10:11], -v[12:13]
	ds_load_b128 v[2:5], v1 offset:1408
	scratch_load_b128 v[10:13], off, off offset:688
	v_fma_f64 v[219:220], v[219:220], v[14:15], v[221:222]
	v_fma_f64 v[217:218], v[217:218], v[14:15], -v[16:17]
	scratch_load_b128 v[14:17], off, off offset:704
	v_add_f64 v[225:226], v[168:169], v[170:171]
	v_add_f64 v[172:173], v[174:175], v[172:173]
	ds_load_b128 v[168:171], v1 offset:1424
	s_waitcnt vmcnt(9) lgkmcnt(1)
	v_mul_f64 v[174:175], v[2:3], v[20:21]
	v_mul_f64 v[20:21], v[4:5], v[20:21]
	v_add_f64 v[221:222], v[225:226], v[223:224]
	v_add_f64 v[172:173], v[172:173], v[199:200]
	s_waitcnt vmcnt(8) lgkmcnt(0)
	v_mul_f64 v[199:200], v[168:169], v[24:25]
	v_mul_f64 v[24:25], v[170:171], v[24:25]
	v_fma_f64 v[223:224], v[4:5], v[18:19], v[174:175]
	v_fma_f64 v[225:226], v[2:3], v[18:19], -v[20:21]
	ds_load_b128 v[2:5], v1 offset:1440
	scratch_load_b128 v[18:21], off, off offset:720
	v_add_f64 v[217:218], v[221:222], v[217:218]
	v_add_f64 v[219:220], v[172:173], v[219:220]
	ds_load_b128 v[172:175], v1 offset:1456
	s_waitcnt vmcnt(8) lgkmcnt(1)
	v_mul_f64 v[221:222], v[2:3], v[28:29]
	v_mul_f64 v[28:29], v[4:5], v[28:29]
	v_fma_f64 v[170:171], v[170:171], v[22:23], v[199:200]
	v_fma_f64 v[168:169], v[168:169], v[22:23], -v[24:25]
	scratch_load_b128 v[22:25], off, off offset:736
	v_add_f64 v[199:200], v[217:218], v[225:226]
	v_add_f64 v[217:218], v[219:220], v[223:224]
	s_waitcnt vmcnt(8) lgkmcnt(0)
	v_mul_f64 v[219:220], v[172:173], v[32:33]
	v_mul_f64 v[32:33], v[174:175], v[32:33]
	v_fma_f64 v[221:222], v[4:5], v[26:27], v[221:222]
	v_fma_f64 v[223:224], v[2:3], v[26:27], -v[28:29]
	ds_load_b128 v[2:5], v1 offset:1472
	scratch_load_b128 v[26:29], off, off offset:752
	v_add_f64 v[199:200], v[199:200], v[168:169]
	v_add_f64 v[217:218], v[217:218], v[170:171]
	ds_load_b128 v[168:171], v1 offset:1488
	s_waitcnt vmcnt(8) lgkmcnt(1)
	v_mul_f64 v[225:226], v[2:3], v[36:37]
	v_mul_f64 v[36:37], v[4:5], v[36:37]
	v_fma_f64 v[174:175], v[174:175], v[30:31], v[219:220]
	v_fma_f64 v[172:173], v[172:173], v[30:31], -v[32:33]
	scratch_load_b128 v[30:33], off, off offset:768
	s_waitcnt vmcnt(8) lgkmcnt(0)
	v_mul_f64 v[219:220], v[168:169], v[40:41]
	v_mul_f64 v[40:41], v[170:171], v[40:41]
	v_add_f64 v[199:200], v[199:200], v[223:224]
	v_add_f64 v[217:218], v[217:218], v[221:222]
	v_fma_f64 v[221:222], v[4:5], v[34:35], v[225:226]
	v_fma_f64 v[223:224], v[2:3], v[34:35], -v[36:37]
	ds_load_b128 v[2:5], v1 offset:1504
	scratch_load_b128 v[34:37], off, off offset:784
	v_fma_f64 v[170:171], v[170:171], v[38:39], v[219:220]
	v_fma_f64 v[168:169], v[168:169], v[38:39], -v[40:41]
	scratch_load_b128 v[38:41], off, off offset:800
	v_add_f64 v[199:200], v[199:200], v[172:173]
	v_add_f64 v[217:218], v[217:218], v[174:175]
	ds_load_b128 v[172:175], v1 offset:1520
	s_waitcnt vmcnt(9) lgkmcnt(1)
	v_mul_f64 v[225:226], v[2:3], v[44:45]
	v_mul_f64 v[44:45], v[4:5], v[44:45]
	s_waitcnt vmcnt(8) lgkmcnt(0)
	v_mul_f64 v[219:220], v[172:173], v[8:9]
	v_mul_f64 v[8:9], v[174:175], v[8:9]
	v_add_f64 v[199:200], v[199:200], v[223:224]
	v_add_f64 v[217:218], v[217:218], v[221:222]
	v_fma_f64 v[221:222], v[4:5], v[42:43], v[225:226]
	v_fma_f64 v[223:224], v[2:3], v[42:43], -v[44:45]
	ds_load_b128 v[2:5], v1 offset:1536
	scratch_load_b128 v[42:45], off, off offset:816
	v_fma_f64 v[174:175], v[174:175], v[6:7], v[219:220]
	v_fma_f64 v[172:173], v[172:173], v[6:7], -v[8:9]
	scratch_load_b128 v[6:9], off, off offset:832
	v_add_f64 v[199:200], v[199:200], v[168:169]
	v_add_f64 v[217:218], v[217:218], v[170:171]
	ds_load_b128 v[168:171], v1 offset:1552
	s_waitcnt vmcnt(9) lgkmcnt(1)
	v_mul_f64 v[225:226], v[2:3], v[12:13]
	v_mul_f64 v[12:13], v[4:5], v[12:13]
	s_waitcnt vmcnt(8) lgkmcnt(0)
	v_mul_f64 v[219:220], v[168:169], v[16:17]
	v_mul_f64 v[16:17], v[170:171], v[16:17]
	v_add_f64 v[199:200], v[199:200], v[223:224]
	v_add_f64 v[217:218], v[217:218], v[221:222]
	v_fma_f64 v[221:222], v[4:5], v[10:11], v[225:226]
	v_fma_f64 v[223:224], v[2:3], v[10:11], -v[12:13]
	ds_load_b128 v[2:5], v1 offset:1568
	ds_load_b128 v[10:13], v1 offset:1584
	v_fma_f64 v[170:171], v[170:171], v[14:15], v[219:220]
	v_fma_f64 v[14:15], v[168:169], v[14:15], -v[16:17]
	v_add_f64 v[172:173], v[199:200], v[172:173]
	v_add_f64 v[174:175], v[217:218], v[174:175]
	s_waitcnt vmcnt(7) lgkmcnt(1)
	v_mul_f64 v[199:200], v[2:3], v[20:21]
	v_mul_f64 v[20:21], v[4:5], v[20:21]
	s_delay_alu instid0(VALU_DEP_4) | instskip(NEXT) | instid1(VALU_DEP_4)
	v_add_f64 v[16:17], v[172:173], v[223:224]
	v_add_f64 v[168:169], v[174:175], v[221:222]
	s_waitcnt vmcnt(6) lgkmcnt(0)
	v_mul_f64 v[172:173], v[10:11], v[24:25]
	v_mul_f64 v[24:25], v[12:13], v[24:25]
	v_fma_f64 v[174:175], v[4:5], v[18:19], v[199:200]
	v_fma_f64 v[18:19], v[2:3], v[18:19], -v[20:21]
	v_add_f64 v[20:21], v[16:17], v[14:15]
	v_add_f64 v[168:169], v[168:169], v[170:171]
	ds_load_b128 v[2:5], v1 offset:1600
	ds_load_b128 v[14:17], v1 offset:1616
	v_fma_f64 v[12:13], v[12:13], v[22:23], v[172:173]
	v_fma_f64 v[10:11], v[10:11], v[22:23], -v[24:25]
	s_waitcnt vmcnt(5) lgkmcnt(1)
	v_mul_f64 v[170:171], v[2:3], v[28:29]
	v_mul_f64 v[28:29], v[4:5], v[28:29]
	s_waitcnt vmcnt(4) lgkmcnt(0)
	v_mul_f64 v[22:23], v[14:15], v[32:33]
	v_mul_f64 v[24:25], v[16:17], v[32:33]
	v_add_f64 v[18:19], v[20:21], v[18:19]
	v_add_f64 v[20:21], v[168:169], v[174:175]
	v_fma_f64 v[32:33], v[4:5], v[26:27], v[170:171]
	v_fma_f64 v[26:27], v[2:3], v[26:27], -v[28:29]
	v_fma_f64 v[16:17], v[16:17], v[30:31], v[22:23]
	v_fma_f64 v[14:15], v[14:15], v[30:31], -v[24:25]
	v_add_f64 v[18:19], v[18:19], v[10:11]
	v_add_f64 v[20:21], v[20:21], v[12:13]
	ds_load_b128 v[2:5], v1 offset:1632
	ds_load_b128 v[10:13], v1 offset:1648
	s_waitcnt vmcnt(3) lgkmcnt(1)
	v_mul_f64 v[28:29], v[2:3], v[36:37]
	v_mul_f64 v[36:37], v[4:5], v[36:37]
	s_waitcnt vmcnt(2) lgkmcnt(0)
	v_mul_f64 v[22:23], v[10:11], v[40:41]
	v_mul_f64 v[24:25], v[12:13], v[40:41]
	v_add_f64 v[18:19], v[18:19], v[26:27]
	v_add_f64 v[20:21], v[20:21], v[32:33]
	v_fma_f64 v[26:27], v[4:5], v[34:35], v[28:29]
	v_fma_f64 v[28:29], v[2:3], v[34:35], -v[36:37]
	v_fma_f64 v[12:13], v[12:13], v[38:39], v[22:23]
	v_fma_f64 v[10:11], v[10:11], v[38:39], -v[24:25]
	v_add_f64 v[18:19], v[18:19], v[14:15]
	v_add_f64 v[20:21], v[20:21], v[16:17]
	ds_load_b128 v[2:5], v1 offset:1664
	ds_load_b128 v[14:17], v1 offset:1680
	s_waitcnt vmcnt(1) lgkmcnt(1)
	v_mul_f64 v[30:31], v[2:3], v[44:45]
	v_mul_f64 v[32:33], v[4:5], v[44:45]
	s_waitcnt vmcnt(0) lgkmcnt(0)
	v_mul_f64 v[22:23], v[14:15], v[8:9]
	v_mul_f64 v[8:9], v[16:17], v[8:9]
	v_add_f64 v[18:19], v[18:19], v[28:29]
	v_add_f64 v[20:21], v[20:21], v[26:27]
	v_fma_f64 v[4:5], v[4:5], v[42:43], v[30:31]
	v_fma_f64 v[1:2], v[2:3], v[42:43], -v[32:33]
	v_fma_f64 v[16:17], v[16:17], v[6:7], v[22:23]
	v_fma_f64 v[6:7], v[14:15], v[6:7], -v[8:9]
	v_add_f64 v[10:11], v[18:19], v[10:11]
	v_add_f64 v[12:13], v[20:21], v[12:13]
	s_delay_alu instid0(VALU_DEP_2) | instskip(NEXT) | instid1(VALU_DEP_2)
	v_add_f64 v[1:2], v[10:11], v[1:2]
	v_add_f64 v[3:4], v[12:13], v[4:5]
	s_delay_alu instid0(VALU_DEP_2) | instskip(NEXT) | instid1(VALU_DEP_2)
	;; [unrolled: 3-line block ×3, first 2 shown]
	v_add_f64 v[1:2], v[164:165], -v[1:2]
	v_add_f64 v[3:4], v[166:167], -v[3:4]
	scratch_store_b128 off, v[1:4], off offset:320
	v_cmpx_lt_u32_e32 19, v152
	s_cbranch_execz .LBB52_293
; %bb.292:
	scratch_load_b128 v[1:4], v186, off
	v_mov_b32_e32 v5, 0
	s_delay_alu instid0(VALU_DEP_1)
	v_mov_b32_e32 v6, v5
	v_mov_b32_e32 v7, v5
	;; [unrolled: 1-line block ×3, first 2 shown]
	scratch_store_b128 off, v[5:8], off offset:304
	s_waitcnt vmcnt(0)
	ds_store_b128 v205, v[1:4]
.LBB52_293:
	s_or_b32 exec_lo, exec_lo, s2
	s_waitcnt lgkmcnt(0)
	s_waitcnt_vscnt null, 0x0
	s_barrier
	buffer_gl0_inv
	s_clause 0x7
	scratch_load_b128 v[2:5], off, off offset:320
	scratch_load_b128 v[6:9], off, off offset:336
	;; [unrolled: 1-line block ×8, first 2 shown]
	v_mov_b32_e32 v1, 0
	s_mov_b32 s2, exec_lo
	ds_load_b128 v[38:41], v1 offset:1168
	s_clause 0x1
	scratch_load_b128 v[34:37], off, off offset:448
	scratch_load_b128 v[42:45], off, off offset:304
	ds_load_b128 v[164:167], v1 offset:1184
	scratch_load_b128 v[168:171], off, off offset:464
	s_waitcnt vmcnt(10) lgkmcnt(1)
	v_mul_f64 v[172:173], v[40:41], v[4:5]
	v_mul_f64 v[4:5], v[38:39], v[4:5]
	s_delay_alu instid0(VALU_DEP_2) | instskip(NEXT) | instid1(VALU_DEP_2)
	v_fma_f64 v[217:218], v[38:39], v[2:3], -v[172:173]
	v_fma_f64 v[219:220], v[40:41], v[2:3], v[4:5]
	scratch_load_b128 v[38:41], off, off offset:480
	ds_load_b128 v[2:5], v1 offset:1200
	s_waitcnt vmcnt(10) lgkmcnt(1)
	v_mul_f64 v[199:200], v[164:165], v[8:9]
	v_mul_f64 v[8:9], v[166:167], v[8:9]
	ds_load_b128 v[172:175], v1 offset:1216
	s_waitcnt vmcnt(9) lgkmcnt(1)
	v_mul_f64 v[221:222], v[2:3], v[12:13]
	v_mul_f64 v[12:13], v[4:5], v[12:13]
	v_fma_f64 v[166:167], v[166:167], v[6:7], v[199:200]
	v_fma_f64 v[164:165], v[164:165], v[6:7], -v[8:9]
	v_add_f64 v[199:200], v[217:218], 0
	v_add_f64 v[217:218], v[219:220], 0
	scratch_load_b128 v[6:9], off, off offset:496
	v_fma_f64 v[221:222], v[4:5], v[10:11], v[221:222]
	v_fma_f64 v[223:224], v[2:3], v[10:11], -v[12:13]
	scratch_load_b128 v[10:13], off, off offset:512
	ds_load_b128 v[2:5], v1 offset:1232
	s_waitcnt vmcnt(10) lgkmcnt(1)
	v_mul_f64 v[219:220], v[172:173], v[16:17]
	v_mul_f64 v[16:17], v[174:175], v[16:17]
	v_add_f64 v[199:200], v[199:200], v[164:165]
	v_add_f64 v[217:218], v[217:218], v[166:167]
	s_waitcnt vmcnt(9) lgkmcnt(0)
	v_mul_f64 v[225:226], v[2:3], v[20:21]
	v_mul_f64 v[20:21], v[4:5], v[20:21]
	ds_load_b128 v[164:167], v1 offset:1248
	v_fma_f64 v[174:175], v[174:175], v[14:15], v[219:220]
	v_fma_f64 v[172:173], v[172:173], v[14:15], -v[16:17]
	scratch_load_b128 v[14:17], off, off offset:528
	v_add_f64 v[199:200], v[199:200], v[223:224]
	v_add_f64 v[217:218], v[217:218], v[221:222]
	v_fma_f64 v[221:222], v[4:5], v[18:19], v[225:226]
	v_fma_f64 v[223:224], v[2:3], v[18:19], -v[20:21]
	scratch_load_b128 v[18:21], off, off offset:544
	ds_load_b128 v[2:5], v1 offset:1264
	s_waitcnt vmcnt(10) lgkmcnt(1)
	v_mul_f64 v[219:220], v[164:165], v[24:25]
	v_mul_f64 v[24:25], v[166:167], v[24:25]
	s_waitcnt vmcnt(9) lgkmcnt(0)
	v_mul_f64 v[225:226], v[2:3], v[28:29]
	v_mul_f64 v[28:29], v[4:5], v[28:29]
	v_add_f64 v[199:200], v[199:200], v[172:173]
	v_add_f64 v[217:218], v[217:218], v[174:175]
	ds_load_b128 v[172:175], v1 offset:1280
	v_fma_f64 v[166:167], v[166:167], v[22:23], v[219:220]
	v_fma_f64 v[164:165], v[164:165], v[22:23], -v[24:25]
	scratch_load_b128 v[22:25], off, off offset:560
	v_add_f64 v[199:200], v[199:200], v[223:224]
	v_add_f64 v[217:218], v[217:218], v[221:222]
	v_fma_f64 v[221:222], v[4:5], v[26:27], v[225:226]
	v_fma_f64 v[223:224], v[2:3], v[26:27], -v[28:29]
	scratch_load_b128 v[26:29], off, off offset:576
	ds_load_b128 v[2:5], v1 offset:1296
	s_waitcnt vmcnt(10) lgkmcnt(1)
	v_mul_f64 v[219:220], v[172:173], v[32:33]
	v_mul_f64 v[32:33], v[174:175], v[32:33]
	s_waitcnt vmcnt(9) lgkmcnt(0)
	v_mul_f64 v[225:226], v[2:3], v[36:37]
	v_mul_f64 v[36:37], v[4:5], v[36:37]
	v_add_f64 v[199:200], v[199:200], v[164:165]
	v_add_f64 v[217:218], v[217:218], v[166:167]
	ds_load_b128 v[164:167], v1 offset:1312
	v_fma_f64 v[174:175], v[174:175], v[30:31], v[219:220]
	v_fma_f64 v[172:173], v[172:173], v[30:31], -v[32:33]
	scratch_load_b128 v[30:33], off, off offset:592
	v_add_f64 v[199:200], v[199:200], v[223:224]
	v_add_f64 v[217:218], v[217:218], v[221:222]
	v_fma_f64 v[223:224], v[4:5], v[34:35], v[225:226]
	v_fma_f64 v[225:226], v[2:3], v[34:35], -v[36:37]
	scratch_load_b128 v[34:37], off, off offset:608
	ds_load_b128 v[2:5], v1 offset:1328
	s_waitcnt vmcnt(9) lgkmcnt(1)
	v_mul_f64 v[219:220], v[164:165], v[170:171]
	v_mul_f64 v[221:222], v[166:167], v[170:171]
	v_add_f64 v[199:200], v[199:200], v[172:173]
	v_add_f64 v[174:175], v[217:218], v[174:175]
	ds_load_b128 v[170:173], v1 offset:1344
	v_fma_f64 v[219:220], v[166:167], v[168:169], v[219:220]
	v_fma_f64 v[168:169], v[164:165], v[168:169], -v[221:222]
	scratch_load_b128 v[164:167], off, off offset:624
	s_waitcnt vmcnt(9) lgkmcnt(1)
	v_mul_f64 v[217:218], v[2:3], v[40:41]
	v_mul_f64 v[40:41], v[4:5], v[40:41]
	v_add_f64 v[199:200], v[199:200], v[225:226]
	v_add_f64 v[174:175], v[174:175], v[223:224]
	s_delay_alu instid0(VALU_DEP_4) | instskip(NEXT) | instid1(VALU_DEP_4)
	v_fma_f64 v[223:224], v[4:5], v[38:39], v[217:218]
	v_fma_f64 v[225:226], v[2:3], v[38:39], -v[40:41]
	scratch_load_b128 v[38:41], off, off offset:640
	ds_load_b128 v[2:5], v1 offset:1360
	s_waitcnt vmcnt(9) lgkmcnt(1)
	v_mul_f64 v[221:222], v[170:171], v[8:9]
	v_mul_f64 v[8:9], v[172:173], v[8:9]
	v_add_f64 v[168:169], v[199:200], v[168:169]
	v_add_f64 v[174:175], v[174:175], v[219:220]
	s_waitcnt vmcnt(8) lgkmcnt(0)
	v_mul_f64 v[199:200], v[2:3], v[12:13]
	v_mul_f64 v[12:13], v[4:5], v[12:13]
	ds_load_b128 v[217:220], v1 offset:1376
	v_fma_f64 v[172:173], v[172:173], v[6:7], v[221:222]
	v_fma_f64 v[170:171], v[170:171], v[6:7], -v[8:9]
	scratch_load_b128 v[6:9], off, off offset:656
	v_add_f64 v[168:169], v[168:169], v[225:226]
	v_add_f64 v[174:175], v[174:175], v[223:224]
	v_fma_f64 v[199:200], v[4:5], v[10:11], v[199:200]
	v_fma_f64 v[223:224], v[2:3], v[10:11], -v[12:13]
	scratch_load_b128 v[10:13], off, off offset:672
	ds_load_b128 v[2:5], v1 offset:1392
	s_waitcnt vmcnt(9) lgkmcnt(1)
	v_mul_f64 v[221:222], v[217:218], v[16:17]
	v_mul_f64 v[16:17], v[219:220], v[16:17]
	v_add_f64 v[225:226], v[168:169], v[170:171]
	v_add_f64 v[172:173], v[174:175], v[172:173]
	s_waitcnt vmcnt(8) lgkmcnt(0)
	v_mul_f64 v[174:175], v[2:3], v[20:21]
	v_mul_f64 v[20:21], v[4:5], v[20:21]
	ds_load_b128 v[168:171], v1 offset:1408
	v_fma_f64 v[219:220], v[219:220], v[14:15], v[221:222]
	v_fma_f64 v[217:218], v[217:218], v[14:15], -v[16:17]
	scratch_load_b128 v[14:17], off, off offset:688
	v_add_f64 v[221:222], v[225:226], v[223:224]
	v_add_f64 v[172:173], v[172:173], v[199:200]
	;; [unrolled: 18-line block ×3, first 2 shown]
	v_fma_f64 v[221:222], v[4:5], v[26:27], v[221:222]
	v_fma_f64 v[223:224], v[2:3], v[26:27], -v[28:29]
	scratch_load_b128 v[26:29], off, off offset:736
	ds_load_b128 v[2:5], v1 offset:1456
	s_waitcnt vmcnt(9) lgkmcnt(1)
	v_mul_f64 v[219:220], v[172:173], v[32:33]
	v_mul_f64 v[32:33], v[174:175], v[32:33]
	s_waitcnt vmcnt(8) lgkmcnt(0)
	v_mul_f64 v[225:226], v[2:3], v[36:37]
	v_mul_f64 v[36:37], v[4:5], v[36:37]
	v_add_f64 v[199:200], v[199:200], v[168:169]
	v_add_f64 v[217:218], v[217:218], v[170:171]
	ds_load_b128 v[168:171], v1 offset:1472
	v_fma_f64 v[174:175], v[174:175], v[30:31], v[219:220]
	v_fma_f64 v[172:173], v[172:173], v[30:31], -v[32:33]
	scratch_load_b128 v[30:33], off, off offset:752
	v_add_f64 v[199:200], v[199:200], v[223:224]
	v_add_f64 v[217:218], v[217:218], v[221:222]
	v_fma_f64 v[221:222], v[4:5], v[34:35], v[225:226]
	v_fma_f64 v[223:224], v[2:3], v[34:35], -v[36:37]
	scratch_load_b128 v[34:37], off, off offset:768
	ds_load_b128 v[2:5], v1 offset:1488
	s_waitcnt vmcnt(9) lgkmcnt(1)
	v_mul_f64 v[219:220], v[168:169], v[166:167]
	v_mul_f64 v[166:167], v[170:171], v[166:167]
	s_waitcnt vmcnt(8) lgkmcnt(0)
	v_mul_f64 v[225:226], v[2:3], v[40:41]
	v_mul_f64 v[40:41], v[4:5], v[40:41]
	v_add_f64 v[199:200], v[199:200], v[172:173]
	v_add_f64 v[217:218], v[217:218], v[174:175]
	ds_load_b128 v[172:175], v1 offset:1504
	v_fma_f64 v[170:171], v[170:171], v[164:165], v[219:220]
	v_fma_f64 v[168:169], v[168:169], v[164:165], -v[166:167]
	scratch_load_b128 v[164:167], off, off offset:784
	v_add_f64 v[199:200], v[199:200], v[223:224]
	v_add_f64 v[217:218], v[217:218], v[221:222]
	;; [unrolled: 18-line block ×3, first 2 shown]
	v_fma_f64 v[221:222], v[4:5], v[10:11], v[225:226]
	v_fma_f64 v[223:224], v[2:3], v[10:11], -v[12:13]
	scratch_load_b128 v[10:13], off, off offset:832
	ds_load_b128 v[2:5], v1 offset:1552
	s_waitcnt vmcnt(9) lgkmcnt(1)
	v_mul_f64 v[219:220], v[168:169], v[16:17]
	v_mul_f64 v[16:17], v[170:171], v[16:17]
	s_waitcnt vmcnt(8) lgkmcnt(0)
	v_mul_f64 v[225:226], v[2:3], v[20:21]
	v_mul_f64 v[20:21], v[4:5], v[20:21]
	v_add_f64 v[199:200], v[199:200], v[172:173]
	v_add_f64 v[217:218], v[217:218], v[174:175]
	ds_load_b128 v[172:175], v1 offset:1568
	v_fma_f64 v[170:171], v[170:171], v[14:15], v[219:220]
	v_fma_f64 v[14:15], v[168:169], v[14:15], -v[16:17]
	v_add_f64 v[16:17], v[199:200], v[223:224]
	v_add_f64 v[168:169], v[217:218], v[221:222]
	s_waitcnt vmcnt(7) lgkmcnt(0)
	v_mul_f64 v[199:200], v[172:173], v[24:25]
	v_mul_f64 v[24:25], v[174:175], v[24:25]
	v_fma_f64 v[217:218], v[4:5], v[18:19], v[225:226]
	v_fma_f64 v[18:19], v[2:3], v[18:19], -v[20:21]
	v_add_f64 v[20:21], v[16:17], v[14:15]
	v_add_f64 v[168:169], v[168:169], v[170:171]
	ds_load_b128 v[2:5], v1 offset:1584
	ds_load_b128 v[14:17], v1 offset:1600
	v_fma_f64 v[174:175], v[174:175], v[22:23], v[199:200]
	v_fma_f64 v[22:23], v[172:173], v[22:23], -v[24:25]
	s_waitcnt vmcnt(6) lgkmcnt(1)
	v_mul_f64 v[170:171], v[2:3], v[28:29]
	v_mul_f64 v[28:29], v[4:5], v[28:29]
	s_waitcnt vmcnt(5) lgkmcnt(0)
	v_mul_f64 v[24:25], v[14:15], v[32:33]
	v_mul_f64 v[32:33], v[16:17], v[32:33]
	v_add_f64 v[18:19], v[20:21], v[18:19]
	v_add_f64 v[20:21], v[168:169], v[217:218]
	v_fma_f64 v[168:169], v[4:5], v[26:27], v[170:171]
	v_fma_f64 v[26:27], v[2:3], v[26:27], -v[28:29]
	v_fma_f64 v[16:17], v[16:17], v[30:31], v[24:25]
	v_fma_f64 v[14:15], v[14:15], v[30:31], -v[32:33]
	v_add_f64 v[22:23], v[18:19], v[22:23]
	v_add_f64 v[28:29], v[20:21], v[174:175]
	ds_load_b128 v[2:5], v1 offset:1616
	ds_load_b128 v[18:21], v1 offset:1632
	s_waitcnt vmcnt(4) lgkmcnt(1)
	v_mul_f64 v[170:171], v[2:3], v[36:37]
	v_mul_f64 v[36:37], v[4:5], v[36:37]
	v_add_f64 v[22:23], v[22:23], v[26:27]
	v_add_f64 v[24:25], v[28:29], v[168:169]
	s_waitcnt vmcnt(3) lgkmcnt(0)
	v_mul_f64 v[26:27], v[18:19], v[166:167]
	v_mul_f64 v[28:29], v[20:21], v[166:167]
	v_fma_f64 v[30:31], v[4:5], v[34:35], v[170:171]
	v_fma_f64 v[32:33], v[2:3], v[34:35], -v[36:37]
	v_add_f64 v[22:23], v[22:23], v[14:15]
	v_add_f64 v[24:25], v[24:25], v[16:17]
	ds_load_b128 v[2:5], v1 offset:1648
	ds_load_b128 v[14:17], v1 offset:1664
	v_fma_f64 v[20:21], v[20:21], v[164:165], v[26:27]
	v_fma_f64 v[18:19], v[18:19], v[164:165], -v[28:29]
	s_waitcnt vmcnt(2) lgkmcnt(1)
	v_mul_f64 v[34:35], v[2:3], v[40:41]
	v_mul_f64 v[36:37], v[4:5], v[40:41]
	s_waitcnt vmcnt(1) lgkmcnt(0)
	v_mul_f64 v[26:27], v[14:15], v[8:9]
	v_mul_f64 v[8:9], v[16:17], v[8:9]
	v_add_f64 v[22:23], v[22:23], v[32:33]
	v_add_f64 v[24:25], v[24:25], v[30:31]
	v_fma_f64 v[28:29], v[4:5], v[38:39], v[34:35]
	v_fma_f64 v[30:31], v[2:3], v[38:39], -v[36:37]
	ds_load_b128 v[2:5], v1 offset:1680
	v_fma_f64 v[16:17], v[16:17], v[6:7], v[26:27]
	v_fma_f64 v[6:7], v[14:15], v[6:7], -v[8:9]
	v_add_f64 v[18:19], v[22:23], v[18:19]
	v_add_f64 v[20:21], v[24:25], v[20:21]
	s_waitcnt vmcnt(0) lgkmcnt(0)
	v_mul_f64 v[22:23], v[2:3], v[12:13]
	v_mul_f64 v[12:13], v[4:5], v[12:13]
	s_delay_alu instid0(VALU_DEP_4) | instskip(NEXT) | instid1(VALU_DEP_4)
	v_add_f64 v[8:9], v[18:19], v[30:31]
	v_add_f64 v[14:15], v[20:21], v[28:29]
	s_delay_alu instid0(VALU_DEP_4) | instskip(NEXT) | instid1(VALU_DEP_4)
	v_fma_f64 v[4:5], v[4:5], v[10:11], v[22:23]
	v_fma_f64 v[2:3], v[2:3], v[10:11], -v[12:13]
	s_delay_alu instid0(VALU_DEP_4) | instskip(NEXT) | instid1(VALU_DEP_4)
	v_add_f64 v[6:7], v[8:9], v[6:7]
	v_add_f64 v[8:9], v[14:15], v[16:17]
	s_delay_alu instid0(VALU_DEP_2) | instskip(NEXT) | instid1(VALU_DEP_2)
	v_add_f64 v[2:3], v[6:7], v[2:3]
	v_add_f64 v[4:5], v[8:9], v[4:5]
	s_delay_alu instid0(VALU_DEP_2) | instskip(NEXT) | instid1(VALU_DEP_2)
	v_add_f64 v[2:3], v[42:43], -v[2:3]
	v_add_f64 v[4:5], v[44:45], -v[4:5]
	scratch_store_b128 off, v[2:5], off offset:304
	v_cmpx_lt_u32_e32 18, v152
	s_cbranch_execz .LBB52_295
; %bb.294:
	scratch_load_b128 v[5:8], v187, off
	v_mov_b32_e32 v2, v1
	v_mov_b32_e32 v3, v1
	;; [unrolled: 1-line block ×3, first 2 shown]
	scratch_store_b128 off, v[1:4], off offset:288
	s_waitcnt vmcnt(0)
	ds_store_b128 v205, v[5:8]
.LBB52_295:
	s_or_b32 exec_lo, exec_lo, s2
	s_waitcnt lgkmcnt(0)
	s_waitcnt_vscnt null, 0x0
	s_barrier
	buffer_gl0_inv
	s_clause 0x8
	scratch_load_b128 v[2:5], off, off offset:304
	scratch_load_b128 v[6:9], off, off offset:320
	;; [unrolled: 1-line block ×9, first 2 shown]
	ds_load_b128 v[42:45], v1 offset:1152
	ds_load_b128 v[38:41], v1 offset:1168
	s_clause 0x1
	scratch_load_b128 v[164:167], off, off offset:288
	scratch_load_b128 v[168:171], off, off offset:448
	s_mov_b32 s2, exec_lo
	s_waitcnt vmcnt(10) lgkmcnt(1)
	v_mul_f64 v[172:173], v[44:45], v[4:5]
	v_mul_f64 v[4:5], v[42:43], v[4:5]
	s_waitcnt vmcnt(9) lgkmcnt(0)
	v_mul_f64 v[199:200], v[38:39], v[8:9]
	v_mul_f64 v[8:9], v[40:41], v[8:9]
	s_delay_alu instid0(VALU_DEP_4) | instskip(NEXT) | instid1(VALU_DEP_4)
	v_fma_f64 v[217:218], v[42:43], v[2:3], -v[172:173]
	v_fma_f64 v[219:220], v[44:45], v[2:3], v[4:5]
	ds_load_b128 v[2:5], v1 offset:1184
	ds_load_b128 v[172:175], v1 offset:1200
	scratch_load_b128 v[42:45], off, off offset:464
	v_fma_f64 v[40:41], v[40:41], v[6:7], v[199:200]
	v_fma_f64 v[38:39], v[38:39], v[6:7], -v[8:9]
	scratch_load_b128 v[6:9], off, off offset:480
	s_waitcnt vmcnt(10) lgkmcnt(1)
	v_mul_f64 v[221:222], v[2:3], v[12:13]
	v_mul_f64 v[12:13], v[4:5], v[12:13]
	v_add_f64 v[199:200], v[217:218], 0
	v_add_f64 v[217:218], v[219:220], 0
	s_waitcnt vmcnt(9) lgkmcnt(0)
	v_mul_f64 v[219:220], v[172:173], v[16:17]
	v_mul_f64 v[16:17], v[174:175], v[16:17]
	v_fma_f64 v[221:222], v[4:5], v[10:11], v[221:222]
	v_fma_f64 v[223:224], v[2:3], v[10:11], -v[12:13]
	ds_load_b128 v[2:5], v1 offset:1216
	scratch_load_b128 v[10:13], off, off offset:496
	v_add_f64 v[199:200], v[199:200], v[38:39]
	v_add_f64 v[217:218], v[217:218], v[40:41]
	ds_load_b128 v[38:41], v1 offset:1232
	v_fma_f64 v[174:175], v[174:175], v[14:15], v[219:220]
	v_fma_f64 v[172:173], v[172:173], v[14:15], -v[16:17]
	scratch_load_b128 v[14:17], off, off offset:512
	s_waitcnt vmcnt(10) lgkmcnt(1)
	v_mul_f64 v[225:226], v[2:3], v[20:21]
	v_mul_f64 v[20:21], v[4:5], v[20:21]
	s_waitcnt vmcnt(9) lgkmcnt(0)
	v_mul_f64 v[219:220], v[38:39], v[24:25]
	v_mul_f64 v[24:25], v[40:41], v[24:25]
	v_add_f64 v[199:200], v[199:200], v[223:224]
	v_add_f64 v[217:218], v[217:218], v[221:222]
	v_fma_f64 v[221:222], v[4:5], v[18:19], v[225:226]
	v_fma_f64 v[223:224], v[2:3], v[18:19], -v[20:21]
	ds_load_b128 v[2:5], v1 offset:1248
	scratch_load_b128 v[18:21], off, off offset:528
	v_fma_f64 v[40:41], v[40:41], v[22:23], v[219:220]
	v_fma_f64 v[38:39], v[38:39], v[22:23], -v[24:25]
	scratch_load_b128 v[22:25], off, off offset:544
	v_add_f64 v[199:200], v[199:200], v[172:173]
	v_add_f64 v[217:218], v[217:218], v[174:175]
	ds_load_b128 v[172:175], v1 offset:1264
	s_waitcnt vmcnt(10) lgkmcnt(1)
	v_mul_f64 v[225:226], v[2:3], v[28:29]
	v_mul_f64 v[28:29], v[4:5], v[28:29]
	s_waitcnt vmcnt(9) lgkmcnt(0)
	v_mul_f64 v[219:220], v[172:173], v[32:33]
	v_mul_f64 v[32:33], v[174:175], v[32:33]
	v_add_f64 v[199:200], v[199:200], v[223:224]
	v_add_f64 v[217:218], v[217:218], v[221:222]
	v_fma_f64 v[221:222], v[4:5], v[26:27], v[225:226]
	v_fma_f64 v[223:224], v[2:3], v[26:27], -v[28:29]
	ds_load_b128 v[2:5], v1 offset:1280
	scratch_load_b128 v[26:29], off, off offset:560
	v_fma_f64 v[174:175], v[174:175], v[30:31], v[219:220]
	v_fma_f64 v[172:173], v[172:173], v[30:31], -v[32:33]
	scratch_load_b128 v[30:33], off, off offset:576
	v_add_f64 v[199:200], v[199:200], v[38:39]
	v_add_f64 v[217:218], v[217:218], v[40:41]
	ds_load_b128 v[38:41], v1 offset:1296
	s_waitcnt vmcnt(10) lgkmcnt(1)
	v_mul_f64 v[225:226], v[2:3], v[36:37]
	v_mul_f64 v[36:37], v[4:5], v[36:37]
	s_waitcnt vmcnt(8) lgkmcnt(0)
	v_mul_f64 v[219:220], v[38:39], v[170:171]
	v_add_f64 v[199:200], v[199:200], v[223:224]
	v_add_f64 v[217:218], v[217:218], v[221:222]
	v_mul_f64 v[221:222], v[40:41], v[170:171]
	v_fma_f64 v[223:224], v[4:5], v[34:35], v[225:226]
	v_fma_f64 v[225:226], v[2:3], v[34:35], -v[36:37]
	ds_load_b128 v[2:5], v1 offset:1312
	scratch_load_b128 v[34:37], off, off offset:592
	v_fma_f64 v[219:220], v[40:41], v[168:169], v[219:220]
	v_add_f64 v[199:200], v[199:200], v[172:173]
	v_add_f64 v[174:175], v[217:218], v[174:175]
	ds_load_b128 v[170:173], v1 offset:1328
	v_fma_f64 v[168:169], v[38:39], v[168:169], -v[221:222]
	scratch_load_b128 v[38:41], off, off offset:608
	s_waitcnt vmcnt(9) lgkmcnt(1)
	v_mul_f64 v[217:218], v[2:3], v[44:45]
	v_mul_f64 v[44:45], v[4:5], v[44:45]
	s_waitcnt vmcnt(8) lgkmcnt(0)
	v_mul_f64 v[221:222], v[170:171], v[8:9]
	v_mul_f64 v[8:9], v[172:173], v[8:9]
	v_add_f64 v[199:200], v[199:200], v[225:226]
	v_add_f64 v[174:175], v[174:175], v[223:224]
	v_fma_f64 v[223:224], v[4:5], v[42:43], v[217:218]
	v_fma_f64 v[225:226], v[2:3], v[42:43], -v[44:45]
	ds_load_b128 v[2:5], v1 offset:1344
	scratch_load_b128 v[42:45], off, off offset:624
	v_fma_f64 v[172:173], v[172:173], v[6:7], v[221:222]
	v_fma_f64 v[170:171], v[170:171], v[6:7], -v[8:9]
	scratch_load_b128 v[6:9], off, off offset:640
	v_add_f64 v[168:169], v[199:200], v[168:169]
	v_add_f64 v[174:175], v[174:175], v[219:220]
	ds_load_b128 v[217:220], v1 offset:1360
	s_waitcnt vmcnt(9) lgkmcnt(1)
	v_mul_f64 v[199:200], v[2:3], v[12:13]
	v_mul_f64 v[12:13], v[4:5], v[12:13]
	s_waitcnt vmcnt(8) lgkmcnt(0)
	v_mul_f64 v[221:222], v[217:218], v[16:17]
	v_mul_f64 v[16:17], v[219:220], v[16:17]
	v_add_f64 v[168:169], v[168:169], v[225:226]
	v_add_f64 v[174:175], v[174:175], v[223:224]
	v_fma_f64 v[199:200], v[4:5], v[10:11], v[199:200]
	v_fma_f64 v[223:224], v[2:3], v[10:11], -v[12:13]
	ds_load_b128 v[2:5], v1 offset:1376
	scratch_load_b128 v[10:13], off, off offset:656
	v_fma_f64 v[219:220], v[219:220], v[14:15], v[221:222]
	v_fma_f64 v[217:218], v[217:218], v[14:15], -v[16:17]
	scratch_load_b128 v[14:17], off, off offset:672
	v_add_f64 v[225:226], v[168:169], v[170:171]
	v_add_f64 v[172:173], v[174:175], v[172:173]
	ds_load_b128 v[168:171], v1 offset:1392
	s_waitcnt vmcnt(9) lgkmcnt(1)
	v_mul_f64 v[174:175], v[2:3], v[20:21]
	v_mul_f64 v[20:21], v[4:5], v[20:21]
	v_add_f64 v[221:222], v[225:226], v[223:224]
	v_add_f64 v[172:173], v[172:173], v[199:200]
	s_waitcnt vmcnt(8) lgkmcnt(0)
	v_mul_f64 v[199:200], v[168:169], v[24:25]
	v_mul_f64 v[24:25], v[170:171], v[24:25]
	v_fma_f64 v[223:224], v[4:5], v[18:19], v[174:175]
	v_fma_f64 v[225:226], v[2:3], v[18:19], -v[20:21]
	ds_load_b128 v[2:5], v1 offset:1408
	scratch_load_b128 v[18:21], off, off offset:688
	v_add_f64 v[217:218], v[221:222], v[217:218]
	v_add_f64 v[219:220], v[172:173], v[219:220]
	ds_load_b128 v[172:175], v1 offset:1424
	s_waitcnt vmcnt(8) lgkmcnt(1)
	v_mul_f64 v[221:222], v[2:3], v[28:29]
	v_mul_f64 v[28:29], v[4:5], v[28:29]
	v_fma_f64 v[170:171], v[170:171], v[22:23], v[199:200]
	v_fma_f64 v[168:169], v[168:169], v[22:23], -v[24:25]
	scratch_load_b128 v[22:25], off, off offset:704
	v_add_f64 v[199:200], v[217:218], v[225:226]
	v_add_f64 v[217:218], v[219:220], v[223:224]
	s_waitcnt vmcnt(8) lgkmcnt(0)
	v_mul_f64 v[219:220], v[172:173], v[32:33]
	v_mul_f64 v[32:33], v[174:175], v[32:33]
	v_fma_f64 v[221:222], v[4:5], v[26:27], v[221:222]
	v_fma_f64 v[223:224], v[2:3], v[26:27], -v[28:29]
	ds_load_b128 v[2:5], v1 offset:1440
	scratch_load_b128 v[26:29], off, off offset:720
	v_add_f64 v[199:200], v[199:200], v[168:169]
	v_add_f64 v[217:218], v[217:218], v[170:171]
	ds_load_b128 v[168:171], v1 offset:1456
	s_waitcnt vmcnt(8) lgkmcnt(1)
	v_mul_f64 v[225:226], v[2:3], v[36:37]
	v_mul_f64 v[36:37], v[4:5], v[36:37]
	v_fma_f64 v[174:175], v[174:175], v[30:31], v[219:220]
	v_fma_f64 v[172:173], v[172:173], v[30:31], -v[32:33]
	scratch_load_b128 v[30:33], off, off offset:736
	s_waitcnt vmcnt(8) lgkmcnt(0)
	v_mul_f64 v[219:220], v[168:169], v[40:41]
	v_mul_f64 v[40:41], v[170:171], v[40:41]
	v_add_f64 v[199:200], v[199:200], v[223:224]
	v_add_f64 v[217:218], v[217:218], v[221:222]
	v_fma_f64 v[221:222], v[4:5], v[34:35], v[225:226]
	v_fma_f64 v[223:224], v[2:3], v[34:35], -v[36:37]
	ds_load_b128 v[2:5], v1 offset:1472
	scratch_load_b128 v[34:37], off, off offset:752
	v_fma_f64 v[170:171], v[170:171], v[38:39], v[219:220]
	v_fma_f64 v[168:169], v[168:169], v[38:39], -v[40:41]
	scratch_load_b128 v[38:41], off, off offset:768
	v_add_f64 v[199:200], v[199:200], v[172:173]
	v_add_f64 v[217:218], v[217:218], v[174:175]
	ds_load_b128 v[172:175], v1 offset:1488
	s_waitcnt vmcnt(9) lgkmcnt(1)
	v_mul_f64 v[225:226], v[2:3], v[44:45]
	v_mul_f64 v[44:45], v[4:5], v[44:45]
	s_waitcnt vmcnt(8) lgkmcnt(0)
	v_mul_f64 v[219:220], v[172:173], v[8:9]
	v_mul_f64 v[8:9], v[174:175], v[8:9]
	v_add_f64 v[199:200], v[199:200], v[223:224]
	v_add_f64 v[217:218], v[217:218], v[221:222]
	v_fma_f64 v[221:222], v[4:5], v[42:43], v[225:226]
	v_fma_f64 v[223:224], v[2:3], v[42:43], -v[44:45]
	ds_load_b128 v[2:5], v1 offset:1504
	scratch_load_b128 v[42:45], off, off offset:784
	v_fma_f64 v[174:175], v[174:175], v[6:7], v[219:220]
	v_fma_f64 v[172:173], v[172:173], v[6:7], -v[8:9]
	scratch_load_b128 v[6:9], off, off offset:800
	v_add_f64 v[199:200], v[199:200], v[168:169]
	v_add_f64 v[217:218], v[217:218], v[170:171]
	ds_load_b128 v[168:171], v1 offset:1520
	s_waitcnt vmcnt(9) lgkmcnt(1)
	v_mul_f64 v[225:226], v[2:3], v[12:13]
	v_mul_f64 v[12:13], v[4:5], v[12:13]
	s_waitcnt vmcnt(8) lgkmcnt(0)
	v_mul_f64 v[219:220], v[168:169], v[16:17]
	v_mul_f64 v[16:17], v[170:171], v[16:17]
	v_add_f64 v[199:200], v[199:200], v[223:224]
	v_add_f64 v[217:218], v[217:218], v[221:222]
	v_fma_f64 v[221:222], v[4:5], v[10:11], v[225:226]
	v_fma_f64 v[223:224], v[2:3], v[10:11], -v[12:13]
	ds_load_b128 v[2:5], v1 offset:1536
	scratch_load_b128 v[10:13], off, off offset:816
	v_fma_f64 v[170:171], v[170:171], v[14:15], v[219:220]
	v_fma_f64 v[168:169], v[168:169], v[14:15], -v[16:17]
	scratch_load_b128 v[14:17], off, off offset:832
	v_add_f64 v[199:200], v[199:200], v[172:173]
	v_add_f64 v[217:218], v[217:218], v[174:175]
	ds_load_b128 v[172:175], v1 offset:1552
	s_waitcnt vmcnt(9) lgkmcnt(1)
	v_mul_f64 v[225:226], v[2:3], v[20:21]
	v_mul_f64 v[20:21], v[4:5], v[20:21]
	s_waitcnt vmcnt(8) lgkmcnt(0)
	v_mul_f64 v[219:220], v[172:173], v[24:25]
	v_mul_f64 v[24:25], v[174:175], v[24:25]
	v_add_f64 v[199:200], v[199:200], v[223:224]
	v_add_f64 v[217:218], v[217:218], v[221:222]
	v_fma_f64 v[221:222], v[4:5], v[18:19], v[225:226]
	v_fma_f64 v[223:224], v[2:3], v[18:19], -v[20:21]
	ds_load_b128 v[2:5], v1 offset:1568
	ds_load_b128 v[18:21], v1 offset:1584
	v_fma_f64 v[174:175], v[174:175], v[22:23], v[219:220]
	v_fma_f64 v[22:23], v[172:173], v[22:23], -v[24:25]
	v_add_f64 v[168:169], v[199:200], v[168:169]
	v_add_f64 v[170:171], v[217:218], v[170:171]
	s_waitcnt vmcnt(7) lgkmcnt(1)
	v_mul_f64 v[199:200], v[2:3], v[28:29]
	v_mul_f64 v[28:29], v[4:5], v[28:29]
	s_delay_alu instid0(VALU_DEP_4) | instskip(NEXT) | instid1(VALU_DEP_4)
	v_add_f64 v[24:25], v[168:169], v[223:224]
	v_add_f64 v[168:169], v[170:171], v[221:222]
	s_waitcnt vmcnt(6) lgkmcnt(0)
	v_mul_f64 v[170:171], v[18:19], v[32:33]
	v_mul_f64 v[32:33], v[20:21], v[32:33]
	v_fma_f64 v[172:173], v[4:5], v[26:27], v[199:200]
	v_fma_f64 v[26:27], v[2:3], v[26:27], -v[28:29]
	v_add_f64 v[28:29], v[24:25], v[22:23]
	v_add_f64 v[168:169], v[168:169], v[174:175]
	ds_load_b128 v[2:5], v1 offset:1600
	ds_load_b128 v[22:25], v1 offset:1616
	v_fma_f64 v[20:21], v[20:21], v[30:31], v[170:171]
	v_fma_f64 v[18:19], v[18:19], v[30:31], -v[32:33]
	s_waitcnt vmcnt(5) lgkmcnt(1)
	v_mul_f64 v[174:175], v[2:3], v[36:37]
	v_mul_f64 v[36:37], v[4:5], v[36:37]
	s_waitcnt vmcnt(4) lgkmcnt(0)
	v_mul_f64 v[30:31], v[22:23], v[40:41]
	v_mul_f64 v[32:33], v[24:25], v[40:41]
	v_add_f64 v[26:27], v[28:29], v[26:27]
	v_add_f64 v[28:29], v[168:169], v[172:173]
	v_fma_f64 v[40:41], v[4:5], v[34:35], v[174:175]
	v_fma_f64 v[34:35], v[2:3], v[34:35], -v[36:37]
	v_fma_f64 v[24:25], v[24:25], v[38:39], v[30:31]
	v_fma_f64 v[22:23], v[22:23], v[38:39], -v[32:33]
	v_add_f64 v[26:27], v[26:27], v[18:19]
	v_add_f64 v[28:29], v[28:29], v[20:21]
	ds_load_b128 v[2:5], v1 offset:1632
	ds_load_b128 v[18:21], v1 offset:1648
	s_waitcnt vmcnt(3) lgkmcnt(1)
	v_mul_f64 v[36:37], v[2:3], v[44:45]
	v_mul_f64 v[44:45], v[4:5], v[44:45]
	s_waitcnt vmcnt(2) lgkmcnt(0)
	v_mul_f64 v[30:31], v[18:19], v[8:9]
	v_mul_f64 v[8:9], v[20:21], v[8:9]
	v_add_f64 v[26:27], v[26:27], v[34:35]
	v_add_f64 v[28:29], v[28:29], v[40:41]
	v_fma_f64 v[32:33], v[4:5], v[42:43], v[36:37]
	v_fma_f64 v[34:35], v[2:3], v[42:43], -v[44:45]
	v_fma_f64 v[20:21], v[20:21], v[6:7], v[30:31]
	v_fma_f64 v[6:7], v[18:19], v[6:7], -v[8:9]
	v_add_f64 v[26:27], v[26:27], v[22:23]
	v_add_f64 v[28:29], v[28:29], v[24:25]
	ds_load_b128 v[2:5], v1 offset:1664
	ds_load_b128 v[22:25], v1 offset:1680
	s_waitcnt vmcnt(1) lgkmcnt(1)
	v_mul_f64 v[36:37], v[2:3], v[12:13]
	v_mul_f64 v[12:13], v[4:5], v[12:13]
	v_add_f64 v[8:9], v[26:27], v[34:35]
	v_add_f64 v[18:19], v[28:29], v[32:33]
	s_waitcnt vmcnt(0) lgkmcnt(0)
	v_mul_f64 v[26:27], v[22:23], v[16:17]
	v_mul_f64 v[16:17], v[24:25], v[16:17]
	v_fma_f64 v[4:5], v[4:5], v[10:11], v[36:37]
	v_fma_f64 v[1:2], v[2:3], v[10:11], -v[12:13]
	v_add_f64 v[6:7], v[8:9], v[6:7]
	v_add_f64 v[8:9], v[18:19], v[20:21]
	v_fma_f64 v[10:11], v[24:25], v[14:15], v[26:27]
	v_fma_f64 v[12:13], v[22:23], v[14:15], -v[16:17]
	s_delay_alu instid0(VALU_DEP_4) | instskip(NEXT) | instid1(VALU_DEP_4)
	v_add_f64 v[1:2], v[6:7], v[1:2]
	v_add_f64 v[3:4], v[8:9], v[4:5]
	s_delay_alu instid0(VALU_DEP_2) | instskip(NEXT) | instid1(VALU_DEP_2)
	v_add_f64 v[1:2], v[1:2], v[12:13]
	v_add_f64 v[3:4], v[3:4], v[10:11]
	s_delay_alu instid0(VALU_DEP_2) | instskip(NEXT) | instid1(VALU_DEP_2)
	v_add_f64 v[1:2], v[164:165], -v[1:2]
	v_add_f64 v[3:4], v[166:167], -v[3:4]
	scratch_store_b128 off, v[1:4], off offset:288
	v_cmpx_lt_u32_e32 17, v152
	s_cbranch_execz .LBB52_297
; %bb.296:
	scratch_load_b128 v[1:4], v188, off
	v_mov_b32_e32 v5, 0
	s_delay_alu instid0(VALU_DEP_1)
	v_mov_b32_e32 v6, v5
	v_mov_b32_e32 v7, v5
	;; [unrolled: 1-line block ×3, first 2 shown]
	scratch_store_b128 off, v[5:8], off offset:272
	s_waitcnt vmcnt(0)
	ds_store_b128 v205, v[1:4]
.LBB52_297:
	s_or_b32 exec_lo, exec_lo, s2
	s_waitcnt lgkmcnt(0)
	s_waitcnt_vscnt null, 0x0
	s_barrier
	buffer_gl0_inv
	s_clause 0x7
	scratch_load_b128 v[2:5], off, off offset:288
	scratch_load_b128 v[6:9], off, off offset:304
	;; [unrolled: 1-line block ×8, first 2 shown]
	v_mov_b32_e32 v1, 0
	s_mov_b32 s2, exec_lo
	ds_load_b128 v[38:41], v1 offset:1136
	s_clause 0x1
	scratch_load_b128 v[34:37], off, off offset:416
	scratch_load_b128 v[42:45], off, off offset:272
	ds_load_b128 v[164:167], v1 offset:1152
	scratch_load_b128 v[168:171], off, off offset:432
	s_waitcnt vmcnt(10) lgkmcnt(1)
	v_mul_f64 v[172:173], v[40:41], v[4:5]
	v_mul_f64 v[4:5], v[38:39], v[4:5]
	s_delay_alu instid0(VALU_DEP_2) | instskip(NEXT) | instid1(VALU_DEP_2)
	v_fma_f64 v[217:218], v[38:39], v[2:3], -v[172:173]
	v_fma_f64 v[219:220], v[40:41], v[2:3], v[4:5]
	scratch_load_b128 v[38:41], off, off offset:448
	ds_load_b128 v[2:5], v1 offset:1168
	s_waitcnt vmcnt(10) lgkmcnt(1)
	v_mul_f64 v[199:200], v[164:165], v[8:9]
	v_mul_f64 v[8:9], v[166:167], v[8:9]
	ds_load_b128 v[172:175], v1 offset:1184
	s_waitcnt vmcnt(9) lgkmcnt(1)
	v_mul_f64 v[221:222], v[2:3], v[12:13]
	v_mul_f64 v[12:13], v[4:5], v[12:13]
	v_fma_f64 v[166:167], v[166:167], v[6:7], v[199:200]
	v_fma_f64 v[164:165], v[164:165], v[6:7], -v[8:9]
	v_add_f64 v[199:200], v[217:218], 0
	v_add_f64 v[217:218], v[219:220], 0
	scratch_load_b128 v[6:9], off, off offset:464
	v_fma_f64 v[221:222], v[4:5], v[10:11], v[221:222]
	v_fma_f64 v[223:224], v[2:3], v[10:11], -v[12:13]
	scratch_load_b128 v[10:13], off, off offset:480
	ds_load_b128 v[2:5], v1 offset:1200
	s_waitcnt vmcnt(10) lgkmcnt(1)
	v_mul_f64 v[219:220], v[172:173], v[16:17]
	v_mul_f64 v[16:17], v[174:175], v[16:17]
	v_add_f64 v[199:200], v[199:200], v[164:165]
	v_add_f64 v[217:218], v[217:218], v[166:167]
	s_waitcnt vmcnt(9) lgkmcnt(0)
	v_mul_f64 v[225:226], v[2:3], v[20:21]
	v_mul_f64 v[20:21], v[4:5], v[20:21]
	ds_load_b128 v[164:167], v1 offset:1216
	v_fma_f64 v[174:175], v[174:175], v[14:15], v[219:220]
	v_fma_f64 v[172:173], v[172:173], v[14:15], -v[16:17]
	scratch_load_b128 v[14:17], off, off offset:496
	v_add_f64 v[199:200], v[199:200], v[223:224]
	v_add_f64 v[217:218], v[217:218], v[221:222]
	v_fma_f64 v[221:222], v[4:5], v[18:19], v[225:226]
	v_fma_f64 v[223:224], v[2:3], v[18:19], -v[20:21]
	scratch_load_b128 v[18:21], off, off offset:512
	ds_load_b128 v[2:5], v1 offset:1232
	s_waitcnt vmcnt(10) lgkmcnt(1)
	v_mul_f64 v[219:220], v[164:165], v[24:25]
	v_mul_f64 v[24:25], v[166:167], v[24:25]
	s_waitcnt vmcnt(9) lgkmcnt(0)
	v_mul_f64 v[225:226], v[2:3], v[28:29]
	v_mul_f64 v[28:29], v[4:5], v[28:29]
	v_add_f64 v[199:200], v[199:200], v[172:173]
	v_add_f64 v[217:218], v[217:218], v[174:175]
	ds_load_b128 v[172:175], v1 offset:1248
	v_fma_f64 v[166:167], v[166:167], v[22:23], v[219:220]
	v_fma_f64 v[164:165], v[164:165], v[22:23], -v[24:25]
	scratch_load_b128 v[22:25], off, off offset:528
	v_add_f64 v[199:200], v[199:200], v[223:224]
	v_add_f64 v[217:218], v[217:218], v[221:222]
	v_fma_f64 v[221:222], v[4:5], v[26:27], v[225:226]
	v_fma_f64 v[223:224], v[2:3], v[26:27], -v[28:29]
	scratch_load_b128 v[26:29], off, off offset:544
	ds_load_b128 v[2:5], v1 offset:1264
	s_waitcnt vmcnt(10) lgkmcnt(1)
	v_mul_f64 v[219:220], v[172:173], v[32:33]
	v_mul_f64 v[32:33], v[174:175], v[32:33]
	s_waitcnt vmcnt(9) lgkmcnt(0)
	v_mul_f64 v[225:226], v[2:3], v[36:37]
	v_mul_f64 v[36:37], v[4:5], v[36:37]
	v_add_f64 v[199:200], v[199:200], v[164:165]
	v_add_f64 v[217:218], v[217:218], v[166:167]
	ds_load_b128 v[164:167], v1 offset:1280
	v_fma_f64 v[174:175], v[174:175], v[30:31], v[219:220]
	v_fma_f64 v[172:173], v[172:173], v[30:31], -v[32:33]
	scratch_load_b128 v[30:33], off, off offset:560
	v_add_f64 v[199:200], v[199:200], v[223:224]
	v_add_f64 v[217:218], v[217:218], v[221:222]
	v_fma_f64 v[223:224], v[4:5], v[34:35], v[225:226]
	v_fma_f64 v[225:226], v[2:3], v[34:35], -v[36:37]
	scratch_load_b128 v[34:37], off, off offset:576
	ds_load_b128 v[2:5], v1 offset:1296
	s_waitcnt vmcnt(9) lgkmcnt(1)
	v_mul_f64 v[219:220], v[164:165], v[170:171]
	v_mul_f64 v[221:222], v[166:167], v[170:171]
	v_add_f64 v[199:200], v[199:200], v[172:173]
	v_add_f64 v[174:175], v[217:218], v[174:175]
	ds_load_b128 v[170:173], v1 offset:1312
	v_fma_f64 v[219:220], v[166:167], v[168:169], v[219:220]
	v_fma_f64 v[168:169], v[164:165], v[168:169], -v[221:222]
	scratch_load_b128 v[164:167], off, off offset:592
	s_waitcnt vmcnt(9) lgkmcnt(1)
	v_mul_f64 v[217:218], v[2:3], v[40:41]
	v_mul_f64 v[40:41], v[4:5], v[40:41]
	v_add_f64 v[199:200], v[199:200], v[225:226]
	v_add_f64 v[174:175], v[174:175], v[223:224]
	s_delay_alu instid0(VALU_DEP_4) | instskip(NEXT) | instid1(VALU_DEP_4)
	v_fma_f64 v[223:224], v[4:5], v[38:39], v[217:218]
	v_fma_f64 v[225:226], v[2:3], v[38:39], -v[40:41]
	scratch_load_b128 v[38:41], off, off offset:608
	ds_load_b128 v[2:5], v1 offset:1328
	s_waitcnt vmcnt(9) lgkmcnt(1)
	v_mul_f64 v[221:222], v[170:171], v[8:9]
	v_mul_f64 v[8:9], v[172:173], v[8:9]
	v_add_f64 v[168:169], v[199:200], v[168:169]
	v_add_f64 v[174:175], v[174:175], v[219:220]
	s_waitcnt vmcnt(8) lgkmcnt(0)
	v_mul_f64 v[199:200], v[2:3], v[12:13]
	v_mul_f64 v[12:13], v[4:5], v[12:13]
	ds_load_b128 v[217:220], v1 offset:1344
	v_fma_f64 v[172:173], v[172:173], v[6:7], v[221:222]
	v_fma_f64 v[170:171], v[170:171], v[6:7], -v[8:9]
	scratch_load_b128 v[6:9], off, off offset:624
	v_add_f64 v[168:169], v[168:169], v[225:226]
	v_add_f64 v[174:175], v[174:175], v[223:224]
	v_fma_f64 v[199:200], v[4:5], v[10:11], v[199:200]
	v_fma_f64 v[223:224], v[2:3], v[10:11], -v[12:13]
	scratch_load_b128 v[10:13], off, off offset:640
	ds_load_b128 v[2:5], v1 offset:1360
	s_waitcnt vmcnt(9) lgkmcnt(1)
	v_mul_f64 v[221:222], v[217:218], v[16:17]
	v_mul_f64 v[16:17], v[219:220], v[16:17]
	v_add_f64 v[225:226], v[168:169], v[170:171]
	v_add_f64 v[172:173], v[174:175], v[172:173]
	s_waitcnt vmcnt(8) lgkmcnt(0)
	v_mul_f64 v[174:175], v[2:3], v[20:21]
	v_mul_f64 v[20:21], v[4:5], v[20:21]
	ds_load_b128 v[168:171], v1 offset:1376
	v_fma_f64 v[219:220], v[219:220], v[14:15], v[221:222]
	v_fma_f64 v[217:218], v[217:218], v[14:15], -v[16:17]
	scratch_load_b128 v[14:17], off, off offset:656
	v_add_f64 v[221:222], v[225:226], v[223:224]
	v_add_f64 v[172:173], v[172:173], v[199:200]
	;; [unrolled: 18-line block ×3, first 2 shown]
	v_fma_f64 v[221:222], v[4:5], v[26:27], v[221:222]
	v_fma_f64 v[223:224], v[2:3], v[26:27], -v[28:29]
	scratch_load_b128 v[26:29], off, off offset:704
	ds_load_b128 v[2:5], v1 offset:1424
	s_waitcnt vmcnt(9) lgkmcnt(1)
	v_mul_f64 v[219:220], v[172:173], v[32:33]
	v_mul_f64 v[32:33], v[174:175], v[32:33]
	s_waitcnt vmcnt(8) lgkmcnt(0)
	v_mul_f64 v[225:226], v[2:3], v[36:37]
	v_mul_f64 v[36:37], v[4:5], v[36:37]
	v_add_f64 v[199:200], v[199:200], v[168:169]
	v_add_f64 v[217:218], v[217:218], v[170:171]
	ds_load_b128 v[168:171], v1 offset:1440
	v_fma_f64 v[174:175], v[174:175], v[30:31], v[219:220]
	v_fma_f64 v[172:173], v[172:173], v[30:31], -v[32:33]
	scratch_load_b128 v[30:33], off, off offset:720
	v_add_f64 v[199:200], v[199:200], v[223:224]
	v_add_f64 v[217:218], v[217:218], v[221:222]
	v_fma_f64 v[221:222], v[4:5], v[34:35], v[225:226]
	v_fma_f64 v[223:224], v[2:3], v[34:35], -v[36:37]
	scratch_load_b128 v[34:37], off, off offset:736
	ds_load_b128 v[2:5], v1 offset:1456
	s_waitcnt vmcnt(9) lgkmcnt(1)
	v_mul_f64 v[219:220], v[168:169], v[166:167]
	v_mul_f64 v[166:167], v[170:171], v[166:167]
	s_waitcnt vmcnt(8) lgkmcnt(0)
	v_mul_f64 v[225:226], v[2:3], v[40:41]
	v_mul_f64 v[40:41], v[4:5], v[40:41]
	v_add_f64 v[199:200], v[199:200], v[172:173]
	v_add_f64 v[217:218], v[217:218], v[174:175]
	ds_load_b128 v[172:175], v1 offset:1472
	v_fma_f64 v[170:171], v[170:171], v[164:165], v[219:220]
	v_fma_f64 v[168:169], v[168:169], v[164:165], -v[166:167]
	scratch_load_b128 v[164:167], off, off offset:752
	v_add_f64 v[199:200], v[199:200], v[223:224]
	v_add_f64 v[217:218], v[217:218], v[221:222]
	;; [unrolled: 18-line block ×4, first 2 shown]
	v_fma_f64 v[221:222], v[4:5], v[18:19], v[225:226]
	v_fma_f64 v[223:224], v[2:3], v[18:19], -v[20:21]
	scratch_load_b128 v[18:21], off, off offset:832
	ds_load_b128 v[2:5], v1 offset:1552
	s_waitcnt vmcnt(9) lgkmcnt(1)
	v_mul_f64 v[219:220], v[172:173], v[24:25]
	v_mul_f64 v[24:25], v[174:175], v[24:25]
	s_waitcnt vmcnt(8) lgkmcnt(0)
	v_mul_f64 v[225:226], v[2:3], v[28:29]
	v_mul_f64 v[28:29], v[4:5], v[28:29]
	v_add_f64 v[199:200], v[199:200], v[168:169]
	v_add_f64 v[217:218], v[217:218], v[170:171]
	ds_load_b128 v[168:171], v1 offset:1568
	v_fma_f64 v[174:175], v[174:175], v[22:23], v[219:220]
	v_fma_f64 v[22:23], v[172:173], v[22:23], -v[24:25]
	v_add_f64 v[24:25], v[199:200], v[223:224]
	v_add_f64 v[172:173], v[217:218], v[221:222]
	s_waitcnt vmcnt(7) lgkmcnt(0)
	v_mul_f64 v[199:200], v[168:169], v[32:33]
	v_mul_f64 v[32:33], v[170:171], v[32:33]
	v_fma_f64 v[217:218], v[4:5], v[26:27], v[225:226]
	v_fma_f64 v[26:27], v[2:3], v[26:27], -v[28:29]
	v_add_f64 v[28:29], v[24:25], v[22:23]
	v_add_f64 v[172:173], v[172:173], v[174:175]
	ds_load_b128 v[2:5], v1 offset:1584
	ds_load_b128 v[22:25], v1 offset:1600
	v_fma_f64 v[170:171], v[170:171], v[30:31], v[199:200]
	v_fma_f64 v[30:31], v[168:169], v[30:31], -v[32:33]
	s_waitcnt vmcnt(6) lgkmcnt(1)
	v_mul_f64 v[174:175], v[2:3], v[36:37]
	v_mul_f64 v[36:37], v[4:5], v[36:37]
	s_waitcnt vmcnt(5) lgkmcnt(0)
	v_mul_f64 v[32:33], v[22:23], v[166:167]
	v_mul_f64 v[166:167], v[24:25], v[166:167]
	v_add_f64 v[26:27], v[28:29], v[26:27]
	v_add_f64 v[28:29], v[172:173], v[217:218]
	v_fma_f64 v[168:169], v[4:5], v[34:35], v[174:175]
	v_fma_f64 v[34:35], v[2:3], v[34:35], -v[36:37]
	v_fma_f64 v[24:25], v[24:25], v[164:165], v[32:33]
	v_fma_f64 v[22:23], v[22:23], v[164:165], -v[166:167]
	v_add_f64 v[30:31], v[26:27], v[30:31]
	v_add_f64 v[36:37], v[28:29], v[170:171]
	ds_load_b128 v[2:5], v1 offset:1616
	ds_load_b128 v[26:29], v1 offset:1632
	s_waitcnt vmcnt(4) lgkmcnt(1)
	v_mul_f64 v[170:171], v[2:3], v[40:41]
	v_mul_f64 v[40:41], v[4:5], v[40:41]
	v_add_f64 v[30:31], v[30:31], v[34:35]
	v_add_f64 v[32:33], v[36:37], v[168:169]
	s_waitcnt vmcnt(3) lgkmcnt(0)
	v_mul_f64 v[34:35], v[26:27], v[8:9]
	v_mul_f64 v[8:9], v[28:29], v[8:9]
	v_fma_f64 v[36:37], v[4:5], v[38:39], v[170:171]
	v_fma_f64 v[38:39], v[2:3], v[38:39], -v[40:41]
	v_add_f64 v[30:31], v[30:31], v[22:23]
	v_add_f64 v[32:33], v[32:33], v[24:25]
	ds_load_b128 v[2:5], v1 offset:1648
	ds_load_b128 v[22:25], v1 offset:1664
	v_fma_f64 v[28:29], v[28:29], v[6:7], v[34:35]
	v_fma_f64 v[6:7], v[26:27], v[6:7], -v[8:9]
	s_waitcnt vmcnt(2) lgkmcnt(1)
	v_mul_f64 v[40:41], v[2:3], v[12:13]
	v_mul_f64 v[12:13], v[4:5], v[12:13]
	v_add_f64 v[8:9], v[30:31], v[38:39]
	v_add_f64 v[26:27], v[32:33], v[36:37]
	s_waitcnt vmcnt(1) lgkmcnt(0)
	v_mul_f64 v[30:31], v[22:23], v[16:17]
	v_mul_f64 v[16:17], v[24:25], v[16:17]
	v_fma_f64 v[32:33], v[4:5], v[10:11], v[40:41]
	v_fma_f64 v[10:11], v[2:3], v[10:11], -v[12:13]
	ds_load_b128 v[2:5], v1 offset:1680
	v_add_f64 v[6:7], v[8:9], v[6:7]
	v_add_f64 v[8:9], v[26:27], v[28:29]
	v_fma_f64 v[24:25], v[24:25], v[14:15], v[30:31]
	v_fma_f64 v[14:15], v[22:23], v[14:15], -v[16:17]
	s_waitcnt vmcnt(0) lgkmcnt(0)
	v_mul_f64 v[12:13], v[2:3], v[20:21]
	v_mul_f64 v[20:21], v[4:5], v[20:21]
	v_add_f64 v[6:7], v[6:7], v[10:11]
	v_add_f64 v[8:9], v[8:9], v[32:33]
	s_delay_alu instid0(VALU_DEP_4) | instskip(NEXT) | instid1(VALU_DEP_4)
	v_fma_f64 v[4:5], v[4:5], v[18:19], v[12:13]
	v_fma_f64 v[2:3], v[2:3], v[18:19], -v[20:21]
	s_delay_alu instid0(VALU_DEP_4) | instskip(NEXT) | instid1(VALU_DEP_4)
	v_add_f64 v[6:7], v[6:7], v[14:15]
	v_add_f64 v[8:9], v[8:9], v[24:25]
	s_delay_alu instid0(VALU_DEP_2) | instskip(NEXT) | instid1(VALU_DEP_2)
	v_add_f64 v[2:3], v[6:7], v[2:3]
	v_add_f64 v[4:5], v[8:9], v[4:5]
	s_delay_alu instid0(VALU_DEP_2) | instskip(NEXT) | instid1(VALU_DEP_2)
	v_add_f64 v[2:3], v[42:43], -v[2:3]
	v_add_f64 v[4:5], v[44:45], -v[4:5]
	scratch_store_b128 off, v[2:5], off offset:272
	v_cmpx_lt_u32_e32 16, v152
	s_cbranch_execz .LBB52_299
; %bb.298:
	scratch_load_b128 v[5:8], v189, off
	v_mov_b32_e32 v2, v1
	v_mov_b32_e32 v3, v1
	;; [unrolled: 1-line block ×3, first 2 shown]
	scratch_store_b128 off, v[1:4], off offset:256
	s_waitcnt vmcnt(0)
	ds_store_b128 v205, v[5:8]
.LBB52_299:
	s_or_b32 exec_lo, exec_lo, s2
	s_waitcnt lgkmcnt(0)
	s_waitcnt_vscnt null, 0x0
	s_barrier
	buffer_gl0_inv
	s_clause 0x8
	scratch_load_b128 v[2:5], off, off offset:272
	scratch_load_b128 v[6:9], off, off offset:288
	;; [unrolled: 1-line block ×9, first 2 shown]
	ds_load_b128 v[42:45], v1 offset:1120
	ds_load_b128 v[38:41], v1 offset:1136
	s_clause 0x1
	scratch_load_b128 v[164:167], off, off offset:256
	scratch_load_b128 v[168:171], off, off offset:416
	s_mov_b32 s2, exec_lo
	s_waitcnt vmcnt(10) lgkmcnt(1)
	v_mul_f64 v[172:173], v[44:45], v[4:5]
	v_mul_f64 v[4:5], v[42:43], v[4:5]
	s_waitcnt vmcnt(9) lgkmcnt(0)
	v_mul_f64 v[199:200], v[38:39], v[8:9]
	v_mul_f64 v[8:9], v[40:41], v[8:9]
	s_delay_alu instid0(VALU_DEP_4) | instskip(NEXT) | instid1(VALU_DEP_4)
	v_fma_f64 v[217:218], v[42:43], v[2:3], -v[172:173]
	v_fma_f64 v[219:220], v[44:45], v[2:3], v[4:5]
	ds_load_b128 v[2:5], v1 offset:1152
	ds_load_b128 v[172:175], v1 offset:1168
	scratch_load_b128 v[42:45], off, off offset:432
	v_fma_f64 v[40:41], v[40:41], v[6:7], v[199:200]
	v_fma_f64 v[38:39], v[38:39], v[6:7], -v[8:9]
	scratch_load_b128 v[6:9], off, off offset:448
	s_waitcnt vmcnt(10) lgkmcnt(1)
	v_mul_f64 v[221:222], v[2:3], v[12:13]
	v_mul_f64 v[12:13], v[4:5], v[12:13]
	v_add_f64 v[199:200], v[217:218], 0
	v_add_f64 v[217:218], v[219:220], 0
	s_waitcnt vmcnt(9) lgkmcnt(0)
	v_mul_f64 v[219:220], v[172:173], v[16:17]
	v_mul_f64 v[16:17], v[174:175], v[16:17]
	v_fma_f64 v[221:222], v[4:5], v[10:11], v[221:222]
	v_fma_f64 v[223:224], v[2:3], v[10:11], -v[12:13]
	ds_load_b128 v[2:5], v1 offset:1184
	scratch_load_b128 v[10:13], off, off offset:464
	v_add_f64 v[199:200], v[199:200], v[38:39]
	v_add_f64 v[217:218], v[217:218], v[40:41]
	ds_load_b128 v[38:41], v1 offset:1200
	v_fma_f64 v[174:175], v[174:175], v[14:15], v[219:220]
	v_fma_f64 v[172:173], v[172:173], v[14:15], -v[16:17]
	scratch_load_b128 v[14:17], off, off offset:480
	s_waitcnt vmcnt(10) lgkmcnt(1)
	v_mul_f64 v[225:226], v[2:3], v[20:21]
	v_mul_f64 v[20:21], v[4:5], v[20:21]
	s_waitcnt vmcnt(9) lgkmcnt(0)
	v_mul_f64 v[219:220], v[38:39], v[24:25]
	v_mul_f64 v[24:25], v[40:41], v[24:25]
	v_add_f64 v[199:200], v[199:200], v[223:224]
	v_add_f64 v[217:218], v[217:218], v[221:222]
	v_fma_f64 v[221:222], v[4:5], v[18:19], v[225:226]
	v_fma_f64 v[223:224], v[2:3], v[18:19], -v[20:21]
	ds_load_b128 v[2:5], v1 offset:1216
	scratch_load_b128 v[18:21], off, off offset:496
	v_fma_f64 v[40:41], v[40:41], v[22:23], v[219:220]
	v_fma_f64 v[38:39], v[38:39], v[22:23], -v[24:25]
	scratch_load_b128 v[22:25], off, off offset:512
	v_add_f64 v[199:200], v[199:200], v[172:173]
	v_add_f64 v[217:218], v[217:218], v[174:175]
	ds_load_b128 v[172:175], v1 offset:1232
	s_waitcnt vmcnt(10) lgkmcnt(1)
	v_mul_f64 v[225:226], v[2:3], v[28:29]
	v_mul_f64 v[28:29], v[4:5], v[28:29]
	s_waitcnt vmcnt(9) lgkmcnt(0)
	v_mul_f64 v[219:220], v[172:173], v[32:33]
	v_mul_f64 v[32:33], v[174:175], v[32:33]
	v_add_f64 v[199:200], v[199:200], v[223:224]
	v_add_f64 v[217:218], v[217:218], v[221:222]
	v_fma_f64 v[221:222], v[4:5], v[26:27], v[225:226]
	v_fma_f64 v[223:224], v[2:3], v[26:27], -v[28:29]
	ds_load_b128 v[2:5], v1 offset:1248
	scratch_load_b128 v[26:29], off, off offset:528
	v_fma_f64 v[174:175], v[174:175], v[30:31], v[219:220]
	v_fma_f64 v[172:173], v[172:173], v[30:31], -v[32:33]
	scratch_load_b128 v[30:33], off, off offset:544
	v_add_f64 v[199:200], v[199:200], v[38:39]
	v_add_f64 v[217:218], v[217:218], v[40:41]
	ds_load_b128 v[38:41], v1 offset:1264
	s_waitcnt vmcnt(10) lgkmcnt(1)
	v_mul_f64 v[225:226], v[2:3], v[36:37]
	v_mul_f64 v[36:37], v[4:5], v[36:37]
	s_waitcnt vmcnt(8) lgkmcnt(0)
	v_mul_f64 v[219:220], v[38:39], v[170:171]
	v_add_f64 v[199:200], v[199:200], v[223:224]
	v_add_f64 v[217:218], v[217:218], v[221:222]
	v_mul_f64 v[221:222], v[40:41], v[170:171]
	v_fma_f64 v[223:224], v[4:5], v[34:35], v[225:226]
	v_fma_f64 v[225:226], v[2:3], v[34:35], -v[36:37]
	ds_load_b128 v[2:5], v1 offset:1280
	scratch_load_b128 v[34:37], off, off offset:560
	v_fma_f64 v[219:220], v[40:41], v[168:169], v[219:220]
	v_add_f64 v[199:200], v[199:200], v[172:173]
	v_add_f64 v[174:175], v[217:218], v[174:175]
	ds_load_b128 v[170:173], v1 offset:1296
	v_fma_f64 v[168:169], v[38:39], v[168:169], -v[221:222]
	scratch_load_b128 v[38:41], off, off offset:576
	s_waitcnt vmcnt(9) lgkmcnt(1)
	v_mul_f64 v[217:218], v[2:3], v[44:45]
	v_mul_f64 v[44:45], v[4:5], v[44:45]
	s_waitcnt vmcnt(8) lgkmcnt(0)
	v_mul_f64 v[221:222], v[170:171], v[8:9]
	v_mul_f64 v[8:9], v[172:173], v[8:9]
	v_add_f64 v[199:200], v[199:200], v[225:226]
	v_add_f64 v[174:175], v[174:175], v[223:224]
	v_fma_f64 v[223:224], v[4:5], v[42:43], v[217:218]
	v_fma_f64 v[225:226], v[2:3], v[42:43], -v[44:45]
	ds_load_b128 v[2:5], v1 offset:1312
	scratch_load_b128 v[42:45], off, off offset:592
	v_fma_f64 v[172:173], v[172:173], v[6:7], v[221:222]
	v_fma_f64 v[170:171], v[170:171], v[6:7], -v[8:9]
	scratch_load_b128 v[6:9], off, off offset:608
	v_add_f64 v[168:169], v[199:200], v[168:169]
	v_add_f64 v[174:175], v[174:175], v[219:220]
	ds_load_b128 v[217:220], v1 offset:1328
	s_waitcnt vmcnt(9) lgkmcnt(1)
	v_mul_f64 v[199:200], v[2:3], v[12:13]
	v_mul_f64 v[12:13], v[4:5], v[12:13]
	s_waitcnt vmcnt(8) lgkmcnt(0)
	v_mul_f64 v[221:222], v[217:218], v[16:17]
	v_mul_f64 v[16:17], v[219:220], v[16:17]
	v_add_f64 v[168:169], v[168:169], v[225:226]
	v_add_f64 v[174:175], v[174:175], v[223:224]
	v_fma_f64 v[199:200], v[4:5], v[10:11], v[199:200]
	v_fma_f64 v[223:224], v[2:3], v[10:11], -v[12:13]
	ds_load_b128 v[2:5], v1 offset:1344
	scratch_load_b128 v[10:13], off, off offset:624
	v_fma_f64 v[219:220], v[219:220], v[14:15], v[221:222]
	v_fma_f64 v[217:218], v[217:218], v[14:15], -v[16:17]
	scratch_load_b128 v[14:17], off, off offset:640
	v_add_f64 v[225:226], v[168:169], v[170:171]
	v_add_f64 v[172:173], v[174:175], v[172:173]
	ds_load_b128 v[168:171], v1 offset:1360
	s_waitcnt vmcnt(9) lgkmcnt(1)
	v_mul_f64 v[174:175], v[2:3], v[20:21]
	v_mul_f64 v[20:21], v[4:5], v[20:21]
	v_add_f64 v[221:222], v[225:226], v[223:224]
	v_add_f64 v[172:173], v[172:173], v[199:200]
	s_waitcnt vmcnt(8) lgkmcnt(0)
	v_mul_f64 v[199:200], v[168:169], v[24:25]
	v_mul_f64 v[24:25], v[170:171], v[24:25]
	v_fma_f64 v[223:224], v[4:5], v[18:19], v[174:175]
	v_fma_f64 v[225:226], v[2:3], v[18:19], -v[20:21]
	ds_load_b128 v[2:5], v1 offset:1376
	scratch_load_b128 v[18:21], off, off offset:656
	v_add_f64 v[217:218], v[221:222], v[217:218]
	v_add_f64 v[219:220], v[172:173], v[219:220]
	ds_load_b128 v[172:175], v1 offset:1392
	s_waitcnt vmcnt(8) lgkmcnt(1)
	v_mul_f64 v[221:222], v[2:3], v[28:29]
	v_mul_f64 v[28:29], v[4:5], v[28:29]
	v_fma_f64 v[170:171], v[170:171], v[22:23], v[199:200]
	v_fma_f64 v[168:169], v[168:169], v[22:23], -v[24:25]
	scratch_load_b128 v[22:25], off, off offset:672
	v_add_f64 v[199:200], v[217:218], v[225:226]
	v_add_f64 v[217:218], v[219:220], v[223:224]
	s_waitcnt vmcnt(8) lgkmcnt(0)
	v_mul_f64 v[219:220], v[172:173], v[32:33]
	v_mul_f64 v[32:33], v[174:175], v[32:33]
	v_fma_f64 v[221:222], v[4:5], v[26:27], v[221:222]
	v_fma_f64 v[223:224], v[2:3], v[26:27], -v[28:29]
	ds_load_b128 v[2:5], v1 offset:1408
	scratch_load_b128 v[26:29], off, off offset:688
	v_add_f64 v[199:200], v[199:200], v[168:169]
	v_add_f64 v[217:218], v[217:218], v[170:171]
	ds_load_b128 v[168:171], v1 offset:1424
	s_waitcnt vmcnt(8) lgkmcnt(1)
	v_mul_f64 v[225:226], v[2:3], v[36:37]
	v_mul_f64 v[36:37], v[4:5], v[36:37]
	v_fma_f64 v[174:175], v[174:175], v[30:31], v[219:220]
	v_fma_f64 v[172:173], v[172:173], v[30:31], -v[32:33]
	scratch_load_b128 v[30:33], off, off offset:704
	s_waitcnt vmcnt(8) lgkmcnt(0)
	v_mul_f64 v[219:220], v[168:169], v[40:41]
	v_mul_f64 v[40:41], v[170:171], v[40:41]
	v_add_f64 v[199:200], v[199:200], v[223:224]
	v_add_f64 v[217:218], v[217:218], v[221:222]
	v_fma_f64 v[221:222], v[4:5], v[34:35], v[225:226]
	v_fma_f64 v[223:224], v[2:3], v[34:35], -v[36:37]
	ds_load_b128 v[2:5], v1 offset:1440
	scratch_load_b128 v[34:37], off, off offset:720
	v_fma_f64 v[170:171], v[170:171], v[38:39], v[219:220]
	v_fma_f64 v[168:169], v[168:169], v[38:39], -v[40:41]
	scratch_load_b128 v[38:41], off, off offset:736
	v_add_f64 v[199:200], v[199:200], v[172:173]
	v_add_f64 v[217:218], v[217:218], v[174:175]
	ds_load_b128 v[172:175], v1 offset:1456
	s_waitcnt vmcnt(9) lgkmcnt(1)
	v_mul_f64 v[225:226], v[2:3], v[44:45]
	v_mul_f64 v[44:45], v[4:5], v[44:45]
	s_waitcnt vmcnt(8) lgkmcnt(0)
	v_mul_f64 v[219:220], v[172:173], v[8:9]
	v_mul_f64 v[8:9], v[174:175], v[8:9]
	v_add_f64 v[199:200], v[199:200], v[223:224]
	v_add_f64 v[217:218], v[217:218], v[221:222]
	v_fma_f64 v[221:222], v[4:5], v[42:43], v[225:226]
	v_fma_f64 v[223:224], v[2:3], v[42:43], -v[44:45]
	ds_load_b128 v[2:5], v1 offset:1472
	scratch_load_b128 v[42:45], off, off offset:752
	v_fma_f64 v[174:175], v[174:175], v[6:7], v[219:220]
	v_fma_f64 v[172:173], v[172:173], v[6:7], -v[8:9]
	scratch_load_b128 v[6:9], off, off offset:768
	v_add_f64 v[199:200], v[199:200], v[168:169]
	v_add_f64 v[217:218], v[217:218], v[170:171]
	ds_load_b128 v[168:171], v1 offset:1488
	s_waitcnt vmcnt(9) lgkmcnt(1)
	v_mul_f64 v[225:226], v[2:3], v[12:13]
	v_mul_f64 v[12:13], v[4:5], v[12:13]
	;; [unrolled: 18-line block ×4, first 2 shown]
	s_waitcnt vmcnt(8) lgkmcnt(0)
	v_mul_f64 v[219:220], v[168:169], v[32:33]
	v_mul_f64 v[32:33], v[170:171], v[32:33]
	v_add_f64 v[199:200], v[199:200], v[223:224]
	v_add_f64 v[217:218], v[217:218], v[221:222]
	v_fma_f64 v[221:222], v[4:5], v[26:27], v[225:226]
	v_fma_f64 v[223:224], v[2:3], v[26:27], -v[28:29]
	ds_load_b128 v[2:5], v1 offset:1568
	ds_load_b128 v[26:29], v1 offset:1584
	v_fma_f64 v[170:171], v[170:171], v[30:31], v[219:220]
	v_fma_f64 v[30:31], v[168:169], v[30:31], -v[32:33]
	v_add_f64 v[172:173], v[199:200], v[172:173]
	v_add_f64 v[174:175], v[217:218], v[174:175]
	s_waitcnt vmcnt(7) lgkmcnt(1)
	v_mul_f64 v[199:200], v[2:3], v[36:37]
	v_mul_f64 v[36:37], v[4:5], v[36:37]
	s_delay_alu instid0(VALU_DEP_4) | instskip(NEXT) | instid1(VALU_DEP_4)
	v_add_f64 v[32:33], v[172:173], v[223:224]
	v_add_f64 v[168:169], v[174:175], v[221:222]
	s_waitcnt vmcnt(6) lgkmcnt(0)
	v_mul_f64 v[172:173], v[26:27], v[40:41]
	v_mul_f64 v[40:41], v[28:29], v[40:41]
	v_fma_f64 v[174:175], v[4:5], v[34:35], v[199:200]
	v_fma_f64 v[34:35], v[2:3], v[34:35], -v[36:37]
	v_add_f64 v[36:37], v[32:33], v[30:31]
	v_add_f64 v[168:169], v[168:169], v[170:171]
	ds_load_b128 v[2:5], v1 offset:1600
	ds_load_b128 v[30:33], v1 offset:1616
	v_fma_f64 v[28:29], v[28:29], v[38:39], v[172:173]
	v_fma_f64 v[26:27], v[26:27], v[38:39], -v[40:41]
	s_waitcnt vmcnt(5) lgkmcnt(1)
	v_mul_f64 v[170:171], v[2:3], v[44:45]
	v_mul_f64 v[44:45], v[4:5], v[44:45]
	s_waitcnt vmcnt(4) lgkmcnt(0)
	v_mul_f64 v[38:39], v[30:31], v[8:9]
	v_mul_f64 v[8:9], v[32:33], v[8:9]
	v_add_f64 v[34:35], v[36:37], v[34:35]
	v_add_f64 v[36:37], v[168:169], v[174:175]
	v_fma_f64 v[40:41], v[4:5], v[42:43], v[170:171]
	v_fma_f64 v[42:43], v[2:3], v[42:43], -v[44:45]
	v_fma_f64 v[32:33], v[32:33], v[6:7], v[38:39]
	v_fma_f64 v[6:7], v[30:31], v[6:7], -v[8:9]
	v_add_f64 v[34:35], v[34:35], v[26:27]
	v_add_f64 v[36:37], v[36:37], v[28:29]
	ds_load_b128 v[2:5], v1 offset:1632
	ds_load_b128 v[26:29], v1 offset:1648
	s_waitcnt vmcnt(3) lgkmcnt(1)
	v_mul_f64 v[44:45], v[2:3], v[12:13]
	v_mul_f64 v[12:13], v[4:5], v[12:13]
	v_add_f64 v[8:9], v[34:35], v[42:43]
	v_add_f64 v[30:31], v[36:37], v[40:41]
	s_waitcnt vmcnt(2) lgkmcnt(0)
	v_mul_f64 v[34:35], v[26:27], v[16:17]
	v_mul_f64 v[16:17], v[28:29], v[16:17]
	v_fma_f64 v[36:37], v[4:5], v[10:11], v[44:45]
	v_fma_f64 v[10:11], v[2:3], v[10:11], -v[12:13]
	v_add_f64 v[12:13], v[8:9], v[6:7]
	v_add_f64 v[30:31], v[30:31], v[32:33]
	ds_load_b128 v[2:5], v1 offset:1664
	ds_load_b128 v[6:9], v1 offset:1680
	v_fma_f64 v[28:29], v[28:29], v[14:15], v[34:35]
	v_fma_f64 v[14:15], v[26:27], v[14:15], -v[16:17]
	s_waitcnt vmcnt(1) lgkmcnt(1)
	v_mul_f64 v[32:33], v[2:3], v[20:21]
	v_mul_f64 v[20:21], v[4:5], v[20:21]
	s_waitcnt vmcnt(0) lgkmcnt(0)
	v_mul_f64 v[16:17], v[6:7], v[24:25]
	v_mul_f64 v[24:25], v[8:9], v[24:25]
	v_add_f64 v[10:11], v[12:13], v[10:11]
	v_add_f64 v[12:13], v[30:31], v[36:37]
	v_fma_f64 v[4:5], v[4:5], v[18:19], v[32:33]
	v_fma_f64 v[1:2], v[2:3], v[18:19], -v[20:21]
	v_fma_f64 v[8:9], v[8:9], v[22:23], v[16:17]
	v_fma_f64 v[6:7], v[6:7], v[22:23], -v[24:25]
	v_add_f64 v[10:11], v[10:11], v[14:15]
	v_add_f64 v[12:13], v[12:13], v[28:29]
	s_delay_alu instid0(VALU_DEP_2) | instskip(NEXT) | instid1(VALU_DEP_2)
	v_add_f64 v[1:2], v[10:11], v[1:2]
	v_add_f64 v[3:4], v[12:13], v[4:5]
	s_delay_alu instid0(VALU_DEP_2) | instskip(NEXT) | instid1(VALU_DEP_2)
	;; [unrolled: 3-line block ×3, first 2 shown]
	v_add_f64 v[1:2], v[164:165], -v[1:2]
	v_add_f64 v[3:4], v[166:167], -v[3:4]
	scratch_store_b128 off, v[1:4], off offset:256
	v_cmpx_lt_u32_e32 15, v152
	s_cbranch_execz .LBB52_301
; %bb.300:
	scratch_load_b128 v[1:4], v190, off
	v_mov_b32_e32 v5, 0
	s_delay_alu instid0(VALU_DEP_1)
	v_mov_b32_e32 v6, v5
	v_mov_b32_e32 v7, v5
	;; [unrolled: 1-line block ×3, first 2 shown]
	scratch_store_b128 off, v[5:8], off offset:240
	s_waitcnt vmcnt(0)
	ds_store_b128 v205, v[1:4]
.LBB52_301:
	s_or_b32 exec_lo, exec_lo, s2
	s_waitcnt lgkmcnt(0)
	s_waitcnt_vscnt null, 0x0
	s_barrier
	buffer_gl0_inv
	s_clause 0x7
	scratch_load_b128 v[2:5], off, off offset:256
	scratch_load_b128 v[6:9], off, off offset:272
	;; [unrolled: 1-line block ×8, first 2 shown]
	v_mov_b32_e32 v1, 0
	s_mov_b32 s2, exec_lo
	ds_load_b128 v[38:41], v1 offset:1104
	s_clause 0x1
	scratch_load_b128 v[34:37], off, off offset:384
	scratch_load_b128 v[42:45], off, off offset:240
	ds_load_b128 v[164:167], v1 offset:1120
	scratch_load_b128 v[168:171], off, off offset:400
	s_waitcnt vmcnt(10) lgkmcnt(1)
	v_mul_f64 v[172:173], v[40:41], v[4:5]
	v_mul_f64 v[4:5], v[38:39], v[4:5]
	s_delay_alu instid0(VALU_DEP_2) | instskip(NEXT) | instid1(VALU_DEP_2)
	v_fma_f64 v[217:218], v[38:39], v[2:3], -v[172:173]
	v_fma_f64 v[219:220], v[40:41], v[2:3], v[4:5]
	scratch_load_b128 v[38:41], off, off offset:416
	ds_load_b128 v[2:5], v1 offset:1136
	s_waitcnt vmcnt(10) lgkmcnt(1)
	v_mul_f64 v[199:200], v[164:165], v[8:9]
	v_mul_f64 v[8:9], v[166:167], v[8:9]
	ds_load_b128 v[172:175], v1 offset:1152
	s_waitcnt vmcnt(9) lgkmcnt(1)
	v_mul_f64 v[221:222], v[2:3], v[12:13]
	v_mul_f64 v[12:13], v[4:5], v[12:13]
	v_fma_f64 v[166:167], v[166:167], v[6:7], v[199:200]
	v_fma_f64 v[164:165], v[164:165], v[6:7], -v[8:9]
	v_add_f64 v[199:200], v[217:218], 0
	v_add_f64 v[217:218], v[219:220], 0
	scratch_load_b128 v[6:9], off, off offset:432
	v_fma_f64 v[221:222], v[4:5], v[10:11], v[221:222]
	v_fma_f64 v[223:224], v[2:3], v[10:11], -v[12:13]
	scratch_load_b128 v[10:13], off, off offset:448
	ds_load_b128 v[2:5], v1 offset:1168
	s_waitcnt vmcnt(10) lgkmcnt(1)
	v_mul_f64 v[219:220], v[172:173], v[16:17]
	v_mul_f64 v[16:17], v[174:175], v[16:17]
	v_add_f64 v[199:200], v[199:200], v[164:165]
	v_add_f64 v[217:218], v[217:218], v[166:167]
	s_waitcnt vmcnt(9) lgkmcnt(0)
	v_mul_f64 v[225:226], v[2:3], v[20:21]
	v_mul_f64 v[20:21], v[4:5], v[20:21]
	ds_load_b128 v[164:167], v1 offset:1184
	v_fma_f64 v[174:175], v[174:175], v[14:15], v[219:220]
	v_fma_f64 v[172:173], v[172:173], v[14:15], -v[16:17]
	scratch_load_b128 v[14:17], off, off offset:464
	v_add_f64 v[199:200], v[199:200], v[223:224]
	v_add_f64 v[217:218], v[217:218], v[221:222]
	v_fma_f64 v[221:222], v[4:5], v[18:19], v[225:226]
	v_fma_f64 v[223:224], v[2:3], v[18:19], -v[20:21]
	scratch_load_b128 v[18:21], off, off offset:480
	ds_load_b128 v[2:5], v1 offset:1200
	s_waitcnt vmcnt(10) lgkmcnt(1)
	v_mul_f64 v[219:220], v[164:165], v[24:25]
	v_mul_f64 v[24:25], v[166:167], v[24:25]
	s_waitcnt vmcnt(9) lgkmcnt(0)
	v_mul_f64 v[225:226], v[2:3], v[28:29]
	v_mul_f64 v[28:29], v[4:5], v[28:29]
	v_add_f64 v[199:200], v[199:200], v[172:173]
	v_add_f64 v[217:218], v[217:218], v[174:175]
	ds_load_b128 v[172:175], v1 offset:1216
	v_fma_f64 v[166:167], v[166:167], v[22:23], v[219:220]
	v_fma_f64 v[164:165], v[164:165], v[22:23], -v[24:25]
	scratch_load_b128 v[22:25], off, off offset:496
	v_add_f64 v[199:200], v[199:200], v[223:224]
	v_add_f64 v[217:218], v[217:218], v[221:222]
	v_fma_f64 v[221:222], v[4:5], v[26:27], v[225:226]
	v_fma_f64 v[223:224], v[2:3], v[26:27], -v[28:29]
	scratch_load_b128 v[26:29], off, off offset:512
	ds_load_b128 v[2:5], v1 offset:1232
	s_waitcnt vmcnt(10) lgkmcnt(1)
	v_mul_f64 v[219:220], v[172:173], v[32:33]
	v_mul_f64 v[32:33], v[174:175], v[32:33]
	s_waitcnt vmcnt(9) lgkmcnt(0)
	v_mul_f64 v[225:226], v[2:3], v[36:37]
	v_mul_f64 v[36:37], v[4:5], v[36:37]
	v_add_f64 v[199:200], v[199:200], v[164:165]
	v_add_f64 v[217:218], v[217:218], v[166:167]
	ds_load_b128 v[164:167], v1 offset:1248
	v_fma_f64 v[174:175], v[174:175], v[30:31], v[219:220]
	v_fma_f64 v[172:173], v[172:173], v[30:31], -v[32:33]
	scratch_load_b128 v[30:33], off, off offset:528
	v_add_f64 v[199:200], v[199:200], v[223:224]
	v_add_f64 v[217:218], v[217:218], v[221:222]
	v_fma_f64 v[223:224], v[4:5], v[34:35], v[225:226]
	v_fma_f64 v[225:226], v[2:3], v[34:35], -v[36:37]
	scratch_load_b128 v[34:37], off, off offset:544
	ds_load_b128 v[2:5], v1 offset:1264
	s_waitcnt vmcnt(9) lgkmcnt(1)
	v_mul_f64 v[219:220], v[164:165], v[170:171]
	v_mul_f64 v[221:222], v[166:167], v[170:171]
	v_add_f64 v[199:200], v[199:200], v[172:173]
	v_add_f64 v[174:175], v[217:218], v[174:175]
	ds_load_b128 v[170:173], v1 offset:1280
	v_fma_f64 v[219:220], v[166:167], v[168:169], v[219:220]
	v_fma_f64 v[168:169], v[164:165], v[168:169], -v[221:222]
	scratch_load_b128 v[164:167], off, off offset:560
	s_waitcnt vmcnt(9) lgkmcnt(1)
	v_mul_f64 v[217:218], v[2:3], v[40:41]
	v_mul_f64 v[40:41], v[4:5], v[40:41]
	v_add_f64 v[199:200], v[199:200], v[225:226]
	v_add_f64 v[174:175], v[174:175], v[223:224]
	s_delay_alu instid0(VALU_DEP_4) | instskip(NEXT) | instid1(VALU_DEP_4)
	v_fma_f64 v[223:224], v[4:5], v[38:39], v[217:218]
	v_fma_f64 v[225:226], v[2:3], v[38:39], -v[40:41]
	scratch_load_b128 v[38:41], off, off offset:576
	ds_load_b128 v[2:5], v1 offset:1296
	s_waitcnt vmcnt(9) lgkmcnt(1)
	v_mul_f64 v[221:222], v[170:171], v[8:9]
	v_mul_f64 v[8:9], v[172:173], v[8:9]
	v_add_f64 v[168:169], v[199:200], v[168:169]
	v_add_f64 v[174:175], v[174:175], v[219:220]
	s_waitcnt vmcnt(8) lgkmcnt(0)
	v_mul_f64 v[199:200], v[2:3], v[12:13]
	v_mul_f64 v[12:13], v[4:5], v[12:13]
	ds_load_b128 v[217:220], v1 offset:1312
	v_fma_f64 v[172:173], v[172:173], v[6:7], v[221:222]
	v_fma_f64 v[170:171], v[170:171], v[6:7], -v[8:9]
	scratch_load_b128 v[6:9], off, off offset:592
	v_add_f64 v[168:169], v[168:169], v[225:226]
	v_add_f64 v[174:175], v[174:175], v[223:224]
	v_fma_f64 v[199:200], v[4:5], v[10:11], v[199:200]
	v_fma_f64 v[223:224], v[2:3], v[10:11], -v[12:13]
	scratch_load_b128 v[10:13], off, off offset:608
	ds_load_b128 v[2:5], v1 offset:1328
	s_waitcnt vmcnt(9) lgkmcnt(1)
	v_mul_f64 v[221:222], v[217:218], v[16:17]
	v_mul_f64 v[16:17], v[219:220], v[16:17]
	v_add_f64 v[225:226], v[168:169], v[170:171]
	v_add_f64 v[172:173], v[174:175], v[172:173]
	s_waitcnt vmcnt(8) lgkmcnt(0)
	v_mul_f64 v[174:175], v[2:3], v[20:21]
	v_mul_f64 v[20:21], v[4:5], v[20:21]
	ds_load_b128 v[168:171], v1 offset:1344
	v_fma_f64 v[219:220], v[219:220], v[14:15], v[221:222]
	v_fma_f64 v[217:218], v[217:218], v[14:15], -v[16:17]
	scratch_load_b128 v[14:17], off, off offset:624
	v_add_f64 v[221:222], v[225:226], v[223:224]
	v_add_f64 v[172:173], v[172:173], v[199:200]
	;; [unrolled: 18-line block ×3, first 2 shown]
	v_fma_f64 v[221:222], v[4:5], v[26:27], v[221:222]
	v_fma_f64 v[223:224], v[2:3], v[26:27], -v[28:29]
	scratch_load_b128 v[26:29], off, off offset:672
	ds_load_b128 v[2:5], v1 offset:1392
	s_waitcnt vmcnt(9) lgkmcnt(1)
	v_mul_f64 v[219:220], v[172:173], v[32:33]
	v_mul_f64 v[32:33], v[174:175], v[32:33]
	s_waitcnt vmcnt(8) lgkmcnt(0)
	v_mul_f64 v[225:226], v[2:3], v[36:37]
	v_mul_f64 v[36:37], v[4:5], v[36:37]
	v_add_f64 v[199:200], v[199:200], v[168:169]
	v_add_f64 v[217:218], v[217:218], v[170:171]
	ds_load_b128 v[168:171], v1 offset:1408
	v_fma_f64 v[174:175], v[174:175], v[30:31], v[219:220]
	v_fma_f64 v[172:173], v[172:173], v[30:31], -v[32:33]
	scratch_load_b128 v[30:33], off, off offset:688
	v_add_f64 v[199:200], v[199:200], v[223:224]
	v_add_f64 v[217:218], v[217:218], v[221:222]
	v_fma_f64 v[221:222], v[4:5], v[34:35], v[225:226]
	v_fma_f64 v[223:224], v[2:3], v[34:35], -v[36:37]
	scratch_load_b128 v[34:37], off, off offset:704
	ds_load_b128 v[2:5], v1 offset:1424
	s_waitcnt vmcnt(9) lgkmcnt(1)
	v_mul_f64 v[219:220], v[168:169], v[166:167]
	v_mul_f64 v[166:167], v[170:171], v[166:167]
	s_waitcnt vmcnt(8) lgkmcnt(0)
	v_mul_f64 v[225:226], v[2:3], v[40:41]
	v_mul_f64 v[40:41], v[4:5], v[40:41]
	v_add_f64 v[199:200], v[199:200], v[172:173]
	v_add_f64 v[217:218], v[217:218], v[174:175]
	ds_load_b128 v[172:175], v1 offset:1440
	v_fma_f64 v[170:171], v[170:171], v[164:165], v[219:220]
	v_fma_f64 v[168:169], v[168:169], v[164:165], -v[166:167]
	scratch_load_b128 v[164:167], off, off offset:720
	v_add_f64 v[199:200], v[199:200], v[223:224]
	v_add_f64 v[217:218], v[217:218], v[221:222]
	;; [unrolled: 18-line block ×5, first 2 shown]
	v_fma_f64 v[221:222], v[4:5], v[26:27], v[225:226]
	v_fma_f64 v[223:224], v[2:3], v[26:27], -v[28:29]
	scratch_load_b128 v[26:29], off, off offset:832
	ds_load_b128 v[2:5], v1 offset:1552
	s_waitcnt vmcnt(9) lgkmcnt(1)
	v_mul_f64 v[219:220], v[168:169], v[32:33]
	v_mul_f64 v[32:33], v[170:171], v[32:33]
	s_waitcnt vmcnt(8) lgkmcnt(0)
	v_mul_f64 v[225:226], v[2:3], v[36:37]
	v_mul_f64 v[36:37], v[4:5], v[36:37]
	v_add_f64 v[199:200], v[199:200], v[172:173]
	v_add_f64 v[217:218], v[217:218], v[174:175]
	ds_load_b128 v[172:175], v1 offset:1568
	v_fma_f64 v[170:171], v[170:171], v[30:31], v[219:220]
	v_fma_f64 v[30:31], v[168:169], v[30:31], -v[32:33]
	v_add_f64 v[32:33], v[199:200], v[223:224]
	v_add_f64 v[168:169], v[217:218], v[221:222]
	s_waitcnt vmcnt(7) lgkmcnt(0)
	v_mul_f64 v[199:200], v[172:173], v[166:167]
	v_mul_f64 v[166:167], v[174:175], v[166:167]
	v_fma_f64 v[217:218], v[4:5], v[34:35], v[225:226]
	v_fma_f64 v[34:35], v[2:3], v[34:35], -v[36:37]
	v_add_f64 v[36:37], v[32:33], v[30:31]
	v_add_f64 v[168:169], v[168:169], v[170:171]
	ds_load_b128 v[2:5], v1 offset:1584
	ds_load_b128 v[30:33], v1 offset:1600
	v_fma_f64 v[174:175], v[174:175], v[164:165], v[199:200]
	v_fma_f64 v[164:165], v[172:173], v[164:165], -v[166:167]
	s_waitcnt vmcnt(6) lgkmcnt(1)
	v_mul_f64 v[170:171], v[2:3], v[40:41]
	v_mul_f64 v[40:41], v[4:5], v[40:41]
	s_waitcnt vmcnt(5) lgkmcnt(0)
	v_mul_f64 v[166:167], v[30:31], v[8:9]
	v_mul_f64 v[8:9], v[32:33], v[8:9]
	v_add_f64 v[34:35], v[36:37], v[34:35]
	v_add_f64 v[36:37], v[168:169], v[217:218]
	v_fma_f64 v[168:169], v[4:5], v[38:39], v[170:171]
	v_fma_f64 v[38:39], v[2:3], v[38:39], -v[40:41]
	v_fma_f64 v[32:33], v[32:33], v[6:7], v[166:167]
	v_fma_f64 v[6:7], v[30:31], v[6:7], -v[8:9]
	v_add_f64 v[40:41], v[34:35], v[164:165]
	v_add_f64 v[164:165], v[36:37], v[174:175]
	ds_load_b128 v[2:5], v1 offset:1616
	ds_load_b128 v[34:37], v1 offset:1632
	s_waitcnt vmcnt(4) lgkmcnt(1)
	v_mul_f64 v[170:171], v[2:3], v[12:13]
	v_mul_f64 v[12:13], v[4:5], v[12:13]
	v_add_f64 v[8:9], v[40:41], v[38:39]
	v_add_f64 v[30:31], v[164:165], v[168:169]
	s_waitcnt vmcnt(3) lgkmcnt(0)
	v_mul_f64 v[38:39], v[34:35], v[16:17]
	v_mul_f64 v[16:17], v[36:37], v[16:17]
	v_fma_f64 v[40:41], v[4:5], v[10:11], v[170:171]
	v_fma_f64 v[10:11], v[2:3], v[10:11], -v[12:13]
	v_add_f64 v[12:13], v[8:9], v[6:7]
	v_add_f64 v[30:31], v[30:31], v[32:33]
	ds_load_b128 v[2:5], v1 offset:1648
	ds_load_b128 v[6:9], v1 offset:1664
	v_fma_f64 v[36:37], v[36:37], v[14:15], v[38:39]
	v_fma_f64 v[14:15], v[34:35], v[14:15], -v[16:17]
	s_waitcnt vmcnt(2) lgkmcnt(1)
	v_mul_f64 v[32:33], v[2:3], v[20:21]
	v_mul_f64 v[20:21], v[4:5], v[20:21]
	s_waitcnt vmcnt(1) lgkmcnt(0)
	v_mul_f64 v[16:17], v[6:7], v[24:25]
	v_mul_f64 v[24:25], v[8:9], v[24:25]
	v_add_f64 v[10:11], v[12:13], v[10:11]
	v_add_f64 v[12:13], v[30:31], v[40:41]
	v_fma_f64 v[30:31], v[4:5], v[18:19], v[32:33]
	v_fma_f64 v[18:19], v[2:3], v[18:19], -v[20:21]
	ds_load_b128 v[2:5], v1 offset:1680
	v_fma_f64 v[8:9], v[8:9], v[22:23], v[16:17]
	v_fma_f64 v[6:7], v[6:7], v[22:23], -v[24:25]
	v_add_f64 v[10:11], v[10:11], v[14:15]
	v_add_f64 v[12:13], v[12:13], v[36:37]
	s_waitcnt vmcnt(0) lgkmcnt(0)
	v_mul_f64 v[14:15], v[2:3], v[28:29]
	v_mul_f64 v[20:21], v[4:5], v[28:29]
	s_delay_alu instid0(VALU_DEP_4) | instskip(NEXT) | instid1(VALU_DEP_4)
	v_add_f64 v[10:11], v[10:11], v[18:19]
	v_add_f64 v[12:13], v[12:13], v[30:31]
	s_delay_alu instid0(VALU_DEP_4) | instskip(NEXT) | instid1(VALU_DEP_4)
	v_fma_f64 v[4:5], v[4:5], v[26:27], v[14:15]
	v_fma_f64 v[2:3], v[2:3], v[26:27], -v[20:21]
	s_delay_alu instid0(VALU_DEP_4) | instskip(NEXT) | instid1(VALU_DEP_4)
	v_add_f64 v[6:7], v[10:11], v[6:7]
	v_add_f64 v[8:9], v[12:13], v[8:9]
	s_delay_alu instid0(VALU_DEP_2) | instskip(NEXT) | instid1(VALU_DEP_2)
	v_add_f64 v[2:3], v[6:7], v[2:3]
	v_add_f64 v[4:5], v[8:9], v[4:5]
	s_delay_alu instid0(VALU_DEP_2) | instskip(NEXT) | instid1(VALU_DEP_2)
	v_add_f64 v[2:3], v[42:43], -v[2:3]
	v_add_f64 v[4:5], v[44:45], -v[4:5]
	scratch_store_b128 off, v[2:5], off offset:240
	v_cmpx_lt_u32_e32 14, v152
	s_cbranch_execz .LBB52_303
; %bb.302:
	scratch_load_b128 v[5:8], v191, off
	v_mov_b32_e32 v2, v1
	v_mov_b32_e32 v3, v1
	;; [unrolled: 1-line block ×3, first 2 shown]
	scratch_store_b128 off, v[1:4], off offset:224
	s_waitcnt vmcnt(0)
	ds_store_b128 v205, v[5:8]
.LBB52_303:
	s_or_b32 exec_lo, exec_lo, s2
	s_waitcnt lgkmcnt(0)
	s_waitcnt_vscnt null, 0x0
	s_barrier
	buffer_gl0_inv
	s_clause 0x8
	scratch_load_b128 v[2:5], off, off offset:240
	scratch_load_b128 v[6:9], off, off offset:256
	;; [unrolled: 1-line block ×9, first 2 shown]
	ds_load_b128 v[42:45], v1 offset:1088
	ds_load_b128 v[38:41], v1 offset:1104
	s_clause 0x1
	scratch_load_b128 v[164:167], off, off offset:224
	scratch_load_b128 v[168:171], off, off offset:384
	s_mov_b32 s2, exec_lo
	s_waitcnt vmcnt(10) lgkmcnt(1)
	v_mul_f64 v[172:173], v[44:45], v[4:5]
	v_mul_f64 v[4:5], v[42:43], v[4:5]
	s_waitcnt vmcnt(9) lgkmcnt(0)
	v_mul_f64 v[199:200], v[38:39], v[8:9]
	v_mul_f64 v[8:9], v[40:41], v[8:9]
	s_delay_alu instid0(VALU_DEP_4) | instskip(NEXT) | instid1(VALU_DEP_4)
	v_fma_f64 v[217:218], v[42:43], v[2:3], -v[172:173]
	v_fma_f64 v[219:220], v[44:45], v[2:3], v[4:5]
	ds_load_b128 v[2:5], v1 offset:1120
	ds_load_b128 v[172:175], v1 offset:1136
	scratch_load_b128 v[42:45], off, off offset:400
	v_fma_f64 v[40:41], v[40:41], v[6:7], v[199:200]
	v_fma_f64 v[38:39], v[38:39], v[6:7], -v[8:9]
	scratch_load_b128 v[6:9], off, off offset:416
	s_waitcnt vmcnt(10) lgkmcnt(1)
	v_mul_f64 v[221:222], v[2:3], v[12:13]
	v_mul_f64 v[12:13], v[4:5], v[12:13]
	v_add_f64 v[199:200], v[217:218], 0
	v_add_f64 v[217:218], v[219:220], 0
	s_waitcnt vmcnt(9) lgkmcnt(0)
	v_mul_f64 v[219:220], v[172:173], v[16:17]
	v_mul_f64 v[16:17], v[174:175], v[16:17]
	v_fma_f64 v[221:222], v[4:5], v[10:11], v[221:222]
	v_fma_f64 v[223:224], v[2:3], v[10:11], -v[12:13]
	ds_load_b128 v[2:5], v1 offset:1152
	scratch_load_b128 v[10:13], off, off offset:432
	v_add_f64 v[199:200], v[199:200], v[38:39]
	v_add_f64 v[217:218], v[217:218], v[40:41]
	ds_load_b128 v[38:41], v1 offset:1168
	v_fma_f64 v[174:175], v[174:175], v[14:15], v[219:220]
	v_fma_f64 v[172:173], v[172:173], v[14:15], -v[16:17]
	scratch_load_b128 v[14:17], off, off offset:448
	s_waitcnt vmcnt(10) lgkmcnt(1)
	v_mul_f64 v[225:226], v[2:3], v[20:21]
	v_mul_f64 v[20:21], v[4:5], v[20:21]
	s_waitcnt vmcnt(9) lgkmcnt(0)
	v_mul_f64 v[219:220], v[38:39], v[24:25]
	v_mul_f64 v[24:25], v[40:41], v[24:25]
	v_add_f64 v[199:200], v[199:200], v[223:224]
	v_add_f64 v[217:218], v[217:218], v[221:222]
	v_fma_f64 v[221:222], v[4:5], v[18:19], v[225:226]
	v_fma_f64 v[223:224], v[2:3], v[18:19], -v[20:21]
	ds_load_b128 v[2:5], v1 offset:1184
	scratch_load_b128 v[18:21], off, off offset:464
	v_fma_f64 v[40:41], v[40:41], v[22:23], v[219:220]
	v_fma_f64 v[38:39], v[38:39], v[22:23], -v[24:25]
	scratch_load_b128 v[22:25], off, off offset:480
	v_add_f64 v[199:200], v[199:200], v[172:173]
	v_add_f64 v[217:218], v[217:218], v[174:175]
	ds_load_b128 v[172:175], v1 offset:1200
	s_waitcnt vmcnt(10) lgkmcnt(1)
	v_mul_f64 v[225:226], v[2:3], v[28:29]
	v_mul_f64 v[28:29], v[4:5], v[28:29]
	s_waitcnt vmcnt(9) lgkmcnt(0)
	v_mul_f64 v[219:220], v[172:173], v[32:33]
	v_mul_f64 v[32:33], v[174:175], v[32:33]
	v_add_f64 v[199:200], v[199:200], v[223:224]
	v_add_f64 v[217:218], v[217:218], v[221:222]
	v_fma_f64 v[221:222], v[4:5], v[26:27], v[225:226]
	v_fma_f64 v[223:224], v[2:3], v[26:27], -v[28:29]
	ds_load_b128 v[2:5], v1 offset:1216
	scratch_load_b128 v[26:29], off, off offset:496
	v_fma_f64 v[174:175], v[174:175], v[30:31], v[219:220]
	v_fma_f64 v[172:173], v[172:173], v[30:31], -v[32:33]
	scratch_load_b128 v[30:33], off, off offset:512
	v_add_f64 v[199:200], v[199:200], v[38:39]
	v_add_f64 v[217:218], v[217:218], v[40:41]
	ds_load_b128 v[38:41], v1 offset:1232
	s_waitcnt vmcnt(10) lgkmcnt(1)
	v_mul_f64 v[225:226], v[2:3], v[36:37]
	v_mul_f64 v[36:37], v[4:5], v[36:37]
	s_waitcnt vmcnt(8) lgkmcnt(0)
	v_mul_f64 v[219:220], v[38:39], v[170:171]
	v_add_f64 v[199:200], v[199:200], v[223:224]
	v_add_f64 v[217:218], v[217:218], v[221:222]
	v_mul_f64 v[221:222], v[40:41], v[170:171]
	v_fma_f64 v[223:224], v[4:5], v[34:35], v[225:226]
	v_fma_f64 v[225:226], v[2:3], v[34:35], -v[36:37]
	ds_load_b128 v[2:5], v1 offset:1248
	scratch_load_b128 v[34:37], off, off offset:528
	v_fma_f64 v[219:220], v[40:41], v[168:169], v[219:220]
	v_add_f64 v[199:200], v[199:200], v[172:173]
	v_add_f64 v[174:175], v[217:218], v[174:175]
	ds_load_b128 v[170:173], v1 offset:1264
	v_fma_f64 v[168:169], v[38:39], v[168:169], -v[221:222]
	scratch_load_b128 v[38:41], off, off offset:544
	s_waitcnt vmcnt(9) lgkmcnt(1)
	v_mul_f64 v[217:218], v[2:3], v[44:45]
	v_mul_f64 v[44:45], v[4:5], v[44:45]
	s_waitcnt vmcnt(8) lgkmcnt(0)
	v_mul_f64 v[221:222], v[170:171], v[8:9]
	v_mul_f64 v[8:9], v[172:173], v[8:9]
	v_add_f64 v[199:200], v[199:200], v[225:226]
	v_add_f64 v[174:175], v[174:175], v[223:224]
	v_fma_f64 v[223:224], v[4:5], v[42:43], v[217:218]
	v_fma_f64 v[225:226], v[2:3], v[42:43], -v[44:45]
	ds_load_b128 v[2:5], v1 offset:1280
	scratch_load_b128 v[42:45], off, off offset:560
	v_fma_f64 v[172:173], v[172:173], v[6:7], v[221:222]
	v_fma_f64 v[170:171], v[170:171], v[6:7], -v[8:9]
	scratch_load_b128 v[6:9], off, off offset:576
	v_add_f64 v[168:169], v[199:200], v[168:169]
	v_add_f64 v[174:175], v[174:175], v[219:220]
	ds_load_b128 v[217:220], v1 offset:1296
	s_waitcnt vmcnt(9) lgkmcnt(1)
	v_mul_f64 v[199:200], v[2:3], v[12:13]
	v_mul_f64 v[12:13], v[4:5], v[12:13]
	s_waitcnt vmcnt(8) lgkmcnt(0)
	v_mul_f64 v[221:222], v[217:218], v[16:17]
	v_mul_f64 v[16:17], v[219:220], v[16:17]
	v_add_f64 v[168:169], v[168:169], v[225:226]
	v_add_f64 v[174:175], v[174:175], v[223:224]
	v_fma_f64 v[199:200], v[4:5], v[10:11], v[199:200]
	v_fma_f64 v[223:224], v[2:3], v[10:11], -v[12:13]
	ds_load_b128 v[2:5], v1 offset:1312
	scratch_load_b128 v[10:13], off, off offset:592
	v_fma_f64 v[219:220], v[219:220], v[14:15], v[221:222]
	v_fma_f64 v[217:218], v[217:218], v[14:15], -v[16:17]
	scratch_load_b128 v[14:17], off, off offset:608
	v_add_f64 v[225:226], v[168:169], v[170:171]
	v_add_f64 v[172:173], v[174:175], v[172:173]
	ds_load_b128 v[168:171], v1 offset:1328
	s_waitcnt vmcnt(9) lgkmcnt(1)
	v_mul_f64 v[174:175], v[2:3], v[20:21]
	v_mul_f64 v[20:21], v[4:5], v[20:21]
	v_add_f64 v[221:222], v[225:226], v[223:224]
	v_add_f64 v[172:173], v[172:173], v[199:200]
	s_waitcnt vmcnt(8) lgkmcnt(0)
	v_mul_f64 v[199:200], v[168:169], v[24:25]
	v_mul_f64 v[24:25], v[170:171], v[24:25]
	v_fma_f64 v[223:224], v[4:5], v[18:19], v[174:175]
	v_fma_f64 v[225:226], v[2:3], v[18:19], -v[20:21]
	ds_load_b128 v[2:5], v1 offset:1344
	scratch_load_b128 v[18:21], off, off offset:624
	v_add_f64 v[217:218], v[221:222], v[217:218]
	v_add_f64 v[219:220], v[172:173], v[219:220]
	ds_load_b128 v[172:175], v1 offset:1360
	s_waitcnt vmcnt(8) lgkmcnt(1)
	v_mul_f64 v[221:222], v[2:3], v[28:29]
	v_mul_f64 v[28:29], v[4:5], v[28:29]
	v_fma_f64 v[170:171], v[170:171], v[22:23], v[199:200]
	v_fma_f64 v[168:169], v[168:169], v[22:23], -v[24:25]
	scratch_load_b128 v[22:25], off, off offset:640
	v_add_f64 v[199:200], v[217:218], v[225:226]
	v_add_f64 v[217:218], v[219:220], v[223:224]
	s_waitcnt vmcnt(8) lgkmcnt(0)
	v_mul_f64 v[219:220], v[172:173], v[32:33]
	v_mul_f64 v[32:33], v[174:175], v[32:33]
	v_fma_f64 v[221:222], v[4:5], v[26:27], v[221:222]
	v_fma_f64 v[223:224], v[2:3], v[26:27], -v[28:29]
	ds_load_b128 v[2:5], v1 offset:1376
	scratch_load_b128 v[26:29], off, off offset:656
	v_add_f64 v[199:200], v[199:200], v[168:169]
	v_add_f64 v[217:218], v[217:218], v[170:171]
	ds_load_b128 v[168:171], v1 offset:1392
	s_waitcnt vmcnt(8) lgkmcnt(1)
	v_mul_f64 v[225:226], v[2:3], v[36:37]
	v_mul_f64 v[36:37], v[4:5], v[36:37]
	v_fma_f64 v[174:175], v[174:175], v[30:31], v[219:220]
	v_fma_f64 v[172:173], v[172:173], v[30:31], -v[32:33]
	scratch_load_b128 v[30:33], off, off offset:672
	s_waitcnt vmcnt(8) lgkmcnt(0)
	v_mul_f64 v[219:220], v[168:169], v[40:41]
	v_mul_f64 v[40:41], v[170:171], v[40:41]
	v_add_f64 v[199:200], v[199:200], v[223:224]
	v_add_f64 v[217:218], v[217:218], v[221:222]
	v_fma_f64 v[221:222], v[4:5], v[34:35], v[225:226]
	v_fma_f64 v[223:224], v[2:3], v[34:35], -v[36:37]
	ds_load_b128 v[2:5], v1 offset:1408
	scratch_load_b128 v[34:37], off, off offset:688
	v_fma_f64 v[170:171], v[170:171], v[38:39], v[219:220]
	v_fma_f64 v[168:169], v[168:169], v[38:39], -v[40:41]
	scratch_load_b128 v[38:41], off, off offset:704
	v_add_f64 v[199:200], v[199:200], v[172:173]
	v_add_f64 v[217:218], v[217:218], v[174:175]
	ds_load_b128 v[172:175], v1 offset:1424
	s_waitcnt vmcnt(9) lgkmcnt(1)
	v_mul_f64 v[225:226], v[2:3], v[44:45]
	v_mul_f64 v[44:45], v[4:5], v[44:45]
	s_waitcnt vmcnt(8) lgkmcnt(0)
	v_mul_f64 v[219:220], v[172:173], v[8:9]
	v_mul_f64 v[8:9], v[174:175], v[8:9]
	v_add_f64 v[199:200], v[199:200], v[223:224]
	v_add_f64 v[217:218], v[217:218], v[221:222]
	v_fma_f64 v[221:222], v[4:5], v[42:43], v[225:226]
	v_fma_f64 v[223:224], v[2:3], v[42:43], -v[44:45]
	ds_load_b128 v[2:5], v1 offset:1440
	scratch_load_b128 v[42:45], off, off offset:720
	v_fma_f64 v[174:175], v[174:175], v[6:7], v[219:220]
	v_fma_f64 v[172:173], v[172:173], v[6:7], -v[8:9]
	scratch_load_b128 v[6:9], off, off offset:736
	v_add_f64 v[199:200], v[199:200], v[168:169]
	v_add_f64 v[217:218], v[217:218], v[170:171]
	ds_load_b128 v[168:171], v1 offset:1456
	s_waitcnt vmcnt(9) lgkmcnt(1)
	v_mul_f64 v[225:226], v[2:3], v[12:13]
	v_mul_f64 v[12:13], v[4:5], v[12:13]
	;; [unrolled: 18-line block ×5, first 2 shown]
	s_waitcnt vmcnt(8) lgkmcnt(0)
	v_mul_f64 v[219:220], v[172:173], v[40:41]
	v_mul_f64 v[40:41], v[174:175], v[40:41]
	v_add_f64 v[199:200], v[199:200], v[223:224]
	v_add_f64 v[217:218], v[217:218], v[221:222]
	v_fma_f64 v[221:222], v[4:5], v[34:35], v[225:226]
	v_fma_f64 v[223:224], v[2:3], v[34:35], -v[36:37]
	ds_load_b128 v[2:5], v1 offset:1568
	ds_load_b128 v[34:37], v1 offset:1584
	v_fma_f64 v[174:175], v[174:175], v[38:39], v[219:220]
	v_fma_f64 v[38:39], v[172:173], v[38:39], -v[40:41]
	v_add_f64 v[168:169], v[199:200], v[168:169]
	v_add_f64 v[170:171], v[217:218], v[170:171]
	s_waitcnt vmcnt(7) lgkmcnt(1)
	v_mul_f64 v[199:200], v[2:3], v[44:45]
	v_mul_f64 v[44:45], v[4:5], v[44:45]
	s_delay_alu instid0(VALU_DEP_4) | instskip(NEXT) | instid1(VALU_DEP_4)
	v_add_f64 v[40:41], v[168:169], v[223:224]
	v_add_f64 v[168:169], v[170:171], v[221:222]
	s_waitcnt vmcnt(6) lgkmcnt(0)
	v_mul_f64 v[170:171], v[34:35], v[8:9]
	v_mul_f64 v[8:9], v[36:37], v[8:9]
	v_fma_f64 v[172:173], v[4:5], v[42:43], v[199:200]
	v_fma_f64 v[42:43], v[2:3], v[42:43], -v[44:45]
	v_add_f64 v[44:45], v[40:41], v[38:39]
	v_add_f64 v[168:169], v[168:169], v[174:175]
	ds_load_b128 v[2:5], v1 offset:1600
	ds_load_b128 v[38:41], v1 offset:1616
	v_fma_f64 v[36:37], v[36:37], v[6:7], v[170:171]
	v_fma_f64 v[6:7], v[34:35], v[6:7], -v[8:9]
	s_waitcnt vmcnt(5) lgkmcnt(1)
	v_mul_f64 v[174:175], v[2:3], v[12:13]
	v_mul_f64 v[12:13], v[4:5], v[12:13]
	v_add_f64 v[8:9], v[44:45], v[42:43]
	v_add_f64 v[34:35], v[168:169], v[172:173]
	s_waitcnt vmcnt(4) lgkmcnt(0)
	v_mul_f64 v[42:43], v[38:39], v[16:17]
	v_mul_f64 v[16:17], v[40:41], v[16:17]
	v_fma_f64 v[44:45], v[4:5], v[10:11], v[174:175]
	v_fma_f64 v[10:11], v[2:3], v[10:11], -v[12:13]
	v_add_f64 v[12:13], v[8:9], v[6:7]
	v_add_f64 v[34:35], v[34:35], v[36:37]
	ds_load_b128 v[2:5], v1 offset:1632
	ds_load_b128 v[6:9], v1 offset:1648
	v_fma_f64 v[40:41], v[40:41], v[14:15], v[42:43]
	v_fma_f64 v[14:15], v[38:39], v[14:15], -v[16:17]
	s_waitcnt vmcnt(3) lgkmcnt(1)
	v_mul_f64 v[36:37], v[2:3], v[20:21]
	v_mul_f64 v[20:21], v[4:5], v[20:21]
	s_waitcnt vmcnt(2) lgkmcnt(0)
	v_mul_f64 v[16:17], v[6:7], v[24:25]
	v_mul_f64 v[24:25], v[8:9], v[24:25]
	v_add_f64 v[10:11], v[12:13], v[10:11]
	v_add_f64 v[12:13], v[34:35], v[44:45]
	v_fma_f64 v[34:35], v[4:5], v[18:19], v[36:37]
	v_fma_f64 v[18:19], v[2:3], v[18:19], -v[20:21]
	v_fma_f64 v[8:9], v[8:9], v[22:23], v[16:17]
	v_fma_f64 v[6:7], v[6:7], v[22:23], -v[24:25]
	v_add_f64 v[14:15], v[10:11], v[14:15]
	v_add_f64 v[20:21], v[12:13], v[40:41]
	ds_load_b128 v[2:5], v1 offset:1664
	ds_load_b128 v[10:13], v1 offset:1680
	s_waitcnt vmcnt(1) lgkmcnt(1)
	v_mul_f64 v[36:37], v[2:3], v[28:29]
	v_mul_f64 v[28:29], v[4:5], v[28:29]
	v_add_f64 v[14:15], v[14:15], v[18:19]
	v_add_f64 v[16:17], v[20:21], v[34:35]
	s_waitcnt vmcnt(0) lgkmcnt(0)
	v_mul_f64 v[18:19], v[10:11], v[32:33]
	v_mul_f64 v[20:21], v[12:13], v[32:33]
	v_fma_f64 v[4:5], v[4:5], v[26:27], v[36:37]
	v_fma_f64 v[1:2], v[2:3], v[26:27], -v[28:29]
	v_add_f64 v[6:7], v[14:15], v[6:7]
	v_add_f64 v[8:9], v[16:17], v[8:9]
	v_fma_f64 v[12:13], v[12:13], v[30:31], v[18:19]
	v_fma_f64 v[10:11], v[10:11], v[30:31], -v[20:21]
	s_delay_alu instid0(VALU_DEP_4) | instskip(NEXT) | instid1(VALU_DEP_4)
	v_add_f64 v[1:2], v[6:7], v[1:2]
	v_add_f64 v[3:4], v[8:9], v[4:5]
	s_delay_alu instid0(VALU_DEP_2) | instskip(NEXT) | instid1(VALU_DEP_2)
	v_add_f64 v[1:2], v[1:2], v[10:11]
	v_add_f64 v[3:4], v[3:4], v[12:13]
	s_delay_alu instid0(VALU_DEP_2) | instskip(NEXT) | instid1(VALU_DEP_2)
	v_add_f64 v[1:2], v[164:165], -v[1:2]
	v_add_f64 v[3:4], v[166:167], -v[3:4]
	scratch_store_b128 off, v[1:4], off offset:224
	v_cmpx_lt_u32_e32 13, v152
	s_cbranch_execz .LBB52_305
; %bb.304:
	scratch_load_b128 v[1:4], v192, off
	v_mov_b32_e32 v5, 0
	s_delay_alu instid0(VALU_DEP_1)
	v_mov_b32_e32 v6, v5
	v_mov_b32_e32 v7, v5
	;; [unrolled: 1-line block ×3, first 2 shown]
	scratch_store_b128 off, v[5:8], off offset:208
	s_waitcnt vmcnt(0)
	ds_store_b128 v205, v[1:4]
.LBB52_305:
	s_or_b32 exec_lo, exec_lo, s2
	s_waitcnt lgkmcnt(0)
	s_waitcnt_vscnt null, 0x0
	s_barrier
	buffer_gl0_inv
	s_clause 0x7
	scratch_load_b128 v[2:5], off, off offset:224
	scratch_load_b128 v[6:9], off, off offset:240
	;; [unrolled: 1-line block ×8, first 2 shown]
	v_mov_b32_e32 v1, 0
	s_mov_b32 s2, exec_lo
	ds_load_b128 v[38:41], v1 offset:1072
	s_clause 0x1
	scratch_load_b128 v[34:37], off, off offset:352
	scratch_load_b128 v[42:45], off, off offset:208
	ds_load_b128 v[164:167], v1 offset:1088
	scratch_load_b128 v[168:171], off, off offset:368
	s_waitcnt vmcnt(10) lgkmcnt(1)
	v_mul_f64 v[172:173], v[40:41], v[4:5]
	v_mul_f64 v[4:5], v[38:39], v[4:5]
	s_delay_alu instid0(VALU_DEP_2) | instskip(NEXT) | instid1(VALU_DEP_2)
	v_fma_f64 v[217:218], v[38:39], v[2:3], -v[172:173]
	v_fma_f64 v[219:220], v[40:41], v[2:3], v[4:5]
	scratch_load_b128 v[38:41], off, off offset:384
	ds_load_b128 v[2:5], v1 offset:1104
	s_waitcnt vmcnt(10) lgkmcnt(1)
	v_mul_f64 v[199:200], v[164:165], v[8:9]
	v_mul_f64 v[8:9], v[166:167], v[8:9]
	ds_load_b128 v[172:175], v1 offset:1120
	s_waitcnt vmcnt(9) lgkmcnt(1)
	v_mul_f64 v[221:222], v[2:3], v[12:13]
	v_mul_f64 v[12:13], v[4:5], v[12:13]
	v_fma_f64 v[166:167], v[166:167], v[6:7], v[199:200]
	v_fma_f64 v[164:165], v[164:165], v[6:7], -v[8:9]
	v_add_f64 v[199:200], v[217:218], 0
	v_add_f64 v[217:218], v[219:220], 0
	scratch_load_b128 v[6:9], off, off offset:400
	v_fma_f64 v[221:222], v[4:5], v[10:11], v[221:222]
	v_fma_f64 v[223:224], v[2:3], v[10:11], -v[12:13]
	scratch_load_b128 v[10:13], off, off offset:416
	ds_load_b128 v[2:5], v1 offset:1136
	s_waitcnt vmcnt(10) lgkmcnt(1)
	v_mul_f64 v[219:220], v[172:173], v[16:17]
	v_mul_f64 v[16:17], v[174:175], v[16:17]
	v_add_f64 v[199:200], v[199:200], v[164:165]
	v_add_f64 v[217:218], v[217:218], v[166:167]
	s_waitcnt vmcnt(9) lgkmcnt(0)
	v_mul_f64 v[225:226], v[2:3], v[20:21]
	v_mul_f64 v[20:21], v[4:5], v[20:21]
	ds_load_b128 v[164:167], v1 offset:1152
	v_fma_f64 v[174:175], v[174:175], v[14:15], v[219:220]
	v_fma_f64 v[172:173], v[172:173], v[14:15], -v[16:17]
	scratch_load_b128 v[14:17], off, off offset:432
	v_add_f64 v[199:200], v[199:200], v[223:224]
	v_add_f64 v[217:218], v[217:218], v[221:222]
	v_fma_f64 v[221:222], v[4:5], v[18:19], v[225:226]
	v_fma_f64 v[223:224], v[2:3], v[18:19], -v[20:21]
	scratch_load_b128 v[18:21], off, off offset:448
	ds_load_b128 v[2:5], v1 offset:1168
	s_waitcnt vmcnt(10) lgkmcnt(1)
	v_mul_f64 v[219:220], v[164:165], v[24:25]
	v_mul_f64 v[24:25], v[166:167], v[24:25]
	s_waitcnt vmcnt(9) lgkmcnt(0)
	v_mul_f64 v[225:226], v[2:3], v[28:29]
	v_mul_f64 v[28:29], v[4:5], v[28:29]
	v_add_f64 v[199:200], v[199:200], v[172:173]
	v_add_f64 v[217:218], v[217:218], v[174:175]
	ds_load_b128 v[172:175], v1 offset:1184
	v_fma_f64 v[166:167], v[166:167], v[22:23], v[219:220]
	v_fma_f64 v[164:165], v[164:165], v[22:23], -v[24:25]
	scratch_load_b128 v[22:25], off, off offset:464
	v_add_f64 v[199:200], v[199:200], v[223:224]
	v_add_f64 v[217:218], v[217:218], v[221:222]
	v_fma_f64 v[221:222], v[4:5], v[26:27], v[225:226]
	v_fma_f64 v[223:224], v[2:3], v[26:27], -v[28:29]
	scratch_load_b128 v[26:29], off, off offset:480
	ds_load_b128 v[2:5], v1 offset:1200
	s_waitcnt vmcnt(10) lgkmcnt(1)
	v_mul_f64 v[219:220], v[172:173], v[32:33]
	v_mul_f64 v[32:33], v[174:175], v[32:33]
	s_waitcnt vmcnt(9) lgkmcnt(0)
	v_mul_f64 v[225:226], v[2:3], v[36:37]
	v_mul_f64 v[36:37], v[4:5], v[36:37]
	v_add_f64 v[199:200], v[199:200], v[164:165]
	v_add_f64 v[217:218], v[217:218], v[166:167]
	ds_load_b128 v[164:167], v1 offset:1216
	v_fma_f64 v[174:175], v[174:175], v[30:31], v[219:220]
	v_fma_f64 v[172:173], v[172:173], v[30:31], -v[32:33]
	scratch_load_b128 v[30:33], off, off offset:496
	v_add_f64 v[199:200], v[199:200], v[223:224]
	v_add_f64 v[217:218], v[217:218], v[221:222]
	v_fma_f64 v[223:224], v[4:5], v[34:35], v[225:226]
	v_fma_f64 v[225:226], v[2:3], v[34:35], -v[36:37]
	scratch_load_b128 v[34:37], off, off offset:512
	ds_load_b128 v[2:5], v1 offset:1232
	s_waitcnt vmcnt(9) lgkmcnt(1)
	v_mul_f64 v[219:220], v[164:165], v[170:171]
	v_mul_f64 v[221:222], v[166:167], v[170:171]
	v_add_f64 v[199:200], v[199:200], v[172:173]
	v_add_f64 v[174:175], v[217:218], v[174:175]
	ds_load_b128 v[170:173], v1 offset:1248
	v_fma_f64 v[219:220], v[166:167], v[168:169], v[219:220]
	v_fma_f64 v[168:169], v[164:165], v[168:169], -v[221:222]
	scratch_load_b128 v[164:167], off, off offset:528
	s_waitcnt vmcnt(9) lgkmcnt(1)
	v_mul_f64 v[217:218], v[2:3], v[40:41]
	v_mul_f64 v[40:41], v[4:5], v[40:41]
	v_add_f64 v[199:200], v[199:200], v[225:226]
	v_add_f64 v[174:175], v[174:175], v[223:224]
	s_delay_alu instid0(VALU_DEP_4) | instskip(NEXT) | instid1(VALU_DEP_4)
	v_fma_f64 v[223:224], v[4:5], v[38:39], v[217:218]
	v_fma_f64 v[225:226], v[2:3], v[38:39], -v[40:41]
	scratch_load_b128 v[38:41], off, off offset:544
	ds_load_b128 v[2:5], v1 offset:1264
	s_waitcnt vmcnt(9) lgkmcnt(1)
	v_mul_f64 v[221:222], v[170:171], v[8:9]
	v_mul_f64 v[8:9], v[172:173], v[8:9]
	v_add_f64 v[168:169], v[199:200], v[168:169]
	v_add_f64 v[174:175], v[174:175], v[219:220]
	s_waitcnt vmcnt(8) lgkmcnt(0)
	v_mul_f64 v[199:200], v[2:3], v[12:13]
	v_mul_f64 v[12:13], v[4:5], v[12:13]
	ds_load_b128 v[217:220], v1 offset:1280
	v_fma_f64 v[172:173], v[172:173], v[6:7], v[221:222]
	v_fma_f64 v[170:171], v[170:171], v[6:7], -v[8:9]
	scratch_load_b128 v[6:9], off, off offset:560
	v_add_f64 v[168:169], v[168:169], v[225:226]
	v_add_f64 v[174:175], v[174:175], v[223:224]
	v_fma_f64 v[199:200], v[4:5], v[10:11], v[199:200]
	v_fma_f64 v[223:224], v[2:3], v[10:11], -v[12:13]
	scratch_load_b128 v[10:13], off, off offset:576
	ds_load_b128 v[2:5], v1 offset:1296
	s_waitcnt vmcnt(9) lgkmcnt(1)
	v_mul_f64 v[221:222], v[217:218], v[16:17]
	v_mul_f64 v[16:17], v[219:220], v[16:17]
	v_add_f64 v[225:226], v[168:169], v[170:171]
	v_add_f64 v[172:173], v[174:175], v[172:173]
	s_waitcnt vmcnt(8) lgkmcnt(0)
	v_mul_f64 v[174:175], v[2:3], v[20:21]
	v_mul_f64 v[20:21], v[4:5], v[20:21]
	ds_load_b128 v[168:171], v1 offset:1312
	v_fma_f64 v[219:220], v[219:220], v[14:15], v[221:222]
	v_fma_f64 v[217:218], v[217:218], v[14:15], -v[16:17]
	scratch_load_b128 v[14:17], off, off offset:592
	v_add_f64 v[221:222], v[225:226], v[223:224]
	v_add_f64 v[172:173], v[172:173], v[199:200]
	;; [unrolled: 18-line block ×3, first 2 shown]
	v_fma_f64 v[221:222], v[4:5], v[26:27], v[221:222]
	v_fma_f64 v[223:224], v[2:3], v[26:27], -v[28:29]
	scratch_load_b128 v[26:29], off, off offset:640
	ds_load_b128 v[2:5], v1 offset:1360
	s_waitcnt vmcnt(9) lgkmcnt(1)
	v_mul_f64 v[219:220], v[172:173], v[32:33]
	v_mul_f64 v[32:33], v[174:175], v[32:33]
	s_waitcnt vmcnt(8) lgkmcnt(0)
	v_mul_f64 v[225:226], v[2:3], v[36:37]
	v_mul_f64 v[36:37], v[4:5], v[36:37]
	v_add_f64 v[199:200], v[199:200], v[168:169]
	v_add_f64 v[217:218], v[217:218], v[170:171]
	ds_load_b128 v[168:171], v1 offset:1376
	v_fma_f64 v[174:175], v[174:175], v[30:31], v[219:220]
	v_fma_f64 v[172:173], v[172:173], v[30:31], -v[32:33]
	scratch_load_b128 v[30:33], off, off offset:656
	v_add_f64 v[199:200], v[199:200], v[223:224]
	v_add_f64 v[217:218], v[217:218], v[221:222]
	v_fma_f64 v[221:222], v[4:5], v[34:35], v[225:226]
	v_fma_f64 v[223:224], v[2:3], v[34:35], -v[36:37]
	scratch_load_b128 v[34:37], off, off offset:672
	ds_load_b128 v[2:5], v1 offset:1392
	s_waitcnt vmcnt(9) lgkmcnt(1)
	v_mul_f64 v[219:220], v[168:169], v[166:167]
	v_mul_f64 v[166:167], v[170:171], v[166:167]
	s_waitcnt vmcnt(8) lgkmcnt(0)
	v_mul_f64 v[225:226], v[2:3], v[40:41]
	v_mul_f64 v[40:41], v[4:5], v[40:41]
	v_add_f64 v[199:200], v[199:200], v[172:173]
	v_add_f64 v[217:218], v[217:218], v[174:175]
	ds_load_b128 v[172:175], v1 offset:1408
	v_fma_f64 v[170:171], v[170:171], v[164:165], v[219:220]
	v_fma_f64 v[168:169], v[168:169], v[164:165], -v[166:167]
	scratch_load_b128 v[164:167], off, off offset:688
	v_add_f64 v[199:200], v[199:200], v[223:224]
	v_add_f64 v[217:218], v[217:218], v[221:222]
	v_fma_f64 v[221:222], v[4:5], v[38:39], v[225:226]
	v_fma_f64 v[223:224], v[2:3], v[38:39], -v[40:41]
	scratch_load_b128 v[38:41], off, off offset:704
	ds_load_b128 v[2:5], v1 offset:1424
	s_waitcnt vmcnt(9) lgkmcnt(1)
	v_mul_f64 v[219:220], v[172:173], v[8:9]
	v_mul_f64 v[8:9], v[174:175], v[8:9]
	s_waitcnt vmcnt(8) lgkmcnt(0)
	v_mul_f64 v[225:226], v[2:3], v[12:13]
	v_mul_f64 v[12:13], v[4:5], v[12:13]
	v_add_f64 v[199:200], v[199:200], v[168:169]
	v_add_f64 v[217:218], v[217:218], v[170:171]
	ds_load_b128 v[168:171], v1 offset:1440
	v_fma_f64 v[174:175], v[174:175], v[6:7], v[219:220]
	v_fma_f64 v[172:173], v[172:173], v[6:7], -v[8:9]
	scratch_load_b128 v[6:9], off, off offset:720
	v_add_f64 v[199:200], v[199:200], v[223:224]
	v_add_f64 v[217:218], v[217:218], v[221:222]
	v_fma_f64 v[221:222], v[4:5], v[10:11], v[225:226]
	v_fma_f64 v[223:224], v[2:3], v[10:11], -v[12:13]
	scratch_load_b128 v[10:13], off, off offset:736
	ds_load_b128 v[2:5], v1 offset:1456
	s_waitcnt vmcnt(9) lgkmcnt(1)
	v_mul_f64 v[219:220], v[168:169], v[16:17]
	v_mul_f64 v[16:17], v[170:171], v[16:17]
	s_waitcnt vmcnt(8) lgkmcnt(0)
	v_mul_f64 v[225:226], v[2:3], v[20:21]
	v_mul_f64 v[20:21], v[4:5], v[20:21]
	v_add_f64 v[199:200], v[199:200], v[172:173]
	v_add_f64 v[217:218], v[217:218], v[174:175]
	ds_load_b128 v[172:175], v1 offset:1472
	v_fma_f64 v[170:171], v[170:171], v[14:15], v[219:220]
	v_fma_f64 v[168:169], v[168:169], v[14:15], -v[16:17]
	scratch_load_b128 v[14:17], off, off offset:752
	v_add_f64 v[199:200], v[199:200], v[223:224]
	v_add_f64 v[217:218], v[217:218], v[221:222]
	v_fma_f64 v[221:222], v[4:5], v[18:19], v[225:226]
	v_fma_f64 v[223:224], v[2:3], v[18:19], -v[20:21]
	scratch_load_b128 v[18:21], off, off offset:768
	ds_load_b128 v[2:5], v1 offset:1488
	s_waitcnt vmcnt(9) lgkmcnt(1)
	v_mul_f64 v[219:220], v[172:173], v[24:25]
	v_mul_f64 v[24:25], v[174:175], v[24:25]
	s_waitcnt vmcnt(8) lgkmcnt(0)
	v_mul_f64 v[225:226], v[2:3], v[28:29]
	v_mul_f64 v[28:29], v[4:5], v[28:29]
	v_add_f64 v[199:200], v[199:200], v[168:169]
	v_add_f64 v[217:218], v[217:218], v[170:171]
	ds_load_b128 v[168:171], v1 offset:1504
	v_fma_f64 v[174:175], v[174:175], v[22:23], v[219:220]
	v_fma_f64 v[172:173], v[172:173], v[22:23], -v[24:25]
	scratch_load_b128 v[22:25], off, off offset:784
	v_add_f64 v[199:200], v[199:200], v[223:224]
	v_add_f64 v[217:218], v[217:218], v[221:222]
	v_fma_f64 v[221:222], v[4:5], v[26:27], v[225:226]
	v_fma_f64 v[223:224], v[2:3], v[26:27], -v[28:29]
	scratch_load_b128 v[26:29], off, off offset:800
	ds_load_b128 v[2:5], v1 offset:1520
	s_waitcnt vmcnt(9) lgkmcnt(1)
	v_mul_f64 v[219:220], v[168:169], v[32:33]
	v_mul_f64 v[32:33], v[170:171], v[32:33]
	s_waitcnt vmcnt(8) lgkmcnt(0)
	v_mul_f64 v[225:226], v[2:3], v[36:37]
	v_mul_f64 v[36:37], v[4:5], v[36:37]
	v_add_f64 v[199:200], v[199:200], v[172:173]
	v_add_f64 v[217:218], v[217:218], v[174:175]
	ds_load_b128 v[172:175], v1 offset:1536
	v_fma_f64 v[170:171], v[170:171], v[30:31], v[219:220]
	v_fma_f64 v[168:169], v[168:169], v[30:31], -v[32:33]
	scratch_load_b128 v[30:33], off, off offset:816
	v_add_f64 v[199:200], v[199:200], v[223:224]
	v_add_f64 v[217:218], v[217:218], v[221:222]
	v_fma_f64 v[223:224], v[4:5], v[34:35], v[225:226]
	v_fma_f64 v[225:226], v[2:3], v[34:35], -v[36:37]
	scratch_load_b128 v[34:37], off, off offset:832
	ds_load_b128 v[2:5], v1 offset:1552
	s_waitcnt vmcnt(9) lgkmcnt(1)
	v_mul_f64 v[219:220], v[172:173], v[166:167]
	v_mul_f64 v[221:222], v[174:175], v[166:167]
	v_add_f64 v[199:200], v[199:200], v[168:169]
	v_add_f64 v[170:171], v[217:218], v[170:171]
	s_waitcnt vmcnt(8) lgkmcnt(0)
	v_mul_f64 v[217:218], v[2:3], v[40:41]
	v_mul_f64 v[40:41], v[4:5], v[40:41]
	ds_load_b128 v[166:169], v1 offset:1568
	v_fma_f64 v[174:175], v[174:175], v[164:165], v[219:220]
	v_fma_f64 v[164:165], v[172:173], v[164:165], -v[221:222]
	v_add_f64 v[172:173], v[199:200], v[225:226]
	v_add_f64 v[170:171], v[170:171], v[223:224]
	s_waitcnt vmcnt(7) lgkmcnt(0)
	v_mul_f64 v[199:200], v[166:167], v[8:9]
	v_mul_f64 v[8:9], v[168:169], v[8:9]
	v_fma_f64 v[217:218], v[4:5], v[38:39], v[217:218]
	v_fma_f64 v[219:220], v[2:3], v[38:39], -v[40:41]
	ds_load_b128 v[2:5], v1 offset:1584
	ds_load_b128 v[38:41], v1 offset:1600
	v_add_f64 v[164:165], v[172:173], v[164:165]
	v_add_f64 v[170:171], v[170:171], v[174:175]
	s_waitcnt vmcnt(6) lgkmcnt(1)
	v_mul_f64 v[172:173], v[2:3], v[12:13]
	v_mul_f64 v[12:13], v[4:5], v[12:13]
	v_fma_f64 v[168:169], v[168:169], v[6:7], v[199:200]
	v_fma_f64 v[6:7], v[166:167], v[6:7], -v[8:9]
	s_waitcnt vmcnt(5) lgkmcnt(0)
	v_mul_f64 v[166:167], v[38:39], v[16:17]
	v_mul_f64 v[16:17], v[40:41], v[16:17]
	v_add_f64 v[8:9], v[164:165], v[219:220]
	v_add_f64 v[164:165], v[170:171], v[217:218]
	v_fma_f64 v[170:171], v[4:5], v[10:11], v[172:173]
	v_fma_f64 v[10:11], v[2:3], v[10:11], -v[12:13]
	v_fma_f64 v[40:41], v[40:41], v[14:15], v[166:167]
	v_fma_f64 v[14:15], v[38:39], v[14:15], -v[16:17]
	v_add_f64 v[12:13], v[8:9], v[6:7]
	v_add_f64 v[164:165], v[164:165], v[168:169]
	ds_load_b128 v[2:5], v1 offset:1616
	ds_load_b128 v[6:9], v1 offset:1632
	s_waitcnt vmcnt(4) lgkmcnt(1)
	v_mul_f64 v[168:169], v[2:3], v[20:21]
	v_mul_f64 v[20:21], v[4:5], v[20:21]
	s_waitcnt vmcnt(3) lgkmcnt(0)
	v_mul_f64 v[16:17], v[6:7], v[24:25]
	v_mul_f64 v[24:25], v[8:9], v[24:25]
	v_add_f64 v[10:11], v[12:13], v[10:11]
	v_add_f64 v[12:13], v[164:165], v[170:171]
	v_fma_f64 v[38:39], v[4:5], v[18:19], v[168:169]
	v_fma_f64 v[18:19], v[2:3], v[18:19], -v[20:21]
	v_fma_f64 v[8:9], v[8:9], v[22:23], v[16:17]
	v_fma_f64 v[6:7], v[6:7], v[22:23], -v[24:25]
	v_add_f64 v[14:15], v[10:11], v[14:15]
	v_add_f64 v[20:21], v[12:13], v[40:41]
	ds_load_b128 v[2:5], v1 offset:1648
	ds_load_b128 v[10:13], v1 offset:1664
	s_waitcnt vmcnt(2) lgkmcnt(1)
	v_mul_f64 v[40:41], v[2:3], v[28:29]
	v_mul_f64 v[28:29], v[4:5], v[28:29]
	v_add_f64 v[14:15], v[14:15], v[18:19]
	v_add_f64 v[16:17], v[20:21], v[38:39]
	s_waitcnt vmcnt(1) lgkmcnt(0)
	v_mul_f64 v[18:19], v[10:11], v[32:33]
	v_mul_f64 v[20:21], v[12:13], v[32:33]
	v_fma_f64 v[22:23], v[4:5], v[26:27], v[40:41]
	v_fma_f64 v[24:25], v[2:3], v[26:27], -v[28:29]
	ds_load_b128 v[2:5], v1 offset:1680
	v_add_f64 v[6:7], v[14:15], v[6:7]
	v_add_f64 v[8:9], v[16:17], v[8:9]
	v_fma_f64 v[12:13], v[12:13], v[30:31], v[18:19]
	v_fma_f64 v[10:11], v[10:11], v[30:31], -v[20:21]
	s_waitcnt vmcnt(0) lgkmcnt(0)
	v_mul_f64 v[14:15], v[2:3], v[36:37]
	v_mul_f64 v[16:17], v[4:5], v[36:37]
	v_add_f64 v[6:7], v[6:7], v[24:25]
	v_add_f64 v[8:9], v[8:9], v[22:23]
	s_delay_alu instid0(VALU_DEP_4) | instskip(NEXT) | instid1(VALU_DEP_4)
	v_fma_f64 v[4:5], v[4:5], v[34:35], v[14:15]
	v_fma_f64 v[2:3], v[2:3], v[34:35], -v[16:17]
	s_delay_alu instid0(VALU_DEP_4) | instskip(NEXT) | instid1(VALU_DEP_4)
	v_add_f64 v[6:7], v[6:7], v[10:11]
	v_add_f64 v[8:9], v[8:9], v[12:13]
	s_delay_alu instid0(VALU_DEP_2) | instskip(NEXT) | instid1(VALU_DEP_2)
	v_add_f64 v[2:3], v[6:7], v[2:3]
	v_add_f64 v[4:5], v[8:9], v[4:5]
	s_delay_alu instid0(VALU_DEP_2) | instskip(NEXT) | instid1(VALU_DEP_2)
	v_add_f64 v[2:3], v[42:43], -v[2:3]
	v_add_f64 v[4:5], v[44:45], -v[4:5]
	scratch_store_b128 off, v[2:5], off offset:208
	v_cmpx_lt_u32_e32 12, v152
	s_cbranch_execz .LBB52_307
; %bb.306:
	scratch_load_b128 v[5:8], v193, off
	v_mov_b32_e32 v2, v1
	v_mov_b32_e32 v3, v1
	;; [unrolled: 1-line block ×3, first 2 shown]
	scratch_store_b128 off, v[1:4], off offset:192
	s_waitcnt vmcnt(0)
	ds_store_b128 v205, v[5:8]
.LBB52_307:
	s_or_b32 exec_lo, exec_lo, s2
	s_waitcnt lgkmcnt(0)
	s_waitcnt_vscnt null, 0x0
	s_barrier
	buffer_gl0_inv
	s_clause 0x8
	scratch_load_b128 v[2:5], off, off offset:208
	scratch_load_b128 v[6:9], off, off offset:224
	;; [unrolled: 1-line block ×9, first 2 shown]
	ds_load_b128 v[42:45], v1 offset:1056
	ds_load_b128 v[38:41], v1 offset:1072
	s_clause 0x1
	scratch_load_b128 v[164:167], off, off offset:192
	scratch_load_b128 v[168:171], off, off offset:352
	s_mov_b32 s2, exec_lo
	s_waitcnt vmcnt(10) lgkmcnt(1)
	v_mul_f64 v[172:173], v[44:45], v[4:5]
	v_mul_f64 v[4:5], v[42:43], v[4:5]
	s_waitcnt vmcnt(9) lgkmcnt(0)
	v_mul_f64 v[199:200], v[38:39], v[8:9]
	v_mul_f64 v[8:9], v[40:41], v[8:9]
	s_delay_alu instid0(VALU_DEP_4) | instskip(NEXT) | instid1(VALU_DEP_4)
	v_fma_f64 v[217:218], v[42:43], v[2:3], -v[172:173]
	v_fma_f64 v[219:220], v[44:45], v[2:3], v[4:5]
	ds_load_b128 v[2:5], v1 offset:1088
	ds_load_b128 v[172:175], v1 offset:1104
	scratch_load_b128 v[42:45], off, off offset:368
	v_fma_f64 v[40:41], v[40:41], v[6:7], v[199:200]
	v_fma_f64 v[38:39], v[38:39], v[6:7], -v[8:9]
	scratch_load_b128 v[6:9], off, off offset:384
	s_waitcnt vmcnt(10) lgkmcnt(1)
	v_mul_f64 v[221:222], v[2:3], v[12:13]
	v_mul_f64 v[12:13], v[4:5], v[12:13]
	v_add_f64 v[199:200], v[217:218], 0
	v_add_f64 v[217:218], v[219:220], 0
	s_waitcnt vmcnt(9) lgkmcnt(0)
	v_mul_f64 v[219:220], v[172:173], v[16:17]
	v_mul_f64 v[16:17], v[174:175], v[16:17]
	v_fma_f64 v[221:222], v[4:5], v[10:11], v[221:222]
	v_fma_f64 v[223:224], v[2:3], v[10:11], -v[12:13]
	ds_load_b128 v[2:5], v1 offset:1120
	scratch_load_b128 v[10:13], off, off offset:400
	v_add_f64 v[199:200], v[199:200], v[38:39]
	v_add_f64 v[217:218], v[217:218], v[40:41]
	ds_load_b128 v[38:41], v1 offset:1136
	v_fma_f64 v[174:175], v[174:175], v[14:15], v[219:220]
	v_fma_f64 v[172:173], v[172:173], v[14:15], -v[16:17]
	scratch_load_b128 v[14:17], off, off offset:416
	s_waitcnt vmcnt(10) lgkmcnt(1)
	v_mul_f64 v[225:226], v[2:3], v[20:21]
	v_mul_f64 v[20:21], v[4:5], v[20:21]
	s_waitcnt vmcnt(9) lgkmcnt(0)
	v_mul_f64 v[219:220], v[38:39], v[24:25]
	v_mul_f64 v[24:25], v[40:41], v[24:25]
	v_add_f64 v[199:200], v[199:200], v[223:224]
	v_add_f64 v[217:218], v[217:218], v[221:222]
	v_fma_f64 v[221:222], v[4:5], v[18:19], v[225:226]
	v_fma_f64 v[223:224], v[2:3], v[18:19], -v[20:21]
	ds_load_b128 v[2:5], v1 offset:1152
	scratch_load_b128 v[18:21], off, off offset:432
	v_fma_f64 v[40:41], v[40:41], v[22:23], v[219:220]
	v_fma_f64 v[38:39], v[38:39], v[22:23], -v[24:25]
	scratch_load_b128 v[22:25], off, off offset:448
	v_add_f64 v[199:200], v[199:200], v[172:173]
	v_add_f64 v[217:218], v[217:218], v[174:175]
	ds_load_b128 v[172:175], v1 offset:1168
	s_waitcnt vmcnt(10) lgkmcnt(1)
	v_mul_f64 v[225:226], v[2:3], v[28:29]
	v_mul_f64 v[28:29], v[4:5], v[28:29]
	s_waitcnt vmcnt(9) lgkmcnt(0)
	v_mul_f64 v[219:220], v[172:173], v[32:33]
	v_mul_f64 v[32:33], v[174:175], v[32:33]
	v_add_f64 v[199:200], v[199:200], v[223:224]
	v_add_f64 v[217:218], v[217:218], v[221:222]
	v_fma_f64 v[221:222], v[4:5], v[26:27], v[225:226]
	v_fma_f64 v[223:224], v[2:3], v[26:27], -v[28:29]
	ds_load_b128 v[2:5], v1 offset:1184
	scratch_load_b128 v[26:29], off, off offset:464
	v_fma_f64 v[174:175], v[174:175], v[30:31], v[219:220]
	v_fma_f64 v[172:173], v[172:173], v[30:31], -v[32:33]
	scratch_load_b128 v[30:33], off, off offset:480
	v_add_f64 v[199:200], v[199:200], v[38:39]
	v_add_f64 v[217:218], v[217:218], v[40:41]
	ds_load_b128 v[38:41], v1 offset:1200
	s_waitcnt vmcnt(10) lgkmcnt(1)
	v_mul_f64 v[225:226], v[2:3], v[36:37]
	v_mul_f64 v[36:37], v[4:5], v[36:37]
	s_waitcnt vmcnt(8) lgkmcnt(0)
	v_mul_f64 v[219:220], v[38:39], v[170:171]
	v_add_f64 v[199:200], v[199:200], v[223:224]
	v_add_f64 v[217:218], v[217:218], v[221:222]
	v_mul_f64 v[221:222], v[40:41], v[170:171]
	v_fma_f64 v[223:224], v[4:5], v[34:35], v[225:226]
	v_fma_f64 v[225:226], v[2:3], v[34:35], -v[36:37]
	ds_load_b128 v[2:5], v1 offset:1216
	scratch_load_b128 v[34:37], off, off offset:496
	v_fma_f64 v[219:220], v[40:41], v[168:169], v[219:220]
	v_add_f64 v[199:200], v[199:200], v[172:173]
	v_add_f64 v[174:175], v[217:218], v[174:175]
	ds_load_b128 v[170:173], v1 offset:1232
	v_fma_f64 v[168:169], v[38:39], v[168:169], -v[221:222]
	scratch_load_b128 v[38:41], off, off offset:512
	s_waitcnt vmcnt(9) lgkmcnt(1)
	v_mul_f64 v[217:218], v[2:3], v[44:45]
	v_mul_f64 v[44:45], v[4:5], v[44:45]
	s_waitcnt vmcnt(8) lgkmcnt(0)
	v_mul_f64 v[221:222], v[170:171], v[8:9]
	v_mul_f64 v[8:9], v[172:173], v[8:9]
	v_add_f64 v[199:200], v[199:200], v[225:226]
	v_add_f64 v[174:175], v[174:175], v[223:224]
	v_fma_f64 v[223:224], v[4:5], v[42:43], v[217:218]
	v_fma_f64 v[225:226], v[2:3], v[42:43], -v[44:45]
	ds_load_b128 v[2:5], v1 offset:1248
	scratch_load_b128 v[42:45], off, off offset:528
	v_fma_f64 v[172:173], v[172:173], v[6:7], v[221:222]
	v_fma_f64 v[170:171], v[170:171], v[6:7], -v[8:9]
	scratch_load_b128 v[6:9], off, off offset:544
	v_add_f64 v[168:169], v[199:200], v[168:169]
	v_add_f64 v[174:175], v[174:175], v[219:220]
	ds_load_b128 v[217:220], v1 offset:1264
	s_waitcnt vmcnt(9) lgkmcnt(1)
	v_mul_f64 v[199:200], v[2:3], v[12:13]
	v_mul_f64 v[12:13], v[4:5], v[12:13]
	s_waitcnt vmcnt(8) lgkmcnt(0)
	v_mul_f64 v[221:222], v[217:218], v[16:17]
	v_mul_f64 v[16:17], v[219:220], v[16:17]
	v_add_f64 v[168:169], v[168:169], v[225:226]
	v_add_f64 v[174:175], v[174:175], v[223:224]
	v_fma_f64 v[199:200], v[4:5], v[10:11], v[199:200]
	v_fma_f64 v[223:224], v[2:3], v[10:11], -v[12:13]
	ds_load_b128 v[2:5], v1 offset:1280
	scratch_load_b128 v[10:13], off, off offset:560
	v_fma_f64 v[219:220], v[219:220], v[14:15], v[221:222]
	v_fma_f64 v[217:218], v[217:218], v[14:15], -v[16:17]
	scratch_load_b128 v[14:17], off, off offset:576
	v_add_f64 v[225:226], v[168:169], v[170:171]
	v_add_f64 v[172:173], v[174:175], v[172:173]
	ds_load_b128 v[168:171], v1 offset:1296
	s_waitcnt vmcnt(9) lgkmcnt(1)
	v_mul_f64 v[174:175], v[2:3], v[20:21]
	v_mul_f64 v[20:21], v[4:5], v[20:21]
	v_add_f64 v[221:222], v[225:226], v[223:224]
	v_add_f64 v[172:173], v[172:173], v[199:200]
	s_waitcnt vmcnt(8) lgkmcnt(0)
	v_mul_f64 v[199:200], v[168:169], v[24:25]
	v_mul_f64 v[24:25], v[170:171], v[24:25]
	v_fma_f64 v[223:224], v[4:5], v[18:19], v[174:175]
	v_fma_f64 v[225:226], v[2:3], v[18:19], -v[20:21]
	ds_load_b128 v[2:5], v1 offset:1312
	scratch_load_b128 v[18:21], off, off offset:592
	v_add_f64 v[217:218], v[221:222], v[217:218]
	v_add_f64 v[219:220], v[172:173], v[219:220]
	ds_load_b128 v[172:175], v1 offset:1328
	s_waitcnt vmcnt(8) lgkmcnt(1)
	v_mul_f64 v[221:222], v[2:3], v[28:29]
	v_mul_f64 v[28:29], v[4:5], v[28:29]
	v_fma_f64 v[170:171], v[170:171], v[22:23], v[199:200]
	v_fma_f64 v[168:169], v[168:169], v[22:23], -v[24:25]
	scratch_load_b128 v[22:25], off, off offset:608
	v_add_f64 v[199:200], v[217:218], v[225:226]
	v_add_f64 v[217:218], v[219:220], v[223:224]
	s_waitcnt vmcnt(8) lgkmcnt(0)
	v_mul_f64 v[219:220], v[172:173], v[32:33]
	v_mul_f64 v[32:33], v[174:175], v[32:33]
	v_fma_f64 v[221:222], v[4:5], v[26:27], v[221:222]
	v_fma_f64 v[223:224], v[2:3], v[26:27], -v[28:29]
	ds_load_b128 v[2:5], v1 offset:1344
	scratch_load_b128 v[26:29], off, off offset:624
	v_add_f64 v[199:200], v[199:200], v[168:169]
	v_add_f64 v[217:218], v[217:218], v[170:171]
	ds_load_b128 v[168:171], v1 offset:1360
	s_waitcnt vmcnt(8) lgkmcnt(1)
	v_mul_f64 v[225:226], v[2:3], v[36:37]
	v_mul_f64 v[36:37], v[4:5], v[36:37]
	v_fma_f64 v[174:175], v[174:175], v[30:31], v[219:220]
	v_fma_f64 v[172:173], v[172:173], v[30:31], -v[32:33]
	scratch_load_b128 v[30:33], off, off offset:640
	s_waitcnt vmcnt(8) lgkmcnt(0)
	v_mul_f64 v[219:220], v[168:169], v[40:41]
	v_mul_f64 v[40:41], v[170:171], v[40:41]
	v_add_f64 v[199:200], v[199:200], v[223:224]
	v_add_f64 v[217:218], v[217:218], v[221:222]
	v_fma_f64 v[221:222], v[4:5], v[34:35], v[225:226]
	v_fma_f64 v[223:224], v[2:3], v[34:35], -v[36:37]
	ds_load_b128 v[2:5], v1 offset:1376
	scratch_load_b128 v[34:37], off, off offset:656
	v_fma_f64 v[170:171], v[170:171], v[38:39], v[219:220]
	v_fma_f64 v[168:169], v[168:169], v[38:39], -v[40:41]
	scratch_load_b128 v[38:41], off, off offset:672
	v_add_f64 v[199:200], v[199:200], v[172:173]
	v_add_f64 v[217:218], v[217:218], v[174:175]
	ds_load_b128 v[172:175], v1 offset:1392
	s_waitcnt vmcnt(9) lgkmcnt(1)
	v_mul_f64 v[225:226], v[2:3], v[44:45]
	v_mul_f64 v[44:45], v[4:5], v[44:45]
	s_waitcnt vmcnt(8) lgkmcnt(0)
	v_mul_f64 v[219:220], v[172:173], v[8:9]
	v_mul_f64 v[8:9], v[174:175], v[8:9]
	v_add_f64 v[199:200], v[199:200], v[223:224]
	v_add_f64 v[217:218], v[217:218], v[221:222]
	v_fma_f64 v[221:222], v[4:5], v[42:43], v[225:226]
	v_fma_f64 v[223:224], v[2:3], v[42:43], -v[44:45]
	ds_load_b128 v[2:5], v1 offset:1408
	scratch_load_b128 v[42:45], off, off offset:688
	v_fma_f64 v[174:175], v[174:175], v[6:7], v[219:220]
	v_fma_f64 v[172:173], v[172:173], v[6:7], -v[8:9]
	scratch_load_b128 v[6:9], off, off offset:704
	v_add_f64 v[199:200], v[199:200], v[168:169]
	v_add_f64 v[217:218], v[217:218], v[170:171]
	ds_load_b128 v[168:171], v1 offset:1424
	s_waitcnt vmcnt(9) lgkmcnt(1)
	v_mul_f64 v[225:226], v[2:3], v[12:13]
	v_mul_f64 v[12:13], v[4:5], v[12:13]
	;; [unrolled: 18-line block ×6, first 2 shown]
	s_waitcnt vmcnt(8) lgkmcnt(0)
	v_mul_f64 v[219:220], v[168:169], v[8:9]
	v_mul_f64 v[8:9], v[170:171], v[8:9]
	v_add_f64 v[199:200], v[199:200], v[223:224]
	v_add_f64 v[217:218], v[217:218], v[221:222]
	v_fma_f64 v[221:222], v[4:5], v[42:43], v[225:226]
	v_fma_f64 v[223:224], v[2:3], v[42:43], -v[44:45]
	ds_load_b128 v[2:5], v1 offset:1568
	ds_load_b128 v[42:45], v1 offset:1584
	v_fma_f64 v[170:171], v[170:171], v[6:7], v[219:220]
	v_fma_f64 v[6:7], v[168:169], v[6:7], -v[8:9]
	v_add_f64 v[172:173], v[199:200], v[172:173]
	v_add_f64 v[174:175], v[217:218], v[174:175]
	s_waitcnt vmcnt(7) lgkmcnt(1)
	v_mul_f64 v[199:200], v[2:3], v[12:13]
	v_mul_f64 v[12:13], v[4:5], v[12:13]
	s_delay_alu instid0(VALU_DEP_4) | instskip(NEXT) | instid1(VALU_DEP_4)
	v_add_f64 v[8:9], v[172:173], v[223:224]
	v_add_f64 v[168:169], v[174:175], v[221:222]
	s_waitcnt vmcnt(6) lgkmcnt(0)
	v_mul_f64 v[172:173], v[42:43], v[16:17]
	v_mul_f64 v[16:17], v[44:45], v[16:17]
	v_fma_f64 v[174:175], v[4:5], v[10:11], v[199:200]
	v_fma_f64 v[10:11], v[2:3], v[10:11], -v[12:13]
	v_add_f64 v[12:13], v[8:9], v[6:7]
	v_add_f64 v[168:169], v[168:169], v[170:171]
	ds_load_b128 v[2:5], v1 offset:1600
	ds_load_b128 v[6:9], v1 offset:1616
	v_fma_f64 v[44:45], v[44:45], v[14:15], v[172:173]
	v_fma_f64 v[14:15], v[42:43], v[14:15], -v[16:17]
	s_waitcnt vmcnt(5) lgkmcnt(1)
	v_mul_f64 v[170:171], v[2:3], v[20:21]
	v_mul_f64 v[20:21], v[4:5], v[20:21]
	s_waitcnt vmcnt(4) lgkmcnt(0)
	v_mul_f64 v[16:17], v[6:7], v[24:25]
	v_mul_f64 v[24:25], v[8:9], v[24:25]
	v_add_f64 v[10:11], v[12:13], v[10:11]
	v_add_f64 v[12:13], v[168:169], v[174:175]
	v_fma_f64 v[42:43], v[4:5], v[18:19], v[170:171]
	v_fma_f64 v[18:19], v[2:3], v[18:19], -v[20:21]
	v_fma_f64 v[8:9], v[8:9], v[22:23], v[16:17]
	v_fma_f64 v[6:7], v[6:7], v[22:23], -v[24:25]
	v_add_f64 v[14:15], v[10:11], v[14:15]
	v_add_f64 v[20:21], v[12:13], v[44:45]
	ds_load_b128 v[2:5], v1 offset:1632
	ds_load_b128 v[10:13], v1 offset:1648
	s_waitcnt vmcnt(3) lgkmcnt(1)
	v_mul_f64 v[44:45], v[2:3], v[28:29]
	v_mul_f64 v[28:29], v[4:5], v[28:29]
	v_add_f64 v[14:15], v[14:15], v[18:19]
	v_add_f64 v[16:17], v[20:21], v[42:43]
	s_waitcnt vmcnt(2) lgkmcnt(0)
	v_mul_f64 v[18:19], v[10:11], v[32:33]
	v_mul_f64 v[20:21], v[12:13], v[32:33]
	v_fma_f64 v[22:23], v[4:5], v[26:27], v[44:45]
	v_fma_f64 v[24:25], v[2:3], v[26:27], -v[28:29]
	v_add_f64 v[14:15], v[14:15], v[6:7]
	v_add_f64 v[16:17], v[16:17], v[8:9]
	ds_load_b128 v[2:5], v1 offset:1664
	ds_load_b128 v[6:9], v1 offset:1680
	v_fma_f64 v[12:13], v[12:13], v[30:31], v[18:19]
	v_fma_f64 v[10:11], v[10:11], v[30:31], -v[20:21]
	s_waitcnt vmcnt(1) lgkmcnt(1)
	v_mul_f64 v[26:27], v[2:3], v[36:37]
	v_mul_f64 v[28:29], v[4:5], v[36:37]
	s_waitcnt vmcnt(0) lgkmcnt(0)
	v_mul_f64 v[18:19], v[6:7], v[40:41]
	v_mul_f64 v[20:21], v[8:9], v[40:41]
	v_add_f64 v[14:15], v[14:15], v[24:25]
	v_add_f64 v[16:17], v[16:17], v[22:23]
	v_fma_f64 v[4:5], v[4:5], v[34:35], v[26:27]
	v_fma_f64 v[1:2], v[2:3], v[34:35], -v[28:29]
	v_fma_f64 v[8:9], v[8:9], v[38:39], v[18:19]
	v_fma_f64 v[6:7], v[6:7], v[38:39], -v[20:21]
	v_add_f64 v[10:11], v[14:15], v[10:11]
	v_add_f64 v[12:13], v[16:17], v[12:13]
	s_delay_alu instid0(VALU_DEP_2) | instskip(NEXT) | instid1(VALU_DEP_2)
	v_add_f64 v[1:2], v[10:11], v[1:2]
	v_add_f64 v[3:4], v[12:13], v[4:5]
	s_delay_alu instid0(VALU_DEP_2) | instskip(NEXT) | instid1(VALU_DEP_2)
	;; [unrolled: 3-line block ×3, first 2 shown]
	v_add_f64 v[1:2], v[164:165], -v[1:2]
	v_add_f64 v[3:4], v[166:167], -v[3:4]
	scratch_store_b128 off, v[1:4], off offset:192
	v_cmpx_lt_u32_e32 11, v152
	s_cbranch_execz .LBB52_309
; %bb.308:
	scratch_load_b128 v[1:4], v194, off
	v_mov_b32_e32 v5, 0
	s_delay_alu instid0(VALU_DEP_1)
	v_mov_b32_e32 v6, v5
	v_mov_b32_e32 v7, v5
	;; [unrolled: 1-line block ×3, first 2 shown]
	scratch_store_b128 off, v[5:8], off offset:176
	s_waitcnt vmcnt(0)
	ds_store_b128 v205, v[1:4]
.LBB52_309:
	s_or_b32 exec_lo, exec_lo, s2
	s_waitcnt lgkmcnt(0)
	s_waitcnt_vscnt null, 0x0
	s_barrier
	buffer_gl0_inv
	s_clause 0x7
	scratch_load_b128 v[2:5], off, off offset:192
	scratch_load_b128 v[6:9], off, off offset:208
	;; [unrolled: 1-line block ×8, first 2 shown]
	v_mov_b32_e32 v1, 0
	s_mov_b32 s2, exec_lo
	ds_load_b128 v[38:41], v1 offset:1040
	s_clause 0x1
	scratch_load_b128 v[34:37], off, off offset:320
	scratch_load_b128 v[42:45], off, off offset:176
	ds_load_b128 v[164:167], v1 offset:1056
	scratch_load_b128 v[168:171], off, off offset:336
	s_waitcnt vmcnt(10) lgkmcnt(1)
	v_mul_f64 v[172:173], v[40:41], v[4:5]
	v_mul_f64 v[4:5], v[38:39], v[4:5]
	s_delay_alu instid0(VALU_DEP_2) | instskip(NEXT) | instid1(VALU_DEP_2)
	v_fma_f64 v[217:218], v[38:39], v[2:3], -v[172:173]
	v_fma_f64 v[219:220], v[40:41], v[2:3], v[4:5]
	scratch_load_b128 v[38:41], off, off offset:352
	ds_load_b128 v[2:5], v1 offset:1072
	s_waitcnt vmcnt(10) lgkmcnt(1)
	v_mul_f64 v[199:200], v[164:165], v[8:9]
	v_mul_f64 v[8:9], v[166:167], v[8:9]
	ds_load_b128 v[172:175], v1 offset:1088
	s_waitcnt vmcnt(9) lgkmcnt(1)
	v_mul_f64 v[221:222], v[2:3], v[12:13]
	v_mul_f64 v[12:13], v[4:5], v[12:13]
	v_fma_f64 v[166:167], v[166:167], v[6:7], v[199:200]
	v_fma_f64 v[164:165], v[164:165], v[6:7], -v[8:9]
	v_add_f64 v[199:200], v[217:218], 0
	v_add_f64 v[217:218], v[219:220], 0
	scratch_load_b128 v[6:9], off, off offset:368
	v_fma_f64 v[221:222], v[4:5], v[10:11], v[221:222]
	v_fma_f64 v[223:224], v[2:3], v[10:11], -v[12:13]
	scratch_load_b128 v[10:13], off, off offset:384
	ds_load_b128 v[2:5], v1 offset:1104
	s_waitcnt vmcnt(10) lgkmcnt(1)
	v_mul_f64 v[219:220], v[172:173], v[16:17]
	v_mul_f64 v[16:17], v[174:175], v[16:17]
	v_add_f64 v[199:200], v[199:200], v[164:165]
	v_add_f64 v[217:218], v[217:218], v[166:167]
	s_waitcnt vmcnt(9) lgkmcnt(0)
	v_mul_f64 v[225:226], v[2:3], v[20:21]
	v_mul_f64 v[20:21], v[4:5], v[20:21]
	ds_load_b128 v[164:167], v1 offset:1120
	v_fma_f64 v[174:175], v[174:175], v[14:15], v[219:220]
	v_fma_f64 v[172:173], v[172:173], v[14:15], -v[16:17]
	scratch_load_b128 v[14:17], off, off offset:400
	v_add_f64 v[199:200], v[199:200], v[223:224]
	v_add_f64 v[217:218], v[217:218], v[221:222]
	v_fma_f64 v[221:222], v[4:5], v[18:19], v[225:226]
	v_fma_f64 v[223:224], v[2:3], v[18:19], -v[20:21]
	scratch_load_b128 v[18:21], off, off offset:416
	ds_load_b128 v[2:5], v1 offset:1136
	s_waitcnt vmcnt(10) lgkmcnt(1)
	v_mul_f64 v[219:220], v[164:165], v[24:25]
	v_mul_f64 v[24:25], v[166:167], v[24:25]
	s_waitcnt vmcnt(9) lgkmcnt(0)
	v_mul_f64 v[225:226], v[2:3], v[28:29]
	v_mul_f64 v[28:29], v[4:5], v[28:29]
	v_add_f64 v[199:200], v[199:200], v[172:173]
	v_add_f64 v[217:218], v[217:218], v[174:175]
	ds_load_b128 v[172:175], v1 offset:1152
	v_fma_f64 v[166:167], v[166:167], v[22:23], v[219:220]
	v_fma_f64 v[164:165], v[164:165], v[22:23], -v[24:25]
	scratch_load_b128 v[22:25], off, off offset:432
	v_add_f64 v[199:200], v[199:200], v[223:224]
	v_add_f64 v[217:218], v[217:218], v[221:222]
	v_fma_f64 v[221:222], v[4:5], v[26:27], v[225:226]
	v_fma_f64 v[223:224], v[2:3], v[26:27], -v[28:29]
	scratch_load_b128 v[26:29], off, off offset:448
	ds_load_b128 v[2:5], v1 offset:1168
	s_waitcnt vmcnt(10) lgkmcnt(1)
	v_mul_f64 v[219:220], v[172:173], v[32:33]
	v_mul_f64 v[32:33], v[174:175], v[32:33]
	s_waitcnt vmcnt(9) lgkmcnt(0)
	v_mul_f64 v[225:226], v[2:3], v[36:37]
	v_mul_f64 v[36:37], v[4:5], v[36:37]
	v_add_f64 v[199:200], v[199:200], v[164:165]
	v_add_f64 v[217:218], v[217:218], v[166:167]
	ds_load_b128 v[164:167], v1 offset:1184
	v_fma_f64 v[174:175], v[174:175], v[30:31], v[219:220]
	v_fma_f64 v[172:173], v[172:173], v[30:31], -v[32:33]
	scratch_load_b128 v[30:33], off, off offset:464
	v_add_f64 v[199:200], v[199:200], v[223:224]
	v_add_f64 v[217:218], v[217:218], v[221:222]
	v_fma_f64 v[223:224], v[4:5], v[34:35], v[225:226]
	v_fma_f64 v[225:226], v[2:3], v[34:35], -v[36:37]
	scratch_load_b128 v[34:37], off, off offset:480
	ds_load_b128 v[2:5], v1 offset:1200
	s_waitcnt vmcnt(9) lgkmcnt(1)
	v_mul_f64 v[219:220], v[164:165], v[170:171]
	v_mul_f64 v[221:222], v[166:167], v[170:171]
	v_add_f64 v[199:200], v[199:200], v[172:173]
	v_add_f64 v[174:175], v[217:218], v[174:175]
	ds_load_b128 v[170:173], v1 offset:1216
	v_fma_f64 v[219:220], v[166:167], v[168:169], v[219:220]
	v_fma_f64 v[168:169], v[164:165], v[168:169], -v[221:222]
	scratch_load_b128 v[164:167], off, off offset:496
	s_waitcnt vmcnt(9) lgkmcnt(1)
	v_mul_f64 v[217:218], v[2:3], v[40:41]
	v_mul_f64 v[40:41], v[4:5], v[40:41]
	v_add_f64 v[199:200], v[199:200], v[225:226]
	v_add_f64 v[174:175], v[174:175], v[223:224]
	s_delay_alu instid0(VALU_DEP_4) | instskip(NEXT) | instid1(VALU_DEP_4)
	v_fma_f64 v[223:224], v[4:5], v[38:39], v[217:218]
	v_fma_f64 v[225:226], v[2:3], v[38:39], -v[40:41]
	scratch_load_b128 v[38:41], off, off offset:512
	ds_load_b128 v[2:5], v1 offset:1232
	s_waitcnt vmcnt(9) lgkmcnt(1)
	v_mul_f64 v[221:222], v[170:171], v[8:9]
	v_mul_f64 v[8:9], v[172:173], v[8:9]
	v_add_f64 v[168:169], v[199:200], v[168:169]
	v_add_f64 v[174:175], v[174:175], v[219:220]
	s_waitcnt vmcnt(8) lgkmcnt(0)
	v_mul_f64 v[199:200], v[2:3], v[12:13]
	v_mul_f64 v[12:13], v[4:5], v[12:13]
	ds_load_b128 v[217:220], v1 offset:1248
	v_fma_f64 v[172:173], v[172:173], v[6:7], v[221:222]
	v_fma_f64 v[170:171], v[170:171], v[6:7], -v[8:9]
	scratch_load_b128 v[6:9], off, off offset:528
	v_add_f64 v[168:169], v[168:169], v[225:226]
	v_add_f64 v[174:175], v[174:175], v[223:224]
	v_fma_f64 v[199:200], v[4:5], v[10:11], v[199:200]
	v_fma_f64 v[223:224], v[2:3], v[10:11], -v[12:13]
	scratch_load_b128 v[10:13], off, off offset:544
	ds_load_b128 v[2:5], v1 offset:1264
	s_waitcnt vmcnt(9) lgkmcnt(1)
	v_mul_f64 v[221:222], v[217:218], v[16:17]
	v_mul_f64 v[16:17], v[219:220], v[16:17]
	v_add_f64 v[225:226], v[168:169], v[170:171]
	v_add_f64 v[172:173], v[174:175], v[172:173]
	s_waitcnt vmcnt(8) lgkmcnt(0)
	v_mul_f64 v[174:175], v[2:3], v[20:21]
	v_mul_f64 v[20:21], v[4:5], v[20:21]
	ds_load_b128 v[168:171], v1 offset:1280
	v_fma_f64 v[219:220], v[219:220], v[14:15], v[221:222]
	v_fma_f64 v[217:218], v[217:218], v[14:15], -v[16:17]
	scratch_load_b128 v[14:17], off, off offset:560
	v_add_f64 v[221:222], v[225:226], v[223:224]
	v_add_f64 v[172:173], v[172:173], v[199:200]
	;; [unrolled: 18-line block ×3, first 2 shown]
	v_fma_f64 v[221:222], v[4:5], v[26:27], v[221:222]
	v_fma_f64 v[223:224], v[2:3], v[26:27], -v[28:29]
	scratch_load_b128 v[26:29], off, off offset:608
	ds_load_b128 v[2:5], v1 offset:1328
	s_waitcnt vmcnt(9) lgkmcnt(1)
	v_mul_f64 v[219:220], v[172:173], v[32:33]
	v_mul_f64 v[32:33], v[174:175], v[32:33]
	s_waitcnt vmcnt(8) lgkmcnt(0)
	v_mul_f64 v[225:226], v[2:3], v[36:37]
	v_mul_f64 v[36:37], v[4:5], v[36:37]
	v_add_f64 v[199:200], v[199:200], v[168:169]
	v_add_f64 v[217:218], v[217:218], v[170:171]
	ds_load_b128 v[168:171], v1 offset:1344
	v_fma_f64 v[174:175], v[174:175], v[30:31], v[219:220]
	v_fma_f64 v[172:173], v[172:173], v[30:31], -v[32:33]
	scratch_load_b128 v[30:33], off, off offset:624
	v_add_f64 v[199:200], v[199:200], v[223:224]
	v_add_f64 v[217:218], v[217:218], v[221:222]
	v_fma_f64 v[221:222], v[4:5], v[34:35], v[225:226]
	v_fma_f64 v[223:224], v[2:3], v[34:35], -v[36:37]
	scratch_load_b128 v[34:37], off, off offset:640
	ds_load_b128 v[2:5], v1 offset:1360
	s_waitcnt vmcnt(9) lgkmcnt(1)
	v_mul_f64 v[219:220], v[168:169], v[166:167]
	v_mul_f64 v[166:167], v[170:171], v[166:167]
	s_waitcnt vmcnt(8) lgkmcnt(0)
	v_mul_f64 v[225:226], v[2:3], v[40:41]
	v_mul_f64 v[40:41], v[4:5], v[40:41]
	v_add_f64 v[199:200], v[199:200], v[172:173]
	v_add_f64 v[217:218], v[217:218], v[174:175]
	ds_load_b128 v[172:175], v1 offset:1376
	v_fma_f64 v[170:171], v[170:171], v[164:165], v[219:220]
	v_fma_f64 v[168:169], v[168:169], v[164:165], -v[166:167]
	scratch_load_b128 v[164:167], off, off offset:656
	v_add_f64 v[199:200], v[199:200], v[223:224]
	v_add_f64 v[217:218], v[217:218], v[221:222]
	;; [unrolled: 18-line block ×6, first 2 shown]
	v_fma_f64 v[223:224], v[4:5], v[34:35], v[225:226]
	v_fma_f64 v[225:226], v[2:3], v[34:35], -v[36:37]
	scratch_load_b128 v[34:37], off, off offset:800
	ds_load_b128 v[2:5], v1 offset:1520
	s_waitcnt vmcnt(9) lgkmcnt(1)
	v_mul_f64 v[219:220], v[172:173], v[166:167]
	v_mul_f64 v[221:222], v[174:175], v[166:167]
	v_add_f64 v[199:200], v[199:200], v[168:169]
	v_add_f64 v[170:171], v[217:218], v[170:171]
	s_waitcnt vmcnt(8) lgkmcnt(0)
	v_mul_f64 v[217:218], v[2:3], v[40:41]
	v_mul_f64 v[40:41], v[4:5], v[40:41]
	ds_load_b128 v[166:169], v1 offset:1536
	v_fma_f64 v[174:175], v[174:175], v[164:165], v[219:220]
	v_fma_f64 v[164:165], v[172:173], v[164:165], -v[221:222]
	v_add_f64 v[199:200], v[199:200], v[225:226]
	v_add_f64 v[219:220], v[170:171], v[223:224]
	scratch_load_b128 v[170:173], off, off offset:816
	v_fma_f64 v[223:224], v[4:5], v[38:39], v[217:218]
	v_fma_f64 v[225:226], v[2:3], v[38:39], -v[40:41]
	scratch_load_b128 v[38:41], off, off offset:832
	ds_load_b128 v[2:5], v1 offset:1552
	s_waitcnt vmcnt(9) lgkmcnt(1)
	v_mul_f64 v[221:222], v[166:167], v[8:9]
	v_mul_f64 v[8:9], v[168:169], v[8:9]
	v_add_f64 v[164:165], v[199:200], v[164:165]
	v_add_f64 v[174:175], v[219:220], v[174:175]
	s_waitcnt vmcnt(8) lgkmcnt(0)
	v_mul_f64 v[199:200], v[2:3], v[12:13]
	v_mul_f64 v[12:13], v[4:5], v[12:13]
	ds_load_b128 v[217:220], v1 offset:1568
	v_fma_f64 v[168:169], v[168:169], v[6:7], v[221:222]
	v_fma_f64 v[6:7], v[166:167], v[6:7], -v[8:9]
	s_waitcnt vmcnt(7) lgkmcnt(0)
	v_mul_f64 v[166:167], v[217:218], v[16:17]
	v_mul_f64 v[16:17], v[219:220], v[16:17]
	v_add_f64 v[8:9], v[164:165], v[225:226]
	v_add_f64 v[164:165], v[174:175], v[223:224]
	v_fma_f64 v[174:175], v[4:5], v[10:11], v[199:200]
	v_fma_f64 v[10:11], v[2:3], v[10:11], -v[12:13]
	v_fma_f64 v[166:167], v[219:220], v[14:15], v[166:167]
	v_fma_f64 v[14:15], v[217:218], v[14:15], -v[16:17]
	v_add_f64 v[12:13], v[8:9], v[6:7]
	v_add_f64 v[164:165], v[164:165], v[168:169]
	ds_load_b128 v[2:5], v1 offset:1584
	ds_load_b128 v[6:9], v1 offset:1600
	s_waitcnt vmcnt(6) lgkmcnt(1)
	v_mul_f64 v[168:169], v[2:3], v[20:21]
	v_mul_f64 v[20:21], v[4:5], v[20:21]
	s_waitcnt vmcnt(5) lgkmcnt(0)
	v_mul_f64 v[16:17], v[6:7], v[24:25]
	v_mul_f64 v[24:25], v[8:9], v[24:25]
	v_add_f64 v[10:11], v[12:13], v[10:11]
	v_add_f64 v[12:13], v[164:165], v[174:175]
	v_fma_f64 v[164:165], v[4:5], v[18:19], v[168:169]
	v_fma_f64 v[18:19], v[2:3], v[18:19], -v[20:21]
	v_fma_f64 v[8:9], v[8:9], v[22:23], v[16:17]
	v_fma_f64 v[6:7], v[6:7], v[22:23], -v[24:25]
	v_add_f64 v[14:15], v[10:11], v[14:15]
	v_add_f64 v[20:21], v[12:13], v[166:167]
	ds_load_b128 v[2:5], v1 offset:1616
	ds_load_b128 v[10:13], v1 offset:1632
	s_waitcnt vmcnt(4) lgkmcnt(1)
	v_mul_f64 v[166:167], v[2:3], v[28:29]
	v_mul_f64 v[28:29], v[4:5], v[28:29]
	v_add_f64 v[14:15], v[14:15], v[18:19]
	v_add_f64 v[16:17], v[20:21], v[164:165]
	s_waitcnt vmcnt(3) lgkmcnt(0)
	v_mul_f64 v[18:19], v[10:11], v[32:33]
	v_mul_f64 v[20:21], v[12:13], v[32:33]
	v_fma_f64 v[22:23], v[4:5], v[26:27], v[166:167]
	v_fma_f64 v[24:25], v[2:3], v[26:27], -v[28:29]
	v_add_f64 v[14:15], v[14:15], v[6:7]
	v_add_f64 v[16:17], v[16:17], v[8:9]
	ds_load_b128 v[2:5], v1 offset:1648
	ds_load_b128 v[6:9], v1 offset:1664
	v_fma_f64 v[12:13], v[12:13], v[30:31], v[18:19]
	v_fma_f64 v[10:11], v[10:11], v[30:31], -v[20:21]
	s_waitcnt vmcnt(2) lgkmcnt(1)
	v_mul_f64 v[26:27], v[2:3], v[36:37]
	v_mul_f64 v[28:29], v[4:5], v[36:37]
	v_add_f64 v[14:15], v[14:15], v[24:25]
	v_add_f64 v[16:17], v[16:17], v[22:23]
	s_waitcnt vmcnt(1) lgkmcnt(0)
	v_mul_f64 v[18:19], v[6:7], v[172:173]
	v_mul_f64 v[20:21], v[8:9], v[172:173]
	v_fma_f64 v[22:23], v[4:5], v[34:35], v[26:27]
	v_fma_f64 v[24:25], v[2:3], v[34:35], -v[28:29]
	ds_load_b128 v[2:5], v1 offset:1680
	v_add_f64 v[10:11], v[14:15], v[10:11]
	v_add_f64 v[12:13], v[16:17], v[12:13]
	s_waitcnt vmcnt(0) lgkmcnt(0)
	v_mul_f64 v[14:15], v[2:3], v[40:41]
	v_mul_f64 v[16:17], v[4:5], v[40:41]
	v_fma_f64 v[8:9], v[8:9], v[170:171], v[18:19]
	v_fma_f64 v[6:7], v[6:7], v[170:171], -v[20:21]
	v_add_f64 v[10:11], v[10:11], v[24:25]
	v_add_f64 v[12:13], v[12:13], v[22:23]
	v_fma_f64 v[4:5], v[4:5], v[38:39], v[14:15]
	v_fma_f64 v[2:3], v[2:3], v[38:39], -v[16:17]
	s_delay_alu instid0(VALU_DEP_4) | instskip(NEXT) | instid1(VALU_DEP_4)
	v_add_f64 v[6:7], v[10:11], v[6:7]
	v_add_f64 v[8:9], v[12:13], v[8:9]
	s_delay_alu instid0(VALU_DEP_2) | instskip(NEXT) | instid1(VALU_DEP_2)
	v_add_f64 v[2:3], v[6:7], v[2:3]
	v_add_f64 v[4:5], v[8:9], v[4:5]
	s_delay_alu instid0(VALU_DEP_2) | instskip(NEXT) | instid1(VALU_DEP_2)
	v_add_f64 v[2:3], v[42:43], -v[2:3]
	v_add_f64 v[4:5], v[44:45], -v[4:5]
	scratch_store_b128 off, v[2:5], off offset:176
	v_cmpx_lt_u32_e32 10, v152
	s_cbranch_execz .LBB52_311
; %bb.310:
	scratch_load_b128 v[5:8], v195, off
	v_mov_b32_e32 v2, v1
	v_mov_b32_e32 v3, v1
	;; [unrolled: 1-line block ×3, first 2 shown]
	scratch_store_b128 off, v[1:4], off offset:160
	s_waitcnt vmcnt(0)
	ds_store_b128 v205, v[5:8]
.LBB52_311:
	s_or_b32 exec_lo, exec_lo, s2
	s_waitcnt lgkmcnt(0)
	s_waitcnt_vscnt null, 0x0
	s_barrier
	buffer_gl0_inv
	s_clause 0x8
	scratch_load_b128 v[2:5], off, off offset:176
	scratch_load_b128 v[6:9], off, off offset:192
	;; [unrolled: 1-line block ×9, first 2 shown]
	ds_load_b128 v[42:45], v1 offset:1024
	ds_load_b128 v[38:41], v1 offset:1040
	s_clause 0x1
	scratch_load_b128 v[164:167], off, off offset:160
	scratch_load_b128 v[168:171], off, off offset:320
	s_mov_b32 s2, exec_lo
	s_waitcnt vmcnt(10) lgkmcnt(1)
	v_mul_f64 v[172:173], v[44:45], v[4:5]
	v_mul_f64 v[4:5], v[42:43], v[4:5]
	s_waitcnt vmcnt(9) lgkmcnt(0)
	v_mul_f64 v[199:200], v[38:39], v[8:9]
	v_mul_f64 v[8:9], v[40:41], v[8:9]
	s_delay_alu instid0(VALU_DEP_4) | instskip(NEXT) | instid1(VALU_DEP_4)
	v_fma_f64 v[217:218], v[42:43], v[2:3], -v[172:173]
	v_fma_f64 v[219:220], v[44:45], v[2:3], v[4:5]
	ds_load_b128 v[2:5], v1 offset:1056
	ds_load_b128 v[172:175], v1 offset:1072
	scratch_load_b128 v[42:45], off, off offset:336
	v_fma_f64 v[40:41], v[40:41], v[6:7], v[199:200]
	v_fma_f64 v[38:39], v[38:39], v[6:7], -v[8:9]
	scratch_load_b128 v[6:9], off, off offset:352
	s_waitcnt vmcnt(10) lgkmcnt(1)
	v_mul_f64 v[221:222], v[2:3], v[12:13]
	v_mul_f64 v[12:13], v[4:5], v[12:13]
	v_add_f64 v[199:200], v[217:218], 0
	v_add_f64 v[217:218], v[219:220], 0
	s_waitcnt vmcnt(9) lgkmcnt(0)
	v_mul_f64 v[219:220], v[172:173], v[16:17]
	v_mul_f64 v[16:17], v[174:175], v[16:17]
	v_fma_f64 v[221:222], v[4:5], v[10:11], v[221:222]
	v_fma_f64 v[223:224], v[2:3], v[10:11], -v[12:13]
	ds_load_b128 v[2:5], v1 offset:1088
	scratch_load_b128 v[10:13], off, off offset:368
	v_add_f64 v[199:200], v[199:200], v[38:39]
	v_add_f64 v[217:218], v[217:218], v[40:41]
	ds_load_b128 v[38:41], v1 offset:1104
	v_fma_f64 v[174:175], v[174:175], v[14:15], v[219:220]
	v_fma_f64 v[172:173], v[172:173], v[14:15], -v[16:17]
	scratch_load_b128 v[14:17], off, off offset:384
	s_waitcnt vmcnt(10) lgkmcnt(1)
	v_mul_f64 v[225:226], v[2:3], v[20:21]
	v_mul_f64 v[20:21], v[4:5], v[20:21]
	s_waitcnt vmcnt(9) lgkmcnt(0)
	v_mul_f64 v[219:220], v[38:39], v[24:25]
	v_mul_f64 v[24:25], v[40:41], v[24:25]
	v_add_f64 v[199:200], v[199:200], v[223:224]
	v_add_f64 v[217:218], v[217:218], v[221:222]
	v_fma_f64 v[221:222], v[4:5], v[18:19], v[225:226]
	v_fma_f64 v[223:224], v[2:3], v[18:19], -v[20:21]
	ds_load_b128 v[2:5], v1 offset:1120
	scratch_load_b128 v[18:21], off, off offset:400
	v_fma_f64 v[40:41], v[40:41], v[22:23], v[219:220]
	v_fma_f64 v[38:39], v[38:39], v[22:23], -v[24:25]
	scratch_load_b128 v[22:25], off, off offset:416
	v_add_f64 v[199:200], v[199:200], v[172:173]
	v_add_f64 v[217:218], v[217:218], v[174:175]
	ds_load_b128 v[172:175], v1 offset:1136
	s_waitcnt vmcnt(10) lgkmcnt(1)
	v_mul_f64 v[225:226], v[2:3], v[28:29]
	v_mul_f64 v[28:29], v[4:5], v[28:29]
	s_waitcnt vmcnt(9) lgkmcnt(0)
	v_mul_f64 v[219:220], v[172:173], v[32:33]
	v_mul_f64 v[32:33], v[174:175], v[32:33]
	v_add_f64 v[199:200], v[199:200], v[223:224]
	v_add_f64 v[217:218], v[217:218], v[221:222]
	v_fma_f64 v[221:222], v[4:5], v[26:27], v[225:226]
	v_fma_f64 v[223:224], v[2:3], v[26:27], -v[28:29]
	ds_load_b128 v[2:5], v1 offset:1152
	scratch_load_b128 v[26:29], off, off offset:432
	v_fma_f64 v[174:175], v[174:175], v[30:31], v[219:220]
	v_fma_f64 v[172:173], v[172:173], v[30:31], -v[32:33]
	scratch_load_b128 v[30:33], off, off offset:448
	v_add_f64 v[199:200], v[199:200], v[38:39]
	v_add_f64 v[217:218], v[217:218], v[40:41]
	ds_load_b128 v[38:41], v1 offset:1168
	s_waitcnt vmcnt(10) lgkmcnt(1)
	v_mul_f64 v[225:226], v[2:3], v[36:37]
	v_mul_f64 v[36:37], v[4:5], v[36:37]
	s_waitcnt vmcnt(8) lgkmcnt(0)
	v_mul_f64 v[219:220], v[38:39], v[170:171]
	v_add_f64 v[199:200], v[199:200], v[223:224]
	v_add_f64 v[217:218], v[217:218], v[221:222]
	v_mul_f64 v[221:222], v[40:41], v[170:171]
	v_fma_f64 v[223:224], v[4:5], v[34:35], v[225:226]
	v_fma_f64 v[225:226], v[2:3], v[34:35], -v[36:37]
	ds_load_b128 v[2:5], v1 offset:1184
	scratch_load_b128 v[34:37], off, off offset:464
	v_fma_f64 v[219:220], v[40:41], v[168:169], v[219:220]
	v_add_f64 v[199:200], v[199:200], v[172:173]
	v_add_f64 v[174:175], v[217:218], v[174:175]
	ds_load_b128 v[170:173], v1 offset:1200
	v_fma_f64 v[168:169], v[38:39], v[168:169], -v[221:222]
	scratch_load_b128 v[38:41], off, off offset:480
	s_waitcnt vmcnt(9) lgkmcnt(1)
	v_mul_f64 v[217:218], v[2:3], v[44:45]
	v_mul_f64 v[44:45], v[4:5], v[44:45]
	s_waitcnt vmcnt(8) lgkmcnt(0)
	v_mul_f64 v[221:222], v[170:171], v[8:9]
	v_mul_f64 v[8:9], v[172:173], v[8:9]
	v_add_f64 v[199:200], v[199:200], v[225:226]
	v_add_f64 v[174:175], v[174:175], v[223:224]
	v_fma_f64 v[223:224], v[4:5], v[42:43], v[217:218]
	v_fma_f64 v[225:226], v[2:3], v[42:43], -v[44:45]
	ds_load_b128 v[2:5], v1 offset:1216
	scratch_load_b128 v[42:45], off, off offset:496
	v_fma_f64 v[172:173], v[172:173], v[6:7], v[221:222]
	v_fma_f64 v[170:171], v[170:171], v[6:7], -v[8:9]
	scratch_load_b128 v[6:9], off, off offset:512
	v_add_f64 v[168:169], v[199:200], v[168:169]
	v_add_f64 v[174:175], v[174:175], v[219:220]
	ds_load_b128 v[217:220], v1 offset:1232
	s_waitcnt vmcnt(9) lgkmcnt(1)
	v_mul_f64 v[199:200], v[2:3], v[12:13]
	v_mul_f64 v[12:13], v[4:5], v[12:13]
	s_waitcnt vmcnt(8) lgkmcnt(0)
	v_mul_f64 v[221:222], v[217:218], v[16:17]
	v_mul_f64 v[16:17], v[219:220], v[16:17]
	v_add_f64 v[168:169], v[168:169], v[225:226]
	v_add_f64 v[174:175], v[174:175], v[223:224]
	v_fma_f64 v[199:200], v[4:5], v[10:11], v[199:200]
	v_fma_f64 v[223:224], v[2:3], v[10:11], -v[12:13]
	ds_load_b128 v[2:5], v1 offset:1248
	scratch_load_b128 v[10:13], off, off offset:528
	v_fma_f64 v[219:220], v[219:220], v[14:15], v[221:222]
	v_fma_f64 v[217:218], v[217:218], v[14:15], -v[16:17]
	scratch_load_b128 v[14:17], off, off offset:544
	v_add_f64 v[225:226], v[168:169], v[170:171]
	v_add_f64 v[172:173], v[174:175], v[172:173]
	ds_load_b128 v[168:171], v1 offset:1264
	s_waitcnt vmcnt(9) lgkmcnt(1)
	v_mul_f64 v[174:175], v[2:3], v[20:21]
	v_mul_f64 v[20:21], v[4:5], v[20:21]
	v_add_f64 v[221:222], v[225:226], v[223:224]
	v_add_f64 v[172:173], v[172:173], v[199:200]
	s_waitcnt vmcnt(8) lgkmcnt(0)
	v_mul_f64 v[199:200], v[168:169], v[24:25]
	v_mul_f64 v[24:25], v[170:171], v[24:25]
	v_fma_f64 v[223:224], v[4:5], v[18:19], v[174:175]
	v_fma_f64 v[225:226], v[2:3], v[18:19], -v[20:21]
	ds_load_b128 v[2:5], v1 offset:1280
	scratch_load_b128 v[18:21], off, off offset:560
	v_add_f64 v[217:218], v[221:222], v[217:218]
	v_add_f64 v[219:220], v[172:173], v[219:220]
	ds_load_b128 v[172:175], v1 offset:1296
	s_waitcnt vmcnt(8) lgkmcnt(1)
	v_mul_f64 v[221:222], v[2:3], v[28:29]
	v_mul_f64 v[28:29], v[4:5], v[28:29]
	v_fma_f64 v[170:171], v[170:171], v[22:23], v[199:200]
	v_fma_f64 v[168:169], v[168:169], v[22:23], -v[24:25]
	scratch_load_b128 v[22:25], off, off offset:576
	v_add_f64 v[199:200], v[217:218], v[225:226]
	v_add_f64 v[217:218], v[219:220], v[223:224]
	s_waitcnt vmcnt(8) lgkmcnt(0)
	v_mul_f64 v[219:220], v[172:173], v[32:33]
	v_mul_f64 v[32:33], v[174:175], v[32:33]
	v_fma_f64 v[221:222], v[4:5], v[26:27], v[221:222]
	v_fma_f64 v[223:224], v[2:3], v[26:27], -v[28:29]
	ds_load_b128 v[2:5], v1 offset:1312
	scratch_load_b128 v[26:29], off, off offset:592
	v_add_f64 v[199:200], v[199:200], v[168:169]
	v_add_f64 v[217:218], v[217:218], v[170:171]
	ds_load_b128 v[168:171], v1 offset:1328
	s_waitcnt vmcnt(8) lgkmcnt(1)
	v_mul_f64 v[225:226], v[2:3], v[36:37]
	v_mul_f64 v[36:37], v[4:5], v[36:37]
	v_fma_f64 v[174:175], v[174:175], v[30:31], v[219:220]
	v_fma_f64 v[172:173], v[172:173], v[30:31], -v[32:33]
	scratch_load_b128 v[30:33], off, off offset:608
	s_waitcnt vmcnt(8) lgkmcnt(0)
	v_mul_f64 v[219:220], v[168:169], v[40:41]
	v_mul_f64 v[40:41], v[170:171], v[40:41]
	v_add_f64 v[199:200], v[199:200], v[223:224]
	v_add_f64 v[217:218], v[217:218], v[221:222]
	v_fma_f64 v[221:222], v[4:5], v[34:35], v[225:226]
	v_fma_f64 v[223:224], v[2:3], v[34:35], -v[36:37]
	ds_load_b128 v[2:5], v1 offset:1344
	scratch_load_b128 v[34:37], off, off offset:624
	v_fma_f64 v[170:171], v[170:171], v[38:39], v[219:220]
	v_fma_f64 v[168:169], v[168:169], v[38:39], -v[40:41]
	scratch_load_b128 v[38:41], off, off offset:640
	v_add_f64 v[199:200], v[199:200], v[172:173]
	v_add_f64 v[217:218], v[217:218], v[174:175]
	ds_load_b128 v[172:175], v1 offset:1360
	s_waitcnt vmcnt(9) lgkmcnt(1)
	v_mul_f64 v[225:226], v[2:3], v[44:45]
	v_mul_f64 v[44:45], v[4:5], v[44:45]
	s_waitcnt vmcnt(8) lgkmcnt(0)
	v_mul_f64 v[219:220], v[172:173], v[8:9]
	v_mul_f64 v[8:9], v[174:175], v[8:9]
	v_add_f64 v[199:200], v[199:200], v[223:224]
	v_add_f64 v[217:218], v[217:218], v[221:222]
	v_fma_f64 v[221:222], v[4:5], v[42:43], v[225:226]
	v_fma_f64 v[223:224], v[2:3], v[42:43], -v[44:45]
	ds_load_b128 v[2:5], v1 offset:1376
	scratch_load_b128 v[42:45], off, off offset:656
	v_fma_f64 v[174:175], v[174:175], v[6:7], v[219:220]
	v_fma_f64 v[172:173], v[172:173], v[6:7], -v[8:9]
	scratch_load_b128 v[6:9], off, off offset:672
	v_add_f64 v[199:200], v[199:200], v[168:169]
	v_add_f64 v[217:218], v[217:218], v[170:171]
	ds_load_b128 v[168:171], v1 offset:1392
	s_waitcnt vmcnt(9) lgkmcnt(1)
	v_mul_f64 v[225:226], v[2:3], v[12:13]
	v_mul_f64 v[12:13], v[4:5], v[12:13]
	;; [unrolled: 18-line block ×7, first 2 shown]
	s_waitcnt vmcnt(8) lgkmcnt(0)
	v_mul_f64 v[219:220], v[172:173], v[16:17]
	v_mul_f64 v[16:17], v[174:175], v[16:17]
	v_add_f64 v[199:200], v[199:200], v[223:224]
	v_add_f64 v[217:218], v[217:218], v[221:222]
	v_fma_f64 v[221:222], v[4:5], v[10:11], v[225:226]
	v_fma_f64 v[223:224], v[2:3], v[10:11], -v[12:13]
	ds_load_b128 v[2:5], v1 offset:1568
	ds_load_b128 v[10:13], v1 offset:1584
	v_fma_f64 v[174:175], v[174:175], v[14:15], v[219:220]
	v_fma_f64 v[14:15], v[172:173], v[14:15], -v[16:17]
	v_add_f64 v[168:169], v[199:200], v[168:169]
	v_add_f64 v[170:171], v[217:218], v[170:171]
	s_waitcnt vmcnt(7) lgkmcnt(1)
	v_mul_f64 v[199:200], v[2:3], v[20:21]
	v_mul_f64 v[20:21], v[4:5], v[20:21]
	s_delay_alu instid0(VALU_DEP_4) | instskip(NEXT) | instid1(VALU_DEP_4)
	v_add_f64 v[16:17], v[168:169], v[223:224]
	v_add_f64 v[168:169], v[170:171], v[221:222]
	s_waitcnt vmcnt(6) lgkmcnt(0)
	v_mul_f64 v[170:171], v[10:11], v[24:25]
	v_mul_f64 v[24:25], v[12:13], v[24:25]
	v_fma_f64 v[172:173], v[4:5], v[18:19], v[199:200]
	v_fma_f64 v[18:19], v[2:3], v[18:19], -v[20:21]
	v_add_f64 v[20:21], v[16:17], v[14:15]
	v_add_f64 v[168:169], v[168:169], v[174:175]
	ds_load_b128 v[2:5], v1 offset:1600
	ds_load_b128 v[14:17], v1 offset:1616
	v_fma_f64 v[12:13], v[12:13], v[22:23], v[170:171]
	v_fma_f64 v[10:11], v[10:11], v[22:23], -v[24:25]
	s_waitcnt vmcnt(5) lgkmcnt(1)
	v_mul_f64 v[174:175], v[2:3], v[28:29]
	v_mul_f64 v[28:29], v[4:5], v[28:29]
	s_waitcnt vmcnt(4) lgkmcnt(0)
	v_mul_f64 v[22:23], v[14:15], v[32:33]
	v_mul_f64 v[24:25], v[16:17], v[32:33]
	v_add_f64 v[18:19], v[20:21], v[18:19]
	v_add_f64 v[20:21], v[168:169], v[172:173]
	v_fma_f64 v[32:33], v[4:5], v[26:27], v[174:175]
	v_fma_f64 v[26:27], v[2:3], v[26:27], -v[28:29]
	v_fma_f64 v[16:17], v[16:17], v[30:31], v[22:23]
	v_fma_f64 v[14:15], v[14:15], v[30:31], -v[24:25]
	v_add_f64 v[18:19], v[18:19], v[10:11]
	v_add_f64 v[20:21], v[20:21], v[12:13]
	ds_load_b128 v[2:5], v1 offset:1632
	ds_load_b128 v[10:13], v1 offset:1648
	s_waitcnt vmcnt(3) lgkmcnt(1)
	v_mul_f64 v[28:29], v[2:3], v[36:37]
	v_mul_f64 v[36:37], v[4:5], v[36:37]
	s_waitcnt vmcnt(2) lgkmcnt(0)
	v_mul_f64 v[22:23], v[10:11], v[40:41]
	v_mul_f64 v[24:25], v[12:13], v[40:41]
	v_add_f64 v[18:19], v[18:19], v[26:27]
	v_add_f64 v[20:21], v[20:21], v[32:33]
	v_fma_f64 v[26:27], v[4:5], v[34:35], v[28:29]
	v_fma_f64 v[28:29], v[2:3], v[34:35], -v[36:37]
	v_fma_f64 v[12:13], v[12:13], v[38:39], v[22:23]
	v_fma_f64 v[10:11], v[10:11], v[38:39], -v[24:25]
	v_add_f64 v[18:19], v[18:19], v[14:15]
	v_add_f64 v[20:21], v[20:21], v[16:17]
	ds_load_b128 v[2:5], v1 offset:1664
	ds_load_b128 v[14:17], v1 offset:1680
	s_waitcnt vmcnt(1) lgkmcnt(1)
	v_mul_f64 v[30:31], v[2:3], v[44:45]
	v_mul_f64 v[32:33], v[4:5], v[44:45]
	s_waitcnt vmcnt(0) lgkmcnt(0)
	v_mul_f64 v[22:23], v[14:15], v[8:9]
	v_mul_f64 v[8:9], v[16:17], v[8:9]
	v_add_f64 v[18:19], v[18:19], v[28:29]
	v_add_f64 v[20:21], v[20:21], v[26:27]
	v_fma_f64 v[4:5], v[4:5], v[42:43], v[30:31]
	v_fma_f64 v[1:2], v[2:3], v[42:43], -v[32:33]
	v_fma_f64 v[16:17], v[16:17], v[6:7], v[22:23]
	v_fma_f64 v[6:7], v[14:15], v[6:7], -v[8:9]
	v_add_f64 v[10:11], v[18:19], v[10:11]
	v_add_f64 v[12:13], v[20:21], v[12:13]
	s_delay_alu instid0(VALU_DEP_2) | instskip(NEXT) | instid1(VALU_DEP_2)
	v_add_f64 v[1:2], v[10:11], v[1:2]
	v_add_f64 v[3:4], v[12:13], v[4:5]
	s_delay_alu instid0(VALU_DEP_2) | instskip(NEXT) | instid1(VALU_DEP_2)
	;; [unrolled: 3-line block ×3, first 2 shown]
	v_add_f64 v[1:2], v[164:165], -v[1:2]
	v_add_f64 v[3:4], v[166:167], -v[3:4]
	scratch_store_b128 off, v[1:4], off offset:160
	v_cmpx_lt_u32_e32 9, v152
	s_cbranch_execz .LBB52_313
; %bb.312:
	scratch_load_b128 v[1:4], v196, off
	v_mov_b32_e32 v5, 0
	s_delay_alu instid0(VALU_DEP_1)
	v_mov_b32_e32 v6, v5
	v_mov_b32_e32 v7, v5
	;; [unrolled: 1-line block ×3, first 2 shown]
	scratch_store_b128 off, v[5:8], off offset:144
	s_waitcnt vmcnt(0)
	ds_store_b128 v205, v[1:4]
.LBB52_313:
	s_or_b32 exec_lo, exec_lo, s2
	s_waitcnt lgkmcnt(0)
	s_waitcnt_vscnt null, 0x0
	s_barrier
	buffer_gl0_inv
	s_clause 0x7
	scratch_load_b128 v[2:5], off, off offset:160
	scratch_load_b128 v[6:9], off, off offset:176
	;; [unrolled: 1-line block ×8, first 2 shown]
	v_mov_b32_e32 v1, 0
	s_mov_b32 s2, exec_lo
	ds_load_b128 v[38:41], v1 offset:1008
	s_clause 0x1
	scratch_load_b128 v[34:37], off, off offset:288
	scratch_load_b128 v[42:45], off, off offset:144
	ds_load_b128 v[164:167], v1 offset:1024
	scratch_load_b128 v[168:171], off, off offset:304
	s_waitcnt vmcnt(10) lgkmcnt(1)
	v_mul_f64 v[172:173], v[40:41], v[4:5]
	v_mul_f64 v[4:5], v[38:39], v[4:5]
	s_delay_alu instid0(VALU_DEP_2) | instskip(NEXT) | instid1(VALU_DEP_2)
	v_fma_f64 v[217:218], v[38:39], v[2:3], -v[172:173]
	v_fma_f64 v[219:220], v[40:41], v[2:3], v[4:5]
	scratch_load_b128 v[38:41], off, off offset:320
	ds_load_b128 v[2:5], v1 offset:1040
	s_waitcnt vmcnt(10) lgkmcnt(1)
	v_mul_f64 v[199:200], v[164:165], v[8:9]
	v_mul_f64 v[8:9], v[166:167], v[8:9]
	ds_load_b128 v[172:175], v1 offset:1056
	s_waitcnt vmcnt(9) lgkmcnt(1)
	v_mul_f64 v[221:222], v[2:3], v[12:13]
	v_mul_f64 v[12:13], v[4:5], v[12:13]
	v_fma_f64 v[166:167], v[166:167], v[6:7], v[199:200]
	v_fma_f64 v[164:165], v[164:165], v[6:7], -v[8:9]
	v_add_f64 v[199:200], v[217:218], 0
	v_add_f64 v[217:218], v[219:220], 0
	scratch_load_b128 v[6:9], off, off offset:336
	v_fma_f64 v[221:222], v[4:5], v[10:11], v[221:222]
	v_fma_f64 v[223:224], v[2:3], v[10:11], -v[12:13]
	scratch_load_b128 v[10:13], off, off offset:352
	ds_load_b128 v[2:5], v1 offset:1072
	s_waitcnt vmcnt(10) lgkmcnt(1)
	v_mul_f64 v[219:220], v[172:173], v[16:17]
	v_mul_f64 v[16:17], v[174:175], v[16:17]
	v_add_f64 v[199:200], v[199:200], v[164:165]
	v_add_f64 v[217:218], v[217:218], v[166:167]
	s_waitcnt vmcnt(9) lgkmcnt(0)
	v_mul_f64 v[225:226], v[2:3], v[20:21]
	v_mul_f64 v[20:21], v[4:5], v[20:21]
	ds_load_b128 v[164:167], v1 offset:1088
	v_fma_f64 v[174:175], v[174:175], v[14:15], v[219:220]
	v_fma_f64 v[172:173], v[172:173], v[14:15], -v[16:17]
	scratch_load_b128 v[14:17], off, off offset:368
	v_add_f64 v[199:200], v[199:200], v[223:224]
	v_add_f64 v[217:218], v[217:218], v[221:222]
	v_fma_f64 v[221:222], v[4:5], v[18:19], v[225:226]
	v_fma_f64 v[223:224], v[2:3], v[18:19], -v[20:21]
	scratch_load_b128 v[18:21], off, off offset:384
	ds_load_b128 v[2:5], v1 offset:1104
	s_waitcnt vmcnt(10) lgkmcnt(1)
	v_mul_f64 v[219:220], v[164:165], v[24:25]
	v_mul_f64 v[24:25], v[166:167], v[24:25]
	s_waitcnt vmcnt(9) lgkmcnt(0)
	v_mul_f64 v[225:226], v[2:3], v[28:29]
	v_mul_f64 v[28:29], v[4:5], v[28:29]
	v_add_f64 v[199:200], v[199:200], v[172:173]
	v_add_f64 v[217:218], v[217:218], v[174:175]
	ds_load_b128 v[172:175], v1 offset:1120
	v_fma_f64 v[166:167], v[166:167], v[22:23], v[219:220]
	v_fma_f64 v[164:165], v[164:165], v[22:23], -v[24:25]
	scratch_load_b128 v[22:25], off, off offset:400
	v_add_f64 v[199:200], v[199:200], v[223:224]
	v_add_f64 v[217:218], v[217:218], v[221:222]
	v_fma_f64 v[221:222], v[4:5], v[26:27], v[225:226]
	v_fma_f64 v[223:224], v[2:3], v[26:27], -v[28:29]
	scratch_load_b128 v[26:29], off, off offset:416
	ds_load_b128 v[2:5], v1 offset:1136
	s_waitcnt vmcnt(10) lgkmcnt(1)
	v_mul_f64 v[219:220], v[172:173], v[32:33]
	v_mul_f64 v[32:33], v[174:175], v[32:33]
	s_waitcnt vmcnt(9) lgkmcnt(0)
	v_mul_f64 v[225:226], v[2:3], v[36:37]
	v_mul_f64 v[36:37], v[4:5], v[36:37]
	v_add_f64 v[199:200], v[199:200], v[164:165]
	v_add_f64 v[217:218], v[217:218], v[166:167]
	ds_load_b128 v[164:167], v1 offset:1152
	v_fma_f64 v[174:175], v[174:175], v[30:31], v[219:220]
	v_fma_f64 v[172:173], v[172:173], v[30:31], -v[32:33]
	scratch_load_b128 v[30:33], off, off offset:432
	v_add_f64 v[199:200], v[199:200], v[223:224]
	v_add_f64 v[217:218], v[217:218], v[221:222]
	v_fma_f64 v[223:224], v[4:5], v[34:35], v[225:226]
	v_fma_f64 v[225:226], v[2:3], v[34:35], -v[36:37]
	scratch_load_b128 v[34:37], off, off offset:448
	ds_load_b128 v[2:5], v1 offset:1168
	s_waitcnt vmcnt(9) lgkmcnt(1)
	v_mul_f64 v[219:220], v[164:165], v[170:171]
	v_mul_f64 v[221:222], v[166:167], v[170:171]
	v_add_f64 v[199:200], v[199:200], v[172:173]
	v_add_f64 v[174:175], v[217:218], v[174:175]
	ds_load_b128 v[170:173], v1 offset:1184
	v_fma_f64 v[219:220], v[166:167], v[168:169], v[219:220]
	v_fma_f64 v[168:169], v[164:165], v[168:169], -v[221:222]
	scratch_load_b128 v[164:167], off, off offset:464
	s_waitcnt vmcnt(9) lgkmcnt(1)
	v_mul_f64 v[217:218], v[2:3], v[40:41]
	v_mul_f64 v[40:41], v[4:5], v[40:41]
	v_add_f64 v[199:200], v[199:200], v[225:226]
	v_add_f64 v[174:175], v[174:175], v[223:224]
	s_delay_alu instid0(VALU_DEP_4) | instskip(NEXT) | instid1(VALU_DEP_4)
	v_fma_f64 v[223:224], v[4:5], v[38:39], v[217:218]
	v_fma_f64 v[225:226], v[2:3], v[38:39], -v[40:41]
	scratch_load_b128 v[38:41], off, off offset:480
	ds_load_b128 v[2:5], v1 offset:1200
	s_waitcnt vmcnt(9) lgkmcnt(1)
	v_mul_f64 v[221:222], v[170:171], v[8:9]
	v_mul_f64 v[8:9], v[172:173], v[8:9]
	v_add_f64 v[168:169], v[199:200], v[168:169]
	v_add_f64 v[174:175], v[174:175], v[219:220]
	s_waitcnt vmcnt(8) lgkmcnt(0)
	v_mul_f64 v[199:200], v[2:3], v[12:13]
	v_mul_f64 v[12:13], v[4:5], v[12:13]
	ds_load_b128 v[217:220], v1 offset:1216
	v_fma_f64 v[172:173], v[172:173], v[6:7], v[221:222]
	v_fma_f64 v[170:171], v[170:171], v[6:7], -v[8:9]
	scratch_load_b128 v[6:9], off, off offset:496
	v_add_f64 v[168:169], v[168:169], v[225:226]
	v_add_f64 v[174:175], v[174:175], v[223:224]
	v_fma_f64 v[199:200], v[4:5], v[10:11], v[199:200]
	v_fma_f64 v[223:224], v[2:3], v[10:11], -v[12:13]
	scratch_load_b128 v[10:13], off, off offset:512
	ds_load_b128 v[2:5], v1 offset:1232
	s_waitcnt vmcnt(9) lgkmcnt(1)
	v_mul_f64 v[221:222], v[217:218], v[16:17]
	v_mul_f64 v[16:17], v[219:220], v[16:17]
	v_add_f64 v[225:226], v[168:169], v[170:171]
	v_add_f64 v[172:173], v[174:175], v[172:173]
	s_waitcnt vmcnt(8) lgkmcnt(0)
	v_mul_f64 v[174:175], v[2:3], v[20:21]
	v_mul_f64 v[20:21], v[4:5], v[20:21]
	ds_load_b128 v[168:171], v1 offset:1248
	v_fma_f64 v[219:220], v[219:220], v[14:15], v[221:222]
	v_fma_f64 v[217:218], v[217:218], v[14:15], -v[16:17]
	scratch_load_b128 v[14:17], off, off offset:528
	v_add_f64 v[221:222], v[225:226], v[223:224]
	v_add_f64 v[172:173], v[172:173], v[199:200]
	;; [unrolled: 18-line block ×3, first 2 shown]
	v_fma_f64 v[221:222], v[4:5], v[26:27], v[221:222]
	v_fma_f64 v[223:224], v[2:3], v[26:27], -v[28:29]
	scratch_load_b128 v[26:29], off, off offset:576
	ds_load_b128 v[2:5], v1 offset:1296
	s_waitcnt vmcnt(9) lgkmcnt(1)
	v_mul_f64 v[219:220], v[172:173], v[32:33]
	v_mul_f64 v[32:33], v[174:175], v[32:33]
	s_waitcnt vmcnt(8) lgkmcnt(0)
	v_mul_f64 v[225:226], v[2:3], v[36:37]
	v_mul_f64 v[36:37], v[4:5], v[36:37]
	v_add_f64 v[199:200], v[199:200], v[168:169]
	v_add_f64 v[217:218], v[217:218], v[170:171]
	ds_load_b128 v[168:171], v1 offset:1312
	v_fma_f64 v[174:175], v[174:175], v[30:31], v[219:220]
	v_fma_f64 v[172:173], v[172:173], v[30:31], -v[32:33]
	scratch_load_b128 v[30:33], off, off offset:592
	v_add_f64 v[199:200], v[199:200], v[223:224]
	v_add_f64 v[217:218], v[217:218], v[221:222]
	v_fma_f64 v[221:222], v[4:5], v[34:35], v[225:226]
	v_fma_f64 v[223:224], v[2:3], v[34:35], -v[36:37]
	scratch_load_b128 v[34:37], off, off offset:608
	ds_load_b128 v[2:5], v1 offset:1328
	s_waitcnt vmcnt(9) lgkmcnt(1)
	v_mul_f64 v[219:220], v[168:169], v[166:167]
	v_mul_f64 v[166:167], v[170:171], v[166:167]
	s_waitcnt vmcnt(8) lgkmcnt(0)
	v_mul_f64 v[225:226], v[2:3], v[40:41]
	v_mul_f64 v[40:41], v[4:5], v[40:41]
	v_add_f64 v[199:200], v[199:200], v[172:173]
	v_add_f64 v[217:218], v[217:218], v[174:175]
	ds_load_b128 v[172:175], v1 offset:1344
	v_fma_f64 v[170:171], v[170:171], v[164:165], v[219:220]
	v_fma_f64 v[168:169], v[168:169], v[164:165], -v[166:167]
	scratch_load_b128 v[164:167], off, off offset:624
	v_add_f64 v[199:200], v[199:200], v[223:224]
	v_add_f64 v[217:218], v[217:218], v[221:222]
	v_fma_f64 v[221:222], v[4:5], v[38:39], v[225:226]
	v_fma_f64 v[223:224], v[2:3], v[38:39], -v[40:41]
	scratch_load_b128 v[38:41], off, off offset:640
	ds_load_b128 v[2:5], v1 offset:1360
	s_waitcnt vmcnt(9) lgkmcnt(1)
	v_mul_f64 v[219:220], v[172:173], v[8:9]
	v_mul_f64 v[8:9], v[174:175], v[8:9]
	s_waitcnt vmcnt(8) lgkmcnt(0)
	v_mul_f64 v[225:226], v[2:3], v[12:13]
	v_mul_f64 v[12:13], v[4:5], v[12:13]
	v_add_f64 v[199:200], v[199:200], v[168:169]
	v_add_f64 v[217:218], v[217:218], v[170:171]
	ds_load_b128 v[168:171], v1 offset:1376
	v_fma_f64 v[174:175], v[174:175], v[6:7], v[219:220]
	v_fma_f64 v[172:173], v[172:173], v[6:7], -v[8:9]
	scratch_load_b128 v[6:9], off, off offset:656
	v_add_f64 v[199:200], v[199:200], v[223:224]
	v_add_f64 v[217:218], v[217:218], v[221:222]
	v_fma_f64 v[221:222], v[4:5], v[10:11], v[225:226]
	v_fma_f64 v[223:224], v[2:3], v[10:11], -v[12:13]
	scratch_load_b128 v[10:13], off, off offset:672
	ds_load_b128 v[2:5], v1 offset:1392
	s_waitcnt vmcnt(9) lgkmcnt(1)
	v_mul_f64 v[219:220], v[168:169], v[16:17]
	v_mul_f64 v[16:17], v[170:171], v[16:17]
	s_waitcnt vmcnt(8) lgkmcnt(0)
	v_mul_f64 v[225:226], v[2:3], v[20:21]
	v_mul_f64 v[20:21], v[4:5], v[20:21]
	v_add_f64 v[199:200], v[199:200], v[172:173]
	v_add_f64 v[217:218], v[217:218], v[174:175]
	ds_load_b128 v[172:175], v1 offset:1408
	v_fma_f64 v[170:171], v[170:171], v[14:15], v[219:220]
	v_fma_f64 v[168:169], v[168:169], v[14:15], -v[16:17]
	scratch_load_b128 v[14:17], off, off offset:688
	v_add_f64 v[199:200], v[199:200], v[223:224]
	v_add_f64 v[217:218], v[217:218], v[221:222]
	v_fma_f64 v[221:222], v[4:5], v[18:19], v[225:226]
	v_fma_f64 v[223:224], v[2:3], v[18:19], -v[20:21]
	scratch_load_b128 v[18:21], off, off offset:704
	ds_load_b128 v[2:5], v1 offset:1424
	s_waitcnt vmcnt(9) lgkmcnt(1)
	v_mul_f64 v[219:220], v[172:173], v[24:25]
	v_mul_f64 v[24:25], v[174:175], v[24:25]
	s_waitcnt vmcnt(8) lgkmcnt(0)
	v_mul_f64 v[225:226], v[2:3], v[28:29]
	v_mul_f64 v[28:29], v[4:5], v[28:29]
	v_add_f64 v[199:200], v[199:200], v[168:169]
	v_add_f64 v[217:218], v[217:218], v[170:171]
	ds_load_b128 v[168:171], v1 offset:1440
	v_fma_f64 v[174:175], v[174:175], v[22:23], v[219:220]
	v_fma_f64 v[172:173], v[172:173], v[22:23], -v[24:25]
	scratch_load_b128 v[22:25], off, off offset:720
	v_add_f64 v[199:200], v[199:200], v[223:224]
	v_add_f64 v[217:218], v[217:218], v[221:222]
	v_fma_f64 v[221:222], v[4:5], v[26:27], v[225:226]
	v_fma_f64 v[223:224], v[2:3], v[26:27], -v[28:29]
	scratch_load_b128 v[26:29], off, off offset:736
	ds_load_b128 v[2:5], v1 offset:1456
	s_waitcnt vmcnt(9) lgkmcnt(1)
	v_mul_f64 v[219:220], v[168:169], v[32:33]
	v_mul_f64 v[32:33], v[170:171], v[32:33]
	s_waitcnt vmcnt(8) lgkmcnt(0)
	v_mul_f64 v[225:226], v[2:3], v[36:37]
	v_mul_f64 v[36:37], v[4:5], v[36:37]
	v_add_f64 v[199:200], v[199:200], v[172:173]
	v_add_f64 v[217:218], v[217:218], v[174:175]
	ds_load_b128 v[172:175], v1 offset:1472
	v_fma_f64 v[170:171], v[170:171], v[30:31], v[219:220]
	v_fma_f64 v[168:169], v[168:169], v[30:31], -v[32:33]
	scratch_load_b128 v[30:33], off, off offset:752
	v_add_f64 v[199:200], v[199:200], v[223:224]
	v_add_f64 v[217:218], v[217:218], v[221:222]
	v_fma_f64 v[223:224], v[4:5], v[34:35], v[225:226]
	v_fma_f64 v[225:226], v[2:3], v[34:35], -v[36:37]
	scratch_load_b128 v[34:37], off, off offset:768
	ds_load_b128 v[2:5], v1 offset:1488
	s_waitcnt vmcnt(9) lgkmcnt(1)
	v_mul_f64 v[219:220], v[172:173], v[166:167]
	v_mul_f64 v[221:222], v[174:175], v[166:167]
	v_add_f64 v[199:200], v[199:200], v[168:169]
	v_add_f64 v[170:171], v[217:218], v[170:171]
	s_waitcnt vmcnt(8) lgkmcnt(0)
	v_mul_f64 v[217:218], v[2:3], v[40:41]
	v_mul_f64 v[40:41], v[4:5], v[40:41]
	ds_load_b128 v[166:169], v1 offset:1504
	v_fma_f64 v[174:175], v[174:175], v[164:165], v[219:220]
	v_fma_f64 v[164:165], v[172:173], v[164:165], -v[221:222]
	v_add_f64 v[199:200], v[199:200], v[225:226]
	v_add_f64 v[219:220], v[170:171], v[223:224]
	scratch_load_b128 v[170:173], off, off offset:784
	v_fma_f64 v[223:224], v[4:5], v[38:39], v[217:218]
	v_fma_f64 v[225:226], v[2:3], v[38:39], -v[40:41]
	scratch_load_b128 v[38:41], off, off offset:800
	ds_load_b128 v[2:5], v1 offset:1520
	s_waitcnt vmcnt(9) lgkmcnt(1)
	v_mul_f64 v[221:222], v[166:167], v[8:9]
	v_mul_f64 v[8:9], v[168:169], v[8:9]
	v_add_f64 v[164:165], v[199:200], v[164:165]
	v_add_f64 v[174:175], v[219:220], v[174:175]
	s_waitcnt vmcnt(8) lgkmcnt(0)
	v_mul_f64 v[199:200], v[2:3], v[12:13]
	v_mul_f64 v[12:13], v[4:5], v[12:13]
	ds_load_b128 v[217:220], v1 offset:1536
	v_fma_f64 v[168:169], v[168:169], v[6:7], v[221:222]
	v_fma_f64 v[166:167], v[166:167], v[6:7], -v[8:9]
	scratch_load_b128 v[6:9], off, off offset:816
	v_add_f64 v[164:165], v[164:165], v[225:226]
	v_add_f64 v[174:175], v[174:175], v[223:224]
	v_fma_f64 v[199:200], v[4:5], v[10:11], v[199:200]
	v_fma_f64 v[223:224], v[2:3], v[10:11], -v[12:13]
	scratch_load_b128 v[10:13], off, off offset:832
	ds_load_b128 v[2:5], v1 offset:1552
	s_waitcnt vmcnt(9) lgkmcnt(1)
	v_mul_f64 v[221:222], v[217:218], v[16:17]
	v_mul_f64 v[16:17], v[219:220], v[16:17]
	v_add_f64 v[225:226], v[164:165], v[166:167]
	v_add_f64 v[168:169], v[174:175], v[168:169]
	s_waitcnt vmcnt(8) lgkmcnt(0)
	v_mul_f64 v[174:175], v[2:3], v[20:21]
	v_mul_f64 v[20:21], v[4:5], v[20:21]
	ds_load_b128 v[164:167], v1 offset:1568
	v_fma_f64 v[219:220], v[219:220], v[14:15], v[221:222]
	v_fma_f64 v[14:15], v[217:218], v[14:15], -v[16:17]
	v_add_f64 v[16:17], v[225:226], v[223:224]
	v_add_f64 v[168:169], v[168:169], v[199:200]
	s_waitcnt vmcnt(7) lgkmcnt(0)
	v_mul_f64 v[199:200], v[164:165], v[24:25]
	v_mul_f64 v[24:25], v[166:167], v[24:25]
	v_fma_f64 v[174:175], v[4:5], v[18:19], v[174:175]
	v_fma_f64 v[18:19], v[2:3], v[18:19], -v[20:21]
	v_add_f64 v[20:21], v[16:17], v[14:15]
	v_add_f64 v[168:169], v[168:169], v[219:220]
	ds_load_b128 v[2:5], v1 offset:1584
	ds_load_b128 v[14:17], v1 offset:1600
	v_fma_f64 v[166:167], v[166:167], v[22:23], v[199:200]
	v_fma_f64 v[22:23], v[164:165], v[22:23], -v[24:25]
	s_waitcnt vmcnt(6) lgkmcnt(1)
	v_mul_f64 v[217:218], v[2:3], v[28:29]
	v_mul_f64 v[28:29], v[4:5], v[28:29]
	s_waitcnt vmcnt(5) lgkmcnt(0)
	v_mul_f64 v[24:25], v[14:15], v[32:33]
	v_mul_f64 v[32:33], v[16:17], v[32:33]
	v_add_f64 v[18:19], v[20:21], v[18:19]
	v_add_f64 v[20:21], v[168:169], v[174:175]
	v_fma_f64 v[164:165], v[4:5], v[26:27], v[217:218]
	v_fma_f64 v[26:27], v[2:3], v[26:27], -v[28:29]
	v_fma_f64 v[16:17], v[16:17], v[30:31], v[24:25]
	v_fma_f64 v[14:15], v[14:15], v[30:31], -v[32:33]
	v_add_f64 v[22:23], v[18:19], v[22:23]
	v_add_f64 v[28:29], v[20:21], v[166:167]
	ds_load_b128 v[2:5], v1 offset:1616
	ds_load_b128 v[18:21], v1 offset:1632
	s_waitcnt vmcnt(4) lgkmcnt(1)
	v_mul_f64 v[166:167], v[2:3], v[36:37]
	v_mul_f64 v[36:37], v[4:5], v[36:37]
	v_add_f64 v[22:23], v[22:23], v[26:27]
	v_add_f64 v[24:25], v[28:29], v[164:165]
	s_waitcnt vmcnt(3) lgkmcnt(0)
	v_mul_f64 v[26:27], v[18:19], v[172:173]
	v_mul_f64 v[28:29], v[20:21], v[172:173]
	v_fma_f64 v[30:31], v[4:5], v[34:35], v[166:167]
	v_fma_f64 v[32:33], v[2:3], v[34:35], -v[36:37]
	v_add_f64 v[22:23], v[22:23], v[14:15]
	v_add_f64 v[24:25], v[24:25], v[16:17]
	ds_load_b128 v[2:5], v1 offset:1648
	ds_load_b128 v[14:17], v1 offset:1664
	v_fma_f64 v[20:21], v[20:21], v[170:171], v[26:27]
	v_fma_f64 v[18:19], v[18:19], v[170:171], -v[28:29]
	s_waitcnt vmcnt(2) lgkmcnt(1)
	v_mul_f64 v[34:35], v[2:3], v[40:41]
	v_mul_f64 v[36:37], v[4:5], v[40:41]
	s_waitcnt vmcnt(1) lgkmcnt(0)
	v_mul_f64 v[26:27], v[14:15], v[8:9]
	v_mul_f64 v[8:9], v[16:17], v[8:9]
	v_add_f64 v[22:23], v[22:23], v[32:33]
	v_add_f64 v[24:25], v[24:25], v[30:31]
	v_fma_f64 v[28:29], v[4:5], v[38:39], v[34:35]
	v_fma_f64 v[30:31], v[2:3], v[38:39], -v[36:37]
	ds_load_b128 v[2:5], v1 offset:1680
	v_fma_f64 v[16:17], v[16:17], v[6:7], v[26:27]
	v_fma_f64 v[6:7], v[14:15], v[6:7], -v[8:9]
	v_add_f64 v[18:19], v[22:23], v[18:19]
	v_add_f64 v[20:21], v[24:25], v[20:21]
	s_waitcnt vmcnt(0) lgkmcnt(0)
	v_mul_f64 v[22:23], v[2:3], v[12:13]
	v_mul_f64 v[12:13], v[4:5], v[12:13]
	s_delay_alu instid0(VALU_DEP_4) | instskip(NEXT) | instid1(VALU_DEP_4)
	v_add_f64 v[8:9], v[18:19], v[30:31]
	v_add_f64 v[14:15], v[20:21], v[28:29]
	s_delay_alu instid0(VALU_DEP_4) | instskip(NEXT) | instid1(VALU_DEP_4)
	v_fma_f64 v[4:5], v[4:5], v[10:11], v[22:23]
	v_fma_f64 v[2:3], v[2:3], v[10:11], -v[12:13]
	s_delay_alu instid0(VALU_DEP_4) | instskip(NEXT) | instid1(VALU_DEP_4)
	v_add_f64 v[6:7], v[8:9], v[6:7]
	v_add_f64 v[8:9], v[14:15], v[16:17]
	s_delay_alu instid0(VALU_DEP_2) | instskip(NEXT) | instid1(VALU_DEP_2)
	v_add_f64 v[2:3], v[6:7], v[2:3]
	v_add_f64 v[4:5], v[8:9], v[4:5]
	s_delay_alu instid0(VALU_DEP_2) | instskip(NEXT) | instid1(VALU_DEP_2)
	v_add_f64 v[2:3], v[42:43], -v[2:3]
	v_add_f64 v[4:5], v[44:45], -v[4:5]
	scratch_store_b128 off, v[2:5], off offset:144
	v_cmpx_lt_u32_e32 8, v152
	s_cbranch_execz .LBB52_315
; %bb.314:
	scratch_load_b128 v[5:8], v253, off
	v_mov_b32_e32 v2, v1
	v_mov_b32_e32 v3, v1
	;; [unrolled: 1-line block ×3, first 2 shown]
	scratch_store_b128 off, v[1:4], off offset:128
	s_waitcnt vmcnt(0)
	ds_store_b128 v205, v[5:8]
.LBB52_315:
	s_or_b32 exec_lo, exec_lo, s2
	s_waitcnt lgkmcnt(0)
	s_waitcnt_vscnt null, 0x0
	s_barrier
	buffer_gl0_inv
	s_clause 0x8
	scratch_load_b128 v[2:5], off, off offset:144
	scratch_load_b128 v[6:9], off, off offset:160
	;; [unrolled: 1-line block ×9, first 2 shown]
	ds_load_b128 v[42:45], v1 offset:992
	ds_load_b128 v[38:41], v1 offset:1008
	s_clause 0x1
	scratch_load_b128 v[164:167], off, off offset:128
	scratch_load_b128 v[168:171], off, off offset:288
	s_mov_b32 s2, exec_lo
	s_waitcnt vmcnt(10) lgkmcnt(1)
	v_mul_f64 v[172:173], v[44:45], v[4:5]
	v_mul_f64 v[4:5], v[42:43], v[4:5]
	s_waitcnt vmcnt(9) lgkmcnt(0)
	v_mul_f64 v[199:200], v[38:39], v[8:9]
	v_mul_f64 v[8:9], v[40:41], v[8:9]
	s_delay_alu instid0(VALU_DEP_4) | instskip(NEXT) | instid1(VALU_DEP_4)
	v_fma_f64 v[217:218], v[42:43], v[2:3], -v[172:173]
	v_fma_f64 v[219:220], v[44:45], v[2:3], v[4:5]
	ds_load_b128 v[2:5], v1 offset:1024
	ds_load_b128 v[172:175], v1 offset:1040
	scratch_load_b128 v[42:45], off, off offset:304
	v_fma_f64 v[40:41], v[40:41], v[6:7], v[199:200]
	v_fma_f64 v[38:39], v[38:39], v[6:7], -v[8:9]
	scratch_load_b128 v[6:9], off, off offset:320
	s_waitcnt vmcnt(10) lgkmcnt(1)
	v_mul_f64 v[221:222], v[2:3], v[12:13]
	v_mul_f64 v[12:13], v[4:5], v[12:13]
	v_add_f64 v[199:200], v[217:218], 0
	v_add_f64 v[217:218], v[219:220], 0
	s_waitcnt vmcnt(9) lgkmcnt(0)
	v_mul_f64 v[219:220], v[172:173], v[16:17]
	v_mul_f64 v[16:17], v[174:175], v[16:17]
	v_fma_f64 v[221:222], v[4:5], v[10:11], v[221:222]
	v_fma_f64 v[223:224], v[2:3], v[10:11], -v[12:13]
	ds_load_b128 v[2:5], v1 offset:1056
	scratch_load_b128 v[10:13], off, off offset:336
	v_add_f64 v[199:200], v[199:200], v[38:39]
	v_add_f64 v[217:218], v[217:218], v[40:41]
	ds_load_b128 v[38:41], v1 offset:1072
	v_fma_f64 v[174:175], v[174:175], v[14:15], v[219:220]
	v_fma_f64 v[172:173], v[172:173], v[14:15], -v[16:17]
	scratch_load_b128 v[14:17], off, off offset:352
	s_waitcnt vmcnt(10) lgkmcnt(1)
	v_mul_f64 v[225:226], v[2:3], v[20:21]
	v_mul_f64 v[20:21], v[4:5], v[20:21]
	s_waitcnt vmcnt(9) lgkmcnt(0)
	v_mul_f64 v[219:220], v[38:39], v[24:25]
	v_mul_f64 v[24:25], v[40:41], v[24:25]
	v_add_f64 v[199:200], v[199:200], v[223:224]
	v_add_f64 v[217:218], v[217:218], v[221:222]
	v_fma_f64 v[221:222], v[4:5], v[18:19], v[225:226]
	v_fma_f64 v[223:224], v[2:3], v[18:19], -v[20:21]
	ds_load_b128 v[2:5], v1 offset:1088
	scratch_load_b128 v[18:21], off, off offset:368
	v_fma_f64 v[40:41], v[40:41], v[22:23], v[219:220]
	v_fma_f64 v[38:39], v[38:39], v[22:23], -v[24:25]
	scratch_load_b128 v[22:25], off, off offset:384
	v_add_f64 v[199:200], v[199:200], v[172:173]
	v_add_f64 v[217:218], v[217:218], v[174:175]
	ds_load_b128 v[172:175], v1 offset:1104
	s_waitcnt vmcnt(10) lgkmcnt(1)
	v_mul_f64 v[225:226], v[2:3], v[28:29]
	v_mul_f64 v[28:29], v[4:5], v[28:29]
	s_waitcnt vmcnt(9) lgkmcnt(0)
	v_mul_f64 v[219:220], v[172:173], v[32:33]
	v_mul_f64 v[32:33], v[174:175], v[32:33]
	v_add_f64 v[199:200], v[199:200], v[223:224]
	v_add_f64 v[217:218], v[217:218], v[221:222]
	v_fma_f64 v[221:222], v[4:5], v[26:27], v[225:226]
	v_fma_f64 v[223:224], v[2:3], v[26:27], -v[28:29]
	ds_load_b128 v[2:5], v1 offset:1120
	scratch_load_b128 v[26:29], off, off offset:400
	v_fma_f64 v[174:175], v[174:175], v[30:31], v[219:220]
	v_fma_f64 v[172:173], v[172:173], v[30:31], -v[32:33]
	scratch_load_b128 v[30:33], off, off offset:416
	v_add_f64 v[199:200], v[199:200], v[38:39]
	v_add_f64 v[217:218], v[217:218], v[40:41]
	ds_load_b128 v[38:41], v1 offset:1136
	s_waitcnt vmcnt(10) lgkmcnt(1)
	v_mul_f64 v[225:226], v[2:3], v[36:37]
	v_mul_f64 v[36:37], v[4:5], v[36:37]
	s_waitcnt vmcnt(8) lgkmcnt(0)
	v_mul_f64 v[219:220], v[38:39], v[170:171]
	v_add_f64 v[199:200], v[199:200], v[223:224]
	v_add_f64 v[217:218], v[217:218], v[221:222]
	v_mul_f64 v[221:222], v[40:41], v[170:171]
	v_fma_f64 v[223:224], v[4:5], v[34:35], v[225:226]
	v_fma_f64 v[225:226], v[2:3], v[34:35], -v[36:37]
	ds_load_b128 v[2:5], v1 offset:1152
	scratch_load_b128 v[34:37], off, off offset:432
	v_fma_f64 v[219:220], v[40:41], v[168:169], v[219:220]
	v_add_f64 v[199:200], v[199:200], v[172:173]
	v_add_f64 v[174:175], v[217:218], v[174:175]
	ds_load_b128 v[170:173], v1 offset:1168
	v_fma_f64 v[168:169], v[38:39], v[168:169], -v[221:222]
	scratch_load_b128 v[38:41], off, off offset:448
	s_waitcnt vmcnt(9) lgkmcnt(1)
	v_mul_f64 v[217:218], v[2:3], v[44:45]
	v_mul_f64 v[44:45], v[4:5], v[44:45]
	s_waitcnt vmcnt(8) lgkmcnt(0)
	v_mul_f64 v[221:222], v[170:171], v[8:9]
	v_mul_f64 v[8:9], v[172:173], v[8:9]
	v_add_f64 v[199:200], v[199:200], v[225:226]
	v_add_f64 v[174:175], v[174:175], v[223:224]
	v_fma_f64 v[223:224], v[4:5], v[42:43], v[217:218]
	v_fma_f64 v[225:226], v[2:3], v[42:43], -v[44:45]
	ds_load_b128 v[2:5], v1 offset:1184
	scratch_load_b128 v[42:45], off, off offset:464
	v_fma_f64 v[172:173], v[172:173], v[6:7], v[221:222]
	v_fma_f64 v[170:171], v[170:171], v[6:7], -v[8:9]
	scratch_load_b128 v[6:9], off, off offset:480
	v_add_f64 v[168:169], v[199:200], v[168:169]
	v_add_f64 v[174:175], v[174:175], v[219:220]
	ds_load_b128 v[217:220], v1 offset:1200
	s_waitcnt vmcnt(9) lgkmcnt(1)
	v_mul_f64 v[199:200], v[2:3], v[12:13]
	v_mul_f64 v[12:13], v[4:5], v[12:13]
	s_waitcnt vmcnt(8) lgkmcnt(0)
	v_mul_f64 v[221:222], v[217:218], v[16:17]
	v_mul_f64 v[16:17], v[219:220], v[16:17]
	v_add_f64 v[168:169], v[168:169], v[225:226]
	v_add_f64 v[174:175], v[174:175], v[223:224]
	v_fma_f64 v[199:200], v[4:5], v[10:11], v[199:200]
	v_fma_f64 v[223:224], v[2:3], v[10:11], -v[12:13]
	ds_load_b128 v[2:5], v1 offset:1216
	scratch_load_b128 v[10:13], off, off offset:496
	v_fma_f64 v[219:220], v[219:220], v[14:15], v[221:222]
	v_fma_f64 v[217:218], v[217:218], v[14:15], -v[16:17]
	scratch_load_b128 v[14:17], off, off offset:512
	v_add_f64 v[225:226], v[168:169], v[170:171]
	v_add_f64 v[172:173], v[174:175], v[172:173]
	ds_load_b128 v[168:171], v1 offset:1232
	s_waitcnt vmcnt(9) lgkmcnt(1)
	v_mul_f64 v[174:175], v[2:3], v[20:21]
	v_mul_f64 v[20:21], v[4:5], v[20:21]
	v_add_f64 v[221:222], v[225:226], v[223:224]
	v_add_f64 v[172:173], v[172:173], v[199:200]
	s_waitcnt vmcnt(8) lgkmcnt(0)
	v_mul_f64 v[199:200], v[168:169], v[24:25]
	v_mul_f64 v[24:25], v[170:171], v[24:25]
	v_fma_f64 v[223:224], v[4:5], v[18:19], v[174:175]
	v_fma_f64 v[225:226], v[2:3], v[18:19], -v[20:21]
	ds_load_b128 v[2:5], v1 offset:1248
	scratch_load_b128 v[18:21], off, off offset:528
	v_add_f64 v[217:218], v[221:222], v[217:218]
	v_add_f64 v[219:220], v[172:173], v[219:220]
	ds_load_b128 v[172:175], v1 offset:1264
	s_waitcnt vmcnt(8) lgkmcnt(1)
	v_mul_f64 v[221:222], v[2:3], v[28:29]
	v_mul_f64 v[28:29], v[4:5], v[28:29]
	v_fma_f64 v[170:171], v[170:171], v[22:23], v[199:200]
	v_fma_f64 v[168:169], v[168:169], v[22:23], -v[24:25]
	scratch_load_b128 v[22:25], off, off offset:544
	v_add_f64 v[199:200], v[217:218], v[225:226]
	v_add_f64 v[217:218], v[219:220], v[223:224]
	s_waitcnt vmcnt(8) lgkmcnt(0)
	v_mul_f64 v[219:220], v[172:173], v[32:33]
	v_mul_f64 v[32:33], v[174:175], v[32:33]
	v_fma_f64 v[221:222], v[4:5], v[26:27], v[221:222]
	v_fma_f64 v[223:224], v[2:3], v[26:27], -v[28:29]
	ds_load_b128 v[2:5], v1 offset:1280
	scratch_load_b128 v[26:29], off, off offset:560
	v_add_f64 v[199:200], v[199:200], v[168:169]
	v_add_f64 v[217:218], v[217:218], v[170:171]
	ds_load_b128 v[168:171], v1 offset:1296
	s_waitcnt vmcnt(8) lgkmcnt(1)
	v_mul_f64 v[225:226], v[2:3], v[36:37]
	v_mul_f64 v[36:37], v[4:5], v[36:37]
	v_fma_f64 v[174:175], v[174:175], v[30:31], v[219:220]
	v_fma_f64 v[172:173], v[172:173], v[30:31], -v[32:33]
	scratch_load_b128 v[30:33], off, off offset:576
	s_waitcnt vmcnt(8) lgkmcnt(0)
	v_mul_f64 v[219:220], v[168:169], v[40:41]
	v_mul_f64 v[40:41], v[170:171], v[40:41]
	v_add_f64 v[199:200], v[199:200], v[223:224]
	v_add_f64 v[217:218], v[217:218], v[221:222]
	v_fma_f64 v[221:222], v[4:5], v[34:35], v[225:226]
	v_fma_f64 v[223:224], v[2:3], v[34:35], -v[36:37]
	ds_load_b128 v[2:5], v1 offset:1312
	scratch_load_b128 v[34:37], off, off offset:592
	v_fma_f64 v[170:171], v[170:171], v[38:39], v[219:220]
	v_fma_f64 v[168:169], v[168:169], v[38:39], -v[40:41]
	scratch_load_b128 v[38:41], off, off offset:608
	v_add_f64 v[199:200], v[199:200], v[172:173]
	v_add_f64 v[217:218], v[217:218], v[174:175]
	ds_load_b128 v[172:175], v1 offset:1328
	s_waitcnt vmcnt(9) lgkmcnt(1)
	v_mul_f64 v[225:226], v[2:3], v[44:45]
	v_mul_f64 v[44:45], v[4:5], v[44:45]
	s_waitcnt vmcnt(8) lgkmcnt(0)
	v_mul_f64 v[219:220], v[172:173], v[8:9]
	v_mul_f64 v[8:9], v[174:175], v[8:9]
	v_add_f64 v[199:200], v[199:200], v[223:224]
	v_add_f64 v[217:218], v[217:218], v[221:222]
	v_fma_f64 v[221:222], v[4:5], v[42:43], v[225:226]
	v_fma_f64 v[223:224], v[2:3], v[42:43], -v[44:45]
	ds_load_b128 v[2:5], v1 offset:1344
	scratch_load_b128 v[42:45], off, off offset:624
	v_fma_f64 v[174:175], v[174:175], v[6:7], v[219:220]
	v_fma_f64 v[172:173], v[172:173], v[6:7], -v[8:9]
	scratch_load_b128 v[6:9], off, off offset:640
	v_add_f64 v[199:200], v[199:200], v[168:169]
	v_add_f64 v[217:218], v[217:218], v[170:171]
	ds_load_b128 v[168:171], v1 offset:1360
	s_waitcnt vmcnt(9) lgkmcnt(1)
	v_mul_f64 v[225:226], v[2:3], v[12:13]
	v_mul_f64 v[12:13], v[4:5], v[12:13]
	;; [unrolled: 18-line block ×8, first 2 shown]
	s_waitcnt vmcnt(8) lgkmcnt(0)
	v_mul_f64 v[219:220], v[168:169], v[24:25]
	v_mul_f64 v[24:25], v[170:171], v[24:25]
	v_add_f64 v[199:200], v[199:200], v[223:224]
	v_add_f64 v[217:218], v[217:218], v[221:222]
	v_fma_f64 v[221:222], v[4:5], v[18:19], v[225:226]
	v_fma_f64 v[223:224], v[2:3], v[18:19], -v[20:21]
	ds_load_b128 v[2:5], v1 offset:1568
	ds_load_b128 v[18:21], v1 offset:1584
	v_fma_f64 v[170:171], v[170:171], v[22:23], v[219:220]
	v_fma_f64 v[22:23], v[168:169], v[22:23], -v[24:25]
	v_add_f64 v[172:173], v[199:200], v[172:173]
	v_add_f64 v[174:175], v[217:218], v[174:175]
	s_waitcnt vmcnt(7) lgkmcnt(1)
	v_mul_f64 v[199:200], v[2:3], v[28:29]
	v_mul_f64 v[28:29], v[4:5], v[28:29]
	s_delay_alu instid0(VALU_DEP_4) | instskip(NEXT) | instid1(VALU_DEP_4)
	v_add_f64 v[24:25], v[172:173], v[223:224]
	v_add_f64 v[168:169], v[174:175], v[221:222]
	s_waitcnt vmcnt(6) lgkmcnt(0)
	v_mul_f64 v[172:173], v[18:19], v[32:33]
	v_mul_f64 v[32:33], v[20:21], v[32:33]
	v_fma_f64 v[174:175], v[4:5], v[26:27], v[199:200]
	v_fma_f64 v[26:27], v[2:3], v[26:27], -v[28:29]
	v_add_f64 v[28:29], v[24:25], v[22:23]
	v_add_f64 v[168:169], v[168:169], v[170:171]
	ds_load_b128 v[2:5], v1 offset:1600
	ds_load_b128 v[22:25], v1 offset:1616
	v_fma_f64 v[20:21], v[20:21], v[30:31], v[172:173]
	v_fma_f64 v[18:19], v[18:19], v[30:31], -v[32:33]
	s_waitcnt vmcnt(5) lgkmcnt(1)
	v_mul_f64 v[170:171], v[2:3], v[36:37]
	v_mul_f64 v[36:37], v[4:5], v[36:37]
	s_waitcnt vmcnt(4) lgkmcnt(0)
	v_mul_f64 v[30:31], v[22:23], v[40:41]
	v_mul_f64 v[32:33], v[24:25], v[40:41]
	v_add_f64 v[26:27], v[28:29], v[26:27]
	v_add_f64 v[28:29], v[168:169], v[174:175]
	v_fma_f64 v[40:41], v[4:5], v[34:35], v[170:171]
	v_fma_f64 v[34:35], v[2:3], v[34:35], -v[36:37]
	v_fma_f64 v[24:25], v[24:25], v[38:39], v[30:31]
	v_fma_f64 v[22:23], v[22:23], v[38:39], -v[32:33]
	v_add_f64 v[26:27], v[26:27], v[18:19]
	v_add_f64 v[28:29], v[28:29], v[20:21]
	ds_load_b128 v[2:5], v1 offset:1632
	ds_load_b128 v[18:21], v1 offset:1648
	s_waitcnt vmcnt(3) lgkmcnt(1)
	v_mul_f64 v[36:37], v[2:3], v[44:45]
	v_mul_f64 v[44:45], v[4:5], v[44:45]
	s_waitcnt vmcnt(2) lgkmcnt(0)
	v_mul_f64 v[30:31], v[18:19], v[8:9]
	v_mul_f64 v[8:9], v[20:21], v[8:9]
	v_add_f64 v[26:27], v[26:27], v[34:35]
	v_add_f64 v[28:29], v[28:29], v[40:41]
	v_fma_f64 v[32:33], v[4:5], v[42:43], v[36:37]
	v_fma_f64 v[34:35], v[2:3], v[42:43], -v[44:45]
	v_fma_f64 v[20:21], v[20:21], v[6:7], v[30:31]
	v_fma_f64 v[6:7], v[18:19], v[6:7], -v[8:9]
	v_add_f64 v[26:27], v[26:27], v[22:23]
	v_add_f64 v[28:29], v[28:29], v[24:25]
	ds_load_b128 v[2:5], v1 offset:1664
	ds_load_b128 v[22:25], v1 offset:1680
	s_waitcnt vmcnt(1) lgkmcnt(1)
	v_mul_f64 v[36:37], v[2:3], v[12:13]
	v_mul_f64 v[12:13], v[4:5], v[12:13]
	v_add_f64 v[8:9], v[26:27], v[34:35]
	v_add_f64 v[18:19], v[28:29], v[32:33]
	s_waitcnt vmcnt(0) lgkmcnt(0)
	v_mul_f64 v[26:27], v[22:23], v[16:17]
	v_mul_f64 v[16:17], v[24:25], v[16:17]
	v_fma_f64 v[4:5], v[4:5], v[10:11], v[36:37]
	v_fma_f64 v[1:2], v[2:3], v[10:11], -v[12:13]
	v_add_f64 v[6:7], v[8:9], v[6:7]
	v_add_f64 v[8:9], v[18:19], v[20:21]
	v_fma_f64 v[10:11], v[24:25], v[14:15], v[26:27]
	v_fma_f64 v[12:13], v[22:23], v[14:15], -v[16:17]
	s_delay_alu instid0(VALU_DEP_4) | instskip(NEXT) | instid1(VALU_DEP_4)
	v_add_f64 v[1:2], v[6:7], v[1:2]
	v_add_f64 v[3:4], v[8:9], v[4:5]
	s_delay_alu instid0(VALU_DEP_2) | instskip(NEXT) | instid1(VALU_DEP_2)
	v_add_f64 v[1:2], v[1:2], v[12:13]
	v_add_f64 v[3:4], v[3:4], v[10:11]
	s_delay_alu instid0(VALU_DEP_2) | instskip(NEXT) | instid1(VALU_DEP_2)
	v_add_f64 v[1:2], v[164:165], -v[1:2]
	v_add_f64 v[3:4], v[166:167], -v[3:4]
	scratch_store_b128 off, v[1:4], off offset:128
	v_cmpx_lt_u32_e32 7, v152
	s_cbranch_execz .LBB52_317
; %bb.316:
	scratch_load_b128 v[1:4], v254, off
	v_mov_b32_e32 v5, 0
	s_delay_alu instid0(VALU_DEP_1)
	v_mov_b32_e32 v6, v5
	v_mov_b32_e32 v7, v5
	;; [unrolled: 1-line block ×3, first 2 shown]
	scratch_store_b128 off, v[5:8], off offset:112
	s_waitcnt vmcnt(0)
	ds_store_b128 v205, v[1:4]
.LBB52_317:
	s_or_b32 exec_lo, exec_lo, s2
	s_waitcnt lgkmcnt(0)
	s_waitcnt_vscnt null, 0x0
	s_barrier
	buffer_gl0_inv
	s_clause 0x7
	scratch_load_b128 v[2:5], off, off offset:128
	scratch_load_b128 v[6:9], off, off offset:144
	scratch_load_b128 v[10:13], off, off offset:160
	scratch_load_b128 v[14:17], off, off offset:176
	scratch_load_b128 v[18:21], off, off offset:192
	scratch_load_b128 v[22:25], off, off offset:208
	scratch_load_b128 v[26:29], off, off offset:224
	scratch_load_b128 v[30:33], off, off offset:240
	v_mov_b32_e32 v1, 0
	s_mov_b32 s2, exec_lo
	ds_load_b128 v[38:41], v1 offset:976
	s_clause 0x1
	scratch_load_b128 v[34:37], off, off offset:256
	scratch_load_b128 v[42:45], off, off offset:112
	ds_load_b128 v[164:167], v1 offset:992
	scratch_load_b128 v[168:171], off, off offset:272
	s_waitcnt vmcnt(10) lgkmcnt(1)
	v_mul_f64 v[172:173], v[40:41], v[4:5]
	v_mul_f64 v[4:5], v[38:39], v[4:5]
	s_delay_alu instid0(VALU_DEP_2) | instskip(NEXT) | instid1(VALU_DEP_2)
	v_fma_f64 v[217:218], v[38:39], v[2:3], -v[172:173]
	v_fma_f64 v[219:220], v[40:41], v[2:3], v[4:5]
	scratch_load_b128 v[38:41], off, off offset:288
	ds_load_b128 v[2:5], v1 offset:1008
	s_waitcnt vmcnt(10) lgkmcnt(1)
	v_mul_f64 v[199:200], v[164:165], v[8:9]
	v_mul_f64 v[8:9], v[166:167], v[8:9]
	ds_load_b128 v[172:175], v1 offset:1024
	s_waitcnt vmcnt(9) lgkmcnt(1)
	v_mul_f64 v[221:222], v[2:3], v[12:13]
	v_mul_f64 v[12:13], v[4:5], v[12:13]
	v_fma_f64 v[166:167], v[166:167], v[6:7], v[199:200]
	v_fma_f64 v[164:165], v[164:165], v[6:7], -v[8:9]
	v_add_f64 v[199:200], v[217:218], 0
	v_add_f64 v[217:218], v[219:220], 0
	scratch_load_b128 v[6:9], off, off offset:304
	v_fma_f64 v[221:222], v[4:5], v[10:11], v[221:222]
	v_fma_f64 v[223:224], v[2:3], v[10:11], -v[12:13]
	scratch_load_b128 v[10:13], off, off offset:320
	ds_load_b128 v[2:5], v1 offset:1040
	s_waitcnt vmcnt(10) lgkmcnt(1)
	v_mul_f64 v[219:220], v[172:173], v[16:17]
	v_mul_f64 v[16:17], v[174:175], v[16:17]
	v_add_f64 v[199:200], v[199:200], v[164:165]
	v_add_f64 v[217:218], v[217:218], v[166:167]
	s_waitcnt vmcnt(9) lgkmcnt(0)
	v_mul_f64 v[225:226], v[2:3], v[20:21]
	v_mul_f64 v[20:21], v[4:5], v[20:21]
	ds_load_b128 v[164:167], v1 offset:1056
	v_fma_f64 v[174:175], v[174:175], v[14:15], v[219:220]
	v_fma_f64 v[172:173], v[172:173], v[14:15], -v[16:17]
	scratch_load_b128 v[14:17], off, off offset:336
	v_add_f64 v[199:200], v[199:200], v[223:224]
	v_add_f64 v[217:218], v[217:218], v[221:222]
	v_fma_f64 v[221:222], v[4:5], v[18:19], v[225:226]
	v_fma_f64 v[223:224], v[2:3], v[18:19], -v[20:21]
	scratch_load_b128 v[18:21], off, off offset:352
	ds_load_b128 v[2:5], v1 offset:1072
	s_waitcnt vmcnt(10) lgkmcnt(1)
	v_mul_f64 v[219:220], v[164:165], v[24:25]
	v_mul_f64 v[24:25], v[166:167], v[24:25]
	s_waitcnt vmcnt(9) lgkmcnt(0)
	v_mul_f64 v[225:226], v[2:3], v[28:29]
	v_mul_f64 v[28:29], v[4:5], v[28:29]
	v_add_f64 v[199:200], v[199:200], v[172:173]
	v_add_f64 v[217:218], v[217:218], v[174:175]
	ds_load_b128 v[172:175], v1 offset:1088
	v_fma_f64 v[166:167], v[166:167], v[22:23], v[219:220]
	v_fma_f64 v[164:165], v[164:165], v[22:23], -v[24:25]
	scratch_load_b128 v[22:25], off, off offset:368
	v_add_f64 v[199:200], v[199:200], v[223:224]
	v_add_f64 v[217:218], v[217:218], v[221:222]
	v_fma_f64 v[221:222], v[4:5], v[26:27], v[225:226]
	v_fma_f64 v[223:224], v[2:3], v[26:27], -v[28:29]
	scratch_load_b128 v[26:29], off, off offset:384
	ds_load_b128 v[2:5], v1 offset:1104
	s_waitcnt vmcnt(10) lgkmcnt(1)
	v_mul_f64 v[219:220], v[172:173], v[32:33]
	v_mul_f64 v[32:33], v[174:175], v[32:33]
	s_waitcnt vmcnt(9) lgkmcnt(0)
	v_mul_f64 v[225:226], v[2:3], v[36:37]
	v_mul_f64 v[36:37], v[4:5], v[36:37]
	v_add_f64 v[199:200], v[199:200], v[164:165]
	v_add_f64 v[217:218], v[217:218], v[166:167]
	ds_load_b128 v[164:167], v1 offset:1120
	v_fma_f64 v[174:175], v[174:175], v[30:31], v[219:220]
	v_fma_f64 v[172:173], v[172:173], v[30:31], -v[32:33]
	scratch_load_b128 v[30:33], off, off offset:400
	v_add_f64 v[199:200], v[199:200], v[223:224]
	v_add_f64 v[217:218], v[217:218], v[221:222]
	v_fma_f64 v[223:224], v[4:5], v[34:35], v[225:226]
	v_fma_f64 v[225:226], v[2:3], v[34:35], -v[36:37]
	scratch_load_b128 v[34:37], off, off offset:416
	ds_load_b128 v[2:5], v1 offset:1136
	s_waitcnt vmcnt(9) lgkmcnt(1)
	v_mul_f64 v[219:220], v[164:165], v[170:171]
	v_mul_f64 v[221:222], v[166:167], v[170:171]
	v_add_f64 v[199:200], v[199:200], v[172:173]
	v_add_f64 v[174:175], v[217:218], v[174:175]
	ds_load_b128 v[170:173], v1 offset:1152
	v_fma_f64 v[219:220], v[166:167], v[168:169], v[219:220]
	v_fma_f64 v[168:169], v[164:165], v[168:169], -v[221:222]
	scratch_load_b128 v[164:167], off, off offset:432
	s_waitcnt vmcnt(9) lgkmcnt(1)
	v_mul_f64 v[217:218], v[2:3], v[40:41]
	v_mul_f64 v[40:41], v[4:5], v[40:41]
	v_add_f64 v[199:200], v[199:200], v[225:226]
	v_add_f64 v[174:175], v[174:175], v[223:224]
	s_delay_alu instid0(VALU_DEP_4) | instskip(NEXT) | instid1(VALU_DEP_4)
	v_fma_f64 v[223:224], v[4:5], v[38:39], v[217:218]
	v_fma_f64 v[225:226], v[2:3], v[38:39], -v[40:41]
	scratch_load_b128 v[38:41], off, off offset:448
	ds_load_b128 v[2:5], v1 offset:1168
	s_waitcnt vmcnt(9) lgkmcnt(1)
	v_mul_f64 v[221:222], v[170:171], v[8:9]
	v_mul_f64 v[8:9], v[172:173], v[8:9]
	v_add_f64 v[168:169], v[199:200], v[168:169]
	v_add_f64 v[174:175], v[174:175], v[219:220]
	s_waitcnt vmcnt(8) lgkmcnt(0)
	v_mul_f64 v[199:200], v[2:3], v[12:13]
	v_mul_f64 v[12:13], v[4:5], v[12:13]
	ds_load_b128 v[217:220], v1 offset:1184
	v_fma_f64 v[172:173], v[172:173], v[6:7], v[221:222]
	v_fma_f64 v[170:171], v[170:171], v[6:7], -v[8:9]
	scratch_load_b128 v[6:9], off, off offset:464
	v_add_f64 v[168:169], v[168:169], v[225:226]
	v_add_f64 v[174:175], v[174:175], v[223:224]
	v_fma_f64 v[199:200], v[4:5], v[10:11], v[199:200]
	v_fma_f64 v[223:224], v[2:3], v[10:11], -v[12:13]
	scratch_load_b128 v[10:13], off, off offset:480
	ds_load_b128 v[2:5], v1 offset:1200
	s_waitcnt vmcnt(9) lgkmcnt(1)
	v_mul_f64 v[221:222], v[217:218], v[16:17]
	v_mul_f64 v[16:17], v[219:220], v[16:17]
	v_add_f64 v[225:226], v[168:169], v[170:171]
	v_add_f64 v[172:173], v[174:175], v[172:173]
	s_waitcnt vmcnt(8) lgkmcnt(0)
	v_mul_f64 v[174:175], v[2:3], v[20:21]
	v_mul_f64 v[20:21], v[4:5], v[20:21]
	ds_load_b128 v[168:171], v1 offset:1216
	v_fma_f64 v[219:220], v[219:220], v[14:15], v[221:222]
	v_fma_f64 v[217:218], v[217:218], v[14:15], -v[16:17]
	scratch_load_b128 v[14:17], off, off offset:496
	v_add_f64 v[221:222], v[225:226], v[223:224]
	v_add_f64 v[172:173], v[172:173], v[199:200]
	;; [unrolled: 18-line block ×3, first 2 shown]
	v_fma_f64 v[221:222], v[4:5], v[26:27], v[221:222]
	v_fma_f64 v[223:224], v[2:3], v[26:27], -v[28:29]
	scratch_load_b128 v[26:29], off, off offset:544
	ds_load_b128 v[2:5], v1 offset:1264
	s_waitcnt vmcnt(9) lgkmcnt(1)
	v_mul_f64 v[219:220], v[172:173], v[32:33]
	v_mul_f64 v[32:33], v[174:175], v[32:33]
	s_waitcnt vmcnt(8) lgkmcnt(0)
	v_mul_f64 v[225:226], v[2:3], v[36:37]
	v_mul_f64 v[36:37], v[4:5], v[36:37]
	v_add_f64 v[199:200], v[199:200], v[168:169]
	v_add_f64 v[217:218], v[217:218], v[170:171]
	ds_load_b128 v[168:171], v1 offset:1280
	v_fma_f64 v[174:175], v[174:175], v[30:31], v[219:220]
	v_fma_f64 v[172:173], v[172:173], v[30:31], -v[32:33]
	scratch_load_b128 v[30:33], off, off offset:560
	v_add_f64 v[199:200], v[199:200], v[223:224]
	v_add_f64 v[217:218], v[217:218], v[221:222]
	v_fma_f64 v[221:222], v[4:5], v[34:35], v[225:226]
	v_fma_f64 v[223:224], v[2:3], v[34:35], -v[36:37]
	scratch_load_b128 v[34:37], off, off offset:576
	ds_load_b128 v[2:5], v1 offset:1296
	s_waitcnt vmcnt(9) lgkmcnt(1)
	v_mul_f64 v[219:220], v[168:169], v[166:167]
	v_mul_f64 v[166:167], v[170:171], v[166:167]
	s_waitcnt vmcnt(8) lgkmcnt(0)
	v_mul_f64 v[225:226], v[2:3], v[40:41]
	v_mul_f64 v[40:41], v[4:5], v[40:41]
	v_add_f64 v[199:200], v[199:200], v[172:173]
	v_add_f64 v[217:218], v[217:218], v[174:175]
	ds_load_b128 v[172:175], v1 offset:1312
	v_fma_f64 v[170:171], v[170:171], v[164:165], v[219:220]
	v_fma_f64 v[168:169], v[168:169], v[164:165], -v[166:167]
	scratch_load_b128 v[164:167], off, off offset:592
	v_add_f64 v[199:200], v[199:200], v[223:224]
	v_add_f64 v[217:218], v[217:218], v[221:222]
	;; [unrolled: 18-line block ×6, first 2 shown]
	v_fma_f64 v[223:224], v[4:5], v[34:35], v[225:226]
	v_fma_f64 v[225:226], v[2:3], v[34:35], -v[36:37]
	scratch_load_b128 v[34:37], off, off offset:736
	ds_load_b128 v[2:5], v1 offset:1456
	s_waitcnt vmcnt(9) lgkmcnt(1)
	v_mul_f64 v[219:220], v[172:173], v[166:167]
	v_mul_f64 v[221:222], v[174:175], v[166:167]
	v_add_f64 v[199:200], v[199:200], v[168:169]
	v_add_f64 v[170:171], v[217:218], v[170:171]
	s_waitcnt vmcnt(8) lgkmcnt(0)
	v_mul_f64 v[217:218], v[2:3], v[40:41]
	v_mul_f64 v[40:41], v[4:5], v[40:41]
	ds_load_b128 v[166:169], v1 offset:1472
	v_fma_f64 v[174:175], v[174:175], v[164:165], v[219:220]
	v_fma_f64 v[164:165], v[172:173], v[164:165], -v[221:222]
	v_add_f64 v[199:200], v[199:200], v[225:226]
	v_add_f64 v[219:220], v[170:171], v[223:224]
	scratch_load_b128 v[170:173], off, off offset:752
	v_fma_f64 v[223:224], v[4:5], v[38:39], v[217:218]
	v_fma_f64 v[225:226], v[2:3], v[38:39], -v[40:41]
	scratch_load_b128 v[38:41], off, off offset:768
	ds_load_b128 v[2:5], v1 offset:1488
	s_waitcnt vmcnt(9) lgkmcnt(1)
	v_mul_f64 v[221:222], v[166:167], v[8:9]
	v_mul_f64 v[8:9], v[168:169], v[8:9]
	v_add_f64 v[164:165], v[199:200], v[164:165]
	v_add_f64 v[174:175], v[219:220], v[174:175]
	s_waitcnt vmcnt(8) lgkmcnt(0)
	v_mul_f64 v[199:200], v[2:3], v[12:13]
	v_mul_f64 v[12:13], v[4:5], v[12:13]
	ds_load_b128 v[217:220], v1 offset:1504
	v_fma_f64 v[168:169], v[168:169], v[6:7], v[221:222]
	v_fma_f64 v[166:167], v[166:167], v[6:7], -v[8:9]
	scratch_load_b128 v[6:9], off, off offset:784
	v_add_f64 v[164:165], v[164:165], v[225:226]
	v_add_f64 v[174:175], v[174:175], v[223:224]
	v_fma_f64 v[199:200], v[4:5], v[10:11], v[199:200]
	v_fma_f64 v[223:224], v[2:3], v[10:11], -v[12:13]
	scratch_load_b128 v[10:13], off, off offset:800
	ds_load_b128 v[2:5], v1 offset:1520
	s_waitcnt vmcnt(9) lgkmcnt(1)
	v_mul_f64 v[221:222], v[217:218], v[16:17]
	v_mul_f64 v[16:17], v[219:220], v[16:17]
	v_add_f64 v[225:226], v[164:165], v[166:167]
	v_add_f64 v[168:169], v[174:175], v[168:169]
	s_waitcnt vmcnt(8) lgkmcnt(0)
	v_mul_f64 v[174:175], v[2:3], v[20:21]
	v_mul_f64 v[20:21], v[4:5], v[20:21]
	ds_load_b128 v[164:167], v1 offset:1536
	v_fma_f64 v[219:220], v[219:220], v[14:15], v[221:222]
	v_fma_f64 v[217:218], v[217:218], v[14:15], -v[16:17]
	scratch_load_b128 v[14:17], off, off offset:816
	v_add_f64 v[221:222], v[225:226], v[223:224]
	v_add_f64 v[168:169], v[168:169], v[199:200]
	v_fma_f64 v[174:175], v[4:5], v[18:19], v[174:175]
	v_fma_f64 v[223:224], v[2:3], v[18:19], -v[20:21]
	scratch_load_b128 v[18:21], off, off offset:832
	ds_load_b128 v[2:5], v1 offset:1552
	s_waitcnt vmcnt(9) lgkmcnt(1)
	v_mul_f64 v[199:200], v[164:165], v[24:25]
	v_mul_f64 v[24:25], v[166:167], v[24:25]
	s_waitcnt vmcnt(8) lgkmcnt(0)
	v_mul_f64 v[225:226], v[2:3], v[28:29]
	v_mul_f64 v[28:29], v[4:5], v[28:29]
	v_add_f64 v[221:222], v[221:222], v[217:218]
	v_add_f64 v[168:169], v[168:169], v[219:220]
	ds_load_b128 v[217:220], v1 offset:1568
	v_fma_f64 v[166:167], v[166:167], v[22:23], v[199:200]
	v_fma_f64 v[22:23], v[164:165], v[22:23], -v[24:25]
	v_add_f64 v[24:25], v[221:222], v[223:224]
	v_add_f64 v[164:165], v[168:169], v[174:175]
	s_waitcnt vmcnt(7) lgkmcnt(0)
	v_mul_f64 v[168:169], v[217:218], v[32:33]
	v_mul_f64 v[32:33], v[219:220], v[32:33]
	v_fma_f64 v[174:175], v[4:5], v[26:27], v[225:226]
	v_fma_f64 v[26:27], v[2:3], v[26:27], -v[28:29]
	v_add_f64 v[28:29], v[24:25], v[22:23]
	v_add_f64 v[164:165], v[164:165], v[166:167]
	ds_load_b128 v[2:5], v1 offset:1584
	ds_load_b128 v[22:25], v1 offset:1600
	v_fma_f64 v[168:169], v[219:220], v[30:31], v[168:169]
	v_fma_f64 v[30:31], v[217:218], v[30:31], -v[32:33]
	s_waitcnt vmcnt(6) lgkmcnt(1)
	v_mul_f64 v[166:167], v[2:3], v[36:37]
	v_mul_f64 v[36:37], v[4:5], v[36:37]
	v_add_f64 v[26:27], v[28:29], v[26:27]
	v_add_f64 v[28:29], v[164:165], v[174:175]
	s_waitcnt vmcnt(5) lgkmcnt(0)
	v_mul_f64 v[32:33], v[22:23], v[172:173]
	v_mul_f64 v[164:165], v[24:25], v[172:173]
	v_fma_f64 v[166:167], v[4:5], v[34:35], v[166:167]
	v_fma_f64 v[34:35], v[2:3], v[34:35], -v[36:37]
	v_add_f64 v[30:31], v[26:27], v[30:31]
	v_add_f64 v[36:37], v[28:29], v[168:169]
	ds_load_b128 v[2:5], v1 offset:1616
	ds_load_b128 v[26:29], v1 offset:1632
	v_fma_f64 v[24:25], v[24:25], v[170:171], v[32:33]
	v_fma_f64 v[22:23], v[22:23], v[170:171], -v[164:165]
	s_waitcnt vmcnt(4) lgkmcnt(1)
	v_mul_f64 v[168:169], v[2:3], v[40:41]
	v_mul_f64 v[40:41], v[4:5], v[40:41]
	;; [unrolled: 16-line block ×3, first 2 shown]
	v_add_f64 v[8:9], v[30:31], v[38:39]
	v_add_f64 v[26:27], v[32:33], v[36:37]
	s_waitcnt vmcnt(1) lgkmcnt(0)
	v_mul_f64 v[30:31], v[22:23], v[16:17]
	v_mul_f64 v[16:17], v[24:25], v[16:17]
	v_fma_f64 v[32:33], v[4:5], v[10:11], v[40:41]
	v_fma_f64 v[10:11], v[2:3], v[10:11], -v[12:13]
	ds_load_b128 v[2:5], v1 offset:1680
	v_add_f64 v[6:7], v[8:9], v[6:7]
	v_add_f64 v[8:9], v[26:27], v[28:29]
	v_fma_f64 v[24:25], v[24:25], v[14:15], v[30:31]
	v_fma_f64 v[14:15], v[22:23], v[14:15], -v[16:17]
	s_waitcnt vmcnt(0) lgkmcnt(0)
	v_mul_f64 v[12:13], v[2:3], v[20:21]
	v_mul_f64 v[20:21], v[4:5], v[20:21]
	v_add_f64 v[6:7], v[6:7], v[10:11]
	v_add_f64 v[8:9], v[8:9], v[32:33]
	s_delay_alu instid0(VALU_DEP_4) | instskip(NEXT) | instid1(VALU_DEP_4)
	v_fma_f64 v[4:5], v[4:5], v[18:19], v[12:13]
	v_fma_f64 v[2:3], v[2:3], v[18:19], -v[20:21]
	s_delay_alu instid0(VALU_DEP_4) | instskip(NEXT) | instid1(VALU_DEP_4)
	v_add_f64 v[6:7], v[6:7], v[14:15]
	v_add_f64 v[8:9], v[8:9], v[24:25]
	s_delay_alu instid0(VALU_DEP_2) | instskip(NEXT) | instid1(VALU_DEP_2)
	v_add_f64 v[2:3], v[6:7], v[2:3]
	v_add_f64 v[4:5], v[8:9], v[4:5]
	s_delay_alu instid0(VALU_DEP_2) | instskip(NEXT) | instid1(VALU_DEP_2)
	v_add_f64 v[2:3], v[42:43], -v[2:3]
	v_add_f64 v[4:5], v[44:45], -v[4:5]
	scratch_store_b128 off, v[2:5], off offset:112
	v_cmpx_lt_u32_e32 6, v152
	s_cbranch_execz .LBB52_319
; %bb.318:
	scratch_load_b128 v[5:8], v255, off
	v_mov_b32_e32 v2, v1
	v_mov_b32_e32 v3, v1
	;; [unrolled: 1-line block ×3, first 2 shown]
	scratch_store_b128 off, v[1:4], off offset:96
	s_waitcnt vmcnt(0)
	ds_store_b128 v205, v[5:8]
.LBB52_319:
	s_or_b32 exec_lo, exec_lo, s2
	s_waitcnt lgkmcnt(0)
	s_waitcnt_vscnt null, 0x0
	s_barrier
	buffer_gl0_inv
	s_clause 0x8
	scratch_load_b128 v[2:5], off, off offset:112
	scratch_load_b128 v[6:9], off, off offset:128
	;; [unrolled: 1-line block ×9, first 2 shown]
	ds_load_b128 v[42:45], v1 offset:960
	ds_load_b128 v[38:41], v1 offset:976
	s_clause 0x1
	scratch_load_b128 v[164:167], off, off offset:96
	scratch_load_b128 v[168:171], off, off offset:256
	s_mov_b32 s2, exec_lo
	s_waitcnt vmcnt(10) lgkmcnt(1)
	v_mul_f64 v[172:173], v[44:45], v[4:5]
	v_mul_f64 v[4:5], v[42:43], v[4:5]
	s_waitcnt vmcnt(9) lgkmcnt(0)
	v_mul_f64 v[199:200], v[38:39], v[8:9]
	v_mul_f64 v[8:9], v[40:41], v[8:9]
	s_delay_alu instid0(VALU_DEP_4) | instskip(NEXT) | instid1(VALU_DEP_4)
	v_fma_f64 v[217:218], v[42:43], v[2:3], -v[172:173]
	v_fma_f64 v[219:220], v[44:45], v[2:3], v[4:5]
	ds_load_b128 v[2:5], v1 offset:992
	ds_load_b128 v[172:175], v1 offset:1008
	scratch_load_b128 v[42:45], off, off offset:272
	v_fma_f64 v[40:41], v[40:41], v[6:7], v[199:200]
	v_fma_f64 v[38:39], v[38:39], v[6:7], -v[8:9]
	scratch_load_b128 v[6:9], off, off offset:288
	s_waitcnt vmcnt(10) lgkmcnt(1)
	v_mul_f64 v[221:222], v[2:3], v[12:13]
	v_mul_f64 v[12:13], v[4:5], v[12:13]
	v_add_f64 v[199:200], v[217:218], 0
	v_add_f64 v[217:218], v[219:220], 0
	s_waitcnt vmcnt(9) lgkmcnt(0)
	v_mul_f64 v[219:220], v[172:173], v[16:17]
	v_mul_f64 v[16:17], v[174:175], v[16:17]
	v_fma_f64 v[221:222], v[4:5], v[10:11], v[221:222]
	v_fma_f64 v[223:224], v[2:3], v[10:11], -v[12:13]
	ds_load_b128 v[2:5], v1 offset:1024
	scratch_load_b128 v[10:13], off, off offset:304
	v_add_f64 v[199:200], v[199:200], v[38:39]
	v_add_f64 v[217:218], v[217:218], v[40:41]
	ds_load_b128 v[38:41], v1 offset:1040
	v_fma_f64 v[174:175], v[174:175], v[14:15], v[219:220]
	v_fma_f64 v[172:173], v[172:173], v[14:15], -v[16:17]
	scratch_load_b128 v[14:17], off, off offset:320
	s_waitcnt vmcnt(10) lgkmcnt(1)
	v_mul_f64 v[225:226], v[2:3], v[20:21]
	v_mul_f64 v[20:21], v[4:5], v[20:21]
	s_waitcnt vmcnt(9) lgkmcnt(0)
	v_mul_f64 v[219:220], v[38:39], v[24:25]
	v_mul_f64 v[24:25], v[40:41], v[24:25]
	v_add_f64 v[199:200], v[199:200], v[223:224]
	v_add_f64 v[217:218], v[217:218], v[221:222]
	v_fma_f64 v[221:222], v[4:5], v[18:19], v[225:226]
	v_fma_f64 v[223:224], v[2:3], v[18:19], -v[20:21]
	ds_load_b128 v[2:5], v1 offset:1056
	scratch_load_b128 v[18:21], off, off offset:336
	v_fma_f64 v[40:41], v[40:41], v[22:23], v[219:220]
	v_fma_f64 v[38:39], v[38:39], v[22:23], -v[24:25]
	scratch_load_b128 v[22:25], off, off offset:352
	v_add_f64 v[199:200], v[199:200], v[172:173]
	v_add_f64 v[217:218], v[217:218], v[174:175]
	ds_load_b128 v[172:175], v1 offset:1072
	s_waitcnt vmcnt(10) lgkmcnt(1)
	v_mul_f64 v[225:226], v[2:3], v[28:29]
	v_mul_f64 v[28:29], v[4:5], v[28:29]
	s_waitcnt vmcnt(9) lgkmcnt(0)
	v_mul_f64 v[219:220], v[172:173], v[32:33]
	v_mul_f64 v[32:33], v[174:175], v[32:33]
	v_add_f64 v[199:200], v[199:200], v[223:224]
	v_add_f64 v[217:218], v[217:218], v[221:222]
	v_fma_f64 v[221:222], v[4:5], v[26:27], v[225:226]
	v_fma_f64 v[223:224], v[2:3], v[26:27], -v[28:29]
	ds_load_b128 v[2:5], v1 offset:1088
	scratch_load_b128 v[26:29], off, off offset:368
	v_fma_f64 v[174:175], v[174:175], v[30:31], v[219:220]
	v_fma_f64 v[172:173], v[172:173], v[30:31], -v[32:33]
	scratch_load_b128 v[30:33], off, off offset:384
	v_add_f64 v[199:200], v[199:200], v[38:39]
	v_add_f64 v[217:218], v[217:218], v[40:41]
	ds_load_b128 v[38:41], v1 offset:1104
	s_waitcnt vmcnt(10) lgkmcnt(1)
	v_mul_f64 v[225:226], v[2:3], v[36:37]
	v_mul_f64 v[36:37], v[4:5], v[36:37]
	s_waitcnt vmcnt(8) lgkmcnt(0)
	v_mul_f64 v[219:220], v[38:39], v[170:171]
	v_add_f64 v[199:200], v[199:200], v[223:224]
	v_add_f64 v[217:218], v[217:218], v[221:222]
	v_mul_f64 v[221:222], v[40:41], v[170:171]
	v_fma_f64 v[223:224], v[4:5], v[34:35], v[225:226]
	v_fma_f64 v[225:226], v[2:3], v[34:35], -v[36:37]
	ds_load_b128 v[2:5], v1 offset:1120
	scratch_load_b128 v[34:37], off, off offset:400
	v_fma_f64 v[219:220], v[40:41], v[168:169], v[219:220]
	v_add_f64 v[199:200], v[199:200], v[172:173]
	v_add_f64 v[174:175], v[217:218], v[174:175]
	ds_load_b128 v[170:173], v1 offset:1136
	v_fma_f64 v[168:169], v[38:39], v[168:169], -v[221:222]
	scratch_load_b128 v[38:41], off, off offset:416
	s_waitcnt vmcnt(9) lgkmcnt(1)
	v_mul_f64 v[217:218], v[2:3], v[44:45]
	v_mul_f64 v[44:45], v[4:5], v[44:45]
	s_waitcnt vmcnt(8) lgkmcnt(0)
	v_mul_f64 v[221:222], v[170:171], v[8:9]
	v_mul_f64 v[8:9], v[172:173], v[8:9]
	v_add_f64 v[199:200], v[199:200], v[225:226]
	v_add_f64 v[174:175], v[174:175], v[223:224]
	v_fma_f64 v[223:224], v[4:5], v[42:43], v[217:218]
	v_fma_f64 v[225:226], v[2:3], v[42:43], -v[44:45]
	ds_load_b128 v[2:5], v1 offset:1152
	scratch_load_b128 v[42:45], off, off offset:432
	v_fma_f64 v[172:173], v[172:173], v[6:7], v[221:222]
	v_fma_f64 v[170:171], v[170:171], v[6:7], -v[8:9]
	scratch_load_b128 v[6:9], off, off offset:448
	v_add_f64 v[168:169], v[199:200], v[168:169]
	v_add_f64 v[174:175], v[174:175], v[219:220]
	ds_load_b128 v[217:220], v1 offset:1168
	s_waitcnt vmcnt(9) lgkmcnt(1)
	v_mul_f64 v[199:200], v[2:3], v[12:13]
	v_mul_f64 v[12:13], v[4:5], v[12:13]
	s_waitcnt vmcnt(8) lgkmcnt(0)
	v_mul_f64 v[221:222], v[217:218], v[16:17]
	v_mul_f64 v[16:17], v[219:220], v[16:17]
	v_add_f64 v[168:169], v[168:169], v[225:226]
	v_add_f64 v[174:175], v[174:175], v[223:224]
	v_fma_f64 v[199:200], v[4:5], v[10:11], v[199:200]
	v_fma_f64 v[223:224], v[2:3], v[10:11], -v[12:13]
	ds_load_b128 v[2:5], v1 offset:1184
	scratch_load_b128 v[10:13], off, off offset:464
	v_fma_f64 v[219:220], v[219:220], v[14:15], v[221:222]
	v_fma_f64 v[217:218], v[217:218], v[14:15], -v[16:17]
	scratch_load_b128 v[14:17], off, off offset:480
	v_add_f64 v[225:226], v[168:169], v[170:171]
	v_add_f64 v[172:173], v[174:175], v[172:173]
	ds_load_b128 v[168:171], v1 offset:1200
	s_waitcnt vmcnt(9) lgkmcnt(1)
	v_mul_f64 v[174:175], v[2:3], v[20:21]
	v_mul_f64 v[20:21], v[4:5], v[20:21]
	v_add_f64 v[221:222], v[225:226], v[223:224]
	v_add_f64 v[172:173], v[172:173], v[199:200]
	s_waitcnt vmcnt(8) lgkmcnt(0)
	v_mul_f64 v[199:200], v[168:169], v[24:25]
	v_mul_f64 v[24:25], v[170:171], v[24:25]
	v_fma_f64 v[223:224], v[4:5], v[18:19], v[174:175]
	v_fma_f64 v[225:226], v[2:3], v[18:19], -v[20:21]
	ds_load_b128 v[2:5], v1 offset:1216
	scratch_load_b128 v[18:21], off, off offset:496
	v_add_f64 v[217:218], v[221:222], v[217:218]
	v_add_f64 v[219:220], v[172:173], v[219:220]
	ds_load_b128 v[172:175], v1 offset:1232
	s_waitcnt vmcnt(8) lgkmcnt(1)
	v_mul_f64 v[221:222], v[2:3], v[28:29]
	v_mul_f64 v[28:29], v[4:5], v[28:29]
	v_fma_f64 v[170:171], v[170:171], v[22:23], v[199:200]
	v_fma_f64 v[168:169], v[168:169], v[22:23], -v[24:25]
	scratch_load_b128 v[22:25], off, off offset:512
	v_add_f64 v[199:200], v[217:218], v[225:226]
	v_add_f64 v[217:218], v[219:220], v[223:224]
	s_waitcnt vmcnt(8) lgkmcnt(0)
	v_mul_f64 v[219:220], v[172:173], v[32:33]
	v_mul_f64 v[32:33], v[174:175], v[32:33]
	v_fma_f64 v[221:222], v[4:5], v[26:27], v[221:222]
	v_fma_f64 v[223:224], v[2:3], v[26:27], -v[28:29]
	ds_load_b128 v[2:5], v1 offset:1248
	scratch_load_b128 v[26:29], off, off offset:528
	v_add_f64 v[199:200], v[199:200], v[168:169]
	v_add_f64 v[217:218], v[217:218], v[170:171]
	ds_load_b128 v[168:171], v1 offset:1264
	s_waitcnt vmcnt(8) lgkmcnt(1)
	v_mul_f64 v[225:226], v[2:3], v[36:37]
	v_mul_f64 v[36:37], v[4:5], v[36:37]
	v_fma_f64 v[174:175], v[174:175], v[30:31], v[219:220]
	v_fma_f64 v[172:173], v[172:173], v[30:31], -v[32:33]
	scratch_load_b128 v[30:33], off, off offset:544
	s_waitcnt vmcnt(8) lgkmcnt(0)
	v_mul_f64 v[219:220], v[168:169], v[40:41]
	v_mul_f64 v[40:41], v[170:171], v[40:41]
	v_add_f64 v[199:200], v[199:200], v[223:224]
	v_add_f64 v[217:218], v[217:218], v[221:222]
	v_fma_f64 v[221:222], v[4:5], v[34:35], v[225:226]
	v_fma_f64 v[223:224], v[2:3], v[34:35], -v[36:37]
	ds_load_b128 v[2:5], v1 offset:1280
	scratch_load_b128 v[34:37], off, off offset:560
	v_fma_f64 v[170:171], v[170:171], v[38:39], v[219:220]
	v_fma_f64 v[168:169], v[168:169], v[38:39], -v[40:41]
	scratch_load_b128 v[38:41], off, off offset:576
	v_add_f64 v[199:200], v[199:200], v[172:173]
	v_add_f64 v[217:218], v[217:218], v[174:175]
	ds_load_b128 v[172:175], v1 offset:1296
	s_waitcnt vmcnt(9) lgkmcnt(1)
	v_mul_f64 v[225:226], v[2:3], v[44:45]
	v_mul_f64 v[44:45], v[4:5], v[44:45]
	s_waitcnt vmcnt(8) lgkmcnt(0)
	v_mul_f64 v[219:220], v[172:173], v[8:9]
	v_mul_f64 v[8:9], v[174:175], v[8:9]
	v_add_f64 v[199:200], v[199:200], v[223:224]
	v_add_f64 v[217:218], v[217:218], v[221:222]
	v_fma_f64 v[221:222], v[4:5], v[42:43], v[225:226]
	v_fma_f64 v[223:224], v[2:3], v[42:43], -v[44:45]
	ds_load_b128 v[2:5], v1 offset:1312
	scratch_load_b128 v[42:45], off, off offset:592
	v_fma_f64 v[174:175], v[174:175], v[6:7], v[219:220]
	v_fma_f64 v[172:173], v[172:173], v[6:7], -v[8:9]
	scratch_load_b128 v[6:9], off, off offset:608
	v_add_f64 v[199:200], v[199:200], v[168:169]
	v_add_f64 v[217:218], v[217:218], v[170:171]
	ds_load_b128 v[168:171], v1 offset:1328
	s_waitcnt vmcnt(9) lgkmcnt(1)
	v_mul_f64 v[225:226], v[2:3], v[12:13]
	v_mul_f64 v[12:13], v[4:5], v[12:13]
	;; [unrolled: 18-line block ×9, first 2 shown]
	s_waitcnt vmcnt(8) lgkmcnt(0)
	v_mul_f64 v[219:220], v[172:173], v[32:33]
	v_mul_f64 v[32:33], v[174:175], v[32:33]
	v_add_f64 v[199:200], v[199:200], v[223:224]
	v_add_f64 v[217:218], v[217:218], v[221:222]
	v_fma_f64 v[221:222], v[4:5], v[26:27], v[225:226]
	v_fma_f64 v[223:224], v[2:3], v[26:27], -v[28:29]
	ds_load_b128 v[2:5], v1 offset:1568
	ds_load_b128 v[26:29], v1 offset:1584
	v_fma_f64 v[174:175], v[174:175], v[30:31], v[219:220]
	v_fma_f64 v[30:31], v[172:173], v[30:31], -v[32:33]
	v_add_f64 v[168:169], v[199:200], v[168:169]
	v_add_f64 v[170:171], v[217:218], v[170:171]
	s_waitcnt vmcnt(7) lgkmcnt(1)
	v_mul_f64 v[199:200], v[2:3], v[36:37]
	v_mul_f64 v[36:37], v[4:5], v[36:37]
	s_delay_alu instid0(VALU_DEP_4) | instskip(NEXT) | instid1(VALU_DEP_4)
	v_add_f64 v[32:33], v[168:169], v[223:224]
	v_add_f64 v[168:169], v[170:171], v[221:222]
	s_waitcnt vmcnt(6) lgkmcnt(0)
	v_mul_f64 v[170:171], v[26:27], v[40:41]
	v_mul_f64 v[40:41], v[28:29], v[40:41]
	v_fma_f64 v[172:173], v[4:5], v[34:35], v[199:200]
	v_fma_f64 v[34:35], v[2:3], v[34:35], -v[36:37]
	v_add_f64 v[36:37], v[32:33], v[30:31]
	v_add_f64 v[168:169], v[168:169], v[174:175]
	ds_load_b128 v[2:5], v1 offset:1600
	ds_load_b128 v[30:33], v1 offset:1616
	v_fma_f64 v[28:29], v[28:29], v[38:39], v[170:171]
	v_fma_f64 v[26:27], v[26:27], v[38:39], -v[40:41]
	s_waitcnt vmcnt(5) lgkmcnt(1)
	v_mul_f64 v[174:175], v[2:3], v[44:45]
	v_mul_f64 v[44:45], v[4:5], v[44:45]
	s_waitcnt vmcnt(4) lgkmcnt(0)
	v_mul_f64 v[38:39], v[30:31], v[8:9]
	v_mul_f64 v[8:9], v[32:33], v[8:9]
	v_add_f64 v[34:35], v[36:37], v[34:35]
	v_add_f64 v[36:37], v[168:169], v[172:173]
	v_fma_f64 v[40:41], v[4:5], v[42:43], v[174:175]
	v_fma_f64 v[42:43], v[2:3], v[42:43], -v[44:45]
	v_fma_f64 v[32:33], v[32:33], v[6:7], v[38:39]
	v_fma_f64 v[6:7], v[30:31], v[6:7], -v[8:9]
	v_add_f64 v[34:35], v[34:35], v[26:27]
	v_add_f64 v[36:37], v[36:37], v[28:29]
	ds_load_b128 v[2:5], v1 offset:1632
	ds_load_b128 v[26:29], v1 offset:1648
	s_waitcnt vmcnt(3) lgkmcnt(1)
	v_mul_f64 v[44:45], v[2:3], v[12:13]
	v_mul_f64 v[12:13], v[4:5], v[12:13]
	v_add_f64 v[8:9], v[34:35], v[42:43]
	v_add_f64 v[30:31], v[36:37], v[40:41]
	s_waitcnt vmcnt(2) lgkmcnt(0)
	v_mul_f64 v[34:35], v[26:27], v[16:17]
	v_mul_f64 v[16:17], v[28:29], v[16:17]
	v_fma_f64 v[36:37], v[4:5], v[10:11], v[44:45]
	v_fma_f64 v[10:11], v[2:3], v[10:11], -v[12:13]
	v_add_f64 v[12:13], v[8:9], v[6:7]
	v_add_f64 v[30:31], v[30:31], v[32:33]
	ds_load_b128 v[2:5], v1 offset:1664
	ds_load_b128 v[6:9], v1 offset:1680
	v_fma_f64 v[28:29], v[28:29], v[14:15], v[34:35]
	v_fma_f64 v[14:15], v[26:27], v[14:15], -v[16:17]
	s_waitcnt vmcnt(1) lgkmcnt(1)
	v_mul_f64 v[32:33], v[2:3], v[20:21]
	v_mul_f64 v[20:21], v[4:5], v[20:21]
	s_waitcnt vmcnt(0) lgkmcnt(0)
	v_mul_f64 v[16:17], v[6:7], v[24:25]
	v_mul_f64 v[24:25], v[8:9], v[24:25]
	v_add_f64 v[10:11], v[12:13], v[10:11]
	v_add_f64 v[12:13], v[30:31], v[36:37]
	v_fma_f64 v[4:5], v[4:5], v[18:19], v[32:33]
	v_fma_f64 v[1:2], v[2:3], v[18:19], -v[20:21]
	v_fma_f64 v[8:9], v[8:9], v[22:23], v[16:17]
	v_fma_f64 v[6:7], v[6:7], v[22:23], -v[24:25]
	v_add_f64 v[10:11], v[10:11], v[14:15]
	v_add_f64 v[12:13], v[12:13], v[28:29]
	s_delay_alu instid0(VALU_DEP_2) | instskip(NEXT) | instid1(VALU_DEP_2)
	v_add_f64 v[1:2], v[10:11], v[1:2]
	v_add_f64 v[3:4], v[12:13], v[4:5]
	s_delay_alu instid0(VALU_DEP_2) | instskip(NEXT) | instid1(VALU_DEP_2)
	;; [unrolled: 3-line block ×3, first 2 shown]
	v_add_f64 v[1:2], v[164:165], -v[1:2]
	v_add_f64 v[3:4], v[166:167], -v[3:4]
	scratch_store_b128 off, v[1:4], off offset:96
	v_cmpx_lt_u32_e32 5, v152
	s_cbranch_execz .LBB52_321
; %bb.320:
	scratch_load_b128 v[1:4], v155, off
	v_mov_b32_e32 v5, 0
	s_delay_alu instid0(VALU_DEP_1)
	v_mov_b32_e32 v6, v5
	v_mov_b32_e32 v7, v5
	;; [unrolled: 1-line block ×3, first 2 shown]
	scratch_store_b128 off, v[5:8], off offset:80
	s_waitcnt vmcnt(0)
	ds_store_b128 v205, v[1:4]
.LBB52_321:
	s_or_b32 exec_lo, exec_lo, s2
	s_waitcnt lgkmcnt(0)
	s_waitcnt_vscnt null, 0x0
	s_barrier
	buffer_gl0_inv
	s_clause 0x7
	scratch_load_b128 v[2:5], off, off offset:96
	scratch_load_b128 v[6:9], off, off offset:112
	scratch_load_b128 v[10:13], off, off offset:128
	scratch_load_b128 v[14:17], off, off offset:144
	scratch_load_b128 v[18:21], off, off offset:160
	scratch_load_b128 v[22:25], off, off offset:176
	scratch_load_b128 v[26:29], off, off offset:192
	scratch_load_b128 v[30:33], off, off offset:208
	v_mov_b32_e32 v1, 0
	s_mov_b32 s2, exec_lo
	ds_load_b128 v[38:41], v1 offset:944
	s_clause 0x1
	scratch_load_b128 v[34:37], off, off offset:224
	scratch_load_b128 v[42:45], off, off offset:80
	ds_load_b128 v[164:167], v1 offset:960
	scratch_load_b128 v[168:171], off, off offset:240
	s_waitcnt vmcnt(10) lgkmcnt(1)
	v_mul_f64 v[172:173], v[40:41], v[4:5]
	v_mul_f64 v[4:5], v[38:39], v[4:5]
	s_delay_alu instid0(VALU_DEP_2) | instskip(NEXT) | instid1(VALU_DEP_2)
	v_fma_f64 v[217:218], v[38:39], v[2:3], -v[172:173]
	v_fma_f64 v[219:220], v[40:41], v[2:3], v[4:5]
	scratch_load_b128 v[38:41], off, off offset:256
	ds_load_b128 v[2:5], v1 offset:976
	s_waitcnt vmcnt(10) lgkmcnt(1)
	v_mul_f64 v[199:200], v[164:165], v[8:9]
	v_mul_f64 v[8:9], v[166:167], v[8:9]
	ds_load_b128 v[172:175], v1 offset:992
	s_waitcnt vmcnt(9) lgkmcnt(1)
	v_mul_f64 v[221:222], v[2:3], v[12:13]
	v_mul_f64 v[12:13], v[4:5], v[12:13]
	v_fma_f64 v[166:167], v[166:167], v[6:7], v[199:200]
	v_fma_f64 v[164:165], v[164:165], v[6:7], -v[8:9]
	v_add_f64 v[199:200], v[217:218], 0
	v_add_f64 v[217:218], v[219:220], 0
	scratch_load_b128 v[6:9], off, off offset:272
	v_fma_f64 v[221:222], v[4:5], v[10:11], v[221:222]
	v_fma_f64 v[223:224], v[2:3], v[10:11], -v[12:13]
	scratch_load_b128 v[10:13], off, off offset:288
	ds_load_b128 v[2:5], v1 offset:1008
	s_waitcnt vmcnt(10) lgkmcnt(1)
	v_mul_f64 v[219:220], v[172:173], v[16:17]
	v_mul_f64 v[16:17], v[174:175], v[16:17]
	v_add_f64 v[199:200], v[199:200], v[164:165]
	v_add_f64 v[217:218], v[217:218], v[166:167]
	s_waitcnt vmcnt(9) lgkmcnt(0)
	v_mul_f64 v[225:226], v[2:3], v[20:21]
	v_mul_f64 v[20:21], v[4:5], v[20:21]
	ds_load_b128 v[164:167], v1 offset:1024
	v_fma_f64 v[174:175], v[174:175], v[14:15], v[219:220]
	v_fma_f64 v[172:173], v[172:173], v[14:15], -v[16:17]
	scratch_load_b128 v[14:17], off, off offset:304
	v_add_f64 v[199:200], v[199:200], v[223:224]
	v_add_f64 v[217:218], v[217:218], v[221:222]
	v_fma_f64 v[221:222], v[4:5], v[18:19], v[225:226]
	v_fma_f64 v[223:224], v[2:3], v[18:19], -v[20:21]
	scratch_load_b128 v[18:21], off, off offset:320
	ds_load_b128 v[2:5], v1 offset:1040
	s_waitcnt vmcnt(10) lgkmcnt(1)
	v_mul_f64 v[219:220], v[164:165], v[24:25]
	v_mul_f64 v[24:25], v[166:167], v[24:25]
	s_waitcnt vmcnt(9) lgkmcnt(0)
	v_mul_f64 v[225:226], v[2:3], v[28:29]
	v_mul_f64 v[28:29], v[4:5], v[28:29]
	v_add_f64 v[199:200], v[199:200], v[172:173]
	v_add_f64 v[217:218], v[217:218], v[174:175]
	ds_load_b128 v[172:175], v1 offset:1056
	v_fma_f64 v[166:167], v[166:167], v[22:23], v[219:220]
	v_fma_f64 v[164:165], v[164:165], v[22:23], -v[24:25]
	scratch_load_b128 v[22:25], off, off offset:336
	v_add_f64 v[199:200], v[199:200], v[223:224]
	v_add_f64 v[217:218], v[217:218], v[221:222]
	v_fma_f64 v[221:222], v[4:5], v[26:27], v[225:226]
	v_fma_f64 v[223:224], v[2:3], v[26:27], -v[28:29]
	scratch_load_b128 v[26:29], off, off offset:352
	ds_load_b128 v[2:5], v1 offset:1072
	s_waitcnt vmcnt(10) lgkmcnt(1)
	v_mul_f64 v[219:220], v[172:173], v[32:33]
	v_mul_f64 v[32:33], v[174:175], v[32:33]
	s_waitcnt vmcnt(9) lgkmcnt(0)
	v_mul_f64 v[225:226], v[2:3], v[36:37]
	v_mul_f64 v[36:37], v[4:5], v[36:37]
	v_add_f64 v[199:200], v[199:200], v[164:165]
	v_add_f64 v[217:218], v[217:218], v[166:167]
	ds_load_b128 v[164:167], v1 offset:1088
	v_fma_f64 v[174:175], v[174:175], v[30:31], v[219:220]
	v_fma_f64 v[172:173], v[172:173], v[30:31], -v[32:33]
	scratch_load_b128 v[30:33], off, off offset:368
	v_add_f64 v[199:200], v[199:200], v[223:224]
	v_add_f64 v[217:218], v[217:218], v[221:222]
	v_fma_f64 v[223:224], v[4:5], v[34:35], v[225:226]
	v_fma_f64 v[225:226], v[2:3], v[34:35], -v[36:37]
	scratch_load_b128 v[34:37], off, off offset:384
	ds_load_b128 v[2:5], v1 offset:1104
	s_waitcnt vmcnt(9) lgkmcnt(1)
	v_mul_f64 v[219:220], v[164:165], v[170:171]
	v_mul_f64 v[221:222], v[166:167], v[170:171]
	v_add_f64 v[199:200], v[199:200], v[172:173]
	v_add_f64 v[174:175], v[217:218], v[174:175]
	ds_load_b128 v[170:173], v1 offset:1120
	v_fma_f64 v[219:220], v[166:167], v[168:169], v[219:220]
	v_fma_f64 v[168:169], v[164:165], v[168:169], -v[221:222]
	scratch_load_b128 v[164:167], off, off offset:400
	s_waitcnt vmcnt(9) lgkmcnt(1)
	v_mul_f64 v[217:218], v[2:3], v[40:41]
	v_mul_f64 v[40:41], v[4:5], v[40:41]
	v_add_f64 v[199:200], v[199:200], v[225:226]
	v_add_f64 v[174:175], v[174:175], v[223:224]
	s_delay_alu instid0(VALU_DEP_4) | instskip(NEXT) | instid1(VALU_DEP_4)
	v_fma_f64 v[223:224], v[4:5], v[38:39], v[217:218]
	v_fma_f64 v[225:226], v[2:3], v[38:39], -v[40:41]
	scratch_load_b128 v[38:41], off, off offset:416
	ds_load_b128 v[2:5], v1 offset:1136
	s_waitcnt vmcnt(9) lgkmcnt(1)
	v_mul_f64 v[221:222], v[170:171], v[8:9]
	v_mul_f64 v[8:9], v[172:173], v[8:9]
	v_add_f64 v[168:169], v[199:200], v[168:169]
	v_add_f64 v[174:175], v[174:175], v[219:220]
	s_waitcnt vmcnt(8) lgkmcnt(0)
	v_mul_f64 v[199:200], v[2:3], v[12:13]
	v_mul_f64 v[12:13], v[4:5], v[12:13]
	ds_load_b128 v[217:220], v1 offset:1152
	v_fma_f64 v[172:173], v[172:173], v[6:7], v[221:222]
	v_fma_f64 v[170:171], v[170:171], v[6:7], -v[8:9]
	scratch_load_b128 v[6:9], off, off offset:432
	v_add_f64 v[168:169], v[168:169], v[225:226]
	v_add_f64 v[174:175], v[174:175], v[223:224]
	v_fma_f64 v[199:200], v[4:5], v[10:11], v[199:200]
	v_fma_f64 v[223:224], v[2:3], v[10:11], -v[12:13]
	scratch_load_b128 v[10:13], off, off offset:448
	ds_load_b128 v[2:5], v1 offset:1168
	s_waitcnt vmcnt(9) lgkmcnt(1)
	v_mul_f64 v[221:222], v[217:218], v[16:17]
	v_mul_f64 v[16:17], v[219:220], v[16:17]
	v_add_f64 v[225:226], v[168:169], v[170:171]
	v_add_f64 v[172:173], v[174:175], v[172:173]
	s_waitcnt vmcnt(8) lgkmcnt(0)
	v_mul_f64 v[174:175], v[2:3], v[20:21]
	v_mul_f64 v[20:21], v[4:5], v[20:21]
	ds_load_b128 v[168:171], v1 offset:1184
	v_fma_f64 v[219:220], v[219:220], v[14:15], v[221:222]
	v_fma_f64 v[217:218], v[217:218], v[14:15], -v[16:17]
	scratch_load_b128 v[14:17], off, off offset:464
	v_add_f64 v[221:222], v[225:226], v[223:224]
	v_add_f64 v[172:173], v[172:173], v[199:200]
	;; [unrolled: 18-line block ×3, first 2 shown]
	v_fma_f64 v[221:222], v[4:5], v[26:27], v[221:222]
	v_fma_f64 v[223:224], v[2:3], v[26:27], -v[28:29]
	scratch_load_b128 v[26:29], off, off offset:512
	ds_load_b128 v[2:5], v1 offset:1232
	s_waitcnt vmcnt(9) lgkmcnt(1)
	v_mul_f64 v[219:220], v[172:173], v[32:33]
	v_mul_f64 v[32:33], v[174:175], v[32:33]
	s_waitcnt vmcnt(8) lgkmcnt(0)
	v_mul_f64 v[225:226], v[2:3], v[36:37]
	v_mul_f64 v[36:37], v[4:5], v[36:37]
	v_add_f64 v[199:200], v[199:200], v[168:169]
	v_add_f64 v[217:218], v[217:218], v[170:171]
	ds_load_b128 v[168:171], v1 offset:1248
	v_fma_f64 v[174:175], v[174:175], v[30:31], v[219:220]
	v_fma_f64 v[172:173], v[172:173], v[30:31], -v[32:33]
	scratch_load_b128 v[30:33], off, off offset:528
	v_add_f64 v[199:200], v[199:200], v[223:224]
	v_add_f64 v[217:218], v[217:218], v[221:222]
	v_fma_f64 v[221:222], v[4:5], v[34:35], v[225:226]
	v_fma_f64 v[223:224], v[2:3], v[34:35], -v[36:37]
	scratch_load_b128 v[34:37], off, off offset:544
	ds_load_b128 v[2:5], v1 offset:1264
	s_waitcnt vmcnt(9) lgkmcnt(1)
	v_mul_f64 v[219:220], v[168:169], v[166:167]
	v_mul_f64 v[166:167], v[170:171], v[166:167]
	s_waitcnt vmcnt(8) lgkmcnt(0)
	v_mul_f64 v[225:226], v[2:3], v[40:41]
	v_mul_f64 v[40:41], v[4:5], v[40:41]
	v_add_f64 v[199:200], v[199:200], v[172:173]
	v_add_f64 v[217:218], v[217:218], v[174:175]
	ds_load_b128 v[172:175], v1 offset:1280
	v_fma_f64 v[170:171], v[170:171], v[164:165], v[219:220]
	v_fma_f64 v[168:169], v[168:169], v[164:165], -v[166:167]
	scratch_load_b128 v[164:167], off, off offset:560
	v_add_f64 v[199:200], v[199:200], v[223:224]
	v_add_f64 v[217:218], v[217:218], v[221:222]
	;; [unrolled: 18-line block ×6, first 2 shown]
	v_fma_f64 v[223:224], v[4:5], v[34:35], v[225:226]
	v_fma_f64 v[225:226], v[2:3], v[34:35], -v[36:37]
	scratch_load_b128 v[34:37], off, off offset:704
	ds_load_b128 v[2:5], v1 offset:1424
	s_waitcnt vmcnt(9) lgkmcnt(1)
	v_mul_f64 v[219:220], v[172:173], v[166:167]
	v_mul_f64 v[221:222], v[174:175], v[166:167]
	v_add_f64 v[199:200], v[199:200], v[168:169]
	v_add_f64 v[170:171], v[217:218], v[170:171]
	s_waitcnt vmcnt(8) lgkmcnt(0)
	v_mul_f64 v[217:218], v[2:3], v[40:41]
	v_mul_f64 v[40:41], v[4:5], v[40:41]
	ds_load_b128 v[166:169], v1 offset:1440
	v_fma_f64 v[174:175], v[174:175], v[164:165], v[219:220]
	v_fma_f64 v[164:165], v[172:173], v[164:165], -v[221:222]
	v_add_f64 v[199:200], v[199:200], v[225:226]
	v_add_f64 v[219:220], v[170:171], v[223:224]
	scratch_load_b128 v[170:173], off, off offset:720
	v_fma_f64 v[223:224], v[4:5], v[38:39], v[217:218]
	v_fma_f64 v[225:226], v[2:3], v[38:39], -v[40:41]
	scratch_load_b128 v[38:41], off, off offset:736
	ds_load_b128 v[2:5], v1 offset:1456
	s_waitcnt vmcnt(9) lgkmcnt(1)
	v_mul_f64 v[221:222], v[166:167], v[8:9]
	v_mul_f64 v[8:9], v[168:169], v[8:9]
	v_add_f64 v[164:165], v[199:200], v[164:165]
	v_add_f64 v[174:175], v[219:220], v[174:175]
	s_waitcnt vmcnt(8) lgkmcnt(0)
	v_mul_f64 v[199:200], v[2:3], v[12:13]
	v_mul_f64 v[12:13], v[4:5], v[12:13]
	ds_load_b128 v[217:220], v1 offset:1472
	v_fma_f64 v[168:169], v[168:169], v[6:7], v[221:222]
	v_fma_f64 v[166:167], v[166:167], v[6:7], -v[8:9]
	scratch_load_b128 v[6:9], off, off offset:752
	v_add_f64 v[164:165], v[164:165], v[225:226]
	v_add_f64 v[174:175], v[174:175], v[223:224]
	v_fma_f64 v[199:200], v[4:5], v[10:11], v[199:200]
	v_fma_f64 v[223:224], v[2:3], v[10:11], -v[12:13]
	scratch_load_b128 v[10:13], off, off offset:768
	ds_load_b128 v[2:5], v1 offset:1488
	s_waitcnt vmcnt(9) lgkmcnt(1)
	v_mul_f64 v[221:222], v[217:218], v[16:17]
	v_mul_f64 v[16:17], v[219:220], v[16:17]
	v_add_f64 v[225:226], v[164:165], v[166:167]
	v_add_f64 v[168:169], v[174:175], v[168:169]
	s_waitcnt vmcnt(8) lgkmcnt(0)
	v_mul_f64 v[174:175], v[2:3], v[20:21]
	v_mul_f64 v[20:21], v[4:5], v[20:21]
	ds_load_b128 v[164:167], v1 offset:1504
	v_fma_f64 v[219:220], v[219:220], v[14:15], v[221:222]
	v_fma_f64 v[217:218], v[217:218], v[14:15], -v[16:17]
	scratch_load_b128 v[14:17], off, off offset:784
	v_add_f64 v[221:222], v[225:226], v[223:224]
	v_add_f64 v[168:169], v[168:169], v[199:200]
	v_fma_f64 v[174:175], v[4:5], v[18:19], v[174:175]
	v_fma_f64 v[223:224], v[2:3], v[18:19], -v[20:21]
	scratch_load_b128 v[18:21], off, off offset:800
	ds_load_b128 v[2:5], v1 offset:1520
	s_waitcnt vmcnt(9) lgkmcnt(1)
	v_mul_f64 v[199:200], v[164:165], v[24:25]
	v_mul_f64 v[24:25], v[166:167], v[24:25]
	s_waitcnt vmcnt(8) lgkmcnt(0)
	v_mul_f64 v[225:226], v[2:3], v[28:29]
	v_mul_f64 v[28:29], v[4:5], v[28:29]
	v_add_f64 v[221:222], v[221:222], v[217:218]
	v_add_f64 v[168:169], v[168:169], v[219:220]
	ds_load_b128 v[217:220], v1 offset:1536
	v_fma_f64 v[166:167], v[166:167], v[22:23], v[199:200]
	v_fma_f64 v[164:165], v[164:165], v[22:23], -v[24:25]
	scratch_load_b128 v[22:25], off, off offset:816
	v_add_f64 v[199:200], v[221:222], v[223:224]
	v_add_f64 v[168:169], v[168:169], v[174:175]
	v_fma_f64 v[221:222], v[4:5], v[26:27], v[225:226]
	v_fma_f64 v[223:224], v[2:3], v[26:27], -v[28:29]
	scratch_load_b128 v[26:29], off, off offset:832
	ds_load_b128 v[2:5], v1 offset:1552
	s_waitcnt vmcnt(9) lgkmcnt(1)
	v_mul_f64 v[174:175], v[217:218], v[32:33]
	v_mul_f64 v[32:33], v[219:220], v[32:33]
	s_waitcnt vmcnt(8) lgkmcnt(0)
	v_mul_f64 v[225:226], v[2:3], v[36:37]
	v_mul_f64 v[36:37], v[4:5], v[36:37]
	v_add_f64 v[199:200], v[199:200], v[164:165]
	v_add_f64 v[168:169], v[168:169], v[166:167]
	ds_load_b128 v[164:167], v1 offset:1568
	v_fma_f64 v[174:175], v[219:220], v[30:31], v[174:175]
	v_fma_f64 v[30:31], v[217:218], v[30:31], -v[32:33]
	v_fma_f64 v[217:218], v[4:5], v[34:35], v[225:226]
	v_fma_f64 v[34:35], v[2:3], v[34:35], -v[36:37]
	v_add_f64 v[32:33], v[199:200], v[223:224]
	v_add_f64 v[168:169], v[168:169], v[221:222]
	s_waitcnt vmcnt(7) lgkmcnt(0)
	v_mul_f64 v[199:200], v[164:165], v[172:173]
	v_mul_f64 v[172:173], v[166:167], v[172:173]
	s_delay_alu instid0(VALU_DEP_4) | instskip(NEXT) | instid1(VALU_DEP_4)
	v_add_f64 v[36:37], v[32:33], v[30:31]
	v_add_f64 v[168:169], v[168:169], v[174:175]
	ds_load_b128 v[2:5], v1 offset:1584
	ds_load_b128 v[30:33], v1 offset:1600
	v_fma_f64 v[166:167], v[166:167], v[170:171], v[199:200]
	v_fma_f64 v[164:165], v[164:165], v[170:171], -v[172:173]
	s_waitcnt vmcnt(6) lgkmcnt(1)
	v_mul_f64 v[174:175], v[2:3], v[40:41]
	v_mul_f64 v[40:41], v[4:5], v[40:41]
	v_add_f64 v[34:35], v[36:37], v[34:35]
	v_add_f64 v[36:37], v[168:169], v[217:218]
	s_waitcnt vmcnt(5) lgkmcnt(0)
	v_mul_f64 v[168:169], v[30:31], v[8:9]
	v_mul_f64 v[8:9], v[32:33], v[8:9]
	v_fma_f64 v[170:171], v[4:5], v[38:39], v[174:175]
	v_fma_f64 v[38:39], v[2:3], v[38:39], -v[40:41]
	v_add_f64 v[40:41], v[34:35], v[164:165]
	v_add_f64 v[164:165], v[36:37], v[166:167]
	ds_load_b128 v[2:5], v1 offset:1616
	ds_load_b128 v[34:37], v1 offset:1632
	v_fma_f64 v[32:33], v[32:33], v[6:7], v[168:169]
	v_fma_f64 v[6:7], v[30:31], v[6:7], -v[8:9]
	s_waitcnt vmcnt(4) lgkmcnt(1)
	v_mul_f64 v[166:167], v[2:3], v[12:13]
	v_mul_f64 v[12:13], v[4:5], v[12:13]
	v_add_f64 v[8:9], v[40:41], v[38:39]
	v_add_f64 v[30:31], v[164:165], v[170:171]
	s_waitcnt vmcnt(3) lgkmcnt(0)
	v_mul_f64 v[38:39], v[34:35], v[16:17]
	v_mul_f64 v[16:17], v[36:37], v[16:17]
	v_fma_f64 v[40:41], v[4:5], v[10:11], v[166:167]
	v_fma_f64 v[10:11], v[2:3], v[10:11], -v[12:13]
	v_add_f64 v[12:13], v[8:9], v[6:7]
	v_add_f64 v[30:31], v[30:31], v[32:33]
	ds_load_b128 v[2:5], v1 offset:1648
	ds_load_b128 v[6:9], v1 offset:1664
	v_fma_f64 v[36:37], v[36:37], v[14:15], v[38:39]
	v_fma_f64 v[14:15], v[34:35], v[14:15], -v[16:17]
	s_waitcnt vmcnt(2) lgkmcnt(1)
	v_mul_f64 v[32:33], v[2:3], v[20:21]
	v_mul_f64 v[20:21], v[4:5], v[20:21]
	s_waitcnt vmcnt(1) lgkmcnt(0)
	v_mul_f64 v[16:17], v[6:7], v[24:25]
	v_mul_f64 v[24:25], v[8:9], v[24:25]
	v_add_f64 v[10:11], v[12:13], v[10:11]
	v_add_f64 v[12:13], v[30:31], v[40:41]
	v_fma_f64 v[30:31], v[4:5], v[18:19], v[32:33]
	v_fma_f64 v[18:19], v[2:3], v[18:19], -v[20:21]
	ds_load_b128 v[2:5], v1 offset:1680
	v_fma_f64 v[8:9], v[8:9], v[22:23], v[16:17]
	v_fma_f64 v[6:7], v[6:7], v[22:23], -v[24:25]
	v_add_f64 v[10:11], v[10:11], v[14:15]
	v_add_f64 v[12:13], v[12:13], v[36:37]
	s_waitcnt vmcnt(0) lgkmcnt(0)
	v_mul_f64 v[14:15], v[2:3], v[28:29]
	v_mul_f64 v[20:21], v[4:5], v[28:29]
	s_delay_alu instid0(VALU_DEP_4) | instskip(NEXT) | instid1(VALU_DEP_4)
	v_add_f64 v[10:11], v[10:11], v[18:19]
	v_add_f64 v[12:13], v[12:13], v[30:31]
	s_delay_alu instid0(VALU_DEP_4) | instskip(NEXT) | instid1(VALU_DEP_4)
	v_fma_f64 v[4:5], v[4:5], v[26:27], v[14:15]
	v_fma_f64 v[2:3], v[2:3], v[26:27], -v[20:21]
	s_delay_alu instid0(VALU_DEP_4) | instskip(NEXT) | instid1(VALU_DEP_4)
	v_add_f64 v[6:7], v[10:11], v[6:7]
	v_add_f64 v[8:9], v[12:13], v[8:9]
	s_delay_alu instid0(VALU_DEP_2) | instskip(NEXT) | instid1(VALU_DEP_2)
	v_add_f64 v[2:3], v[6:7], v[2:3]
	v_add_f64 v[4:5], v[8:9], v[4:5]
	s_delay_alu instid0(VALU_DEP_2) | instskip(NEXT) | instid1(VALU_DEP_2)
	v_add_f64 v[2:3], v[42:43], -v[2:3]
	v_add_f64 v[4:5], v[44:45], -v[4:5]
	scratch_store_b128 off, v[2:5], off offset:80
	v_cmpx_lt_u32_e32 4, v152
	s_cbranch_execz .LBB52_323
; %bb.322:
	scratch_load_b128 v[5:8], v201, off
	v_mov_b32_e32 v2, v1
	v_mov_b32_e32 v3, v1
	;; [unrolled: 1-line block ×3, first 2 shown]
	scratch_store_b128 off, v[1:4], off offset:64
	s_waitcnt vmcnt(0)
	ds_store_b128 v205, v[5:8]
.LBB52_323:
	s_or_b32 exec_lo, exec_lo, s2
	s_waitcnt lgkmcnt(0)
	s_waitcnt_vscnt null, 0x0
	s_barrier
	buffer_gl0_inv
	s_clause 0x8
	scratch_load_b128 v[2:5], off, off offset:80
	scratch_load_b128 v[6:9], off, off offset:96
	;; [unrolled: 1-line block ×9, first 2 shown]
	ds_load_b128 v[42:45], v1 offset:928
	ds_load_b128 v[38:41], v1 offset:944
	s_clause 0x1
	scratch_load_b128 v[164:167], off, off offset:64
	scratch_load_b128 v[168:171], off, off offset:224
	s_mov_b32 s2, exec_lo
	s_waitcnt vmcnt(10) lgkmcnt(1)
	v_mul_f64 v[172:173], v[44:45], v[4:5]
	v_mul_f64 v[4:5], v[42:43], v[4:5]
	s_waitcnt vmcnt(9) lgkmcnt(0)
	v_mul_f64 v[199:200], v[38:39], v[8:9]
	v_mul_f64 v[8:9], v[40:41], v[8:9]
	s_delay_alu instid0(VALU_DEP_4) | instskip(NEXT) | instid1(VALU_DEP_4)
	v_fma_f64 v[217:218], v[42:43], v[2:3], -v[172:173]
	v_fma_f64 v[219:220], v[44:45], v[2:3], v[4:5]
	ds_load_b128 v[2:5], v1 offset:960
	ds_load_b128 v[172:175], v1 offset:976
	scratch_load_b128 v[42:45], off, off offset:240
	v_fma_f64 v[40:41], v[40:41], v[6:7], v[199:200]
	v_fma_f64 v[38:39], v[38:39], v[6:7], -v[8:9]
	scratch_load_b128 v[6:9], off, off offset:256
	s_waitcnt vmcnt(10) lgkmcnt(1)
	v_mul_f64 v[221:222], v[2:3], v[12:13]
	v_mul_f64 v[12:13], v[4:5], v[12:13]
	v_add_f64 v[199:200], v[217:218], 0
	v_add_f64 v[217:218], v[219:220], 0
	s_waitcnt vmcnt(9) lgkmcnt(0)
	v_mul_f64 v[219:220], v[172:173], v[16:17]
	v_mul_f64 v[16:17], v[174:175], v[16:17]
	v_fma_f64 v[221:222], v[4:5], v[10:11], v[221:222]
	v_fma_f64 v[223:224], v[2:3], v[10:11], -v[12:13]
	ds_load_b128 v[2:5], v1 offset:992
	scratch_load_b128 v[10:13], off, off offset:272
	v_add_f64 v[199:200], v[199:200], v[38:39]
	v_add_f64 v[217:218], v[217:218], v[40:41]
	ds_load_b128 v[38:41], v1 offset:1008
	v_fma_f64 v[174:175], v[174:175], v[14:15], v[219:220]
	v_fma_f64 v[172:173], v[172:173], v[14:15], -v[16:17]
	scratch_load_b128 v[14:17], off, off offset:288
	s_waitcnt vmcnt(10) lgkmcnt(1)
	v_mul_f64 v[225:226], v[2:3], v[20:21]
	v_mul_f64 v[20:21], v[4:5], v[20:21]
	s_waitcnt vmcnt(9) lgkmcnt(0)
	v_mul_f64 v[219:220], v[38:39], v[24:25]
	v_mul_f64 v[24:25], v[40:41], v[24:25]
	v_add_f64 v[199:200], v[199:200], v[223:224]
	v_add_f64 v[217:218], v[217:218], v[221:222]
	v_fma_f64 v[221:222], v[4:5], v[18:19], v[225:226]
	v_fma_f64 v[223:224], v[2:3], v[18:19], -v[20:21]
	ds_load_b128 v[2:5], v1 offset:1024
	scratch_load_b128 v[18:21], off, off offset:304
	v_fma_f64 v[40:41], v[40:41], v[22:23], v[219:220]
	v_fma_f64 v[38:39], v[38:39], v[22:23], -v[24:25]
	scratch_load_b128 v[22:25], off, off offset:320
	v_add_f64 v[199:200], v[199:200], v[172:173]
	v_add_f64 v[217:218], v[217:218], v[174:175]
	ds_load_b128 v[172:175], v1 offset:1040
	s_waitcnt vmcnt(10) lgkmcnt(1)
	v_mul_f64 v[225:226], v[2:3], v[28:29]
	v_mul_f64 v[28:29], v[4:5], v[28:29]
	s_waitcnt vmcnt(9) lgkmcnt(0)
	v_mul_f64 v[219:220], v[172:173], v[32:33]
	v_mul_f64 v[32:33], v[174:175], v[32:33]
	v_add_f64 v[199:200], v[199:200], v[223:224]
	v_add_f64 v[217:218], v[217:218], v[221:222]
	v_fma_f64 v[221:222], v[4:5], v[26:27], v[225:226]
	v_fma_f64 v[223:224], v[2:3], v[26:27], -v[28:29]
	ds_load_b128 v[2:5], v1 offset:1056
	scratch_load_b128 v[26:29], off, off offset:336
	v_fma_f64 v[174:175], v[174:175], v[30:31], v[219:220]
	v_fma_f64 v[172:173], v[172:173], v[30:31], -v[32:33]
	scratch_load_b128 v[30:33], off, off offset:352
	v_add_f64 v[199:200], v[199:200], v[38:39]
	v_add_f64 v[217:218], v[217:218], v[40:41]
	ds_load_b128 v[38:41], v1 offset:1072
	s_waitcnt vmcnt(10) lgkmcnt(1)
	v_mul_f64 v[225:226], v[2:3], v[36:37]
	v_mul_f64 v[36:37], v[4:5], v[36:37]
	s_waitcnt vmcnt(8) lgkmcnt(0)
	v_mul_f64 v[219:220], v[38:39], v[170:171]
	v_add_f64 v[199:200], v[199:200], v[223:224]
	v_add_f64 v[217:218], v[217:218], v[221:222]
	v_mul_f64 v[221:222], v[40:41], v[170:171]
	v_fma_f64 v[223:224], v[4:5], v[34:35], v[225:226]
	v_fma_f64 v[225:226], v[2:3], v[34:35], -v[36:37]
	ds_load_b128 v[2:5], v1 offset:1088
	scratch_load_b128 v[34:37], off, off offset:368
	v_fma_f64 v[219:220], v[40:41], v[168:169], v[219:220]
	v_add_f64 v[199:200], v[199:200], v[172:173]
	v_add_f64 v[174:175], v[217:218], v[174:175]
	ds_load_b128 v[170:173], v1 offset:1104
	v_fma_f64 v[168:169], v[38:39], v[168:169], -v[221:222]
	scratch_load_b128 v[38:41], off, off offset:384
	s_waitcnt vmcnt(9) lgkmcnt(1)
	v_mul_f64 v[217:218], v[2:3], v[44:45]
	v_mul_f64 v[44:45], v[4:5], v[44:45]
	s_waitcnt vmcnt(8) lgkmcnt(0)
	v_mul_f64 v[221:222], v[170:171], v[8:9]
	v_mul_f64 v[8:9], v[172:173], v[8:9]
	v_add_f64 v[199:200], v[199:200], v[225:226]
	v_add_f64 v[174:175], v[174:175], v[223:224]
	v_fma_f64 v[223:224], v[4:5], v[42:43], v[217:218]
	v_fma_f64 v[225:226], v[2:3], v[42:43], -v[44:45]
	ds_load_b128 v[2:5], v1 offset:1120
	scratch_load_b128 v[42:45], off, off offset:400
	v_fma_f64 v[172:173], v[172:173], v[6:7], v[221:222]
	v_fma_f64 v[170:171], v[170:171], v[6:7], -v[8:9]
	scratch_load_b128 v[6:9], off, off offset:416
	v_add_f64 v[168:169], v[199:200], v[168:169]
	v_add_f64 v[174:175], v[174:175], v[219:220]
	ds_load_b128 v[217:220], v1 offset:1136
	s_waitcnt vmcnt(9) lgkmcnt(1)
	v_mul_f64 v[199:200], v[2:3], v[12:13]
	v_mul_f64 v[12:13], v[4:5], v[12:13]
	s_waitcnt vmcnt(8) lgkmcnt(0)
	v_mul_f64 v[221:222], v[217:218], v[16:17]
	v_mul_f64 v[16:17], v[219:220], v[16:17]
	v_add_f64 v[168:169], v[168:169], v[225:226]
	v_add_f64 v[174:175], v[174:175], v[223:224]
	v_fma_f64 v[199:200], v[4:5], v[10:11], v[199:200]
	v_fma_f64 v[223:224], v[2:3], v[10:11], -v[12:13]
	ds_load_b128 v[2:5], v1 offset:1152
	scratch_load_b128 v[10:13], off, off offset:432
	v_fma_f64 v[219:220], v[219:220], v[14:15], v[221:222]
	v_fma_f64 v[217:218], v[217:218], v[14:15], -v[16:17]
	scratch_load_b128 v[14:17], off, off offset:448
	v_add_f64 v[225:226], v[168:169], v[170:171]
	v_add_f64 v[172:173], v[174:175], v[172:173]
	ds_load_b128 v[168:171], v1 offset:1168
	s_waitcnt vmcnt(9) lgkmcnt(1)
	v_mul_f64 v[174:175], v[2:3], v[20:21]
	v_mul_f64 v[20:21], v[4:5], v[20:21]
	v_add_f64 v[221:222], v[225:226], v[223:224]
	v_add_f64 v[172:173], v[172:173], v[199:200]
	s_waitcnt vmcnt(8) lgkmcnt(0)
	v_mul_f64 v[199:200], v[168:169], v[24:25]
	v_mul_f64 v[24:25], v[170:171], v[24:25]
	v_fma_f64 v[223:224], v[4:5], v[18:19], v[174:175]
	v_fma_f64 v[225:226], v[2:3], v[18:19], -v[20:21]
	ds_load_b128 v[2:5], v1 offset:1184
	scratch_load_b128 v[18:21], off, off offset:464
	v_add_f64 v[217:218], v[221:222], v[217:218]
	v_add_f64 v[219:220], v[172:173], v[219:220]
	ds_load_b128 v[172:175], v1 offset:1200
	s_waitcnt vmcnt(8) lgkmcnt(1)
	v_mul_f64 v[221:222], v[2:3], v[28:29]
	v_mul_f64 v[28:29], v[4:5], v[28:29]
	v_fma_f64 v[170:171], v[170:171], v[22:23], v[199:200]
	v_fma_f64 v[168:169], v[168:169], v[22:23], -v[24:25]
	scratch_load_b128 v[22:25], off, off offset:480
	v_add_f64 v[199:200], v[217:218], v[225:226]
	v_add_f64 v[217:218], v[219:220], v[223:224]
	s_waitcnt vmcnt(8) lgkmcnt(0)
	v_mul_f64 v[219:220], v[172:173], v[32:33]
	v_mul_f64 v[32:33], v[174:175], v[32:33]
	v_fma_f64 v[221:222], v[4:5], v[26:27], v[221:222]
	v_fma_f64 v[223:224], v[2:3], v[26:27], -v[28:29]
	ds_load_b128 v[2:5], v1 offset:1216
	scratch_load_b128 v[26:29], off, off offset:496
	v_add_f64 v[199:200], v[199:200], v[168:169]
	v_add_f64 v[217:218], v[217:218], v[170:171]
	ds_load_b128 v[168:171], v1 offset:1232
	s_waitcnt vmcnt(8) lgkmcnt(1)
	v_mul_f64 v[225:226], v[2:3], v[36:37]
	v_mul_f64 v[36:37], v[4:5], v[36:37]
	v_fma_f64 v[174:175], v[174:175], v[30:31], v[219:220]
	v_fma_f64 v[172:173], v[172:173], v[30:31], -v[32:33]
	scratch_load_b128 v[30:33], off, off offset:512
	s_waitcnt vmcnt(8) lgkmcnt(0)
	v_mul_f64 v[219:220], v[168:169], v[40:41]
	v_mul_f64 v[40:41], v[170:171], v[40:41]
	v_add_f64 v[199:200], v[199:200], v[223:224]
	v_add_f64 v[217:218], v[217:218], v[221:222]
	v_fma_f64 v[221:222], v[4:5], v[34:35], v[225:226]
	v_fma_f64 v[223:224], v[2:3], v[34:35], -v[36:37]
	ds_load_b128 v[2:5], v1 offset:1248
	scratch_load_b128 v[34:37], off, off offset:528
	v_fma_f64 v[170:171], v[170:171], v[38:39], v[219:220]
	v_fma_f64 v[168:169], v[168:169], v[38:39], -v[40:41]
	scratch_load_b128 v[38:41], off, off offset:544
	v_add_f64 v[199:200], v[199:200], v[172:173]
	v_add_f64 v[217:218], v[217:218], v[174:175]
	ds_load_b128 v[172:175], v1 offset:1264
	s_waitcnt vmcnt(9) lgkmcnt(1)
	v_mul_f64 v[225:226], v[2:3], v[44:45]
	v_mul_f64 v[44:45], v[4:5], v[44:45]
	s_waitcnt vmcnt(8) lgkmcnt(0)
	v_mul_f64 v[219:220], v[172:173], v[8:9]
	v_mul_f64 v[8:9], v[174:175], v[8:9]
	v_add_f64 v[199:200], v[199:200], v[223:224]
	v_add_f64 v[217:218], v[217:218], v[221:222]
	v_fma_f64 v[221:222], v[4:5], v[42:43], v[225:226]
	v_fma_f64 v[223:224], v[2:3], v[42:43], -v[44:45]
	ds_load_b128 v[2:5], v1 offset:1280
	scratch_load_b128 v[42:45], off, off offset:560
	v_fma_f64 v[174:175], v[174:175], v[6:7], v[219:220]
	v_fma_f64 v[172:173], v[172:173], v[6:7], -v[8:9]
	scratch_load_b128 v[6:9], off, off offset:576
	v_add_f64 v[199:200], v[199:200], v[168:169]
	v_add_f64 v[217:218], v[217:218], v[170:171]
	ds_load_b128 v[168:171], v1 offset:1296
	s_waitcnt vmcnt(9) lgkmcnt(1)
	v_mul_f64 v[225:226], v[2:3], v[12:13]
	v_mul_f64 v[12:13], v[4:5], v[12:13]
	;; [unrolled: 18-line block ×10, first 2 shown]
	s_waitcnt vmcnt(8) lgkmcnt(0)
	v_mul_f64 v[219:220], v[168:169], v[40:41]
	v_mul_f64 v[40:41], v[170:171], v[40:41]
	v_add_f64 v[199:200], v[199:200], v[223:224]
	v_add_f64 v[217:218], v[217:218], v[221:222]
	v_fma_f64 v[221:222], v[4:5], v[34:35], v[225:226]
	v_fma_f64 v[223:224], v[2:3], v[34:35], -v[36:37]
	ds_load_b128 v[2:5], v1 offset:1568
	ds_load_b128 v[34:37], v1 offset:1584
	v_fma_f64 v[170:171], v[170:171], v[38:39], v[219:220]
	v_fma_f64 v[38:39], v[168:169], v[38:39], -v[40:41]
	v_add_f64 v[172:173], v[199:200], v[172:173]
	v_add_f64 v[174:175], v[217:218], v[174:175]
	s_waitcnt vmcnt(7) lgkmcnt(1)
	v_mul_f64 v[199:200], v[2:3], v[44:45]
	v_mul_f64 v[44:45], v[4:5], v[44:45]
	s_delay_alu instid0(VALU_DEP_4) | instskip(NEXT) | instid1(VALU_DEP_4)
	v_add_f64 v[40:41], v[172:173], v[223:224]
	v_add_f64 v[168:169], v[174:175], v[221:222]
	s_waitcnt vmcnt(6) lgkmcnt(0)
	v_mul_f64 v[172:173], v[34:35], v[8:9]
	v_mul_f64 v[8:9], v[36:37], v[8:9]
	v_fma_f64 v[174:175], v[4:5], v[42:43], v[199:200]
	v_fma_f64 v[42:43], v[2:3], v[42:43], -v[44:45]
	v_add_f64 v[44:45], v[40:41], v[38:39]
	v_add_f64 v[168:169], v[168:169], v[170:171]
	ds_load_b128 v[2:5], v1 offset:1600
	ds_load_b128 v[38:41], v1 offset:1616
	v_fma_f64 v[36:37], v[36:37], v[6:7], v[172:173]
	v_fma_f64 v[6:7], v[34:35], v[6:7], -v[8:9]
	s_waitcnt vmcnt(5) lgkmcnt(1)
	v_mul_f64 v[170:171], v[2:3], v[12:13]
	v_mul_f64 v[12:13], v[4:5], v[12:13]
	v_add_f64 v[8:9], v[44:45], v[42:43]
	v_add_f64 v[34:35], v[168:169], v[174:175]
	s_waitcnt vmcnt(4) lgkmcnt(0)
	v_mul_f64 v[42:43], v[38:39], v[16:17]
	v_mul_f64 v[16:17], v[40:41], v[16:17]
	v_fma_f64 v[44:45], v[4:5], v[10:11], v[170:171]
	v_fma_f64 v[10:11], v[2:3], v[10:11], -v[12:13]
	v_add_f64 v[12:13], v[8:9], v[6:7]
	v_add_f64 v[34:35], v[34:35], v[36:37]
	ds_load_b128 v[2:5], v1 offset:1632
	ds_load_b128 v[6:9], v1 offset:1648
	v_fma_f64 v[40:41], v[40:41], v[14:15], v[42:43]
	v_fma_f64 v[14:15], v[38:39], v[14:15], -v[16:17]
	s_waitcnt vmcnt(3) lgkmcnt(1)
	v_mul_f64 v[36:37], v[2:3], v[20:21]
	v_mul_f64 v[20:21], v[4:5], v[20:21]
	s_waitcnt vmcnt(2) lgkmcnt(0)
	v_mul_f64 v[16:17], v[6:7], v[24:25]
	v_mul_f64 v[24:25], v[8:9], v[24:25]
	v_add_f64 v[10:11], v[12:13], v[10:11]
	v_add_f64 v[12:13], v[34:35], v[44:45]
	v_fma_f64 v[34:35], v[4:5], v[18:19], v[36:37]
	v_fma_f64 v[18:19], v[2:3], v[18:19], -v[20:21]
	v_fma_f64 v[8:9], v[8:9], v[22:23], v[16:17]
	v_fma_f64 v[6:7], v[6:7], v[22:23], -v[24:25]
	v_add_f64 v[14:15], v[10:11], v[14:15]
	v_add_f64 v[20:21], v[12:13], v[40:41]
	ds_load_b128 v[2:5], v1 offset:1664
	ds_load_b128 v[10:13], v1 offset:1680
	s_waitcnt vmcnt(1) lgkmcnt(1)
	v_mul_f64 v[36:37], v[2:3], v[28:29]
	v_mul_f64 v[28:29], v[4:5], v[28:29]
	v_add_f64 v[14:15], v[14:15], v[18:19]
	v_add_f64 v[16:17], v[20:21], v[34:35]
	s_waitcnt vmcnt(0) lgkmcnt(0)
	v_mul_f64 v[18:19], v[10:11], v[32:33]
	v_mul_f64 v[20:21], v[12:13], v[32:33]
	v_fma_f64 v[4:5], v[4:5], v[26:27], v[36:37]
	v_fma_f64 v[1:2], v[2:3], v[26:27], -v[28:29]
	v_add_f64 v[6:7], v[14:15], v[6:7]
	v_add_f64 v[8:9], v[16:17], v[8:9]
	v_fma_f64 v[12:13], v[12:13], v[30:31], v[18:19]
	v_fma_f64 v[10:11], v[10:11], v[30:31], -v[20:21]
	s_delay_alu instid0(VALU_DEP_4) | instskip(NEXT) | instid1(VALU_DEP_4)
	v_add_f64 v[1:2], v[6:7], v[1:2]
	v_add_f64 v[3:4], v[8:9], v[4:5]
	s_delay_alu instid0(VALU_DEP_2) | instskip(NEXT) | instid1(VALU_DEP_2)
	v_add_f64 v[1:2], v[1:2], v[10:11]
	v_add_f64 v[3:4], v[3:4], v[12:13]
	s_delay_alu instid0(VALU_DEP_2) | instskip(NEXT) | instid1(VALU_DEP_2)
	v_add_f64 v[1:2], v[164:165], -v[1:2]
	v_add_f64 v[3:4], v[166:167], -v[3:4]
	scratch_store_b128 off, v[1:4], off offset:64
	v_cmpx_lt_u32_e32 3, v152
	s_cbranch_execz .LBB52_325
; %bb.324:
	scratch_load_b128 v[1:4], v202, off
	v_mov_b32_e32 v5, 0
	s_delay_alu instid0(VALU_DEP_1)
	v_mov_b32_e32 v6, v5
	v_mov_b32_e32 v7, v5
	;; [unrolled: 1-line block ×3, first 2 shown]
	scratch_store_b128 off, v[5:8], off offset:48
	s_waitcnt vmcnt(0)
	ds_store_b128 v205, v[1:4]
.LBB52_325:
	s_or_b32 exec_lo, exec_lo, s2
	s_waitcnt lgkmcnt(0)
	s_waitcnt_vscnt null, 0x0
	s_barrier
	buffer_gl0_inv
	s_clause 0x7
	scratch_load_b128 v[2:5], off, off offset:64
	scratch_load_b128 v[6:9], off, off offset:80
	;; [unrolled: 1-line block ×8, first 2 shown]
	v_mov_b32_e32 v1, 0
	s_mov_b32 s2, exec_lo
	ds_load_b128 v[38:41], v1 offset:912
	s_clause 0x1
	scratch_load_b128 v[34:37], off, off offset:192
	scratch_load_b128 v[42:45], off, off offset:48
	ds_load_b128 v[164:167], v1 offset:928
	scratch_load_b128 v[168:171], off, off offset:208
	s_waitcnt vmcnt(10) lgkmcnt(1)
	v_mul_f64 v[172:173], v[40:41], v[4:5]
	v_mul_f64 v[4:5], v[38:39], v[4:5]
	s_delay_alu instid0(VALU_DEP_2) | instskip(NEXT) | instid1(VALU_DEP_2)
	v_fma_f64 v[217:218], v[38:39], v[2:3], -v[172:173]
	v_fma_f64 v[219:220], v[40:41], v[2:3], v[4:5]
	scratch_load_b128 v[38:41], off, off offset:224
	ds_load_b128 v[2:5], v1 offset:944
	s_waitcnt vmcnt(10) lgkmcnt(1)
	v_mul_f64 v[199:200], v[164:165], v[8:9]
	v_mul_f64 v[8:9], v[166:167], v[8:9]
	ds_load_b128 v[172:175], v1 offset:960
	s_waitcnt vmcnt(9) lgkmcnt(1)
	v_mul_f64 v[221:222], v[2:3], v[12:13]
	v_mul_f64 v[12:13], v[4:5], v[12:13]
	v_fma_f64 v[166:167], v[166:167], v[6:7], v[199:200]
	v_fma_f64 v[164:165], v[164:165], v[6:7], -v[8:9]
	v_add_f64 v[199:200], v[217:218], 0
	v_add_f64 v[217:218], v[219:220], 0
	scratch_load_b128 v[6:9], off, off offset:240
	v_fma_f64 v[221:222], v[4:5], v[10:11], v[221:222]
	v_fma_f64 v[223:224], v[2:3], v[10:11], -v[12:13]
	scratch_load_b128 v[10:13], off, off offset:256
	ds_load_b128 v[2:5], v1 offset:976
	s_waitcnt vmcnt(10) lgkmcnt(1)
	v_mul_f64 v[219:220], v[172:173], v[16:17]
	v_mul_f64 v[16:17], v[174:175], v[16:17]
	v_add_f64 v[199:200], v[199:200], v[164:165]
	v_add_f64 v[217:218], v[217:218], v[166:167]
	s_waitcnt vmcnt(9) lgkmcnt(0)
	v_mul_f64 v[225:226], v[2:3], v[20:21]
	v_mul_f64 v[20:21], v[4:5], v[20:21]
	ds_load_b128 v[164:167], v1 offset:992
	v_fma_f64 v[174:175], v[174:175], v[14:15], v[219:220]
	v_fma_f64 v[172:173], v[172:173], v[14:15], -v[16:17]
	scratch_load_b128 v[14:17], off, off offset:272
	v_add_f64 v[199:200], v[199:200], v[223:224]
	v_add_f64 v[217:218], v[217:218], v[221:222]
	v_fma_f64 v[221:222], v[4:5], v[18:19], v[225:226]
	v_fma_f64 v[223:224], v[2:3], v[18:19], -v[20:21]
	scratch_load_b128 v[18:21], off, off offset:288
	ds_load_b128 v[2:5], v1 offset:1008
	s_waitcnt vmcnt(10) lgkmcnt(1)
	v_mul_f64 v[219:220], v[164:165], v[24:25]
	v_mul_f64 v[24:25], v[166:167], v[24:25]
	s_waitcnt vmcnt(9) lgkmcnt(0)
	v_mul_f64 v[225:226], v[2:3], v[28:29]
	v_mul_f64 v[28:29], v[4:5], v[28:29]
	v_add_f64 v[199:200], v[199:200], v[172:173]
	v_add_f64 v[217:218], v[217:218], v[174:175]
	ds_load_b128 v[172:175], v1 offset:1024
	v_fma_f64 v[166:167], v[166:167], v[22:23], v[219:220]
	v_fma_f64 v[164:165], v[164:165], v[22:23], -v[24:25]
	scratch_load_b128 v[22:25], off, off offset:304
	v_add_f64 v[199:200], v[199:200], v[223:224]
	v_add_f64 v[217:218], v[217:218], v[221:222]
	v_fma_f64 v[221:222], v[4:5], v[26:27], v[225:226]
	v_fma_f64 v[223:224], v[2:3], v[26:27], -v[28:29]
	scratch_load_b128 v[26:29], off, off offset:320
	ds_load_b128 v[2:5], v1 offset:1040
	s_waitcnt vmcnt(10) lgkmcnt(1)
	v_mul_f64 v[219:220], v[172:173], v[32:33]
	v_mul_f64 v[32:33], v[174:175], v[32:33]
	s_waitcnt vmcnt(9) lgkmcnt(0)
	v_mul_f64 v[225:226], v[2:3], v[36:37]
	v_mul_f64 v[36:37], v[4:5], v[36:37]
	v_add_f64 v[199:200], v[199:200], v[164:165]
	v_add_f64 v[217:218], v[217:218], v[166:167]
	ds_load_b128 v[164:167], v1 offset:1056
	v_fma_f64 v[174:175], v[174:175], v[30:31], v[219:220]
	v_fma_f64 v[172:173], v[172:173], v[30:31], -v[32:33]
	scratch_load_b128 v[30:33], off, off offset:336
	v_add_f64 v[199:200], v[199:200], v[223:224]
	v_add_f64 v[217:218], v[217:218], v[221:222]
	v_fma_f64 v[223:224], v[4:5], v[34:35], v[225:226]
	v_fma_f64 v[225:226], v[2:3], v[34:35], -v[36:37]
	scratch_load_b128 v[34:37], off, off offset:352
	ds_load_b128 v[2:5], v1 offset:1072
	s_waitcnt vmcnt(9) lgkmcnt(1)
	v_mul_f64 v[219:220], v[164:165], v[170:171]
	v_mul_f64 v[221:222], v[166:167], v[170:171]
	v_add_f64 v[199:200], v[199:200], v[172:173]
	v_add_f64 v[174:175], v[217:218], v[174:175]
	ds_load_b128 v[170:173], v1 offset:1088
	v_fma_f64 v[219:220], v[166:167], v[168:169], v[219:220]
	v_fma_f64 v[168:169], v[164:165], v[168:169], -v[221:222]
	scratch_load_b128 v[164:167], off, off offset:368
	s_waitcnt vmcnt(9) lgkmcnt(1)
	v_mul_f64 v[217:218], v[2:3], v[40:41]
	v_mul_f64 v[40:41], v[4:5], v[40:41]
	v_add_f64 v[199:200], v[199:200], v[225:226]
	v_add_f64 v[174:175], v[174:175], v[223:224]
	s_delay_alu instid0(VALU_DEP_4) | instskip(NEXT) | instid1(VALU_DEP_4)
	v_fma_f64 v[223:224], v[4:5], v[38:39], v[217:218]
	v_fma_f64 v[225:226], v[2:3], v[38:39], -v[40:41]
	scratch_load_b128 v[38:41], off, off offset:384
	ds_load_b128 v[2:5], v1 offset:1104
	s_waitcnt vmcnt(9) lgkmcnt(1)
	v_mul_f64 v[221:222], v[170:171], v[8:9]
	v_mul_f64 v[8:9], v[172:173], v[8:9]
	v_add_f64 v[168:169], v[199:200], v[168:169]
	v_add_f64 v[174:175], v[174:175], v[219:220]
	s_waitcnt vmcnt(8) lgkmcnt(0)
	v_mul_f64 v[199:200], v[2:3], v[12:13]
	v_mul_f64 v[12:13], v[4:5], v[12:13]
	ds_load_b128 v[217:220], v1 offset:1120
	v_fma_f64 v[172:173], v[172:173], v[6:7], v[221:222]
	v_fma_f64 v[170:171], v[170:171], v[6:7], -v[8:9]
	scratch_load_b128 v[6:9], off, off offset:400
	v_add_f64 v[168:169], v[168:169], v[225:226]
	v_add_f64 v[174:175], v[174:175], v[223:224]
	v_fma_f64 v[199:200], v[4:5], v[10:11], v[199:200]
	v_fma_f64 v[223:224], v[2:3], v[10:11], -v[12:13]
	scratch_load_b128 v[10:13], off, off offset:416
	ds_load_b128 v[2:5], v1 offset:1136
	s_waitcnt vmcnt(9) lgkmcnt(1)
	v_mul_f64 v[221:222], v[217:218], v[16:17]
	v_mul_f64 v[16:17], v[219:220], v[16:17]
	v_add_f64 v[225:226], v[168:169], v[170:171]
	v_add_f64 v[172:173], v[174:175], v[172:173]
	s_waitcnt vmcnt(8) lgkmcnt(0)
	v_mul_f64 v[174:175], v[2:3], v[20:21]
	v_mul_f64 v[20:21], v[4:5], v[20:21]
	ds_load_b128 v[168:171], v1 offset:1152
	v_fma_f64 v[219:220], v[219:220], v[14:15], v[221:222]
	v_fma_f64 v[217:218], v[217:218], v[14:15], -v[16:17]
	scratch_load_b128 v[14:17], off, off offset:432
	v_add_f64 v[221:222], v[225:226], v[223:224]
	v_add_f64 v[172:173], v[172:173], v[199:200]
	;; [unrolled: 18-line block ×3, first 2 shown]
	v_fma_f64 v[221:222], v[4:5], v[26:27], v[221:222]
	v_fma_f64 v[223:224], v[2:3], v[26:27], -v[28:29]
	scratch_load_b128 v[26:29], off, off offset:480
	ds_load_b128 v[2:5], v1 offset:1200
	s_waitcnt vmcnt(9) lgkmcnt(1)
	v_mul_f64 v[219:220], v[172:173], v[32:33]
	v_mul_f64 v[32:33], v[174:175], v[32:33]
	s_waitcnt vmcnt(8) lgkmcnt(0)
	v_mul_f64 v[225:226], v[2:3], v[36:37]
	v_mul_f64 v[36:37], v[4:5], v[36:37]
	v_add_f64 v[199:200], v[199:200], v[168:169]
	v_add_f64 v[217:218], v[217:218], v[170:171]
	ds_load_b128 v[168:171], v1 offset:1216
	v_fma_f64 v[174:175], v[174:175], v[30:31], v[219:220]
	v_fma_f64 v[172:173], v[172:173], v[30:31], -v[32:33]
	scratch_load_b128 v[30:33], off, off offset:496
	v_add_f64 v[199:200], v[199:200], v[223:224]
	v_add_f64 v[217:218], v[217:218], v[221:222]
	v_fma_f64 v[221:222], v[4:5], v[34:35], v[225:226]
	v_fma_f64 v[223:224], v[2:3], v[34:35], -v[36:37]
	scratch_load_b128 v[34:37], off, off offset:512
	ds_load_b128 v[2:5], v1 offset:1232
	s_waitcnt vmcnt(9) lgkmcnt(1)
	v_mul_f64 v[219:220], v[168:169], v[166:167]
	v_mul_f64 v[166:167], v[170:171], v[166:167]
	s_waitcnt vmcnt(8) lgkmcnt(0)
	v_mul_f64 v[225:226], v[2:3], v[40:41]
	v_mul_f64 v[40:41], v[4:5], v[40:41]
	v_add_f64 v[199:200], v[199:200], v[172:173]
	v_add_f64 v[217:218], v[217:218], v[174:175]
	ds_load_b128 v[172:175], v1 offset:1248
	v_fma_f64 v[170:171], v[170:171], v[164:165], v[219:220]
	v_fma_f64 v[168:169], v[168:169], v[164:165], -v[166:167]
	scratch_load_b128 v[164:167], off, off offset:528
	v_add_f64 v[199:200], v[199:200], v[223:224]
	v_add_f64 v[217:218], v[217:218], v[221:222]
	;; [unrolled: 18-line block ×6, first 2 shown]
	v_fma_f64 v[223:224], v[4:5], v[34:35], v[225:226]
	v_fma_f64 v[225:226], v[2:3], v[34:35], -v[36:37]
	scratch_load_b128 v[34:37], off, off offset:672
	ds_load_b128 v[2:5], v1 offset:1392
	s_waitcnt vmcnt(9) lgkmcnt(1)
	v_mul_f64 v[219:220], v[172:173], v[166:167]
	v_mul_f64 v[221:222], v[174:175], v[166:167]
	v_add_f64 v[199:200], v[199:200], v[168:169]
	v_add_f64 v[170:171], v[217:218], v[170:171]
	s_waitcnt vmcnt(8) lgkmcnt(0)
	v_mul_f64 v[217:218], v[2:3], v[40:41]
	v_mul_f64 v[40:41], v[4:5], v[40:41]
	ds_load_b128 v[166:169], v1 offset:1408
	v_fma_f64 v[174:175], v[174:175], v[164:165], v[219:220]
	v_fma_f64 v[164:165], v[172:173], v[164:165], -v[221:222]
	v_add_f64 v[199:200], v[199:200], v[225:226]
	v_add_f64 v[219:220], v[170:171], v[223:224]
	scratch_load_b128 v[170:173], off, off offset:688
	v_fma_f64 v[223:224], v[4:5], v[38:39], v[217:218]
	v_fma_f64 v[225:226], v[2:3], v[38:39], -v[40:41]
	scratch_load_b128 v[38:41], off, off offset:704
	ds_load_b128 v[2:5], v1 offset:1424
	s_waitcnt vmcnt(9) lgkmcnt(1)
	v_mul_f64 v[221:222], v[166:167], v[8:9]
	v_mul_f64 v[8:9], v[168:169], v[8:9]
	v_add_f64 v[164:165], v[199:200], v[164:165]
	v_add_f64 v[174:175], v[219:220], v[174:175]
	s_waitcnt vmcnt(8) lgkmcnt(0)
	v_mul_f64 v[199:200], v[2:3], v[12:13]
	v_mul_f64 v[12:13], v[4:5], v[12:13]
	ds_load_b128 v[217:220], v1 offset:1440
	v_fma_f64 v[168:169], v[168:169], v[6:7], v[221:222]
	v_fma_f64 v[166:167], v[166:167], v[6:7], -v[8:9]
	scratch_load_b128 v[6:9], off, off offset:720
	v_add_f64 v[164:165], v[164:165], v[225:226]
	v_add_f64 v[174:175], v[174:175], v[223:224]
	v_fma_f64 v[199:200], v[4:5], v[10:11], v[199:200]
	v_fma_f64 v[223:224], v[2:3], v[10:11], -v[12:13]
	scratch_load_b128 v[10:13], off, off offset:736
	ds_load_b128 v[2:5], v1 offset:1456
	s_waitcnt vmcnt(9) lgkmcnt(1)
	v_mul_f64 v[221:222], v[217:218], v[16:17]
	v_mul_f64 v[16:17], v[219:220], v[16:17]
	v_add_f64 v[225:226], v[164:165], v[166:167]
	v_add_f64 v[168:169], v[174:175], v[168:169]
	s_waitcnt vmcnt(8) lgkmcnt(0)
	v_mul_f64 v[174:175], v[2:3], v[20:21]
	v_mul_f64 v[20:21], v[4:5], v[20:21]
	ds_load_b128 v[164:167], v1 offset:1472
	v_fma_f64 v[219:220], v[219:220], v[14:15], v[221:222]
	v_fma_f64 v[217:218], v[217:218], v[14:15], -v[16:17]
	scratch_load_b128 v[14:17], off, off offset:752
	v_add_f64 v[221:222], v[225:226], v[223:224]
	v_add_f64 v[168:169], v[168:169], v[199:200]
	v_fma_f64 v[174:175], v[4:5], v[18:19], v[174:175]
	v_fma_f64 v[223:224], v[2:3], v[18:19], -v[20:21]
	scratch_load_b128 v[18:21], off, off offset:768
	ds_load_b128 v[2:5], v1 offset:1488
	s_waitcnt vmcnt(9) lgkmcnt(1)
	v_mul_f64 v[199:200], v[164:165], v[24:25]
	v_mul_f64 v[24:25], v[166:167], v[24:25]
	s_waitcnt vmcnt(8) lgkmcnt(0)
	v_mul_f64 v[225:226], v[2:3], v[28:29]
	v_mul_f64 v[28:29], v[4:5], v[28:29]
	v_add_f64 v[221:222], v[221:222], v[217:218]
	v_add_f64 v[168:169], v[168:169], v[219:220]
	ds_load_b128 v[217:220], v1 offset:1504
	v_fma_f64 v[166:167], v[166:167], v[22:23], v[199:200]
	v_fma_f64 v[164:165], v[164:165], v[22:23], -v[24:25]
	scratch_load_b128 v[22:25], off, off offset:784
	v_add_f64 v[199:200], v[221:222], v[223:224]
	v_add_f64 v[168:169], v[168:169], v[174:175]
	v_fma_f64 v[221:222], v[4:5], v[26:27], v[225:226]
	v_fma_f64 v[223:224], v[2:3], v[26:27], -v[28:29]
	scratch_load_b128 v[26:29], off, off offset:800
	ds_load_b128 v[2:5], v1 offset:1520
	s_waitcnt vmcnt(9) lgkmcnt(1)
	v_mul_f64 v[174:175], v[217:218], v[32:33]
	v_mul_f64 v[32:33], v[219:220], v[32:33]
	s_waitcnt vmcnt(8) lgkmcnt(0)
	v_mul_f64 v[225:226], v[2:3], v[36:37]
	v_mul_f64 v[36:37], v[4:5], v[36:37]
	v_add_f64 v[199:200], v[199:200], v[164:165]
	v_add_f64 v[168:169], v[168:169], v[166:167]
	ds_load_b128 v[164:167], v1 offset:1536
	v_fma_f64 v[174:175], v[219:220], v[30:31], v[174:175]
	v_fma_f64 v[217:218], v[217:218], v[30:31], -v[32:33]
	scratch_load_b128 v[30:33], off, off offset:816
	v_add_f64 v[199:200], v[199:200], v[223:224]
	v_add_f64 v[168:169], v[168:169], v[221:222]
	v_fma_f64 v[223:224], v[4:5], v[34:35], v[225:226]
	v_fma_f64 v[225:226], v[2:3], v[34:35], -v[36:37]
	scratch_load_b128 v[34:37], off, off offset:832
	ds_load_b128 v[2:5], v1 offset:1552
	s_waitcnt vmcnt(9) lgkmcnt(1)
	v_mul_f64 v[219:220], v[164:165], v[172:173]
	v_mul_f64 v[221:222], v[166:167], v[172:173]
	v_add_f64 v[199:200], v[199:200], v[217:218]
	v_add_f64 v[168:169], v[168:169], v[174:175]
	s_waitcnt vmcnt(8) lgkmcnt(0)
	v_mul_f64 v[217:218], v[2:3], v[40:41]
	v_mul_f64 v[40:41], v[4:5], v[40:41]
	ds_load_b128 v[172:175], v1 offset:1568
	v_fma_f64 v[166:167], v[166:167], v[170:171], v[219:220]
	v_fma_f64 v[164:165], v[164:165], v[170:171], -v[221:222]
	v_add_f64 v[170:171], v[199:200], v[225:226]
	v_add_f64 v[168:169], v[168:169], v[223:224]
	s_waitcnt vmcnt(7) lgkmcnt(0)
	v_mul_f64 v[199:200], v[172:173], v[8:9]
	v_mul_f64 v[8:9], v[174:175], v[8:9]
	v_fma_f64 v[217:218], v[4:5], v[38:39], v[217:218]
	v_fma_f64 v[219:220], v[2:3], v[38:39], -v[40:41]
	ds_load_b128 v[2:5], v1 offset:1584
	ds_load_b128 v[38:41], v1 offset:1600
	v_add_f64 v[164:165], v[170:171], v[164:165]
	v_add_f64 v[166:167], v[168:169], v[166:167]
	s_waitcnt vmcnt(6) lgkmcnt(1)
	v_mul_f64 v[168:169], v[2:3], v[12:13]
	v_mul_f64 v[12:13], v[4:5], v[12:13]
	v_fma_f64 v[170:171], v[174:175], v[6:7], v[199:200]
	v_fma_f64 v[6:7], v[172:173], v[6:7], -v[8:9]
	v_add_f64 v[8:9], v[164:165], v[219:220]
	v_add_f64 v[164:165], v[166:167], v[217:218]
	s_waitcnt vmcnt(5) lgkmcnt(0)
	v_mul_f64 v[166:167], v[38:39], v[16:17]
	v_mul_f64 v[16:17], v[40:41], v[16:17]
	v_fma_f64 v[168:169], v[4:5], v[10:11], v[168:169]
	v_fma_f64 v[10:11], v[2:3], v[10:11], -v[12:13]
	v_add_f64 v[12:13], v[8:9], v[6:7]
	v_add_f64 v[164:165], v[164:165], v[170:171]
	ds_load_b128 v[2:5], v1 offset:1616
	ds_load_b128 v[6:9], v1 offset:1632
	v_fma_f64 v[40:41], v[40:41], v[14:15], v[166:167]
	v_fma_f64 v[14:15], v[38:39], v[14:15], -v[16:17]
	s_waitcnt vmcnt(4) lgkmcnt(1)
	v_mul_f64 v[170:171], v[2:3], v[20:21]
	v_mul_f64 v[20:21], v[4:5], v[20:21]
	s_waitcnt vmcnt(3) lgkmcnt(0)
	v_mul_f64 v[16:17], v[6:7], v[24:25]
	v_mul_f64 v[24:25], v[8:9], v[24:25]
	v_add_f64 v[10:11], v[12:13], v[10:11]
	v_add_f64 v[12:13], v[164:165], v[168:169]
	v_fma_f64 v[38:39], v[4:5], v[18:19], v[170:171]
	v_fma_f64 v[18:19], v[2:3], v[18:19], -v[20:21]
	v_fma_f64 v[8:9], v[8:9], v[22:23], v[16:17]
	v_fma_f64 v[6:7], v[6:7], v[22:23], -v[24:25]
	v_add_f64 v[14:15], v[10:11], v[14:15]
	v_add_f64 v[20:21], v[12:13], v[40:41]
	ds_load_b128 v[2:5], v1 offset:1648
	ds_load_b128 v[10:13], v1 offset:1664
	s_waitcnt vmcnt(2) lgkmcnt(1)
	v_mul_f64 v[40:41], v[2:3], v[28:29]
	v_mul_f64 v[28:29], v[4:5], v[28:29]
	v_add_f64 v[14:15], v[14:15], v[18:19]
	v_add_f64 v[16:17], v[20:21], v[38:39]
	s_waitcnt vmcnt(1) lgkmcnt(0)
	v_mul_f64 v[18:19], v[10:11], v[32:33]
	v_mul_f64 v[20:21], v[12:13], v[32:33]
	v_fma_f64 v[22:23], v[4:5], v[26:27], v[40:41]
	v_fma_f64 v[24:25], v[2:3], v[26:27], -v[28:29]
	ds_load_b128 v[2:5], v1 offset:1680
	v_add_f64 v[6:7], v[14:15], v[6:7]
	v_add_f64 v[8:9], v[16:17], v[8:9]
	v_fma_f64 v[12:13], v[12:13], v[30:31], v[18:19]
	v_fma_f64 v[10:11], v[10:11], v[30:31], -v[20:21]
	s_waitcnt vmcnt(0) lgkmcnt(0)
	v_mul_f64 v[14:15], v[2:3], v[36:37]
	v_mul_f64 v[16:17], v[4:5], v[36:37]
	v_add_f64 v[6:7], v[6:7], v[24:25]
	v_add_f64 v[8:9], v[8:9], v[22:23]
	s_delay_alu instid0(VALU_DEP_4) | instskip(NEXT) | instid1(VALU_DEP_4)
	v_fma_f64 v[4:5], v[4:5], v[34:35], v[14:15]
	v_fma_f64 v[2:3], v[2:3], v[34:35], -v[16:17]
	s_delay_alu instid0(VALU_DEP_4) | instskip(NEXT) | instid1(VALU_DEP_4)
	v_add_f64 v[6:7], v[6:7], v[10:11]
	v_add_f64 v[8:9], v[8:9], v[12:13]
	s_delay_alu instid0(VALU_DEP_2) | instskip(NEXT) | instid1(VALU_DEP_2)
	v_add_f64 v[2:3], v[6:7], v[2:3]
	v_add_f64 v[4:5], v[8:9], v[4:5]
	s_delay_alu instid0(VALU_DEP_2) | instskip(NEXT) | instid1(VALU_DEP_2)
	v_add_f64 v[2:3], v[42:43], -v[2:3]
	v_add_f64 v[4:5], v[44:45], -v[4:5]
	scratch_store_b128 off, v[2:5], off offset:48
	v_cmpx_lt_u32_e32 2, v152
	s_cbranch_execz .LBB52_327
; %bb.326:
	scratch_load_b128 v[5:8], v203, off
	v_mov_b32_e32 v2, v1
	v_mov_b32_e32 v3, v1
	;; [unrolled: 1-line block ×3, first 2 shown]
	scratch_store_b128 off, v[1:4], off offset:32
	s_waitcnt vmcnt(0)
	ds_store_b128 v205, v[5:8]
.LBB52_327:
	s_or_b32 exec_lo, exec_lo, s2
	s_waitcnt lgkmcnt(0)
	s_waitcnt_vscnt null, 0x0
	s_barrier
	buffer_gl0_inv
	s_clause 0x8
	scratch_load_b128 v[2:5], off, off offset:48
	scratch_load_b128 v[6:9], off, off offset:64
	;; [unrolled: 1-line block ×9, first 2 shown]
	ds_load_b128 v[42:45], v1 offset:896
	ds_load_b128 v[38:41], v1 offset:912
	s_clause 0x1
	scratch_load_b128 v[164:167], off, off offset:32
	scratch_load_b128 v[168:171], off, off offset:192
	s_mov_b32 s2, exec_lo
	s_waitcnt vmcnt(10) lgkmcnt(1)
	v_mul_f64 v[172:173], v[44:45], v[4:5]
	v_mul_f64 v[4:5], v[42:43], v[4:5]
	s_waitcnt vmcnt(9) lgkmcnt(0)
	v_mul_f64 v[199:200], v[38:39], v[8:9]
	v_mul_f64 v[8:9], v[40:41], v[8:9]
	s_delay_alu instid0(VALU_DEP_4) | instskip(NEXT) | instid1(VALU_DEP_4)
	v_fma_f64 v[217:218], v[42:43], v[2:3], -v[172:173]
	v_fma_f64 v[219:220], v[44:45], v[2:3], v[4:5]
	ds_load_b128 v[2:5], v1 offset:928
	ds_load_b128 v[172:175], v1 offset:944
	scratch_load_b128 v[42:45], off, off offset:208
	v_fma_f64 v[40:41], v[40:41], v[6:7], v[199:200]
	v_fma_f64 v[38:39], v[38:39], v[6:7], -v[8:9]
	scratch_load_b128 v[6:9], off, off offset:224
	s_waitcnt vmcnt(10) lgkmcnt(1)
	v_mul_f64 v[221:222], v[2:3], v[12:13]
	v_mul_f64 v[12:13], v[4:5], v[12:13]
	v_add_f64 v[199:200], v[217:218], 0
	v_add_f64 v[217:218], v[219:220], 0
	s_waitcnt vmcnt(9) lgkmcnt(0)
	v_mul_f64 v[219:220], v[172:173], v[16:17]
	v_mul_f64 v[16:17], v[174:175], v[16:17]
	v_fma_f64 v[221:222], v[4:5], v[10:11], v[221:222]
	v_fma_f64 v[223:224], v[2:3], v[10:11], -v[12:13]
	ds_load_b128 v[2:5], v1 offset:960
	scratch_load_b128 v[10:13], off, off offset:240
	v_add_f64 v[199:200], v[199:200], v[38:39]
	v_add_f64 v[217:218], v[217:218], v[40:41]
	ds_load_b128 v[38:41], v1 offset:976
	v_fma_f64 v[174:175], v[174:175], v[14:15], v[219:220]
	v_fma_f64 v[172:173], v[172:173], v[14:15], -v[16:17]
	scratch_load_b128 v[14:17], off, off offset:256
	s_waitcnt vmcnt(10) lgkmcnt(1)
	v_mul_f64 v[225:226], v[2:3], v[20:21]
	v_mul_f64 v[20:21], v[4:5], v[20:21]
	s_waitcnt vmcnt(9) lgkmcnt(0)
	v_mul_f64 v[219:220], v[38:39], v[24:25]
	v_mul_f64 v[24:25], v[40:41], v[24:25]
	v_add_f64 v[199:200], v[199:200], v[223:224]
	v_add_f64 v[217:218], v[217:218], v[221:222]
	v_fma_f64 v[221:222], v[4:5], v[18:19], v[225:226]
	v_fma_f64 v[223:224], v[2:3], v[18:19], -v[20:21]
	ds_load_b128 v[2:5], v1 offset:992
	scratch_load_b128 v[18:21], off, off offset:272
	v_fma_f64 v[40:41], v[40:41], v[22:23], v[219:220]
	v_fma_f64 v[38:39], v[38:39], v[22:23], -v[24:25]
	scratch_load_b128 v[22:25], off, off offset:288
	v_add_f64 v[199:200], v[199:200], v[172:173]
	v_add_f64 v[217:218], v[217:218], v[174:175]
	ds_load_b128 v[172:175], v1 offset:1008
	s_waitcnt vmcnt(10) lgkmcnt(1)
	v_mul_f64 v[225:226], v[2:3], v[28:29]
	v_mul_f64 v[28:29], v[4:5], v[28:29]
	s_waitcnt vmcnt(9) lgkmcnt(0)
	v_mul_f64 v[219:220], v[172:173], v[32:33]
	v_mul_f64 v[32:33], v[174:175], v[32:33]
	v_add_f64 v[199:200], v[199:200], v[223:224]
	v_add_f64 v[217:218], v[217:218], v[221:222]
	v_fma_f64 v[221:222], v[4:5], v[26:27], v[225:226]
	v_fma_f64 v[223:224], v[2:3], v[26:27], -v[28:29]
	ds_load_b128 v[2:5], v1 offset:1024
	scratch_load_b128 v[26:29], off, off offset:304
	v_fma_f64 v[174:175], v[174:175], v[30:31], v[219:220]
	v_fma_f64 v[172:173], v[172:173], v[30:31], -v[32:33]
	scratch_load_b128 v[30:33], off, off offset:320
	v_add_f64 v[199:200], v[199:200], v[38:39]
	v_add_f64 v[217:218], v[217:218], v[40:41]
	ds_load_b128 v[38:41], v1 offset:1040
	s_waitcnt vmcnt(10) lgkmcnt(1)
	v_mul_f64 v[225:226], v[2:3], v[36:37]
	v_mul_f64 v[36:37], v[4:5], v[36:37]
	s_waitcnt vmcnt(8) lgkmcnt(0)
	v_mul_f64 v[219:220], v[38:39], v[170:171]
	v_add_f64 v[199:200], v[199:200], v[223:224]
	v_add_f64 v[217:218], v[217:218], v[221:222]
	v_mul_f64 v[221:222], v[40:41], v[170:171]
	v_fma_f64 v[223:224], v[4:5], v[34:35], v[225:226]
	v_fma_f64 v[225:226], v[2:3], v[34:35], -v[36:37]
	ds_load_b128 v[2:5], v1 offset:1056
	scratch_load_b128 v[34:37], off, off offset:336
	v_fma_f64 v[219:220], v[40:41], v[168:169], v[219:220]
	v_add_f64 v[199:200], v[199:200], v[172:173]
	v_add_f64 v[174:175], v[217:218], v[174:175]
	ds_load_b128 v[170:173], v1 offset:1072
	v_fma_f64 v[168:169], v[38:39], v[168:169], -v[221:222]
	scratch_load_b128 v[38:41], off, off offset:352
	s_waitcnt vmcnt(9) lgkmcnt(1)
	v_mul_f64 v[217:218], v[2:3], v[44:45]
	v_mul_f64 v[44:45], v[4:5], v[44:45]
	s_waitcnt vmcnt(8) lgkmcnt(0)
	v_mul_f64 v[221:222], v[170:171], v[8:9]
	v_mul_f64 v[8:9], v[172:173], v[8:9]
	v_add_f64 v[199:200], v[199:200], v[225:226]
	v_add_f64 v[174:175], v[174:175], v[223:224]
	v_fma_f64 v[223:224], v[4:5], v[42:43], v[217:218]
	v_fma_f64 v[225:226], v[2:3], v[42:43], -v[44:45]
	ds_load_b128 v[2:5], v1 offset:1088
	scratch_load_b128 v[42:45], off, off offset:368
	v_fma_f64 v[172:173], v[172:173], v[6:7], v[221:222]
	v_fma_f64 v[170:171], v[170:171], v[6:7], -v[8:9]
	scratch_load_b128 v[6:9], off, off offset:384
	v_add_f64 v[168:169], v[199:200], v[168:169]
	v_add_f64 v[174:175], v[174:175], v[219:220]
	ds_load_b128 v[217:220], v1 offset:1104
	s_waitcnt vmcnt(9) lgkmcnt(1)
	v_mul_f64 v[199:200], v[2:3], v[12:13]
	v_mul_f64 v[12:13], v[4:5], v[12:13]
	s_waitcnt vmcnt(8) lgkmcnt(0)
	v_mul_f64 v[221:222], v[217:218], v[16:17]
	v_mul_f64 v[16:17], v[219:220], v[16:17]
	v_add_f64 v[168:169], v[168:169], v[225:226]
	v_add_f64 v[174:175], v[174:175], v[223:224]
	v_fma_f64 v[199:200], v[4:5], v[10:11], v[199:200]
	v_fma_f64 v[223:224], v[2:3], v[10:11], -v[12:13]
	ds_load_b128 v[2:5], v1 offset:1120
	scratch_load_b128 v[10:13], off, off offset:400
	v_fma_f64 v[219:220], v[219:220], v[14:15], v[221:222]
	v_fma_f64 v[217:218], v[217:218], v[14:15], -v[16:17]
	scratch_load_b128 v[14:17], off, off offset:416
	v_add_f64 v[225:226], v[168:169], v[170:171]
	v_add_f64 v[172:173], v[174:175], v[172:173]
	ds_load_b128 v[168:171], v1 offset:1136
	s_waitcnt vmcnt(9) lgkmcnt(1)
	v_mul_f64 v[174:175], v[2:3], v[20:21]
	v_mul_f64 v[20:21], v[4:5], v[20:21]
	v_add_f64 v[221:222], v[225:226], v[223:224]
	v_add_f64 v[172:173], v[172:173], v[199:200]
	s_waitcnt vmcnt(8) lgkmcnt(0)
	v_mul_f64 v[199:200], v[168:169], v[24:25]
	v_mul_f64 v[24:25], v[170:171], v[24:25]
	v_fma_f64 v[223:224], v[4:5], v[18:19], v[174:175]
	v_fma_f64 v[225:226], v[2:3], v[18:19], -v[20:21]
	ds_load_b128 v[2:5], v1 offset:1152
	scratch_load_b128 v[18:21], off, off offset:432
	v_add_f64 v[217:218], v[221:222], v[217:218]
	v_add_f64 v[219:220], v[172:173], v[219:220]
	ds_load_b128 v[172:175], v1 offset:1168
	s_waitcnt vmcnt(8) lgkmcnt(1)
	v_mul_f64 v[221:222], v[2:3], v[28:29]
	v_mul_f64 v[28:29], v[4:5], v[28:29]
	v_fma_f64 v[170:171], v[170:171], v[22:23], v[199:200]
	v_fma_f64 v[168:169], v[168:169], v[22:23], -v[24:25]
	scratch_load_b128 v[22:25], off, off offset:448
	v_add_f64 v[199:200], v[217:218], v[225:226]
	v_add_f64 v[217:218], v[219:220], v[223:224]
	s_waitcnt vmcnt(8) lgkmcnt(0)
	v_mul_f64 v[219:220], v[172:173], v[32:33]
	v_mul_f64 v[32:33], v[174:175], v[32:33]
	v_fma_f64 v[221:222], v[4:5], v[26:27], v[221:222]
	v_fma_f64 v[223:224], v[2:3], v[26:27], -v[28:29]
	ds_load_b128 v[2:5], v1 offset:1184
	scratch_load_b128 v[26:29], off, off offset:464
	v_add_f64 v[199:200], v[199:200], v[168:169]
	v_add_f64 v[217:218], v[217:218], v[170:171]
	ds_load_b128 v[168:171], v1 offset:1200
	s_waitcnt vmcnt(8) lgkmcnt(1)
	v_mul_f64 v[225:226], v[2:3], v[36:37]
	v_mul_f64 v[36:37], v[4:5], v[36:37]
	v_fma_f64 v[174:175], v[174:175], v[30:31], v[219:220]
	v_fma_f64 v[172:173], v[172:173], v[30:31], -v[32:33]
	scratch_load_b128 v[30:33], off, off offset:480
	s_waitcnt vmcnt(8) lgkmcnt(0)
	v_mul_f64 v[219:220], v[168:169], v[40:41]
	v_mul_f64 v[40:41], v[170:171], v[40:41]
	v_add_f64 v[199:200], v[199:200], v[223:224]
	v_add_f64 v[217:218], v[217:218], v[221:222]
	v_fma_f64 v[221:222], v[4:5], v[34:35], v[225:226]
	v_fma_f64 v[223:224], v[2:3], v[34:35], -v[36:37]
	ds_load_b128 v[2:5], v1 offset:1216
	scratch_load_b128 v[34:37], off, off offset:496
	v_fma_f64 v[170:171], v[170:171], v[38:39], v[219:220]
	v_fma_f64 v[168:169], v[168:169], v[38:39], -v[40:41]
	scratch_load_b128 v[38:41], off, off offset:512
	v_add_f64 v[199:200], v[199:200], v[172:173]
	v_add_f64 v[217:218], v[217:218], v[174:175]
	ds_load_b128 v[172:175], v1 offset:1232
	s_waitcnt vmcnt(9) lgkmcnt(1)
	v_mul_f64 v[225:226], v[2:3], v[44:45]
	v_mul_f64 v[44:45], v[4:5], v[44:45]
	s_waitcnt vmcnt(8) lgkmcnt(0)
	v_mul_f64 v[219:220], v[172:173], v[8:9]
	v_mul_f64 v[8:9], v[174:175], v[8:9]
	v_add_f64 v[199:200], v[199:200], v[223:224]
	v_add_f64 v[217:218], v[217:218], v[221:222]
	v_fma_f64 v[221:222], v[4:5], v[42:43], v[225:226]
	v_fma_f64 v[223:224], v[2:3], v[42:43], -v[44:45]
	ds_load_b128 v[2:5], v1 offset:1248
	scratch_load_b128 v[42:45], off, off offset:528
	v_fma_f64 v[174:175], v[174:175], v[6:7], v[219:220]
	v_fma_f64 v[172:173], v[172:173], v[6:7], -v[8:9]
	scratch_load_b128 v[6:9], off, off offset:544
	v_add_f64 v[199:200], v[199:200], v[168:169]
	v_add_f64 v[217:218], v[217:218], v[170:171]
	ds_load_b128 v[168:171], v1 offset:1264
	s_waitcnt vmcnt(9) lgkmcnt(1)
	v_mul_f64 v[225:226], v[2:3], v[12:13]
	v_mul_f64 v[12:13], v[4:5], v[12:13]
	;; [unrolled: 18-line block ×11, first 2 shown]
	s_waitcnt vmcnt(8) lgkmcnt(0)
	v_mul_f64 v[219:220], v[172:173], v[8:9]
	v_mul_f64 v[8:9], v[174:175], v[8:9]
	v_add_f64 v[199:200], v[199:200], v[223:224]
	v_add_f64 v[217:218], v[217:218], v[221:222]
	v_fma_f64 v[221:222], v[4:5], v[42:43], v[225:226]
	v_fma_f64 v[223:224], v[2:3], v[42:43], -v[44:45]
	ds_load_b128 v[2:5], v1 offset:1568
	ds_load_b128 v[42:45], v1 offset:1584
	v_fma_f64 v[174:175], v[174:175], v[6:7], v[219:220]
	v_fma_f64 v[6:7], v[172:173], v[6:7], -v[8:9]
	v_add_f64 v[168:169], v[199:200], v[168:169]
	v_add_f64 v[170:171], v[217:218], v[170:171]
	s_waitcnt vmcnt(7) lgkmcnt(1)
	v_mul_f64 v[199:200], v[2:3], v[12:13]
	v_mul_f64 v[12:13], v[4:5], v[12:13]
	s_delay_alu instid0(VALU_DEP_4) | instskip(NEXT) | instid1(VALU_DEP_4)
	v_add_f64 v[8:9], v[168:169], v[223:224]
	v_add_f64 v[168:169], v[170:171], v[221:222]
	s_waitcnt vmcnt(6) lgkmcnt(0)
	v_mul_f64 v[170:171], v[42:43], v[16:17]
	v_mul_f64 v[16:17], v[44:45], v[16:17]
	v_fma_f64 v[172:173], v[4:5], v[10:11], v[199:200]
	v_fma_f64 v[10:11], v[2:3], v[10:11], -v[12:13]
	v_add_f64 v[12:13], v[8:9], v[6:7]
	v_add_f64 v[168:169], v[168:169], v[174:175]
	ds_load_b128 v[2:5], v1 offset:1600
	ds_load_b128 v[6:9], v1 offset:1616
	v_fma_f64 v[44:45], v[44:45], v[14:15], v[170:171]
	v_fma_f64 v[14:15], v[42:43], v[14:15], -v[16:17]
	s_waitcnt vmcnt(5) lgkmcnt(1)
	v_mul_f64 v[174:175], v[2:3], v[20:21]
	v_mul_f64 v[20:21], v[4:5], v[20:21]
	s_waitcnt vmcnt(4) lgkmcnt(0)
	v_mul_f64 v[16:17], v[6:7], v[24:25]
	v_mul_f64 v[24:25], v[8:9], v[24:25]
	v_add_f64 v[10:11], v[12:13], v[10:11]
	v_add_f64 v[12:13], v[168:169], v[172:173]
	v_fma_f64 v[42:43], v[4:5], v[18:19], v[174:175]
	v_fma_f64 v[18:19], v[2:3], v[18:19], -v[20:21]
	v_fma_f64 v[8:9], v[8:9], v[22:23], v[16:17]
	v_fma_f64 v[6:7], v[6:7], v[22:23], -v[24:25]
	v_add_f64 v[14:15], v[10:11], v[14:15]
	v_add_f64 v[20:21], v[12:13], v[44:45]
	ds_load_b128 v[2:5], v1 offset:1632
	ds_load_b128 v[10:13], v1 offset:1648
	s_waitcnt vmcnt(3) lgkmcnt(1)
	v_mul_f64 v[44:45], v[2:3], v[28:29]
	v_mul_f64 v[28:29], v[4:5], v[28:29]
	v_add_f64 v[14:15], v[14:15], v[18:19]
	v_add_f64 v[16:17], v[20:21], v[42:43]
	s_waitcnt vmcnt(2) lgkmcnt(0)
	v_mul_f64 v[18:19], v[10:11], v[32:33]
	v_mul_f64 v[20:21], v[12:13], v[32:33]
	v_fma_f64 v[22:23], v[4:5], v[26:27], v[44:45]
	v_fma_f64 v[24:25], v[2:3], v[26:27], -v[28:29]
	v_add_f64 v[14:15], v[14:15], v[6:7]
	v_add_f64 v[16:17], v[16:17], v[8:9]
	ds_load_b128 v[2:5], v1 offset:1664
	ds_load_b128 v[6:9], v1 offset:1680
	v_fma_f64 v[12:13], v[12:13], v[30:31], v[18:19]
	v_fma_f64 v[10:11], v[10:11], v[30:31], -v[20:21]
	s_waitcnt vmcnt(1) lgkmcnt(1)
	v_mul_f64 v[26:27], v[2:3], v[36:37]
	v_mul_f64 v[28:29], v[4:5], v[36:37]
	s_waitcnt vmcnt(0) lgkmcnt(0)
	v_mul_f64 v[18:19], v[6:7], v[40:41]
	v_mul_f64 v[20:21], v[8:9], v[40:41]
	v_add_f64 v[14:15], v[14:15], v[24:25]
	v_add_f64 v[16:17], v[16:17], v[22:23]
	v_fma_f64 v[4:5], v[4:5], v[34:35], v[26:27]
	v_fma_f64 v[1:2], v[2:3], v[34:35], -v[28:29]
	v_fma_f64 v[8:9], v[8:9], v[38:39], v[18:19]
	v_fma_f64 v[6:7], v[6:7], v[38:39], -v[20:21]
	v_add_f64 v[10:11], v[14:15], v[10:11]
	v_add_f64 v[12:13], v[16:17], v[12:13]
	s_delay_alu instid0(VALU_DEP_2) | instskip(NEXT) | instid1(VALU_DEP_2)
	v_add_f64 v[1:2], v[10:11], v[1:2]
	v_add_f64 v[3:4], v[12:13], v[4:5]
	s_delay_alu instid0(VALU_DEP_2) | instskip(NEXT) | instid1(VALU_DEP_2)
	;; [unrolled: 3-line block ×3, first 2 shown]
	v_add_f64 v[1:2], v[164:165], -v[1:2]
	v_add_f64 v[3:4], v[166:167], -v[3:4]
	scratch_store_b128 off, v[1:4], off offset:32
	v_cmpx_lt_u32_e32 1, v152
	s_cbranch_execz .LBB52_329
; %bb.328:
	scratch_load_b128 v[1:4], v204, off
	v_mov_b32_e32 v5, 0
	s_delay_alu instid0(VALU_DEP_1)
	v_mov_b32_e32 v6, v5
	v_mov_b32_e32 v7, v5
	;; [unrolled: 1-line block ×3, first 2 shown]
	scratch_store_b128 off, v[5:8], off offset:16
	s_waitcnt vmcnt(0)
	ds_store_b128 v205, v[1:4]
.LBB52_329:
	s_or_b32 exec_lo, exec_lo, s2
	s_waitcnt lgkmcnt(0)
	s_waitcnt_vscnt null, 0x0
	s_barrier
	buffer_gl0_inv
	s_clause 0x7
	scratch_load_b128 v[2:5], off, off offset:32
	scratch_load_b128 v[6:9], off, off offset:48
	;; [unrolled: 1-line block ×8, first 2 shown]
	v_mov_b32_e32 v1, 0
	s_mov_b32 s2, exec_lo
	ds_load_b128 v[38:41], v1 offset:880
	s_clause 0x1
	scratch_load_b128 v[34:37], off, off offset:160
	scratch_load_b128 v[42:45], off, off offset:16
	ds_load_b128 v[164:167], v1 offset:896
	scratch_load_b128 v[168:171], off, off offset:176
	s_waitcnt vmcnt(10) lgkmcnt(1)
	v_mul_f64 v[172:173], v[40:41], v[4:5]
	v_mul_f64 v[4:5], v[38:39], v[4:5]
	s_delay_alu instid0(VALU_DEP_2) | instskip(NEXT) | instid1(VALU_DEP_2)
	v_fma_f64 v[217:218], v[38:39], v[2:3], -v[172:173]
	v_fma_f64 v[219:220], v[40:41], v[2:3], v[4:5]
	scratch_load_b128 v[38:41], off, off offset:192
	ds_load_b128 v[2:5], v1 offset:912
	s_waitcnt vmcnt(10) lgkmcnt(1)
	v_mul_f64 v[199:200], v[164:165], v[8:9]
	v_mul_f64 v[8:9], v[166:167], v[8:9]
	ds_load_b128 v[172:175], v1 offset:928
	s_waitcnt vmcnt(9) lgkmcnt(1)
	v_mul_f64 v[221:222], v[2:3], v[12:13]
	v_mul_f64 v[12:13], v[4:5], v[12:13]
	v_fma_f64 v[166:167], v[166:167], v[6:7], v[199:200]
	v_fma_f64 v[164:165], v[164:165], v[6:7], -v[8:9]
	v_add_f64 v[199:200], v[217:218], 0
	v_add_f64 v[217:218], v[219:220], 0
	scratch_load_b128 v[6:9], off, off offset:208
	v_fma_f64 v[221:222], v[4:5], v[10:11], v[221:222]
	v_fma_f64 v[223:224], v[2:3], v[10:11], -v[12:13]
	scratch_load_b128 v[10:13], off, off offset:224
	ds_load_b128 v[2:5], v1 offset:944
	s_waitcnt vmcnt(10) lgkmcnt(1)
	v_mul_f64 v[219:220], v[172:173], v[16:17]
	v_mul_f64 v[16:17], v[174:175], v[16:17]
	v_add_f64 v[199:200], v[199:200], v[164:165]
	v_add_f64 v[217:218], v[217:218], v[166:167]
	s_waitcnt vmcnt(9) lgkmcnt(0)
	v_mul_f64 v[225:226], v[2:3], v[20:21]
	v_mul_f64 v[20:21], v[4:5], v[20:21]
	ds_load_b128 v[164:167], v1 offset:960
	v_fma_f64 v[174:175], v[174:175], v[14:15], v[219:220]
	v_fma_f64 v[172:173], v[172:173], v[14:15], -v[16:17]
	scratch_load_b128 v[14:17], off, off offset:240
	v_add_f64 v[199:200], v[199:200], v[223:224]
	v_add_f64 v[217:218], v[217:218], v[221:222]
	v_fma_f64 v[221:222], v[4:5], v[18:19], v[225:226]
	v_fma_f64 v[223:224], v[2:3], v[18:19], -v[20:21]
	scratch_load_b128 v[18:21], off, off offset:256
	ds_load_b128 v[2:5], v1 offset:976
	s_waitcnt vmcnt(10) lgkmcnt(1)
	v_mul_f64 v[219:220], v[164:165], v[24:25]
	v_mul_f64 v[24:25], v[166:167], v[24:25]
	s_waitcnt vmcnt(9) lgkmcnt(0)
	v_mul_f64 v[225:226], v[2:3], v[28:29]
	v_mul_f64 v[28:29], v[4:5], v[28:29]
	v_add_f64 v[199:200], v[199:200], v[172:173]
	v_add_f64 v[217:218], v[217:218], v[174:175]
	ds_load_b128 v[172:175], v1 offset:992
	v_fma_f64 v[166:167], v[166:167], v[22:23], v[219:220]
	v_fma_f64 v[164:165], v[164:165], v[22:23], -v[24:25]
	scratch_load_b128 v[22:25], off, off offset:272
	v_add_f64 v[199:200], v[199:200], v[223:224]
	v_add_f64 v[217:218], v[217:218], v[221:222]
	v_fma_f64 v[221:222], v[4:5], v[26:27], v[225:226]
	v_fma_f64 v[223:224], v[2:3], v[26:27], -v[28:29]
	scratch_load_b128 v[26:29], off, off offset:288
	ds_load_b128 v[2:5], v1 offset:1008
	s_waitcnt vmcnt(10) lgkmcnt(1)
	v_mul_f64 v[219:220], v[172:173], v[32:33]
	v_mul_f64 v[32:33], v[174:175], v[32:33]
	s_waitcnt vmcnt(9) lgkmcnt(0)
	v_mul_f64 v[225:226], v[2:3], v[36:37]
	v_mul_f64 v[36:37], v[4:5], v[36:37]
	v_add_f64 v[199:200], v[199:200], v[164:165]
	v_add_f64 v[217:218], v[217:218], v[166:167]
	ds_load_b128 v[164:167], v1 offset:1024
	v_fma_f64 v[174:175], v[174:175], v[30:31], v[219:220]
	v_fma_f64 v[172:173], v[172:173], v[30:31], -v[32:33]
	scratch_load_b128 v[30:33], off, off offset:304
	v_add_f64 v[199:200], v[199:200], v[223:224]
	v_add_f64 v[217:218], v[217:218], v[221:222]
	v_fma_f64 v[223:224], v[4:5], v[34:35], v[225:226]
	v_fma_f64 v[225:226], v[2:3], v[34:35], -v[36:37]
	scratch_load_b128 v[34:37], off, off offset:320
	ds_load_b128 v[2:5], v1 offset:1040
	s_waitcnt vmcnt(9) lgkmcnt(1)
	v_mul_f64 v[219:220], v[164:165], v[170:171]
	v_mul_f64 v[221:222], v[166:167], v[170:171]
	v_add_f64 v[199:200], v[199:200], v[172:173]
	v_add_f64 v[174:175], v[217:218], v[174:175]
	ds_load_b128 v[170:173], v1 offset:1056
	v_fma_f64 v[219:220], v[166:167], v[168:169], v[219:220]
	v_fma_f64 v[168:169], v[164:165], v[168:169], -v[221:222]
	scratch_load_b128 v[164:167], off, off offset:336
	s_waitcnt vmcnt(9) lgkmcnt(1)
	v_mul_f64 v[217:218], v[2:3], v[40:41]
	v_mul_f64 v[40:41], v[4:5], v[40:41]
	v_add_f64 v[199:200], v[199:200], v[225:226]
	v_add_f64 v[174:175], v[174:175], v[223:224]
	s_delay_alu instid0(VALU_DEP_4) | instskip(NEXT) | instid1(VALU_DEP_4)
	v_fma_f64 v[223:224], v[4:5], v[38:39], v[217:218]
	v_fma_f64 v[225:226], v[2:3], v[38:39], -v[40:41]
	scratch_load_b128 v[38:41], off, off offset:352
	ds_load_b128 v[2:5], v1 offset:1072
	s_waitcnt vmcnt(9) lgkmcnt(1)
	v_mul_f64 v[221:222], v[170:171], v[8:9]
	v_mul_f64 v[8:9], v[172:173], v[8:9]
	v_add_f64 v[168:169], v[199:200], v[168:169]
	v_add_f64 v[174:175], v[174:175], v[219:220]
	s_waitcnt vmcnt(8) lgkmcnt(0)
	v_mul_f64 v[199:200], v[2:3], v[12:13]
	v_mul_f64 v[12:13], v[4:5], v[12:13]
	ds_load_b128 v[217:220], v1 offset:1088
	v_fma_f64 v[172:173], v[172:173], v[6:7], v[221:222]
	v_fma_f64 v[170:171], v[170:171], v[6:7], -v[8:9]
	scratch_load_b128 v[6:9], off, off offset:368
	v_add_f64 v[168:169], v[168:169], v[225:226]
	v_add_f64 v[174:175], v[174:175], v[223:224]
	v_fma_f64 v[199:200], v[4:5], v[10:11], v[199:200]
	v_fma_f64 v[223:224], v[2:3], v[10:11], -v[12:13]
	scratch_load_b128 v[10:13], off, off offset:384
	ds_load_b128 v[2:5], v1 offset:1104
	s_waitcnt vmcnt(9) lgkmcnt(1)
	v_mul_f64 v[221:222], v[217:218], v[16:17]
	v_mul_f64 v[16:17], v[219:220], v[16:17]
	v_add_f64 v[225:226], v[168:169], v[170:171]
	v_add_f64 v[172:173], v[174:175], v[172:173]
	s_waitcnt vmcnt(8) lgkmcnt(0)
	v_mul_f64 v[174:175], v[2:3], v[20:21]
	v_mul_f64 v[20:21], v[4:5], v[20:21]
	ds_load_b128 v[168:171], v1 offset:1120
	v_fma_f64 v[219:220], v[219:220], v[14:15], v[221:222]
	v_fma_f64 v[217:218], v[217:218], v[14:15], -v[16:17]
	scratch_load_b128 v[14:17], off, off offset:400
	v_add_f64 v[221:222], v[225:226], v[223:224]
	v_add_f64 v[172:173], v[172:173], v[199:200]
	;; [unrolled: 18-line block ×3, first 2 shown]
	v_fma_f64 v[221:222], v[4:5], v[26:27], v[221:222]
	v_fma_f64 v[223:224], v[2:3], v[26:27], -v[28:29]
	scratch_load_b128 v[26:29], off, off offset:448
	ds_load_b128 v[2:5], v1 offset:1168
	s_waitcnt vmcnt(9) lgkmcnt(1)
	v_mul_f64 v[219:220], v[172:173], v[32:33]
	v_mul_f64 v[32:33], v[174:175], v[32:33]
	s_waitcnt vmcnt(8) lgkmcnt(0)
	v_mul_f64 v[225:226], v[2:3], v[36:37]
	v_mul_f64 v[36:37], v[4:5], v[36:37]
	v_add_f64 v[199:200], v[199:200], v[168:169]
	v_add_f64 v[217:218], v[217:218], v[170:171]
	ds_load_b128 v[168:171], v1 offset:1184
	v_fma_f64 v[174:175], v[174:175], v[30:31], v[219:220]
	v_fma_f64 v[172:173], v[172:173], v[30:31], -v[32:33]
	scratch_load_b128 v[30:33], off, off offset:464
	v_add_f64 v[199:200], v[199:200], v[223:224]
	v_add_f64 v[217:218], v[217:218], v[221:222]
	v_fma_f64 v[221:222], v[4:5], v[34:35], v[225:226]
	v_fma_f64 v[223:224], v[2:3], v[34:35], -v[36:37]
	scratch_load_b128 v[34:37], off, off offset:480
	ds_load_b128 v[2:5], v1 offset:1200
	s_waitcnt vmcnt(9) lgkmcnt(1)
	v_mul_f64 v[219:220], v[168:169], v[166:167]
	v_mul_f64 v[166:167], v[170:171], v[166:167]
	s_waitcnt vmcnt(8) lgkmcnt(0)
	v_mul_f64 v[225:226], v[2:3], v[40:41]
	v_mul_f64 v[40:41], v[4:5], v[40:41]
	v_add_f64 v[199:200], v[199:200], v[172:173]
	v_add_f64 v[217:218], v[217:218], v[174:175]
	ds_load_b128 v[172:175], v1 offset:1216
	v_fma_f64 v[170:171], v[170:171], v[164:165], v[219:220]
	v_fma_f64 v[168:169], v[168:169], v[164:165], -v[166:167]
	scratch_load_b128 v[164:167], off, off offset:496
	v_add_f64 v[199:200], v[199:200], v[223:224]
	v_add_f64 v[217:218], v[217:218], v[221:222]
	;; [unrolled: 18-line block ×6, first 2 shown]
	v_fma_f64 v[223:224], v[4:5], v[34:35], v[225:226]
	v_fma_f64 v[225:226], v[2:3], v[34:35], -v[36:37]
	scratch_load_b128 v[34:37], off, off offset:640
	ds_load_b128 v[2:5], v1 offset:1360
	s_waitcnt vmcnt(9) lgkmcnt(1)
	v_mul_f64 v[219:220], v[172:173], v[166:167]
	v_mul_f64 v[221:222], v[174:175], v[166:167]
	v_add_f64 v[199:200], v[199:200], v[168:169]
	v_add_f64 v[170:171], v[217:218], v[170:171]
	s_waitcnt vmcnt(8) lgkmcnt(0)
	v_mul_f64 v[217:218], v[2:3], v[40:41]
	v_mul_f64 v[40:41], v[4:5], v[40:41]
	ds_load_b128 v[166:169], v1 offset:1376
	v_fma_f64 v[174:175], v[174:175], v[164:165], v[219:220]
	v_fma_f64 v[164:165], v[172:173], v[164:165], -v[221:222]
	v_add_f64 v[199:200], v[199:200], v[225:226]
	v_add_f64 v[219:220], v[170:171], v[223:224]
	scratch_load_b128 v[170:173], off, off offset:656
	v_fma_f64 v[223:224], v[4:5], v[38:39], v[217:218]
	v_fma_f64 v[225:226], v[2:3], v[38:39], -v[40:41]
	scratch_load_b128 v[38:41], off, off offset:672
	ds_load_b128 v[2:5], v1 offset:1392
	s_waitcnt vmcnt(9) lgkmcnt(1)
	v_mul_f64 v[221:222], v[166:167], v[8:9]
	v_mul_f64 v[8:9], v[168:169], v[8:9]
	v_add_f64 v[164:165], v[199:200], v[164:165]
	v_add_f64 v[174:175], v[219:220], v[174:175]
	s_waitcnt vmcnt(8) lgkmcnt(0)
	v_mul_f64 v[199:200], v[2:3], v[12:13]
	v_mul_f64 v[12:13], v[4:5], v[12:13]
	ds_load_b128 v[217:220], v1 offset:1408
	v_fma_f64 v[168:169], v[168:169], v[6:7], v[221:222]
	v_fma_f64 v[166:167], v[166:167], v[6:7], -v[8:9]
	scratch_load_b128 v[6:9], off, off offset:688
	v_add_f64 v[164:165], v[164:165], v[225:226]
	v_add_f64 v[174:175], v[174:175], v[223:224]
	v_fma_f64 v[199:200], v[4:5], v[10:11], v[199:200]
	v_fma_f64 v[223:224], v[2:3], v[10:11], -v[12:13]
	scratch_load_b128 v[10:13], off, off offset:704
	ds_load_b128 v[2:5], v1 offset:1424
	s_waitcnt vmcnt(9) lgkmcnt(1)
	v_mul_f64 v[221:222], v[217:218], v[16:17]
	v_mul_f64 v[16:17], v[219:220], v[16:17]
	v_add_f64 v[225:226], v[164:165], v[166:167]
	v_add_f64 v[168:169], v[174:175], v[168:169]
	s_waitcnt vmcnt(8) lgkmcnt(0)
	v_mul_f64 v[174:175], v[2:3], v[20:21]
	v_mul_f64 v[20:21], v[4:5], v[20:21]
	ds_load_b128 v[164:167], v1 offset:1440
	v_fma_f64 v[219:220], v[219:220], v[14:15], v[221:222]
	v_fma_f64 v[217:218], v[217:218], v[14:15], -v[16:17]
	scratch_load_b128 v[14:17], off, off offset:720
	v_add_f64 v[221:222], v[225:226], v[223:224]
	v_add_f64 v[168:169], v[168:169], v[199:200]
	v_fma_f64 v[174:175], v[4:5], v[18:19], v[174:175]
	v_fma_f64 v[223:224], v[2:3], v[18:19], -v[20:21]
	scratch_load_b128 v[18:21], off, off offset:736
	ds_load_b128 v[2:5], v1 offset:1456
	s_waitcnt vmcnt(9) lgkmcnt(1)
	v_mul_f64 v[199:200], v[164:165], v[24:25]
	v_mul_f64 v[24:25], v[166:167], v[24:25]
	s_waitcnt vmcnt(8) lgkmcnt(0)
	v_mul_f64 v[225:226], v[2:3], v[28:29]
	v_mul_f64 v[28:29], v[4:5], v[28:29]
	v_add_f64 v[221:222], v[221:222], v[217:218]
	v_add_f64 v[168:169], v[168:169], v[219:220]
	ds_load_b128 v[217:220], v1 offset:1472
	v_fma_f64 v[166:167], v[166:167], v[22:23], v[199:200]
	v_fma_f64 v[164:165], v[164:165], v[22:23], -v[24:25]
	scratch_load_b128 v[22:25], off, off offset:752
	v_add_f64 v[199:200], v[221:222], v[223:224]
	v_add_f64 v[168:169], v[168:169], v[174:175]
	v_fma_f64 v[221:222], v[4:5], v[26:27], v[225:226]
	v_fma_f64 v[223:224], v[2:3], v[26:27], -v[28:29]
	scratch_load_b128 v[26:29], off, off offset:768
	ds_load_b128 v[2:5], v1 offset:1488
	s_waitcnt vmcnt(9) lgkmcnt(1)
	v_mul_f64 v[174:175], v[217:218], v[32:33]
	v_mul_f64 v[32:33], v[219:220], v[32:33]
	s_waitcnt vmcnt(8) lgkmcnt(0)
	v_mul_f64 v[225:226], v[2:3], v[36:37]
	v_mul_f64 v[36:37], v[4:5], v[36:37]
	v_add_f64 v[199:200], v[199:200], v[164:165]
	v_add_f64 v[168:169], v[168:169], v[166:167]
	ds_load_b128 v[164:167], v1 offset:1504
	v_fma_f64 v[174:175], v[219:220], v[30:31], v[174:175]
	v_fma_f64 v[217:218], v[217:218], v[30:31], -v[32:33]
	scratch_load_b128 v[30:33], off, off offset:784
	v_add_f64 v[199:200], v[199:200], v[223:224]
	v_add_f64 v[168:169], v[168:169], v[221:222]
	v_fma_f64 v[223:224], v[4:5], v[34:35], v[225:226]
	v_fma_f64 v[225:226], v[2:3], v[34:35], -v[36:37]
	scratch_load_b128 v[34:37], off, off offset:800
	ds_load_b128 v[2:5], v1 offset:1520
	s_waitcnt vmcnt(9) lgkmcnt(1)
	v_mul_f64 v[219:220], v[164:165], v[172:173]
	v_mul_f64 v[221:222], v[166:167], v[172:173]
	v_add_f64 v[199:200], v[199:200], v[217:218]
	v_add_f64 v[168:169], v[168:169], v[174:175]
	s_waitcnt vmcnt(8) lgkmcnt(0)
	v_mul_f64 v[217:218], v[2:3], v[40:41]
	v_mul_f64 v[40:41], v[4:5], v[40:41]
	ds_load_b128 v[172:175], v1 offset:1536
	v_fma_f64 v[219:220], v[166:167], v[170:171], v[219:220]
	v_fma_f64 v[170:171], v[164:165], v[170:171], -v[221:222]
	scratch_load_b128 v[164:167], off, off offset:816
	v_add_f64 v[199:200], v[199:200], v[225:226]
	v_add_f64 v[168:169], v[168:169], v[223:224]
	v_fma_f64 v[217:218], v[4:5], v[38:39], v[217:218]
	v_fma_f64 v[223:224], v[2:3], v[38:39], -v[40:41]
	scratch_load_b128 v[38:41], off, off offset:832
	ds_load_b128 v[2:5], v1 offset:1552
	s_waitcnt vmcnt(9) lgkmcnt(1)
	v_mul_f64 v[221:222], v[172:173], v[8:9]
	v_mul_f64 v[8:9], v[174:175], v[8:9]
	s_waitcnt vmcnt(8) lgkmcnt(0)
	v_mul_f64 v[225:226], v[2:3], v[12:13]
	v_mul_f64 v[12:13], v[4:5], v[12:13]
	v_add_f64 v[199:200], v[199:200], v[170:171]
	v_add_f64 v[219:220], v[168:169], v[219:220]
	ds_load_b128 v[168:171], v1 offset:1568
	v_fma_f64 v[174:175], v[174:175], v[6:7], v[221:222]
	v_fma_f64 v[6:7], v[172:173], v[6:7], -v[8:9]
	v_add_f64 v[8:9], v[199:200], v[223:224]
	v_add_f64 v[172:173], v[219:220], v[217:218]
	s_waitcnt vmcnt(7) lgkmcnt(0)
	v_mul_f64 v[199:200], v[168:169], v[16:17]
	v_mul_f64 v[16:17], v[170:171], v[16:17]
	v_fma_f64 v[217:218], v[4:5], v[10:11], v[225:226]
	v_fma_f64 v[10:11], v[2:3], v[10:11], -v[12:13]
	v_add_f64 v[12:13], v[8:9], v[6:7]
	v_add_f64 v[172:173], v[172:173], v[174:175]
	ds_load_b128 v[2:5], v1 offset:1584
	ds_load_b128 v[6:9], v1 offset:1600
	v_fma_f64 v[170:171], v[170:171], v[14:15], v[199:200]
	v_fma_f64 v[14:15], v[168:169], v[14:15], -v[16:17]
	s_waitcnt vmcnt(6) lgkmcnt(1)
	v_mul_f64 v[174:175], v[2:3], v[20:21]
	v_mul_f64 v[20:21], v[4:5], v[20:21]
	s_waitcnt vmcnt(5) lgkmcnt(0)
	v_mul_f64 v[16:17], v[6:7], v[24:25]
	v_mul_f64 v[24:25], v[8:9], v[24:25]
	v_add_f64 v[10:11], v[12:13], v[10:11]
	v_add_f64 v[12:13], v[172:173], v[217:218]
	v_fma_f64 v[168:169], v[4:5], v[18:19], v[174:175]
	v_fma_f64 v[18:19], v[2:3], v[18:19], -v[20:21]
	v_fma_f64 v[8:9], v[8:9], v[22:23], v[16:17]
	v_fma_f64 v[6:7], v[6:7], v[22:23], -v[24:25]
	v_add_f64 v[14:15], v[10:11], v[14:15]
	v_add_f64 v[20:21], v[12:13], v[170:171]
	ds_load_b128 v[2:5], v1 offset:1616
	ds_load_b128 v[10:13], v1 offset:1632
	s_waitcnt vmcnt(4) lgkmcnt(1)
	v_mul_f64 v[170:171], v[2:3], v[28:29]
	v_mul_f64 v[28:29], v[4:5], v[28:29]
	v_add_f64 v[14:15], v[14:15], v[18:19]
	v_add_f64 v[16:17], v[20:21], v[168:169]
	s_waitcnt vmcnt(3) lgkmcnt(0)
	v_mul_f64 v[18:19], v[10:11], v[32:33]
	v_mul_f64 v[20:21], v[12:13], v[32:33]
	v_fma_f64 v[22:23], v[4:5], v[26:27], v[170:171]
	v_fma_f64 v[24:25], v[2:3], v[26:27], -v[28:29]
	v_add_f64 v[14:15], v[14:15], v[6:7]
	v_add_f64 v[16:17], v[16:17], v[8:9]
	ds_load_b128 v[2:5], v1 offset:1648
	ds_load_b128 v[6:9], v1 offset:1664
	v_fma_f64 v[12:13], v[12:13], v[30:31], v[18:19]
	v_fma_f64 v[10:11], v[10:11], v[30:31], -v[20:21]
	s_waitcnt vmcnt(2) lgkmcnt(1)
	v_mul_f64 v[26:27], v[2:3], v[36:37]
	v_mul_f64 v[28:29], v[4:5], v[36:37]
	s_waitcnt vmcnt(1) lgkmcnt(0)
	v_mul_f64 v[18:19], v[6:7], v[166:167]
	v_mul_f64 v[20:21], v[8:9], v[166:167]
	v_add_f64 v[14:15], v[14:15], v[24:25]
	v_add_f64 v[16:17], v[16:17], v[22:23]
	v_fma_f64 v[22:23], v[4:5], v[34:35], v[26:27]
	v_fma_f64 v[24:25], v[2:3], v[34:35], -v[28:29]
	ds_load_b128 v[2:5], v1 offset:1680
	v_fma_f64 v[8:9], v[8:9], v[164:165], v[18:19]
	v_fma_f64 v[6:7], v[6:7], v[164:165], -v[20:21]
	v_add_f64 v[10:11], v[14:15], v[10:11]
	v_add_f64 v[12:13], v[16:17], v[12:13]
	s_waitcnt vmcnt(0) lgkmcnt(0)
	v_mul_f64 v[14:15], v[2:3], v[40:41]
	v_mul_f64 v[16:17], v[4:5], v[40:41]
	s_delay_alu instid0(VALU_DEP_4) | instskip(NEXT) | instid1(VALU_DEP_4)
	v_add_f64 v[10:11], v[10:11], v[24:25]
	v_add_f64 v[12:13], v[12:13], v[22:23]
	s_delay_alu instid0(VALU_DEP_4) | instskip(NEXT) | instid1(VALU_DEP_4)
	v_fma_f64 v[4:5], v[4:5], v[38:39], v[14:15]
	v_fma_f64 v[2:3], v[2:3], v[38:39], -v[16:17]
	s_delay_alu instid0(VALU_DEP_4) | instskip(NEXT) | instid1(VALU_DEP_4)
	v_add_f64 v[6:7], v[10:11], v[6:7]
	v_add_f64 v[8:9], v[12:13], v[8:9]
	s_delay_alu instid0(VALU_DEP_2) | instskip(NEXT) | instid1(VALU_DEP_2)
	v_add_f64 v[2:3], v[6:7], v[2:3]
	v_add_f64 v[4:5], v[8:9], v[4:5]
	s_delay_alu instid0(VALU_DEP_2) | instskip(NEXT) | instid1(VALU_DEP_2)
	v_add_f64 v[2:3], v[42:43], -v[2:3]
	v_add_f64 v[4:5], v[44:45], -v[4:5]
	scratch_store_b128 off, v[2:5], off offset:16
	v_cmpx_ne_u32_e32 0, v152
	s_cbranch_execz .LBB52_331
; %bb.330:
	scratch_load_b128 v[5:8], off, off
	v_mov_b32_e32 v2, v1
	v_mov_b32_e32 v3, v1
	;; [unrolled: 1-line block ×3, first 2 shown]
	scratch_store_b128 off, v[1:4], off
	s_waitcnt vmcnt(0)
	ds_store_b128 v205, v[5:8]
.LBB52_331:
	s_or_b32 exec_lo, exec_lo, s2
	s_waitcnt lgkmcnt(0)
	s_waitcnt_vscnt null, 0x0
	s_barrier
	buffer_gl0_inv
	s_clause 0x8
	scratch_load_b128 v[2:5], off, off offset:16
	scratch_load_b128 v[6:9], off, off offset:32
	;; [unrolled: 1-line block ×9, first 2 shown]
	ds_load_b128 v[42:45], v1 offset:864
	ds_load_b128 v[38:41], v1 offset:880
	s_clause 0x1
	scratch_load_b128 v[164:167], off, off
	scratch_load_b128 v[168:171], off, off offset:160
	s_and_b32 vcc_lo, exec_lo, s20
	s_waitcnt vmcnt(10) lgkmcnt(1)
	v_mul_f64 v[172:173], v[44:45], v[4:5]
	v_mul_f64 v[4:5], v[42:43], v[4:5]
	s_waitcnt vmcnt(9) lgkmcnt(0)
	v_mul_f64 v[199:200], v[38:39], v[8:9]
	v_mul_f64 v[8:9], v[40:41], v[8:9]
	s_delay_alu instid0(VALU_DEP_4) | instskip(NEXT) | instid1(VALU_DEP_4)
	v_fma_f64 v[217:218], v[42:43], v[2:3], -v[172:173]
	v_fma_f64 v[219:220], v[44:45], v[2:3], v[4:5]
	ds_load_b128 v[2:5], v1 offset:896
	ds_load_b128 v[172:175], v1 offset:912
	scratch_load_b128 v[42:45], off, off offset:176
	v_fma_f64 v[40:41], v[40:41], v[6:7], v[199:200]
	v_fma_f64 v[38:39], v[38:39], v[6:7], -v[8:9]
	scratch_load_b128 v[6:9], off, off offset:192
	s_waitcnt vmcnt(10) lgkmcnt(1)
	v_mul_f64 v[221:222], v[2:3], v[12:13]
	v_mul_f64 v[12:13], v[4:5], v[12:13]
	v_add_f64 v[199:200], v[217:218], 0
	v_add_f64 v[217:218], v[219:220], 0
	s_waitcnt vmcnt(9) lgkmcnt(0)
	v_mul_f64 v[219:220], v[172:173], v[16:17]
	v_mul_f64 v[16:17], v[174:175], v[16:17]
	v_fma_f64 v[221:222], v[4:5], v[10:11], v[221:222]
	v_fma_f64 v[223:224], v[2:3], v[10:11], -v[12:13]
	ds_load_b128 v[2:5], v1 offset:928
	scratch_load_b128 v[10:13], off, off offset:208
	v_add_f64 v[199:200], v[199:200], v[38:39]
	v_add_f64 v[217:218], v[217:218], v[40:41]
	ds_load_b128 v[38:41], v1 offset:944
	v_fma_f64 v[174:175], v[174:175], v[14:15], v[219:220]
	v_fma_f64 v[172:173], v[172:173], v[14:15], -v[16:17]
	scratch_load_b128 v[14:17], off, off offset:224
	s_waitcnt vmcnt(10) lgkmcnt(1)
	v_mul_f64 v[225:226], v[2:3], v[20:21]
	v_mul_f64 v[20:21], v[4:5], v[20:21]
	s_waitcnt vmcnt(9) lgkmcnt(0)
	v_mul_f64 v[219:220], v[38:39], v[24:25]
	v_mul_f64 v[24:25], v[40:41], v[24:25]
	v_add_f64 v[199:200], v[199:200], v[223:224]
	v_add_f64 v[217:218], v[217:218], v[221:222]
	v_fma_f64 v[221:222], v[4:5], v[18:19], v[225:226]
	v_fma_f64 v[223:224], v[2:3], v[18:19], -v[20:21]
	ds_load_b128 v[2:5], v1 offset:960
	scratch_load_b128 v[18:21], off, off offset:240
	v_fma_f64 v[40:41], v[40:41], v[22:23], v[219:220]
	v_fma_f64 v[38:39], v[38:39], v[22:23], -v[24:25]
	scratch_load_b128 v[22:25], off, off offset:256
	v_add_f64 v[199:200], v[199:200], v[172:173]
	v_add_f64 v[217:218], v[217:218], v[174:175]
	ds_load_b128 v[172:175], v1 offset:976
	s_waitcnt vmcnt(10) lgkmcnt(1)
	v_mul_f64 v[225:226], v[2:3], v[28:29]
	v_mul_f64 v[28:29], v[4:5], v[28:29]
	s_waitcnt vmcnt(9) lgkmcnt(0)
	v_mul_f64 v[219:220], v[172:173], v[32:33]
	v_mul_f64 v[32:33], v[174:175], v[32:33]
	v_add_f64 v[199:200], v[199:200], v[223:224]
	v_add_f64 v[217:218], v[217:218], v[221:222]
	v_fma_f64 v[221:222], v[4:5], v[26:27], v[225:226]
	v_fma_f64 v[223:224], v[2:3], v[26:27], -v[28:29]
	ds_load_b128 v[2:5], v1 offset:992
	scratch_load_b128 v[26:29], off, off offset:272
	v_fma_f64 v[174:175], v[174:175], v[30:31], v[219:220]
	v_fma_f64 v[172:173], v[172:173], v[30:31], -v[32:33]
	scratch_load_b128 v[30:33], off, off offset:288
	v_add_f64 v[199:200], v[199:200], v[38:39]
	v_add_f64 v[217:218], v[217:218], v[40:41]
	ds_load_b128 v[38:41], v1 offset:1008
	s_waitcnt vmcnt(10) lgkmcnt(1)
	v_mul_f64 v[225:226], v[2:3], v[36:37]
	v_mul_f64 v[36:37], v[4:5], v[36:37]
	s_waitcnt vmcnt(8) lgkmcnt(0)
	v_mul_f64 v[219:220], v[38:39], v[170:171]
	v_add_f64 v[199:200], v[199:200], v[223:224]
	v_add_f64 v[217:218], v[217:218], v[221:222]
	v_mul_f64 v[221:222], v[40:41], v[170:171]
	v_fma_f64 v[223:224], v[4:5], v[34:35], v[225:226]
	v_fma_f64 v[225:226], v[2:3], v[34:35], -v[36:37]
	ds_load_b128 v[2:5], v1 offset:1024
	scratch_load_b128 v[34:37], off, off offset:304
	v_fma_f64 v[219:220], v[40:41], v[168:169], v[219:220]
	v_add_f64 v[199:200], v[199:200], v[172:173]
	v_add_f64 v[174:175], v[217:218], v[174:175]
	ds_load_b128 v[170:173], v1 offset:1040
	v_fma_f64 v[168:169], v[38:39], v[168:169], -v[221:222]
	scratch_load_b128 v[38:41], off, off offset:320
	s_waitcnt vmcnt(9) lgkmcnt(1)
	v_mul_f64 v[217:218], v[2:3], v[44:45]
	v_mul_f64 v[44:45], v[4:5], v[44:45]
	s_waitcnt vmcnt(8) lgkmcnt(0)
	v_mul_f64 v[221:222], v[170:171], v[8:9]
	v_mul_f64 v[8:9], v[172:173], v[8:9]
	v_add_f64 v[199:200], v[199:200], v[225:226]
	v_add_f64 v[174:175], v[174:175], v[223:224]
	v_fma_f64 v[223:224], v[4:5], v[42:43], v[217:218]
	v_fma_f64 v[225:226], v[2:3], v[42:43], -v[44:45]
	ds_load_b128 v[2:5], v1 offset:1056
	scratch_load_b128 v[42:45], off, off offset:336
	v_fma_f64 v[172:173], v[172:173], v[6:7], v[221:222]
	v_fma_f64 v[170:171], v[170:171], v[6:7], -v[8:9]
	scratch_load_b128 v[6:9], off, off offset:352
	v_add_f64 v[168:169], v[199:200], v[168:169]
	v_add_f64 v[174:175], v[174:175], v[219:220]
	ds_load_b128 v[217:220], v1 offset:1072
	s_waitcnt vmcnt(9) lgkmcnt(1)
	v_mul_f64 v[199:200], v[2:3], v[12:13]
	v_mul_f64 v[12:13], v[4:5], v[12:13]
	s_waitcnt vmcnt(8) lgkmcnt(0)
	v_mul_f64 v[221:222], v[217:218], v[16:17]
	v_mul_f64 v[16:17], v[219:220], v[16:17]
	v_add_f64 v[168:169], v[168:169], v[225:226]
	v_add_f64 v[174:175], v[174:175], v[223:224]
	v_fma_f64 v[199:200], v[4:5], v[10:11], v[199:200]
	v_fma_f64 v[223:224], v[2:3], v[10:11], -v[12:13]
	ds_load_b128 v[2:5], v1 offset:1088
	scratch_load_b128 v[10:13], off, off offset:368
	v_fma_f64 v[219:220], v[219:220], v[14:15], v[221:222]
	v_fma_f64 v[217:218], v[217:218], v[14:15], -v[16:17]
	scratch_load_b128 v[14:17], off, off offset:384
	v_add_f64 v[225:226], v[168:169], v[170:171]
	v_add_f64 v[172:173], v[174:175], v[172:173]
	ds_load_b128 v[168:171], v1 offset:1104
	s_waitcnt vmcnt(9) lgkmcnt(1)
	v_mul_f64 v[174:175], v[2:3], v[20:21]
	v_mul_f64 v[20:21], v[4:5], v[20:21]
	v_add_f64 v[221:222], v[225:226], v[223:224]
	v_add_f64 v[172:173], v[172:173], v[199:200]
	s_waitcnt vmcnt(8) lgkmcnt(0)
	v_mul_f64 v[199:200], v[168:169], v[24:25]
	v_mul_f64 v[24:25], v[170:171], v[24:25]
	v_fma_f64 v[223:224], v[4:5], v[18:19], v[174:175]
	v_fma_f64 v[225:226], v[2:3], v[18:19], -v[20:21]
	ds_load_b128 v[2:5], v1 offset:1120
	scratch_load_b128 v[18:21], off, off offset:400
	v_add_f64 v[217:218], v[221:222], v[217:218]
	v_add_f64 v[219:220], v[172:173], v[219:220]
	ds_load_b128 v[172:175], v1 offset:1136
	s_waitcnt vmcnt(8) lgkmcnt(1)
	v_mul_f64 v[221:222], v[2:3], v[28:29]
	v_mul_f64 v[28:29], v[4:5], v[28:29]
	v_fma_f64 v[170:171], v[170:171], v[22:23], v[199:200]
	v_fma_f64 v[168:169], v[168:169], v[22:23], -v[24:25]
	scratch_load_b128 v[22:25], off, off offset:416
	v_add_f64 v[199:200], v[217:218], v[225:226]
	v_add_f64 v[217:218], v[219:220], v[223:224]
	s_waitcnt vmcnt(8) lgkmcnt(0)
	v_mul_f64 v[219:220], v[172:173], v[32:33]
	v_mul_f64 v[32:33], v[174:175], v[32:33]
	v_fma_f64 v[221:222], v[4:5], v[26:27], v[221:222]
	v_fma_f64 v[223:224], v[2:3], v[26:27], -v[28:29]
	ds_load_b128 v[2:5], v1 offset:1152
	scratch_load_b128 v[26:29], off, off offset:432
	v_add_f64 v[199:200], v[199:200], v[168:169]
	v_add_f64 v[217:218], v[217:218], v[170:171]
	ds_load_b128 v[168:171], v1 offset:1168
	s_waitcnt vmcnt(8) lgkmcnt(1)
	v_mul_f64 v[225:226], v[2:3], v[36:37]
	v_mul_f64 v[36:37], v[4:5], v[36:37]
	v_fma_f64 v[174:175], v[174:175], v[30:31], v[219:220]
	v_fma_f64 v[172:173], v[172:173], v[30:31], -v[32:33]
	scratch_load_b128 v[30:33], off, off offset:448
	s_waitcnt vmcnt(8) lgkmcnt(0)
	v_mul_f64 v[219:220], v[168:169], v[40:41]
	v_mul_f64 v[40:41], v[170:171], v[40:41]
	v_add_f64 v[199:200], v[199:200], v[223:224]
	v_add_f64 v[217:218], v[217:218], v[221:222]
	v_fma_f64 v[221:222], v[4:5], v[34:35], v[225:226]
	v_fma_f64 v[223:224], v[2:3], v[34:35], -v[36:37]
	ds_load_b128 v[2:5], v1 offset:1184
	scratch_load_b128 v[34:37], off, off offset:464
	v_fma_f64 v[170:171], v[170:171], v[38:39], v[219:220]
	v_fma_f64 v[168:169], v[168:169], v[38:39], -v[40:41]
	scratch_load_b128 v[38:41], off, off offset:480
	v_add_f64 v[199:200], v[199:200], v[172:173]
	v_add_f64 v[217:218], v[217:218], v[174:175]
	ds_load_b128 v[172:175], v1 offset:1200
	s_waitcnt vmcnt(9) lgkmcnt(1)
	v_mul_f64 v[225:226], v[2:3], v[44:45]
	v_mul_f64 v[44:45], v[4:5], v[44:45]
	s_waitcnt vmcnt(8) lgkmcnt(0)
	v_mul_f64 v[219:220], v[172:173], v[8:9]
	v_mul_f64 v[8:9], v[174:175], v[8:9]
	v_add_f64 v[199:200], v[199:200], v[223:224]
	v_add_f64 v[217:218], v[217:218], v[221:222]
	v_fma_f64 v[221:222], v[4:5], v[42:43], v[225:226]
	v_fma_f64 v[223:224], v[2:3], v[42:43], -v[44:45]
	ds_load_b128 v[2:5], v1 offset:1216
	scratch_load_b128 v[42:45], off, off offset:496
	v_fma_f64 v[174:175], v[174:175], v[6:7], v[219:220]
	v_fma_f64 v[172:173], v[172:173], v[6:7], -v[8:9]
	scratch_load_b128 v[6:9], off, off offset:512
	v_add_f64 v[199:200], v[199:200], v[168:169]
	v_add_f64 v[217:218], v[217:218], v[170:171]
	ds_load_b128 v[168:171], v1 offset:1232
	s_waitcnt vmcnt(9) lgkmcnt(1)
	v_mul_f64 v[225:226], v[2:3], v[12:13]
	v_mul_f64 v[12:13], v[4:5], v[12:13]
	;; [unrolled: 18-line block ×12, first 2 shown]
	s_waitcnt vmcnt(8) lgkmcnt(0)
	v_mul_f64 v[219:220], v[168:169], v[16:17]
	v_mul_f64 v[16:17], v[170:171], v[16:17]
	v_add_f64 v[199:200], v[199:200], v[223:224]
	v_add_f64 v[217:218], v[217:218], v[221:222]
	v_fma_f64 v[221:222], v[4:5], v[10:11], v[225:226]
	v_fma_f64 v[223:224], v[2:3], v[10:11], -v[12:13]
	ds_load_b128 v[2:5], v1 offset:1568
	ds_load_b128 v[10:13], v1 offset:1584
	v_fma_f64 v[170:171], v[170:171], v[14:15], v[219:220]
	v_fma_f64 v[14:15], v[168:169], v[14:15], -v[16:17]
	v_add_f64 v[172:173], v[199:200], v[172:173]
	v_add_f64 v[174:175], v[217:218], v[174:175]
	s_waitcnt vmcnt(7) lgkmcnt(1)
	v_mul_f64 v[199:200], v[2:3], v[20:21]
	v_mul_f64 v[20:21], v[4:5], v[20:21]
	s_delay_alu instid0(VALU_DEP_4) | instskip(NEXT) | instid1(VALU_DEP_4)
	v_add_f64 v[16:17], v[172:173], v[223:224]
	v_add_f64 v[168:169], v[174:175], v[221:222]
	s_waitcnt vmcnt(6) lgkmcnt(0)
	v_mul_f64 v[172:173], v[10:11], v[24:25]
	v_mul_f64 v[24:25], v[12:13], v[24:25]
	v_fma_f64 v[174:175], v[4:5], v[18:19], v[199:200]
	v_fma_f64 v[18:19], v[2:3], v[18:19], -v[20:21]
	v_add_f64 v[20:21], v[16:17], v[14:15]
	v_add_f64 v[168:169], v[168:169], v[170:171]
	ds_load_b128 v[2:5], v1 offset:1600
	ds_load_b128 v[14:17], v1 offset:1616
	v_fma_f64 v[12:13], v[12:13], v[22:23], v[172:173]
	v_fma_f64 v[10:11], v[10:11], v[22:23], -v[24:25]
	s_waitcnt vmcnt(5) lgkmcnt(1)
	v_mul_f64 v[170:171], v[2:3], v[28:29]
	v_mul_f64 v[28:29], v[4:5], v[28:29]
	s_waitcnt vmcnt(4) lgkmcnt(0)
	v_mul_f64 v[22:23], v[14:15], v[32:33]
	v_mul_f64 v[24:25], v[16:17], v[32:33]
	v_add_f64 v[18:19], v[20:21], v[18:19]
	v_add_f64 v[20:21], v[168:169], v[174:175]
	v_fma_f64 v[32:33], v[4:5], v[26:27], v[170:171]
	v_fma_f64 v[26:27], v[2:3], v[26:27], -v[28:29]
	v_fma_f64 v[16:17], v[16:17], v[30:31], v[22:23]
	v_fma_f64 v[14:15], v[14:15], v[30:31], -v[24:25]
	v_add_f64 v[18:19], v[18:19], v[10:11]
	v_add_f64 v[20:21], v[20:21], v[12:13]
	ds_load_b128 v[2:5], v1 offset:1632
	ds_load_b128 v[10:13], v1 offset:1648
	s_waitcnt vmcnt(3) lgkmcnt(1)
	v_mul_f64 v[28:29], v[2:3], v[36:37]
	v_mul_f64 v[36:37], v[4:5], v[36:37]
	s_waitcnt vmcnt(2) lgkmcnt(0)
	v_mul_f64 v[22:23], v[10:11], v[40:41]
	v_mul_f64 v[24:25], v[12:13], v[40:41]
	v_add_f64 v[18:19], v[18:19], v[26:27]
	v_add_f64 v[20:21], v[20:21], v[32:33]
	v_fma_f64 v[26:27], v[4:5], v[34:35], v[28:29]
	v_fma_f64 v[28:29], v[2:3], v[34:35], -v[36:37]
	v_fma_f64 v[12:13], v[12:13], v[38:39], v[22:23]
	v_fma_f64 v[10:11], v[10:11], v[38:39], -v[24:25]
	v_add_f64 v[18:19], v[18:19], v[14:15]
	v_add_f64 v[20:21], v[20:21], v[16:17]
	ds_load_b128 v[2:5], v1 offset:1664
	ds_load_b128 v[14:17], v1 offset:1680
	s_waitcnt vmcnt(1) lgkmcnt(1)
	v_mul_f64 v[30:31], v[2:3], v[44:45]
	v_mul_f64 v[32:33], v[4:5], v[44:45]
	s_waitcnt vmcnt(0) lgkmcnt(0)
	v_mul_f64 v[22:23], v[14:15], v[8:9]
	v_mul_f64 v[8:9], v[16:17], v[8:9]
	v_add_f64 v[18:19], v[18:19], v[28:29]
	v_add_f64 v[20:21], v[20:21], v[26:27]
	v_fma_f64 v[4:5], v[4:5], v[42:43], v[30:31]
	v_fma_f64 v[1:2], v[2:3], v[42:43], -v[32:33]
	v_fma_f64 v[16:17], v[16:17], v[6:7], v[22:23]
	v_fma_f64 v[6:7], v[14:15], v[6:7], -v[8:9]
	v_add_f64 v[10:11], v[18:19], v[10:11]
	v_add_f64 v[12:13], v[20:21], v[12:13]
	s_delay_alu instid0(VALU_DEP_2) | instskip(NEXT) | instid1(VALU_DEP_2)
	v_add_f64 v[1:2], v[10:11], v[1:2]
	v_add_f64 v[3:4], v[12:13], v[4:5]
	s_delay_alu instid0(VALU_DEP_2) | instskip(NEXT) | instid1(VALU_DEP_2)
	;; [unrolled: 3-line block ×3, first 2 shown]
	v_add_f64 v[1:2], v[164:165], -v[1:2]
	v_add_f64 v[3:4], v[166:167], -v[3:4]
	scratch_store_b128 off, v[1:4], off
	s_cbranch_vccz .LBB52_437
; %bb.332:
	v_dual_mov_b32 v1, s16 :: v_dual_mov_b32 v2, s17
	s_load_b64 s[0:1], s[0:1], 0x4
	flat_load_b32 v1, v[1:2] offset:204
	v_bfe_u32 v2, v0, 10, 10
	v_bfe_u32 v0, v0, 20, 10
	s_waitcnt lgkmcnt(0)
	s_lshr_b32 s0, s0, 16
	s_delay_alu instid0(VALU_DEP_2) | instskip(SKIP_1) | instid1(SALU_CYCLE_1)
	v_mul_u32_u24_e32 v2, s1, v2
	s_mul_i32 s0, s0, s1
	v_mul_u32_u24_e32 v3, s0, v152
	s_mov_b32 s0, exec_lo
	s_delay_alu instid0(VALU_DEP_1) | instskip(NEXT) | instid1(VALU_DEP_1)
	v_add3_u32 v0, v3, v2, v0
	v_lshl_add_u32 v0, v0, 4, 0x6a8
	s_waitcnt vmcnt(0)
	v_cmpx_ne_u32_e32 52, v1
	s_cbranch_execz .LBB52_334
; %bb.333:
	v_lshl_add_u32 v9, v1, 4, 0
	s_clause 0x1
	scratch_load_b128 v[1:4], v157, off
	scratch_load_b128 v[5:8], v9, off offset:-16
	s_waitcnt vmcnt(1)
	ds_store_2addr_b64 v0, v[1:2], v[3:4] offset1:1
	s_waitcnt vmcnt(0)
	s_clause 0x1
	scratch_store_b128 v157, v[5:8], off
	scratch_store_b128 v9, v[1:4], off offset:-16
.LBB52_334:
	s_or_b32 exec_lo, exec_lo, s0
	v_dual_mov_b32 v1, s16 :: v_dual_mov_b32 v2, s17
	s_mov_b32 s0, exec_lo
	flat_load_b32 v1, v[1:2] offset:200
	s_waitcnt vmcnt(0) lgkmcnt(0)
	v_cmpx_ne_u32_e32 51, v1
	s_cbranch_execz .LBB52_336
; %bb.335:
	v_lshl_add_u32 v9, v1, 4, 0
	s_clause 0x1
	scratch_load_b128 v[1:4], v159, off
	scratch_load_b128 v[5:8], v9, off offset:-16
	s_waitcnt vmcnt(1)
	ds_store_2addr_b64 v0, v[1:2], v[3:4] offset1:1
	s_waitcnt vmcnt(0)
	s_clause 0x1
	scratch_store_b128 v159, v[5:8], off
	scratch_store_b128 v9, v[1:4], off offset:-16
.LBB52_336:
	s_or_b32 exec_lo, exec_lo, s0
	v_dual_mov_b32 v1, s16 :: v_dual_mov_b32 v2, s17
	s_mov_b32 s0, exec_lo
	flat_load_b32 v1, v[1:2] offset:196
	s_waitcnt vmcnt(0) lgkmcnt(0)
	;; [unrolled: 19-line block ×50, first 2 shown]
	v_cmpx_ne_u32_e32 2, v1
	s_cbranch_execz .LBB52_434
; %bb.433:
	v_lshl_add_u32 v9, v1, 4, 0
	s_clause 0x1
	scratch_load_b128 v[1:4], v204, off
	scratch_load_b128 v[5:8], v9, off offset:-16
	s_waitcnt vmcnt(1)
	ds_store_2addr_b64 v0, v[1:2], v[3:4] offset1:1
	s_waitcnt vmcnt(0)
	s_clause 0x1
	scratch_store_b128 v204, v[5:8], off
	scratch_store_b128 v9, v[1:4], off offset:-16
.LBB52_434:
	s_or_b32 exec_lo, exec_lo, s0
	v_dual_mov_b32 v1, s16 :: v_dual_mov_b32 v2, s17
	s_mov_b32 s0, exec_lo
	flat_load_b32 v1, v[1:2]
	s_waitcnt vmcnt(0) lgkmcnt(0)
	v_cmpx_ne_u32_e32 1, v1
	s_cbranch_execz .LBB52_436
; %bb.435:
	v_lshl_add_u32 v9, v1, 4, 0
	scratch_load_b128 v[1:4], off, off
	scratch_load_b128 v[5:8], v9, off offset:-16
	s_waitcnt vmcnt(1)
	ds_store_2addr_b64 v0, v[1:2], v[3:4] offset1:1
	s_waitcnt vmcnt(0)
	scratch_store_b128 off, v[5:8], off
	scratch_store_b128 v9, v[1:4], off offset:-16
.LBB52_436:
	s_or_b32 exec_lo, exec_lo, s0
.LBB52_437:
	scratch_load_b128 v[0:3], off, off
	s_clause 0x17
	scratch_load_b128 v[4:7], v204, off
	scratch_load_b128 v[8:11], v203, off
	;; [unrolled: 1-line block ×24, first 2 shown]
	s_waitcnt vmcnt(24)
	global_store_b128 v[46:47], v[0:3], off
	s_clause 0x1
	scratch_load_b128 v[0:3], v180, off
	scratch_load_b128 v[44:47], v179, off
	s_waitcnt vmcnt(25)
	global_store_b128 v[48:49], v[4:7], off
	s_clause 0x1
	scratch_load_b128 v[4:7], v178, off
	scratch_load_b128 v[178:181], v176, off
	s_waitcnt vmcnt(26)
	global_store_b128 v[50:51], v[8:11], off
	s_clause 0x1
	scratch_load_b128 v[8:11], v216, off
	scratch_load_b128 v[48:51], v215, off
	s_waitcnt vmcnt(27)
	global_store_b128 v[52:53], v[12:15], off
	s_clause 0x1
	scratch_load_b128 v[12:15], v214, off
	scratch_load_b128 v[213:216], v213, off
	s_waitcnt vmcnt(28)
	global_store_b128 v[54:55], v[16:19], off
	s_clause 0x1
	scratch_load_b128 v[16:19], v212, off
	scratch_load_b128 v[52:55], v211, off
	s_waitcnt vmcnt(29)
	global_store_b128 v[56:57], v[20:23], off
	s_clause 0x1
	scratch_load_b128 v[20:23], v210, off
	scratch_load_b128 v[209:212], v209, off
	s_waitcnt vmcnt(30)
	global_store_b128 v[58:59], v[24:27], off
	s_clause 0x1
	scratch_load_b128 v[24:27], v208, off
	scratch_load_b128 v[56:59], v207, off
	s_waitcnt vmcnt(31)
	global_store_b128 v[60:61], v[28:31], off
	s_clause 0x1
	scratch_load_b128 v[28:31], v206, off
	scratch_load_b128 v[203:206], v154, off
	s_waitcnt vmcnt(32)
	global_store_b128 v[62:63], v[32:35], off
	s_clause 0x1
	scratch_load_b128 v[32:35], v153, off
	scratch_load_b128 v[60:63], v177, off
	s_waitcnt vmcnt(33)
	global_store_b128 v[64:65], v[36:39], off
	s_clause 0x1
	scratch_load_b128 v[36:39], v198, off
	scratch_load_b128 v[152:155], v163, off
	s_waitcnt vmcnt(34)
	global_store_b128 v[66:67], v[40:43], off
	s_clause 0x1
	scratch_load_b128 v[40:43], v162, off
	scratch_load_b128 v[64:67], v160, off
	s_waitcnt vmcnt(35)
	global_store_b128 v[68:69], v[164:167], off
	s_clause 0x1
	scratch_load_b128 v[162:165], v158, off
	scratch_load_b128 v[245:248], v156, off
	s_waitcnt vmcnt(36)
	global_store_b128 v[70:71], v[168:171], off
	s_clause 0x1
	scratch_load_b128 v[68:71], v161, off
	scratch_load_b128 v[158:161], v159, off
	s_waitcnt vmcnt(37)
	global_store_b128 v[72:73], v[172:175], off
	s_clause 0x1
	scratch_load_b128 v[166:169], v157, off
	scratch_load_b128 v[170:173], v197, off
	s_waitcnt vmcnt(38)
	global_store_b128 v[74:75], v[191:194], off
	s_waitcnt vmcnt(37)
	global_store_b128 v[76:77], v[199:202], off
	;; [unrolled: 2-line block ×39, first 2 shown]
	s_endpgm
	.section	.rodata,"a",@progbits
	.p2align	6, 0x0
	.amdhsa_kernel _ZN9rocsolver6v33100L18getri_kernel_smallILi53E19rocblas_complex_numIdEPS3_EEvT1_iilPiilS6_bb
		.amdhsa_group_segment_fixed_size 2728
		.amdhsa_private_segment_fixed_size 864
		.amdhsa_kernarg_size 60
		.amdhsa_user_sgpr_count 15
		.amdhsa_user_sgpr_dispatch_ptr 1
		.amdhsa_user_sgpr_queue_ptr 0
		.amdhsa_user_sgpr_kernarg_segment_ptr 1
		.amdhsa_user_sgpr_dispatch_id 0
		.amdhsa_user_sgpr_private_segment_size 0
		.amdhsa_wavefront_size32 1
		.amdhsa_uses_dynamic_stack 0
		.amdhsa_enable_private_segment 1
		.amdhsa_system_sgpr_workgroup_id_x 1
		.amdhsa_system_sgpr_workgroup_id_y 0
		.amdhsa_system_sgpr_workgroup_id_z 0
		.amdhsa_system_sgpr_workgroup_info 0
		.amdhsa_system_vgpr_workitem_id 2
		.amdhsa_next_free_vgpr 256
		.amdhsa_next_free_sgpr 59
		.amdhsa_reserve_vcc 1
		.amdhsa_float_round_mode_32 0
		.amdhsa_float_round_mode_16_64 0
		.amdhsa_float_denorm_mode_32 3
		.amdhsa_float_denorm_mode_16_64 3
		.amdhsa_dx10_clamp 1
		.amdhsa_ieee_mode 1
		.amdhsa_fp16_overflow 0
		.amdhsa_workgroup_processor_mode 1
		.amdhsa_memory_ordered 1
		.amdhsa_forward_progress 0
		.amdhsa_shared_vgpr_count 0
		.amdhsa_exception_fp_ieee_invalid_op 0
		.amdhsa_exception_fp_denorm_src 0
		.amdhsa_exception_fp_ieee_div_zero 0
		.amdhsa_exception_fp_ieee_overflow 0
		.amdhsa_exception_fp_ieee_underflow 0
		.amdhsa_exception_fp_ieee_inexact 0
		.amdhsa_exception_int_div_zero 0
	.end_amdhsa_kernel
	.section	.text._ZN9rocsolver6v33100L18getri_kernel_smallILi53E19rocblas_complex_numIdEPS3_EEvT1_iilPiilS6_bb,"axG",@progbits,_ZN9rocsolver6v33100L18getri_kernel_smallILi53E19rocblas_complex_numIdEPS3_EEvT1_iilPiilS6_bb,comdat
.Lfunc_end52:
	.size	_ZN9rocsolver6v33100L18getri_kernel_smallILi53E19rocblas_complex_numIdEPS3_EEvT1_iilPiilS6_bb, .Lfunc_end52-_ZN9rocsolver6v33100L18getri_kernel_smallILi53E19rocblas_complex_numIdEPS3_EEvT1_iilPiilS6_bb
                                        ; -- End function
	.section	.AMDGPU.csdata,"",@progbits
; Kernel info:
; codeLenInByte = 126556
; NumSgprs: 61
; NumVgprs: 256
; ScratchSize: 864
; MemoryBound: 0
; FloatMode: 240
; IeeeMode: 1
; LDSByteSize: 2728 bytes/workgroup (compile time only)
; SGPRBlocks: 7
; VGPRBlocks: 31
; NumSGPRsForWavesPerEU: 61
; NumVGPRsForWavesPerEU: 256
; Occupancy: 5
; WaveLimiterHint : 1
; COMPUTE_PGM_RSRC2:SCRATCH_EN: 1
; COMPUTE_PGM_RSRC2:USER_SGPR: 15
; COMPUTE_PGM_RSRC2:TRAP_HANDLER: 0
; COMPUTE_PGM_RSRC2:TGID_X_EN: 1
; COMPUTE_PGM_RSRC2:TGID_Y_EN: 0
; COMPUTE_PGM_RSRC2:TGID_Z_EN: 0
; COMPUTE_PGM_RSRC2:TIDIG_COMP_CNT: 2
	.section	.text._ZN9rocsolver6v33100L18getri_kernel_smallILi54E19rocblas_complex_numIdEPS3_EEvT1_iilPiilS6_bb,"axG",@progbits,_ZN9rocsolver6v33100L18getri_kernel_smallILi54E19rocblas_complex_numIdEPS3_EEvT1_iilPiilS6_bb,comdat
	.globl	_ZN9rocsolver6v33100L18getri_kernel_smallILi54E19rocblas_complex_numIdEPS3_EEvT1_iilPiilS6_bb ; -- Begin function _ZN9rocsolver6v33100L18getri_kernel_smallILi54E19rocblas_complex_numIdEPS3_EEvT1_iilPiilS6_bb
	.p2align	8
	.type	_ZN9rocsolver6v33100L18getri_kernel_smallILi54E19rocblas_complex_numIdEPS3_EEvT1_iilPiilS6_bb,@function
_ZN9rocsolver6v33100L18getri_kernel_smallILi54E19rocblas_complex_numIdEPS3_EEvT1_iilPiilS6_bb: ; @_ZN9rocsolver6v33100L18getri_kernel_smallILi54E19rocblas_complex_numIdEPS3_EEvT1_iilPiilS6_bb
; %bb.0:
	v_and_b32_e32 v154, 0x3ff, v0
	s_mov_b32 s4, exec_lo
	s_delay_alu instid0(VALU_DEP_1)
	v_cmpx_gt_u32_e32 54, v154
	s_cbranch_execz .LBB53_230
; %bb.1:
	s_mov_b32 s18, s15
	s_clause 0x2
	s_load_b32 s21, s[2:3], 0x38
	s_load_b128 s[12:15], s[2:3], 0x10
	s_load_b128 s[4:7], s[2:3], 0x28
                                        ; implicit-def: $sgpr16_sgpr17
	s_waitcnt lgkmcnt(0)
	s_bitcmp1_b32 s21, 8
	s_cselect_b32 s20, -1, 0
	s_bfe_u32 s8, s21, 0x10008
	s_ashr_i32 s19, s18, 31
	s_cmp_eq_u32 s8, 0
	s_cbranch_scc1 .LBB53_3
; %bb.2:
	s_load_b32 s8, s[2:3], 0x20
	s_mul_i32 s5, s18, s5
	s_mul_hi_u32 s9, s18, s4
	s_mul_i32 s10, s19, s4
	s_add_i32 s5, s9, s5
	s_mul_i32 s4, s18, s4
	s_add_i32 s5, s5, s10
	s_delay_alu instid0(SALU_CYCLE_1)
	s_lshl_b64 s[4:5], s[4:5], 2
	s_waitcnt lgkmcnt(0)
	s_ashr_i32 s9, s8, 31
	s_add_u32 s10, s14, s4
	s_addc_u32 s11, s15, s5
	s_lshl_b64 s[4:5], s[8:9], 2
	s_delay_alu instid0(SALU_CYCLE_1)
	s_add_u32 s16, s10, s4
	s_addc_u32 s17, s11, s5
.LBB53_3:
	s_load_b128 s[8:11], s[2:3], 0x0
	s_mul_i32 s2, s18, s13
	s_mul_hi_u32 s3, s18, s12
	s_mul_i32 s4, s19, s12
	s_add_i32 s3, s3, s2
	s_mul_i32 s2, s18, s12
	s_add_i32 s3, s3, s4
	v_lshlrev_b32_e32 v13, 4, v154
	s_lshl_b64 s[2:3], s[2:3], 4
	s_movk_i32 s14, 0xf0
	s_movk_i32 s15, 0x100
	;; [unrolled: 1-line block ×11, first 2 shown]
	s_waitcnt lgkmcnt(0)
	v_add3_u32 v5, s11, s11, v154
	s_ashr_i32 s5, s10, 31
	s_mov_b32 s4, s10
	s_add_u32 s8, s8, s2
	s_addc_u32 s9, s9, s3
	v_add_nc_u32_e32 v7, s11, v5
	s_lshl_b64 s[2:3], s[4:5], 4
	v_ashrrev_i32_e32 v6, 31, v5
	s_add_u32 s2, s8, s2
	s_addc_u32 s3, s9, s3
	v_add_nc_u32_e32 v9, s11, v7
	v_add_co_u32 v46, s4, s2, v13
	s_mov_b32 s12, s11
	s_ashr_i32 s13, s11, 31
	s_delay_alu instid0(VALU_DEP_2) | instskip(SKIP_3) | instid1(VALU_DEP_3)
	v_add_nc_u32_e32 v14, s11, v9
	v_add_co_ci_u32_e64 v47, null, s3, 0, s4
	v_lshlrev_b64 v[5:6], 4, v[5:6]
	s_lshl_b64 s[4:5], s[12:13], 4
	v_add_nc_u32_e32 v16, s11, v14
	v_ashrrev_i32_e32 v8, 31, v7
	v_add_co_u32 v11, vcc_lo, v46, s4
	v_add_co_ci_u32_e32 v12, vcc_lo, s5, v47, vcc_lo
	s_delay_alu instid0(VALU_DEP_4) | instskip(SKIP_3) | instid1(VALU_DEP_4)
	v_add_nc_u32_e32 v22, s11, v16
	v_ashrrev_i32_e32 v10, 31, v9
	v_add_co_u32 v25, vcc_lo, s2, v5
	v_lshlrev_b64 v[17:18], 4, v[7:8]
	v_add_nc_u32_e32 v24, s11, v22
	v_add_co_ci_u32_e32 v26, vcc_lo, s3, v6, vcc_lo
	v_ashrrev_i32_e32 v15, 31, v14
	v_lshlrev_b64 v[19:20], 4, v[9:10]
	s_delay_alu instid0(VALU_DEP_4)
	v_add_nc_u32_e32 v30, s11, v24
	s_clause 0x1
	global_load_b128 v[1:4], v13, s[2:3]
	global_load_b128 v[5:8], v[11:12], off
	s_clause 0x1
	scratch_store_b64 off, v[11:12], off offset:864
	scratch_store_b64 off, v[25:26], off offset:872
	v_add_nc_u32_e32 v32, s11, v30
	global_load_b128 v[9:12], v[25:26], off
	v_add_co_u32 v52, vcc_lo, s2, v17
	v_lshlrev_b64 v[25:26], 4, v[14:15]
	v_ashrrev_i32_e32 v17, 31, v16
	v_add_nc_u32_e32 v38, s11, v32
	v_add_co_ci_u32_e32 v53, vcc_lo, s3, v18, vcc_lo
	v_add_co_u32 v54, vcc_lo, s2, v19
	v_ashrrev_i32_e32 v23, 31, v22
	v_add_co_ci_u32_e32 v55, vcc_lo, s3, v20, vcc_lo
	v_lshlrev_b64 v[27:28], 4, v[16:17]
	v_add_nc_u32_e32 v40, s11, v38
	v_add_co_u32 v56, vcc_lo, s2, v25
	v_ashrrev_i32_e32 v25, 31, v24
	v_lshlrev_b64 v[33:34], 4, v[22:23]
	v_ashrrev_i32_e32 v31, 31, v30
	v_add_co_ci_u32_e32 v57, vcc_lo, s3, v26, vcc_lo
	v_add_nc_u32_e32 v72, s11, v40
	v_add_co_u32 v58, vcc_lo, s2, v27
	v_lshlrev_b64 v[35:36], 4, v[24:25]
	v_add_co_ci_u32_e32 v59, vcc_lo, s3, v28, vcc_lo
	v_add_co_u32 v60, vcc_lo, s2, v33
	v_lshlrev_b64 v[41:42], 4, v[30:31]
	v_ashrrev_i32_e32 v33, 31, v32
	v_add_nc_u32_e32 v74, s11, v72
	v_add_co_ci_u32_e32 v61, vcc_lo, s3, v34, vcc_lo
	v_add_co_u32 v62, vcc_lo, s2, v35
	v_ashrrev_i32_e32 v39, 31, v38
	v_add_co_ci_u32_e32 v63, vcc_lo, s3, v36, vcc_lo
	v_lshlrev_b64 v[43:44], 4, v[32:33]
	v_add_co_u32 v64, vcc_lo, s2, v41
	v_ashrrev_i32_e32 v41, 31, v40
	v_add_nc_u32_e32 v76, s11, v74
	v_lshlrev_b64 v[68:69], 4, v[38:39]
	v_ashrrev_i32_e32 v73, 31, v72
	v_add_co_ci_u32_e32 v65, vcc_lo, s3, v42, vcc_lo
	v_add_co_u32 v66, vcc_lo, s2, v43
	v_lshlrev_b64 v[89:90], 4, v[40:41]
	v_add_nc_u32_e32 v78, s11, v76
	v_ashrrev_i32_e32 v75, 31, v74
	v_add_co_ci_u32_e32 v67, vcc_lo, s3, v44, vcc_lo
	v_add_co_u32 v70, vcc_lo, s2, v68
	v_lshlrev_b64 v[72:73], 4, v[72:73]
	v_add_co_ci_u32_e32 v71, vcc_lo, s3, v69, vcc_lo
	v_add_nc_u32_e32 v80, s11, v78
	v_add_co_u32 v68, vcc_lo, s2, v89
	v_lshlrev_b64 v[74:75], 4, v[74:75]
	s_clause 0x1
	global_load_b128 v[14:17], v[52:53], off
	global_load_b128 v[18:21], v[54:55], off
	v_add_co_ci_u32_e32 v69, vcc_lo, s3, v90, vcc_lo
	s_clause 0x1
	global_load_b128 v[22:25], v[56:57], off
	global_load_b128 v[26:29], v[58:59], off
	v_add_co_u32 v72, vcc_lo, s2, v72
	s_clause 0x1
	global_load_b128 v[30:33], v[60:61], off
	global_load_b128 v[34:37], v[62:63], off
	v_add_nc_u32_e32 v82, s11, v80
	s_clause 0x1
	global_load_b128 v[38:41], v[64:65], off
	global_load_b128 v[42:45], v[66:67], off
	v_add_co_ci_u32_e32 v73, vcc_lo, s3, v73, vcc_lo
	s_clause 0x1
	global_load_b128 v[134:137], v[70:71], off
	global_load_b128 v[138:141], v[68:69], off
	v_add_co_u32 v74, vcc_lo, s2, v74
	v_ashrrev_i32_e32 v77, 31, v76
	v_add_co_ci_u32_e32 v75, vcc_lo, s3, v75, vcc_lo
	v_add_nc_u32_e32 v84, s11, v82
	v_ashrrev_i32_e32 v79, 31, v78
	s_delay_alu instid0(VALU_DEP_4)
	v_lshlrev_b64 v[76:77], 4, v[76:77]
	s_clause 0x1
	global_load_b128 v[142:145], v[72:73], off
	global_load_b128 v[146:149], v[74:75], off
	v_ashrrev_i32_e32 v81, 31, v80
	v_add_nc_u32_e32 v86, s11, v84
	v_lshlrev_b64 v[78:79], 4, v[78:79]
	v_ashrrev_i32_e32 v83, 31, v82
	v_add_co_u32 v76, vcc_lo, s2, v76
	v_lshlrev_b64 v[80:81], 4, v[80:81]
	v_ashrrev_i32_e32 v85, 31, v84
	v_add_nc_u32_e32 v88, s11, v86
	v_add_co_ci_u32_e32 v77, vcc_lo, s3, v77, vcc_lo
	v_add_co_u32 v78, vcc_lo, s2, v78
	v_lshlrev_b64 v[82:83], 4, v[82:83]
	v_ashrrev_i32_e32 v87, 31, v86
	v_add_co_ci_u32_e32 v79, vcc_lo, s3, v79, vcc_lo
	v_add_co_u32 v80, vcc_lo, s2, v80
	v_lshlrev_b64 v[84:85], 4, v[84:85]
	v_ashrrev_i32_e32 v89, 31, v88
	v_add_co_ci_u32_e32 v81, vcc_lo, s3, v81, vcc_lo
	v_add_co_u32 v82, vcc_lo, s2, v82
	v_lshlrev_b64 v[86:87], 4, v[86:87]
	v_add_co_ci_u32_e32 v83, vcc_lo, s3, v83, vcc_lo
	v_add_nc_u32_e32 v91, s11, v88
	s_clause 0x1
	global_load_b128 v[150:153], v[76:77], off
	global_load_b128 v[155:158], v[78:79], off
	v_add_co_u32 v84, vcc_lo, s2, v84
	v_lshlrev_b64 v[88:89], 4, v[88:89]
	v_add_co_ci_u32_e32 v85, vcc_lo, s3, v85, vcc_lo
	v_add_co_u32 v86, vcc_lo, s2, v86
	v_add_co_ci_u32_e32 v87, vcc_lo, s3, v87, vcc_lo
	s_delay_alu instid0(VALU_DEP_4)
	v_add_co_u32 v88, vcc_lo, s2, v88
	v_add_co_ci_u32_e32 v89, vcc_lo, s3, v89, vcc_lo
	s_clause 0x4
	global_load_b128 v[159:162], v[80:81], off
	global_load_b128 v[163:166], v[82:83], off
	global_load_b128 v[167:170], v[84:85], off
	global_load_b128 v[171:174], v[86:87], off
	global_load_b128 v[175:178], v[88:89], off
	v_add_nc_u32_e32 v93, s11, v91
	v_ashrrev_i32_e32 v92, 31, v91
	s_movk_i32 s4, 0x70
	s_movk_i32 s5, 0x80
	;; [unrolled: 1-line block ×3, first 2 shown]
	v_add_nc_u32_e32 v95, s11, v93
	v_ashrrev_i32_e32 v94, 31, v93
	v_lshlrev_b64 v[90:91], 4, v[91:92]
	s_movk_i32 s9, 0xa0
	s_movk_i32 s10, 0xb0
	v_add_nc_u32_e32 v97, s11, v95
	v_ashrrev_i32_e32 v96, 31, v95
	v_lshlrev_b64 v[92:93], 4, v[93:94]
	v_add_co_u32 v90, vcc_lo, s2, v90
	s_delay_alu instid0(VALU_DEP_4) | instskip(SKIP_3) | instid1(VALU_DEP_4)
	v_add_nc_u32_e32 v99, s11, v97
	v_ashrrev_i32_e32 v98, 31, v97
	v_lshlrev_b64 v[94:95], 4, v[95:96]
	v_add_co_ci_u32_e32 v91, vcc_lo, s3, v91, vcc_lo
	v_add_nc_u32_e32 v101, s11, v99
	v_ashrrev_i32_e32 v100, 31, v99
	v_add_co_u32 v92, vcc_lo, s2, v92
	v_lshlrev_b64 v[96:97], 4, v[97:98]
	s_delay_alu instid0(VALU_DEP_4) | instskip(SKIP_3) | instid1(VALU_DEP_4)
	v_add_nc_u32_e32 v103, s11, v101
	v_ashrrev_i32_e32 v102, 31, v101
	v_add_co_ci_u32_e32 v93, vcc_lo, s3, v93, vcc_lo
	v_add_co_u32 v94, vcc_lo, s2, v94
	v_add_nc_u32_e32 v105, s11, v103
	v_lshlrev_b64 v[98:99], 4, v[99:100]
	v_ashrrev_i32_e32 v104, 31, v103
	v_add_co_ci_u32_e32 v95, vcc_lo, s3, v95, vcc_lo
	s_delay_alu instid0(VALU_DEP_4) | instskip(SKIP_3) | instid1(VALU_DEP_4)
	v_add_nc_u32_e32 v107, s11, v105
	v_add_co_u32 v96, vcc_lo, s2, v96
	v_lshlrev_b64 v[100:101], 4, v[101:102]
	v_add_co_ci_u32_e32 v97, vcc_lo, s3, v97, vcc_lo
	v_add_nc_u32_e32 v109, s11, v107
	v_add_co_u32 v98, vcc_lo, s2, v98
	v_lshlrev_b64 v[102:103], 4, v[103:104]
	v_ashrrev_i32_e32 v106, 31, v105
	s_delay_alu instid0(VALU_DEP_4) | instskip(SKIP_2) | instid1(VALU_DEP_3)
	v_add_nc_u32_e32 v111, s11, v109
	v_add_co_ci_u32_e32 v99, vcc_lo, s3, v99, vcc_lo
	v_add_co_u32 v100, vcc_lo, s2, v100
	v_add_nc_u32_e32 v113, s11, v111
	v_add_co_ci_u32_e32 v101, vcc_lo, s3, v101, vcc_lo
	v_lshlrev_b64 v[132:133], 4, v[105:106]
	v_ashrrev_i32_e32 v108, 31, v107
	s_delay_alu instid0(VALU_DEP_4) | instskip(SKIP_2) | instid1(VALU_DEP_3)
	v_add_nc_u32_e32 v115, s11, v113
	v_add_co_u32 v104, vcc_lo, s2, v102
	v_add_co_ci_u32_e32 v105, vcc_lo, s3, v103, vcc_lo
	v_add_nc_u32_e32 v117, s11, v115
	v_ashrrev_i32_e32 v110, 31, v109
	v_lshlrev_b64 v[220:221], 4, v[107:108]
	v_add_co_u32 v106, vcc_lo, s2, v132
	s_delay_alu instid0(VALU_DEP_4) | instskip(SKIP_3) | instid1(VALU_DEP_4)
	v_add_nc_u32_e32 v119, s11, v117
	v_add_co_ci_u32_e32 v107, vcc_lo, s3, v133, vcc_lo
	v_lshlrev_b64 v[132:133], 4, v[109:110]
	v_ashrrev_i32_e32 v112, 31, v111
	v_add_nc_u32_e32 v121, s11, v119
	v_ashrrev_i32_e32 v114, 31, v113
	v_ashrrev_i32_e32 v116, 31, v115
	;; [unrolled: 1-line block ×4, first 2 shown]
	v_add_nc_u32_e32 v123, s11, v121
	v_ashrrev_i32_e32 v122, 31, v121
	s_clause 0x4
	global_load_b128 v[179:182], v[90:91], off
	global_load_b128 v[183:186], v[92:93], off
	;; [unrolled: 1-line block ×5, first 2 shown]
	v_add_nc_u32_e32 v125, s11, v123
	v_ashrrev_i32_e32 v124, 31, v123
	s_clause 0x1
	global_load_b128 v[212:215], v[100:101], off
	global_load_b128 v[216:219], v[104:105], off
	s_movk_i32 s12, 0xd0
	s_movk_i32 s13, 0xe0
	v_add_nc_u32_e32 v127, s11, v125
	v_ashrrev_i32_e32 v126, 31, v125
	s_movk_i32 s31, 0x1a0
	s_movk_i32 s33, 0x1b0
	s_movk_i32 s34, 0x1c0
	v_add_nc_u32_e32 v129, s11, v127
	v_ashrrev_i32_e32 v128, 31, v127
	s_movk_i32 s35, 0x1d0
	;; [unrolled: 5-line block ×3, first 2 shown]
	s_movk_i32 s39, 0x210
	s_movk_i32 s40, 0x220
	v_add_nc_u32_e32 v195, s11, v131
	v_lshlrev_b64 v[228:229], 4, v[129:130]
	s_movk_i32 s41, 0x230
	s_movk_i32 s42, 0x240
	;; [unrolled: 1-line block ×3, first 2 shown]
	v_add_nc_u32_e32 v197, s11, v195
	v_ashrrev_i32_e32 v196, 31, v195
	s_movk_i32 s44, 0x260
	s_movk_i32 s45, 0x270
	;; [unrolled: 1-line block ×3, first 2 shown]
	v_add_nc_u32_e32 v199, s11, v197
	v_ashrrev_i32_e32 v198, 31, v197
	v_lshlrev_b64 v[195:196], 4, v[195:196]
	s_movk_i32 s47, 0x290
	s_movk_i32 s48, 0x2a0
	v_add_nc_u32_e32 v201, s11, v199
	v_ashrrev_i32_e32 v200, 31, v199
	v_lshlrev_b64 v[197:198], 4, v[197:198]
	s_movk_i32 s49, 0x2b0
	s_movk_i32 s50, 0x2c0
	v_add_nc_u32_e32 v203, s11, v201
	v_ashrrev_i32_e32 v202, 31, v201
	s_movk_i32 s51, 0x2d0
	s_movk_i32 s52, 0x2e0
	;; [unrolled: 1-line block ×3, first 2 shown]
	v_add_nc_u32_e32 v205, s11, v203
	v_ashrrev_i32_e32 v204, 31, v203
	s_movk_i32 s54, 0x300
	s_movk_i32 s55, 0x310
	;; [unrolled: 1-line block ×3, first 2 shown]
	v_add_nc_u32_e32 v252, s11, v205
	s_movk_i32 s57, 0x330
	s_movk_i32 s58, 0x340
	;; [unrolled: 1-line block ×3, first 2 shown]
	s_bitcmp0_b32 s21, 0
	v_add_nc_u32_e32 v254, s11, v252
	v_ashrrev_i32_e32 v253, 31, v252
	s_delay_alu instid0(VALU_DEP_2) | instskip(SKIP_1) | instid1(VALU_DEP_2)
	v_add_nc_u32_e32 v48, s11, v254
	v_ashrrev_i32_e32 v255, 31, v254
	v_add_nc_u32_e32 v50, s11, v48
	v_ashrrev_i32_e32 v49, 31, v48
	s_delay_alu instid0(VALU_DEP_2) | instskip(NEXT) | instid1(VALU_DEP_2)
	v_add_nc_u32_e32 v206, s11, v50
	v_lshlrev_b64 v[48:49], 4, v[48:49]
	v_ashrrev_i32_e32 v51, 31, v50
	s_movk_i32 s11, 0xc0
	s_delay_alu instid0(VALU_DEP_3) | instskip(NEXT) | instid1(VALU_DEP_1)
	v_ashrrev_i32_e32 v207, 31, v206
	v_lshlrev_b64 v[102:103], 4, v[206:207]
	v_lshlrev_b64 v[206:207], 4, v[111:112]
	s_delay_alu instid0(VALU_DEP_2) | instskip(NEXT) | instid1(VALU_DEP_3)
	v_add_co_u32 v102, vcc_lo, s2, v102
	v_add_co_ci_u32_e32 v103, vcc_lo, s3, v103, vcc_lo
	v_add_co_u32 v108, vcc_lo, s2, v220
	v_add_co_ci_u32_e32 v109, vcc_lo, s3, v221, vcc_lo
	;; [unrolled: 2-line block ×3, first 2 shown]
	v_lshlrev_b64 v[132:133], 4, v[113:114]
	v_add_co_u32 v112, vcc_lo, s2, v206
	v_add_co_ci_u32_e32 v113, vcc_lo, s3, v207, vcc_lo
	v_lshlrev_b64 v[206:207], 4, v[115:116]
	s_delay_alu instid0(VALU_DEP_4) | instskip(SKIP_2) | instid1(VALU_DEP_4)
	v_add_co_u32 v114, vcc_lo, s2, v132
	v_add_co_ci_u32_e32 v115, vcc_lo, s3, v133, vcc_lo
	v_lshlrev_b64 v[132:133], 4, v[117:118]
	v_add_co_u32 v116, vcc_lo, s2, v206
	v_add_co_ci_u32_e32 v117, vcc_lo, s3, v207, vcc_lo
	v_lshlrev_b64 v[206:207], 4, v[119:120]
	s_delay_alu instid0(VALU_DEP_4) | instskip(SKIP_2) | instid1(VALU_DEP_4)
	v_add_co_u32 v118, vcc_lo, s2, v132
	v_add_co_ci_u32_e32 v119, vcc_lo, s3, v133, vcc_lo
	;; [unrolled: 7-line block ×3, first 2 shown]
	v_lshlrev_b64 v[132:133], 4, v[125:126]
	v_add_co_u32 v124, vcc_lo, s2, v206
	v_add_co_ci_u32_e32 v125, vcc_lo, s3, v207, vcc_lo
	v_lshlrev_b64 v[206:207], 4, v[127:128]
	s_delay_alu instid0(VALU_DEP_4) | instskip(SKIP_2) | instid1(VALU_DEP_4)
	v_add_co_u32 v126, vcc_lo, s2, v132
	v_ashrrev_i32_e32 v132, 31, v131
	v_add_co_ci_u32_e32 v127, vcc_lo, s3, v133, vcc_lo
	v_add_co_u32 v128, vcc_lo, s2, v206
	s_delay_alu instid0(VALU_DEP_3)
	v_lshlrev_b64 v[132:133], 4, v[131:132]
	v_add_co_ci_u32_e32 v129, vcc_lo, s3, v207, vcc_lo
	s_waitcnt vmcnt(28)
	scratch_store_b128 off, v[1:4], off
	v_add_co_u32 v130, vcc_lo, s2, v228
	s_clause 0x2
	global_load_b128 v[220:223], v[102:103], off
	global_load_b128 v[1:4], v[106:107], off
	;; [unrolled: 1-line block ×3, first 2 shown]
	s_waitcnt vmcnt(30)
	scratch_store_b128 off, v[5:8], off offset:16
	s_waitcnt vmcnt(29)
	scratch_store_b128 off, v[9:12], off offset:32
	s_clause 0x1
	global_load_b128 v[5:8], v[110:111], off
	global_load_b128 v[9:12], v[112:113], off
	s_waitcnt vmcnt(30)
	scratch_store_b128 off, v[14:17], off offset:48
	s_waitcnt vmcnt(29)
	scratch_store_b128 off, v[18:21], off offset:64
	v_add_co_ci_u32_e32 v131, vcc_lo, s3, v229, vcc_lo
	s_clause 0x1
	global_load_b128 v[14:17], v[114:115], off
	global_load_b128 v[18:21], v[116:117], off
	s_waitcnt vmcnt(30)
	scratch_store_b128 off, v[22:25], off offset:80
	s_waitcnt vmcnt(29)
	scratch_store_b128 off, v[26:29], off offset:96
	v_add_co_u32 v132, vcc_lo, s2, v132
	s_clause 0x1
	global_load_b128 v[22:25], v[118:119], off
	global_load_b128 v[26:29], v[120:121], off
	s_waitcnt vmcnt(30)
	scratch_store_b128 off, v[30:33], off offset:112
	s_waitcnt vmcnt(29)
	scratch_store_b128 off, v[34:37], off offset:128
	s_clause 0x1
	global_load_b128 v[30:33], v[122:123], off
	global_load_b128 v[34:37], v[124:125], off
	s_waitcnt vmcnt(30)
	scratch_store_b128 off, v[38:41], off offset:144
	s_waitcnt vmcnt(29)
	scratch_store_b128 off, v[42:45], off offset:160
	v_add_co_ci_u32_e32 v133, vcc_lo, s3, v133, vcc_lo
	s_clause 0x1
	global_load_b128 v[38:41], v[126:127], off
	global_load_b128 v[42:45], v[128:129], off
	s_waitcnt vmcnt(30)
	scratch_store_b128 off, v[134:137], off offset:176
	s_waitcnt vmcnt(29)
	scratch_store_b128 off, v[138:141], off offset:192
	v_add_co_u32 v134, vcc_lo, s2, v195
	v_lshlrev_b64 v[138:139], 4, v[199:200]
	v_add_co_ci_u32_e32 v135, vcc_lo, s3, v196, vcc_lo
	v_add_co_u32 v136, vcc_lo, s2, v197
	v_lshlrev_b64 v[140:141], 4, v[201:202]
	v_ashrrev_i32_e32 v206, 31, v205
	v_add_co_ci_u32_e32 v137, vcc_lo, s3, v198, vcc_lo
	s_clause 0x1
	global_load_b128 v[228:231], v[130:131], off
	global_load_b128 v[232:235], v[132:133], off
	s_waitcnt vmcnt(30)
	scratch_store_b128 off, v[142:145], off offset:208
	s_waitcnt vmcnt(29)
	scratch_store_b128 off, v[146:149], off offset:224
	v_add_co_u32 v138, vcc_lo, s2, v138
	v_lshlrev_b64 v[142:143], 4, v[203:204]
	v_add_co_ci_u32_e32 v139, vcc_lo, s3, v139, vcc_lo
	v_add_co_u32 v140, vcc_lo, s2, v140
	v_lshlrev_b64 v[144:145], 4, v[205:206]
	v_add_co_ci_u32_e32 v141, vcc_lo, s3, v141, vcc_lo
	;; [unrolled: 3-line block ×4, first 2 shown]
	v_add_co_u32 v146, vcc_lo, s2, v146
	v_add_co_ci_u32_e32 v147, vcc_lo, s3, v147, vcc_lo
	s_delay_alu instid0(VALU_DEP_4)
	v_add_co_u32 v148, vcc_lo, s2, v148
	v_add_co_ci_u32_e32 v149, vcc_lo, s3, v149, vcc_lo
	s_clause 0x1
	global_load_b128 v[236:239], v[134:135], off
	global_load_b128 v[240:243], v[136:137], off
	s_waitcnt vmcnt(30)
	scratch_store_b128 off, v[150:153], off offset:240
	s_waitcnt vmcnt(29)
	scratch_store_b128 off, v[155:158], off offset:256
	v_add_co_u32 v150, vcc_lo, s2, v48
	v_add_co_ci_u32_e32 v151, vcc_lo, s3, v49, vcc_lo
	v_lshlrev_b64 v[48:49], 4, v[50:51]
	s_clause 0x1
	global_load_b128 v[244:247], v[138:139], off
	global_load_b128 v[248:251], v[140:141], off
	s_waitcnt vmcnt(30)
	scratch_store_b128 off, v[159:162], off offset:272
	s_waitcnt vmcnt(29)
	scratch_store_b128 off, v[163:166], off offset:288
	;; [unrolled: 2-line block ×5, first 2 shown]
	s_clause 0x4
	global_load_b128 v[252:255], v[142:143], off
	global_load_b128 v[155:158], v[144:145], off
	;; [unrolled: 1-line block ×5, first 2 shown]
	v_add_nc_u32_e64 v207, 0, 16
	v_add_co_u32 v152, vcc_lo, s2, v48
	v_add_co_ci_u32_e32 v153, vcc_lo, s3, v49, vcc_lo
	s_movk_i32 s2, 0x50
	s_movk_i32 s3, 0x60
	v_add_nc_u32_e64 v206, 0, 32
	global_load_b128 v[171:174], v[152:153], off
	v_add_nc_u32_e64 v205, 0, 48
	v_add_nc_u32_e64 v204, 0, 64
	;; [unrolled: 1-line block ×15, first 2 shown]
	s_mov_b32 s3, -1
	s_waitcnt vmcnt(31)
	scratch_store_b128 off, v[179:182], off offset:352
	s_waitcnt vmcnt(30)
	scratch_store_b128 off, v[183:186], off offset:368
	;; [unrolled: 2-line block ×4, first 2 shown]
	v_add_nc_u32_e64 v194, s13, 0
	s_waitcnt vmcnt(27)
	scratch_store_b128 off, v[208:211], off offset:416
	s_waitcnt vmcnt(26)
	scratch_store_b128 off, v[212:215], off offset:432
	v_add_nc_u32_e64 v193, s14, 0
	v_add_nc_u32_e64 v192, s15, 0
	;; [unrolled: 1-line block ×8, first 2 shown]
	s_waitcnt vmcnt(25)
	scratch_store_b128 off, v[216:219], off offset:448
	v_add_nc_u32_e64 v185, s28, 0
	v_add_nc_u32_e64 v184, s29, 0
	;; [unrolled: 1-line block ×18, first 2 shown]
	s_waitcnt vmcnt(23)
	scratch_store_b128 off, v[1:4], off offset:464
	s_waitcnt vmcnt(22)
	scratch_store_b128 off, v[224:227], off offset:480
	;; [unrolled: 2-line block ×3, first 2 shown]
	v_add_nc_u32_e64 v225, s40, 0
	v_add_nc_u32_e64 v224, s41, 0
	s_waitcnt vmcnt(20)
	scratch_store_b128 off, v[9:12], off offset:512
	s_waitcnt vmcnt(19)
	scratch_store_b128 off, v[14:17], off offset:528
	;; [unrolled: 2-line block ×20, first 2 shown]
	v_add_nc_u32_e64 v156, s53, 0
	v_add_nc_u32_e64 v155, s54, 0
	;; [unrolled: 1-line block ×7, first 2 shown]
	s_waitcnt vmcnt(0)
	s_clause 0x1
	scratch_store_b128 off, v[171:174], off offset:832
	scratch_store_b128 off, v[220:223], off offset:848
	s_cbranch_scc1 .LBB53_228
; %bb.4:
	v_cmp_eq_u32_e64 s2, 0, v154
	s_delay_alu instid0(VALU_DEP_1)
	s_and_saveexec_b32 s3, s2
	s_cbranch_execz .LBB53_6
; %bb.5:
	v_mov_b32_e32 v1, 0
	ds_store_b32 v1, v1 offset:1728
.LBB53_6:
	s_or_b32 exec_lo, exec_lo, s3
	s_waitcnt lgkmcnt(0)
	s_waitcnt_vscnt null, 0x0
	s_barrier
	buffer_gl0_inv
	scratch_load_b128 v[1:4], v13, off
	s_waitcnt vmcnt(0)
	v_cmp_eq_f64_e32 vcc_lo, 0, v[1:2]
	v_cmp_eq_f64_e64 s3, 0, v[3:4]
	s_delay_alu instid0(VALU_DEP_1) | instskip(NEXT) | instid1(SALU_CYCLE_1)
	s_and_b32 s3, vcc_lo, s3
	s_and_saveexec_b32 s4, s3
	s_cbranch_execz .LBB53_10
; %bb.7:
	v_mov_b32_e32 v1, 0
	s_mov_b32 s5, 0
	ds_load_b32 v2, v1 offset:1728
	s_waitcnt lgkmcnt(0)
	v_readfirstlane_b32 s3, v2
	v_add_nc_u32_e32 v2, 1, v154
	s_delay_alu instid0(VALU_DEP_2) | instskip(NEXT) | instid1(VALU_DEP_1)
	s_cmp_eq_u32 s3, 0
	v_cmp_gt_i32_e32 vcc_lo, s3, v2
	s_cselect_b32 s8, -1, 0
	s_delay_alu instid0(SALU_CYCLE_1) | instskip(NEXT) | instid1(SALU_CYCLE_1)
	s_or_b32 s8, s8, vcc_lo
	s_and_b32 exec_lo, exec_lo, s8
	s_cbranch_execz .LBB53_10
; %bb.8:
	v_mov_b32_e32 v3, s3
.LBB53_9:                               ; =>This Inner Loop Header: Depth=1
	ds_cmpstore_rtn_b32 v3, v1, v2, v3 offset:1728
	s_waitcnt lgkmcnt(0)
	v_cmp_ne_u32_e32 vcc_lo, 0, v3
	v_cmp_le_i32_e64 s3, v3, v2
	s_delay_alu instid0(VALU_DEP_1) | instskip(NEXT) | instid1(SALU_CYCLE_1)
	s_and_b32 s3, vcc_lo, s3
	s_and_b32 s3, exec_lo, s3
	s_delay_alu instid0(SALU_CYCLE_1) | instskip(NEXT) | instid1(SALU_CYCLE_1)
	s_or_b32 s5, s3, s5
	s_and_not1_b32 exec_lo, exec_lo, s5
	s_cbranch_execnz .LBB53_9
.LBB53_10:
	s_or_b32 exec_lo, exec_lo, s4
	v_mov_b32_e32 v1, 0
	s_barrier
	buffer_gl0_inv
	ds_load_b32 v2, v1 offset:1728
	s_and_saveexec_b32 s3, s2
	s_cbranch_execz .LBB53_12
; %bb.11:
	s_lshl_b64 s[4:5], s[18:19], 2
	s_delay_alu instid0(SALU_CYCLE_1)
	s_add_u32 s4, s6, s4
	s_addc_u32 s5, s7, s5
	s_waitcnt lgkmcnt(0)
	global_store_b32 v1, v2, s[4:5]
.LBB53_12:
	s_or_b32 exec_lo, exec_lo, s3
	s_waitcnt lgkmcnt(0)
	v_cmp_ne_u32_e32 vcc_lo, 0, v2
	s_mov_b32 s3, 0
	s_cbranch_vccnz .LBB53_228
; %bb.13:
	v_add_nc_u32_e32 v14, 0, v13
                                        ; implicit-def: $vgpr9_vgpr10
	scratch_load_b128 v[1:4], v14, off
	s_waitcnt vmcnt(0)
	v_mov_b32_e32 v5, v1
	v_cmp_gt_f64_e32 vcc_lo, 0, v[1:2]
	v_xor_b32_e32 v6, 0x80000000, v2
	v_xor_b32_e32 v7, 0x80000000, v4
	s_delay_alu instid0(VALU_DEP_2) | instskip(SKIP_1) | instid1(VALU_DEP_3)
	v_cndmask_b32_e32 v6, v2, v6, vcc_lo
	v_cmp_gt_f64_e32 vcc_lo, 0, v[3:4]
	v_dual_cndmask_b32 v8, v4, v7 :: v_dual_mov_b32 v7, v3
	s_delay_alu instid0(VALU_DEP_1) | instskip(SKIP_1) | instid1(SALU_CYCLE_1)
	v_cmp_ngt_f64_e32 vcc_lo, v[5:6], v[7:8]
                                        ; implicit-def: $vgpr5_vgpr6
	s_and_saveexec_b32 s3, vcc_lo
	s_xor_b32 s3, exec_lo, s3
	s_cbranch_execz .LBB53_15
; %bb.14:
	v_div_scale_f64 v[5:6], null, v[3:4], v[3:4], v[1:2]
	v_div_scale_f64 v[11:12], vcc_lo, v[1:2], v[3:4], v[1:2]
	s_delay_alu instid0(VALU_DEP_2) | instskip(SKIP_2) | instid1(VALU_DEP_1)
	v_rcp_f64_e32 v[7:8], v[5:6]
	s_waitcnt_depctr 0xfff
	v_fma_f64 v[9:10], -v[5:6], v[7:8], 1.0
	v_fma_f64 v[7:8], v[7:8], v[9:10], v[7:8]
	s_delay_alu instid0(VALU_DEP_1) | instskip(NEXT) | instid1(VALU_DEP_1)
	v_fma_f64 v[9:10], -v[5:6], v[7:8], 1.0
	v_fma_f64 v[7:8], v[7:8], v[9:10], v[7:8]
	s_delay_alu instid0(VALU_DEP_1) | instskip(NEXT) | instid1(VALU_DEP_1)
	v_mul_f64 v[9:10], v[11:12], v[7:8]
	v_fma_f64 v[5:6], -v[5:6], v[9:10], v[11:12]
	s_delay_alu instid0(VALU_DEP_1) | instskip(NEXT) | instid1(VALU_DEP_1)
	v_div_fmas_f64 v[5:6], v[5:6], v[7:8], v[9:10]
	v_div_fixup_f64 v[5:6], v[5:6], v[3:4], v[1:2]
	s_delay_alu instid0(VALU_DEP_1) | instskip(NEXT) | instid1(VALU_DEP_1)
	v_fma_f64 v[1:2], v[1:2], v[5:6], v[3:4]
	v_div_scale_f64 v[3:4], null, v[1:2], v[1:2], 1.0
	v_div_scale_f64 v[11:12], vcc_lo, 1.0, v[1:2], 1.0
	s_delay_alu instid0(VALU_DEP_2) | instskip(SKIP_2) | instid1(VALU_DEP_1)
	v_rcp_f64_e32 v[7:8], v[3:4]
	s_waitcnt_depctr 0xfff
	v_fma_f64 v[9:10], -v[3:4], v[7:8], 1.0
	v_fma_f64 v[7:8], v[7:8], v[9:10], v[7:8]
	s_delay_alu instid0(VALU_DEP_1) | instskip(NEXT) | instid1(VALU_DEP_1)
	v_fma_f64 v[9:10], -v[3:4], v[7:8], 1.0
	v_fma_f64 v[7:8], v[7:8], v[9:10], v[7:8]
	s_delay_alu instid0(VALU_DEP_1) | instskip(NEXT) | instid1(VALU_DEP_1)
	v_mul_f64 v[9:10], v[11:12], v[7:8]
	v_fma_f64 v[3:4], -v[3:4], v[9:10], v[11:12]
	s_delay_alu instid0(VALU_DEP_1) | instskip(NEXT) | instid1(VALU_DEP_1)
	v_div_fmas_f64 v[3:4], v[3:4], v[7:8], v[9:10]
	v_div_fixup_f64 v[7:8], v[3:4], v[1:2], 1.0
                                        ; implicit-def: $vgpr1_vgpr2
	s_delay_alu instid0(VALU_DEP_1) | instskip(SKIP_1) | instid1(VALU_DEP_2)
	v_mul_f64 v[5:6], v[5:6], v[7:8]
	v_xor_b32_e32 v8, 0x80000000, v8
	v_xor_b32_e32 v10, 0x80000000, v6
	s_delay_alu instid0(VALU_DEP_3)
	v_mov_b32_e32 v9, v5
.LBB53_15:
	s_and_not1_saveexec_b32 s3, s3
	s_cbranch_execz .LBB53_17
; %bb.16:
	v_div_scale_f64 v[5:6], null, v[1:2], v[1:2], v[3:4]
	v_div_scale_f64 v[11:12], vcc_lo, v[3:4], v[1:2], v[3:4]
	s_delay_alu instid0(VALU_DEP_2) | instskip(SKIP_2) | instid1(VALU_DEP_1)
	v_rcp_f64_e32 v[7:8], v[5:6]
	s_waitcnt_depctr 0xfff
	v_fma_f64 v[9:10], -v[5:6], v[7:8], 1.0
	v_fma_f64 v[7:8], v[7:8], v[9:10], v[7:8]
	s_delay_alu instid0(VALU_DEP_1) | instskip(NEXT) | instid1(VALU_DEP_1)
	v_fma_f64 v[9:10], -v[5:6], v[7:8], 1.0
	v_fma_f64 v[7:8], v[7:8], v[9:10], v[7:8]
	s_delay_alu instid0(VALU_DEP_1) | instskip(NEXT) | instid1(VALU_DEP_1)
	v_mul_f64 v[9:10], v[11:12], v[7:8]
	v_fma_f64 v[5:6], -v[5:6], v[9:10], v[11:12]
	s_delay_alu instid0(VALU_DEP_1) | instskip(NEXT) | instid1(VALU_DEP_1)
	v_div_fmas_f64 v[5:6], v[5:6], v[7:8], v[9:10]
	v_div_fixup_f64 v[7:8], v[5:6], v[1:2], v[3:4]
	s_delay_alu instid0(VALU_DEP_1) | instskip(NEXT) | instid1(VALU_DEP_1)
	v_fma_f64 v[1:2], v[3:4], v[7:8], v[1:2]
	v_div_scale_f64 v[3:4], null, v[1:2], v[1:2], 1.0
	s_delay_alu instid0(VALU_DEP_1) | instskip(SKIP_2) | instid1(VALU_DEP_1)
	v_rcp_f64_e32 v[5:6], v[3:4]
	s_waitcnt_depctr 0xfff
	v_fma_f64 v[9:10], -v[3:4], v[5:6], 1.0
	v_fma_f64 v[5:6], v[5:6], v[9:10], v[5:6]
	s_delay_alu instid0(VALU_DEP_1) | instskip(NEXT) | instid1(VALU_DEP_1)
	v_fma_f64 v[9:10], -v[3:4], v[5:6], 1.0
	v_fma_f64 v[5:6], v[5:6], v[9:10], v[5:6]
	v_div_scale_f64 v[9:10], vcc_lo, 1.0, v[1:2], 1.0
	s_delay_alu instid0(VALU_DEP_1) | instskip(NEXT) | instid1(VALU_DEP_1)
	v_mul_f64 v[11:12], v[9:10], v[5:6]
	v_fma_f64 v[3:4], -v[3:4], v[11:12], v[9:10]
	s_delay_alu instid0(VALU_DEP_1) | instskip(NEXT) | instid1(VALU_DEP_1)
	v_div_fmas_f64 v[3:4], v[3:4], v[5:6], v[11:12]
	v_div_fixup_f64 v[5:6], v[3:4], v[1:2], 1.0
	s_delay_alu instid0(VALU_DEP_1)
	v_mul_f64 v[7:8], v[7:8], -v[5:6]
	v_xor_b32_e32 v10, 0x80000000, v6
	v_mov_b32_e32 v9, v5
.LBB53_17:
	s_or_b32 exec_lo, exec_lo, s3
	scratch_store_b128 v14, v[5:8], off
	scratch_load_b128 v[1:4], v207, off
	v_xor_b32_e32 v12, 0x80000000, v8
	v_mov_b32_e32 v11, v7
	v_add_nc_u32_e32 v5, 0x360, v13
	ds_store_b128 v13, v[9:12]
	s_waitcnt vmcnt(0)
	ds_store_b128 v13, v[1:4] offset:864
	s_waitcnt lgkmcnt(0)
	s_waitcnt_vscnt null, 0x0
	s_barrier
	buffer_gl0_inv
	s_and_saveexec_b32 s3, s2
	s_cbranch_execz .LBB53_19
; %bb.18:
	scratch_load_b128 v[1:4], v14, off
	ds_load_b128 v[6:9], v5
	v_mov_b32_e32 v10, 0
	ds_load_b128 v[15:18], v10 offset:16
	s_waitcnt vmcnt(0) lgkmcnt(1)
	v_mul_f64 v[10:11], v[6:7], v[3:4]
	v_mul_f64 v[3:4], v[8:9], v[3:4]
	s_delay_alu instid0(VALU_DEP_2) | instskip(NEXT) | instid1(VALU_DEP_2)
	v_fma_f64 v[8:9], v[8:9], v[1:2], v[10:11]
	v_fma_f64 v[1:2], v[6:7], v[1:2], -v[3:4]
	s_delay_alu instid0(VALU_DEP_2) | instskip(NEXT) | instid1(VALU_DEP_2)
	v_add_f64 v[3:4], v[8:9], 0
	v_add_f64 v[1:2], v[1:2], 0
	s_waitcnt lgkmcnt(0)
	s_delay_alu instid0(VALU_DEP_2) | instskip(NEXT) | instid1(VALU_DEP_2)
	v_mul_f64 v[6:7], v[3:4], v[17:18]
	v_mul_f64 v[8:9], v[1:2], v[17:18]
	s_delay_alu instid0(VALU_DEP_2) | instskip(NEXT) | instid1(VALU_DEP_2)
	v_fma_f64 v[1:2], v[1:2], v[15:16], -v[6:7]
	v_fma_f64 v[3:4], v[3:4], v[15:16], v[8:9]
	scratch_store_b128 off, v[1:4], off offset:16
.LBB53_19:
	s_or_b32 exec_lo, exec_lo, s3
	s_waitcnt_vscnt null, 0x0
	s_barrier
	buffer_gl0_inv
	scratch_load_b128 v[1:4], v206, off
	s_mov_b32 s3, exec_lo
	s_waitcnt vmcnt(0)
	ds_store_b128 v5, v[1:4]
	s_waitcnt lgkmcnt(0)
	s_barrier
	buffer_gl0_inv
	v_cmpx_gt_u32_e32 2, v154
	s_cbranch_execz .LBB53_23
; %bb.20:
	scratch_load_b128 v[1:4], v14, off
	ds_load_b128 v[6:9], v5
	s_waitcnt vmcnt(0) lgkmcnt(0)
	v_mul_f64 v[10:11], v[8:9], v[3:4]
	v_mul_f64 v[3:4], v[6:7], v[3:4]
	s_delay_alu instid0(VALU_DEP_2) | instskip(NEXT) | instid1(VALU_DEP_2)
	v_fma_f64 v[6:7], v[6:7], v[1:2], -v[10:11]
	v_fma_f64 v[3:4], v[8:9], v[1:2], v[3:4]
	s_delay_alu instid0(VALU_DEP_2) | instskip(NEXT) | instid1(VALU_DEP_2)
	v_add_f64 v[1:2], v[6:7], 0
	v_add_f64 v[3:4], v[3:4], 0
	s_and_saveexec_b32 s4, s2
	s_cbranch_execz .LBB53_22
; %bb.21:
	scratch_load_b128 v[6:9], off, off offset:16
	v_mov_b32_e32 v10, 0
	ds_load_b128 v[15:18], v10 offset:880
	s_waitcnt vmcnt(0) lgkmcnt(0)
	v_mul_f64 v[10:11], v[15:16], v[8:9]
	v_mul_f64 v[8:9], v[17:18], v[8:9]
	s_delay_alu instid0(VALU_DEP_2) | instskip(NEXT) | instid1(VALU_DEP_2)
	v_fma_f64 v[10:11], v[17:18], v[6:7], v[10:11]
	v_fma_f64 v[6:7], v[15:16], v[6:7], -v[8:9]
	s_delay_alu instid0(VALU_DEP_2) | instskip(NEXT) | instid1(VALU_DEP_2)
	v_add_f64 v[3:4], v[3:4], v[10:11]
	v_add_f64 v[1:2], v[1:2], v[6:7]
.LBB53_22:
	s_or_b32 exec_lo, exec_lo, s4
	v_mov_b32_e32 v6, 0
	ds_load_b128 v[6:9], v6 offset:32
	s_waitcnt lgkmcnt(0)
	v_mul_f64 v[10:11], v[3:4], v[8:9]
	v_mul_f64 v[8:9], v[1:2], v[8:9]
	s_delay_alu instid0(VALU_DEP_2) | instskip(NEXT) | instid1(VALU_DEP_2)
	v_fma_f64 v[1:2], v[1:2], v[6:7], -v[10:11]
	v_fma_f64 v[3:4], v[3:4], v[6:7], v[8:9]
	scratch_store_b128 off, v[1:4], off offset:32
.LBB53_23:
	s_or_b32 exec_lo, exec_lo, s3
	s_waitcnt_vscnt null, 0x0
	s_barrier
	buffer_gl0_inv
	scratch_load_b128 v[1:4], v205, off
	v_add_nc_u32_e32 v6, -1, v154
	s_mov_b32 s2, exec_lo
	s_waitcnt vmcnt(0)
	ds_store_b128 v5, v[1:4]
	s_waitcnt lgkmcnt(0)
	s_barrier
	buffer_gl0_inv
	v_cmpx_gt_u32_e32 3, v154
	s_cbranch_execz .LBB53_27
; %bb.24:
	v_dual_mov_b32 v1, 0 :: v_dual_add_nc_u32 v8, 0x360, v13
	v_dual_mov_b32 v2, 0 :: v_dual_add_nc_u32 v7, -1, v154
	v_or_b32_e32 v9, 8, v14
	s_mov_b32 s3, 0
	s_delay_alu instid0(VALU_DEP_2)
	v_dual_mov_b32 v4, v2 :: v_dual_mov_b32 v3, v1
	.p2align	6
.LBB53_25:                              ; =>This Inner Loop Header: Depth=1
	scratch_load_b128 v[15:18], v9, off offset:-8
	ds_load_b128 v[19:22], v8
	v_add_nc_u32_e32 v7, 1, v7
	v_add_nc_u32_e32 v8, 16, v8
	;; [unrolled: 1-line block ×3, first 2 shown]
	s_delay_alu instid0(VALU_DEP_3) | instskip(SKIP_4) | instid1(VALU_DEP_2)
	v_cmp_lt_u32_e32 vcc_lo, 1, v7
	s_or_b32 s3, vcc_lo, s3
	s_waitcnt vmcnt(0) lgkmcnt(0)
	v_mul_f64 v[10:11], v[21:22], v[17:18]
	v_mul_f64 v[17:18], v[19:20], v[17:18]
	v_fma_f64 v[10:11], v[19:20], v[15:16], -v[10:11]
	s_delay_alu instid0(VALU_DEP_2) | instskip(NEXT) | instid1(VALU_DEP_2)
	v_fma_f64 v[15:16], v[21:22], v[15:16], v[17:18]
	v_add_f64 v[3:4], v[3:4], v[10:11]
	s_delay_alu instid0(VALU_DEP_2)
	v_add_f64 v[1:2], v[1:2], v[15:16]
	s_and_not1_b32 exec_lo, exec_lo, s3
	s_cbranch_execnz .LBB53_25
; %bb.26:
	s_or_b32 exec_lo, exec_lo, s3
	v_mov_b32_e32 v7, 0
	ds_load_b128 v[7:10], v7 offset:48
	s_waitcnt lgkmcnt(0)
	v_mul_f64 v[11:12], v[1:2], v[9:10]
	v_mul_f64 v[15:16], v[3:4], v[9:10]
	s_delay_alu instid0(VALU_DEP_2) | instskip(NEXT) | instid1(VALU_DEP_2)
	v_fma_f64 v[9:10], v[3:4], v[7:8], -v[11:12]
	v_fma_f64 v[11:12], v[1:2], v[7:8], v[15:16]
	scratch_store_b128 off, v[9:12], off offset:48
.LBB53_27:
	s_or_b32 exec_lo, exec_lo, s2
	s_waitcnt_vscnt null, 0x0
	s_barrier
	buffer_gl0_inv
	scratch_load_b128 v[1:4], v204, off
	s_mov_b32 s2, exec_lo
	s_waitcnt vmcnt(0)
	ds_store_b128 v5, v[1:4]
	s_waitcnt lgkmcnt(0)
	s_barrier
	buffer_gl0_inv
	v_cmpx_gt_u32_e32 4, v154
	s_cbranch_execz .LBB53_31
; %bb.28:
	v_dual_mov_b32 v1, 0 :: v_dual_add_nc_u32 v8, 0x360, v13
	v_dual_mov_b32 v2, 0 :: v_dual_add_nc_u32 v7, -1, v154
	v_or_b32_e32 v9, 8, v14
	s_mov_b32 s3, 0
	s_delay_alu instid0(VALU_DEP_2)
	v_dual_mov_b32 v4, v2 :: v_dual_mov_b32 v3, v1
	.p2align	6
.LBB53_29:                              ; =>This Inner Loop Header: Depth=1
	scratch_load_b128 v[15:18], v9, off offset:-8
	ds_load_b128 v[19:22], v8
	v_add_nc_u32_e32 v7, 1, v7
	v_add_nc_u32_e32 v8, 16, v8
	;; [unrolled: 1-line block ×3, first 2 shown]
	s_delay_alu instid0(VALU_DEP_3) | instskip(SKIP_4) | instid1(VALU_DEP_2)
	v_cmp_lt_u32_e32 vcc_lo, 2, v7
	s_or_b32 s3, vcc_lo, s3
	s_waitcnt vmcnt(0) lgkmcnt(0)
	v_mul_f64 v[10:11], v[21:22], v[17:18]
	v_mul_f64 v[17:18], v[19:20], v[17:18]
	v_fma_f64 v[10:11], v[19:20], v[15:16], -v[10:11]
	s_delay_alu instid0(VALU_DEP_2) | instskip(NEXT) | instid1(VALU_DEP_2)
	v_fma_f64 v[15:16], v[21:22], v[15:16], v[17:18]
	v_add_f64 v[3:4], v[3:4], v[10:11]
	s_delay_alu instid0(VALU_DEP_2)
	v_add_f64 v[1:2], v[1:2], v[15:16]
	s_and_not1_b32 exec_lo, exec_lo, s3
	s_cbranch_execnz .LBB53_29
; %bb.30:
	s_or_b32 exec_lo, exec_lo, s3
	v_mov_b32_e32 v7, 0
	ds_load_b128 v[7:10], v7 offset:64
	s_waitcnt lgkmcnt(0)
	v_mul_f64 v[11:12], v[1:2], v[9:10]
	v_mul_f64 v[15:16], v[3:4], v[9:10]
	s_delay_alu instid0(VALU_DEP_2) | instskip(NEXT) | instid1(VALU_DEP_2)
	v_fma_f64 v[9:10], v[3:4], v[7:8], -v[11:12]
	v_fma_f64 v[11:12], v[1:2], v[7:8], v[15:16]
	scratch_store_b128 off, v[9:12], off offset:64
.LBB53_31:
	s_or_b32 exec_lo, exec_lo, s2
	s_waitcnt_vscnt null, 0x0
	s_barrier
	buffer_gl0_inv
	scratch_load_b128 v[1:4], v203, off
	s_mov_b32 s2, exec_lo
	s_waitcnt vmcnt(0)
	ds_store_b128 v5, v[1:4]
	s_waitcnt lgkmcnt(0)
	s_barrier
	buffer_gl0_inv
	v_cmpx_gt_u32_e32 5, v154
	s_cbranch_execz .LBB53_35
; %bb.32:
	v_dual_mov_b32 v1, 0 :: v_dual_add_nc_u32 v8, 0x360, v13
	v_dual_mov_b32 v2, 0 :: v_dual_add_nc_u32 v7, -1, v154
	v_or_b32_e32 v9, 8, v14
	s_mov_b32 s3, 0
	s_delay_alu instid0(VALU_DEP_2)
	v_dual_mov_b32 v4, v2 :: v_dual_mov_b32 v3, v1
	.p2align	6
.LBB53_33:                              ; =>This Inner Loop Header: Depth=1
	scratch_load_b128 v[15:18], v9, off offset:-8
	ds_load_b128 v[19:22], v8
	v_add_nc_u32_e32 v7, 1, v7
	v_add_nc_u32_e32 v8, 16, v8
	;; [unrolled: 1-line block ×3, first 2 shown]
	s_delay_alu instid0(VALU_DEP_3) | instskip(SKIP_4) | instid1(VALU_DEP_2)
	v_cmp_lt_u32_e32 vcc_lo, 3, v7
	s_or_b32 s3, vcc_lo, s3
	s_waitcnt vmcnt(0) lgkmcnt(0)
	v_mul_f64 v[10:11], v[21:22], v[17:18]
	v_mul_f64 v[17:18], v[19:20], v[17:18]
	v_fma_f64 v[10:11], v[19:20], v[15:16], -v[10:11]
	s_delay_alu instid0(VALU_DEP_2) | instskip(NEXT) | instid1(VALU_DEP_2)
	v_fma_f64 v[15:16], v[21:22], v[15:16], v[17:18]
	v_add_f64 v[3:4], v[3:4], v[10:11]
	s_delay_alu instid0(VALU_DEP_2)
	v_add_f64 v[1:2], v[1:2], v[15:16]
	s_and_not1_b32 exec_lo, exec_lo, s3
	s_cbranch_execnz .LBB53_33
; %bb.34:
	s_or_b32 exec_lo, exec_lo, s3
	v_mov_b32_e32 v7, 0
	ds_load_b128 v[7:10], v7 offset:80
	s_waitcnt lgkmcnt(0)
	v_mul_f64 v[11:12], v[1:2], v[9:10]
	v_mul_f64 v[15:16], v[3:4], v[9:10]
	s_delay_alu instid0(VALU_DEP_2) | instskip(NEXT) | instid1(VALU_DEP_2)
	v_fma_f64 v[9:10], v[3:4], v[7:8], -v[11:12]
	v_fma_f64 v[11:12], v[1:2], v[7:8], v[15:16]
	scratch_store_b128 off, v[9:12], off offset:80
.LBB53_35:
	s_or_b32 exec_lo, exec_lo, s2
	s_waitcnt_vscnt null, 0x0
	s_barrier
	buffer_gl0_inv
	scratch_load_b128 v[1:4], v202, off
	s_mov_b32 s2, exec_lo
	s_waitcnt vmcnt(0)
	ds_store_b128 v5, v[1:4]
	s_waitcnt lgkmcnt(0)
	s_barrier
	buffer_gl0_inv
	v_cmpx_gt_u32_e32 6, v154
	s_cbranch_execz .LBB53_39
; %bb.36:
	v_dual_mov_b32 v1, 0 :: v_dual_add_nc_u32 v8, 0x360, v13
	v_dual_mov_b32 v2, 0 :: v_dual_add_nc_u32 v7, -1, v154
	v_or_b32_e32 v9, 8, v14
	s_mov_b32 s3, 0
	s_delay_alu instid0(VALU_DEP_2)
	v_dual_mov_b32 v4, v2 :: v_dual_mov_b32 v3, v1
	.p2align	6
.LBB53_37:                              ; =>This Inner Loop Header: Depth=1
	scratch_load_b128 v[15:18], v9, off offset:-8
	ds_load_b128 v[19:22], v8
	v_add_nc_u32_e32 v7, 1, v7
	v_add_nc_u32_e32 v8, 16, v8
	v_add_nc_u32_e32 v9, 16, v9
	s_delay_alu instid0(VALU_DEP_3) | instskip(SKIP_4) | instid1(VALU_DEP_2)
	v_cmp_lt_u32_e32 vcc_lo, 4, v7
	s_or_b32 s3, vcc_lo, s3
	s_waitcnt vmcnt(0) lgkmcnt(0)
	v_mul_f64 v[10:11], v[21:22], v[17:18]
	v_mul_f64 v[17:18], v[19:20], v[17:18]
	v_fma_f64 v[10:11], v[19:20], v[15:16], -v[10:11]
	s_delay_alu instid0(VALU_DEP_2) | instskip(NEXT) | instid1(VALU_DEP_2)
	v_fma_f64 v[15:16], v[21:22], v[15:16], v[17:18]
	v_add_f64 v[3:4], v[3:4], v[10:11]
	s_delay_alu instid0(VALU_DEP_2)
	v_add_f64 v[1:2], v[1:2], v[15:16]
	s_and_not1_b32 exec_lo, exec_lo, s3
	s_cbranch_execnz .LBB53_37
; %bb.38:
	s_or_b32 exec_lo, exec_lo, s3
	v_mov_b32_e32 v7, 0
	ds_load_b128 v[7:10], v7 offset:96
	s_waitcnt lgkmcnt(0)
	v_mul_f64 v[11:12], v[1:2], v[9:10]
	v_mul_f64 v[15:16], v[3:4], v[9:10]
	s_delay_alu instid0(VALU_DEP_2) | instskip(NEXT) | instid1(VALU_DEP_2)
	v_fma_f64 v[9:10], v[3:4], v[7:8], -v[11:12]
	v_fma_f64 v[11:12], v[1:2], v[7:8], v[15:16]
	scratch_store_b128 off, v[9:12], off offset:96
.LBB53_39:
	s_or_b32 exec_lo, exec_lo, s2
	s_waitcnt_vscnt null, 0x0
	s_barrier
	buffer_gl0_inv
	scratch_load_b128 v[1:4], v201, off
	s_mov_b32 s2, exec_lo
	s_waitcnt vmcnt(0)
	ds_store_b128 v5, v[1:4]
	s_waitcnt lgkmcnt(0)
	s_barrier
	buffer_gl0_inv
	v_cmpx_gt_u32_e32 7, v154
	s_cbranch_execz .LBB53_43
; %bb.40:
	v_dual_mov_b32 v1, 0 :: v_dual_add_nc_u32 v8, 0x360, v13
	v_dual_mov_b32 v2, 0 :: v_dual_add_nc_u32 v7, -1, v154
	v_or_b32_e32 v9, 8, v14
	s_mov_b32 s3, 0
	s_delay_alu instid0(VALU_DEP_2)
	v_dual_mov_b32 v4, v2 :: v_dual_mov_b32 v3, v1
	.p2align	6
.LBB53_41:                              ; =>This Inner Loop Header: Depth=1
	scratch_load_b128 v[15:18], v9, off offset:-8
	ds_load_b128 v[19:22], v8
	v_add_nc_u32_e32 v7, 1, v7
	v_add_nc_u32_e32 v8, 16, v8
	v_add_nc_u32_e32 v9, 16, v9
	s_delay_alu instid0(VALU_DEP_3) | instskip(SKIP_4) | instid1(VALU_DEP_2)
	v_cmp_lt_u32_e32 vcc_lo, 5, v7
	s_or_b32 s3, vcc_lo, s3
	s_waitcnt vmcnt(0) lgkmcnt(0)
	v_mul_f64 v[10:11], v[21:22], v[17:18]
	v_mul_f64 v[17:18], v[19:20], v[17:18]
	v_fma_f64 v[10:11], v[19:20], v[15:16], -v[10:11]
	s_delay_alu instid0(VALU_DEP_2) | instskip(NEXT) | instid1(VALU_DEP_2)
	v_fma_f64 v[15:16], v[21:22], v[15:16], v[17:18]
	v_add_f64 v[3:4], v[3:4], v[10:11]
	s_delay_alu instid0(VALU_DEP_2)
	v_add_f64 v[1:2], v[1:2], v[15:16]
	s_and_not1_b32 exec_lo, exec_lo, s3
	s_cbranch_execnz .LBB53_41
; %bb.42:
	s_or_b32 exec_lo, exec_lo, s3
	v_mov_b32_e32 v7, 0
	ds_load_b128 v[7:10], v7 offset:112
	s_waitcnt lgkmcnt(0)
	v_mul_f64 v[11:12], v[1:2], v[9:10]
	v_mul_f64 v[15:16], v[3:4], v[9:10]
	s_delay_alu instid0(VALU_DEP_2) | instskip(NEXT) | instid1(VALU_DEP_2)
	v_fma_f64 v[9:10], v[3:4], v[7:8], -v[11:12]
	v_fma_f64 v[11:12], v[1:2], v[7:8], v[15:16]
	scratch_store_b128 off, v[9:12], off offset:112
.LBB53_43:
	s_or_b32 exec_lo, exec_lo, s2
	s_waitcnt_vscnt null, 0x0
	s_barrier
	buffer_gl0_inv
	scratch_load_b128 v[1:4], v200, off
	s_mov_b32 s2, exec_lo
	s_waitcnt vmcnt(0)
	ds_store_b128 v5, v[1:4]
	s_waitcnt lgkmcnt(0)
	s_barrier
	buffer_gl0_inv
	v_cmpx_gt_u32_e32 8, v154
	s_cbranch_execz .LBB53_47
; %bb.44:
	v_dual_mov_b32 v1, 0 :: v_dual_add_nc_u32 v8, 0x360, v13
	v_dual_mov_b32 v2, 0 :: v_dual_add_nc_u32 v7, -1, v154
	v_or_b32_e32 v9, 8, v14
	s_mov_b32 s3, 0
	s_delay_alu instid0(VALU_DEP_2)
	v_dual_mov_b32 v4, v2 :: v_dual_mov_b32 v3, v1
	.p2align	6
.LBB53_45:                              ; =>This Inner Loop Header: Depth=1
	scratch_load_b128 v[15:18], v9, off offset:-8
	ds_load_b128 v[19:22], v8
	v_add_nc_u32_e32 v7, 1, v7
	v_add_nc_u32_e32 v8, 16, v8
	;; [unrolled: 1-line block ×3, first 2 shown]
	s_delay_alu instid0(VALU_DEP_3) | instskip(SKIP_4) | instid1(VALU_DEP_2)
	v_cmp_lt_u32_e32 vcc_lo, 6, v7
	s_or_b32 s3, vcc_lo, s3
	s_waitcnt vmcnt(0) lgkmcnt(0)
	v_mul_f64 v[10:11], v[21:22], v[17:18]
	v_mul_f64 v[17:18], v[19:20], v[17:18]
	v_fma_f64 v[10:11], v[19:20], v[15:16], -v[10:11]
	s_delay_alu instid0(VALU_DEP_2) | instskip(NEXT) | instid1(VALU_DEP_2)
	v_fma_f64 v[15:16], v[21:22], v[15:16], v[17:18]
	v_add_f64 v[3:4], v[3:4], v[10:11]
	s_delay_alu instid0(VALU_DEP_2)
	v_add_f64 v[1:2], v[1:2], v[15:16]
	s_and_not1_b32 exec_lo, exec_lo, s3
	s_cbranch_execnz .LBB53_45
; %bb.46:
	s_or_b32 exec_lo, exec_lo, s3
	v_mov_b32_e32 v7, 0
	ds_load_b128 v[7:10], v7 offset:128
	s_waitcnt lgkmcnt(0)
	v_mul_f64 v[11:12], v[1:2], v[9:10]
	v_mul_f64 v[15:16], v[3:4], v[9:10]
	s_delay_alu instid0(VALU_DEP_2) | instskip(NEXT) | instid1(VALU_DEP_2)
	v_fma_f64 v[9:10], v[3:4], v[7:8], -v[11:12]
	v_fma_f64 v[11:12], v[1:2], v[7:8], v[15:16]
	scratch_store_b128 off, v[9:12], off offset:128
.LBB53_47:
	s_or_b32 exec_lo, exec_lo, s2
	s_waitcnt_vscnt null, 0x0
	s_barrier
	buffer_gl0_inv
	scratch_load_b128 v[1:4], v199, off
	s_mov_b32 s2, exec_lo
	s_waitcnt vmcnt(0)
	ds_store_b128 v5, v[1:4]
	s_waitcnt lgkmcnt(0)
	s_barrier
	buffer_gl0_inv
	v_cmpx_gt_u32_e32 9, v154
	s_cbranch_execz .LBB53_51
; %bb.48:
	v_dual_mov_b32 v1, 0 :: v_dual_add_nc_u32 v8, 0x360, v13
	v_dual_mov_b32 v2, 0 :: v_dual_add_nc_u32 v7, -1, v154
	v_or_b32_e32 v9, 8, v14
	s_mov_b32 s3, 0
	s_delay_alu instid0(VALU_DEP_2)
	v_dual_mov_b32 v4, v2 :: v_dual_mov_b32 v3, v1
	.p2align	6
.LBB53_49:                              ; =>This Inner Loop Header: Depth=1
	scratch_load_b128 v[15:18], v9, off offset:-8
	ds_load_b128 v[19:22], v8
	v_add_nc_u32_e32 v7, 1, v7
	v_add_nc_u32_e32 v8, 16, v8
	;; [unrolled: 1-line block ×3, first 2 shown]
	s_delay_alu instid0(VALU_DEP_3) | instskip(SKIP_4) | instid1(VALU_DEP_2)
	v_cmp_lt_u32_e32 vcc_lo, 7, v7
	s_or_b32 s3, vcc_lo, s3
	s_waitcnt vmcnt(0) lgkmcnt(0)
	v_mul_f64 v[10:11], v[21:22], v[17:18]
	v_mul_f64 v[17:18], v[19:20], v[17:18]
	v_fma_f64 v[10:11], v[19:20], v[15:16], -v[10:11]
	s_delay_alu instid0(VALU_DEP_2) | instskip(NEXT) | instid1(VALU_DEP_2)
	v_fma_f64 v[15:16], v[21:22], v[15:16], v[17:18]
	v_add_f64 v[3:4], v[3:4], v[10:11]
	s_delay_alu instid0(VALU_DEP_2)
	v_add_f64 v[1:2], v[1:2], v[15:16]
	s_and_not1_b32 exec_lo, exec_lo, s3
	s_cbranch_execnz .LBB53_49
; %bb.50:
	s_or_b32 exec_lo, exec_lo, s3
	v_mov_b32_e32 v7, 0
	ds_load_b128 v[7:10], v7 offset:144
	s_waitcnt lgkmcnt(0)
	v_mul_f64 v[11:12], v[1:2], v[9:10]
	v_mul_f64 v[15:16], v[3:4], v[9:10]
	s_delay_alu instid0(VALU_DEP_2) | instskip(NEXT) | instid1(VALU_DEP_2)
	v_fma_f64 v[9:10], v[3:4], v[7:8], -v[11:12]
	v_fma_f64 v[11:12], v[1:2], v[7:8], v[15:16]
	scratch_store_b128 off, v[9:12], off offset:144
.LBB53_51:
	s_or_b32 exec_lo, exec_lo, s2
	s_waitcnt_vscnt null, 0x0
	s_barrier
	buffer_gl0_inv
	scratch_load_b128 v[1:4], v198, off
	s_mov_b32 s2, exec_lo
	s_waitcnt vmcnt(0)
	ds_store_b128 v5, v[1:4]
	s_waitcnt lgkmcnt(0)
	s_barrier
	buffer_gl0_inv
	v_cmpx_gt_u32_e32 10, v154
	s_cbranch_execz .LBB53_55
; %bb.52:
	v_dual_mov_b32 v1, 0 :: v_dual_add_nc_u32 v8, 0x360, v13
	v_dual_mov_b32 v2, 0 :: v_dual_add_nc_u32 v7, -1, v154
	v_or_b32_e32 v9, 8, v14
	s_mov_b32 s3, 0
	s_delay_alu instid0(VALU_DEP_2)
	v_dual_mov_b32 v4, v2 :: v_dual_mov_b32 v3, v1
	.p2align	6
.LBB53_53:                              ; =>This Inner Loop Header: Depth=1
	scratch_load_b128 v[15:18], v9, off offset:-8
	ds_load_b128 v[19:22], v8
	v_add_nc_u32_e32 v7, 1, v7
	v_add_nc_u32_e32 v8, 16, v8
	;; [unrolled: 1-line block ×3, first 2 shown]
	s_delay_alu instid0(VALU_DEP_3) | instskip(SKIP_4) | instid1(VALU_DEP_2)
	v_cmp_lt_u32_e32 vcc_lo, 8, v7
	s_or_b32 s3, vcc_lo, s3
	s_waitcnt vmcnt(0) lgkmcnt(0)
	v_mul_f64 v[10:11], v[21:22], v[17:18]
	v_mul_f64 v[17:18], v[19:20], v[17:18]
	v_fma_f64 v[10:11], v[19:20], v[15:16], -v[10:11]
	s_delay_alu instid0(VALU_DEP_2) | instskip(NEXT) | instid1(VALU_DEP_2)
	v_fma_f64 v[15:16], v[21:22], v[15:16], v[17:18]
	v_add_f64 v[3:4], v[3:4], v[10:11]
	s_delay_alu instid0(VALU_DEP_2)
	v_add_f64 v[1:2], v[1:2], v[15:16]
	s_and_not1_b32 exec_lo, exec_lo, s3
	s_cbranch_execnz .LBB53_53
; %bb.54:
	s_or_b32 exec_lo, exec_lo, s3
	v_mov_b32_e32 v7, 0
	ds_load_b128 v[7:10], v7 offset:160
	s_waitcnt lgkmcnt(0)
	v_mul_f64 v[11:12], v[1:2], v[9:10]
	v_mul_f64 v[15:16], v[3:4], v[9:10]
	s_delay_alu instid0(VALU_DEP_2) | instskip(NEXT) | instid1(VALU_DEP_2)
	v_fma_f64 v[9:10], v[3:4], v[7:8], -v[11:12]
	v_fma_f64 v[11:12], v[1:2], v[7:8], v[15:16]
	scratch_store_b128 off, v[9:12], off offset:160
.LBB53_55:
	s_or_b32 exec_lo, exec_lo, s2
	s_waitcnt_vscnt null, 0x0
	s_barrier
	buffer_gl0_inv
	scratch_load_b128 v[1:4], v197, off
	s_mov_b32 s2, exec_lo
	s_waitcnt vmcnt(0)
	ds_store_b128 v5, v[1:4]
	s_waitcnt lgkmcnt(0)
	s_barrier
	buffer_gl0_inv
	v_cmpx_gt_u32_e32 11, v154
	s_cbranch_execz .LBB53_59
; %bb.56:
	v_dual_mov_b32 v1, 0 :: v_dual_add_nc_u32 v8, 0x360, v13
	v_dual_mov_b32 v2, 0 :: v_dual_add_nc_u32 v7, -1, v154
	v_or_b32_e32 v9, 8, v14
	s_mov_b32 s3, 0
	s_delay_alu instid0(VALU_DEP_2)
	v_dual_mov_b32 v4, v2 :: v_dual_mov_b32 v3, v1
	.p2align	6
.LBB53_57:                              ; =>This Inner Loop Header: Depth=1
	scratch_load_b128 v[15:18], v9, off offset:-8
	ds_load_b128 v[19:22], v8
	v_add_nc_u32_e32 v7, 1, v7
	v_add_nc_u32_e32 v8, 16, v8
	;; [unrolled: 1-line block ×3, first 2 shown]
	s_delay_alu instid0(VALU_DEP_3) | instskip(SKIP_4) | instid1(VALU_DEP_2)
	v_cmp_lt_u32_e32 vcc_lo, 9, v7
	s_or_b32 s3, vcc_lo, s3
	s_waitcnt vmcnt(0) lgkmcnt(0)
	v_mul_f64 v[10:11], v[21:22], v[17:18]
	v_mul_f64 v[17:18], v[19:20], v[17:18]
	v_fma_f64 v[10:11], v[19:20], v[15:16], -v[10:11]
	s_delay_alu instid0(VALU_DEP_2) | instskip(NEXT) | instid1(VALU_DEP_2)
	v_fma_f64 v[15:16], v[21:22], v[15:16], v[17:18]
	v_add_f64 v[3:4], v[3:4], v[10:11]
	s_delay_alu instid0(VALU_DEP_2)
	v_add_f64 v[1:2], v[1:2], v[15:16]
	s_and_not1_b32 exec_lo, exec_lo, s3
	s_cbranch_execnz .LBB53_57
; %bb.58:
	s_or_b32 exec_lo, exec_lo, s3
	v_mov_b32_e32 v7, 0
	ds_load_b128 v[7:10], v7 offset:176
	s_waitcnt lgkmcnt(0)
	v_mul_f64 v[11:12], v[1:2], v[9:10]
	v_mul_f64 v[15:16], v[3:4], v[9:10]
	s_delay_alu instid0(VALU_DEP_2) | instskip(NEXT) | instid1(VALU_DEP_2)
	v_fma_f64 v[9:10], v[3:4], v[7:8], -v[11:12]
	v_fma_f64 v[11:12], v[1:2], v[7:8], v[15:16]
	scratch_store_b128 off, v[9:12], off offset:176
.LBB53_59:
	s_or_b32 exec_lo, exec_lo, s2
	s_waitcnt_vscnt null, 0x0
	s_barrier
	buffer_gl0_inv
	scratch_load_b128 v[1:4], v196, off
	s_mov_b32 s2, exec_lo
	s_waitcnt vmcnt(0)
	ds_store_b128 v5, v[1:4]
	s_waitcnt lgkmcnt(0)
	s_barrier
	buffer_gl0_inv
	v_cmpx_gt_u32_e32 12, v154
	s_cbranch_execz .LBB53_63
; %bb.60:
	v_dual_mov_b32 v1, 0 :: v_dual_add_nc_u32 v8, 0x360, v13
	v_dual_mov_b32 v2, 0 :: v_dual_add_nc_u32 v7, -1, v154
	v_or_b32_e32 v9, 8, v14
	s_mov_b32 s3, 0
	s_delay_alu instid0(VALU_DEP_2)
	v_dual_mov_b32 v4, v2 :: v_dual_mov_b32 v3, v1
	.p2align	6
.LBB53_61:                              ; =>This Inner Loop Header: Depth=1
	scratch_load_b128 v[15:18], v9, off offset:-8
	ds_load_b128 v[19:22], v8
	v_add_nc_u32_e32 v7, 1, v7
	v_add_nc_u32_e32 v8, 16, v8
	;; [unrolled: 1-line block ×3, first 2 shown]
	s_delay_alu instid0(VALU_DEP_3) | instskip(SKIP_4) | instid1(VALU_DEP_2)
	v_cmp_lt_u32_e32 vcc_lo, 10, v7
	s_or_b32 s3, vcc_lo, s3
	s_waitcnt vmcnt(0) lgkmcnt(0)
	v_mul_f64 v[10:11], v[21:22], v[17:18]
	v_mul_f64 v[17:18], v[19:20], v[17:18]
	v_fma_f64 v[10:11], v[19:20], v[15:16], -v[10:11]
	s_delay_alu instid0(VALU_DEP_2) | instskip(NEXT) | instid1(VALU_DEP_2)
	v_fma_f64 v[15:16], v[21:22], v[15:16], v[17:18]
	v_add_f64 v[3:4], v[3:4], v[10:11]
	s_delay_alu instid0(VALU_DEP_2)
	v_add_f64 v[1:2], v[1:2], v[15:16]
	s_and_not1_b32 exec_lo, exec_lo, s3
	s_cbranch_execnz .LBB53_61
; %bb.62:
	s_or_b32 exec_lo, exec_lo, s3
	v_mov_b32_e32 v7, 0
	ds_load_b128 v[7:10], v7 offset:192
	s_waitcnt lgkmcnt(0)
	v_mul_f64 v[11:12], v[1:2], v[9:10]
	v_mul_f64 v[15:16], v[3:4], v[9:10]
	s_delay_alu instid0(VALU_DEP_2) | instskip(NEXT) | instid1(VALU_DEP_2)
	v_fma_f64 v[9:10], v[3:4], v[7:8], -v[11:12]
	v_fma_f64 v[11:12], v[1:2], v[7:8], v[15:16]
	scratch_store_b128 off, v[9:12], off offset:192
.LBB53_63:
	s_or_b32 exec_lo, exec_lo, s2
	s_waitcnt_vscnt null, 0x0
	s_barrier
	buffer_gl0_inv
	scratch_load_b128 v[1:4], v195, off
	s_mov_b32 s2, exec_lo
	s_waitcnt vmcnt(0)
	ds_store_b128 v5, v[1:4]
	s_waitcnt lgkmcnt(0)
	s_barrier
	buffer_gl0_inv
	v_cmpx_gt_u32_e32 13, v154
	s_cbranch_execz .LBB53_67
; %bb.64:
	v_dual_mov_b32 v1, 0 :: v_dual_add_nc_u32 v8, 0x360, v13
	v_dual_mov_b32 v2, 0 :: v_dual_add_nc_u32 v7, -1, v154
	v_or_b32_e32 v9, 8, v14
	s_mov_b32 s3, 0
	s_delay_alu instid0(VALU_DEP_2)
	v_dual_mov_b32 v4, v2 :: v_dual_mov_b32 v3, v1
	.p2align	6
.LBB53_65:                              ; =>This Inner Loop Header: Depth=1
	scratch_load_b128 v[15:18], v9, off offset:-8
	ds_load_b128 v[19:22], v8
	v_add_nc_u32_e32 v7, 1, v7
	v_add_nc_u32_e32 v8, 16, v8
	v_add_nc_u32_e32 v9, 16, v9
	s_delay_alu instid0(VALU_DEP_3) | instskip(SKIP_4) | instid1(VALU_DEP_2)
	v_cmp_lt_u32_e32 vcc_lo, 11, v7
	s_or_b32 s3, vcc_lo, s3
	s_waitcnt vmcnt(0) lgkmcnt(0)
	v_mul_f64 v[10:11], v[21:22], v[17:18]
	v_mul_f64 v[17:18], v[19:20], v[17:18]
	v_fma_f64 v[10:11], v[19:20], v[15:16], -v[10:11]
	s_delay_alu instid0(VALU_DEP_2) | instskip(NEXT) | instid1(VALU_DEP_2)
	v_fma_f64 v[15:16], v[21:22], v[15:16], v[17:18]
	v_add_f64 v[3:4], v[3:4], v[10:11]
	s_delay_alu instid0(VALU_DEP_2)
	v_add_f64 v[1:2], v[1:2], v[15:16]
	s_and_not1_b32 exec_lo, exec_lo, s3
	s_cbranch_execnz .LBB53_65
; %bb.66:
	s_or_b32 exec_lo, exec_lo, s3
	v_mov_b32_e32 v7, 0
	ds_load_b128 v[7:10], v7 offset:208
	s_waitcnt lgkmcnt(0)
	v_mul_f64 v[11:12], v[1:2], v[9:10]
	v_mul_f64 v[15:16], v[3:4], v[9:10]
	s_delay_alu instid0(VALU_DEP_2) | instskip(NEXT) | instid1(VALU_DEP_2)
	v_fma_f64 v[9:10], v[3:4], v[7:8], -v[11:12]
	v_fma_f64 v[11:12], v[1:2], v[7:8], v[15:16]
	scratch_store_b128 off, v[9:12], off offset:208
.LBB53_67:
	s_or_b32 exec_lo, exec_lo, s2
	s_waitcnt_vscnt null, 0x0
	s_barrier
	buffer_gl0_inv
	scratch_load_b128 v[1:4], v194, off
	s_mov_b32 s2, exec_lo
	s_waitcnt vmcnt(0)
	ds_store_b128 v5, v[1:4]
	s_waitcnt lgkmcnt(0)
	s_barrier
	buffer_gl0_inv
	v_cmpx_gt_u32_e32 14, v154
	s_cbranch_execz .LBB53_71
; %bb.68:
	v_dual_mov_b32 v1, 0 :: v_dual_add_nc_u32 v8, 0x360, v13
	v_dual_mov_b32 v2, 0 :: v_dual_add_nc_u32 v7, -1, v154
	v_or_b32_e32 v9, 8, v14
	s_mov_b32 s3, 0
	s_delay_alu instid0(VALU_DEP_2)
	v_dual_mov_b32 v4, v2 :: v_dual_mov_b32 v3, v1
	.p2align	6
.LBB53_69:                              ; =>This Inner Loop Header: Depth=1
	scratch_load_b128 v[15:18], v9, off offset:-8
	ds_load_b128 v[19:22], v8
	v_add_nc_u32_e32 v7, 1, v7
	v_add_nc_u32_e32 v8, 16, v8
	;; [unrolled: 1-line block ×3, first 2 shown]
	s_delay_alu instid0(VALU_DEP_3) | instskip(SKIP_4) | instid1(VALU_DEP_2)
	v_cmp_lt_u32_e32 vcc_lo, 12, v7
	s_or_b32 s3, vcc_lo, s3
	s_waitcnt vmcnt(0) lgkmcnt(0)
	v_mul_f64 v[10:11], v[21:22], v[17:18]
	v_mul_f64 v[17:18], v[19:20], v[17:18]
	v_fma_f64 v[10:11], v[19:20], v[15:16], -v[10:11]
	s_delay_alu instid0(VALU_DEP_2) | instskip(NEXT) | instid1(VALU_DEP_2)
	v_fma_f64 v[15:16], v[21:22], v[15:16], v[17:18]
	v_add_f64 v[3:4], v[3:4], v[10:11]
	s_delay_alu instid0(VALU_DEP_2)
	v_add_f64 v[1:2], v[1:2], v[15:16]
	s_and_not1_b32 exec_lo, exec_lo, s3
	s_cbranch_execnz .LBB53_69
; %bb.70:
	s_or_b32 exec_lo, exec_lo, s3
	v_mov_b32_e32 v7, 0
	ds_load_b128 v[7:10], v7 offset:224
	s_waitcnt lgkmcnt(0)
	v_mul_f64 v[11:12], v[1:2], v[9:10]
	v_mul_f64 v[15:16], v[3:4], v[9:10]
	s_delay_alu instid0(VALU_DEP_2) | instskip(NEXT) | instid1(VALU_DEP_2)
	v_fma_f64 v[9:10], v[3:4], v[7:8], -v[11:12]
	v_fma_f64 v[11:12], v[1:2], v[7:8], v[15:16]
	scratch_store_b128 off, v[9:12], off offset:224
.LBB53_71:
	s_or_b32 exec_lo, exec_lo, s2
	s_waitcnt_vscnt null, 0x0
	s_barrier
	buffer_gl0_inv
	scratch_load_b128 v[1:4], v193, off
	s_mov_b32 s2, exec_lo
	s_waitcnt vmcnt(0)
	ds_store_b128 v5, v[1:4]
	s_waitcnt lgkmcnt(0)
	s_barrier
	buffer_gl0_inv
	v_cmpx_gt_u32_e32 15, v154
	s_cbranch_execz .LBB53_75
; %bb.72:
	v_dual_mov_b32 v1, 0 :: v_dual_add_nc_u32 v8, 0x360, v13
	v_dual_mov_b32 v2, 0 :: v_dual_add_nc_u32 v7, -1, v154
	v_or_b32_e32 v9, 8, v14
	s_mov_b32 s3, 0
	s_delay_alu instid0(VALU_DEP_2)
	v_dual_mov_b32 v4, v2 :: v_dual_mov_b32 v3, v1
	.p2align	6
.LBB53_73:                              ; =>This Inner Loop Header: Depth=1
	scratch_load_b128 v[15:18], v9, off offset:-8
	ds_load_b128 v[19:22], v8
	v_add_nc_u32_e32 v7, 1, v7
	v_add_nc_u32_e32 v8, 16, v8
	;; [unrolled: 1-line block ×3, first 2 shown]
	s_delay_alu instid0(VALU_DEP_3) | instskip(SKIP_4) | instid1(VALU_DEP_2)
	v_cmp_lt_u32_e32 vcc_lo, 13, v7
	s_or_b32 s3, vcc_lo, s3
	s_waitcnt vmcnt(0) lgkmcnt(0)
	v_mul_f64 v[10:11], v[21:22], v[17:18]
	v_mul_f64 v[17:18], v[19:20], v[17:18]
	v_fma_f64 v[10:11], v[19:20], v[15:16], -v[10:11]
	s_delay_alu instid0(VALU_DEP_2) | instskip(NEXT) | instid1(VALU_DEP_2)
	v_fma_f64 v[15:16], v[21:22], v[15:16], v[17:18]
	v_add_f64 v[3:4], v[3:4], v[10:11]
	s_delay_alu instid0(VALU_DEP_2)
	v_add_f64 v[1:2], v[1:2], v[15:16]
	s_and_not1_b32 exec_lo, exec_lo, s3
	s_cbranch_execnz .LBB53_73
; %bb.74:
	s_or_b32 exec_lo, exec_lo, s3
	v_mov_b32_e32 v7, 0
	ds_load_b128 v[7:10], v7 offset:240
	s_waitcnt lgkmcnt(0)
	v_mul_f64 v[11:12], v[1:2], v[9:10]
	v_mul_f64 v[15:16], v[3:4], v[9:10]
	s_delay_alu instid0(VALU_DEP_2) | instskip(NEXT) | instid1(VALU_DEP_2)
	v_fma_f64 v[9:10], v[3:4], v[7:8], -v[11:12]
	v_fma_f64 v[11:12], v[1:2], v[7:8], v[15:16]
	scratch_store_b128 off, v[9:12], off offset:240
.LBB53_75:
	s_or_b32 exec_lo, exec_lo, s2
	s_waitcnt_vscnt null, 0x0
	s_barrier
	buffer_gl0_inv
	scratch_load_b128 v[1:4], v192, off
	s_mov_b32 s2, exec_lo
	s_waitcnt vmcnt(0)
	ds_store_b128 v5, v[1:4]
	s_waitcnt lgkmcnt(0)
	s_barrier
	buffer_gl0_inv
	v_cmpx_gt_u32_e32 16, v154
	s_cbranch_execz .LBB53_79
; %bb.76:
	v_dual_mov_b32 v1, 0 :: v_dual_add_nc_u32 v8, 0x360, v13
	v_dual_mov_b32 v2, 0 :: v_dual_add_nc_u32 v7, -1, v154
	v_or_b32_e32 v9, 8, v14
	s_mov_b32 s3, 0
	s_delay_alu instid0(VALU_DEP_2)
	v_dual_mov_b32 v4, v2 :: v_dual_mov_b32 v3, v1
	.p2align	6
.LBB53_77:                              ; =>This Inner Loop Header: Depth=1
	scratch_load_b128 v[15:18], v9, off offset:-8
	ds_load_b128 v[19:22], v8
	v_add_nc_u32_e32 v7, 1, v7
	v_add_nc_u32_e32 v8, 16, v8
	;; [unrolled: 1-line block ×3, first 2 shown]
	s_delay_alu instid0(VALU_DEP_3) | instskip(SKIP_4) | instid1(VALU_DEP_2)
	v_cmp_lt_u32_e32 vcc_lo, 14, v7
	s_or_b32 s3, vcc_lo, s3
	s_waitcnt vmcnt(0) lgkmcnt(0)
	v_mul_f64 v[10:11], v[21:22], v[17:18]
	v_mul_f64 v[17:18], v[19:20], v[17:18]
	v_fma_f64 v[10:11], v[19:20], v[15:16], -v[10:11]
	s_delay_alu instid0(VALU_DEP_2) | instskip(NEXT) | instid1(VALU_DEP_2)
	v_fma_f64 v[15:16], v[21:22], v[15:16], v[17:18]
	v_add_f64 v[3:4], v[3:4], v[10:11]
	s_delay_alu instid0(VALU_DEP_2)
	v_add_f64 v[1:2], v[1:2], v[15:16]
	s_and_not1_b32 exec_lo, exec_lo, s3
	s_cbranch_execnz .LBB53_77
; %bb.78:
	s_or_b32 exec_lo, exec_lo, s3
	v_mov_b32_e32 v7, 0
	ds_load_b128 v[7:10], v7 offset:256
	s_waitcnt lgkmcnt(0)
	v_mul_f64 v[11:12], v[1:2], v[9:10]
	v_mul_f64 v[15:16], v[3:4], v[9:10]
	s_delay_alu instid0(VALU_DEP_2) | instskip(NEXT) | instid1(VALU_DEP_2)
	v_fma_f64 v[9:10], v[3:4], v[7:8], -v[11:12]
	v_fma_f64 v[11:12], v[1:2], v[7:8], v[15:16]
	scratch_store_b128 off, v[9:12], off offset:256
.LBB53_79:
	s_or_b32 exec_lo, exec_lo, s2
	s_waitcnt_vscnt null, 0x0
	s_barrier
	buffer_gl0_inv
	scratch_load_b128 v[1:4], v191, off
	s_mov_b32 s2, exec_lo
	s_waitcnt vmcnt(0)
	ds_store_b128 v5, v[1:4]
	s_waitcnt lgkmcnt(0)
	s_barrier
	buffer_gl0_inv
	v_cmpx_gt_u32_e32 17, v154
	s_cbranch_execz .LBB53_83
; %bb.80:
	v_dual_mov_b32 v1, 0 :: v_dual_add_nc_u32 v8, 0x360, v13
	v_dual_mov_b32 v2, 0 :: v_dual_add_nc_u32 v7, -1, v154
	v_or_b32_e32 v9, 8, v14
	s_mov_b32 s3, 0
	s_delay_alu instid0(VALU_DEP_2)
	v_dual_mov_b32 v4, v2 :: v_dual_mov_b32 v3, v1
	.p2align	6
.LBB53_81:                              ; =>This Inner Loop Header: Depth=1
	scratch_load_b128 v[15:18], v9, off offset:-8
	ds_load_b128 v[19:22], v8
	v_add_nc_u32_e32 v7, 1, v7
	v_add_nc_u32_e32 v8, 16, v8
	;; [unrolled: 1-line block ×3, first 2 shown]
	s_delay_alu instid0(VALU_DEP_3) | instskip(SKIP_4) | instid1(VALU_DEP_2)
	v_cmp_lt_u32_e32 vcc_lo, 15, v7
	s_or_b32 s3, vcc_lo, s3
	s_waitcnt vmcnt(0) lgkmcnt(0)
	v_mul_f64 v[10:11], v[21:22], v[17:18]
	v_mul_f64 v[17:18], v[19:20], v[17:18]
	v_fma_f64 v[10:11], v[19:20], v[15:16], -v[10:11]
	s_delay_alu instid0(VALU_DEP_2) | instskip(NEXT) | instid1(VALU_DEP_2)
	v_fma_f64 v[15:16], v[21:22], v[15:16], v[17:18]
	v_add_f64 v[3:4], v[3:4], v[10:11]
	s_delay_alu instid0(VALU_DEP_2)
	v_add_f64 v[1:2], v[1:2], v[15:16]
	s_and_not1_b32 exec_lo, exec_lo, s3
	s_cbranch_execnz .LBB53_81
; %bb.82:
	s_or_b32 exec_lo, exec_lo, s3
	v_mov_b32_e32 v7, 0
	ds_load_b128 v[7:10], v7 offset:272
	s_waitcnt lgkmcnt(0)
	v_mul_f64 v[11:12], v[1:2], v[9:10]
	v_mul_f64 v[15:16], v[3:4], v[9:10]
	s_delay_alu instid0(VALU_DEP_2) | instskip(NEXT) | instid1(VALU_DEP_2)
	v_fma_f64 v[9:10], v[3:4], v[7:8], -v[11:12]
	v_fma_f64 v[11:12], v[1:2], v[7:8], v[15:16]
	scratch_store_b128 off, v[9:12], off offset:272
.LBB53_83:
	s_or_b32 exec_lo, exec_lo, s2
	s_waitcnt_vscnt null, 0x0
	s_barrier
	buffer_gl0_inv
	scratch_load_b128 v[1:4], v190, off
	s_mov_b32 s2, exec_lo
	s_waitcnt vmcnt(0)
	ds_store_b128 v5, v[1:4]
	s_waitcnt lgkmcnt(0)
	s_barrier
	buffer_gl0_inv
	v_cmpx_gt_u32_e32 18, v154
	s_cbranch_execz .LBB53_87
; %bb.84:
	v_dual_mov_b32 v1, 0 :: v_dual_add_nc_u32 v8, 0x360, v13
	v_dual_mov_b32 v2, 0 :: v_dual_add_nc_u32 v7, -1, v154
	v_or_b32_e32 v9, 8, v14
	s_mov_b32 s3, 0
	s_delay_alu instid0(VALU_DEP_2)
	v_dual_mov_b32 v4, v2 :: v_dual_mov_b32 v3, v1
	.p2align	6
.LBB53_85:                              ; =>This Inner Loop Header: Depth=1
	scratch_load_b128 v[15:18], v9, off offset:-8
	ds_load_b128 v[19:22], v8
	v_add_nc_u32_e32 v7, 1, v7
	v_add_nc_u32_e32 v8, 16, v8
	;; [unrolled: 1-line block ×3, first 2 shown]
	s_delay_alu instid0(VALU_DEP_3) | instskip(SKIP_4) | instid1(VALU_DEP_2)
	v_cmp_lt_u32_e32 vcc_lo, 16, v7
	s_or_b32 s3, vcc_lo, s3
	s_waitcnt vmcnt(0) lgkmcnt(0)
	v_mul_f64 v[10:11], v[21:22], v[17:18]
	v_mul_f64 v[17:18], v[19:20], v[17:18]
	v_fma_f64 v[10:11], v[19:20], v[15:16], -v[10:11]
	s_delay_alu instid0(VALU_DEP_2) | instskip(NEXT) | instid1(VALU_DEP_2)
	v_fma_f64 v[15:16], v[21:22], v[15:16], v[17:18]
	v_add_f64 v[3:4], v[3:4], v[10:11]
	s_delay_alu instid0(VALU_DEP_2)
	v_add_f64 v[1:2], v[1:2], v[15:16]
	s_and_not1_b32 exec_lo, exec_lo, s3
	s_cbranch_execnz .LBB53_85
; %bb.86:
	s_or_b32 exec_lo, exec_lo, s3
	v_mov_b32_e32 v7, 0
	ds_load_b128 v[7:10], v7 offset:288
	s_waitcnt lgkmcnt(0)
	v_mul_f64 v[11:12], v[1:2], v[9:10]
	v_mul_f64 v[15:16], v[3:4], v[9:10]
	s_delay_alu instid0(VALU_DEP_2) | instskip(NEXT) | instid1(VALU_DEP_2)
	v_fma_f64 v[9:10], v[3:4], v[7:8], -v[11:12]
	v_fma_f64 v[11:12], v[1:2], v[7:8], v[15:16]
	scratch_store_b128 off, v[9:12], off offset:288
.LBB53_87:
	s_or_b32 exec_lo, exec_lo, s2
	s_waitcnt_vscnt null, 0x0
	s_barrier
	buffer_gl0_inv
	scratch_load_b128 v[1:4], v189, off
	s_mov_b32 s2, exec_lo
	s_waitcnt vmcnt(0)
	ds_store_b128 v5, v[1:4]
	s_waitcnt lgkmcnt(0)
	s_barrier
	buffer_gl0_inv
	v_cmpx_gt_u32_e32 19, v154
	s_cbranch_execz .LBB53_91
; %bb.88:
	v_dual_mov_b32 v1, 0 :: v_dual_add_nc_u32 v8, 0x360, v13
	v_dual_mov_b32 v2, 0 :: v_dual_add_nc_u32 v7, -1, v154
	v_or_b32_e32 v9, 8, v14
	s_mov_b32 s3, 0
	s_delay_alu instid0(VALU_DEP_2)
	v_dual_mov_b32 v4, v2 :: v_dual_mov_b32 v3, v1
	.p2align	6
.LBB53_89:                              ; =>This Inner Loop Header: Depth=1
	scratch_load_b128 v[15:18], v9, off offset:-8
	ds_load_b128 v[19:22], v8
	v_add_nc_u32_e32 v7, 1, v7
	v_add_nc_u32_e32 v8, 16, v8
	;; [unrolled: 1-line block ×3, first 2 shown]
	s_delay_alu instid0(VALU_DEP_3) | instskip(SKIP_4) | instid1(VALU_DEP_2)
	v_cmp_lt_u32_e32 vcc_lo, 17, v7
	s_or_b32 s3, vcc_lo, s3
	s_waitcnt vmcnt(0) lgkmcnt(0)
	v_mul_f64 v[10:11], v[21:22], v[17:18]
	v_mul_f64 v[17:18], v[19:20], v[17:18]
	v_fma_f64 v[10:11], v[19:20], v[15:16], -v[10:11]
	s_delay_alu instid0(VALU_DEP_2) | instskip(NEXT) | instid1(VALU_DEP_2)
	v_fma_f64 v[15:16], v[21:22], v[15:16], v[17:18]
	v_add_f64 v[3:4], v[3:4], v[10:11]
	s_delay_alu instid0(VALU_DEP_2)
	v_add_f64 v[1:2], v[1:2], v[15:16]
	s_and_not1_b32 exec_lo, exec_lo, s3
	s_cbranch_execnz .LBB53_89
; %bb.90:
	s_or_b32 exec_lo, exec_lo, s3
	v_mov_b32_e32 v7, 0
	ds_load_b128 v[7:10], v7 offset:304
	s_waitcnt lgkmcnt(0)
	v_mul_f64 v[11:12], v[1:2], v[9:10]
	v_mul_f64 v[15:16], v[3:4], v[9:10]
	s_delay_alu instid0(VALU_DEP_2) | instskip(NEXT) | instid1(VALU_DEP_2)
	v_fma_f64 v[9:10], v[3:4], v[7:8], -v[11:12]
	v_fma_f64 v[11:12], v[1:2], v[7:8], v[15:16]
	scratch_store_b128 off, v[9:12], off offset:304
.LBB53_91:
	s_or_b32 exec_lo, exec_lo, s2
	s_waitcnt_vscnt null, 0x0
	s_barrier
	buffer_gl0_inv
	scratch_load_b128 v[1:4], v188, off
	s_mov_b32 s2, exec_lo
	s_waitcnt vmcnt(0)
	ds_store_b128 v5, v[1:4]
	s_waitcnt lgkmcnt(0)
	s_barrier
	buffer_gl0_inv
	v_cmpx_gt_u32_e32 20, v154
	s_cbranch_execz .LBB53_95
; %bb.92:
	v_dual_mov_b32 v1, 0 :: v_dual_add_nc_u32 v8, 0x360, v13
	v_dual_mov_b32 v2, 0 :: v_dual_add_nc_u32 v7, -1, v154
	v_or_b32_e32 v9, 8, v14
	s_mov_b32 s3, 0
	s_delay_alu instid0(VALU_DEP_2)
	v_dual_mov_b32 v4, v2 :: v_dual_mov_b32 v3, v1
	.p2align	6
.LBB53_93:                              ; =>This Inner Loop Header: Depth=1
	scratch_load_b128 v[15:18], v9, off offset:-8
	ds_load_b128 v[19:22], v8
	v_add_nc_u32_e32 v7, 1, v7
	v_add_nc_u32_e32 v8, 16, v8
	;; [unrolled: 1-line block ×3, first 2 shown]
	s_delay_alu instid0(VALU_DEP_3) | instskip(SKIP_4) | instid1(VALU_DEP_2)
	v_cmp_lt_u32_e32 vcc_lo, 18, v7
	s_or_b32 s3, vcc_lo, s3
	s_waitcnt vmcnt(0) lgkmcnt(0)
	v_mul_f64 v[10:11], v[21:22], v[17:18]
	v_mul_f64 v[17:18], v[19:20], v[17:18]
	v_fma_f64 v[10:11], v[19:20], v[15:16], -v[10:11]
	s_delay_alu instid0(VALU_DEP_2) | instskip(NEXT) | instid1(VALU_DEP_2)
	v_fma_f64 v[15:16], v[21:22], v[15:16], v[17:18]
	v_add_f64 v[3:4], v[3:4], v[10:11]
	s_delay_alu instid0(VALU_DEP_2)
	v_add_f64 v[1:2], v[1:2], v[15:16]
	s_and_not1_b32 exec_lo, exec_lo, s3
	s_cbranch_execnz .LBB53_93
; %bb.94:
	s_or_b32 exec_lo, exec_lo, s3
	v_mov_b32_e32 v7, 0
	ds_load_b128 v[7:10], v7 offset:320
	s_waitcnt lgkmcnt(0)
	v_mul_f64 v[11:12], v[1:2], v[9:10]
	v_mul_f64 v[15:16], v[3:4], v[9:10]
	s_delay_alu instid0(VALU_DEP_2) | instskip(NEXT) | instid1(VALU_DEP_2)
	v_fma_f64 v[9:10], v[3:4], v[7:8], -v[11:12]
	v_fma_f64 v[11:12], v[1:2], v[7:8], v[15:16]
	scratch_store_b128 off, v[9:12], off offset:320
.LBB53_95:
	s_or_b32 exec_lo, exec_lo, s2
	s_waitcnt_vscnt null, 0x0
	s_barrier
	buffer_gl0_inv
	scratch_load_b128 v[1:4], v187, off
	s_mov_b32 s2, exec_lo
	s_waitcnt vmcnt(0)
	ds_store_b128 v5, v[1:4]
	s_waitcnt lgkmcnt(0)
	s_barrier
	buffer_gl0_inv
	v_cmpx_gt_u32_e32 21, v154
	s_cbranch_execz .LBB53_99
; %bb.96:
	v_dual_mov_b32 v1, 0 :: v_dual_add_nc_u32 v8, 0x360, v13
	v_dual_mov_b32 v2, 0 :: v_dual_add_nc_u32 v7, -1, v154
	v_or_b32_e32 v9, 8, v14
	s_mov_b32 s3, 0
	s_delay_alu instid0(VALU_DEP_2)
	v_dual_mov_b32 v4, v2 :: v_dual_mov_b32 v3, v1
	.p2align	6
.LBB53_97:                              ; =>This Inner Loop Header: Depth=1
	scratch_load_b128 v[15:18], v9, off offset:-8
	ds_load_b128 v[19:22], v8
	v_add_nc_u32_e32 v7, 1, v7
	v_add_nc_u32_e32 v8, 16, v8
	;; [unrolled: 1-line block ×3, first 2 shown]
	s_delay_alu instid0(VALU_DEP_3) | instskip(SKIP_4) | instid1(VALU_DEP_2)
	v_cmp_lt_u32_e32 vcc_lo, 19, v7
	s_or_b32 s3, vcc_lo, s3
	s_waitcnt vmcnt(0) lgkmcnt(0)
	v_mul_f64 v[10:11], v[21:22], v[17:18]
	v_mul_f64 v[17:18], v[19:20], v[17:18]
	v_fma_f64 v[10:11], v[19:20], v[15:16], -v[10:11]
	s_delay_alu instid0(VALU_DEP_2) | instskip(NEXT) | instid1(VALU_DEP_2)
	v_fma_f64 v[15:16], v[21:22], v[15:16], v[17:18]
	v_add_f64 v[3:4], v[3:4], v[10:11]
	s_delay_alu instid0(VALU_DEP_2)
	v_add_f64 v[1:2], v[1:2], v[15:16]
	s_and_not1_b32 exec_lo, exec_lo, s3
	s_cbranch_execnz .LBB53_97
; %bb.98:
	s_or_b32 exec_lo, exec_lo, s3
	v_mov_b32_e32 v7, 0
	ds_load_b128 v[7:10], v7 offset:336
	s_waitcnt lgkmcnt(0)
	v_mul_f64 v[11:12], v[1:2], v[9:10]
	v_mul_f64 v[15:16], v[3:4], v[9:10]
	s_delay_alu instid0(VALU_DEP_2) | instskip(NEXT) | instid1(VALU_DEP_2)
	v_fma_f64 v[9:10], v[3:4], v[7:8], -v[11:12]
	v_fma_f64 v[11:12], v[1:2], v[7:8], v[15:16]
	scratch_store_b128 off, v[9:12], off offset:336
.LBB53_99:
	s_or_b32 exec_lo, exec_lo, s2
	s_waitcnt_vscnt null, 0x0
	s_barrier
	buffer_gl0_inv
	scratch_load_b128 v[1:4], v186, off
	s_mov_b32 s2, exec_lo
	s_waitcnt vmcnt(0)
	ds_store_b128 v5, v[1:4]
	s_waitcnt lgkmcnt(0)
	s_barrier
	buffer_gl0_inv
	v_cmpx_gt_u32_e32 22, v154
	s_cbranch_execz .LBB53_103
; %bb.100:
	v_dual_mov_b32 v1, 0 :: v_dual_add_nc_u32 v8, 0x360, v13
	v_dual_mov_b32 v2, 0 :: v_dual_add_nc_u32 v7, -1, v154
	v_or_b32_e32 v9, 8, v14
	s_mov_b32 s3, 0
	s_delay_alu instid0(VALU_DEP_2)
	v_dual_mov_b32 v4, v2 :: v_dual_mov_b32 v3, v1
	.p2align	6
.LBB53_101:                             ; =>This Inner Loop Header: Depth=1
	scratch_load_b128 v[15:18], v9, off offset:-8
	ds_load_b128 v[19:22], v8
	v_add_nc_u32_e32 v7, 1, v7
	v_add_nc_u32_e32 v8, 16, v8
	;; [unrolled: 1-line block ×3, first 2 shown]
	s_delay_alu instid0(VALU_DEP_3) | instskip(SKIP_4) | instid1(VALU_DEP_2)
	v_cmp_lt_u32_e32 vcc_lo, 20, v7
	s_or_b32 s3, vcc_lo, s3
	s_waitcnt vmcnt(0) lgkmcnt(0)
	v_mul_f64 v[10:11], v[21:22], v[17:18]
	v_mul_f64 v[17:18], v[19:20], v[17:18]
	v_fma_f64 v[10:11], v[19:20], v[15:16], -v[10:11]
	s_delay_alu instid0(VALU_DEP_2) | instskip(NEXT) | instid1(VALU_DEP_2)
	v_fma_f64 v[15:16], v[21:22], v[15:16], v[17:18]
	v_add_f64 v[3:4], v[3:4], v[10:11]
	s_delay_alu instid0(VALU_DEP_2)
	v_add_f64 v[1:2], v[1:2], v[15:16]
	s_and_not1_b32 exec_lo, exec_lo, s3
	s_cbranch_execnz .LBB53_101
; %bb.102:
	s_or_b32 exec_lo, exec_lo, s3
	v_mov_b32_e32 v7, 0
	ds_load_b128 v[7:10], v7 offset:352
	s_waitcnt lgkmcnt(0)
	v_mul_f64 v[11:12], v[1:2], v[9:10]
	v_mul_f64 v[15:16], v[3:4], v[9:10]
	s_delay_alu instid0(VALU_DEP_2) | instskip(NEXT) | instid1(VALU_DEP_2)
	v_fma_f64 v[9:10], v[3:4], v[7:8], -v[11:12]
	v_fma_f64 v[11:12], v[1:2], v[7:8], v[15:16]
	scratch_store_b128 off, v[9:12], off offset:352
.LBB53_103:
	s_or_b32 exec_lo, exec_lo, s2
	s_waitcnt_vscnt null, 0x0
	s_barrier
	buffer_gl0_inv
	scratch_load_b128 v[1:4], v185, off
	s_mov_b32 s2, exec_lo
	s_waitcnt vmcnt(0)
	ds_store_b128 v5, v[1:4]
	s_waitcnt lgkmcnt(0)
	s_barrier
	buffer_gl0_inv
	v_cmpx_gt_u32_e32 23, v154
	s_cbranch_execz .LBB53_107
; %bb.104:
	v_dual_mov_b32 v1, 0 :: v_dual_add_nc_u32 v8, 0x360, v13
	v_dual_mov_b32 v2, 0 :: v_dual_add_nc_u32 v7, -1, v154
	v_or_b32_e32 v9, 8, v14
	s_mov_b32 s3, 0
	s_delay_alu instid0(VALU_DEP_2)
	v_dual_mov_b32 v4, v2 :: v_dual_mov_b32 v3, v1
	.p2align	6
.LBB53_105:                             ; =>This Inner Loop Header: Depth=1
	scratch_load_b128 v[15:18], v9, off offset:-8
	ds_load_b128 v[19:22], v8
	v_add_nc_u32_e32 v7, 1, v7
	v_add_nc_u32_e32 v8, 16, v8
	;; [unrolled: 1-line block ×3, first 2 shown]
	s_delay_alu instid0(VALU_DEP_3) | instskip(SKIP_4) | instid1(VALU_DEP_2)
	v_cmp_lt_u32_e32 vcc_lo, 21, v7
	s_or_b32 s3, vcc_lo, s3
	s_waitcnt vmcnt(0) lgkmcnt(0)
	v_mul_f64 v[10:11], v[21:22], v[17:18]
	v_mul_f64 v[17:18], v[19:20], v[17:18]
	v_fma_f64 v[10:11], v[19:20], v[15:16], -v[10:11]
	s_delay_alu instid0(VALU_DEP_2) | instskip(NEXT) | instid1(VALU_DEP_2)
	v_fma_f64 v[15:16], v[21:22], v[15:16], v[17:18]
	v_add_f64 v[3:4], v[3:4], v[10:11]
	s_delay_alu instid0(VALU_DEP_2)
	v_add_f64 v[1:2], v[1:2], v[15:16]
	s_and_not1_b32 exec_lo, exec_lo, s3
	s_cbranch_execnz .LBB53_105
; %bb.106:
	s_or_b32 exec_lo, exec_lo, s3
	v_mov_b32_e32 v7, 0
	ds_load_b128 v[7:10], v7 offset:368
	s_waitcnt lgkmcnt(0)
	v_mul_f64 v[11:12], v[1:2], v[9:10]
	v_mul_f64 v[15:16], v[3:4], v[9:10]
	s_delay_alu instid0(VALU_DEP_2) | instskip(NEXT) | instid1(VALU_DEP_2)
	v_fma_f64 v[9:10], v[3:4], v[7:8], -v[11:12]
	v_fma_f64 v[11:12], v[1:2], v[7:8], v[15:16]
	scratch_store_b128 off, v[9:12], off offset:368
.LBB53_107:
	s_or_b32 exec_lo, exec_lo, s2
	s_waitcnt_vscnt null, 0x0
	s_barrier
	buffer_gl0_inv
	scratch_load_b128 v[1:4], v184, off
	s_mov_b32 s2, exec_lo
	s_waitcnt vmcnt(0)
	ds_store_b128 v5, v[1:4]
	s_waitcnt lgkmcnt(0)
	s_barrier
	buffer_gl0_inv
	v_cmpx_gt_u32_e32 24, v154
	s_cbranch_execz .LBB53_111
; %bb.108:
	v_dual_mov_b32 v1, 0 :: v_dual_add_nc_u32 v8, 0x360, v13
	v_dual_mov_b32 v2, 0 :: v_dual_add_nc_u32 v7, -1, v154
	v_or_b32_e32 v9, 8, v14
	s_mov_b32 s3, 0
	s_delay_alu instid0(VALU_DEP_2)
	v_dual_mov_b32 v4, v2 :: v_dual_mov_b32 v3, v1
	.p2align	6
.LBB53_109:                             ; =>This Inner Loop Header: Depth=1
	scratch_load_b128 v[15:18], v9, off offset:-8
	ds_load_b128 v[19:22], v8
	v_add_nc_u32_e32 v7, 1, v7
	v_add_nc_u32_e32 v8, 16, v8
	v_add_nc_u32_e32 v9, 16, v9
	s_delay_alu instid0(VALU_DEP_3) | instskip(SKIP_4) | instid1(VALU_DEP_2)
	v_cmp_lt_u32_e32 vcc_lo, 22, v7
	s_or_b32 s3, vcc_lo, s3
	s_waitcnt vmcnt(0) lgkmcnt(0)
	v_mul_f64 v[10:11], v[21:22], v[17:18]
	v_mul_f64 v[17:18], v[19:20], v[17:18]
	v_fma_f64 v[10:11], v[19:20], v[15:16], -v[10:11]
	s_delay_alu instid0(VALU_DEP_2) | instskip(NEXT) | instid1(VALU_DEP_2)
	v_fma_f64 v[15:16], v[21:22], v[15:16], v[17:18]
	v_add_f64 v[3:4], v[3:4], v[10:11]
	s_delay_alu instid0(VALU_DEP_2)
	v_add_f64 v[1:2], v[1:2], v[15:16]
	s_and_not1_b32 exec_lo, exec_lo, s3
	s_cbranch_execnz .LBB53_109
; %bb.110:
	s_or_b32 exec_lo, exec_lo, s3
	v_mov_b32_e32 v7, 0
	ds_load_b128 v[7:10], v7 offset:384
	s_waitcnt lgkmcnt(0)
	v_mul_f64 v[11:12], v[1:2], v[9:10]
	v_mul_f64 v[15:16], v[3:4], v[9:10]
	s_delay_alu instid0(VALU_DEP_2) | instskip(NEXT) | instid1(VALU_DEP_2)
	v_fma_f64 v[9:10], v[3:4], v[7:8], -v[11:12]
	v_fma_f64 v[11:12], v[1:2], v[7:8], v[15:16]
	scratch_store_b128 off, v[9:12], off offset:384
.LBB53_111:
	s_or_b32 exec_lo, exec_lo, s2
	s_waitcnt_vscnt null, 0x0
	s_barrier
	buffer_gl0_inv
	scratch_load_b128 v[1:4], v183, off
	s_mov_b32 s2, exec_lo
	s_waitcnt vmcnt(0)
	ds_store_b128 v5, v[1:4]
	s_waitcnt lgkmcnt(0)
	s_barrier
	buffer_gl0_inv
	v_cmpx_gt_u32_e32 25, v154
	s_cbranch_execz .LBB53_115
; %bb.112:
	v_dual_mov_b32 v1, 0 :: v_dual_add_nc_u32 v8, 0x360, v13
	v_dual_mov_b32 v2, 0 :: v_dual_add_nc_u32 v7, -1, v154
	v_or_b32_e32 v9, 8, v14
	s_mov_b32 s3, 0
	s_delay_alu instid0(VALU_DEP_2)
	v_dual_mov_b32 v4, v2 :: v_dual_mov_b32 v3, v1
	.p2align	6
.LBB53_113:                             ; =>This Inner Loop Header: Depth=1
	scratch_load_b128 v[15:18], v9, off offset:-8
	ds_load_b128 v[19:22], v8
	v_add_nc_u32_e32 v7, 1, v7
	v_add_nc_u32_e32 v8, 16, v8
	;; [unrolled: 1-line block ×3, first 2 shown]
	s_delay_alu instid0(VALU_DEP_3) | instskip(SKIP_4) | instid1(VALU_DEP_2)
	v_cmp_lt_u32_e32 vcc_lo, 23, v7
	s_or_b32 s3, vcc_lo, s3
	s_waitcnt vmcnt(0) lgkmcnt(0)
	v_mul_f64 v[10:11], v[21:22], v[17:18]
	v_mul_f64 v[17:18], v[19:20], v[17:18]
	v_fma_f64 v[10:11], v[19:20], v[15:16], -v[10:11]
	s_delay_alu instid0(VALU_DEP_2) | instskip(NEXT) | instid1(VALU_DEP_2)
	v_fma_f64 v[15:16], v[21:22], v[15:16], v[17:18]
	v_add_f64 v[3:4], v[3:4], v[10:11]
	s_delay_alu instid0(VALU_DEP_2)
	v_add_f64 v[1:2], v[1:2], v[15:16]
	s_and_not1_b32 exec_lo, exec_lo, s3
	s_cbranch_execnz .LBB53_113
; %bb.114:
	s_or_b32 exec_lo, exec_lo, s3
	v_mov_b32_e32 v7, 0
	ds_load_b128 v[7:10], v7 offset:400
	s_waitcnt lgkmcnt(0)
	v_mul_f64 v[11:12], v[1:2], v[9:10]
	v_mul_f64 v[15:16], v[3:4], v[9:10]
	s_delay_alu instid0(VALU_DEP_2) | instskip(NEXT) | instid1(VALU_DEP_2)
	v_fma_f64 v[9:10], v[3:4], v[7:8], -v[11:12]
	v_fma_f64 v[11:12], v[1:2], v[7:8], v[15:16]
	scratch_store_b128 off, v[9:12], off offset:400
.LBB53_115:
	s_or_b32 exec_lo, exec_lo, s2
	s_waitcnt_vscnt null, 0x0
	s_barrier
	buffer_gl0_inv
	scratch_load_b128 v[1:4], v182, off
	s_mov_b32 s2, exec_lo
	s_waitcnt vmcnt(0)
	ds_store_b128 v5, v[1:4]
	s_waitcnt lgkmcnt(0)
	s_barrier
	buffer_gl0_inv
	v_cmpx_gt_u32_e32 26, v154
	s_cbranch_execz .LBB53_119
; %bb.116:
	v_dual_mov_b32 v1, 0 :: v_dual_add_nc_u32 v8, 0x360, v13
	v_dual_mov_b32 v2, 0 :: v_dual_add_nc_u32 v7, -1, v154
	v_or_b32_e32 v9, 8, v14
	s_mov_b32 s3, 0
	s_delay_alu instid0(VALU_DEP_2)
	v_dual_mov_b32 v4, v2 :: v_dual_mov_b32 v3, v1
	.p2align	6
.LBB53_117:                             ; =>This Inner Loop Header: Depth=1
	scratch_load_b128 v[15:18], v9, off offset:-8
	ds_load_b128 v[19:22], v8
	v_add_nc_u32_e32 v7, 1, v7
	v_add_nc_u32_e32 v8, 16, v8
	;; [unrolled: 1-line block ×3, first 2 shown]
	s_delay_alu instid0(VALU_DEP_3) | instskip(SKIP_4) | instid1(VALU_DEP_2)
	v_cmp_lt_u32_e32 vcc_lo, 24, v7
	s_or_b32 s3, vcc_lo, s3
	s_waitcnt vmcnt(0) lgkmcnt(0)
	v_mul_f64 v[10:11], v[21:22], v[17:18]
	v_mul_f64 v[17:18], v[19:20], v[17:18]
	v_fma_f64 v[10:11], v[19:20], v[15:16], -v[10:11]
	s_delay_alu instid0(VALU_DEP_2) | instskip(NEXT) | instid1(VALU_DEP_2)
	v_fma_f64 v[15:16], v[21:22], v[15:16], v[17:18]
	v_add_f64 v[3:4], v[3:4], v[10:11]
	s_delay_alu instid0(VALU_DEP_2)
	v_add_f64 v[1:2], v[1:2], v[15:16]
	s_and_not1_b32 exec_lo, exec_lo, s3
	s_cbranch_execnz .LBB53_117
; %bb.118:
	s_or_b32 exec_lo, exec_lo, s3
	v_mov_b32_e32 v7, 0
	ds_load_b128 v[7:10], v7 offset:416
	s_waitcnt lgkmcnt(0)
	v_mul_f64 v[11:12], v[1:2], v[9:10]
	v_mul_f64 v[15:16], v[3:4], v[9:10]
	s_delay_alu instid0(VALU_DEP_2) | instskip(NEXT) | instid1(VALU_DEP_2)
	v_fma_f64 v[9:10], v[3:4], v[7:8], -v[11:12]
	v_fma_f64 v[11:12], v[1:2], v[7:8], v[15:16]
	scratch_store_b128 off, v[9:12], off offset:416
.LBB53_119:
	s_or_b32 exec_lo, exec_lo, s2
	s_waitcnt_vscnt null, 0x0
	s_barrier
	buffer_gl0_inv
	scratch_load_b128 v[1:4], v181, off
	s_mov_b32 s2, exec_lo
	s_waitcnt vmcnt(0)
	ds_store_b128 v5, v[1:4]
	s_waitcnt lgkmcnt(0)
	s_barrier
	buffer_gl0_inv
	v_cmpx_gt_u32_e32 27, v154
	s_cbranch_execz .LBB53_123
; %bb.120:
	v_dual_mov_b32 v1, 0 :: v_dual_add_nc_u32 v8, 0x360, v13
	v_dual_mov_b32 v2, 0 :: v_dual_add_nc_u32 v7, -1, v154
	v_or_b32_e32 v9, 8, v14
	s_mov_b32 s3, 0
	s_delay_alu instid0(VALU_DEP_2)
	v_dual_mov_b32 v4, v2 :: v_dual_mov_b32 v3, v1
	.p2align	6
.LBB53_121:                             ; =>This Inner Loop Header: Depth=1
	scratch_load_b128 v[15:18], v9, off offset:-8
	ds_load_b128 v[19:22], v8
	v_add_nc_u32_e32 v7, 1, v7
	v_add_nc_u32_e32 v8, 16, v8
	;; [unrolled: 1-line block ×3, first 2 shown]
	s_delay_alu instid0(VALU_DEP_3) | instskip(SKIP_4) | instid1(VALU_DEP_2)
	v_cmp_lt_u32_e32 vcc_lo, 25, v7
	s_or_b32 s3, vcc_lo, s3
	s_waitcnt vmcnt(0) lgkmcnt(0)
	v_mul_f64 v[10:11], v[21:22], v[17:18]
	v_mul_f64 v[17:18], v[19:20], v[17:18]
	v_fma_f64 v[10:11], v[19:20], v[15:16], -v[10:11]
	s_delay_alu instid0(VALU_DEP_2) | instskip(NEXT) | instid1(VALU_DEP_2)
	v_fma_f64 v[15:16], v[21:22], v[15:16], v[17:18]
	v_add_f64 v[3:4], v[3:4], v[10:11]
	s_delay_alu instid0(VALU_DEP_2)
	v_add_f64 v[1:2], v[1:2], v[15:16]
	s_and_not1_b32 exec_lo, exec_lo, s3
	s_cbranch_execnz .LBB53_121
; %bb.122:
	s_or_b32 exec_lo, exec_lo, s3
	v_mov_b32_e32 v7, 0
	ds_load_b128 v[7:10], v7 offset:432
	s_waitcnt lgkmcnt(0)
	v_mul_f64 v[11:12], v[1:2], v[9:10]
	v_mul_f64 v[15:16], v[3:4], v[9:10]
	s_delay_alu instid0(VALU_DEP_2) | instskip(NEXT) | instid1(VALU_DEP_2)
	v_fma_f64 v[9:10], v[3:4], v[7:8], -v[11:12]
	v_fma_f64 v[11:12], v[1:2], v[7:8], v[15:16]
	scratch_store_b128 off, v[9:12], off offset:432
.LBB53_123:
	s_or_b32 exec_lo, exec_lo, s2
	s_waitcnt_vscnt null, 0x0
	s_barrier
	buffer_gl0_inv
	scratch_load_b128 v[1:4], v180, off
	s_mov_b32 s2, exec_lo
	s_waitcnt vmcnt(0)
	ds_store_b128 v5, v[1:4]
	s_waitcnt lgkmcnt(0)
	s_barrier
	buffer_gl0_inv
	v_cmpx_gt_u32_e32 28, v154
	s_cbranch_execz .LBB53_127
; %bb.124:
	v_dual_mov_b32 v1, 0 :: v_dual_add_nc_u32 v8, 0x360, v13
	v_dual_mov_b32 v2, 0 :: v_dual_add_nc_u32 v7, -1, v154
	v_or_b32_e32 v9, 8, v14
	s_mov_b32 s3, 0
	s_delay_alu instid0(VALU_DEP_2)
	v_dual_mov_b32 v4, v2 :: v_dual_mov_b32 v3, v1
	.p2align	6
.LBB53_125:                             ; =>This Inner Loop Header: Depth=1
	scratch_load_b128 v[15:18], v9, off offset:-8
	ds_load_b128 v[19:22], v8
	v_add_nc_u32_e32 v7, 1, v7
	v_add_nc_u32_e32 v8, 16, v8
	;; [unrolled: 1-line block ×3, first 2 shown]
	s_delay_alu instid0(VALU_DEP_3) | instskip(SKIP_4) | instid1(VALU_DEP_2)
	v_cmp_lt_u32_e32 vcc_lo, 26, v7
	s_or_b32 s3, vcc_lo, s3
	s_waitcnt vmcnt(0) lgkmcnt(0)
	v_mul_f64 v[10:11], v[21:22], v[17:18]
	v_mul_f64 v[17:18], v[19:20], v[17:18]
	v_fma_f64 v[10:11], v[19:20], v[15:16], -v[10:11]
	s_delay_alu instid0(VALU_DEP_2) | instskip(NEXT) | instid1(VALU_DEP_2)
	v_fma_f64 v[15:16], v[21:22], v[15:16], v[17:18]
	v_add_f64 v[3:4], v[3:4], v[10:11]
	s_delay_alu instid0(VALU_DEP_2)
	v_add_f64 v[1:2], v[1:2], v[15:16]
	s_and_not1_b32 exec_lo, exec_lo, s3
	s_cbranch_execnz .LBB53_125
; %bb.126:
	s_or_b32 exec_lo, exec_lo, s3
	v_mov_b32_e32 v7, 0
	ds_load_b128 v[7:10], v7 offset:448
	s_waitcnt lgkmcnt(0)
	v_mul_f64 v[11:12], v[1:2], v[9:10]
	v_mul_f64 v[15:16], v[3:4], v[9:10]
	s_delay_alu instid0(VALU_DEP_2) | instskip(NEXT) | instid1(VALU_DEP_2)
	v_fma_f64 v[9:10], v[3:4], v[7:8], -v[11:12]
	v_fma_f64 v[11:12], v[1:2], v[7:8], v[15:16]
	scratch_store_b128 off, v[9:12], off offset:448
.LBB53_127:
	s_or_b32 exec_lo, exec_lo, s2
	s_waitcnt_vscnt null, 0x0
	s_barrier
	buffer_gl0_inv
	scratch_load_b128 v[1:4], v179, off
	s_mov_b32 s2, exec_lo
	s_waitcnt vmcnt(0)
	ds_store_b128 v5, v[1:4]
	s_waitcnt lgkmcnt(0)
	s_barrier
	buffer_gl0_inv
	v_cmpx_gt_u32_e32 29, v154
	s_cbranch_execz .LBB53_131
; %bb.128:
	v_dual_mov_b32 v1, 0 :: v_dual_add_nc_u32 v8, 0x360, v13
	v_dual_mov_b32 v2, 0 :: v_dual_add_nc_u32 v7, -1, v154
	v_or_b32_e32 v9, 8, v14
	s_mov_b32 s3, 0
	s_delay_alu instid0(VALU_DEP_2)
	v_dual_mov_b32 v4, v2 :: v_dual_mov_b32 v3, v1
	.p2align	6
.LBB53_129:                             ; =>This Inner Loop Header: Depth=1
	scratch_load_b128 v[15:18], v9, off offset:-8
	ds_load_b128 v[19:22], v8
	v_add_nc_u32_e32 v7, 1, v7
	v_add_nc_u32_e32 v8, 16, v8
	;; [unrolled: 1-line block ×3, first 2 shown]
	s_delay_alu instid0(VALU_DEP_3) | instskip(SKIP_4) | instid1(VALU_DEP_2)
	v_cmp_lt_u32_e32 vcc_lo, 27, v7
	s_or_b32 s3, vcc_lo, s3
	s_waitcnt vmcnt(0) lgkmcnt(0)
	v_mul_f64 v[10:11], v[21:22], v[17:18]
	v_mul_f64 v[17:18], v[19:20], v[17:18]
	v_fma_f64 v[10:11], v[19:20], v[15:16], -v[10:11]
	s_delay_alu instid0(VALU_DEP_2) | instskip(NEXT) | instid1(VALU_DEP_2)
	v_fma_f64 v[15:16], v[21:22], v[15:16], v[17:18]
	v_add_f64 v[3:4], v[3:4], v[10:11]
	s_delay_alu instid0(VALU_DEP_2)
	v_add_f64 v[1:2], v[1:2], v[15:16]
	s_and_not1_b32 exec_lo, exec_lo, s3
	s_cbranch_execnz .LBB53_129
; %bb.130:
	s_or_b32 exec_lo, exec_lo, s3
	v_mov_b32_e32 v7, 0
	ds_load_b128 v[7:10], v7 offset:464
	s_waitcnt lgkmcnt(0)
	v_mul_f64 v[11:12], v[1:2], v[9:10]
	v_mul_f64 v[15:16], v[3:4], v[9:10]
	s_delay_alu instid0(VALU_DEP_2) | instskip(NEXT) | instid1(VALU_DEP_2)
	v_fma_f64 v[9:10], v[3:4], v[7:8], -v[11:12]
	v_fma_f64 v[11:12], v[1:2], v[7:8], v[15:16]
	scratch_store_b128 off, v[9:12], off offset:464
.LBB53_131:
	s_or_b32 exec_lo, exec_lo, s2
	s_waitcnt_vscnt null, 0x0
	s_barrier
	buffer_gl0_inv
	scratch_load_b128 v[1:4], v178, off
	s_mov_b32 s2, exec_lo
	s_waitcnt vmcnt(0)
	ds_store_b128 v5, v[1:4]
	s_waitcnt lgkmcnt(0)
	s_barrier
	buffer_gl0_inv
	v_cmpx_gt_u32_e32 30, v154
	s_cbranch_execz .LBB53_135
; %bb.132:
	v_dual_mov_b32 v1, 0 :: v_dual_add_nc_u32 v8, 0x360, v13
	v_dual_mov_b32 v2, 0 :: v_dual_add_nc_u32 v7, -1, v154
	v_or_b32_e32 v9, 8, v14
	s_mov_b32 s3, 0
	s_delay_alu instid0(VALU_DEP_2)
	v_dual_mov_b32 v4, v2 :: v_dual_mov_b32 v3, v1
	.p2align	6
.LBB53_133:                             ; =>This Inner Loop Header: Depth=1
	scratch_load_b128 v[15:18], v9, off offset:-8
	ds_load_b128 v[19:22], v8
	v_add_nc_u32_e32 v7, 1, v7
	v_add_nc_u32_e32 v8, 16, v8
	;; [unrolled: 1-line block ×3, first 2 shown]
	s_delay_alu instid0(VALU_DEP_3) | instskip(SKIP_4) | instid1(VALU_DEP_2)
	v_cmp_lt_u32_e32 vcc_lo, 28, v7
	s_or_b32 s3, vcc_lo, s3
	s_waitcnt vmcnt(0) lgkmcnt(0)
	v_mul_f64 v[10:11], v[21:22], v[17:18]
	v_mul_f64 v[17:18], v[19:20], v[17:18]
	v_fma_f64 v[10:11], v[19:20], v[15:16], -v[10:11]
	s_delay_alu instid0(VALU_DEP_2) | instskip(NEXT) | instid1(VALU_DEP_2)
	v_fma_f64 v[15:16], v[21:22], v[15:16], v[17:18]
	v_add_f64 v[3:4], v[3:4], v[10:11]
	s_delay_alu instid0(VALU_DEP_2)
	v_add_f64 v[1:2], v[1:2], v[15:16]
	s_and_not1_b32 exec_lo, exec_lo, s3
	s_cbranch_execnz .LBB53_133
; %bb.134:
	s_or_b32 exec_lo, exec_lo, s3
	v_mov_b32_e32 v7, 0
	ds_load_b128 v[7:10], v7 offset:480
	s_waitcnt lgkmcnt(0)
	v_mul_f64 v[11:12], v[1:2], v[9:10]
	v_mul_f64 v[15:16], v[3:4], v[9:10]
	s_delay_alu instid0(VALU_DEP_2) | instskip(NEXT) | instid1(VALU_DEP_2)
	v_fma_f64 v[9:10], v[3:4], v[7:8], -v[11:12]
	v_fma_f64 v[11:12], v[1:2], v[7:8], v[15:16]
	scratch_store_b128 off, v[9:12], off offset:480
.LBB53_135:
	s_or_b32 exec_lo, exec_lo, s2
	s_waitcnt_vscnt null, 0x0
	s_barrier
	buffer_gl0_inv
	scratch_load_b128 v[1:4], v177, off
	s_mov_b32 s2, exec_lo
	s_waitcnt vmcnt(0)
	ds_store_b128 v5, v[1:4]
	s_waitcnt lgkmcnt(0)
	s_barrier
	buffer_gl0_inv
	v_cmpx_gt_u32_e32 31, v154
	s_cbranch_execz .LBB53_139
; %bb.136:
	v_dual_mov_b32 v1, 0 :: v_dual_add_nc_u32 v8, 0x360, v13
	v_dual_mov_b32 v2, 0 :: v_dual_add_nc_u32 v7, -1, v154
	v_or_b32_e32 v9, 8, v14
	s_mov_b32 s3, 0
	s_delay_alu instid0(VALU_DEP_2)
	v_dual_mov_b32 v4, v2 :: v_dual_mov_b32 v3, v1
	.p2align	6
.LBB53_137:                             ; =>This Inner Loop Header: Depth=1
	scratch_load_b128 v[15:18], v9, off offset:-8
	ds_load_b128 v[19:22], v8
	v_add_nc_u32_e32 v7, 1, v7
	v_add_nc_u32_e32 v8, 16, v8
	;; [unrolled: 1-line block ×3, first 2 shown]
	s_delay_alu instid0(VALU_DEP_3) | instskip(SKIP_4) | instid1(VALU_DEP_2)
	v_cmp_lt_u32_e32 vcc_lo, 29, v7
	s_or_b32 s3, vcc_lo, s3
	s_waitcnt vmcnt(0) lgkmcnt(0)
	v_mul_f64 v[10:11], v[21:22], v[17:18]
	v_mul_f64 v[17:18], v[19:20], v[17:18]
	v_fma_f64 v[10:11], v[19:20], v[15:16], -v[10:11]
	s_delay_alu instid0(VALU_DEP_2) | instskip(NEXT) | instid1(VALU_DEP_2)
	v_fma_f64 v[15:16], v[21:22], v[15:16], v[17:18]
	v_add_f64 v[3:4], v[3:4], v[10:11]
	s_delay_alu instid0(VALU_DEP_2)
	v_add_f64 v[1:2], v[1:2], v[15:16]
	s_and_not1_b32 exec_lo, exec_lo, s3
	s_cbranch_execnz .LBB53_137
; %bb.138:
	s_or_b32 exec_lo, exec_lo, s3
	v_mov_b32_e32 v7, 0
	ds_load_b128 v[7:10], v7 offset:496
	s_waitcnt lgkmcnt(0)
	v_mul_f64 v[11:12], v[1:2], v[9:10]
	v_mul_f64 v[15:16], v[3:4], v[9:10]
	s_delay_alu instid0(VALU_DEP_2) | instskip(NEXT) | instid1(VALU_DEP_2)
	v_fma_f64 v[9:10], v[3:4], v[7:8], -v[11:12]
	v_fma_f64 v[11:12], v[1:2], v[7:8], v[15:16]
	scratch_store_b128 off, v[9:12], off offset:496
.LBB53_139:
	s_or_b32 exec_lo, exec_lo, s2
	s_waitcnt_vscnt null, 0x0
	s_barrier
	buffer_gl0_inv
	scratch_load_b128 v[1:4], v176, off
	s_mov_b32 s2, exec_lo
	s_waitcnt vmcnt(0)
	ds_store_b128 v5, v[1:4]
	s_waitcnt lgkmcnt(0)
	s_barrier
	buffer_gl0_inv
	v_cmpx_gt_u32_e32 32, v154
	s_cbranch_execz .LBB53_143
; %bb.140:
	v_dual_mov_b32 v1, 0 :: v_dual_add_nc_u32 v8, 0x360, v13
	v_dual_mov_b32 v2, 0 :: v_dual_add_nc_u32 v7, -1, v154
	v_or_b32_e32 v9, 8, v14
	s_mov_b32 s3, 0
	s_delay_alu instid0(VALU_DEP_2)
	v_dual_mov_b32 v4, v2 :: v_dual_mov_b32 v3, v1
	.p2align	6
.LBB53_141:                             ; =>This Inner Loop Header: Depth=1
	scratch_load_b128 v[15:18], v9, off offset:-8
	ds_load_b128 v[19:22], v8
	v_add_nc_u32_e32 v7, 1, v7
	v_add_nc_u32_e32 v8, 16, v8
	;; [unrolled: 1-line block ×3, first 2 shown]
	s_delay_alu instid0(VALU_DEP_3) | instskip(SKIP_4) | instid1(VALU_DEP_2)
	v_cmp_lt_u32_e32 vcc_lo, 30, v7
	s_or_b32 s3, vcc_lo, s3
	s_waitcnt vmcnt(0) lgkmcnt(0)
	v_mul_f64 v[10:11], v[21:22], v[17:18]
	v_mul_f64 v[17:18], v[19:20], v[17:18]
	v_fma_f64 v[10:11], v[19:20], v[15:16], -v[10:11]
	s_delay_alu instid0(VALU_DEP_2) | instskip(NEXT) | instid1(VALU_DEP_2)
	v_fma_f64 v[15:16], v[21:22], v[15:16], v[17:18]
	v_add_f64 v[3:4], v[3:4], v[10:11]
	s_delay_alu instid0(VALU_DEP_2)
	v_add_f64 v[1:2], v[1:2], v[15:16]
	s_and_not1_b32 exec_lo, exec_lo, s3
	s_cbranch_execnz .LBB53_141
; %bb.142:
	s_or_b32 exec_lo, exec_lo, s3
	v_mov_b32_e32 v7, 0
	ds_load_b128 v[7:10], v7 offset:512
	s_waitcnt lgkmcnt(0)
	v_mul_f64 v[11:12], v[1:2], v[9:10]
	v_mul_f64 v[15:16], v[3:4], v[9:10]
	s_delay_alu instid0(VALU_DEP_2) | instskip(NEXT) | instid1(VALU_DEP_2)
	v_fma_f64 v[9:10], v[3:4], v[7:8], -v[11:12]
	v_fma_f64 v[11:12], v[1:2], v[7:8], v[15:16]
	scratch_store_b128 off, v[9:12], off offset:512
.LBB53_143:
	s_or_b32 exec_lo, exec_lo, s2
	s_waitcnt_vscnt null, 0x0
	s_barrier
	buffer_gl0_inv
	scratch_load_b128 v[1:4], v175, off
	s_mov_b32 s2, exec_lo
	s_waitcnt vmcnt(0)
	ds_store_b128 v5, v[1:4]
	s_waitcnt lgkmcnt(0)
	s_barrier
	buffer_gl0_inv
	v_cmpx_gt_u32_e32 33, v154
	s_cbranch_execz .LBB53_147
; %bb.144:
	v_dual_mov_b32 v1, 0 :: v_dual_add_nc_u32 v8, 0x360, v13
	v_dual_mov_b32 v2, 0 :: v_dual_add_nc_u32 v7, -1, v154
	v_or_b32_e32 v9, 8, v14
	s_mov_b32 s3, 0
	s_delay_alu instid0(VALU_DEP_2)
	v_dual_mov_b32 v4, v2 :: v_dual_mov_b32 v3, v1
	.p2align	6
.LBB53_145:                             ; =>This Inner Loop Header: Depth=1
	scratch_load_b128 v[15:18], v9, off offset:-8
	ds_load_b128 v[19:22], v8
	v_add_nc_u32_e32 v7, 1, v7
	v_add_nc_u32_e32 v8, 16, v8
	;; [unrolled: 1-line block ×3, first 2 shown]
	s_delay_alu instid0(VALU_DEP_3) | instskip(SKIP_4) | instid1(VALU_DEP_2)
	v_cmp_lt_u32_e32 vcc_lo, 31, v7
	s_or_b32 s3, vcc_lo, s3
	s_waitcnt vmcnt(0) lgkmcnt(0)
	v_mul_f64 v[10:11], v[21:22], v[17:18]
	v_mul_f64 v[17:18], v[19:20], v[17:18]
	v_fma_f64 v[10:11], v[19:20], v[15:16], -v[10:11]
	s_delay_alu instid0(VALU_DEP_2) | instskip(NEXT) | instid1(VALU_DEP_2)
	v_fma_f64 v[15:16], v[21:22], v[15:16], v[17:18]
	v_add_f64 v[3:4], v[3:4], v[10:11]
	s_delay_alu instid0(VALU_DEP_2)
	v_add_f64 v[1:2], v[1:2], v[15:16]
	s_and_not1_b32 exec_lo, exec_lo, s3
	s_cbranch_execnz .LBB53_145
; %bb.146:
	s_or_b32 exec_lo, exec_lo, s3
	v_mov_b32_e32 v7, 0
	ds_load_b128 v[7:10], v7 offset:528
	s_waitcnt lgkmcnt(0)
	v_mul_f64 v[11:12], v[1:2], v[9:10]
	v_mul_f64 v[15:16], v[3:4], v[9:10]
	s_delay_alu instid0(VALU_DEP_2) | instskip(NEXT) | instid1(VALU_DEP_2)
	v_fma_f64 v[9:10], v[3:4], v[7:8], -v[11:12]
	v_fma_f64 v[11:12], v[1:2], v[7:8], v[15:16]
	scratch_store_b128 off, v[9:12], off offset:528
.LBB53_147:
	s_or_b32 exec_lo, exec_lo, s2
	s_waitcnt_vscnt null, 0x0
	s_barrier
	buffer_gl0_inv
	scratch_load_b128 v[1:4], v225, off
	s_mov_b32 s2, exec_lo
	s_waitcnt vmcnt(0)
	ds_store_b128 v5, v[1:4]
	s_waitcnt lgkmcnt(0)
	s_barrier
	buffer_gl0_inv
	v_cmpx_gt_u32_e32 34, v154
	s_cbranch_execz .LBB53_151
; %bb.148:
	v_dual_mov_b32 v1, 0 :: v_dual_add_nc_u32 v8, 0x360, v13
	v_dual_mov_b32 v2, 0 :: v_dual_add_nc_u32 v7, -1, v154
	v_or_b32_e32 v9, 8, v14
	s_mov_b32 s3, 0
	s_delay_alu instid0(VALU_DEP_2)
	v_dual_mov_b32 v4, v2 :: v_dual_mov_b32 v3, v1
	.p2align	6
.LBB53_149:                             ; =>This Inner Loop Header: Depth=1
	scratch_load_b128 v[15:18], v9, off offset:-8
	ds_load_b128 v[19:22], v8
	v_add_nc_u32_e32 v7, 1, v7
	v_add_nc_u32_e32 v8, 16, v8
	;; [unrolled: 1-line block ×3, first 2 shown]
	s_delay_alu instid0(VALU_DEP_3) | instskip(SKIP_4) | instid1(VALU_DEP_2)
	v_cmp_lt_u32_e32 vcc_lo, 32, v7
	s_or_b32 s3, vcc_lo, s3
	s_waitcnt vmcnt(0) lgkmcnt(0)
	v_mul_f64 v[10:11], v[21:22], v[17:18]
	v_mul_f64 v[17:18], v[19:20], v[17:18]
	v_fma_f64 v[10:11], v[19:20], v[15:16], -v[10:11]
	s_delay_alu instid0(VALU_DEP_2) | instskip(NEXT) | instid1(VALU_DEP_2)
	v_fma_f64 v[15:16], v[21:22], v[15:16], v[17:18]
	v_add_f64 v[3:4], v[3:4], v[10:11]
	s_delay_alu instid0(VALU_DEP_2)
	v_add_f64 v[1:2], v[1:2], v[15:16]
	s_and_not1_b32 exec_lo, exec_lo, s3
	s_cbranch_execnz .LBB53_149
; %bb.150:
	s_or_b32 exec_lo, exec_lo, s3
	v_mov_b32_e32 v7, 0
	ds_load_b128 v[7:10], v7 offset:544
	s_waitcnt lgkmcnt(0)
	v_mul_f64 v[11:12], v[1:2], v[9:10]
	v_mul_f64 v[15:16], v[3:4], v[9:10]
	s_delay_alu instid0(VALU_DEP_2) | instskip(NEXT) | instid1(VALU_DEP_2)
	v_fma_f64 v[9:10], v[3:4], v[7:8], -v[11:12]
	v_fma_f64 v[11:12], v[1:2], v[7:8], v[15:16]
	scratch_store_b128 off, v[9:12], off offset:544
.LBB53_151:
	s_or_b32 exec_lo, exec_lo, s2
	s_waitcnt_vscnt null, 0x0
	s_barrier
	buffer_gl0_inv
	scratch_load_b128 v[1:4], v224, off
	s_mov_b32 s2, exec_lo
	s_waitcnt vmcnt(0)
	ds_store_b128 v5, v[1:4]
	s_waitcnt lgkmcnt(0)
	s_barrier
	buffer_gl0_inv
	v_cmpx_gt_u32_e32 35, v154
	s_cbranch_execz .LBB53_155
; %bb.152:
	v_dual_mov_b32 v1, 0 :: v_dual_add_nc_u32 v8, 0x360, v13
	v_dual_mov_b32 v2, 0 :: v_dual_add_nc_u32 v7, -1, v154
	v_or_b32_e32 v9, 8, v14
	s_mov_b32 s3, 0
	s_delay_alu instid0(VALU_DEP_2)
	v_dual_mov_b32 v4, v2 :: v_dual_mov_b32 v3, v1
	.p2align	6
.LBB53_153:                             ; =>This Inner Loop Header: Depth=1
	scratch_load_b128 v[15:18], v9, off offset:-8
	ds_load_b128 v[19:22], v8
	v_add_nc_u32_e32 v7, 1, v7
	v_add_nc_u32_e32 v8, 16, v8
	;; [unrolled: 1-line block ×3, first 2 shown]
	s_delay_alu instid0(VALU_DEP_3) | instskip(SKIP_4) | instid1(VALU_DEP_2)
	v_cmp_lt_u32_e32 vcc_lo, 33, v7
	s_or_b32 s3, vcc_lo, s3
	s_waitcnt vmcnt(0) lgkmcnt(0)
	v_mul_f64 v[10:11], v[21:22], v[17:18]
	v_mul_f64 v[17:18], v[19:20], v[17:18]
	v_fma_f64 v[10:11], v[19:20], v[15:16], -v[10:11]
	s_delay_alu instid0(VALU_DEP_2) | instskip(NEXT) | instid1(VALU_DEP_2)
	v_fma_f64 v[15:16], v[21:22], v[15:16], v[17:18]
	v_add_f64 v[3:4], v[3:4], v[10:11]
	s_delay_alu instid0(VALU_DEP_2)
	v_add_f64 v[1:2], v[1:2], v[15:16]
	s_and_not1_b32 exec_lo, exec_lo, s3
	s_cbranch_execnz .LBB53_153
; %bb.154:
	s_or_b32 exec_lo, exec_lo, s3
	v_mov_b32_e32 v7, 0
	ds_load_b128 v[7:10], v7 offset:560
	s_waitcnt lgkmcnt(0)
	v_mul_f64 v[11:12], v[1:2], v[9:10]
	v_mul_f64 v[15:16], v[3:4], v[9:10]
	s_delay_alu instid0(VALU_DEP_2) | instskip(NEXT) | instid1(VALU_DEP_2)
	v_fma_f64 v[9:10], v[3:4], v[7:8], -v[11:12]
	v_fma_f64 v[11:12], v[1:2], v[7:8], v[15:16]
	scratch_store_b128 off, v[9:12], off offset:560
.LBB53_155:
	s_or_b32 exec_lo, exec_lo, s2
	s_waitcnt_vscnt null, 0x0
	s_barrier
	buffer_gl0_inv
	scratch_load_b128 v[1:4], v219, off
	s_mov_b32 s2, exec_lo
	s_waitcnt vmcnt(0)
	ds_store_b128 v5, v[1:4]
	s_waitcnt lgkmcnt(0)
	s_barrier
	buffer_gl0_inv
	v_cmpx_gt_u32_e32 36, v154
	s_cbranch_execz .LBB53_159
; %bb.156:
	v_dual_mov_b32 v1, 0 :: v_dual_add_nc_u32 v8, 0x360, v13
	v_dual_mov_b32 v2, 0 :: v_dual_add_nc_u32 v7, -1, v154
	v_or_b32_e32 v9, 8, v14
	s_mov_b32 s3, 0
	s_delay_alu instid0(VALU_DEP_2)
	v_dual_mov_b32 v4, v2 :: v_dual_mov_b32 v3, v1
	.p2align	6
.LBB53_157:                             ; =>This Inner Loop Header: Depth=1
	scratch_load_b128 v[15:18], v9, off offset:-8
	ds_load_b128 v[19:22], v8
	v_add_nc_u32_e32 v7, 1, v7
	v_add_nc_u32_e32 v8, 16, v8
	;; [unrolled: 1-line block ×3, first 2 shown]
	s_delay_alu instid0(VALU_DEP_3) | instskip(SKIP_4) | instid1(VALU_DEP_2)
	v_cmp_lt_u32_e32 vcc_lo, 34, v7
	s_or_b32 s3, vcc_lo, s3
	s_waitcnt vmcnt(0) lgkmcnt(0)
	v_mul_f64 v[10:11], v[21:22], v[17:18]
	v_mul_f64 v[17:18], v[19:20], v[17:18]
	v_fma_f64 v[10:11], v[19:20], v[15:16], -v[10:11]
	s_delay_alu instid0(VALU_DEP_2) | instskip(NEXT) | instid1(VALU_DEP_2)
	v_fma_f64 v[15:16], v[21:22], v[15:16], v[17:18]
	v_add_f64 v[3:4], v[3:4], v[10:11]
	s_delay_alu instid0(VALU_DEP_2)
	v_add_f64 v[1:2], v[1:2], v[15:16]
	s_and_not1_b32 exec_lo, exec_lo, s3
	s_cbranch_execnz .LBB53_157
; %bb.158:
	s_or_b32 exec_lo, exec_lo, s3
	v_mov_b32_e32 v7, 0
	ds_load_b128 v[7:10], v7 offset:576
	s_waitcnt lgkmcnt(0)
	v_mul_f64 v[11:12], v[1:2], v[9:10]
	v_mul_f64 v[15:16], v[3:4], v[9:10]
	s_delay_alu instid0(VALU_DEP_2) | instskip(NEXT) | instid1(VALU_DEP_2)
	v_fma_f64 v[9:10], v[3:4], v[7:8], -v[11:12]
	v_fma_f64 v[11:12], v[1:2], v[7:8], v[15:16]
	scratch_store_b128 off, v[9:12], off offset:576
.LBB53_159:
	s_or_b32 exec_lo, exec_lo, s2
	s_waitcnt_vscnt null, 0x0
	s_barrier
	buffer_gl0_inv
	scratch_load_b128 v[1:4], v218, off
	s_mov_b32 s2, exec_lo
	s_waitcnt vmcnt(0)
	ds_store_b128 v5, v[1:4]
	s_waitcnt lgkmcnt(0)
	s_barrier
	buffer_gl0_inv
	v_cmpx_gt_u32_e32 37, v154
	s_cbranch_execz .LBB53_163
; %bb.160:
	v_dual_mov_b32 v1, 0 :: v_dual_add_nc_u32 v8, 0x360, v13
	v_dual_mov_b32 v2, 0 :: v_dual_add_nc_u32 v7, -1, v154
	v_or_b32_e32 v9, 8, v14
	s_mov_b32 s3, 0
	s_delay_alu instid0(VALU_DEP_2)
	v_dual_mov_b32 v4, v2 :: v_dual_mov_b32 v3, v1
	.p2align	6
.LBB53_161:                             ; =>This Inner Loop Header: Depth=1
	scratch_load_b128 v[15:18], v9, off offset:-8
	ds_load_b128 v[19:22], v8
	v_add_nc_u32_e32 v7, 1, v7
	v_add_nc_u32_e32 v8, 16, v8
	;; [unrolled: 1-line block ×3, first 2 shown]
	s_delay_alu instid0(VALU_DEP_3) | instskip(SKIP_4) | instid1(VALU_DEP_2)
	v_cmp_lt_u32_e32 vcc_lo, 35, v7
	s_or_b32 s3, vcc_lo, s3
	s_waitcnt vmcnt(0) lgkmcnt(0)
	v_mul_f64 v[10:11], v[21:22], v[17:18]
	v_mul_f64 v[17:18], v[19:20], v[17:18]
	v_fma_f64 v[10:11], v[19:20], v[15:16], -v[10:11]
	s_delay_alu instid0(VALU_DEP_2) | instskip(NEXT) | instid1(VALU_DEP_2)
	v_fma_f64 v[15:16], v[21:22], v[15:16], v[17:18]
	v_add_f64 v[3:4], v[3:4], v[10:11]
	s_delay_alu instid0(VALU_DEP_2)
	v_add_f64 v[1:2], v[1:2], v[15:16]
	s_and_not1_b32 exec_lo, exec_lo, s3
	s_cbranch_execnz .LBB53_161
; %bb.162:
	s_or_b32 exec_lo, exec_lo, s3
	v_mov_b32_e32 v7, 0
	ds_load_b128 v[7:10], v7 offset:592
	s_waitcnt lgkmcnt(0)
	v_mul_f64 v[11:12], v[1:2], v[9:10]
	v_mul_f64 v[15:16], v[3:4], v[9:10]
	s_delay_alu instid0(VALU_DEP_2) | instskip(NEXT) | instid1(VALU_DEP_2)
	v_fma_f64 v[9:10], v[3:4], v[7:8], -v[11:12]
	v_fma_f64 v[11:12], v[1:2], v[7:8], v[15:16]
	scratch_store_b128 off, v[9:12], off offset:592
.LBB53_163:
	s_or_b32 exec_lo, exec_lo, s2
	s_waitcnt_vscnt null, 0x0
	s_barrier
	buffer_gl0_inv
	scratch_load_b128 v[1:4], v217, off
	s_mov_b32 s2, exec_lo
	s_waitcnt vmcnt(0)
	ds_store_b128 v5, v[1:4]
	s_waitcnt lgkmcnt(0)
	s_barrier
	buffer_gl0_inv
	v_cmpx_gt_u32_e32 38, v154
	s_cbranch_execz .LBB53_167
; %bb.164:
	v_dual_mov_b32 v1, 0 :: v_dual_add_nc_u32 v8, 0x360, v13
	v_dual_mov_b32 v2, 0 :: v_dual_add_nc_u32 v7, -1, v154
	v_or_b32_e32 v9, 8, v14
	s_mov_b32 s3, 0
	s_delay_alu instid0(VALU_DEP_2)
	v_dual_mov_b32 v4, v2 :: v_dual_mov_b32 v3, v1
	.p2align	6
.LBB53_165:                             ; =>This Inner Loop Header: Depth=1
	scratch_load_b128 v[15:18], v9, off offset:-8
	ds_load_b128 v[19:22], v8
	v_add_nc_u32_e32 v7, 1, v7
	v_add_nc_u32_e32 v8, 16, v8
	;; [unrolled: 1-line block ×3, first 2 shown]
	s_delay_alu instid0(VALU_DEP_3) | instskip(SKIP_4) | instid1(VALU_DEP_2)
	v_cmp_lt_u32_e32 vcc_lo, 36, v7
	s_or_b32 s3, vcc_lo, s3
	s_waitcnt vmcnt(0) lgkmcnt(0)
	v_mul_f64 v[10:11], v[21:22], v[17:18]
	v_mul_f64 v[17:18], v[19:20], v[17:18]
	v_fma_f64 v[10:11], v[19:20], v[15:16], -v[10:11]
	s_delay_alu instid0(VALU_DEP_2) | instskip(NEXT) | instid1(VALU_DEP_2)
	v_fma_f64 v[15:16], v[21:22], v[15:16], v[17:18]
	v_add_f64 v[3:4], v[3:4], v[10:11]
	s_delay_alu instid0(VALU_DEP_2)
	v_add_f64 v[1:2], v[1:2], v[15:16]
	s_and_not1_b32 exec_lo, exec_lo, s3
	s_cbranch_execnz .LBB53_165
; %bb.166:
	s_or_b32 exec_lo, exec_lo, s3
	v_mov_b32_e32 v7, 0
	ds_load_b128 v[7:10], v7 offset:608
	s_waitcnt lgkmcnt(0)
	v_mul_f64 v[11:12], v[1:2], v[9:10]
	v_mul_f64 v[15:16], v[3:4], v[9:10]
	s_delay_alu instid0(VALU_DEP_2) | instskip(NEXT) | instid1(VALU_DEP_2)
	v_fma_f64 v[9:10], v[3:4], v[7:8], -v[11:12]
	v_fma_f64 v[11:12], v[1:2], v[7:8], v[15:16]
	scratch_store_b128 off, v[9:12], off offset:608
.LBB53_167:
	s_or_b32 exec_lo, exec_lo, s2
	s_waitcnt_vscnt null, 0x0
	s_barrier
	buffer_gl0_inv
	scratch_load_b128 v[1:4], v216, off
	s_mov_b32 s2, exec_lo
	s_waitcnt vmcnt(0)
	ds_store_b128 v5, v[1:4]
	s_waitcnt lgkmcnt(0)
	s_barrier
	buffer_gl0_inv
	v_cmpx_gt_u32_e32 39, v154
	s_cbranch_execz .LBB53_171
; %bb.168:
	v_dual_mov_b32 v1, 0 :: v_dual_add_nc_u32 v8, 0x360, v13
	v_dual_mov_b32 v2, 0 :: v_dual_add_nc_u32 v7, -1, v154
	v_or_b32_e32 v9, 8, v14
	s_mov_b32 s3, 0
	s_delay_alu instid0(VALU_DEP_2)
	v_dual_mov_b32 v4, v2 :: v_dual_mov_b32 v3, v1
	.p2align	6
.LBB53_169:                             ; =>This Inner Loop Header: Depth=1
	scratch_load_b128 v[15:18], v9, off offset:-8
	ds_load_b128 v[19:22], v8
	v_add_nc_u32_e32 v7, 1, v7
	v_add_nc_u32_e32 v8, 16, v8
	;; [unrolled: 1-line block ×3, first 2 shown]
	s_delay_alu instid0(VALU_DEP_3) | instskip(SKIP_4) | instid1(VALU_DEP_2)
	v_cmp_lt_u32_e32 vcc_lo, 37, v7
	s_or_b32 s3, vcc_lo, s3
	s_waitcnt vmcnt(0) lgkmcnt(0)
	v_mul_f64 v[10:11], v[21:22], v[17:18]
	v_mul_f64 v[17:18], v[19:20], v[17:18]
	v_fma_f64 v[10:11], v[19:20], v[15:16], -v[10:11]
	s_delay_alu instid0(VALU_DEP_2) | instskip(NEXT) | instid1(VALU_DEP_2)
	v_fma_f64 v[15:16], v[21:22], v[15:16], v[17:18]
	v_add_f64 v[3:4], v[3:4], v[10:11]
	s_delay_alu instid0(VALU_DEP_2)
	v_add_f64 v[1:2], v[1:2], v[15:16]
	s_and_not1_b32 exec_lo, exec_lo, s3
	s_cbranch_execnz .LBB53_169
; %bb.170:
	s_or_b32 exec_lo, exec_lo, s3
	v_mov_b32_e32 v7, 0
	ds_load_b128 v[7:10], v7 offset:624
	s_waitcnt lgkmcnt(0)
	v_mul_f64 v[11:12], v[1:2], v[9:10]
	v_mul_f64 v[15:16], v[3:4], v[9:10]
	s_delay_alu instid0(VALU_DEP_2) | instskip(NEXT) | instid1(VALU_DEP_2)
	v_fma_f64 v[9:10], v[3:4], v[7:8], -v[11:12]
	v_fma_f64 v[11:12], v[1:2], v[7:8], v[15:16]
	scratch_store_b128 off, v[9:12], off offset:624
.LBB53_171:
	s_or_b32 exec_lo, exec_lo, s2
	s_waitcnt_vscnt null, 0x0
	s_barrier
	buffer_gl0_inv
	scratch_load_b128 v[1:4], v215, off
	s_mov_b32 s2, exec_lo
	s_waitcnt vmcnt(0)
	ds_store_b128 v5, v[1:4]
	s_waitcnt lgkmcnt(0)
	s_barrier
	buffer_gl0_inv
	v_cmpx_gt_u32_e32 40, v154
	s_cbranch_execz .LBB53_175
; %bb.172:
	v_dual_mov_b32 v1, 0 :: v_dual_add_nc_u32 v8, 0x360, v13
	v_dual_mov_b32 v2, 0 :: v_dual_add_nc_u32 v7, -1, v154
	v_or_b32_e32 v9, 8, v14
	s_mov_b32 s3, 0
	s_delay_alu instid0(VALU_DEP_2)
	v_dual_mov_b32 v4, v2 :: v_dual_mov_b32 v3, v1
	.p2align	6
.LBB53_173:                             ; =>This Inner Loop Header: Depth=1
	scratch_load_b128 v[15:18], v9, off offset:-8
	ds_load_b128 v[19:22], v8
	v_add_nc_u32_e32 v7, 1, v7
	v_add_nc_u32_e32 v8, 16, v8
	;; [unrolled: 1-line block ×3, first 2 shown]
	s_delay_alu instid0(VALU_DEP_3) | instskip(SKIP_4) | instid1(VALU_DEP_2)
	v_cmp_lt_u32_e32 vcc_lo, 38, v7
	s_or_b32 s3, vcc_lo, s3
	s_waitcnt vmcnt(0) lgkmcnt(0)
	v_mul_f64 v[10:11], v[21:22], v[17:18]
	v_mul_f64 v[17:18], v[19:20], v[17:18]
	v_fma_f64 v[10:11], v[19:20], v[15:16], -v[10:11]
	s_delay_alu instid0(VALU_DEP_2) | instskip(NEXT) | instid1(VALU_DEP_2)
	v_fma_f64 v[15:16], v[21:22], v[15:16], v[17:18]
	v_add_f64 v[3:4], v[3:4], v[10:11]
	s_delay_alu instid0(VALU_DEP_2)
	v_add_f64 v[1:2], v[1:2], v[15:16]
	s_and_not1_b32 exec_lo, exec_lo, s3
	s_cbranch_execnz .LBB53_173
; %bb.174:
	s_or_b32 exec_lo, exec_lo, s3
	v_mov_b32_e32 v7, 0
	ds_load_b128 v[7:10], v7 offset:640
	s_waitcnt lgkmcnt(0)
	v_mul_f64 v[11:12], v[1:2], v[9:10]
	v_mul_f64 v[15:16], v[3:4], v[9:10]
	s_delay_alu instid0(VALU_DEP_2) | instskip(NEXT) | instid1(VALU_DEP_2)
	v_fma_f64 v[9:10], v[3:4], v[7:8], -v[11:12]
	v_fma_f64 v[11:12], v[1:2], v[7:8], v[15:16]
	scratch_store_b128 off, v[9:12], off offset:640
.LBB53_175:
	s_or_b32 exec_lo, exec_lo, s2
	s_waitcnt_vscnt null, 0x0
	s_barrier
	buffer_gl0_inv
	scratch_load_b128 v[1:4], v214, off
	s_mov_b32 s2, exec_lo
	s_waitcnt vmcnt(0)
	ds_store_b128 v5, v[1:4]
	s_waitcnt lgkmcnt(0)
	s_barrier
	buffer_gl0_inv
	v_cmpx_gt_u32_e32 41, v154
	s_cbranch_execz .LBB53_179
; %bb.176:
	v_dual_mov_b32 v1, 0 :: v_dual_add_nc_u32 v8, 0x360, v13
	v_dual_mov_b32 v2, 0 :: v_dual_add_nc_u32 v7, -1, v154
	v_or_b32_e32 v9, 8, v14
	s_mov_b32 s3, 0
	s_delay_alu instid0(VALU_DEP_2)
	v_dual_mov_b32 v4, v2 :: v_dual_mov_b32 v3, v1
	.p2align	6
.LBB53_177:                             ; =>This Inner Loop Header: Depth=1
	scratch_load_b128 v[15:18], v9, off offset:-8
	ds_load_b128 v[19:22], v8
	v_add_nc_u32_e32 v7, 1, v7
	v_add_nc_u32_e32 v8, 16, v8
	;; [unrolled: 1-line block ×3, first 2 shown]
	s_delay_alu instid0(VALU_DEP_3) | instskip(SKIP_4) | instid1(VALU_DEP_2)
	v_cmp_lt_u32_e32 vcc_lo, 39, v7
	s_or_b32 s3, vcc_lo, s3
	s_waitcnt vmcnt(0) lgkmcnt(0)
	v_mul_f64 v[10:11], v[21:22], v[17:18]
	v_mul_f64 v[17:18], v[19:20], v[17:18]
	v_fma_f64 v[10:11], v[19:20], v[15:16], -v[10:11]
	s_delay_alu instid0(VALU_DEP_2) | instskip(NEXT) | instid1(VALU_DEP_2)
	v_fma_f64 v[15:16], v[21:22], v[15:16], v[17:18]
	v_add_f64 v[3:4], v[3:4], v[10:11]
	s_delay_alu instid0(VALU_DEP_2)
	v_add_f64 v[1:2], v[1:2], v[15:16]
	s_and_not1_b32 exec_lo, exec_lo, s3
	s_cbranch_execnz .LBB53_177
; %bb.178:
	s_or_b32 exec_lo, exec_lo, s3
	v_mov_b32_e32 v7, 0
	ds_load_b128 v[7:10], v7 offset:656
	s_waitcnt lgkmcnt(0)
	v_mul_f64 v[11:12], v[1:2], v[9:10]
	v_mul_f64 v[15:16], v[3:4], v[9:10]
	s_delay_alu instid0(VALU_DEP_2) | instskip(NEXT) | instid1(VALU_DEP_2)
	v_fma_f64 v[9:10], v[3:4], v[7:8], -v[11:12]
	v_fma_f64 v[11:12], v[1:2], v[7:8], v[15:16]
	scratch_store_b128 off, v[9:12], off offset:656
.LBB53_179:
	s_or_b32 exec_lo, exec_lo, s2
	s_waitcnt_vscnt null, 0x0
	s_barrier
	buffer_gl0_inv
	scratch_load_b128 v[1:4], v213, off
	s_mov_b32 s2, exec_lo
	s_waitcnt vmcnt(0)
	ds_store_b128 v5, v[1:4]
	s_waitcnt lgkmcnt(0)
	s_barrier
	buffer_gl0_inv
	v_cmpx_gt_u32_e32 42, v154
	s_cbranch_execz .LBB53_183
; %bb.180:
	v_dual_mov_b32 v1, 0 :: v_dual_add_nc_u32 v8, 0x360, v13
	v_dual_mov_b32 v2, 0 :: v_dual_add_nc_u32 v7, -1, v154
	v_or_b32_e32 v9, 8, v14
	s_mov_b32 s3, 0
	s_delay_alu instid0(VALU_DEP_2)
	v_dual_mov_b32 v4, v2 :: v_dual_mov_b32 v3, v1
	.p2align	6
.LBB53_181:                             ; =>This Inner Loop Header: Depth=1
	scratch_load_b128 v[15:18], v9, off offset:-8
	ds_load_b128 v[19:22], v8
	v_add_nc_u32_e32 v7, 1, v7
	v_add_nc_u32_e32 v8, 16, v8
	;; [unrolled: 1-line block ×3, first 2 shown]
	s_delay_alu instid0(VALU_DEP_3) | instskip(SKIP_4) | instid1(VALU_DEP_2)
	v_cmp_lt_u32_e32 vcc_lo, 40, v7
	s_or_b32 s3, vcc_lo, s3
	s_waitcnt vmcnt(0) lgkmcnt(0)
	v_mul_f64 v[10:11], v[21:22], v[17:18]
	v_mul_f64 v[17:18], v[19:20], v[17:18]
	v_fma_f64 v[10:11], v[19:20], v[15:16], -v[10:11]
	s_delay_alu instid0(VALU_DEP_2) | instskip(NEXT) | instid1(VALU_DEP_2)
	v_fma_f64 v[15:16], v[21:22], v[15:16], v[17:18]
	v_add_f64 v[3:4], v[3:4], v[10:11]
	s_delay_alu instid0(VALU_DEP_2)
	v_add_f64 v[1:2], v[1:2], v[15:16]
	s_and_not1_b32 exec_lo, exec_lo, s3
	s_cbranch_execnz .LBB53_181
; %bb.182:
	s_or_b32 exec_lo, exec_lo, s3
	v_mov_b32_e32 v7, 0
	ds_load_b128 v[7:10], v7 offset:672
	s_waitcnt lgkmcnt(0)
	v_mul_f64 v[11:12], v[1:2], v[9:10]
	v_mul_f64 v[15:16], v[3:4], v[9:10]
	s_delay_alu instid0(VALU_DEP_2) | instskip(NEXT) | instid1(VALU_DEP_2)
	v_fma_f64 v[9:10], v[3:4], v[7:8], -v[11:12]
	v_fma_f64 v[11:12], v[1:2], v[7:8], v[15:16]
	scratch_store_b128 off, v[9:12], off offset:672
.LBB53_183:
	s_or_b32 exec_lo, exec_lo, s2
	s_waitcnt_vscnt null, 0x0
	s_barrier
	buffer_gl0_inv
	scratch_load_b128 v[1:4], v212, off
	s_mov_b32 s2, exec_lo
	s_waitcnt vmcnt(0)
	ds_store_b128 v5, v[1:4]
	s_waitcnt lgkmcnt(0)
	s_barrier
	buffer_gl0_inv
	v_cmpx_gt_u32_e32 43, v154
	s_cbranch_execz .LBB53_187
; %bb.184:
	v_dual_mov_b32 v1, 0 :: v_dual_add_nc_u32 v8, 0x360, v13
	v_dual_mov_b32 v2, 0 :: v_dual_add_nc_u32 v7, -1, v154
	v_or_b32_e32 v9, 8, v14
	s_mov_b32 s3, 0
	s_delay_alu instid0(VALU_DEP_2)
	v_dual_mov_b32 v4, v2 :: v_dual_mov_b32 v3, v1
	.p2align	6
.LBB53_185:                             ; =>This Inner Loop Header: Depth=1
	scratch_load_b128 v[15:18], v9, off offset:-8
	ds_load_b128 v[19:22], v8
	v_add_nc_u32_e32 v7, 1, v7
	v_add_nc_u32_e32 v8, 16, v8
	v_add_nc_u32_e32 v9, 16, v9
	s_delay_alu instid0(VALU_DEP_3) | instskip(SKIP_4) | instid1(VALU_DEP_2)
	v_cmp_lt_u32_e32 vcc_lo, 41, v7
	s_or_b32 s3, vcc_lo, s3
	s_waitcnt vmcnt(0) lgkmcnt(0)
	v_mul_f64 v[10:11], v[21:22], v[17:18]
	v_mul_f64 v[17:18], v[19:20], v[17:18]
	v_fma_f64 v[10:11], v[19:20], v[15:16], -v[10:11]
	s_delay_alu instid0(VALU_DEP_2) | instskip(NEXT) | instid1(VALU_DEP_2)
	v_fma_f64 v[15:16], v[21:22], v[15:16], v[17:18]
	v_add_f64 v[3:4], v[3:4], v[10:11]
	s_delay_alu instid0(VALU_DEP_2)
	v_add_f64 v[1:2], v[1:2], v[15:16]
	s_and_not1_b32 exec_lo, exec_lo, s3
	s_cbranch_execnz .LBB53_185
; %bb.186:
	s_or_b32 exec_lo, exec_lo, s3
	v_mov_b32_e32 v7, 0
	ds_load_b128 v[7:10], v7 offset:688
	s_waitcnt lgkmcnt(0)
	v_mul_f64 v[11:12], v[1:2], v[9:10]
	v_mul_f64 v[15:16], v[3:4], v[9:10]
	s_delay_alu instid0(VALU_DEP_2) | instskip(NEXT) | instid1(VALU_DEP_2)
	v_fma_f64 v[9:10], v[3:4], v[7:8], -v[11:12]
	v_fma_f64 v[11:12], v[1:2], v[7:8], v[15:16]
	scratch_store_b128 off, v[9:12], off offset:688
.LBB53_187:
	s_or_b32 exec_lo, exec_lo, s2
	s_waitcnt_vscnt null, 0x0
	s_barrier
	buffer_gl0_inv
	scratch_load_b128 v[1:4], v211, off
	s_mov_b32 s2, exec_lo
	s_waitcnt vmcnt(0)
	ds_store_b128 v5, v[1:4]
	s_waitcnt lgkmcnt(0)
	s_barrier
	buffer_gl0_inv
	v_cmpx_gt_u32_e32 44, v154
	s_cbranch_execz .LBB53_191
; %bb.188:
	v_dual_mov_b32 v1, 0 :: v_dual_add_nc_u32 v8, 0x360, v13
	v_dual_mov_b32 v2, 0 :: v_dual_add_nc_u32 v7, -1, v154
	v_or_b32_e32 v9, 8, v14
	s_mov_b32 s3, 0
	s_delay_alu instid0(VALU_DEP_2)
	v_dual_mov_b32 v4, v2 :: v_dual_mov_b32 v3, v1
	.p2align	6
.LBB53_189:                             ; =>This Inner Loop Header: Depth=1
	scratch_load_b128 v[15:18], v9, off offset:-8
	ds_load_b128 v[19:22], v8
	v_add_nc_u32_e32 v7, 1, v7
	v_add_nc_u32_e32 v8, 16, v8
	;; [unrolled: 1-line block ×3, first 2 shown]
	s_delay_alu instid0(VALU_DEP_3) | instskip(SKIP_4) | instid1(VALU_DEP_2)
	v_cmp_lt_u32_e32 vcc_lo, 42, v7
	s_or_b32 s3, vcc_lo, s3
	s_waitcnt vmcnt(0) lgkmcnt(0)
	v_mul_f64 v[10:11], v[21:22], v[17:18]
	v_mul_f64 v[17:18], v[19:20], v[17:18]
	v_fma_f64 v[10:11], v[19:20], v[15:16], -v[10:11]
	s_delay_alu instid0(VALU_DEP_2) | instskip(NEXT) | instid1(VALU_DEP_2)
	v_fma_f64 v[15:16], v[21:22], v[15:16], v[17:18]
	v_add_f64 v[3:4], v[3:4], v[10:11]
	s_delay_alu instid0(VALU_DEP_2)
	v_add_f64 v[1:2], v[1:2], v[15:16]
	s_and_not1_b32 exec_lo, exec_lo, s3
	s_cbranch_execnz .LBB53_189
; %bb.190:
	s_or_b32 exec_lo, exec_lo, s3
	v_mov_b32_e32 v7, 0
	ds_load_b128 v[7:10], v7 offset:704
	s_waitcnt lgkmcnt(0)
	v_mul_f64 v[11:12], v[1:2], v[9:10]
	v_mul_f64 v[15:16], v[3:4], v[9:10]
	s_delay_alu instid0(VALU_DEP_2) | instskip(NEXT) | instid1(VALU_DEP_2)
	v_fma_f64 v[9:10], v[3:4], v[7:8], -v[11:12]
	v_fma_f64 v[11:12], v[1:2], v[7:8], v[15:16]
	scratch_store_b128 off, v[9:12], off offset:704
.LBB53_191:
	s_or_b32 exec_lo, exec_lo, s2
	s_waitcnt_vscnt null, 0x0
	s_barrier
	buffer_gl0_inv
	scratch_load_b128 v[1:4], v210, off
	s_mov_b32 s2, exec_lo
	s_waitcnt vmcnt(0)
	ds_store_b128 v5, v[1:4]
	s_waitcnt lgkmcnt(0)
	s_barrier
	buffer_gl0_inv
	v_cmpx_gt_u32_e32 45, v154
	s_cbranch_execz .LBB53_195
; %bb.192:
	v_dual_mov_b32 v1, 0 :: v_dual_add_nc_u32 v8, 0x360, v13
	v_dual_mov_b32 v2, 0 :: v_dual_add_nc_u32 v7, -1, v154
	v_or_b32_e32 v9, 8, v14
	s_mov_b32 s3, 0
	s_delay_alu instid0(VALU_DEP_2)
	v_dual_mov_b32 v4, v2 :: v_dual_mov_b32 v3, v1
	.p2align	6
.LBB53_193:                             ; =>This Inner Loop Header: Depth=1
	scratch_load_b128 v[15:18], v9, off offset:-8
	ds_load_b128 v[19:22], v8
	v_add_nc_u32_e32 v7, 1, v7
	v_add_nc_u32_e32 v8, 16, v8
	;; [unrolled: 1-line block ×3, first 2 shown]
	s_delay_alu instid0(VALU_DEP_3) | instskip(SKIP_4) | instid1(VALU_DEP_2)
	v_cmp_lt_u32_e32 vcc_lo, 43, v7
	s_or_b32 s3, vcc_lo, s3
	s_waitcnt vmcnt(0) lgkmcnt(0)
	v_mul_f64 v[10:11], v[21:22], v[17:18]
	v_mul_f64 v[17:18], v[19:20], v[17:18]
	v_fma_f64 v[10:11], v[19:20], v[15:16], -v[10:11]
	s_delay_alu instid0(VALU_DEP_2) | instskip(NEXT) | instid1(VALU_DEP_2)
	v_fma_f64 v[15:16], v[21:22], v[15:16], v[17:18]
	v_add_f64 v[3:4], v[3:4], v[10:11]
	s_delay_alu instid0(VALU_DEP_2)
	v_add_f64 v[1:2], v[1:2], v[15:16]
	s_and_not1_b32 exec_lo, exec_lo, s3
	s_cbranch_execnz .LBB53_193
; %bb.194:
	s_or_b32 exec_lo, exec_lo, s3
	v_mov_b32_e32 v7, 0
	ds_load_b128 v[7:10], v7 offset:720
	s_waitcnt lgkmcnt(0)
	v_mul_f64 v[11:12], v[1:2], v[9:10]
	v_mul_f64 v[15:16], v[3:4], v[9:10]
	s_delay_alu instid0(VALU_DEP_2) | instskip(NEXT) | instid1(VALU_DEP_2)
	v_fma_f64 v[9:10], v[3:4], v[7:8], -v[11:12]
	v_fma_f64 v[11:12], v[1:2], v[7:8], v[15:16]
	scratch_store_b128 off, v[9:12], off offset:720
.LBB53_195:
	s_or_b32 exec_lo, exec_lo, s2
	s_waitcnt_vscnt null, 0x0
	s_barrier
	buffer_gl0_inv
	scratch_load_b128 v[1:4], v209, off
	s_mov_b32 s2, exec_lo
	s_waitcnt vmcnt(0)
	ds_store_b128 v5, v[1:4]
	s_waitcnt lgkmcnt(0)
	s_barrier
	buffer_gl0_inv
	v_cmpx_gt_u32_e32 46, v154
	s_cbranch_execz .LBB53_199
; %bb.196:
	v_dual_mov_b32 v1, 0 :: v_dual_add_nc_u32 v8, 0x360, v13
	v_dual_mov_b32 v2, 0 :: v_dual_add_nc_u32 v7, -1, v154
	v_or_b32_e32 v9, 8, v14
	s_mov_b32 s3, 0
	s_delay_alu instid0(VALU_DEP_2)
	v_dual_mov_b32 v4, v2 :: v_dual_mov_b32 v3, v1
	.p2align	6
.LBB53_197:                             ; =>This Inner Loop Header: Depth=1
	scratch_load_b128 v[15:18], v9, off offset:-8
	ds_load_b128 v[19:22], v8
	v_add_nc_u32_e32 v7, 1, v7
	v_add_nc_u32_e32 v8, 16, v8
	v_add_nc_u32_e32 v9, 16, v9
	s_delay_alu instid0(VALU_DEP_3) | instskip(SKIP_4) | instid1(VALU_DEP_2)
	v_cmp_lt_u32_e32 vcc_lo, 44, v7
	s_or_b32 s3, vcc_lo, s3
	s_waitcnt vmcnt(0) lgkmcnt(0)
	v_mul_f64 v[10:11], v[21:22], v[17:18]
	v_mul_f64 v[17:18], v[19:20], v[17:18]
	v_fma_f64 v[10:11], v[19:20], v[15:16], -v[10:11]
	s_delay_alu instid0(VALU_DEP_2) | instskip(NEXT) | instid1(VALU_DEP_2)
	v_fma_f64 v[15:16], v[21:22], v[15:16], v[17:18]
	v_add_f64 v[3:4], v[3:4], v[10:11]
	s_delay_alu instid0(VALU_DEP_2)
	v_add_f64 v[1:2], v[1:2], v[15:16]
	s_and_not1_b32 exec_lo, exec_lo, s3
	s_cbranch_execnz .LBB53_197
; %bb.198:
	s_or_b32 exec_lo, exec_lo, s3
	v_mov_b32_e32 v7, 0
	ds_load_b128 v[7:10], v7 offset:736
	s_waitcnt lgkmcnt(0)
	v_mul_f64 v[11:12], v[1:2], v[9:10]
	v_mul_f64 v[15:16], v[3:4], v[9:10]
	s_delay_alu instid0(VALU_DEP_2) | instskip(NEXT) | instid1(VALU_DEP_2)
	v_fma_f64 v[9:10], v[3:4], v[7:8], -v[11:12]
	v_fma_f64 v[11:12], v[1:2], v[7:8], v[15:16]
	scratch_store_b128 off, v[9:12], off offset:736
.LBB53_199:
	s_or_b32 exec_lo, exec_lo, s2
	s_waitcnt_vscnt null, 0x0
	s_barrier
	buffer_gl0_inv
	scratch_load_b128 v[1:4], v156, off
	s_mov_b32 s2, exec_lo
	s_waitcnt vmcnt(0)
	ds_store_b128 v5, v[1:4]
	s_waitcnt lgkmcnt(0)
	s_barrier
	buffer_gl0_inv
	v_cmpx_gt_u32_e32 47, v154
	s_cbranch_execz .LBB53_203
; %bb.200:
	v_dual_mov_b32 v1, 0 :: v_dual_add_nc_u32 v8, 0x360, v13
	v_dual_mov_b32 v2, 0 :: v_dual_add_nc_u32 v7, -1, v154
	v_or_b32_e32 v9, 8, v14
	s_mov_b32 s3, 0
	s_delay_alu instid0(VALU_DEP_2)
	v_dual_mov_b32 v4, v2 :: v_dual_mov_b32 v3, v1
	.p2align	6
.LBB53_201:                             ; =>This Inner Loop Header: Depth=1
	scratch_load_b128 v[15:18], v9, off offset:-8
	ds_load_b128 v[19:22], v8
	v_add_nc_u32_e32 v7, 1, v7
	v_add_nc_u32_e32 v8, 16, v8
	;; [unrolled: 1-line block ×3, first 2 shown]
	s_delay_alu instid0(VALU_DEP_3) | instskip(SKIP_4) | instid1(VALU_DEP_2)
	v_cmp_lt_u32_e32 vcc_lo, 45, v7
	s_or_b32 s3, vcc_lo, s3
	s_waitcnt vmcnt(0) lgkmcnt(0)
	v_mul_f64 v[10:11], v[21:22], v[17:18]
	v_mul_f64 v[17:18], v[19:20], v[17:18]
	v_fma_f64 v[10:11], v[19:20], v[15:16], -v[10:11]
	s_delay_alu instid0(VALU_DEP_2) | instskip(NEXT) | instid1(VALU_DEP_2)
	v_fma_f64 v[15:16], v[21:22], v[15:16], v[17:18]
	v_add_f64 v[3:4], v[3:4], v[10:11]
	s_delay_alu instid0(VALU_DEP_2)
	v_add_f64 v[1:2], v[1:2], v[15:16]
	s_and_not1_b32 exec_lo, exec_lo, s3
	s_cbranch_execnz .LBB53_201
; %bb.202:
	s_or_b32 exec_lo, exec_lo, s3
	v_mov_b32_e32 v7, 0
	ds_load_b128 v[7:10], v7 offset:752
	s_waitcnt lgkmcnt(0)
	v_mul_f64 v[11:12], v[1:2], v[9:10]
	v_mul_f64 v[15:16], v[3:4], v[9:10]
	s_delay_alu instid0(VALU_DEP_2) | instskip(NEXT) | instid1(VALU_DEP_2)
	v_fma_f64 v[9:10], v[3:4], v[7:8], -v[11:12]
	v_fma_f64 v[11:12], v[1:2], v[7:8], v[15:16]
	scratch_store_b128 off, v[9:12], off offset:752
.LBB53_203:
	s_or_b32 exec_lo, exec_lo, s2
	s_waitcnt_vscnt null, 0x0
	s_barrier
	buffer_gl0_inv
	scratch_load_b128 v[1:4], v155, off
	s_mov_b32 s2, exec_lo
	s_waitcnt vmcnt(0)
	ds_store_b128 v5, v[1:4]
	s_waitcnt lgkmcnt(0)
	s_barrier
	buffer_gl0_inv
	v_cmpx_gt_u32_e32 48, v154
	s_cbranch_execz .LBB53_207
; %bb.204:
	v_dual_mov_b32 v1, 0 :: v_dual_add_nc_u32 v8, 0x360, v13
	v_dual_mov_b32 v2, 0 :: v_dual_add_nc_u32 v7, -1, v154
	v_or_b32_e32 v9, 8, v14
	s_mov_b32 s3, 0
	s_delay_alu instid0(VALU_DEP_2)
	v_dual_mov_b32 v4, v2 :: v_dual_mov_b32 v3, v1
	.p2align	6
.LBB53_205:                             ; =>This Inner Loop Header: Depth=1
	scratch_load_b128 v[15:18], v9, off offset:-8
	ds_load_b128 v[19:22], v8
	v_add_nc_u32_e32 v7, 1, v7
	v_add_nc_u32_e32 v8, 16, v8
	;; [unrolled: 1-line block ×3, first 2 shown]
	s_delay_alu instid0(VALU_DEP_3) | instskip(SKIP_4) | instid1(VALU_DEP_2)
	v_cmp_lt_u32_e32 vcc_lo, 46, v7
	s_or_b32 s3, vcc_lo, s3
	s_waitcnt vmcnt(0) lgkmcnt(0)
	v_mul_f64 v[10:11], v[21:22], v[17:18]
	v_mul_f64 v[17:18], v[19:20], v[17:18]
	v_fma_f64 v[10:11], v[19:20], v[15:16], -v[10:11]
	s_delay_alu instid0(VALU_DEP_2) | instskip(NEXT) | instid1(VALU_DEP_2)
	v_fma_f64 v[15:16], v[21:22], v[15:16], v[17:18]
	v_add_f64 v[3:4], v[3:4], v[10:11]
	s_delay_alu instid0(VALU_DEP_2)
	v_add_f64 v[1:2], v[1:2], v[15:16]
	s_and_not1_b32 exec_lo, exec_lo, s3
	s_cbranch_execnz .LBB53_205
; %bb.206:
	s_or_b32 exec_lo, exec_lo, s3
	v_mov_b32_e32 v7, 0
	ds_load_b128 v[7:10], v7 offset:768
	s_waitcnt lgkmcnt(0)
	v_mul_f64 v[11:12], v[1:2], v[9:10]
	v_mul_f64 v[15:16], v[3:4], v[9:10]
	s_delay_alu instid0(VALU_DEP_2) | instskip(NEXT) | instid1(VALU_DEP_2)
	v_fma_f64 v[9:10], v[3:4], v[7:8], -v[11:12]
	v_fma_f64 v[11:12], v[1:2], v[7:8], v[15:16]
	scratch_store_b128 off, v[9:12], off offset:768
.LBB53_207:
	s_or_b32 exec_lo, exec_lo, s2
	s_waitcnt_vscnt null, 0x0
	s_barrier
	buffer_gl0_inv
	scratch_load_b128 v[1:4], v170, off
	s_mov_b32 s2, exec_lo
	s_waitcnt vmcnt(0)
	ds_store_b128 v5, v[1:4]
	s_waitcnt lgkmcnt(0)
	s_barrier
	buffer_gl0_inv
	v_cmpx_gt_u32_e32 49, v154
	s_cbranch_execz .LBB53_211
; %bb.208:
	v_dual_mov_b32 v1, 0 :: v_dual_add_nc_u32 v8, 0x360, v13
	v_dual_mov_b32 v2, 0 :: v_dual_add_nc_u32 v7, -1, v154
	v_or_b32_e32 v9, 8, v14
	s_mov_b32 s3, 0
	s_delay_alu instid0(VALU_DEP_2)
	v_dual_mov_b32 v4, v2 :: v_dual_mov_b32 v3, v1
	.p2align	6
.LBB53_209:                             ; =>This Inner Loop Header: Depth=1
	scratch_load_b128 v[15:18], v9, off offset:-8
	ds_load_b128 v[19:22], v8
	v_add_nc_u32_e32 v7, 1, v7
	v_add_nc_u32_e32 v8, 16, v8
	;; [unrolled: 1-line block ×3, first 2 shown]
	s_delay_alu instid0(VALU_DEP_3) | instskip(SKIP_4) | instid1(VALU_DEP_2)
	v_cmp_lt_u32_e32 vcc_lo, 47, v7
	s_or_b32 s3, vcc_lo, s3
	s_waitcnt vmcnt(0) lgkmcnt(0)
	v_mul_f64 v[10:11], v[21:22], v[17:18]
	v_mul_f64 v[17:18], v[19:20], v[17:18]
	v_fma_f64 v[10:11], v[19:20], v[15:16], -v[10:11]
	s_delay_alu instid0(VALU_DEP_2) | instskip(NEXT) | instid1(VALU_DEP_2)
	v_fma_f64 v[15:16], v[21:22], v[15:16], v[17:18]
	v_add_f64 v[3:4], v[3:4], v[10:11]
	s_delay_alu instid0(VALU_DEP_2)
	v_add_f64 v[1:2], v[1:2], v[15:16]
	s_and_not1_b32 exec_lo, exec_lo, s3
	s_cbranch_execnz .LBB53_209
; %bb.210:
	s_or_b32 exec_lo, exec_lo, s3
	v_mov_b32_e32 v7, 0
	ds_load_b128 v[7:10], v7 offset:784
	s_waitcnt lgkmcnt(0)
	v_mul_f64 v[11:12], v[1:2], v[9:10]
	v_mul_f64 v[15:16], v[3:4], v[9:10]
	s_delay_alu instid0(VALU_DEP_2) | instskip(NEXT) | instid1(VALU_DEP_2)
	v_fma_f64 v[9:10], v[3:4], v[7:8], -v[11:12]
	v_fma_f64 v[11:12], v[1:2], v[7:8], v[15:16]
	scratch_store_b128 off, v[9:12], off offset:784
.LBB53_211:
	s_or_b32 exec_lo, exec_lo, s2
	s_waitcnt_vscnt null, 0x0
	s_barrier
	buffer_gl0_inv
	scratch_load_b128 v[1:4], v167, off
	s_mov_b32 s2, exec_lo
	s_waitcnt vmcnt(0)
	ds_store_b128 v5, v[1:4]
	s_waitcnt lgkmcnt(0)
	s_barrier
	buffer_gl0_inv
	v_cmpx_gt_u32_e32 50, v154
	s_cbranch_execz .LBB53_215
; %bb.212:
	v_dual_mov_b32 v1, 0 :: v_dual_add_nc_u32 v8, 0x360, v13
	v_dual_mov_b32 v2, 0 :: v_dual_add_nc_u32 v7, -1, v154
	v_or_b32_e32 v9, 8, v14
	s_mov_b32 s3, 0
	s_delay_alu instid0(VALU_DEP_2)
	v_dual_mov_b32 v4, v2 :: v_dual_mov_b32 v3, v1
	.p2align	6
.LBB53_213:                             ; =>This Inner Loop Header: Depth=1
	scratch_load_b128 v[15:18], v9, off offset:-8
	ds_load_b128 v[19:22], v8
	v_add_nc_u32_e32 v7, 1, v7
	v_add_nc_u32_e32 v8, 16, v8
	;; [unrolled: 1-line block ×3, first 2 shown]
	s_delay_alu instid0(VALU_DEP_3) | instskip(SKIP_4) | instid1(VALU_DEP_2)
	v_cmp_lt_u32_e32 vcc_lo, 48, v7
	s_or_b32 s3, vcc_lo, s3
	s_waitcnt vmcnt(0) lgkmcnt(0)
	v_mul_f64 v[10:11], v[21:22], v[17:18]
	v_mul_f64 v[17:18], v[19:20], v[17:18]
	v_fma_f64 v[10:11], v[19:20], v[15:16], -v[10:11]
	s_delay_alu instid0(VALU_DEP_2) | instskip(NEXT) | instid1(VALU_DEP_2)
	v_fma_f64 v[15:16], v[21:22], v[15:16], v[17:18]
	v_add_f64 v[3:4], v[3:4], v[10:11]
	s_delay_alu instid0(VALU_DEP_2)
	v_add_f64 v[1:2], v[1:2], v[15:16]
	s_and_not1_b32 exec_lo, exec_lo, s3
	s_cbranch_execnz .LBB53_213
; %bb.214:
	s_or_b32 exec_lo, exec_lo, s3
	v_mov_b32_e32 v7, 0
	ds_load_b128 v[7:10], v7 offset:800
	s_waitcnt lgkmcnt(0)
	v_mul_f64 v[11:12], v[1:2], v[9:10]
	v_mul_f64 v[15:16], v[3:4], v[9:10]
	s_delay_alu instid0(VALU_DEP_2) | instskip(NEXT) | instid1(VALU_DEP_2)
	v_fma_f64 v[9:10], v[3:4], v[7:8], -v[11:12]
	v_fma_f64 v[11:12], v[1:2], v[7:8], v[15:16]
	scratch_store_b128 off, v[9:12], off offset:800
.LBB53_215:
	s_or_b32 exec_lo, exec_lo, s2
	s_waitcnt_vscnt null, 0x0
	s_barrier
	buffer_gl0_inv
	scratch_load_b128 v[1:4], v166, off
	s_mov_b32 s2, exec_lo
	s_waitcnt vmcnt(0)
	ds_store_b128 v5, v[1:4]
	s_waitcnt lgkmcnt(0)
	s_barrier
	buffer_gl0_inv
	v_cmpx_gt_u32_e32 51, v154
	s_cbranch_execz .LBB53_219
; %bb.216:
	v_dual_mov_b32 v1, 0 :: v_dual_add_nc_u32 v8, 0x360, v13
	v_dual_mov_b32 v2, 0 :: v_dual_add_nc_u32 v7, -1, v154
	v_or_b32_e32 v9, 8, v14
	s_mov_b32 s3, 0
	s_delay_alu instid0(VALU_DEP_2)
	v_dual_mov_b32 v4, v2 :: v_dual_mov_b32 v3, v1
	.p2align	6
.LBB53_217:                             ; =>This Inner Loop Header: Depth=1
	scratch_load_b128 v[15:18], v9, off offset:-8
	ds_load_b128 v[19:22], v8
	v_add_nc_u32_e32 v7, 1, v7
	v_add_nc_u32_e32 v8, 16, v8
	;; [unrolled: 1-line block ×3, first 2 shown]
	s_delay_alu instid0(VALU_DEP_3) | instskip(SKIP_4) | instid1(VALU_DEP_2)
	v_cmp_lt_u32_e32 vcc_lo, 49, v7
	s_or_b32 s3, vcc_lo, s3
	s_waitcnt vmcnt(0) lgkmcnt(0)
	v_mul_f64 v[10:11], v[21:22], v[17:18]
	v_mul_f64 v[17:18], v[19:20], v[17:18]
	v_fma_f64 v[10:11], v[19:20], v[15:16], -v[10:11]
	s_delay_alu instid0(VALU_DEP_2) | instskip(NEXT) | instid1(VALU_DEP_2)
	v_fma_f64 v[15:16], v[21:22], v[15:16], v[17:18]
	v_add_f64 v[3:4], v[3:4], v[10:11]
	s_delay_alu instid0(VALU_DEP_2)
	v_add_f64 v[1:2], v[1:2], v[15:16]
	s_and_not1_b32 exec_lo, exec_lo, s3
	s_cbranch_execnz .LBB53_217
; %bb.218:
	s_or_b32 exec_lo, exec_lo, s3
	v_mov_b32_e32 v7, 0
	ds_load_b128 v[7:10], v7 offset:816
	s_waitcnt lgkmcnt(0)
	v_mul_f64 v[11:12], v[1:2], v[9:10]
	v_mul_f64 v[15:16], v[3:4], v[9:10]
	s_delay_alu instid0(VALU_DEP_2) | instskip(NEXT) | instid1(VALU_DEP_2)
	v_fma_f64 v[9:10], v[3:4], v[7:8], -v[11:12]
	v_fma_f64 v[11:12], v[1:2], v[7:8], v[15:16]
	scratch_store_b128 off, v[9:12], off offset:816
.LBB53_219:
	s_or_b32 exec_lo, exec_lo, s2
	s_waitcnt_vscnt null, 0x0
	s_barrier
	buffer_gl0_inv
	scratch_load_b128 v[1:4], v163, off
	s_mov_b32 s2, exec_lo
	s_waitcnt vmcnt(0)
	ds_store_b128 v5, v[1:4]
	s_waitcnt lgkmcnt(0)
	s_barrier
	buffer_gl0_inv
	v_cmpx_gt_u32_e32 52, v154
	s_cbranch_execz .LBB53_223
; %bb.220:
	v_dual_mov_b32 v1, 0 :: v_dual_add_nc_u32 v8, 0x360, v13
	v_dual_mov_b32 v2, 0 :: v_dual_add_nc_u32 v7, -1, v154
	v_or_b32_e32 v9, 8, v14
	s_mov_b32 s3, 0
	s_delay_alu instid0(VALU_DEP_2)
	v_dual_mov_b32 v4, v2 :: v_dual_mov_b32 v3, v1
	.p2align	6
.LBB53_221:                             ; =>This Inner Loop Header: Depth=1
	scratch_load_b128 v[10:13], v9, off offset:-8
	ds_load_b128 v[15:18], v8
	v_add_nc_u32_e32 v7, 1, v7
	v_add_nc_u32_e32 v8, 16, v8
	;; [unrolled: 1-line block ×3, first 2 shown]
	s_delay_alu instid0(VALU_DEP_3) | instskip(SKIP_4) | instid1(VALU_DEP_2)
	v_cmp_lt_u32_e32 vcc_lo, 50, v7
	s_or_b32 s3, vcc_lo, s3
	s_waitcnt vmcnt(0) lgkmcnt(0)
	v_mul_f64 v[19:20], v[17:18], v[12:13]
	v_mul_f64 v[12:13], v[15:16], v[12:13]
	v_fma_f64 v[15:16], v[15:16], v[10:11], -v[19:20]
	s_delay_alu instid0(VALU_DEP_2) | instskip(NEXT) | instid1(VALU_DEP_2)
	v_fma_f64 v[10:11], v[17:18], v[10:11], v[12:13]
	v_add_f64 v[3:4], v[3:4], v[15:16]
	s_delay_alu instid0(VALU_DEP_2)
	v_add_f64 v[1:2], v[1:2], v[10:11]
	s_and_not1_b32 exec_lo, exec_lo, s3
	s_cbranch_execnz .LBB53_221
; %bb.222:
	s_or_b32 exec_lo, exec_lo, s3
	v_mov_b32_e32 v7, 0
	ds_load_b128 v[7:10], v7 offset:832
	s_waitcnt lgkmcnt(0)
	v_mul_f64 v[11:12], v[1:2], v[9:10]
	v_mul_f64 v[15:16], v[3:4], v[9:10]
	s_delay_alu instid0(VALU_DEP_2) | instskip(NEXT) | instid1(VALU_DEP_2)
	v_fma_f64 v[9:10], v[3:4], v[7:8], -v[11:12]
	v_fma_f64 v[11:12], v[1:2], v[7:8], v[15:16]
	scratch_store_b128 off, v[9:12], off offset:832
.LBB53_223:
	s_or_b32 exec_lo, exec_lo, s2
	s_waitcnt_vscnt null, 0x0
	s_barrier
	buffer_gl0_inv
	scratch_load_b128 v[1:4], v161, off
	s_mov_b32 s2, exec_lo
	s_waitcnt vmcnt(0)
	ds_store_b128 v5, v[1:4]
	s_waitcnt lgkmcnt(0)
	s_barrier
	buffer_gl0_inv
	v_cmpx_ne_u32_e32 53, v154
	s_cbranch_execz .LBB53_227
; %bb.224:
	v_mov_b32_e32 v1, 0
	v_mov_b32_e32 v2, 0
	v_or_b32_e32 v7, 8, v14
	s_mov_b32 s3, 0
	s_delay_alu instid0(VALU_DEP_2)
	v_dual_mov_b32 v4, v2 :: v_dual_mov_b32 v3, v1
	.p2align	6
.LBB53_225:                             ; =>This Inner Loop Header: Depth=1
	scratch_load_b128 v[8:11], v7, off offset:-8
	ds_load_b128 v[12:15], v5
	v_add_nc_u32_e32 v6, 1, v6
	v_add_nc_u32_e32 v5, 16, v5
	;; [unrolled: 1-line block ×3, first 2 shown]
	s_delay_alu instid0(VALU_DEP_3) | instskip(SKIP_4) | instid1(VALU_DEP_2)
	v_cmp_lt_u32_e32 vcc_lo, 51, v6
	s_or_b32 s3, vcc_lo, s3
	s_waitcnt vmcnt(0) lgkmcnt(0)
	v_mul_f64 v[16:17], v[14:15], v[10:11]
	v_mul_f64 v[10:11], v[12:13], v[10:11]
	v_fma_f64 v[12:13], v[12:13], v[8:9], -v[16:17]
	s_delay_alu instid0(VALU_DEP_2) | instskip(NEXT) | instid1(VALU_DEP_2)
	v_fma_f64 v[8:9], v[14:15], v[8:9], v[10:11]
	v_add_f64 v[3:4], v[3:4], v[12:13]
	s_delay_alu instid0(VALU_DEP_2)
	v_add_f64 v[1:2], v[1:2], v[8:9]
	s_and_not1_b32 exec_lo, exec_lo, s3
	s_cbranch_execnz .LBB53_225
; %bb.226:
	s_or_b32 exec_lo, exec_lo, s3
	v_mov_b32_e32 v5, 0
	ds_load_b128 v[5:8], v5 offset:848
	s_waitcnt lgkmcnt(0)
	v_mul_f64 v[9:10], v[1:2], v[7:8]
	v_mul_f64 v[7:8], v[3:4], v[7:8]
	s_delay_alu instid0(VALU_DEP_2) | instskip(NEXT) | instid1(VALU_DEP_2)
	v_fma_f64 v[3:4], v[3:4], v[5:6], -v[9:10]
	v_fma_f64 v[5:6], v[1:2], v[5:6], v[7:8]
	scratch_store_b128 off, v[3:6], off offset:848
.LBB53_227:
	s_or_b32 exec_lo, exec_lo, s2
	s_mov_b32 s3, -1
	s_waitcnt_vscnt null, 0x0
	s_barrier
	buffer_gl0_inv
.LBB53_228:
	s_and_b32 vcc_lo, exec_lo, s3
	s_cbranch_vccz .LBB53_230
; %bb.229:
	s_lshl_b64 s[2:3], s[18:19], 2
	v_mov_b32_e32 v1, 0
	s_add_u32 s2, s6, s2
	s_addc_u32 s3, s7, s3
	global_load_b32 v1, v1, s[2:3]
	s_waitcnt vmcnt(0)
	v_cmp_ne_u32_e32 vcc_lo, 0, v1
	s_cbranch_vccz .LBB53_231
.LBB53_230:
	s_endpgm
.LBB53_231:
	v_lshl_add_u32 v208, v154, 4, 0x360
	s_mov_b32 s2, exec_lo
	v_cmpx_eq_u32_e32 53, v154
	s_cbranch_execz .LBB53_233
; %bb.232:
	scratch_load_b128 v[1:4], v163, off
	v_mov_b32_e32 v5, 0
	s_delay_alu instid0(VALU_DEP_1)
	v_mov_b32_e32 v6, v5
	v_mov_b32_e32 v7, v5
	;; [unrolled: 1-line block ×3, first 2 shown]
	scratch_store_b128 off, v[5:8], off offset:832
	s_waitcnt vmcnt(0)
	ds_store_b128 v208, v[1:4]
.LBB53_233:
	s_or_b32 exec_lo, exec_lo, s2
	s_waitcnt lgkmcnt(0)
	s_waitcnt_vscnt null, 0x0
	s_barrier
	buffer_gl0_inv
	s_clause 0x1
	scratch_load_b128 v[2:5], off, off offset:848
	scratch_load_b128 v[6:9], off, off offset:832
	v_mov_b32_e32 v1, 0
	s_mov_b32 s2, exec_lo
	ds_load_b128 v[10:13], v1 offset:1712
	s_waitcnt vmcnt(1) lgkmcnt(0)
	v_mul_f64 v[14:15], v[12:13], v[4:5]
	v_mul_f64 v[4:5], v[10:11], v[4:5]
	s_delay_alu instid0(VALU_DEP_2) | instskip(NEXT) | instid1(VALU_DEP_2)
	v_fma_f64 v[10:11], v[10:11], v[2:3], -v[14:15]
	v_fma_f64 v[2:3], v[12:13], v[2:3], v[4:5]
	s_delay_alu instid0(VALU_DEP_2) | instskip(NEXT) | instid1(VALU_DEP_2)
	v_add_f64 v[4:5], v[10:11], 0
	v_add_f64 v[10:11], v[2:3], 0
	s_waitcnt vmcnt(0)
	s_delay_alu instid0(VALU_DEP_2) | instskip(NEXT) | instid1(VALU_DEP_2)
	v_add_f64 v[2:3], v[6:7], -v[4:5]
	v_add_f64 v[4:5], v[8:9], -v[10:11]
	scratch_store_b128 off, v[2:5], off offset:832
	v_cmpx_lt_u32_e32 51, v154
	s_cbranch_execz .LBB53_235
; %bb.234:
	scratch_load_b128 v[5:8], v166, off
	v_mov_b32_e32 v2, v1
	v_mov_b32_e32 v3, v1
	;; [unrolled: 1-line block ×3, first 2 shown]
	scratch_store_b128 off, v[1:4], off offset:816
	s_waitcnt vmcnt(0)
	ds_store_b128 v208, v[5:8]
.LBB53_235:
	s_or_b32 exec_lo, exec_lo, s2
	s_waitcnt lgkmcnt(0)
	s_waitcnt_vscnt null, 0x0
	s_barrier
	buffer_gl0_inv
	s_clause 0x2
	scratch_load_b128 v[2:5], off, off offset:832
	scratch_load_b128 v[6:9], off, off offset:848
	;; [unrolled: 1-line block ×3, first 2 shown]
	ds_load_b128 v[14:17], v1 offset:1696
	ds_load_b128 v[18:21], v1 offset:1712
	s_mov_b32 s2, exec_lo
	s_waitcnt vmcnt(2) lgkmcnt(1)
	v_mul_f64 v[22:23], v[16:17], v[4:5]
	v_mul_f64 v[4:5], v[14:15], v[4:5]
	s_waitcnt vmcnt(1) lgkmcnt(0)
	v_mul_f64 v[24:25], v[18:19], v[8:9]
	v_mul_f64 v[8:9], v[20:21], v[8:9]
	s_delay_alu instid0(VALU_DEP_4) | instskip(NEXT) | instid1(VALU_DEP_4)
	v_fma_f64 v[14:15], v[14:15], v[2:3], -v[22:23]
	v_fma_f64 v[1:2], v[16:17], v[2:3], v[4:5]
	s_delay_alu instid0(VALU_DEP_4) | instskip(NEXT) | instid1(VALU_DEP_4)
	v_fma_f64 v[3:4], v[20:21], v[6:7], v[24:25]
	v_fma_f64 v[5:6], v[18:19], v[6:7], -v[8:9]
	s_delay_alu instid0(VALU_DEP_4) | instskip(NEXT) | instid1(VALU_DEP_4)
	v_add_f64 v[7:8], v[14:15], 0
	v_add_f64 v[1:2], v[1:2], 0
	s_delay_alu instid0(VALU_DEP_2) | instskip(NEXT) | instid1(VALU_DEP_2)
	v_add_f64 v[5:6], v[7:8], v[5:6]
	v_add_f64 v[3:4], v[1:2], v[3:4]
	s_waitcnt vmcnt(0)
	s_delay_alu instid0(VALU_DEP_2) | instskip(NEXT) | instid1(VALU_DEP_2)
	v_add_f64 v[1:2], v[10:11], -v[5:6]
	v_add_f64 v[3:4], v[12:13], -v[3:4]
	scratch_store_b128 off, v[1:4], off offset:816
	v_cmpx_lt_u32_e32 50, v154
	s_cbranch_execz .LBB53_237
; %bb.236:
	scratch_load_b128 v[1:4], v167, off
	v_mov_b32_e32 v5, 0
	s_delay_alu instid0(VALU_DEP_1)
	v_mov_b32_e32 v6, v5
	v_mov_b32_e32 v7, v5
	;; [unrolled: 1-line block ×3, first 2 shown]
	scratch_store_b128 off, v[5:8], off offset:800
	s_waitcnt vmcnt(0)
	ds_store_b128 v208, v[1:4]
.LBB53_237:
	s_or_b32 exec_lo, exec_lo, s2
	s_waitcnt lgkmcnt(0)
	s_waitcnt_vscnt null, 0x0
	s_barrier
	buffer_gl0_inv
	s_clause 0x3
	scratch_load_b128 v[2:5], off, off offset:816
	scratch_load_b128 v[6:9], off, off offset:832
	;; [unrolled: 1-line block ×4, first 2 shown]
	v_mov_b32_e32 v1, 0
	ds_load_b128 v[18:21], v1 offset:1680
	ds_load_b128 v[22:25], v1 offset:1696
	s_mov_b32 s2, exec_lo
	s_waitcnt vmcnt(3) lgkmcnt(1)
	v_mul_f64 v[26:27], v[20:21], v[4:5]
	v_mul_f64 v[4:5], v[18:19], v[4:5]
	s_waitcnt vmcnt(2) lgkmcnt(0)
	v_mul_f64 v[28:29], v[22:23], v[8:9]
	v_mul_f64 v[8:9], v[24:25], v[8:9]
	s_delay_alu instid0(VALU_DEP_4) | instskip(NEXT) | instid1(VALU_DEP_4)
	v_fma_f64 v[18:19], v[18:19], v[2:3], -v[26:27]
	v_fma_f64 v[20:21], v[20:21], v[2:3], v[4:5]
	ds_load_b128 v[2:5], v1 offset:1712
	v_fma_f64 v[24:25], v[24:25], v[6:7], v[28:29]
	v_fma_f64 v[6:7], v[22:23], v[6:7], -v[8:9]
	s_waitcnt vmcnt(1) lgkmcnt(0)
	v_mul_f64 v[26:27], v[2:3], v[12:13]
	v_mul_f64 v[12:13], v[4:5], v[12:13]
	v_add_f64 v[8:9], v[18:19], 0
	v_add_f64 v[18:19], v[20:21], 0
	s_delay_alu instid0(VALU_DEP_4) | instskip(NEXT) | instid1(VALU_DEP_4)
	v_fma_f64 v[4:5], v[4:5], v[10:11], v[26:27]
	v_fma_f64 v[2:3], v[2:3], v[10:11], -v[12:13]
	s_delay_alu instid0(VALU_DEP_4) | instskip(NEXT) | instid1(VALU_DEP_4)
	v_add_f64 v[6:7], v[8:9], v[6:7]
	v_add_f64 v[8:9], v[18:19], v[24:25]
	s_delay_alu instid0(VALU_DEP_2) | instskip(NEXT) | instid1(VALU_DEP_2)
	v_add_f64 v[2:3], v[6:7], v[2:3]
	v_add_f64 v[4:5], v[8:9], v[4:5]
	s_waitcnt vmcnt(0)
	s_delay_alu instid0(VALU_DEP_2) | instskip(NEXT) | instid1(VALU_DEP_2)
	v_add_f64 v[2:3], v[14:15], -v[2:3]
	v_add_f64 v[4:5], v[16:17], -v[4:5]
	scratch_store_b128 off, v[2:5], off offset:800
	v_cmpx_lt_u32_e32 49, v154
	s_cbranch_execz .LBB53_239
; %bb.238:
	scratch_load_b128 v[5:8], v170, off
	v_mov_b32_e32 v2, v1
	v_mov_b32_e32 v3, v1
	;; [unrolled: 1-line block ×3, first 2 shown]
	scratch_store_b128 off, v[1:4], off offset:784
	s_waitcnt vmcnt(0)
	ds_store_b128 v208, v[5:8]
.LBB53_239:
	s_or_b32 exec_lo, exec_lo, s2
	s_waitcnt lgkmcnt(0)
	s_waitcnt_vscnt null, 0x0
	s_barrier
	buffer_gl0_inv
	s_clause 0x4
	scratch_load_b128 v[2:5], off, off offset:800
	scratch_load_b128 v[6:9], off, off offset:816
	;; [unrolled: 1-line block ×5, first 2 shown]
	ds_load_b128 v[22:25], v1 offset:1664
	ds_load_b128 v[26:29], v1 offset:1680
	s_mov_b32 s2, exec_lo
	s_waitcnt vmcnt(4) lgkmcnt(1)
	v_mul_f64 v[30:31], v[24:25], v[4:5]
	v_mul_f64 v[4:5], v[22:23], v[4:5]
	s_waitcnt vmcnt(3) lgkmcnt(0)
	v_mul_f64 v[32:33], v[26:27], v[8:9]
	v_mul_f64 v[8:9], v[28:29], v[8:9]
	s_delay_alu instid0(VALU_DEP_4) | instskip(NEXT) | instid1(VALU_DEP_4)
	v_fma_f64 v[30:31], v[22:23], v[2:3], -v[30:31]
	v_fma_f64 v[34:35], v[24:25], v[2:3], v[4:5]
	ds_load_b128 v[2:5], v1 offset:1696
	ds_load_b128 v[22:25], v1 offset:1712
	v_fma_f64 v[28:29], v[28:29], v[6:7], v[32:33]
	v_fma_f64 v[6:7], v[26:27], v[6:7], -v[8:9]
	s_waitcnt vmcnt(2) lgkmcnt(1)
	v_mul_f64 v[36:37], v[2:3], v[12:13]
	v_mul_f64 v[12:13], v[4:5], v[12:13]
	v_add_f64 v[8:9], v[30:31], 0
	v_add_f64 v[26:27], v[34:35], 0
	s_waitcnt vmcnt(1) lgkmcnt(0)
	v_mul_f64 v[30:31], v[22:23], v[16:17]
	v_mul_f64 v[16:17], v[24:25], v[16:17]
	v_fma_f64 v[4:5], v[4:5], v[10:11], v[36:37]
	v_fma_f64 v[1:2], v[2:3], v[10:11], -v[12:13]
	v_add_f64 v[6:7], v[8:9], v[6:7]
	v_add_f64 v[8:9], v[26:27], v[28:29]
	v_fma_f64 v[10:11], v[24:25], v[14:15], v[30:31]
	v_fma_f64 v[12:13], v[22:23], v[14:15], -v[16:17]
	s_delay_alu instid0(VALU_DEP_4) | instskip(NEXT) | instid1(VALU_DEP_4)
	v_add_f64 v[1:2], v[6:7], v[1:2]
	v_add_f64 v[3:4], v[8:9], v[4:5]
	s_delay_alu instid0(VALU_DEP_2) | instskip(NEXT) | instid1(VALU_DEP_2)
	v_add_f64 v[1:2], v[1:2], v[12:13]
	v_add_f64 v[3:4], v[3:4], v[10:11]
	s_waitcnt vmcnt(0)
	s_delay_alu instid0(VALU_DEP_2) | instskip(NEXT) | instid1(VALU_DEP_2)
	v_add_f64 v[1:2], v[18:19], -v[1:2]
	v_add_f64 v[3:4], v[20:21], -v[3:4]
	scratch_store_b128 off, v[1:4], off offset:784
	v_cmpx_lt_u32_e32 48, v154
	s_cbranch_execz .LBB53_241
; %bb.240:
	scratch_load_b128 v[1:4], v155, off
	v_mov_b32_e32 v5, 0
	s_delay_alu instid0(VALU_DEP_1)
	v_mov_b32_e32 v6, v5
	v_mov_b32_e32 v7, v5
	;; [unrolled: 1-line block ×3, first 2 shown]
	scratch_store_b128 off, v[5:8], off offset:768
	s_waitcnt vmcnt(0)
	ds_store_b128 v208, v[1:4]
.LBB53_241:
	s_or_b32 exec_lo, exec_lo, s2
	s_waitcnt lgkmcnt(0)
	s_waitcnt_vscnt null, 0x0
	s_barrier
	buffer_gl0_inv
	s_clause 0x5
	scratch_load_b128 v[2:5], off, off offset:784
	scratch_load_b128 v[6:9], off, off offset:800
	;; [unrolled: 1-line block ×6, first 2 shown]
	v_mov_b32_e32 v1, 0
	ds_load_b128 v[26:29], v1 offset:1648
	ds_load_b128 v[30:33], v1 offset:1664
	s_mov_b32 s2, exec_lo
	s_waitcnt vmcnt(5) lgkmcnt(1)
	v_mul_f64 v[34:35], v[28:29], v[4:5]
	v_mul_f64 v[4:5], v[26:27], v[4:5]
	s_waitcnt vmcnt(4) lgkmcnt(0)
	v_mul_f64 v[36:37], v[30:31], v[8:9]
	v_mul_f64 v[8:9], v[32:33], v[8:9]
	s_delay_alu instid0(VALU_DEP_4) | instskip(NEXT) | instid1(VALU_DEP_4)
	v_fma_f64 v[34:35], v[26:27], v[2:3], -v[34:35]
	v_fma_f64 v[38:39], v[28:29], v[2:3], v[4:5]
	ds_load_b128 v[2:5], v1 offset:1680
	ds_load_b128 v[26:29], v1 offset:1696
	v_fma_f64 v[32:33], v[32:33], v[6:7], v[36:37]
	v_fma_f64 v[6:7], v[30:31], v[6:7], -v[8:9]
	s_waitcnt vmcnt(3) lgkmcnt(1)
	v_mul_f64 v[40:41], v[2:3], v[12:13]
	v_mul_f64 v[12:13], v[4:5], v[12:13]
	v_add_f64 v[8:9], v[34:35], 0
	v_add_f64 v[30:31], v[38:39], 0
	s_waitcnt vmcnt(2) lgkmcnt(0)
	v_mul_f64 v[34:35], v[26:27], v[16:17]
	v_mul_f64 v[16:17], v[28:29], v[16:17]
	v_fma_f64 v[36:37], v[4:5], v[10:11], v[40:41]
	v_fma_f64 v[10:11], v[2:3], v[10:11], -v[12:13]
	ds_load_b128 v[2:5], v1 offset:1712
	v_add_f64 v[6:7], v[8:9], v[6:7]
	v_add_f64 v[8:9], v[30:31], v[32:33]
	v_fma_f64 v[28:29], v[28:29], v[14:15], v[34:35]
	v_fma_f64 v[14:15], v[26:27], v[14:15], -v[16:17]
	s_waitcnt vmcnt(1) lgkmcnt(0)
	v_mul_f64 v[12:13], v[2:3], v[20:21]
	v_mul_f64 v[20:21], v[4:5], v[20:21]
	v_add_f64 v[6:7], v[6:7], v[10:11]
	v_add_f64 v[8:9], v[8:9], v[36:37]
	s_delay_alu instid0(VALU_DEP_4) | instskip(NEXT) | instid1(VALU_DEP_4)
	v_fma_f64 v[4:5], v[4:5], v[18:19], v[12:13]
	v_fma_f64 v[2:3], v[2:3], v[18:19], -v[20:21]
	s_delay_alu instid0(VALU_DEP_4) | instskip(NEXT) | instid1(VALU_DEP_4)
	v_add_f64 v[6:7], v[6:7], v[14:15]
	v_add_f64 v[8:9], v[8:9], v[28:29]
	s_delay_alu instid0(VALU_DEP_2) | instskip(NEXT) | instid1(VALU_DEP_2)
	v_add_f64 v[2:3], v[6:7], v[2:3]
	v_add_f64 v[4:5], v[8:9], v[4:5]
	s_waitcnt vmcnt(0)
	s_delay_alu instid0(VALU_DEP_2) | instskip(NEXT) | instid1(VALU_DEP_2)
	v_add_f64 v[2:3], v[22:23], -v[2:3]
	v_add_f64 v[4:5], v[24:25], -v[4:5]
	scratch_store_b128 off, v[2:5], off offset:768
	v_cmpx_lt_u32_e32 47, v154
	s_cbranch_execz .LBB53_243
; %bb.242:
	scratch_load_b128 v[5:8], v156, off
	v_mov_b32_e32 v2, v1
	v_mov_b32_e32 v3, v1
	;; [unrolled: 1-line block ×3, first 2 shown]
	scratch_store_b128 off, v[1:4], off offset:752
	s_waitcnt vmcnt(0)
	ds_store_b128 v208, v[5:8]
.LBB53_243:
	s_or_b32 exec_lo, exec_lo, s2
	s_waitcnt lgkmcnt(0)
	s_waitcnt_vscnt null, 0x0
	s_barrier
	buffer_gl0_inv
	s_clause 0x5
	scratch_load_b128 v[2:5], off, off offset:768
	scratch_load_b128 v[6:9], off, off offset:784
	;; [unrolled: 1-line block ×6, first 2 shown]
	ds_load_b128 v[26:29], v1 offset:1632
	ds_load_b128 v[34:37], v1 offset:1648
	scratch_load_b128 v[30:33], off, off offset:752
	s_mov_b32 s2, exec_lo
	s_waitcnt vmcnt(6) lgkmcnt(1)
	v_mul_f64 v[38:39], v[28:29], v[4:5]
	v_mul_f64 v[4:5], v[26:27], v[4:5]
	s_waitcnt vmcnt(5) lgkmcnt(0)
	v_mul_f64 v[40:41], v[34:35], v[8:9]
	v_mul_f64 v[8:9], v[36:37], v[8:9]
	s_delay_alu instid0(VALU_DEP_4) | instskip(NEXT) | instid1(VALU_DEP_4)
	v_fma_f64 v[38:39], v[26:27], v[2:3], -v[38:39]
	v_fma_f64 v[42:43], v[28:29], v[2:3], v[4:5]
	ds_load_b128 v[2:5], v1 offset:1664
	ds_load_b128 v[26:29], v1 offset:1680
	v_fma_f64 v[36:37], v[36:37], v[6:7], v[40:41]
	v_fma_f64 v[6:7], v[34:35], v[6:7], -v[8:9]
	s_waitcnt vmcnt(4) lgkmcnt(1)
	v_mul_f64 v[44:45], v[2:3], v[12:13]
	v_mul_f64 v[12:13], v[4:5], v[12:13]
	v_add_f64 v[8:9], v[38:39], 0
	v_add_f64 v[34:35], v[42:43], 0
	s_waitcnt vmcnt(3) lgkmcnt(0)
	v_mul_f64 v[38:39], v[26:27], v[16:17]
	v_mul_f64 v[16:17], v[28:29], v[16:17]
	v_fma_f64 v[40:41], v[4:5], v[10:11], v[44:45]
	v_fma_f64 v[10:11], v[2:3], v[10:11], -v[12:13]
	v_add_f64 v[12:13], v[8:9], v[6:7]
	v_add_f64 v[34:35], v[34:35], v[36:37]
	ds_load_b128 v[2:5], v1 offset:1696
	ds_load_b128 v[6:9], v1 offset:1712
	v_fma_f64 v[28:29], v[28:29], v[14:15], v[38:39]
	v_fma_f64 v[14:15], v[26:27], v[14:15], -v[16:17]
	s_waitcnt vmcnt(2) lgkmcnt(1)
	v_mul_f64 v[36:37], v[2:3], v[20:21]
	v_mul_f64 v[20:21], v[4:5], v[20:21]
	s_waitcnt vmcnt(1) lgkmcnt(0)
	v_mul_f64 v[16:17], v[6:7], v[24:25]
	v_mul_f64 v[24:25], v[8:9], v[24:25]
	v_add_f64 v[10:11], v[12:13], v[10:11]
	v_add_f64 v[12:13], v[34:35], v[40:41]
	v_fma_f64 v[4:5], v[4:5], v[18:19], v[36:37]
	v_fma_f64 v[1:2], v[2:3], v[18:19], -v[20:21]
	v_fma_f64 v[8:9], v[8:9], v[22:23], v[16:17]
	v_fma_f64 v[6:7], v[6:7], v[22:23], -v[24:25]
	v_add_f64 v[10:11], v[10:11], v[14:15]
	v_add_f64 v[12:13], v[12:13], v[28:29]
	s_delay_alu instid0(VALU_DEP_2) | instskip(NEXT) | instid1(VALU_DEP_2)
	v_add_f64 v[1:2], v[10:11], v[1:2]
	v_add_f64 v[3:4], v[12:13], v[4:5]
	s_delay_alu instid0(VALU_DEP_2) | instskip(NEXT) | instid1(VALU_DEP_2)
	v_add_f64 v[1:2], v[1:2], v[6:7]
	v_add_f64 v[3:4], v[3:4], v[8:9]
	s_waitcnt vmcnt(0)
	s_delay_alu instid0(VALU_DEP_2) | instskip(NEXT) | instid1(VALU_DEP_2)
	v_add_f64 v[1:2], v[30:31], -v[1:2]
	v_add_f64 v[3:4], v[32:33], -v[3:4]
	scratch_store_b128 off, v[1:4], off offset:752
	v_cmpx_lt_u32_e32 46, v154
	s_cbranch_execz .LBB53_245
; %bb.244:
	scratch_load_b128 v[1:4], v209, off
	v_mov_b32_e32 v5, 0
	s_delay_alu instid0(VALU_DEP_1)
	v_mov_b32_e32 v6, v5
	v_mov_b32_e32 v7, v5
	;; [unrolled: 1-line block ×3, first 2 shown]
	scratch_store_b128 off, v[5:8], off offset:736
	s_waitcnt vmcnt(0)
	ds_store_b128 v208, v[1:4]
.LBB53_245:
	s_or_b32 exec_lo, exec_lo, s2
	s_waitcnt lgkmcnt(0)
	s_waitcnt_vscnt null, 0x0
	s_barrier
	buffer_gl0_inv
	s_clause 0x6
	scratch_load_b128 v[2:5], off, off offset:752
	scratch_load_b128 v[6:9], off, off offset:768
	;; [unrolled: 1-line block ×7, first 2 shown]
	v_mov_b32_e32 v1, 0
	scratch_load_b128 v[34:37], off, off offset:736
	s_mov_b32 s2, exec_lo
	ds_load_b128 v[30:33], v1 offset:1616
	ds_load_b128 v[38:41], v1 offset:1632
	s_waitcnt vmcnt(7) lgkmcnt(1)
	v_mul_f64 v[42:43], v[32:33], v[4:5]
	v_mul_f64 v[4:5], v[30:31], v[4:5]
	s_waitcnt vmcnt(6) lgkmcnt(0)
	v_mul_f64 v[44:45], v[38:39], v[8:9]
	v_mul_f64 v[8:9], v[40:41], v[8:9]
	s_delay_alu instid0(VALU_DEP_4) | instskip(NEXT) | instid1(VALU_DEP_4)
	v_fma_f64 v[42:43], v[30:31], v[2:3], -v[42:43]
	v_fma_f64 v[48:49], v[32:33], v[2:3], v[4:5]
	ds_load_b128 v[2:5], v1 offset:1648
	ds_load_b128 v[30:33], v1 offset:1664
	v_fma_f64 v[40:41], v[40:41], v[6:7], v[44:45]
	v_fma_f64 v[6:7], v[38:39], v[6:7], -v[8:9]
	s_waitcnt vmcnt(5) lgkmcnt(1)
	v_mul_f64 v[50:51], v[2:3], v[12:13]
	v_mul_f64 v[12:13], v[4:5], v[12:13]
	v_add_f64 v[8:9], v[42:43], 0
	v_add_f64 v[38:39], v[48:49], 0
	s_waitcnt vmcnt(4) lgkmcnt(0)
	v_mul_f64 v[42:43], v[30:31], v[16:17]
	v_mul_f64 v[16:17], v[32:33], v[16:17]
	v_fma_f64 v[44:45], v[4:5], v[10:11], v[50:51]
	v_fma_f64 v[10:11], v[2:3], v[10:11], -v[12:13]
	v_add_f64 v[12:13], v[8:9], v[6:7]
	v_add_f64 v[38:39], v[38:39], v[40:41]
	ds_load_b128 v[2:5], v1 offset:1680
	ds_load_b128 v[6:9], v1 offset:1696
	v_fma_f64 v[32:33], v[32:33], v[14:15], v[42:43]
	v_fma_f64 v[14:15], v[30:31], v[14:15], -v[16:17]
	s_waitcnt vmcnt(3) lgkmcnt(1)
	v_mul_f64 v[40:41], v[2:3], v[20:21]
	v_mul_f64 v[20:21], v[4:5], v[20:21]
	s_waitcnt vmcnt(2) lgkmcnt(0)
	v_mul_f64 v[16:17], v[6:7], v[24:25]
	v_mul_f64 v[24:25], v[8:9], v[24:25]
	v_add_f64 v[10:11], v[12:13], v[10:11]
	v_add_f64 v[12:13], v[38:39], v[44:45]
	v_fma_f64 v[30:31], v[4:5], v[18:19], v[40:41]
	v_fma_f64 v[18:19], v[2:3], v[18:19], -v[20:21]
	ds_load_b128 v[2:5], v1 offset:1712
	v_fma_f64 v[8:9], v[8:9], v[22:23], v[16:17]
	v_fma_f64 v[6:7], v[6:7], v[22:23], -v[24:25]
	v_add_f64 v[10:11], v[10:11], v[14:15]
	v_add_f64 v[12:13], v[12:13], v[32:33]
	s_waitcnt vmcnt(1) lgkmcnt(0)
	v_mul_f64 v[14:15], v[2:3], v[28:29]
	v_mul_f64 v[20:21], v[4:5], v[28:29]
	s_delay_alu instid0(VALU_DEP_4) | instskip(NEXT) | instid1(VALU_DEP_4)
	v_add_f64 v[10:11], v[10:11], v[18:19]
	v_add_f64 v[12:13], v[12:13], v[30:31]
	s_delay_alu instid0(VALU_DEP_4) | instskip(NEXT) | instid1(VALU_DEP_4)
	v_fma_f64 v[4:5], v[4:5], v[26:27], v[14:15]
	v_fma_f64 v[2:3], v[2:3], v[26:27], -v[20:21]
	s_delay_alu instid0(VALU_DEP_4) | instskip(NEXT) | instid1(VALU_DEP_4)
	v_add_f64 v[6:7], v[10:11], v[6:7]
	v_add_f64 v[8:9], v[12:13], v[8:9]
	s_delay_alu instid0(VALU_DEP_2) | instskip(NEXT) | instid1(VALU_DEP_2)
	v_add_f64 v[2:3], v[6:7], v[2:3]
	v_add_f64 v[4:5], v[8:9], v[4:5]
	s_waitcnt vmcnt(0)
	s_delay_alu instid0(VALU_DEP_2) | instskip(NEXT) | instid1(VALU_DEP_2)
	v_add_f64 v[2:3], v[34:35], -v[2:3]
	v_add_f64 v[4:5], v[36:37], -v[4:5]
	scratch_store_b128 off, v[2:5], off offset:736
	v_cmpx_lt_u32_e32 45, v154
	s_cbranch_execz .LBB53_247
; %bb.246:
	scratch_load_b128 v[5:8], v210, off
	v_mov_b32_e32 v2, v1
	v_mov_b32_e32 v3, v1
	;; [unrolled: 1-line block ×3, first 2 shown]
	scratch_store_b128 off, v[1:4], off offset:720
	s_waitcnt vmcnt(0)
	ds_store_b128 v208, v[5:8]
.LBB53_247:
	s_or_b32 exec_lo, exec_lo, s2
	s_waitcnt lgkmcnt(0)
	s_waitcnt_vscnt null, 0x0
	s_barrier
	buffer_gl0_inv
	s_clause 0x7
	scratch_load_b128 v[2:5], off, off offset:736
	scratch_load_b128 v[6:9], off, off offset:752
	;; [unrolled: 1-line block ×8, first 2 shown]
	ds_load_b128 v[34:37], v1 offset:1600
	ds_load_b128 v[38:41], v1 offset:1616
	s_mov_b32 s2, exec_lo
	s_waitcnt vmcnt(7) lgkmcnt(1)
	v_mul_f64 v[42:43], v[36:37], v[4:5]
	v_mul_f64 v[4:5], v[34:35], v[4:5]
	s_waitcnt vmcnt(6) lgkmcnt(0)
	v_mul_f64 v[44:45], v[38:39], v[8:9]
	v_mul_f64 v[8:9], v[40:41], v[8:9]
	s_delay_alu instid0(VALU_DEP_4) | instskip(NEXT) | instid1(VALU_DEP_4)
	v_fma_f64 v[42:43], v[34:35], v[2:3], -v[42:43]
	v_fma_f64 v[48:49], v[36:37], v[2:3], v[4:5]
	ds_load_b128 v[2:5], v1 offset:1632
	scratch_load_b128 v[34:37], off, off offset:720
	v_fma_f64 v[40:41], v[40:41], v[6:7], v[44:45]
	v_fma_f64 v[38:39], v[38:39], v[6:7], -v[8:9]
	ds_load_b128 v[6:9], v1 offset:1648
	s_waitcnt vmcnt(6) lgkmcnt(1)
	v_mul_f64 v[50:51], v[2:3], v[12:13]
	v_mul_f64 v[12:13], v[4:5], v[12:13]
	v_add_f64 v[42:43], v[42:43], 0
	v_add_f64 v[44:45], v[48:49], 0
	s_waitcnt vmcnt(5) lgkmcnt(0)
	v_mul_f64 v[48:49], v[6:7], v[16:17]
	v_mul_f64 v[16:17], v[8:9], v[16:17]
	v_fma_f64 v[50:51], v[4:5], v[10:11], v[50:51]
	v_fma_f64 v[10:11], v[2:3], v[10:11], -v[12:13]
	ds_load_b128 v[2:5], v1 offset:1664
	v_add_f64 v[12:13], v[42:43], v[38:39]
	v_add_f64 v[38:39], v[44:45], v[40:41]
	v_fma_f64 v[42:43], v[8:9], v[14:15], v[48:49]
	v_fma_f64 v[14:15], v[6:7], v[14:15], -v[16:17]
	ds_load_b128 v[6:9], v1 offset:1680
	s_waitcnt vmcnt(4) lgkmcnt(1)
	v_mul_f64 v[40:41], v[2:3], v[20:21]
	v_mul_f64 v[20:21], v[4:5], v[20:21]
	s_waitcnt vmcnt(3) lgkmcnt(0)
	v_mul_f64 v[16:17], v[6:7], v[24:25]
	v_mul_f64 v[24:25], v[8:9], v[24:25]
	v_add_f64 v[10:11], v[12:13], v[10:11]
	v_add_f64 v[12:13], v[38:39], v[50:51]
	v_fma_f64 v[38:39], v[4:5], v[18:19], v[40:41]
	v_fma_f64 v[18:19], v[2:3], v[18:19], -v[20:21]
	ds_load_b128 v[2:5], v1 offset:1696
	v_fma_f64 v[16:17], v[8:9], v[22:23], v[16:17]
	v_fma_f64 v[22:23], v[6:7], v[22:23], -v[24:25]
	ds_load_b128 v[6:9], v1 offset:1712
	s_waitcnt vmcnt(2) lgkmcnt(1)
	v_mul_f64 v[20:21], v[4:5], v[28:29]
	v_add_f64 v[10:11], v[10:11], v[14:15]
	v_add_f64 v[12:13], v[12:13], v[42:43]
	v_mul_f64 v[14:15], v[2:3], v[28:29]
	s_waitcnt vmcnt(1) lgkmcnt(0)
	v_mul_f64 v[24:25], v[8:9], v[32:33]
	v_fma_f64 v[1:2], v[2:3], v[26:27], -v[20:21]
	v_add_f64 v[10:11], v[10:11], v[18:19]
	v_add_f64 v[12:13], v[12:13], v[38:39]
	v_mul_f64 v[18:19], v[6:7], v[32:33]
	v_fma_f64 v[4:5], v[4:5], v[26:27], v[14:15]
	v_fma_f64 v[6:7], v[6:7], v[30:31], -v[24:25]
	v_add_f64 v[10:11], v[10:11], v[22:23]
	v_add_f64 v[12:13], v[12:13], v[16:17]
	v_fma_f64 v[8:9], v[8:9], v[30:31], v[18:19]
	s_delay_alu instid0(VALU_DEP_3) | instskip(NEXT) | instid1(VALU_DEP_3)
	v_add_f64 v[1:2], v[10:11], v[1:2]
	v_add_f64 v[3:4], v[12:13], v[4:5]
	s_delay_alu instid0(VALU_DEP_2) | instskip(NEXT) | instid1(VALU_DEP_2)
	v_add_f64 v[1:2], v[1:2], v[6:7]
	v_add_f64 v[3:4], v[3:4], v[8:9]
	s_waitcnt vmcnt(0)
	s_delay_alu instid0(VALU_DEP_2) | instskip(NEXT) | instid1(VALU_DEP_2)
	v_add_f64 v[1:2], v[34:35], -v[1:2]
	v_add_f64 v[3:4], v[36:37], -v[3:4]
	scratch_store_b128 off, v[1:4], off offset:720
	v_cmpx_lt_u32_e32 44, v154
	s_cbranch_execz .LBB53_249
; %bb.248:
	scratch_load_b128 v[1:4], v211, off
	v_mov_b32_e32 v5, 0
	s_delay_alu instid0(VALU_DEP_1)
	v_mov_b32_e32 v6, v5
	v_mov_b32_e32 v7, v5
	;; [unrolled: 1-line block ×3, first 2 shown]
	scratch_store_b128 off, v[5:8], off offset:704
	s_waitcnt vmcnt(0)
	ds_store_b128 v208, v[1:4]
.LBB53_249:
	s_or_b32 exec_lo, exec_lo, s2
	s_waitcnt lgkmcnt(0)
	s_waitcnt_vscnt null, 0x0
	s_barrier
	buffer_gl0_inv
	s_clause 0x7
	scratch_load_b128 v[2:5], off, off offset:720
	scratch_load_b128 v[6:9], off, off offset:736
	scratch_load_b128 v[10:13], off, off offset:752
	scratch_load_b128 v[14:17], off, off offset:768
	scratch_load_b128 v[18:21], off, off offset:784
	scratch_load_b128 v[22:25], off, off offset:800
	scratch_load_b128 v[26:29], off, off offset:816
	scratch_load_b128 v[30:33], off, off offset:832
	v_mov_b32_e32 v1, 0
	scratch_load_b128 v[38:41], off, off offset:848
	s_mov_b32 s2, exec_lo
	ds_load_b128 v[34:37], v1 offset:1584
	ds_load_b128 v[42:45], v1 offset:1600
	s_waitcnt vmcnt(8) lgkmcnt(1)
	v_mul_f64 v[48:49], v[36:37], v[4:5]
	v_mul_f64 v[4:5], v[34:35], v[4:5]
	s_waitcnt vmcnt(7) lgkmcnt(0)
	v_mul_f64 v[50:51], v[42:43], v[8:9]
	v_mul_f64 v[8:9], v[44:45], v[8:9]
	s_delay_alu instid0(VALU_DEP_4) | instskip(NEXT) | instid1(VALU_DEP_4)
	v_fma_f64 v[34:35], v[34:35], v[2:3], -v[48:49]
	v_fma_f64 v[36:37], v[36:37], v[2:3], v[4:5]
	ds_load_b128 v[2:5], v1 offset:1616
	v_fma_f64 v[44:45], v[44:45], v[6:7], v[50:51]
	v_fma_f64 v[42:43], v[42:43], v[6:7], -v[8:9]
	ds_load_b128 v[6:9], v1 offset:1632
	s_waitcnt vmcnt(6) lgkmcnt(1)
	v_mul_f64 v[48:49], v[2:3], v[12:13]
	v_mul_f64 v[12:13], v[4:5], v[12:13]
	s_waitcnt vmcnt(5) lgkmcnt(0)
	v_mul_f64 v[159:160], v[6:7], v[16:17]
	v_mul_f64 v[16:17], v[8:9], v[16:17]
	v_add_f64 v[50:51], v[34:35], 0
	v_add_f64 v[157:158], v[36:37], 0
	scratch_load_b128 v[34:37], off, off offset:704
	v_fma_f64 v[48:49], v[4:5], v[10:11], v[48:49]
	v_fma_f64 v[10:11], v[2:3], v[10:11], -v[12:13]
	ds_load_b128 v[2:5], v1 offset:1648
	v_add_f64 v[12:13], v[50:51], v[42:43]
	v_add_f64 v[42:43], v[157:158], v[44:45]
	v_fma_f64 v[50:51], v[8:9], v[14:15], v[159:160]
	v_fma_f64 v[14:15], v[6:7], v[14:15], -v[16:17]
	ds_load_b128 v[6:9], v1 offset:1664
	s_waitcnt vmcnt(5) lgkmcnt(1)
	v_mul_f64 v[44:45], v[2:3], v[20:21]
	v_mul_f64 v[20:21], v[4:5], v[20:21]
	s_waitcnt vmcnt(4) lgkmcnt(0)
	v_mul_f64 v[16:17], v[6:7], v[24:25]
	v_mul_f64 v[24:25], v[8:9], v[24:25]
	v_add_f64 v[10:11], v[12:13], v[10:11]
	v_add_f64 v[12:13], v[42:43], v[48:49]
	v_fma_f64 v[42:43], v[4:5], v[18:19], v[44:45]
	v_fma_f64 v[18:19], v[2:3], v[18:19], -v[20:21]
	ds_load_b128 v[2:5], v1 offset:1680
	v_fma_f64 v[16:17], v[8:9], v[22:23], v[16:17]
	v_fma_f64 v[22:23], v[6:7], v[22:23], -v[24:25]
	ds_load_b128 v[6:9], v1 offset:1696
	s_waitcnt vmcnt(3) lgkmcnt(1)
	v_mul_f64 v[20:21], v[4:5], v[28:29]
	v_add_f64 v[10:11], v[10:11], v[14:15]
	v_add_f64 v[12:13], v[12:13], v[50:51]
	v_mul_f64 v[14:15], v[2:3], v[28:29]
	s_waitcnt vmcnt(2) lgkmcnt(0)
	v_mul_f64 v[24:25], v[8:9], v[32:33]
	v_fma_f64 v[20:21], v[2:3], v[26:27], -v[20:21]
	v_add_f64 v[10:11], v[10:11], v[18:19]
	v_add_f64 v[12:13], v[12:13], v[42:43]
	v_mul_f64 v[18:19], v[6:7], v[32:33]
	v_fma_f64 v[14:15], v[4:5], v[26:27], v[14:15]
	ds_load_b128 v[2:5], v1 offset:1712
	v_fma_f64 v[6:7], v[6:7], v[30:31], -v[24:25]
	v_add_f64 v[10:11], v[10:11], v[22:23]
	v_add_f64 v[12:13], v[12:13], v[16:17]
	s_waitcnt vmcnt(1) lgkmcnt(0)
	v_mul_f64 v[16:17], v[2:3], v[40:41]
	v_mul_f64 v[22:23], v[4:5], v[40:41]
	v_fma_f64 v[8:9], v[8:9], v[30:31], v[18:19]
	v_add_f64 v[10:11], v[10:11], v[20:21]
	v_add_f64 v[12:13], v[12:13], v[14:15]
	v_fma_f64 v[4:5], v[4:5], v[38:39], v[16:17]
	v_fma_f64 v[2:3], v[2:3], v[38:39], -v[22:23]
	s_delay_alu instid0(VALU_DEP_4) | instskip(NEXT) | instid1(VALU_DEP_4)
	v_add_f64 v[6:7], v[10:11], v[6:7]
	v_add_f64 v[8:9], v[12:13], v[8:9]
	s_delay_alu instid0(VALU_DEP_2) | instskip(NEXT) | instid1(VALU_DEP_2)
	v_add_f64 v[2:3], v[6:7], v[2:3]
	v_add_f64 v[4:5], v[8:9], v[4:5]
	s_waitcnt vmcnt(0)
	s_delay_alu instid0(VALU_DEP_2) | instskip(NEXT) | instid1(VALU_DEP_2)
	v_add_f64 v[2:3], v[34:35], -v[2:3]
	v_add_f64 v[4:5], v[36:37], -v[4:5]
	scratch_store_b128 off, v[2:5], off offset:704
	v_cmpx_lt_u32_e32 43, v154
	s_cbranch_execz .LBB53_251
; %bb.250:
	scratch_load_b128 v[5:8], v212, off
	v_mov_b32_e32 v2, v1
	v_mov_b32_e32 v3, v1
	;; [unrolled: 1-line block ×3, first 2 shown]
	scratch_store_b128 off, v[1:4], off offset:688
	s_waitcnt vmcnt(0)
	ds_store_b128 v208, v[5:8]
.LBB53_251:
	s_or_b32 exec_lo, exec_lo, s2
	s_waitcnt lgkmcnt(0)
	s_waitcnt_vscnt null, 0x0
	s_barrier
	buffer_gl0_inv
	s_clause 0x8
	scratch_load_b128 v[2:5], off, off offset:704
	scratch_load_b128 v[6:9], off, off offset:720
	;; [unrolled: 1-line block ×9, first 2 shown]
	ds_load_b128 v[38:41], v1 offset:1568
	ds_load_b128 v[42:45], v1 offset:1584
	s_clause 0x1
	scratch_load_b128 v[157:160], off, off offset:688
	scratch_load_b128 v[171:174], off, off offset:848
	s_mov_b32 s2, exec_lo
	s_waitcnt vmcnt(10) lgkmcnt(1)
	v_mul_f64 v[48:49], v[40:41], v[4:5]
	v_mul_f64 v[4:5], v[38:39], v[4:5]
	s_waitcnt vmcnt(9) lgkmcnt(0)
	v_mul_f64 v[50:51], v[42:43], v[8:9]
	v_mul_f64 v[8:9], v[44:45], v[8:9]
	s_delay_alu instid0(VALU_DEP_4) | instskip(NEXT) | instid1(VALU_DEP_4)
	v_fma_f64 v[48:49], v[38:39], v[2:3], -v[48:49]
	v_fma_f64 v[164:165], v[40:41], v[2:3], v[4:5]
	ds_load_b128 v[2:5], v1 offset:1600
	ds_load_b128 v[38:41], v1 offset:1616
	v_fma_f64 v[44:45], v[44:45], v[6:7], v[50:51]
	v_fma_f64 v[6:7], v[42:43], v[6:7], -v[8:9]
	s_waitcnt vmcnt(8) lgkmcnt(1)
	v_mul_f64 v[168:169], v[2:3], v[12:13]
	v_mul_f64 v[12:13], v[4:5], v[12:13]
	v_add_f64 v[8:9], v[48:49], 0
	v_add_f64 v[42:43], v[164:165], 0
	s_waitcnt vmcnt(7) lgkmcnt(0)
	v_mul_f64 v[48:49], v[38:39], v[16:17]
	v_mul_f64 v[16:17], v[40:41], v[16:17]
	v_fma_f64 v[50:51], v[4:5], v[10:11], v[168:169]
	v_fma_f64 v[10:11], v[2:3], v[10:11], -v[12:13]
	v_add_f64 v[12:13], v[8:9], v[6:7]
	v_add_f64 v[42:43], v[42:43], v[44:45]
	ds_load_b128 v[2:5], v1 offset:1632
	ds_load_b128 v[6:9], v1 offset:1648
	v_fma_f64 v[40:41], v[40:41], v[14:15], v[48:49]
	v_fma_f64 v[14:15], v[38:39], v[14:15], -v[16:17]
	s_waitcnt vmcnt(6) lgkmcnt(1)
	v_mul_f64 v[44:45], v[2:3], v[20:21]
	v_mul_f64 v[20:21], v[4:5], v[20:21]
	s_waitcnt vmcnt(5) lgkmcnt(0)
	v_mul_f64 v[16:17], v[6:7], v[24:25]
	v_mul_f64 v[24:25], v[8:9], v[24:25]
	v_add_f64 v[10:11], v[12:13], v[10:11]
	v_add_f64 v[12:13], v[42:43], v[50:51]
	v_fma_f64 v[38:39], v[4:5], v[18:19], v[44:45]
	v_fma_f64 v[18:19], v[2:3], v[18:19], -v[20:21]
	v_fma_f64 v[8:9], v[8:9], v[22:23], v[16:17]
	v_fma_f64 v[6:7], v[6:7], v[22:23], -v[24:25]
	v_add_f64 v[14:15], v[10:11], v[14:15]
	v_add_f64 v[20:21], v[12:13], v[40:41]
	ds_load_b128 v[2:5], v1 offset:1664
	ds_load_b128 v[10:13], v1 offset:1680
	s_waitcnt vmcnt(4) lgkmcnt(1)
	v_mul_f64 v[40:41], v[2:3], v[28:29]
	v_mul_f64 v[28:29], v[4:5], v[28:29]
	v_add_f64 v[14:15], v[14:15], v[18:19]
	v_add_f64 v[16:17], v[20:21], v[38:39]
	s_waitcnt vmcnt(3) lgkmcnt(0)
	v_mul_f64 v[18:19], v[10:11], v[32:33]
	v_mul_f64 v[20:21], v[12:13], v[32:33]
	v_fma_f64 v[22:23], v[4:5], v[26:27], v[40:41]
	v_fma_f64 v[24:25], v[2:3], v[26:27], -v[28:29]
	v_add_f64 v[14:15], v[14:15], v[6:7]
	v_add_f64 v[16:17], v[16:17], v[8:9]
	ds_load_b128 v[2:5], v1 offset:1696
	ds_load_b128 v[6:9], v1 offset:1712
	v_fma_f64 v[12:13], v[12:13], v[30:31], v[18:19]
	v_fma_f64 v[10:11], v[10:11], v[30:31], -v[20:21]
	s_waitcnt vmcnt(2) lgkmcnt(1)
	v_mul_f64 v[26:27], v[2:3], v[36:37]
	v_mul_f64 v[28:29], v[4:5], v[36:37]
	s_waitcnt vmcnt(0) lgkmcnt(0)
	v_mul_f64 v[18:19], v[6:7], v[173:174]
	v_mul_f64 v[20:21], v[8:9], v[173:174]
	v_add_f64 v[14:15], v[14:15], v[24:25]
	v_add_f64 v[16:17], v[16:17], v[22:23]
	v_fma_f64 v[4:5], v[4:5], v[34:35], v[26:27]
	v_fma_f64 v[1:2], v[2:3], v[34:35], -v[28:29]
	v_fma_f64 v[8:9], v[8:9], v[171:172], v[18:19]
	v_fma_f64 v[6:7], v[6:7], v[171:172], -v[20:21]
	v_add_f64 v[10:11], v[14:15], v[10:11]
	v_add_f64 v[12:13], v[16:17], v[12:13]
	s_delay_alu instid0(VALU_DEP_2) | instskip(NEXT) | instid1(VALU_DEP_2)
	v_add_f64 v[1:2], v[10:11], v[1:2]
	v_add_f64 v[3:4], v[12:13], v[4:5]
	s_delay_alu instid0(VALU_DEP_2) | instskip(NEXT) | instid1(VALU_DEP_2)
	;; [unrolled: 3-line block ×3, first 2 shown]
	v_add_f64 v[1:2], v[157:158], -v[1:2]
	v_add_f64 v[3:4], v[159:160], -v[3:4]
	scratch_store_b128 off, v[1:4], off offset:688
	v_cmpx_lt_u32_e32 42, v154
	s_cbranch_execz .LBB53_253
; %bb.252:
	scratch_load_b128 v[1:4], v213, off
	v_mov_b32_e32 v5, 0
	s_delay_alu instid0(VALU_DEP_1)
	v_mov_b32_e32 v6, v5
	v_mov_b32_e32 v7, v5
	;; [unrolled: 1-line block ×3, first 2 shown]
	scratch_store_b128 off, v[5:8], off offset:672
	s_waitcnt vmcnt(0)
	ds_store_b128 v208, v[1:4]
.LBB53_253:
	s_or_b32 exec_lo, exec_lo, s2
	s_waitcnt lgkmcnt(0)
	s_waitcnt_vscnt null, 0x0
	s_barrier
	buffer_gl0_inv
	s_clause 0x7
	scratch_load_b128 v[2:5], off, off offset:688
	scratch_load_b128 v[6:9], off, off offset:704
	;; [unrolled: 1-line block ×8, first 2 shown]
	v_mov_b32_e32 v1, 0
	s_mov_b32 s2, exec_lo
	ds_load_b128 v[34:37], v1 offset:1552
	s_clause 0x1
	scratch_load_b128 v[38:41], off, off offset:816
	scratch_load_b128 v[42:45], off, off offset:672
	ds_load_b128 v[157:160], v1 offset:1568
	scratch_load_b128 v[171:174], off, off offset:832
	ds_load_b128 v[220:223], v1 offset:1600
	s_waitcnt vmcnt(10) lgkmcnt(2)
	v_mul_f64 v[48:49], v[36:37], v[4:5]
	v_mul_f64 v[4:5], v[34:35], v[4:5]
	s_delay_alu instid0(VALU_DEP_2) | instskip(NEXT) | instid1(VALU_DEP_2)
	v_fma_f64 v[48:49], v[34:35], v[2:3], -v[48:49]
	v_fma_f64 v[164:165], v[36:37], v[2:3], v[4:5]
	scratch_load_b128 v[34:37], off, off offset:848
	ds_load_b128 v[2:5], v1 offset:1584
	s_waitcnt vmcnt(10) lgkmcnt(2)
	v_mul_f64 v[50:51], v[157:158], v[8:9]
	v_mul_f64 v[8:9], v[159:160], v[8:9]
	s_waitcnt vmcnt(9) lgkmcnt(0)
	v_mul_f64 v[168:169], v[2:3], v[12:13]
	v_mul_f64 v[12:13], v[4:5], v[12:13]
	s_delay_alu instid0(VALU_DEP_4) | instskip(NEXT) | instid1(VALU_DEP_4)
	v_fma_f64 v[50:51], v[159:160], v[6:7], v[50:51]
	v_fma_f64 v[6:7], v[157:158], v[6:7], -v[8:9]
	v_add_f64 v[8:9], v[48:49], 0
	v_add_f64 v[48:49], v[164:165], 0
	s_waitcnt vmcnt(8)
	v_mul_f64 v[157:158], v[220:221], v[16:17]
	v_mul_f64 v[16:17], v[222:223], v[16:17]
	v_fma_f64 v[159:160], v[4:5], v[10:11], v[168:169]
	v_fma_f64 v[10:11], v[2:3], v[10:11], -v[12:13]
	v_add_f64 v[12:13], v[8:9], v[6:7]
	v_add_f64 v[48:49], v[48:49], v[50:51]
	ds_load_b128 v[2:5], v1 offset:1616
	ds_load_b128 v[6:9], v1 offset:1632
	v_fma_f64 v[157:158], v[222:223], v[14:15], v[157:158]
	v_fma_f64 v[14:15], v[220:221], v[14:15], -v[16:17]
	s_waitcnt vmcnt(7) lgkmcnt(1)
	v_mul_f64 v[50:51], v[2:3], v[20:21]
	v_mul_f64 v[20:21], v[4:5], v[20:21]
	s_waitcnt vmcnt(6) lgkmcnt(0)
	v_mul_f64 v[16:17], v[6:7], v[24:25]
	v_mul_f64 v[24:25], v[8:9], v[24:25]
	v_add_f64 v[10:11], v[12:13], v[10:11]
	v_add_f64 v[12:13], v[48:49], v[159:160]
	v_fma_f64 v[48:49], v[4:5], v[18:19], v[50:51]
	v_fma_f64 v[18:19], v[2:3], v[18:19], -v[20:21]
	v_fma_f64 v[8:9], v[8:9], v[22:23], v[16:17]
	v_fma_f64 v[6:7], v[6:7], v[22:23], -v[24:25]
	v_add_f64 v[14:15], v[10:11], v[14:15]
	v_add_f64 v[20:21], v[12:13], v[157:158]
	ds_load_b128 v[2:5], v1 offset:1648
	ds_load_b128 v[10:13], v1 offset:1664
	s_waitcnt vmcnt(5) lgkmcnt(1)
	v_mul_f64 v[50:51], v[2:3], v[28:29]
	v_mul_f64 v[28:29], v[4:5], v[28:29]
	v_add_f64 v[14:15], v[14:15], v[18:19]
	v_add_f64 v[16:17], v[20:21], v[48:49]
	s_waitcnt vmcnt(4) lgkmcnt(0)
	v_mul_f64 v[18:19], v[10:11], v[32:33]
	v_mul_f64 v[20:21], v[12:13], v[32:33]
	v_fma_f64 v[22:23], v[4:5], v[26:27], v[50:51]
	v_fma_f64 v[24:25], v[2:3], v[26:27], -v[28:29]
	v_add_f64 v[14:15], v[14:15], v[6:7]
	v_add_f64 v[16:17], v[16:17], v[8:9]
	ds_load_b128 v[2:5], v1 offset:1680
	ds_load_b128 v[6:9], v1 offset:1696
	v_fma_f64 v[12:13], v[12:13], v[30:31], v[18:19]
	v_fma_f64 v[10:11], v[10:11], v[30:31], -v[20:21]
	s_waitcnt vmcnt(3) lgkmcnt(1)
	v_mul_f64 v[26:27], v[2:3], v[40:41]
	v_mul_f64 v[28:29], v[4:5], v[40:41]
	s_waitcnt vmcnt(1) lgkmcnt(0)
	v_mul_f64 v[18:19], v[6:7], v[173:174]
	v_mul_f64 v[20:21], v[8:9], v[173:174]
	v_add_f64 v[14:15], v[14:15], v[24:25]
	v_add_f64 v[16:17], v[16:17], v[22:23]
	v_fma_f64 v[22:23], v[4:5], v[38:39], v[26:27]
	v_fma_f64 v[24:25], v[2:3], v[38:39], -v[28:29]
	ds_load_b128 v[2:5], v1 offset:1712
	v_fma_f64 v[8:9], v[8:9], v[171:172], v[18:19]
	v_fma_f64 v[6:7], v[6:7], v[171:172], -v[20:21]
	v_add_f64 v[10:11], v[14:15], v[10:11]
	v_add_f64 v[12:13], v[16:17], v[12:13]
	s_waitcnt vmcnt(0) lgkmcnt(0)
	v_mul_f64 v[14:15], v[2:3], v[36:37]
	v_mul_f64 v[16:17], v[4:5], v[36:37]
	s_delay_alu instid0(VALU_DEP_4) | instskip(NEXT) | instid1(VALU_DEP_4)
	v_add_f64 v[10:11], v[10:11], v[24:25]
	v_add_f64 v[12:13], v[12:13], v[22:23]
	s_delay_alu instid0(VALU_DEP_4) | instskip(NEXT) | instid1(VALU_DEP_4)
	v_fma_f64 v[4:5], v[4:5], v[34:35], v[14:15]
	v_fma_f64 v[2:3], v[2:3], v[34:35], -v[16:17]
	s_delay_alu instid0(VALU_DEP_4) | instskip(NEXT) | instid1(VALU_DEP_4)
	v_add_f64 v[6:7], v[10:11], v[6:7]
	v_add_f64 v[8:9], v[12:13], v[8:9]
	s_delay_alu instid0(VALU_DEP_2) | instskip(NEXT) | instid1(VALU_DEP_2)
	v_add_f64 v[2:3], v[6:7], v[2:3]
	v_add_f64 v[4:5], v[8:9], v[4:5]
	s_delay_alu instid0(VALU_DEP_2) | instskip(NEXT) | instid1(VALU_DEP_2)
	v_add_f64 v[2:3], v[42:43], -v[2:3]
	v_add_f64 v[4:5], v[44:45], -v[4:5]
	scratch_store_b128 off, v[2:5], off offset:672
	v_cmpx_lt_u32_e32 41, v154
	s_cbranch_execz .LBB53_255
; %bb.254:
	scratch_load_b128 v[5:8], v214, off
	v_mov_b32_e32 v2, v1
	v_mov_b32_e32 v3, v1
	;; [unrolled: 1-line block ×3, first 2 shown]
	scratch_store_b128 off, v[1:4], off offset:656
	s_waitcnt vmcnt(0)
	ds_store_b128 v208, v[5:8]
.LBB53_255:
	s_or_b32 exec_lo, exec_lo, s2
	s_waitcnt lgkmcnt(0)
	s_waitcnt_vscnt null, 0x0
	s_barrier
	buffer_gl0_inv
	s_clause 0x8
	scratch_load_b128 v[2:5], off, off offset:672
	scratch_load_b128 v[6:9], off, off offset:688
	;; [unrolled: 1-line block ×9, first 2 shown]
	ds_load_b128 v[38:41], v1 offset:1536
	ds_load_b128 v[42:45], v1 offset:1552
	s_clause 0x1
	scratch_load_b128 v[157:160], off, off offset:656
	scratch_load_b128 v[171:174], off, off offset:816
	s_mov_b32 s2, exec_lo
	ds_load_b128 v[220:223], v1 offset:1584
	s_waitcnt vmcnt(10) lgkmcnt(2)
	v_mul_f64 v[48:49], v[40:41], v[4:5]
	v_mul_f64 v[4:5], v[38:39], v[4:5]
	s_waitcnt vmcnt(9) lgkmcnt(1)
	v_mul_f64 v[50:51], v[42:43], v[8:9]
	v_mul_f64 v[8:9], v[44:45], v[8:9]
	s_delay_alu instid0(VALU_DEP_4) | instskip(NEXT) | instid1(VALU_DEP_4)
	v_fma_f64 v[48:49], v[38:39], v[2:3], -v[48:49]
	v_fma_f64 v[164:165], v[40:41], v[2:3], v[4:5]
	ds_load_b128 v[2:5], v1 offset:1568
	scratch_load_b128 v[38:41], off, off offset:832
	v_fma_f64 v[44:45], v[44:45], v[6:7], v[50:51]
	v_fma_f64 v[42:43], v[42:43], v[6:7], -v[8:9]
	scratch_load_b128 v[6:9], off, off offset:848
	s_waitcnt vmcnt(10) lgkmcnt(0)
	v_mul_f64 v[168:169], v[2:3], v[12:13]
	v_mul_f64 v[12:13], v[4:5], v[12:13]
	v_add_f64 v[48:49], v[48:49], 0
	v_add_f64 v[50:51], v[164:165], 0
	s_waitcnt vmcnt(9)
	v_mul_f64 v[164:165], v[220:221], v[16:17]
	v_mul_f64 v[16:17], v[222:223], v[16:17]
	v_fma_f64 v[168:169], v[4:5], v[10:11], v[168:169]
	v_fma_f64 v[226:227], v[2:3], v[10:11], -v[12:13]
	ds_load_b128 v[2:5], v1 offset:1600
	ds_load_b128 v[10:13], v1 offset:1616
	v_add_f64 v[42:43], v[48:49], v[42:43]
	v_add_f64 v[44:45], v[50:51], v[44:45]
	v_fma_f64 v[50:51], v[222:223], v[14:15], v[164:165]
	v_fma_f64 v[14:15], v[220:221], v[14:15], -v[16:17]
	s_waitcnt vmcnt(8) lgkmcnt(1)
	v_mul_f64 v[48:49], v[2:3], v[20:21]
	v_mul_f64 v[20:21], v[4:5], v[20:21]
	v_add_f64 v[16:17], v[42:43], v[226:227]
	v_add_f64 v[42:43], v[44:45], v[168:169]
	s_waitcnt vmcnt(7) lgkmcnt(0)
	v_mul_f64 v[44:45], v[10:11], v[24:25]
	v_mul_f64 v[24:25], v[12:13], v[24:25]
	v_fma_f64 v[48:49], v[4:5], v[18:19], v[48:49]
	v_fma_f64 v[18:19], v[2:3], v[18:19], -v[20:21]
	v_add_f64 v[20:21], v[16:17], v[14:15]
	v_add_f64 v[42:43], v[42:43], v[50:51]
	ds_load_b128 v[2:5], v1 offset:1632
	ds_load_b128 v[14:17], v1 offset:1648
	v_fma_f64 v[12:13], v[12:13], v[22:23], v[44:45]
	v_fma_f64 v[10:11], v[10:11], v[22:23], -v[24:25]
	s_waitcnt vmcnt(6) lgkmcnt(1)
	v_mul_f64 v[50:51], v[2:3], v[28:29]
	v_mul_f64 v[28:29], v[4:5], v[28:29]
	s_waitcnt vmcnt(5) lgkmcnt(0)
	v_mul_f64 v[22:23], v[14:15], v[32:33]
	v_mul_f64 v[24:25], v[16:17], v[32:33]
	v_add_f64 v[18:19], v[20:21], v[18:19]
	v_add_f64 v[20:21], v[42:43], v[48:49]
	v_fma_f64 v[32:33], v[4:5], v[26:27], v[50:51]
	v_fma_f64 v[26:27], v[2:3], v[26:27], -v[28:29]
	v_fma_f64 v[16:17], v[16:17], v[30:31], v[22:23]
	v_fma_f64 v[14:15], v[14:15], v[30:31], -v[24:25]
	v_add_f64 v[18:19], v[18:19], v[10:11]
	v_add_f64 v[20:21], v[20:21], v[12:13]
	ds_load_b128 v[2:5], v1 offset:1664
	ds_load_b128 v[10:13], v1 offset:1680
	s_waitcnt vmcnt(4) lgkmcnt(1)
	v_mul_f64 v[28:29], v[2:3], v[36:37]
	v_mul_f64 v[36:37], v[4:5], v[36:37]
	s_waitcnt vmcnt(2) lgkmcnt(0)
	v_mul_f64 v[22:23], v[10:11], v[173:174]
	v_mul_f64 v[24:25], v[12:13], v[173:174]
	v_add_f64 v[18:19], v[18:19], v[26:27]
	v_add_f64 v[20:21], v[20:21], v[32:33]
	v_fma_f64 v[26:27], v[4:5], v[34:35], v[28:29]
	v_fma_f64 v[28:29], v[2:3], v[34:35], -v[36:37]
	v_fma_f64 v[12:13], v[12:13], v[171:172], v[22:23]
	v_fma_f64 v[10:11], v[10:11], v[171:172], -v[24:25]
	v_add_f64 v[18:19], v[18:19], v[14:15]
	v_add_f64 v[20:21], v[20:21], v[16:17]
	ds_load_b128 v[2:5], v1 offset:1696
	ds_load_b128 v[14:17], v1 offset:1712
	s_waitcnt vmcnt(1) lgkmcnt(1)
	v_mul_f64 v[30:31], v[2:3], v[40:41]
	v_mul_f64 v[32:33], v[4:5], v[40:41]
	s_waitcnt vmcnt(0) lgkmcnt(0)
	v_mul_f64 v[22:23], v[14:15], v[8:9]
	v_mul_f64 v[8:9], v[16:17], v[8:9]
	v_add_f64 v[18:19], v[18:19], v[28:29]
	v_add_f64 v[20:21], v[20:21], v[26:27]
	v_fma_f64 v[4:5], v[4:5], v[38:39], v[30:31]
	v_fma_f64 v[1:2], v[2:3], v[38:39], -v[32:33]
	v_fma_f64 v[16:17], v[16:17], v[6:7], v[22:23]
	v_fma_f64 v[6:7], v[14:15], v[6:7], -v[8:9]
	v_add_f64 v[10:11], v[18:19], v[10:11]
	v_add_f64 v[12:13], v[20:21], v[12:13]
	s_delay_alu instid0(VALU_DEP_2) | instskip(NEXT) | instid1(VALU_DEP_2)
	v_add_f64 v[1:2], v[10:11], v[1:2]
	v_add_f64 v[3:4], v[12:13], v[4:5]
	s_delay_alu instid0(VALU_DEP_2) | instskip(NEXT) | instid1(VALU_DEP_2)
	;; [unrolled: 3-line block ×3, first 2 shown]
	v_add_f64 v[1:2], v[157:158], -v[1:2]
	v_add_f64 v[3:4], v[159:160], -v[3:4]
	scratch_store_b128 off, v[1:4], off offset:656
	v_cmpx_lt_u32_e32 40, v154
	s_cbranch_execz .LBB53_257
; %bb.256:
	scratch_load_b128 v[1:4], v215, off
	v_mov_b32_e32 v5, 0
	s_delay_alu instid0(VALU_DEP_1)
	v_mov_b32_e32 v6, v5
	v_mov_b32_e32 v7, v5
	;; [unrolled: 1-line block ×3, first 2 shown]
	scratch_store_b128 off, v[5:8], off offset:640
	s_waitcnt vmcnt(0)
	ds_store_b128 v208, v[1:4]
.LBB53_257:
	s_or_b32 exec_lo, exec_lo, s2
	s_waitcnt lgkmcnt(0)
	s_waitcnt_vscnt null, 0x0
	s_barrier
	buffer_gl0_inv
	s_clause 0x7
	scratch_load_b128 v[2:5], off, off offset:656
	scratch_load_b128 v[6:9], off, off offset:672
	;; [unrolled: 1-line block ×8, first 2 shown]
	v_mov_b32_e32 v1, 0
	s_mov_b32 s2, exec_lo
	ds_load_b128 v[34:37], v1 offset:1520
	s_clause 0x1
	scratch_load_b128 v[38:41], off, off offset:784
	scratch_load_b128 v[42:45], off, off offset:640
	ds_load_b128 v[157:160], v1 offset:1536
	scratch_load_b128 v[171:174], off, off offset:800
	ds_load_b128 v[220:223], v1 offset:1568
	s_waitcnt vmcnt(10) lgkmcnt(2)
	v_mul_f64 v[48:49], v[36:37], v[4:5]
	v_mul_f64 v[4:5], v[34:35], v[4:5]
	s_delay_alu instid0(VALU_DEP_2) | instskip(NEXT) | instid1(VALU_DEP_2)
	v_fma_f64 v[48:49], v[34:35], v[2:3], -v[48:49]
	v_fma_f64 v[164:165], v[36:37], v[2:3], v[4:5]
	ds_load_b128 v[2:5], v1 offset:1552
	s_waitcnt vmcnt(9) lgkmcnt(2)
	v_mul_f64 v[50:51], v[157:158], v[8:9]
	v_mul_f64 v[8:9], v[159:160], v[8:9]
	scratch_load_b128 v[34:37], off, off offset:816
	s_waitcnt vmcnt(9) lgkmcnt(0)
	v_mul_f64 v[168:169], v[2:3], v[12:13]
	v_mul_f64 v[12:13], v[4:5], v[12:13]
	v_add_f64 v[48:49], v[48:49], 0
	v_fma_f64 v[50:51], v[159:160], v[6:7], v[50:51]
	v_fma_f64 v[157:158], v[157:158], v[6:7], -v[8:9]
	v_add_f64 v[159:160], v[164:165], 0
	scratch_load_b128 v[6:9], off, off offset:832
	v_fma_f64 v[168:169], v[4:5], v[10:11], v[168:169]
	v_fma_f64 v[226:227], v[2:3], v[10:11], -v[12:13]
	scratch_load_b128 v[10:13], off, off offset:848
	ds_load_b128 v[2:5], v1 offset:1584
	s_waitcnt vmcnt(10)
	v_mul_f64 v[164:165], v[220:221], v[16:17]
	v_mul_f64 v[16:17], v[222:223], v[16:17]
	v_add_f64 v[48:49], v[48:49], v[157:158]
	v_add_f64 v[50:51], v[159:160], v[50:51]
	ds_load_b128 v[157:160], v1 offset:1600
	s_waitcnt vmcnt(9) lgkmcnt(1)
	v_mul_f64 v[228:229], v[2:3], v[20:21]
	v_mul_f64 v[20:21], v[4:5], v[20:21]
	v_fma_f64 v[164:165], v[222:223], v[14:15], v[164:165]
	v_fma_f64 v[14:15], v[220:221], v[14:15], -v[16:17]
	v_add_f64 v[16:17], v[48:49], v[226:227]
	v_add_f64 v[48:49], v[50:51], v[168:169]
	s_waitcnt vmcnt(8) lgkmcnt(0)
	v_mul_f64 v[50:51], v[157:158], v[24:25]
	v_mul_f64 v[24:25], v[159:160], v[24:25]
	v_fma_f64 v[168:169], v[4:5], v[18:19], v[228:229]
	v_fma_f64 v[18:19], v[2:3], v[18:19], -v[20:21]
	v_add_f64 v[20:21], v[16:17], v[14:15]
	v_add_f64 v[48:49], v[48:49], v[164:165]
	ds_load_b128 v[2:5], v1 offset:1616
	ds_load_b128 v[14:17], v1 offset:1632
	v_fma_f64 v[50:51], v[159:160], v[22:23], v[50:51]
	v_fma_f64 v[22:23], v[157:158], v[22:23], -v[24:25]
	s_waitcnt vmcnt(7) lgkmcnt(1)
	v_mul_f64 v[164:165], v[2:3], v[28:29]
	v_mul_f64 v[28:29], v[4:5], v[28:29]
	s_waitcnt vmcnt(6) lgkmcnt(0)
	v_mul_f64 v[24:25], v[14:15], v[32:33]
	v_mul_f64 v[32:33], v[16:17], v[32:33]
	v_add_f64 v[18:19], v[20:21], v[18:19]
	v_add_f64 v[20:21], v[48:49], v[168:169]
	v_fma_f64 v[48:49], v[4:5], v[26:27], v[164:165]
	v_fma_f64 v[26:27], v[2:3], v[26:27], -v[28:29]
	v_fma_f64 v[16:17], v[16:17], v[30:31], v[24:25]
	v_fma_f64 v[14:15], v[14:15], v[30:31], -v[32:33]
	v_add_f64 v[22:23], v[18:19], v[22:23]
	v_add_f64 v[28:29], v[20:21], v[50:51]
	ds_load_b128 v[2:5], v1 offset:1648
	ds_load_b128 v[18:21], v1 offset:1664
	s_waitcnt vmcnt(5) lgkmcnt(1)
	v_mul_f64 v[50:51], v[2:3], v[40:41]
	v_mul_f64 v[40:41], v[4:5], v[40:41]
	v_add_f64 v[22:23], v[22:23], v[26:27]
	v_add_f64 v[24:25], v[28:29], v[48:49]
	s_waitcnt vmcnt(3) lgkmcnt(0)
	v_mul_f64 v[26:27], v[18:19], v[173:174]
	v_mul_f64 v[28:29], v[20:21], v[173:174]
	v_fma_f64 v[30:31], v[4:5], v[38:39], v[50:51]
	v_fma_f64 v[32:33], v[2:3], v[38:39], -v[40:41]
	v_add_f64 v[22:23], v[22:23], v[14:15]
	v_add_f64 v[24:25], v[24:25], v[16:17]
	ds_load_b128 v[2:5], v1 offset:1680
	ds_load_b128 v[14:17], v1 offset:1696
	v_fma_f64 v[20:21], v[20:21], v[171:172], v[26:27]
	v_fma_f64 v[18:19], v[18:19], v[171:172], -v[28:29]
	s_waitcnt vmcnt(2) lgkmcnt(1)
	v_mul_f64 v[38:39], v[2:3], v[36:37]
	v_mul_f64 v[36:37], v[4:5], v[36:37]
	v_add_f64 v[22:23], v[22:23], v[32:33]
	v_add_f64 v[24:25], v[24:25], v[30:31]
	s_waitcnt vmcnt(1) lgkmcnt(0)
	v_mul_f64 v[26:27], v[14:15], v[8:9]
	v_mul_f64 v[8:9], v[16:17], v[8:9]
	v_fma_f64 v[28:29], v[4:5], v[34:35], v[38:39]
	v_fma_f64 v[30:31], v[2:3], v[34:35], -v[36:37]
	ds_load_b128 v[2:5], v1 offset:1712
	v_add_f64 v[18:19], v[22:23], v[18:19]
	v_add_f64 v[20:21], v[24:25], v[20:21]
	s_waitcnt vmcnt(0) lgkmcnt(0)
	v_mul_f64 v[22:23], v[2:3], v[12:13]
	v_mul_f64 v[12:13], v[4:5], v[12:13]
	v_fma_f64 v[16:17], v[16:17], v[6:7], v[26:27]
	v_fma_f64 v[6:7], v[14:15], v[6:7], -v[8:9]
	v_add_f64 v[8:9], v[18:19], v[30:31]
	v_add_f64 v[14:15], v[20:21], v[28:29]
	v_fma_f64 v[4:5], v[4:5], v[10:11], v[22:23]
	v_fma_f64 v[2:3], v[2:3], v[10:11], -v[12:13]
	s_delay_alu instid0(VALU_DEP_4) | instskip(NEXT) | instid1(VALU_DEP_4)
	v_add_f64 v[6:7], v[8:9], v[6:7]
	v_add_f64 v[8:9], v[14:15], v[16:17]
	s_delay_alu instid0(VALU_DEP_2) | instskip(NEXT) | instid1(VALU_DEP_2)
	v_add_f64 v[2:3], v[6:7], v[2:3]
	v_add_f64 v[4:5], v[8:9], v[4:5]
	s_delay_alu instid0(VALU_DEP_2) | instskip(NEXT) | instid1(VALU_DEP_2)
	v_add_f64 v[2:3], v[42:43], -v[2:3]
	v_add_f64 v[4:5], v[44:45], -v[4:5]
	scratch_store_b128 off, v[2:5], off offset:640
	v_cmpx_lt_u32_e32 39, v154
	s_cbranch_execz .LBB53_259
; %bb.258:
	scratch_load_b128 v[5:8], v216, off
	v_mov_b32_e32 v2, v1
	v_mov_b32_e32 v3, v1
	;; [unrolled: 1-line block ×3, first 2 shown]
	scratch_store_b128 off, v[1:4], off offset:624
	s_waitcnt vmcnt(0)
	ds_store_b128 v208, v[5:8]
.LBB53_259:
	s_or_b32 exec_lo, exec_lo, s2
	s_waitcnt lgkmcnt(0)
	s_waitcnt_vscnt null, 0x0
	s_barrier
	buffer_gl0_inv
	s_clause 0x8
	scratch_load_b128 v[2:5], off, off offset:640
	scratch_load_b128 v[6:9], off, off offset:656
	;; [unrolled: 1-line block ×9, first 2 shown]
	ds_load_b128 v[38:41], v1 offset:1504
	ds_load_b128 v[42:45], v1 offset:1520
	s_clause 0x1
	scratch_load_b128 v[157:160], off, off offset:624
	scratch_load_b128 v[171:174], off, off offset:784
	s_mov_b32 s2, exec_lo
	ds_load_b128 v[220:223], v1 offset:1552
	s_waitcnt vmcnt(10) lgkmcnt(2)
	v_mul_f64 v[48:49], v[40:41], v[4:5]
	v_mul_f64 v[4:5], v[38:39], v[4:5]
	s_waitcnt vmcnt(9) lgkmcnt(1)
	v_mul_f64 v[50:51], v[42:43], v[8:9]
	v_mul_f64 v[8:9], v[44:45], v[8:9]
	s_delay_alu instid0(VALU_DEP_4) | instskip(NEXT) | instid1(VALU_DEP_4)
	v_fma_f64 v[48:49], v[38:39], v[2:3], -v[48:49]
	v_fma_f64 v[164:165], v[40:41], v[2:3], v[4:5]
	ds_load_b128 v[2:5], v1 offset:1536
	scratch_load_b128 v[38:41], off, off offset:800
	v_fma_f64 v[44:45], v[44:45], v[6:7], v[50:51]
	v_fma_f64 v[42:43], v[42:43], v[6:7], -v[8:9]
	scratch_load_b128 v[6:9], off, off offset:816
	s_waitcnt vmcnt(10) lgkmcnt(0)
	v_mul_f64 v[168:169], v[2:3], v[12:13]
	v_mul_f64 v[12:13], v[4:5], v[12:13]
	v_add_f64 v[48:49], v[48:49], 0
	v_add_f64 v[50:51], v[164:165], 0
	s_waitcnt vmcnt(9)
	v_mul_f64 v[164:165], v[220:221], v[16:17]
	v_mul_f64 v[16:17], v[222:223], v[16:17]
	v_fma_f64 v[168:169], v[4:5], v[10:11], v[168:169]
	v_fma_f64 v[226:227], v[2:3], v[10:11], -v[12:13]
	ds_load_b128 v[2:5], v1 offset:1568
	scratch_load_b128 v[10:13], off, off offset:832
	v_add_f64 v[48:49], v[48:49], v[42:43]
	v_add_f64 v[50:51], v[50:51], v[44:45]
	ds_load_b128 v[42:45], v1 offset:1584
	v_fma_f64 v[164:165], v[222:223], v[14:15], v[164:165]
	v_fma_f64 v[220:221], v[220:221], v[14:15], -v[16:17]
	scratch_load_b128 v[14:17], off, off offset:848
	s_waitcnt vmcnt(10) lgkmcnt(1)
	v_mul_f64 v[228:229], v[2:3], v[20:21]
	v_mul_f64 v[20:21], v[4:5], v[20:21]
	v_add_f64 v[48:49], v[48:49], v[226:227]
	v_add_f64 v[50:51], v[50:51], v[168:169]
	s_waitcnt vmcnt(9) lgkmcnt(0)
	v_mul_f64 v[168:169], v[42:43], v[24:25]
	v_mul_f64 v[24:25], v[44:45], v[24:25]
	v_fma_f64 v[222:223], v[4:5], v[18:19], v[228:229]
	v_fma_f64 v[226:227], v[2:3], v[18:19], -v[20:21]
	ds_load_b128 v[2:5], v1 offset:1600
	ds_load_b128 v[18:21], v1 offset:1616
	v_add_f64 v[48:49], v[48:49], v[220:221]
	v_add_f64 v[50:51], v[50:51], v[164:165]
	s_waitcnt vmcnt(8) lgkmcnt(1)
	v_mul_f64 v[164:165], v[2:3], v[28:29]
	v_mul_f64 v[28:29], v[4:5], v[28:29]
	v_fma_f64 v[44:45], v[44:45], v[22:23], v[168:169]
	v_fma_f64 v[22:23], v[42:43], v[22:23], -v[24:25]
	v_add_f64 v[24:25], v[48:49], v[226:227]
	v_add_f64 v[42:43], v[50:51], v[222:223]
	s_waitcnt vmcnt(7) lgkmcnt(0)
	v_mul_f64 v[48:49], v[18:19], v[32:33]
	v_mul_f64 v[32:33], v[20:21], v[32:33]
	v_fma_f64 v[50:51], v[4:5], v[26:27], v[164:165]
	v_fma_f64 v[26:27], v[2:3], v[26:27], -v[28:29]
	v_add_f64 v[28:29], v[24:25], v[22:23]
	v_add_f64 v[42:43], v[42:43], v[44:45]
	ds_load_b128 v[2:5], v1 offset:1632
	ds_load_b128 v[22:25], v1 offset:1648
	v_fma_f64 v[20:21], v[20:21], v[30:31], v[48:49]
	v_fma_f64 v[18:19], v[18:19], v[30:31], -v[32:33]
	s_waitcnt vmcnt(6) lgkmcnt(1)
	v_mul_f64 v[44:45], v[2:3], v[36:37]
	v_mul_f64 v[36:37], v[4:5], v[36:37]
	s_waitcnt vmcnt(4) lgkmcnt(0)
	v_mul_f64 v[30:31], v[22:23], v[173:174]
	v_mul_f64 v[32:33], v[24:25], v[173:174]
	v_add_f64 v[26:27], v[28:29], v[26:27]
	v_add_f64 v[28:29], v[42:43], v[50:51]
	v_fma_f64 v[42:43], v[4:5], v[34:35], v[44:45]
	v_fma_f64 v[34:35], v[2:3], v[34:35], -v[36:37]
	v_fma_f64 v[24:25], v[24:25], v[171:172], v[30:31]
	v_fma_f64 v[22:23], v[22:23], v[171:172], -v[32:33]
	v_add_f64 v[26:27], v[26:27], v[18:19]
	v_add_f64 v[28:29], v[28:29], v[20:21]
	ds_load_b128 v[2:5], v1 offset:1664
	ds_load_b128 v[18:21], v1 offset:1680
	s_waitcnt vmcnt(3) lgkmcnt(1)
	v_mul_f64 v[36:37], v[2:3], v[40:41]
	v_mul_f64 v[40:41], v[4:5], v[40:41]
	s_waitcnt vmcnt(2) lgkmcnt(0)
	v_mul_f64 v[30:31], v[18:19], v[8:9]
	v_mul_f64 v[8:9], v[20:21], v[8:9]
	v_add_f64 v[26:27], v[26:27], v[34:35]
	v_add_f64 v[28:29], v[28:29], v[42:43]
	v_fma_f64 v[32:33], v[4:5], v[38:39], v[36:37]
	v_fma_f64 v[34:35], v[2:3], v[38:39], -v[40:41]
	v_fma_f64 v[20:21], v[20:21], v[6:7], v[30:31]
	v_fma_f64 v[6:7], v[18:19], v[6:7], -v[8:9]
	v_add_f64 v[26:27], v[26:27], v[22:23]
	v_add_f64 v[28:29], v[28:29], v[24:25]
	ds_load_b128 v[2:5], v1 offset:1696
	ds_load_b128 v[22:25], v1 offset:1712
	s_waitcnt vmcnt(1) lgkmcnt(1)
	v_mul_f64 v[36:37], v[2:3], v[12:13]
	v_mul_f64 v[12:13], v[4:5], v[12:13]
	v_add_f64 v[8:9], v[26:27], v[34:35]
	v_add_f64 v[18:19], v[28:29], v[32:33]
	s_waitcnt vmcnt(0) lgkmcnt(0)
	v_mul_f64 v[26:27], v[22:23], v[16:17]
	v_mul_f64 v[16:17], v[24:25], v[16:17]
	v_fma_f64 v[4:5], v[4:5], v[10:11], v[36:37]
	v_fma_f64 v[1:2], v[2:3], v[10:11], -v[12:13]
	v_add_f64 v[6:7], v[8:9], v[6:7]
	v_add_f64 v[8:9], v[18:19], v[20:21]
	v_fma_f64 v[10:11], v[24:25], v[14:15], v[26:27]
	v_fma_f64 v[12:13], v[22:23], v[14:15], -v[16:17]
	s_delay_alu instid0(VALU_DEP_4) | instskip(NEXT) | instid1(VALU_DEP_4)
	v_add_f64 v[1:2], v[6:7], v[1:2]
	v_add_f64 v[3:4], v[8:9], v[4:5]
	s_delay_alu instid0(VALU_DEP_2) | instskip(NEXT) | instid1(VALU_DEP_2)
	v_add_f64 v[1:2], v[1:2], v[12:13]
	v_add_f64 v[3:4], v[3:4], v[10:11]
	s_delay_alu instid0(VALU_DEP_2) | instskip(NEXT) | instid1(VALU_DEP_2)
	v_add_f64 v[1:2], v[157:158], -v[1:2]
	v_add_f64 v[3:4], v[159:160], -v[3:4]
	scratch_store_b128 off, v[1:4], off offset:624
	v_cmpx_lt_u32_e32 38, v154
	s_cbranch_execz .LBB53_261
; %bb.260:
	scratch_load_b128 v[1:4], v217, off
	v_mov_b32_e32 v5, 0
	s_delay_alu instid0(VALU_DEP_1)
	v_mov_b32_e32 v6, v5
	v_mov_b32_e32 v7, v5
	;; [unrolled: 1-line block ×3, first 2 shown]
	scratch_store_b128 off, v[5:8], off offset:608
	s_waitcnt vmcnt(0)
	ds_store_b128 v208, v[1:4]
.LBB53_261:
	s_or_b32 exec_lo, exec_lo, s2
	s_waitcnt lgkmcnt(0)
	s_waitcnt_vscnt null, 0x0
	s_barrier
	buffer_gl0_inv
	s_clause 0x7
	scratch_load_b128 v[2:5], off, off offset:624
	scratch_load_b128 v[6:9], off, off offset:640
	;; [unrolled: 1-line block ×8, first 2 shown]
	v_mov_b32_e32 v1, 0
	s_mov_b32 s2, exec_lo
	ds_load_b128 v[34:37], v1 offset:1488
	s_clause 0x1
	scratch_load_b128 v[38:41], off, off offset:752
	scratch_load_b128 v[42:45], off, off offset:608
	ds_load_b128 v[157:160], v1 offset:1504
	scratch_load_b128 v[171:174], off, off offset:768
	ds_load_b128 v[220:223], v1 offset:1536
	s_waitcnt vmcnt(10) lgkmcnt(2)
	v_mul_f64 v[48:49], v[36:37], v[4:5]
	v_mul_f64 v[4:5], v[34:35], v[4:5]
	s_delay_alu instid0(VALU_DEP_2) | instskip(NEXT) | instid1(VALU_DEP_2)
	v_fma_f64 v[48:49], v[34:35], v[2:3], -v[48:49]
	v_fma_f64 v[164:165], v[36:37], v[2:3], v[4:5]
	ds_load_b128 v[2:5], v1 offset:1520
	s_waitcnt vmcnt(9) lgkmcnt(2)
	v_mul_f64 v[50:51], v[157:158], v[8:9]
	v_mul_f64 v[8:9], v[159:160], v[8:9]
	scratch_load_b128 v[34:37], off, off offset:784
	s_waitcnt vmcnt(9) lgkmcnt(0)
	v_mul_f64 v[168:169], v[2:3], v[12:13]
	v_mul_f64 v[12:13], v[4:5], v[12:13]
	v_add_f64 v[48:49], v[48:49], 0
	v_fma_f64 v[50:51], v[159:160], v[6:7], v[50:51]
	v_fma_f64 v[157:158], v[157:158], v[6:7], -v[8:9]
	v_add_f64 v[159:160], v[164:165], 0
	scratch_load_b128 v[6:9], off, off offset:800
	v_fma_f64 v[168:169], v[4:5], v[10:11], v[168:169]
	v_fma_f64 v[226:227], v[2:3], v[10:11], -v[12:13]
	scratch_load_b128 v[10:13], off, off offset:816
	ds_load_b128 v[2:5], v1 offset:1552
	s_waitcnt vmcnt(10)
	v_mul_f64 v[164:165], v[220:221], v[16:17]
	v_mul_f64 v[16:17], v[222:223], v[16:17]
	v_add_f64 v[48:49], v[48:49], v[157:158]
	v_add_f64 v[50:51], v[159:160], v[50:51]
	ds_load_b128 v[157:160], v1 offset:1568
	s_waitcnt vmcnt(9) lgkmcnt(1)
	v_mul_f64 v[228:229], v[2:3], v[20:21]
	v_mul_f64 v[20:21], v[4:5], v[20:21]
	v_fma_f64 v[164:165], v[222:223], v[14:15], v[164:165]
	v_fma_f64 v[220:221], v[220:221], v[14:15], -v[16:17]
	scratch_load_b128 v[14:17], off, off offset:832
	v_add_f64 v[48:49], v[48:49], v[226:227]
	v_add_f64 v[50:51], v[50:51], v[168:169]
	v_fma_f64 v[226:227], v[4:5], v[18:19], v[228:229]
	v_fma_f64 v[228:229], v[2:3], v[18:19], -v[20:21]
	scratch_load_b128 v[18:21], off, off offset:848
	ds_load_b128 v[2:5], v1 offset:1584
	s_waitcnt vmcnt(10) lgkmcnt(1)
	v_mul_f64 v[168:169], v[157:158], v[24:25]
	v_mul_f64 v[24:25], v[159:160], v[24:25]
	v_add_f64 v[48:49], v[48:49], v[220:221]
	v_add_f64 v[50:51], v[50:51], v[164:165]
	s_waitcnt vmcnt(9) lgkmcnt(0)
	v_mul_f64 v[164:165], v[2:3], v[28:29]
	v_mul_f64 v[28:29], v[4:5], v[28:29]
	ds_load_b128 v[220:223], v1 offset:1600
	v_fma_f64 v[159:160], v[159:160], v[22:23], v[168:169]
	v_fma_f64 v[22:23], v[157:158], v[22:23], -v[24:25]
	v_add_f64 v[24:25], v[48:49], v[228:229]
	v_add_f64 v[48:49], v[50:51], v[226:227]
	s_waitcnt vmcnt(8) lgkmcnt(0)
	v_mul_f64 v[50:51], v[220:221], v[32:33]
	v_mul_f64 v[32:33], v[222:223], v[32:33]
	v_fma_f64 v[157:158], v[4:5], v[26:27], v[164:165]
	v_fma_f64 v[26:27], v[2:3], v[26:27], -v[28:29]
	v_add_f64 v[28:29], v[24:25], v[22:23]
	v_add_f64 v[48:49], v[48:49], v[159:160]
	ds_load_b128 v[2:5], v1 offset:1616
	ds_load_b128 v[22:25], v1 offset:1632
	v_fma_f64 v[50:51], v[222:223], v[30:31], v[50:51]
	v_fma_f64 v[30:31], v[220:221], v[30:31], -v[32:33]
	s_waitcnt vmcnt(7) lgkmcnt(1)
	v_mul_f64 v[159:160], v[2:3], v[40:41]
	v_mul_f64 v[40:41], v[4:5], v[40:41]
	s_waitcnt vmcnt(5) lgkmcnt(0)
	v_mul_f64 v[32:33], v[22:23], v[173:174]
	v_add_f64 v[26:27], v[28:29], v[26:27]
	v_add_f64 v[28:29], v[48:49], v[157:158]
	v_mul_f64 v[48:49], v[24:25], v[173:174]
	v_fma_f64 v[157:158], v[4:5], v[38:39], v[159:160]
	v_fma_f64 v[38:39], v[2:3], v[38:39], -v[40:41]
	v_fma_f64 v[24:25], v[24:25], v[171:172], v[32:33]
	v_add_f64 v[30:31], v[26:27], v[30:31]
	v_add_f64 v[40:41], v[28:29], v[50:51]
	ds_load_b128 v[2:5], v1 offset:1648
	ds_load_b128 v[26:29], v1 offset:1664
	v_fma_f64 v[22:23], v[22:23], v[171:172], -v[48:49]
	s_waitcnt vmcnt(4) lgkmcnt(1)
	v_mul_f64 v[50:51], v[2:3], v[36:37]
	v_mul_f64 v[36:37], v[4:5], v[36:37]
	v_add_f64 v[30:31], v[30:31], v[38:39]
	v_add_f64 v[32:33], v[40:41], v[157:158]
	s_waitcnt vmcnt(3) lgkmcnt(0)
	v_mul_f64 v[38:39], v[26:27], v[8:9]
	v_mul_f64 v[8:9], v[28:29], v[8:9]
	v_fma_f64 v[40:41], v[4:5], v[34:35], v[50:51]
	v_fma_f64 v[34:35], v[2:3], v[34:35], -v[36:37]
	v_add_f64 v[30:31], v[30:31], v[22:23]
	v_add_f64 v[32:33], v[32:33], v[24:25]
	ds_load_b128 v[2:5], v1 offset:1680
	ds_load_b128 v[22:25], v1 offset:1696
	v_fma_f64 v[28:29], v[28:29], v[6:7], v[38:39]
	v_fma_f64 v[6:7], v[26:27], v[6:7], -v[8:9]
	s_waitcnt vmcnt(2) lgkmcnt(1)
	v_mul_f64 v[36:37], v[2:3], v[12:13]
	v_mul_f64 v[12:13], v[4:5], v[12:13]
	v_add_f64 v[8:9], v[30:31], v[34:35]
	v_add_f64 v[26:27], v[32:33], v[40:41]
	s_waitcnt vmcnt(1) lgkmcnt(0)
	v_mul_f64 v[30:31], v[22:23], v[16:17]
	v_mul_f64 v[16:17], v[24:25], v[16:17]
	v_fma_f64 v[32:33], v[4:5], v[10:11], v[36:37]
	v_fma_f64 v[10:11], v[2:3], v[10:11], -v[12:13]
	ds_load_b128 v[2:5], v1 offset:1712
	v_add_f64 v[6:7], v[8:9], v[6:7]
	v_add_f64 v[8:9], v[26:27], v[28:29]
	v_fma_f64 v[24:25], v[24:25], v[14:15], v[30:31]
	v_fma_f64 v[14:15], v[22:23], v[14:15], -v[16:17]
	s_waitcnt vmcnt(0) lgkmcnt(0)
	v_mul_f64 v[12:13], v[2:3], v[20:21]
	v_mul_f64 v[20:21], v[4:5], v[20:21]
	v_add_f64 v[6:7], v[6:7], v[10:11]
	v_add_f64 v[8:9], v[8:9], v[32:33]
	s_delay_alu instid0(VALU_DEP_4) | instskip(NEXT) | instid1(VALU_DEP_4)
	v_fma_f64 v[4:5], v[4:5], v[18:19], v[12:13]
	v_fma_f64 v[2:3], v[2:3], v[18:19], -v[20:21]
	s_delay_alu instid0(VALU_DEP_4) | instskip(NEXT) | instid1(VALU_DEP_4)
	v_add_f64 v[6:7], v[6:7], v[14:15]
	v_add_f64 v[8:9], v[8:9], v[24:25]
	s_delay_alu instid0(VALU_DEP_2) | instskip(NEXT) | instid1(VALU_DEP_2)
	v_add_f64 v[2:3], v[6:7], v[2:3]
	v_add_f64 v[4:5], v[8:9], v[4:5]
	s_delay_alu instid0(VALU_DEP_2) | instskip(NEXT) | instid1(VALU_DEP_2)
	v_add_f64 v[2:3], v[42:43], -v[2:3]
	v_add_f64 v[4:5], v[44:45], -v[4:5]
	scratch_store_b128 off, v[2:5], off offset:608
	v_cmpx_lt_u32_e32 37, v154
	s_cbranch_execz .LBB53_263
; %bb.262:
	scratch_load_b128 v[5:8], v218, off
	v_mov_b32_e32 v2, v1
	v_mov_b32_e32 v3, v1
	;; [unrolled: 1-line block ×3, first 2 shown]
	scratch_store_b128 off, v[1:4], off offset:592
	s_waitcnt vmcnt(0)
	ds_store_b128 v208, v[5:8]
.LBB53_263:
	s_or_b32 exec_lo, exec_lo, s2
	s_waitcnt lgkmcnt(0)
	s_waitcnt_vscnt null, 0x0
	s_barrier
	buffer_gl0_inv
	s_clause 0x8
	scratch_load_b128 v[2:5], off, off offset:608
	scratch_load_b128 v[6:9], off, off offset:624
	;; [unrolled: 1-line block ×9, first 2 shown]
	ds_load_b128 v[38:41], v1 offset:1472
	ds_load_b128 v[42:45], v1 offset:1488
	s_clause 0x1
	scratch_load_b128 v[157:160], off, off offset:592
	scratch_load_b128 v[171:174], off, off offset:752
	s_mov_b32 s2, exec_lo
	ds_load_b128 v[220:223], v1 offset:1520
	s_waitcnt vmcnt(10) lgkmcnt(2)
	v_mul_f64 v[48:49], v[40:41], v[4:5]
	v_mul_f64 v[4:5], v[38:39], v[4:5]
	s_waitcnt vmcnt(9) lgkmcnt(1)
	v_mul_f64 v[50:51], v[42:43], v[8:9]
	v_mul_f64 v[8:9], v[44:45], v[8:9]
	s_delay_alu instid0(VALU_DEP_4) | instskip(NEXT) | instid1(VALU_DEP_4)
	v_fma_f64 v[48:49], v[38:39], v[2:3], -v[48:49]
	v_fma_f64 v[164:165], v[40:41], v[2:3], v[4:5]
	ds_load_b128 v[2:5], v1 offset:1504
	scratch_load_b128 v[38:41], off, off offset:768
	v_fma_f64 v[44:45], v[44:45], v[6:7], v[50:51]
	v_fma_f64 v[42:43], v[42:43], v[6:7], -v[8:9]
	scratch_load_b128 v[6:9], off, off offset:784
	s_waitcnt vmcnt(10) lgkmcnt(0)
	v_mul_f64 v[168:169], v[2:3], v[12:13]
	v_mul_f64 v[12:13], v[4:5], v[12:13]
	v_add_f64 v[48:49], v[48:49], 0
	v_add_f64 v[50:51], v[164:165], 0
	s_waitcnt vmcnt(9)
	v_mul_f64 v[164:165], v[220:221], v[16:17]
	v_mul_f64 v[16:17], v[222:223], v[16:17]
	v_fma_f64 v[168:169], v[4:5], v[10:11], v[168:169]
	v_fma_f64 v[226:227], v[2:3], v[10:11], -v[12:13]
	ds_load_b128 v[2:5], v1 offset:1536
	scratch_load_b128 v[10:13], off, off offset:800
	v_add_f64 v[48:49], v[48:49], v[42:43]
	v_add_f64 v[50:51], v[50:51], v[44:45]
	ds_load_b128 v[42:45], v1 offset:1552
	v_fma_f64 v[164:165], v[222:223], v[14:15], v[164:165]
	v_fma_f64 v[220:221], v[220:221], v[14:15], -v[16:17]
	scratch_load_b128 v[14:17], off, off offset:816
	s_waitcnt vmcnt(10) lgkmcnt(1)
	v_mul_f64 v[228:229], v[2:3], v[20:21]
	v_mul_f64 v[20:21], v[4:5], v[20:21]
	v_add_f64 v[48:49], v[48:49], v[226:227]
	v_add_f64 v[50:51], v[50:51], v[168:169]
	s_waitcnt vmcnt(9) lgkmcnt(0)
	v_mul_f64 v[168:169], v[42:43], v[24:25]
	v_mul_f64 v[24:25], v[44:45], v[24:25]
	v_fma_f64 v[226:227], v[4:5], v[18:19], v[228:229]
	v_fma_f64 v[228:229], v[2:3], v[18:19], -v[20:21]
	ds_load_b128 v[2:5], v1 offset:1568
	scratch_load_b128 v[18:21], off, off offset:832
	v_add_f64 v[48:49], v[48:49], v[220:221]
	v_add_f64 v[50:51], v[50:51], v[164:165]
	ds_load_b128 v[220:223], v1 offset:1584
	s_waitcnt vmcnt(9) lgkmcnt(1)
	v_mul_f64 v[164:165], v[2:3], v[28:29]
	v_mul_f64 v[28:29], v[4:5], v[28:29]
	v_fma_f64 v[44:45], v[44:45], v[22:23], v[168:169]
	v_fma_f64 v[42:43], v[42:43], v[22:23], -v[24:25]
	scratch_load_b128 v[22:25], off, off offset:848
	s_waitcnt vmcnt(9) lgkmcnt(0)
	v_mul_f64 v[168:169], v[220:221], v[32:33]
	v_mul_f64 v[32:33], v[222:223], v[32:33]
	v_add_f64 v[48:49], v[48:49], v[228:229]
	v_add_f64 v[50:51], v[50:51], v[226:227]
	v_fma_f64 v[164:165], v[4:5], v[26:27], v[164:165]
	v_fma_f64 v[226:227], v[2:3], v[26:27], -v[28:29]
	ds_load_b128 v[2:5], v1 offset:1600
	ds_load_b128 v[26:29], v1 offset:1616
	v_add_f64 v[42:43], v[48:49], v[42:43]
	v_add_f64 v[44:45], v[50:51], v[44:45]
	s_waitcnt vmcnt(8) lgkmcnt(1)
	v_mul_f64 v[48:49], v[2:3], v[36:37]
	v_mul_f64 v[36:37], v[4:5], v[36:37]
	v_fma_f64 v[50:51], v[222:223], v[30:31], v[168:169]
	v_fma_f64 v[30:31], v[220:221], v[30:31], -v[32:33]
	v_add_f64 v[32:33], v[42:43], v[226:227]
	v_add_f64 v[42:43], v[44:45], v[164:165]
	s_waitcnt vmcnt(6) lgkmcnt(0)
	v_mul_f64 v[44:45], v[26:27], v[173:174]
	v_mul_f64 v[164:165], v[28:29], v[173:174]
	v_fma_f64 v[48:49], v[4:5], v[34:35], v[48:49]
	v_fma_f64 v[34:35], v[2:3], v[34:35], -v[36:37]
	v_add_f64 v[36:37], v[32:33], v[30:31]
	v_add_f64 v[42:43], v[42:43], v[50:51]
	ds_load_b128 v[2:5], v1 offset:1632
	ds_load_b128 v[30:33], v1 offset:1648
	v_fma_f64 v[28:29], v[28:29], v[171:172], v[44:45]
	v_fma_f64 v[26:27], v[26:27], v[171:172], -v[164:165]
	s_waitcnt vmcnt(5) lgkmcnt(1)
	v_mul_f64 v[50:51], v[2:3], v[40:41]
	v_mul_f64 v[40:41], v[4:5], v[40:41]
	v_add_f64 v[34:35], v[36:37], v[34:35]
	v_add_f64 v[36:37], v[42:43], v[48:49]
	s_waitcnt vmcnt(4) lgkmcnt(0)
	v_mul_f64 v[42:43], v[30:31], v[8:9]
	v_mul_f64 v[8:9], v[32:33], v[8:9]
	v_fma_f64 v[44:45], v[4:5], v[38:39], v[50:51]
	v_fma_f64 v[38:39], v[2:3], v[38:39], -v[40:41]
	v_add_f64 v[34:35], v[34:35], v[26:27]
	v_add_f64 v[36:37], v[36:37], v[28:29]
	ds_load_b128 v[2:5], v1 offset:1664
	ds_load_b128 v[26:29], v1 offset:1680
	v_fma_f64 v[32:33], v[32:33], v[6:7], v[42:43]
	v_fma_f64 v[6:7], v[30:31], v[6:7], -v[8:9]
	s_waitcnt vmcnt(3) lgkmcnt(1)
	v_mul_f64 v[40:41], v[2:3], v[12:13]
	v_mul_f64 v[12:13], v[4:5], v[12:13]
	;; [unrolled: 16-line block ×3, first 2 shown]
	s_waitcnt vmcnt(0) lgkmcnt(0)
	v_mul_f64 v[16:17], v[6:7], v[24:25]
	v_mul_f64 v[24:25], v[8:9], v[24:25]
	v_add_f64 v[10:11], v[12:13], v[10:11]
	v_add_f64 v[12:13], v[30:31], v[36:37]
	v_fma_f64 v[4:5], v[4:5], v[18:19], v[32:33]
	v_fma_f64 v[1:2], v[2:3], v[18:19], -v[20:21]
	v_fma_f64 v[8:9], v[8:9], v[22:23], v[16:17]
	v_fma_f64 v[6:7], v[6:7], v[22:23], -v[24:25]
	v_add_f64 v[10:11], v[10:11], v[14:15]
	v_add_f64 v[12:13], v[12:13], v[28:29]
	s_delay_alu instid0(VALU_DEP_2) | instskip(NEXT) | instid1(VALU_DEP_2)
	v_add_f64 v[1:2], v[10:11], v[1:2]
	v_add_f64 v[3:4], v[12:13], v[4:5]
	s_delay_alu instid0(VALU_DEP_2) | instskip(NEXT) | instid1(VALU_DEP_2)
	;; [unrolled: 3-line block ×3, first 2 shown]
	v_add_f64 v[1:2], v[157:158], -v[1:2]
	v_add_f64 v[3:4], v[159:160], -v[3:4]
	scratch_store_b128 off, v[1:4], off offset:592
	v_cmpx_lt_u32_e32 36, v154
	s_cbranch_execz .LBB53_265
; %bb.264:
	scratch_load_b128 v[1:4], v219, off
	v_mov_b32_e32 v5, 0
	s_delay_alu instid0(VALU_DEP_1)
	v_mov_b32_e32 v6, v5
	v_mov_b32_e32 v7, v5
	;; [unrolled: 1-line block ×3, first 2 shown]
	scratch_store_b128 off, v[5:8], off offset:576
	s_waitcnt vmcnt(0)
	ds_store_b128 v208, v[1:4]
.LBB53_265:
	s_or_b32 exec_lo, exec_lo, s2
	s_waitcnt lgkmcnt(0)
	s_waitcnt_vscnt null, 0x0
	s_barrier
	buffer_gl0_inv
	s_clause 0x7
	scratch_load_b128 v[2:5], off, off offset:592
	scratch_load_b128 v[6:9], off, off offset:608
	;; [unrolled: 1-line block ×8, first 2 shown]
	v_mov_b32_e32 v1, 0
	s_mov_b32 s2, exec_lo
	ds_load_b128 v[34:37], v1 offset:1456
	s_clause 0x1
	scratch_load_b128 v[38:41], off, off offset:720
	scratch_load_b128 v[42:45], off, off offset:576
	ds_load_b128 v[157:160], v1 offset:1472
	scratch_load_b128 v[171:174], off, off offset:736
	ds_load_b128 v[220:223], v1 offset:1504
	s_waitcnt vmcnt(10) lgkmcnt(2)
	v_mul_f64 v[48:49], v[36:37], v[4:5]
	v_mul_f64 v[4:5], v[34:35], v[4:5]
	s_delay_alu instid0(VALU_DEP_2) | instskip(NEXT) | instid1(VALU_DEP_2)
	v_fma_f64 v[48:49], v[34:35], v[2:3], -v[48:49]
	v_fma_f64 v[164:165], v[36:37], v[2:3], v[4:5]
	ds_load_b128 v[2:5], v1 offset:1488
	s_waitcnt vmcnt(9) lgkmcnt(2)
	v_mul_f64 v[50:51], v[157:158], v[8:9]
	v_mul_f64 v[8:9], v[159:160], v[8:9]
	scratch_load_b128 v[34:37], off, off offset:752
	s_waitcnt vmcnt(9) lgkmcnt(0)
	v_mul_f64 v[168:169], v[2:3], v[12:13]
	v_mul_f64 v[12:13], v[4:5], v[12:13]
	v_add_f64 v[48:49], v[48:49], 0
	v_fma_f64 v[50:51], v[159:160], v[6:7], v[50:51]
	v_fma_f64 v[157:158], v[157:158], v[6:7], -v[8:9]
	v_add_f64 v[159:160], v[164:165], 0
	scratch_load_b128 v[6:9], off, off offset:768
	v_fma_f64 v[168:169], v[4:5], v[10:11], v[168:169]
	v_fma_f64 v[226:227], v[2:3], v[10:11], -v[12:13]
	scratch_load_b128 v[10:13], off, off offset:784
	ds_load_b128 v[2:5], v1 offset:1520
	s_waitcnt vmcnt(10)
	v_mul_f64 v[164:165], v[220:221], v[16:17]
	v_mul_f64 v[16:17], v[222:223], v[16:17]
	v_add_f64 v[48:49], v[48:49], v[157:158]
	v_add_f64 v[50:51], v[159:160], v[50:51]
	ds_load_b128 v[157:160], v1 offset:1536
	s_waitcnt vmcnt(9) lgkmcnt(1)
	v_mul_f64 v[228:229], v[2:3], v[20:21]
	v_mul_f64 v[20:21], v[4:5], v[20:21]
	v_fma_f64 v[164:165], v[222:223], v[14:15], v[164:165]
	v_fma_f64 v[220:221], v[220:221], v[14:15], -v[16:17]
	scratch_load_b128 v[14:17], off, off offset:800
	v_add_f64 v[48:49], v[48:49], v[226:227]
	v_add_f64 v[50:51], v[50:51], v[168:169]
	v_fma_f64 v[226:227], v[4:5], v[18:19], v[228:229]
	v_fma_f64 v[228:229], v[2:3], v[18:19], -v[20:21]
	scratch_load_b128 v[18:21], off, off offset:816
	ds_load_b128 v[2:5], v1 offset:1552
	s_waitcnt vmcnt(10) lgkmcnt(1)
	v_mul_f64 v[168:169], v[157:158], v[24:25]
	v_mul_f64 v[24:25], v[159:160], v[24:25]
	v_add_f64 v[48:49], v[48:49], v[220:221]
	v_add_f64 v[50:51], v[50:51], v[164:165]
	s_waitcnt vmcnt(9) lgkmcnt(0)
	v_mul_f64 v[164:165], v[2:3], v[28:29]
	v_mul_f64 v[28:29], v[4:5], v[28:29]
	ds_load_b128 v[220:223], v1 offset:1568
	v_fma_f64 v[159:160], v[159:160], v[22:23], v[168:169]
	v_fma_f64 v[157:158], v[157:158], v[22:23], -v[24:25]
	scratch_load_b128 v[22:25], off, off offset:832
	v_add_f64 v[48:49], v[48:49], v[228:229]
	v_add_f64 v[50:51], v[50:51], v[226:227]
	v_fma_f64 v[164:165], v[4:5], v[26:27], v[164:165]
	v_fma_f64 v[226:227], v[2:3], v[26:27], -v[28:29]
	scratch_load_b128 v[26:29], off, off offset:848
	ds_load_b128 v[2:5], v1 offset:1584
	s_waitcnt vmcnt(10) lgkmcnt(1)
	v_mul_f64 v[168:169], v[220:221], v[32:33]
	v_mul_f64 v[32:33], v[222:223], v[32:33]
	s_waitcnt vmcnt(9) lgkmcnt(0)
	v_mul_f64 v[228:229], v[2:3], v[40:41]
	v_mul_f64 v[40:41], v[4:5], v[40:41]
	v_add_f64 v[48:49], v[48:49], v[157:158]
	v_add_f64 v[50:51], v[50:51], v[159:160]
	ds_load_b128 v[157:160], v1 offset:1600
	v_fma_f64 v[168:169], v[222:223], v[30:31], v[168:169]
	v_fma_f64 v[30:31], v[220:221], v[30:31], -v[32:33]
	v_add_f64 v[32:33], v[48:49], v[226:227]
	v_add_f64 v[48:49], v[50:51], v[164:165]
	s_waitcnt vmcnt(7) lgkmcnt(0)
	v_mul_f64 v[50:51], v[157:158], v[173:174]
	v_mul_f64 v[164:165], v[159:160], v[173:174]
	v_fma_f64 v[173:174], v[4:5], v[38:39], v[228:229]
	v_fma_f64 v[38:39], v[2:3], v[38:39], -v[40:41]
	v_add_f64 v[40:41], v[32:33], v[30:31]
	v_add_f64 v[48:49], v[48:49], v[168:169]
	ds_load_b128 v[2:5], v1 offset:1616
	ds_load_b128 v[30:33], v1 offset:1632
	v_fma_f64 v[50:51], v[159:160], v[171:172], v[50:51]
	v_fma_f64 v[157:158], v[157:158], v[171:172], -v[164:165]
	s_waitcnt vmcnt(6) lgkmcnt(1)
	v_mul_f64 v[168:169], v[2:3], v[36:37]
	v_mul_f64 v[36:37], v[4:5], v[36:37]
	v_add_f64 v[38:39], v[40:41], v[38:39]
	v_add_f64 v[40:41], v[48:49], v[173:174]
	s_waitcnt vmcnt(5) lgkmcnt(0)
	v_mul_f64 v[48:49], v[30:31], v[8:9]
	v_mul_f64 v[8:9], v[32:33], v[8:9]
	v_fma_f64 v[159:160], v[4:5], v[34:35], v[168:169]
	v_fma_f64 v[164:165], v[2:3], v[34:35], -v[36:37]
	ds_load_b128 v[2:5], v1 offset:1648
	ds_load_b128 v[34:37], v1 offset:1664
	v_add_f64 v[38:39], v[38:39], v[157:158]
	v_add_f64 v[40:41], v[40:41], v[50:51]
	s_waitcnt vmcnt(4) lgkmcnt(1)
	v_mul_f64 v[50:51], v[2:3], v[12:13]
	v_mul_f64 v[12:13], v[4:5], v[12:13]
	v_fma_f64 v[32:33], v[32:33], v[6:7], v[48:49]
	v_fma_f64 v[6:7], v[30:31], v[6:7], -v[8:9]
	v_add_f64 v[8:9], v[38:39], v[164:165]
	v_add_f64 v[30:31], v[40:41], v[159:160]
	s_waitcnt vmcnt(3) lgkmcnt(0)
	v_mul_f64 v[38:39], v[34:35], v[16:17]
	v_mul_f64 v[16:17], v[36:37], v[16:17]
	v_fma_f64 v[40:41], v[4:5], v[10:11], v[50:51]
	v_fma_f64 v[10:11], v[2:3], v[10:11], -v[12:13]
	v_add_f64 v[12:13], v[8:9], v[6:7]
	v_add_f64 v[30:31], v[30:31], v[32:33]
	ds_load_b128 v[2:5], v1 offset:1680
	ds_load_b128 v[6:9], v1 offset:1696
	v_fma_f64 v[36:37], v[36:37], v[14:15], v[38:39]
	v_fma_f64 v[14:15], v[34:35], v[14:15], -v[16:17]
	s_waitcnt vmcnt(2) lgkmcnt(1)
	v_mul_f64 v[32:33], v[2:3], v[20:21]
	v_mul_f64 v[20:21], v[4:5], v[20:21]
	s_waitcnt vmcnt(1) lgkmcnt(0)
	v_mul_f64 v[16:17], v[6:7], v[24:25]
	v_mul_f64 v[24:25], v[8:9], v[24:25]
	v_add_f64 v[10:11], v[12:13], v[10:11]
	v_add_f64 v[12:13], v[30:31], v[40:41]
	v_fma_f64 v[30:31], v[4:5], v[18:19], v[32:33]
	v_fma_f64 v[18:19], v[2:3], v[18:19], -v[20:21]
	ds_load_b128 v[2:5], v1 offset:1712
	v_fma_f64 v[8:9], v[8:9], v[22:23], v[16:17]
	v_fma_f64 v[6:7], v[6:7], v[22:23], -v[24:25]
	v_add_f64 v[10:11], v[10:11], v[14:15]
	v_add_f64 v[12:13], v[12:13], v[36:37]
	s_waitcnt vmcnt(0) lgkmcnt(0)
	v_mul_f64 v[14:15], v[2:3], v[28:29]
	v_mul_f64 v[20:21], v[4:5], v[28:29]
	s_delay_alu instid0(VALU_DEP_4) | instskip(NEXT) | instid1(VALU_DEP_4)
	v_add_f64 v[10:11], v[10:11], v[18:19]
	v_add_f64 v[12:13], v[12:13], v[30:31]
	s_delay_alu instid0(VALU_DEP_4) | instskip(NEXT) | instid1(VALU_DEP_4)
	v_fma_f64 v[4:5], v[4:5], v[26:27], v[14:15]
	v_fma_f64 v[2:3], v[2:3], v[26:27], -v[20:21]
	s_delay_alu instid0(VALU_DEP_4) | instskip(NEXT) | instid1(VALU_DEP_4)
	v_add_f64 v[6:7], v[10:11], v[6:7]
	v_add_f64 v[8:9], v[12:13], v[8:9]
	s_delay_alu instid0(VALU_DEP_2) | instskip(NEXT) | instid1(VALU_DEP_2)
	v_add_f64 v[2:3], v[6:7], v[2:3]
	v_add_f64 v[4:5], v[8:9], v[4:5]
	s_delay_alu instid0(VALU_DEP_2) | instskip(NEXT) | instid1(VALU_DEP_2)
	v_add_f64 v[2:3], v[42:43], -v[2:3]
	v_add_f64 v[4:5], v[44:45], -v[4:5]
	scratch_store_b128 off, v[2:5], off offset:576
	v_cmpx_lt_u32_e32 35, v154
	s_cbranch_execz .LBB53_267
; %bb.266:
	scratch_load_b128 v[5:8], v224, off
	v_mov_b32_e32 v2, v1
	v_mov_b32_e32 v3, v1
	v_mov_b32_e32 v4, v1
	scratch_store_b128 off, v[1:4], off offset:560
	s_waitcnt vmcnt(0)
	ds_store_b128 v208, v[5:8]
.LBB53_267:
	s_or_b32 exec_lo, exec_lo, s2
	s_waitcnt lgkmcnt(0)
	s_waitcnt_vscnt null, 0x0
	s_barrier
	buffer_gl0_inv
	s_clause 0x8
	scratch_load_b128 v[2:5], off, off offset:576
	scratch_load_b128 v[6:9], off, off offset:592
	scratch_load_b128 v[10:13], off, off offset:608
	scratch_load_b128 v[14:17], off, off offset:624
	scratch_load_b128 v[18:21], off, off offset:640
	scratch_load_b128 v[22:25], off, off offset:656
	scratch_load_b128 v[26:29], off, off offset:672
	scratch_load_b128 v[30:33], off, off offset:688
	scratch_load_b128 v[34:37], off, off offset:704
	ds_load_b128 v[38:41], v1 offset:1440
	ds_load_b128 v[42:45], v1 offset:1456
	s_clause 0x1
	scratch_load_b128 v[157:160], off, off offset:560
	scratch_load_b128 v[171:174], off, off offset:720
	s_mov_b32 s2, exec_lo
	ds_load_b128 v[220:223], v1 offset:1488
	s_waitcnt vmcnt(10) lgkmcnt(2)
	v_mul_f64 v[48:49], v[40:41], v[4:5]
	v_mul_f64 v[4:5], v[38:39], v[4:5]
	s_waitcnt vmcnt(9) lgkmcnt(1)
	v_mul_f64 v[50:51], v[42:43], v[8:9]
	v_mul_f64 v[8:9], v[44:45], v[8:9]
	s_delay_alu instid0(VALU_DEP_4) | instskip(NEXT) | instid1(VALU_DEP_4)
	v_fma_f64 v[48:49], v[38:39], v[2:3], -v[48:49]
	v_fma_f64 v[164:165], v[40:41], v[2:3], v[4:5]
	ds_load_b128 v[2:5], v1 offset:1472
	scratch_load_b128 v[38:41], off, off offset:736
	v_fma_f64 v[44:45], v[44:45], v[6:7], v[50:51]
	v_fma_f64 v[42:43], v[42:43], v[6:7], -v[8:9]
	scratch_load_b128 v[6:9], off, off offset:752
	s_waitcnt vmcnt(10) lgkmcnt(0)
	v_mul_f64 v[168:169], v[2:3], v[12:13]
	v_mul_f64 v[12:13], v[4:5], v[12:13]
	v_add_f64 v[48:49], v[48:49], 0
	v_add_f64 v[50:51], v[164:165], 0
	s_waitcnt vmcnt(9)
	v_mul_f64 v[164:165], v[220:221], v[16:17]
	v_mul_f64 v[16:17], v[222:223], v[16:17]
	v_fma_f64 v[168:169], v[4:5], v[10:11], v[168:169]
	v_fma_f64 v[226:227], v[2:3], v[10:11], -v[12:13]
	ds_load_b128 v[2:5], v1 offset:1504
	scratch_load_b128 v[10:13], off, off offset:768
	v_add_f64 v[48:49], v[48:49], v[42:43]
	v_add_f64 v[50:51], v[50:51], v[44:45]
	ds_load_b128 v[42:45], v1 offset:1520
	v_fma_f64 v[164:165], v[222:223], v[14:15], v[164:165]
	v_fma_f64 v[220:221], v[220:221], v[14:15], -v[16:17]
	scratch_load_b128 v[14:17], off, off offset:784
	s_waitcnt vmcnt(10) lgkmcnt(1)
	v_mul_f64 v[228:229], v[2:3], v[20:21]
	v_mul_f64 v[20:21], v[4:5], v[20:21]
	v_add_f64 v[48:49], v[48:49], v[226:227]
	v_add_f64 v[50:51], v[50:51], v[168:169]
	s_waitcnt vmcnt(9) lgkmcnt(0)
	v_mul_f64 v[168:169], v[42:43], v[24:25]
	v_mul_f64 v[24:25], v[44:45], v[24:25]
	v_fma_f64 v[226:227], v[4:5], v[18:19], v[228:229]
	v_fma_f64 v[228:229], v[2:3], v[18:19], -v[20:21]
	ds_load_b128 v[2:5], v1 offset:1536
	scratch_load_b128 v[18:21], off, off offset:800
	v_add_f64 v[48:49], v[48:49], v[220:221]
	v_add_f64 v[50:51], v[50:51], v[164:165]
	ds_load_b128 v[220:223], v1 offset:1552
	s_waitcnt vmcnt(9) lgkmcnt(1)
	v_mul_f64 v[164:165], v[2:3], v[28:29]
	v_mul_f64 v[28:29], v[4:5], v[28:29]
	v_fma_f64 v[44:45], v[44:45], v[22:23], v[168:169]
	v_fma_f64 v[42:43], v[42:43], v[22:23], -v[24:25]
	scratch_load_b128 v[22:25], off, off offset:816
	s_waitcnt vmcnt(9) lgkmcnt(0)
	v_mul_f64 v[168:169], v[220:221], v[32:33]
	v_mul_f64 v[32:33], v[222:223], v[32:33]
	v_add_f64 v[48:49], v[48:49], v[228:229]
	v_add_f64 v[50:51], v[50:51], v[226:227]
	v_fma_f64 v[164:165], v[4:5], v[26:27], v[164:165]
	v_fma_f64 v[226:227], v[2:3], v[26:27], -v[28:29]
	ds_load_b128 v[2:5], v1 offset:1568
	scratch_load_b128 v[26:29], off, off offset:832
	v_fma_f64 v[168:169], v[222:223], v[30:31], v[168:169]
	v_fma_f64 v[220:221], v[220:221], v[30:31], -v[32:33]
	scratch_load_b128 v[30:33], off, off offset:848
	v_add_f64 v[48:49], v[48:49], v[42:43]
	v_add_f64 v[50:51], v[50:51], v[44:45]
	ds_load_b128 v[42:45], v1 offset:1584
	s_waitcnt vmcnt(10) lgkmcnt(1)
	v_mul_f64 v[228:229], v[2:3], v[36:37]
	v_mul_f64 v[36:37], v[4:5], v[36:37]
	v_add_f64 v[48:49], v[48:49], v[226:227]
	v_add_f64 v[50:51], v[50:51], v[164:165]
	s_waitcnt vmcnt(8) lgkmcnt(0)
	v_mul_f64 v[164:165], v[42:43], v[173:174]
	v_mul_f64 v[173:174], v[44:45], v[173:174]
	v_fma_f64 v[222:223], v[4:5], v[34:35], v[228:229]
	v_fma_f64 v[226:227], v[2:3], v[34:35], -v[36:37]
	ds_load_b128 v[2:5], v1 offset:1600
	ds_load_b128 v[34:37], v1 offset:1616
	v_add_f64 v[48:49], v[48:49], v[220:221]
	v_add_f64 v[50:51], v[50:51], v[168:169]
	v_fma_f64 v[44:45], v[44:45], v[171:172], v[164:165]
	v_fma_f64 v[42:43], v[42:43], v[171:172], -v[173:174]
	s_waitcnt vmcnt(7) lgkmcnt(1)
	v_mul_f64 v[168:169], v[2:3], v[40:41]
	v_mul_f64 v[40:41], v[4:5], v[40:41]
	s_waitcnt vmcnt(6) lgkmcnt(0)
	v_mul_f64 v[164:165], v[34:35], v[8:9]
	v_mul_f64 v[8:9], v[36:37], v[8:9]
	v_add_f64 v[48:49], v[48:49], v[226:227]
	v_add_f64 v[50:51], v[50:51], v[222:223]
	v_fma_f64 v[168:169], v[4:5], v[38:39], v[168:169]
	v_fma_f64 v[171:172], v[2:3], v[38:39], -v[40:41]
	ds_load_b128 v[2:5], v1 offset:1632
	ds_load_b128 v[38:41], v1 offset:1648
	v_fma_f64 v[36:37], v[36:37], v[6:7], v[164:165]
	v_fma_f64 v[6:7], v[34:35], v[6:7], -v[8:9]
	v_add_f64 v[42:43], v[48:49], v[42:43]
	v_add_f64 v[44:45], v[50:51], v[44:45]
	s_waitcnt vmcnt(5) lgkmcnt(1)
	v_mul_f64 v[48:49], v[2:3], v[12:13]
	v_mul_f64 v[12:13], v[4:5], v[12:13]
	s_delay_alu instid0(VALU_DEP_4) | instskip(NEXT) | instid1(VALU_DEP_4)
	v_add_f64 v[8:9], v[42:43], v[171:172]
	v_add_f64 v[34:35], v[44:45], v[168:169]
	s_waitcnt vmcnt(4) lgkmcnt(0)
	v_mul_f64 v[42:43], v[38:39], v[16:17]
	v_mul_f64 v[16:17], v[40:41], v[16:17]
	v_fma_f64 v[44:45], v[4:5], v[10:11], v[48:49]
	v_fma_f64 v[10:11], v[2:3], v[10:11], -v[12:13]
	v_add_f64 v[12:13], v[8:9], v[6:7]
	v_add_f64 v[34:35], v[34:35], v[36:37]
	ds_load_b128 v[2:5], v1 offset:1664
	ds_load_b128 v[6:9], v1 offset:1680
	v_fma_f64 v[40:41], v[40:41], v[14:15], v[42:43]
	v_fma_f64 v[14:15], v[38:39], v[14:15], -v[16:17]
	s_waitcnt vmcnt(3) lgkmcnt(1)
	v_mul_f64 v[36:37], v[2:3], v[20:21]
	v_mul_f64 v[20:21], v[4:5], v[20:21]
	s_waitcnt vmcnt(2) lgkmcnt(0)
	v_mul_f64 v[16:17], v[6:7], v[24:25]
	v_mul_f64 v[24:25], v[8:9], v[24:25]
	v_add_f64 v[10:11], v[12:13], v[10:11]
	v_add_f64 v[12:13], v[34:35], v[44:45]
	v_fma_f64 v[34:35], v[4:5], v[18:19], v[36:37]
	v_fma_f64 v[18:19], v[2:3], v[18:19], -v[20:21]
	v_fma_f64 v[8:9], v[8:9], v[22:23], v[16:17]
	v_fma_f64 v[6:7], v[6:7], v[22:23], -v[24:25]
	v_add_f64 v[14:15], v[10:11], v[14:15]
	v_add_f64 v[20:21], v[12:13], v[40:41]
	ds_load_b128 v[2:5], v1 offset:1696
	ds_load_b128 v[10:13], v1 offset:1712
	s_waitcnt vmcnt(1) lgkmcnt(1)
	v_mul_f64 v[36:37], v[2:3], v[28:29]
	v_mul_f64 v[28:29], v[4:5], v[28:29]
	v_add_f64 v[14:15], v[14:15], v[18:19]
	v_add_f64 v[16:17], v[20:21], v[34:35]
	s_waitcnt vmcnt(0) lgkmcnt(0)
	v_mul_f64 v[18:19], v[10:11], v[32:33]
	v_mul_f64 v[20:21], v[12:13], v[32:33]
	v_fma_f64 v[4:5], v[4:5], v[26:27], v[36:37]
	v_fma_f64 v[1:2], v[2:3], v[26:27], -v[28:29]
	v_add_f64 v[6:7], v[14:15], v[6:7]
	v_add_f64 v[8:9], v[16:17], v[8:9]
	v_fma_f64 v[12:13], v[12:13], v[30:31], v[18:19]
	v_fma_f64 v[10:11], v[10:11], v[30:31], -v[20:21]
	s_delay_alu instid0(VALU_DEP_4) | instskip(NEXT) | instid1(VALU_DEP_4)
	v_add_f64 v[1:2], v[6:7], v[1:2]
	v_add_f64 v[3:4], v[8:9], v[4:5]
	s_delay_alu instid0(VALU_DEP_2) | instskip(NEXT) | instid1(VALU_DEP_2)
	v_add_f64 v[1:2], v[1:2], v[10:11]
	v_add_f64 v[3:4], v[3:4], v[12:13]
	s_delay_alu instid0(VALU_DEP_2) | instskip(NEXT) | instid1(VALU_DEP_2)
	v_add_f64 v[1:2], v[157:158], -v[1:2]
	v_add_f64 v[3:4], v[159:160], -v[3:4]
	scratch_store_b128 off, v[1:4], off offset:560
	v_cmpx_lt_u32_e32 34, v154
	s_cbranch_execz .LBB53_269
; %bb.268:
	scratch_load_b128 v[1:4], v225, off
	v_mov_b32_e32 v5, 0
	s_delay_alu instid0(VALU_DEP_1)
	v_mov_b32_e32 v6, v5
	v_mov_b32_e32 v7, v5
	;; [unrolled: 1-line block ×3, first 2 shown]
	scratch_store_b128 off, v[5:8], off offset:544
	s_waitcnt vmcnt(0)
	ds_store_b128 v208, v[1:4]
.LBB53_269:
	s_or_b32 exec_lo, exec_lo, s2
	s_waitcnt lgkmcnt(0)
	s_waitcnt_vscnt null, 0x0
	s_barrier
	buffer_gl0_inv
	s_clause 0x7
	scratch_load_b128 v[2:5], off, off offset:560
	scratch_load_b128 v[6:9], off, off offset:576
	scratch_load_b128 v[10:13], off, off offset:592
	scratch_load_b128 v[14:17], off, off offset:608
	scratch_load_b128 v[18:21], off, off offset:624
	scratch_load_b128 v[22:25], off, off offset:640
	scratch_load_b128 v[26:29], off, off offset:656
	scratch_load_b128 v[30:33], off, off offset:672
	v_mov_b32_e32 v1, 0
	s_mov_b32 s2, exec_lo
	ds_load_b128 v[34:37], v1 offset:1424
	s_clause 0x1
	scratch_load_b128 v[38:41], off, off offset:688
	scratch_load_b128 v[42:45], off, off offset:544
	ds_load_b128 v[157:160], v1 offset:1440
	scratch_load_b128 v[171:174], off, off offset:704
	ds_load_b128 v[220:223], v1 offset:1472
	s_waitcnt vmcnt(10) lgkmcnt(2)
	v_mul_f64 v[48:49], v[36:37], v[4:5]
	v_mul_f64 v[4:5], v[34:35], v[4:5]
	s_delay_alu instid0(VALU_DEP_2) | instskip(NEXT) | instid1(VALU_DEP_2)
	v_fma_f64 v[48:49], v[34:35], v[2:3], -v[48:49]
	v_fma_f64 v[164:165], v[36:37], v[2:3], v[4:5]
	ds_load_b128 v[2:5], v1 offset:1456
	s_waitcnt vmcnt(9) lgkmcnt(2)
	v_mul_f64 v[50:51], v[157:158], v[8:9]
	v_mul_f64 v[8:9], v[159:160], v[8:9]
	scratch_load_b128 v[34:37], off, off offset:720
	s_waitcnt vmcnt(9) lgkmcnt(0)
	v_mul_f64 v[168:169], v[2:3], v[12:13]
	v_mul_f64 v[12:13], v[4:5], v[12:13]
	v_add_f64 v[48:49], v[48:49], 0
	v_fma_f64 v[50:51], v[159:160], v[6:7], v[50:51]
	v_fma_f64 v[157:158], v[157:158], v[6:7], -v[8:9]
	v_add_f64 v[159:160], v[164:165], 0
	scratch_load_b128 v[6:9], off, off offset:736
	v_fma_f64 v[168:169], v[4:5], v[10:11], v[168:169]
	v_fma_f64 v[226:227], v[2:3], v[10:11], -v[12:13]
	scratch_load_b128 v[10:13], off, off offset:752
	ds_load_b128 v[2:5], v1 offset:1488
	s_waitcnt vmcnt(10)
	v_mul_f64 v[164:165], v[220:221], v[16:17]
	v_mul_f64 v[16:17], v[222:223], v[16:17]
	v_add_f64 v[48:49], v[48:49], v[157:158]
	v_add_f64 v[50:51], v[159:160], v[50:51]
	ds_load_b128 v[157:160], v1 offset:1504
	s_waitcnt vmcnt(9) lgkmcnt(1)
	v_mul_f64 v[228:229], v[2:3], v[20:21]
	v_mul_f64 v[20:21], v[4:5], v[20:21]
	v_fma_f64 v[164:165], v[222:223], v[14:15], v[164:165]
	v_fma_f64 v[220:221], v[220:221], v[14:15], -v[16:17]
	scratch_load_b128 v[14:17], off, off offset:768
	v_add_f64 v[48:49], v[48:49], v[226:227]
	v_add_f64 v[50:51], v[50:51], v[168:169]
	v_fma_f64 v[226:227], v[4:5], v[18:19], v[228:229]
	v_fma_f64 v[228:229], v[2:3], v[18:19], -v[20:21]
	scratch_load_b128 v[18:21], off, off offset:784
	ds_load_b128 v[2:5], v1 offset:1520
	s_waitcnt vmcnt(10) lgkmcnt(1)
	v_mul_f64 v[168:169], v[157:158], v[24:25]
	v_mul_f64 v[24:25], v[159:160], v[24:25]
	v_add_f64 v[48:49], v[48:49], v[220:221]
	v_add_f64 v[50:51], v[50:51], v[164:165]
	s_waitcnt vmcnt(9) lgkmcnt(0)
	v_mul_f64 v[164:165], v[2:3], v[28:29]
	v_mul_f64 v[28:29], v[4:5], v[28:29]
	ds_load_b128 v[220:223], v1 offset:1536
	v_fma_f64 v[159:160], v[159:160], v[22:23], v[168:169]
	v_fma_f64 v[157:158], v[157:158], v[22:23], -v[24:25]
	scratch_load_b128 v[22:25], off, off offset:800
	v_add_f64 v[48:49], v[48:49], v[228:229]
	v_add_f64 v[50:51], v[50:51], v[226:227]
	v_fma_f64 v[164:165], v[4:5], v[26:27], v[164:165]
	v_fma_f64 v[226:227], v[2:3], v[26:27], -v[28:29]
	scratch_load_b128 v[26:29], off, off offset:816
	ds_load_b128 v[2:5], v1 offset:1552
	s_waitcnt vmcnt(10) lgkmcnt(1)
	v_mul_f64 v[168:169], v[220:221], v[32:33]
	v_mul_f64 v[32:33], v[222:223], v[32:33]
	s_waitcnt vmcnt(9) lgkmcnt(0)
	v_mul_f64 v[228:229], v[2:3], v[40:41]
	v_mul_f64 v[40:41], v[4:5], v[40:41]
	v_add_f64 v[48:49], v[48:49], v[157:158]
	v_add_f64 v[50:51], v[50:51], v[159:160]
	ds_load_b128 v[157:160], v1 offset:1568
	v_fma_f64 v[168:169], v[222:223], v[30:31], v[168:169]
	v_fma_f64 v[220:221], v[220:221], v[30:31], -v[32:33]
	scratch_load_b128 v[30:33], off, off offset:832
	v_add_f64 v[48:49], v[48:49], v[226:227]
	v_add_f64 v[50:51], v[50:51], v[164:165]
	v_fma_f64 v[226:227], v[4:5], v[38:39], v[228:229]
	v_fma_f64 v[228:229], v[2:3], v[38:39], -v[40:41]
	scratch_load_b128 v[38:41], off, off offset:848
	ds_load_b128 v[2:5], v1 offset:1584
	s_waitcnt vmcnt(9) lgkmcnt(1)
	v_mul_f64 v[164:165], v[157:158], v[173:174]
	v_mul_f64 v[173:174], v[159:160], v[173:174]
	v_add_f64 v[48:49], v[48:49], v[220:221]
	v_add_f64 v[50:51], v[50:51], v[168:169]
	ds_load_b128 v[220:223], v1 offset:1600
	v_fma_f64 v[159:160], v[159:160], v[171:172], v[164:165]
	v_fma_f64 v[157:158], v[157:158], v[171:172], -v[173:174]
	s_waitcnt vmcnt(8) lgkmcnt(1)
	v_mul_f64 v[168:169], v[2:3], v[36:37]
	v_mul_f64 v[36:37], v[4:5], v[36:37]
	v_add_f64 v[48:49], v[48:49], v[228:229]
	v_add_f64 v[50:51], v[50:51], v[226:227]
	s_delay_alu instid0(VALU_DEP_4)
	v_fma_f64 v[168:169], v[4:5], v[34:35], v[168:169]
	s_waitcnt vmcnt(7) lgkmcnt(0)
	v_mul_f64 v[164:165], v[220:221], v[8:9]
	v_mul_f64 v[8:9], v[222:223], v[8:9]
	v_fma_f64 v[171:172], v[2:3], v[34:35], -v[36:37]
	ds_load_b128 v[2:5], v1 offset:1616
	ds_load_b128 v[34:37], v1 offset:1632
	v_add_f64 v[48:49], v[48:49], v[157:158]
	v_add_f64 v[50:51], v[50:51], v[159:160]
	s_waitcnt vmcnt(6) lgkmcnt(1)
	v_mul_f64 v[157:158], v[2:3], v[12:13]
	v_mul_f64 v[12:13], v[4:5], v[12:13]
	v_fma_f64 v[159:160], v[222:223], v[6:7], v[164:165]
	v_fma_f64 v[6:7], v[220:221], v[6:7], -v[8:9]
	v_add_f64 v[8:9], v[48:49], v[171:172]
	v_add_f64 v[48:49], v[50:51], v[168:169]
	s_waitcnt vmcnt(5) lgkmcnt(0)
	v_mul_f64 v[50:51], v[34:35], v[16:17]
	v_mul_f64 v[16:17], v[36:37], v[16:17]
	v_fma_f64 v[157:158], v[4:5], v[10:11], v[157:158]
	v_fma_f64 v[10:11], v[2:3], v[10:11], -v[12:13]
	v_add_f64 v[12:13], v[8:9], v[6:7]
	v_add_f64 v[48:49], v[48:49], v[159:160]
	ds_load_b128 v[2:5], v1 offset:1648
	ds_load_b128 v[6:9], v1 offset:1664
	v_fma_f64 v[36:37], v[36:37], v[14:15], v[50:51]
	v_fma_f64 v[14:15], v[34:35], v[14:15], -v[16:17]
	s_waitcnt vmcnt(4) lgkmcnt(1)
	v_mul_f64 v[159:160], v[2:3], v[20:21]
	v_mul_f64 v[20:21], v[4:5], v[20:21]
	s_waitcnt vmcnt(3) lgkmcnt(0)
	v_mul_f64 v[16:17], v[6:7], v[24:25]
	v_mul_f64 v[24:25], v[8:9], v[24:25]
	v_add_f64 v[10:11], v[12:13], v[10:11]
	v_add_f64 v[12:13], v[48:49], v[157:158]
	v_fma_f64 v[34:35], v[4:5], v[18:19], v[159:160]
	v_fma_f64 v[18:19], v[2:3], v[18:19], -v[20:21]
	v_fma_f64 v[8:9], v[8:9], v[22:23], v[16:17]
	v_fma_f64 v[6:7], v[6:7], v[22:23], -v[24:25]
	v_add_f64 v[14:15], v[10:11], v[14:15]
	v_add_f64 v[20:21], v[12:13], v[36:37]
	ds_load_b128 v[2:5], v1 offset:1680
	ds_load_b128 v[10:13], v1 offset:1696
	s_waitcnt vmcnt(2) lgkmcnt(1)
	v_mul_f64 v[36:37], v[2:3], v[28:29]
	v_mul_f64 v[28:29], v[4:5], v[28:29]
	v_add_f64 v[14:15], v[14:15], v[18:19]
	v_add_f64 v[16:17], v[20:21], v[34:35]
	s_waitcnt vmcnt(1) lgkmcnt(0)
	v_mul_f64 v[18:19], v[10:11], v[32:33]
	v_mul_f64 v[20:21], v[12:13], v[32:33]
	v_fma_f64 v[22:23], v[4:5], v[26:27], v[36:37]
	v_fma_f64 v[24:25], v[2:3], v[26:27], -v[28:29]
	ds_load_b128 v[2:5], v1 offset:1712
	v_add_f64 v[6:7], v[14:15], v[6:7]
	v_add_f64 v[8:9], v[16:17], v[8:9]
	v_fma_f64 v[12:13], v[12:13], v[30:31], v[18:19]
	v_fma_f64 v[10:11], v[10:11], v[30:31], -v[20:21]
	s_waitcnt vmcnt(0) lgkmcnt(0)
	v_mul_f64 v[14:15], v[2:3], v[40:41]
	v_mul_f64 v[16:17], v[4:5], v[40:41]
	v_add_f64 v[6:7], v[6:7], v[24:25]
	v_add_f64 v[8:9], v[8:9], v[22:23]
	s_delay_alu instid0(VALU_DEP_4) | instskip(NEXT) | instid1(VALU_DEP_4)
	v_fma_f64 v[4:5], v[4:5], v[38:39], v[14:15]
	v_fma_f64 v[2:3], v[2:3], v[38:39], -v[16:17]
	s_delay_alu instid0(VALU_DEP_4) | instskip(NEXT) | instid1(VALU_DEP_4)
	v_add_f64 v[6:7], v[6:7], v[10:11]
	v_add_f64 v[8:9], v[8:9], v[12:13]
	s_delay_alu instid0(VALU_DEP_2) | instskip(NEXT) | instid1(VALU_DEP_2)
	v_add_f64 v[2:3], v[6:7], v[2:3]
	v_add_f64 v[4:5], v[8:9], v[4:5]
	s_delay_alu instid0(VALU_DEP_2) | instskip(NEXT) | instid1(VALU_DEP_2)
	v_add_f64 v[2:3], v[42:43], -v[2:3]
	v_add_f64 v[4:5], v[44:45], -v[4:5]
	scratch_store_b128 off, v[2:5], off offset:544
	v_cmpx_lt_u32_e32 33, v154
	s_cbranch_execz .LBB53_271
; %bb.270:
	scratch_load_b128 v[5:8], v175, off
	v_mov_b32_e32 v2, v1
	v_mov_b32_e32 v3, v1
	;; [unrolled: 1-line block ×3, first 2 shown]
	scratch_store_b128 off, v[1:4], off offset:528
	s_waitcnt vmcnt(0)
	ds_store_b128 v208, v[5:8]
.LBB53_271:
	s_or_b32 exec_lo, exec_lo, s2
	s_waitcnt lgkmcnt(0)
	s_waitcnt_vscnt null, 0x0
	s_barrier
	buffer_gl0_inv
	s_clause 0x8
	scratch_load_b128 v[2:5], off, off offset:544
	scratch_load_b128 v[6:9], off, off offset:560
	;; [unrolled: 1-line block ×9, first 2 shown]
	ds_load_b128 v[38:41], v1 offset:1408
	ds_load_b128 v[42:45], v1 offset:1424
	s_clause 0x1
	scratch_load_b128 v[157:160], off, off offset:528
	scratch_load_b128 v[171:174], off, off offset:688
	s_mov_b32 s2, exec_lo
	ds_load_b128 v[220:223], v1 offset:1456
	s_waitcnt vmcnt(10) lgkmcnt(2)
	v_mul_f64 v[48:49], v[40:41], v[4:5]
	v_mul_f64 v[4:5], v[38:39], v[4:5]
	s_waitcnt vmcnt(9) lgkmcnt(1)
	v_mul_f64 v[50:51], v[42:43], v[8:9]
	v_mul_f64 v[8:9], v[44:45], v[8:9]
	s_delay_alu instid0(VALU_DEP_4) | instskip(NEXT) | instid1(VALU_DEP_4)
	v_fma_f64 v[48:49], v[38:39], v[2:3], -v[48:49]
	v_fma_f64 v[164:165], v[40:41], v[2:3], v[4:5]
	ds_load_b128 v[2:5], v1 offset:1440
	scratch_load_b128 v[38:41], off, off offset:704
	v_fma_f64 v[44:45], v[44:45], v[6:7], v[50:51]
	v_fma_f64 v[42:43], v[42:43], v[6:7], -v[8:9]
	scratch_load_b128 v[6:9], off, off offset:720
	s_waitcnt vmcnt(10) lgkmcnt(0)
	v_mul_f64 v[168:169], v[2:3], v[12:13]
	v_mul_f64 v[12:13], v[4:5], v[12:13]
	v_add_f64 v[48:49], v[48:49], 0
	v_add_f64 v[50:51], v[164:165], 0
	s_waitcnt vmcnt(9)
	v_mul_f64 v[164:165], v[220:221], v[16:17]
	v_mul_f64 v[16:17], v[222:223], v[16:17]
	v_fma_f64 v[168:169], v[4:5], v[10:11], v[168:169]
	v_fma_f64 v[226:227], v[2:3], v[10:11], -v[12:13]
	ds_load_b128 v[2:5], v1 offset:1472
	scratch_load_b128 v[10:13], off, off offset:736
	v_add_f64 v[48:49], v[48:49], v[42:43]
	v_add_f64 v[50:51], v[50:51], v[44:45]
	ds_load_b128 v[42:45], v1 offset:1488
	v_fma_f64 v[164:165], v[222:223], v[14:15], v[164:165]
	v_fma_f64 v[220:221], v[220:221], v[14:15], -v[16:17]
	scratch_load_b128 v[14:17], off, off offset:752
	s_waitcnt vmcnt(10) lgkmcnt(1)
	v_mul_f64 v[228:229], v[2:3], v[20:21]
	v_mul_f64 v[20:21], v[4:5], v[20:21]
	v_add_f64 v[48:49], v[48:49], v[226:227]
	v_add_f64 v[50:51], v[50:51], v[168:169]
	s_waitcnt vmcnt(9) lgkmcnt(0)
	v_mul_f64 v[168:169], v[42:43], v[24:25]
	v_mul_f64 v[24:25], v[44:45], v[24:25]
	v_fma_f64 v[226:227], v[4:5], v[18:19], v[228:229]
	v_fma_f64 v[228:229], v[2:3], v[18:19], -v[20:21]
	ds_load_b128 v[2:5], v1 offset:1504
	scratch_load_b128 v[18:21], off, off offset:768
	v_add_f64 v[48:49], v[48:49], v[220:221]
	v_add_f64 v[50:51], v[50:51], v[164:165]
	ds_load_b128 v[220:223], v1 offset:1520
	s_waitcnt vmcnt(9) lgkmcnt(1)
	v_mul_f64 v[164:165], v[2:3], v[28:29]
	v_mul_f64 v[28:29], v[4:5], v[28:29]
	v_fma_f64 v[44:45], v[44:45], v[22:23], v[168:169]
	v_fma_f64 v[42:43], v[42:43], v[22:23], -v[24:25]
	scratch_load_b128 v[22:25], off, off offset:784
	s_waitcnt vmcnt(9) lgkmcnt(0)
	v_mul_f64 v[168:169], v[220:221], v[32:33]
	v_mul_f64 v[32:33], v[222:223], v[32:33]
	v_add_f64 v[48:49], v[48:49], v[228:229]
	v_add_f64 v[50:51], v[50:51], v[226:227]
	v_fma_f64 v[164:165], v[4:5], v[26:27], v[164:165]
	v_fma_f64 v[226:227], v[2:3], v[26:27], -v[28:29]
	ds_load_b128 v[2:5], v1 offset:1536
	scratch_load_b128 v[26:29], off, off offset:800
	v_fma_f64 v[168:169], v[222:223], v[30:31], v[168:169]
	v_fma_f64 v[220:221], v[220:221], v[30:31], -v[32:33]
	scratch_load_b128 v[30:33], off, off offset:816
	v_add_f64 v[48:49], v[48:49], v[42:43]
	v_add_f64 v[50:51], v[50:51], v[44:45]
	ds_load_b128 v[42:45], v1 offset:1552
	s_waitcnt vmcnt(10) lgkmcnt(1)
	v_mul_f64 v[228:229], v[2:3], v[36:37]
	v_mul_f64 v[36:37], v[4:5], v[36:37]
	v_add_f64 v[48:49], v[48:49], v[226:227]
	v_add_f64 v[50:51], v[50:51], v[164:165]
	s_waitcnt vmcnt(8) lgkmcnt(0)
	v_mul_f64 v[164:165], v[42:43], v[173:174]
	v_mul_f64 v[173:174], v[44:45], v[173:174]
	v_fma_f64 v[226:227], v[4:5], v[34:35], v[228:229]
	v_fma_f64 v[228:229], v[2:3], v[34:35], -v[36:37]
	ds_load_b128 v[2:5], v1 offset:1568
	scratch_load_b128 v[34:37], off, off offset:832
	v_add_f64 v[48:49], v[48:49], v[220:221]
	v_add_f64 v[50:51], v[50:51], v[168:169]
	ds_load_b128 v[220:223], v1 offset:1584
	v_fma_f64 v[44:45], v[44:45], v[171:172], v[164:165]
	v_fma_f64 v[164:165], v[42:43], v[171:172], -v[173:174]
	s_waitcnt vmcnt(8) lgkmcnt(1)
	v_mul_f64 v[168:169], v[2:3], v[40:41]
	v_mul_f64 v[230:231], v[4:5], v[40:41]
	scratch_load_b128 v[40:43], off, off offset:848
	v_add_f64 v[48:49], v[48:49], v[228:229]
	v_add_f64 v[50:51], v[50:51], v[226:227]
	s_waitcnt vmcnt(8) lgkmcnt(0)
	v_mul_f64 v[226:227], v[220:221], v[8:9]
	v_mul_f64 v[8:9], v[222:223], v[8:9]
	v_fma_f64 v[168:169], v[4:5], v[38:39], v[168:169]
	v_fma_f64 v[38:39], v[2:3], v[38:39], -v[230:231]
	ds_load_b128 v[2:5], v1 offset:1600
	ds_load_b128 v[171:174], v1 offset:1616
	v_add_f64 v[48:49], v[48:49], v[164:165]
	v_add_f64 v[44:45], v[50:51], v[44:45]
	v_fma_f64 v[164:165], v[222:223], v[6:7], v[226:227]
	s_waitcnt vmcnt(7) lgkmcnt(1)
	v_mul_f64 v[50:51], v[2:3], v[12:13]
	v_mul_f64 v[12:13], v[4:5], v[12:13]
	v_fma_f64 v[6:7], v[220:221], v[6:7], -v[8:9]
	v_add_f64 v[8:9], v[48:49], v[38:39]
	v_add_f64 v[38:39], v[44:45], v[168:169]
	s_waitcnt vmcnt(6) lgkmcnt(0)
	v_mul_f64 v[44:45], v[171:172], v[16:17]
	v_mul_f64 v[16:17], v[173:174], v[16:17]
	v_fma_f64 v[48:49], v[4:5], v[10:11], v[50:51]
	v_fma_f64 v[10:11], v[2:3], v[10:11], -v[12:13]
	v_add_f64 v[12:13], v[8:9], v[6:7]
	v_add_f64 v[38:39], v[38:39], v[164:165]
	ds_load_b128 v[2:5], v1 offset:1632
	ds_load_b128 v[6:9], v1 offset:1648
	v_fma_f64 v[44:45], v[173:174], v[14:15], v[44:45]
	v_fma_f64 v[14:15], v[171:172], v[14:15], -v[16:17]
	s_waitcnt vmcnt(5) lgkmcnt(1)
	v_mul_f64 v[50:51], v[2:3], v[20:21]
	v_mul_f64 v[20:21], v[4:5], v[20:21]
	s_waitcnt vmcnt(4) lgkmcnt(0)
	v_mul_f64 v[16:17], v[6:7], v[24:25]
	v_mul_f64 v[24:25], v[8:9], v[24:25]
	v_add_f64 v[10:11], v[12:13], v[10:11]
	v_add_f64 v[12:13], v[38:39], v[48:49]
	v_fma_f64 v[38:39], v[4:5], v[18:19], v[50:51]
	v_fma_f64 v[18:19], v[2:3], v[18:19], -v[20:21]
	v_fma_f64 v[8:9], v[8:9], v[22:23], v[16:17]
	v_fma_f64 v[6:7], v[6:7], v[22:23], -v[24:25]
	v_add_f64 v[14:15], v[10:11], v[14:15]
	v_add_f64 v[20:21], v[12:13], v[44:45]
	ds_load_b128 v[2:5], v1 offset:1664
	ds_load_b128 v[10:13], v1 offset:1680
	s_waitcnt vmcnt(3) lgkmcnt(1)
	v_mul_f64 v[44:45], v[2:3], v[28:29]
	v_mul_f64 v[28:29], v[4:5], v[28:29]
	v_add_f64 v[14:15], v[14:15], v[18:19]
	v_add_f64 v[16:17], v[20:21], v[38:39]
	s_waitcnt vmcnt(2) lgkmcnt(0)
	v_mul_f64 v[18:19], v[10:11], v[32:33]
	v_mul_f64 v[20:21], v[12:13], v[32:33]
	v_fma_f64 v[22:23], v[4:5], v[26:27], v[44:45]
	v_fma_f64 v[24:25], v[2:3], v[26:27], -v[28:29]
	v_add_f64 v[14:15], v[14:15], v[6:7]
	v_add_f64 v[16:17], v[16:17], v[8:9]
	ds_load_b128 v[2:5], v1 offset:1696
	ds_load_b128 v[6:9], v1 offset:1712
	v_fma_f64 v[12:13], v[12:13], v[30:31], v[18:19]
	v_fma_f64 v[10:11], v[10:11], v[30:31], -v[20:21]
	s_waitcnt vmcnt(1) lgkmcnt(1)
	v_mul_f64 v[26:27], v[2:3], v[36:37]
	v_mul_f64 v[28:29], v[4:5], v[36:37]
	s_waitcnt vmcnt(0) lgkmcnt(0)
	v_mul_f64 v[18:19], v[6:7], v[42:43]
	v_add_f64 v[14:15], v[14:15], v[24:25]
	v_add_f64 v[16:17], v[16:17], v[22:23]
	v_mul_f64 v[20:21], v[8:9], v[42:43]
	v_fma_f64 v[4:5], v[4:5], v[34:35], v[26:27]
	v_fma_f64 v[1:2], v[2:3], v[34:35], -v[28:29]
	v_fma_f64 v[8:9], v[8:9], v[40:41], v[18:19]
	v_add_f64 v[10:11], v[14:15], v[10:11]
	v_add_f64 v[12:13], v[16:17], v[12:13]
	v_fma_f64 v[6:7], v[6:7], v[40:41], -v[20:21]
	s_delay_alu instid0(VALU_DEP_3) | instskip(NEXT) | instid1(VALU_DEP_3)
	v_add_f64 v[1:2], v[10:11], v[1:2]
	v_add_f64 v[3:4], v[12:13], v[4:5]
	s_delay_alu instid0(VALU_DEP_2) | instskip(NEXT) | instid1(VALU_DEP_2)
	v_add_f64 v[1:2], v[1:2], v[6:7]
	v_add_f64 v[3:4], v[3:4], v[8:9]
	s_delay_alu instid0(VALU_DEP_2) | instskip(NEXT) | instid1(VALU_DEP_2)
	v_add_f64 v[1:2], v[157:158], -v[1:2]
	v_add_f64 v[3:4], v[159:160], -v[3:4]
	scratch_store_b128 off, v[1:4], off offset:528
	v_cmpx_lt_u32_e32 32, v154
	s_cbranch_execz .LBB53_273
; %bb.272:
	scratch_load_b128 v[1:4], v176, off
	v_mov_b32_e32 v5, 0
	s_delay_alu instid0(VALU_DEP_1)
	v_mov_b32_e32 v6, v5
	v_mov_b32_e32 v7, v5
	;; [unrolled: 1-line block ×3, first 2 shown]
	scratch_store_b128 off, v[5:8], off offset:512
	s_waitcnt vmcnt(0)
	ds_store_b128 v208, v[1:4]
.LBB53_273:
	s_or_b32 exec_lo, exec_lo, s2
	s_waitcnt lgkmcnt(0)
	s_waitcnt_vscnt null, 0x0
	s_barrier
	buffer_gl0_inv
	s_clause 0x7
	scratch_load_b128 v[2:5], off, off offset:528
	scratch_load_b128 v[6:9], off, off offset:544
	scratch_load_b128 v[10:13], off, off offset:560
	scratch_load_b128 v[14:17], off, off offset:576
	scratch_load_b128 v[18:21], off, off offset:592
	scratch_load_b128 v[22:25], off, off offset:608
	scratch_load_b128 v[26:29], off, off offset:624
	scratch_load_b128 v[30:33], off, off offset:640
	v_mov_b32_e32 v1, 0
	s_mov_b32 s2, exec_lo
	ds_load_b128 v[34:37], v1 offset:1392
	s_clause 0x1
	scratch_load_b128 v[38:41], off, off offset:656
	scratch_load_b128 v[42:45], off, off offset:512
	ds_load_b128 v[157:160], v1 offset:1408
	scratch_load_b128 v[171:174], off, off offset:672
	ds_load_b128 v[220:223], v1 offset:1440
	s_waitcnt vmcnt(10) lgkmcnt(2)
	v_mul_f64 v[48:49], v[36:37], v[4:5]
	v_mul_f64 v[4:5], v[34:35], v[4:5]
	s_delay_alu instid0(VALU_DEP_2) | instskip(NEXT) | instid1(VALU_DEP_2)
	v_fma_f64 v[48:49], v[34:35], v[2:3], -v[48:49]
	v_fma_f64 v[164:165], v[36:37], v[2:3], v[4:5]
	ds_load_b128 v[2:5], v1 offset:1424
	s_waitcnt vmcnt(9) lgkmcnt(2)
	v_mul_f64 v[50:51], v[157:158], v[8:9]
	v_mul_f64 v[8:9], v[159:160], v[8:9]
	scratch_load_b128 v[34:37], off, off offset:688
	s_waitcnt vmcnt(9) lgkmcnt(0)
	v_mul_f64 v[168:169], v[2:3], v[12:13]
	v_mul_f64 v[12:13], v[4:5], v[12:13]
	v_add_f64 v[48:49], v[48:49], 0
	v_fma_f64 v[50:51], v[159:160], v[6:7], v[50:51]
	v_fma_f64 v[157:158], v[157:158], v[6:7], -v[8:9]
	v_add_f64 v[159:160], v[164:165], 0
	scratch_load_b128 v[6:9], off, off offset:704
	v_fma_f64 v[168:169], v[4:5], v[10:11], v[168:169]
	v_fma_f64 v[226:227], v[2:3], v[10:11], -v[12:13]
	scratch_load_b128 v[10:13], off, off offset:720
	ds_load_b128 v[2:5], v1 offset:1456
	s_waitcnt vmcnt(10)
	v_mul_f64 v[164:165], v[220:221], v[16:17]
	v_mul_f64 v[16:17], v[222:223], v[16:17]
	v_add_f64 v[48:49], v[48:49], v[157:158]
	v_add_f64 v[50:51], v[159:160], v[50:51]
	ds_load_b128 v[157:160], v1 offset:1472
	s_waitcnt vmcnt(9) lgkmcnt(1)
	v_mul_f64 v[228:229], v[2:3], v[20:21]
	v_mul_f64 v[20:21], v[4:5], v[20:21]
	v_fma_f64 v[164:165], v[222:223], v[14:15], v[164:165]
	v_fma_f64 v[220:221], v[220:221], v[14:15], -v[16:17]
	scratch_load_b128 v[14:17], off, off offset:736
	v_add_f64 v[48:49], v[48:49], v[226:227]
	v_add_f64 v[50:51], v[50:51], v[168:169]
	v_fma_f64 v[226:227], v[4:5], v[18:19], v[228:229]
	v_fma_f64 v[228:229], v[2:3], v[18:19], -v[20:21]
	scratch_load_b128 v[18:21], off, off offset:752
	ds_load_b128 v[2:5], v1 offset:1488
	s_waitcnt vmcnt(10) lgkmcnt(1)
	v_mul_f64 v[168:169], v[157:158], v[24:25]
	v_mul_f64 v[24:25], v[159:160], v[24:25]
	v_add_f64 v[48:49], v[48:49], v[220:221]
	v_add_f64 v[50:51], v[50:51], v[164:165]
	s_waitcnt vmcnt(9) lgkmcnt(0)
	v_mul_f64 v[164:165], v[2:3], v[28:29]
	v_mul_f64 v[28:29], v[4:5], v[28:29]
	ds_load_b128 v[220:223], v1 offset:1504
	v_fma_f64 v[159:160], v[159:160], v[22:23], v[168:169]
	v_fma_f64 v[157:158], v[157:158], v[22:23], -v[24:25]
	scratch_load_b128 v[22:25], off, off offset:768
	v_add_f64 v[48:49], v[48:49], v[228:229]
	v_add_f64 v[50:51], v[50:51], v[226:227]
	v_fma_f64 v[164:165], v[4:5], v[26:27], v[164:165]
	v_fma_f64 v[226:227], v[2:3], v[26:27], -v[28:29]
	scratch_load_b128 v[26:29], off, off offset:784
	ds_load_b128 v[2:5], v1 offset:1520
	s_waitcnt vmcnt(10) lgkmcnt(1)
	v_mul_f64 v[168:169], v[220:221], v[32:33]
	v_mul_f64 v[32:33], v[222:223], v[32:33]
	s_waitcnt vmcnt(9) lgkmcnt(0)
	v_mul_f64 v[228:229], v[2:3], v[40:41]
	v_mul_f64 v[40:41], v[4:5], v[40:41]
	v_add_f64 v[48:49], v[48:49], v[157:158]
	v_add_f64 v[50:51], v[50:51], v[159:160]
	ds_load_b128 v[157:160], v1 offset:1536
	v_fma_f64 v[168:169], v[222:223], v[30:31], v[168:169]
	v_fma_f64 v[220:221], v[220:221], v[30:31], -v[32:33]
	scratch_load_b128 v[30:33], off, off offset:800
	v_add_f64 v[48:49], v[48:49], v[226:227]
	v_add_f64 v[50:51], v[50:51], v[164:165]
	v_fma_f64 v[226:227], v[4:5], v[38:39], v[228:229]
	v_fma_f64 v[228:229], v[2:3], v[38:39], -v[40:41]
	scratch_load_b128 v[38:41], off, off offset:816
	ds_load_b128 v[2:5], v1 offset:1552
	s_waitcnt vmcnt(9) lgkmcnt(1)
	v_mul_f64 v[164:165], v[157:158], v[173:174]
	v_mul_f64 v[173:174], v[159:160], v[173:174]
	v_add_f64 v[48:49], v[48:49], v[220:221]
	v_add_f64 v[50:51], v[50:51], v[168:169]
	ds_load_b128 v[220:223], v1 offset:1568
	v_fma_f64 v[164:165], v[159:160], v[171:172], v[164:165]
	v_fma_f64 v[171:172], v[157:158], v[171:172], -v[173:174]
	scratch_load_b128 v[157:160], off, off offset:832
	s_waitcnt vmcnt(9) lgkmcnt(1)
	v_mul_f64 v[168:169], v[2:3], v[36:37]
	v_mul_f64 v[36:37], v[4:5], v[36:37]
	v_add_f64 v[48:49], v[48:49], v[228:229]
	v_add_f64 v[50:51], v[50:51], v[226:227]
	s_delay_alu instid0(VALU_DEP_4) | instskip(NEXT) | instid1(VALU_DEP_4)
	v_fma_f64 v[168:169], v[4:5], v[34:35], v[168:169]
	v_fma_f64 v[228:229], v[2:3], v[34:35], -v[36:37]
	scratch_load_b128 v[34:37], off, off offset:848
	ds_load_b128 v[2:5], v1 offset:1584
	s_waitcnt vmcnt(9) lgkmcnt(1)
	v_mul_f64 v[226:227], v[220:221], v[8:9]
	v_mul_f64 v[8:9], v[222:223], v[8:9]
	v_add_f64 v[48:49], v[48:49], v[171:172]
	v_add_f64 v[50:51], v[50:51], v[164:165]
	s_waitcnt vmcnt(8) lgkmcnt(0)
	v_mul_f64 v[164:165], v[2:3], v[12:13]
	v_mul_f64 v[12:13], v[4:5], v[12:13]
	ds_load_b128 v[171:174], v1 offset:1600
	v_fma_f64 v[222:223], v[222:223], v[6:7], v[226:227]
	v_fma_f64 v[6:7], v[220:221], v[6:7], -v[8:9]
	v_add_f64 v[8:9], v[48:49], v[228:229]
	v_add_f64 v[48:49], v[50:51], v[168:169]
	s_waitcnt vmcnt(7) lgkmcnt(0)
	v_mul_f64 v[50:51], v[171:172], v[16:17]
	v_mul_f64 v[16:17], v[173:174], v[16:17]
	v_fma_f64 v[164:165], v[4:5], v[10:11], v[164:165]
	v_fma_f64 v[10:11], v[2:3], v[10:11], -v[12:13]
	v_add_f64 v[12:13], v[8:9], v[6:7]
	v_add_f64 v[48:49], v[48:49], v[222:223]
	ds_load_b128 v[2:5], v1 offset:1616
	ds_load_b128 v[6:9], v1 offset:1632
	v_fma_f64 v[50:51], v[173:174], v[14:15], v[50:51]
	v_fma_f64 v[14:15], v[171:172], v[14:15], -v[16:17]
	s_waitcnt vmcnt(6) lgkmcnt(1)
	v_mul_f64 v[168:169], v[2:3], v[20:21]
	v_mul_f64 v[20:21], v[4:5], v[20:21]
	s_waitcnt vmcnt(5) lgkmcnt(0)
	v_mul_f64 v[16:17], v[6:7], v[24:25]
	v_mul_f64 v[24:25], v[8:9], v[24:25]
	v_add_f64 v[10:11], v[12:13], v[10:11]
	v_add_f64 v[12:13], v[48:49], v[164:165]
	v_fma_f64 v[48:49], v[4:5], v[18:19], v[168:169]
	v_fma_f64 v[18:19], v[2:3], v[18:19], -v[20:21]
	v_fma_f64 v[8:9], v[8:9], v[22:23], v[16:17]
	v_fma_f64 v[6:7], v[6:7], v[22:23], -v[24:25]
	v_add_f64 v[14:15], v[10:11], v[14:15]
	v_add_f64 v[20:21], v[12:13], v[50:51]
	ds_load_b128 v[2:5], v1 offset:1648
	ds_load_b128 v[10:13], v1 offset:1664
	s_waitcnt vmcnt(4) lgkmcnt(1)
	v_mul_f64 v[50:51], v[2:3], v[28:29]
	v_mul_f64 v[28:29], v[4:5], v[28:29]
	v_add_f64 v[14:15], v[14:15], v[18:19]
	v_add_f64 v[16:17], v[20:21], v[48:49]
	s_waitcnt vmcnt(3) lgkmcnt(0)
	v_mul_f64 v[18:19], v[10:11], v[32:33]
	v_mul_f64 v[20:21], v[12:13], v[32:33]
	v_fma_f64 v[22:23], v[4:5], v[26:27], v[50:51]
	v_fma_f64 v[24:25], v[2:3], v[26:27], -v[28:29]
	v_add_f64 v[14:15], v[14:15], v[6:7]
	v_add_f64 v[16:17], v[16:17], v[8:9]
	ds_load_b128 v[2:5], v1 offset:1680
	ds_load_b128 v[6:9], v1 offset:1696
	v_fma_f64 v[12:13], v[12:13], v[30:31], v[18:19]
	v_fma_f64 v[10:11], v[10:11], v[30:31], -v[20:21]
	s_waitcnt vmcnt(2) lgkmcnt(1)
	v_mul_f64 v[26:27], v[2:3], v[40:41]
	v_mul_f64 v[28:29], v[4:5], v[40:41]
	s_waitcnt vmcnt(1) lgkmcnt(0)
	v_mul_f64 v[18:19], v[6:7], v[159:160]
	v_mul_f64 v[20:21], v[8:9], v[159:160]
	v_add_f64 v[14:15], v[14:15], v[24:25]
	v_add_f64 v[16:17], v[16:17], v[22:23]
	v_fma_f64 v[22:23], v[4:5], v[38:39], v[26:27]
	v_fma_f64 v[24:25], v[2:3], v[38:39], -v[28:29]
	ds_load_b128 v[2:5], v1 offset:1712
	v_fma_f64 v[8:9], v[8:9], v[157:158], v[18:19]
	v_fma_f64 v[6:7], v[6:7], v[157:158], -v[20:21]
	v_add_f64 v[10:11], v[14:15], v[10:11]
	v_add_f64 v[12:13], v[16:17], v[12:13]
	s_waitcnt vmcnt(0) lgkmcnt(0)
	v_mul_f64 v[14:15], v[2:3], v[36:37]
	v_mul_f64 v[16:17], v[4:5], v[36:37]
	s_delay_alu instid0(VALU_DEP_4) | instskip(NEXT) | instid1(VALU_DEP_4)
	v_add_f64 v[10:11], v[10:11], v[24:25]
	v_add_f64 v[12:13], v[12:13], v[22:23]
	s_delay_alu instid0(VALU_DEP_4) | instskip(NEXT) | instid1(VALU_DEP_4)
	v_fma_f64 v[4:5], v[4:5], v[34:35], v[14:15]
	v_fma_f64 v[2:3], v[2:3], v[34:35], -v[16:17]
	s_delay_alu instid0(VALU_DEP_4) | instskip(NEXT) | instid1(VALU_DEP_4)
	v_add_f64 v[6:7], v[10:11], v[6:7]
	v_add_f64 v[8:9], v[12:13], v[8:9]
	s_delay_alu instid0(VALU_DEP_2) | instskip(NEXT) | instid1(VALU_DEP_2)
	v_add_f64 v[2:3], v[6:7], v[2:3]
	v_add_f64 v[4:5], v[8:9], v[4:5]
	s_delay_alu instid0(VALU_DEP_2) | instskip(NEXT) | instid1(VALU_DEP_2)
	v_add_f64 v[2:3], v[42:43], -v[2:3]
	v_add_f64 v[4:5], v[44:45], -v[4:5]
	scratch_store_b128 off, v[2:5], off offset:512
	v_cmpx_lt_u32_e32 31, v154
	s_cbranch_execz .LBB53_275
; %bb.274:
	scratch_load_b128 v[5:8], v177, off
	v_mov_b32_e32 v2, v1
	v_mov_b32_e32 v3, v1
	v_mov_b32_e32 v4, v1
	scratch_store_b128 off, v[1:4], off offset:496
	s_waitcnt vmcnt(0)
	ds_store_b128 v208, v[5:8]
.LBB53_275:
	s_or_b32 exec_lo, exec_lo, s2
	s_waitcnt lgkmcnt(0)
	s_waitcnt_vscnt null, 0x0
	s_barrier
	buffer_gl0_inv
	s_clause 0x8
	scratch_load_b128 v[2:5], off, off offset:512
	scratch_load_b128 v[6:9], off, off offset:528
	;; [unrolled: 1-line block ×9, first 2 shown]
	ds_load_b128 v[38:41], v1 offset:1376
	ds_load_b128 v[42:45], v1 offset:1392
	s_clause 0x1
	scratch_load_b128 v[157:160], off, off offset:496
	scratch_load_b128 v[171:174], off, off offset:656
	s_mov_b32 s2, exec_lo
	ds_load_b128 v[220:223], v1 offset:1424
	s_waitcnt vmcnt(10) lgkmcnt(2)
	v_mul_f64 v[48:49], v[40:41], v[4:5]
	v_mul_f64 v[4:5], v[38:39], v[4:5]
	s_waitcnt vmcnt(9) lgkmcnt(1)
	v_mul_f64 v[50:51], v[42:43], v[8:9]
	v_mul_f64 v[8:9], v[44:45], v[8:9]
	s_delay_alu instid0(VALU_DEP_4) | instskip(NEXT) | instid1(VALU_DEP_4)
	v_fma_f64 v[48:49], v[38:39], v[2:3], -v[48:49]
	v_fma_f64 v[164:165], v[40:41], v[2:3], v[4:5]
	ds_load_b128 v[2:5], v1 offset:1408
	scratch_load_b128 v[38:41], off, off offset:672
	v_fma_f64 v[44:45], v[44:45], v[6:7], v[50:51]
	v_fma_f64 v[42:43], v[42:43], v[6:7], -v[8:9]
	scratch_load_b128 v[6:9], off, off offset:688
	s_waitcnt vmcnt(10) lgkmcnt(0)
	v_mul_f64 v[168:169], v[2:3], v[12:13]
	v_mul_f64 v[12:13], v[4:5], v[12:13]
	v_add_f64 v[48:49], v[48:49], 0
	v_add_f64 v[50:51], v[164:165], 0
	s_waitcnt vmcnt(9)
	v_mul_f64 v[164:165], v[220:221], v[16:17]
	v_mul_f64 v[16:17], v[222:223], v[16:17]
	v_fma_f64 v[168:169], v[4:5], v[10:11], v[168:169]
	v_fma_f64 v[226:227], v[2:3], v[10:11], -v[12:13]
	ds_load_b128 v[2:5], v1 offset:1440
	scratch_load_b128 v[10:13], off, off offset:704
	v_add_f64 v[48:49], v[48:49], v[42:43]
	v_add_f64 v[50:51], v[50:51], v[44:45]
	ds_load_b128 v[42:45], v1 offset:1456
	v_fma_f64 v[164:165], v[222:223], v[14:15], v[164:165]
	v_fma_f64 v[220:221], v[220:221], v[14:15], -v[16:17]
	scratch_load_b128 v[14:17], off, off offset:720
	s_waitcnt vmcnt(10) lgkmcnt(1)
	v_mul_f64 v[228:229], v[2:3], v[20:21]
	v_mul_f64 v[20:21], v[4:5], v[20:21]
	v_add_f64 v[48:49], v[48:49], v[226:227]
	v_add_f64 v[50:51], v[50:51], v[168:169]
	s_waitcnt vmcnt(9) lgkmcnt(0)
	v_mul_f64 v[168:169], v[42:43], v[24:25]
	v_mul_f64 v[24:25], v[44:45], v[24:25]
	v_fma_f64 v[226:227], v[4:5], v[18:19], v[228:229]
	v_fma_f64 v[228:229], v[2:3], v[18:19], -v[20:21]
	ds_load_b128 v[2:5], v1 offset:1472
	scratch_load_b128 v[18:21], off, off offset:736
	v_add_f64 v[48:49], v[48:49], v[220:221]
	v_add_f64 v[50:51], v[50:51], v[164:165]
	ds_load_b128 v[220:223], v1 offset:1488
	s_waitcnt vmcnt(9) lgkmcnt(1)
	v_mul_f64 v[164:165], v[2:3], v[28:29]
	v_mul_f64 v[28:29], v[4:5], v[28:29]
	v_fma_f64 v[44:45], v[44:45], v[22:23], v[168:169]
	v_fma_f64 v[42:43], v[42:43], v[22:23], -v[24:25]
	scratch_load_b128 v[22:25], off, off offset:752
	s_waitcnt vmcnt(9) lgkmcnt(0)
	v_mul_f64 v[168:169], v[220:221], v[32:33]
	v_mul_f64 v[32:33], v[222:223], v[32:33]
	v_add_f64 v[48:49], v[48:49], v[228:229]
	v_add_f64 v[50:51], v[50:51], v[226:227]
	v_fma_f64 v[164:165], v[4:5], v[26:27], v[164:165]
	v_fma_f64 v[226:227], v[2:3], v[26:27], -v[28:29]
	ds_load_b128 v[2:5], v1 offset:1504
	scratch_load_b128 v[26:29], off, off offset:768
	v_fma_f64 v[168:169], v[222:223], v[30:31], v[168:169]
	v_fma_f64 v[220:221], v[220:221], v[30:31], -v[32:33]
	scratch_load_b128 v[30:33], off, off offset:784
	v_add_f64 v[48:49], v[48:49], v[42:43]
	v_add_f64 v[50:51], v[50:51], v[44:45]
	ds_load_b128 v[42:45], v1 offset:1520
	s_waitcnt vmcnt(10) lgkmcnt(1)
	v_mul_f64 v[228:229], v[2:3], v[36:37]
	v_mul_f64 v[36:37], v[4:5], v[36:37]
	v_add_f64 v[48:49], v[48:49], v[226:227]
	v_add_f64 v[50:51], v[50:51], v[164:165]
	s_waitcnt vmcnt(8) lgkmcnt(0)
	v_mul_f64 v[164:165], v[42:43], v[173:174]
	v_mul_f64 v[173:174], v[44:45], v[173:174]
	v_fma_f64 v[226:227], v[4:5], v[34:35], v[228:229]
	v_fma_f64 v[228:229], v[2:3], v[34:35], -v[36:37]
	ds_load_b128 v[2:5], v1 offset:1536
	scratch_load_b128 v[34:37], off, off offset:800
	v_add_f64 v[48:49], v[48:49], v[220:221]
	v_add_f64 v[50:51], v[50:51], v[168:169]
	ds_load_b128 v[220:223], v1 offset:1552
	v_fma_f64 v[44:45], v[44:45], v[171:172], v[164:165]
	v_fma_f64 v[164:165], v[42:43], v[171:172], -v[173:174]
	scratch_load_b128 v[171:174], off, off offset:832
	s_waitcnt vmcnt(9) lgkmcnt(1)
	v_mul_f64 v[168:169], v[2:3], v[40:41]
	v_mul_f64 v[230:231], v[4:5], v[40:41]
	scratch_load_b128 v[40:43], off, off offset:816
	s_waitcnt vmcnt(9) lgkmcnt(0)
	v_mul_f64 v[232:233], v[220:221], v[8:9]
	v_mul_f64 v[8:9], v[222:223], v[8:9]
	v_add_f64 v[48:49], v[48:49], v[228:229]
	v_add_f64 v[50:51], v[50:51], v[226:227]
	ds_load_b128 v[226:229], v1 offset:1584
	v_fma_f64 v[168:169], v[4:5], v[38:39], v[168:169]
	v_fma_f64 v[38:39], v[2:3], v[38:39], -v[230:231]
	ds_load_b128 v[2:5], v1 offset:1568
	v_fma_f64 v[220:221], v[220:221], v[6:7], -v[8:9]
	v_add_f64 v[48:49], v[48:49], v[164:165]
	v_add_f64 v[44:45], v[50:51], v[44:45]
	v_fma_f64 v[164:165], v[222:223], v[6:7], v[232:233]
	s_waitcnt vmcnt(8) lgkmcnt(0)
	v_mul_f64 v[50:51], v[2:3], v[12:13]
	v_mul_f64 v[12:13], v[4:5], v[12:13]
	scratch_load_b128 v[6:9], off, off offset:848
	v_add_f64 v[38:39], v[48:49], v[38:39]
	v_add_f64 v[44:45], v[44:45], v[168:169]
	s_waitcnt vmcnt(8)
	v_mul_f64 v[48:49], v[226:227], v[16:17]
	v_mul_f64 v[16:17], v[228:229], v[16:17]
	v_fma_f64 v[50:51], v[4:5], v[10:11], v[50:51]
	v_fma_f64 v[168:169], v[2:3], v[10:11], -v[12:13]
	ds_load_b128 v[2:5], v1 offset:1600
	ds_load_b128 v[10:13], v1 offset:1616
	v_add_f64 v[38:39], v[38:39], v[220:221]
	v_add_f64 v[44:45], v[44:45], v[164:165]
	s_waitcnt vmcnt(7) lgkmcnt(1)
	v_mul_f64 v[164:165], v[2:3], v[20:21]
	v_mul_f64 v[20:21], v[4:5], v[20:21]
	v_fma_f64 v[48:49], v[228:229], v[14:15], v[48:49]
	v_fma_f64 v[14:15], v[226:227], v[14:15], -v[16:17]
	v_add_f64 v[16:17], v[38:39], v[168:169]
	v_add_f64 v[38:39], v[44:45], v[50:51]
	s_waitcnt vmcnt(6) lgkmcnt(0)
	v_mul_f64 v[44:45], v[10:11], v[24:25]
	v_mul_f64 v[24:25], v[12:13], v[24:25]
	v_fma_f64 v[50:51], v[4:5], v[18:19], v[164:165]
	v_fma_f64 v[18:19], v[2:3], v[18:19], -v[20:21]
	v_add_f64 v[20:21], v[16:17], v[14:15]
	v_add_f64 v[38:39], v[38:39], v[48:49]
	ds_load_b128 v[2:5], v1 offset:1632
	ds_load_b128 v[14:17], v1 offset:1648
	v_fma_f64 v[12:13], v[12:13], v[22:23], v[44:45]
	v_fma_f64 v[10:11], v[10:11], v[22:23], -v[24:25]
	s_waitcnt vmcnt(5) lgkmcnt(1)
	v_mul_f64 v[48:49], v[2:3], v[28:29]
	v_mul_f64 v[28:29], v[4:5], v[28:29]
	s_waitcnt vmcnt(4) lgkmcnt(0)
	v_mul_f64 v[22:23], v[14:15], v[32:33]
	v_mul_f64 v[24:25], v[16:17], v[32:33]
	v_add_f64 v[18:19], v[20:21], v[18:19]
	v_add_f64 v[20:21], v[38:39], v[50:51]
	v_fma_f64 v[32:33], v[4:5], v[26:27], v[48:49]
	v_fma_f64 v[26:27], v[2:3], v[26:27], -v[28:29]
	v_fma_f64 v[16:17], v[16:17], v[30:31], v[22:23]
	v_fma_f64 v[14:15], v[14:15], v[30:31], -v[24:25]
	v_add_f64 v[18:19], v[18:19], v[10:11]
	v_add_f64 v[20:21], v[20:21], v[12:13]
	ds_load_b128 v[2:5], v1 offset:1664
	ds_load_b128 v[10:13], v1 offset:1680
	s_waitcnt vmcnt(3) lgkmcnt(1)
	v_mul_f64 v[28:29], v[2:3], v[36:37]
	v_mul_f64 v[36:37], v[4:5], v[36:37]
	s_waitcnt vmcnt(1) lgkmcnt(0)
	v_mul_f64 v[22:23], v[10:11], v[42:43]
	v_add_f64 v[18:19], v[18:19], v[26:27]
	v_add_f64 v[20:21], v[20:21], v[32:33]
	v_mul_f64 v[24:25], v[12:13], v[42:43]
	v_fma_f64 v[26:27], v[4:5], v[34:35], v[28:29]
	v_fma_f64 v[28:29], v[2:3], v[34:35], -v[36:37]
	v_fma_f64 v[12:13], v[12:13], v[40:41], v[22:23]
	v_add_f64 v[18:19], v[18:19], v[14:15]
	v_add_f64 v[20:21], v[20:21], v[16:17]
	ds_load_b128 v[2:5], v1 offset:1696
	ds_load_b128 v[14:17], v1 offset:1712
	v_fma_f64 v[10:11], v[10:11], v[40:41], -v[24:25]
	s_waitcnt lgkmcnt(1)
	v_mul_f64 v[30:31], v[2:3], v[173:174]
	v_mul_f64 v[32:33], v[4:5], v[173:174]
	s_waitcnt vmcnt(0) lgkmcnt(0)
	v_mul_f64 v[22:23], v[14:15], v[8:9]
	v_mul_f64 v[8:9], v[16:17], v[8:9]
	v_add_f64 v[18:19], v[18:19], v[28:29]
	v_add_f64 v[20:21], v[20:21], v[26:27]
	v_fma_f64 v[4:5], v[4:5], v[171:172], v[30:31]
	v_fma_f64 v[1:2], v[2:3], v[171:172], -v[32:33]
	v_fma_f64 v[16:17], v[16:17], v[6:7], v[22:23]
	v_fma_f64 v[6:7], v[14:15], v[6:7], -v[8:9]
	v_add_f64 v[10:11], v[18:19], v[10:11]
	v_add_f64 v[12:13], v[20:21], v[12:13]
	s_delay_alu instid0(VALU_DEP_2) | instskip(NEXT) | instid1(VALU_DEP_2)
	v_add_f64 v[1:2], v[10:11], v[1:2]
	v_add_f64 v[3:4], v[12:13], v[4:5]
	s_delay_alu instid0(VALU_DEP_2) | instskip(NEXT) | instid1(VALU_DEP_2)
	;; [unrolled: 3-line block ×3, first 2 shown]
	v_add_f64 v[1:2], v[157:158], -v[1:2]
	v_add_f64 v[3:4], v[159:160], -v[3:4]
	scratch_store_b128 off, v[1:4], off offset:496
	v_cmpx_lt_u32_e32 30, v154
	s_cbranch_execz .LBB53_277
; %bb.276:
	scratch_load_b128 v[1:4], v178, off
	v_mov_b32_e32 v5, 0
	s_delay_alu instid0(VALU_DEP_1)
	v_mov_b32_e32 v6, v5
	v_mov_b32_e32 v7, v5
	;; [unrolled: 1-line block ×3, first 2 shown]
	scratch_store_b128 off, v[5:8], off offset:480
	s_waitcnt vmcnt(0)
	ds_store_b128 v208, v[1:4]
.LBB53_277:
	s_or_b32 exec_lo, exec_lo, s2
	s_waitcnt lgkmcnt(0)
	s_waitcnt_vscnt null, 0x0
	s_barrier
	buffer_gl0_inv
	s_clause 0x7
	scratch_load_b128 v[2:5], off, off offset:496
	scratch_load_b128 v[6:9], off, off offset:512
	;; [unrolled: 1-line block ×8, first 2 shown]
	v_mov_b32_e32 v1, 0
	s_mov_b32 s2, exec_lo
	ds_load_b128 v[34:37], v1 offset:1360
	s_clause 0x1
	scratch_load_b128 v[38:41], off, off offset:624
	scratch_load_b128 v[42:45], off, off offset:480
	ds_load_b128 v[157:160], v1 offset:1376
	scratch_load_b128 v[171:174], off, off offset:640
	ds_load_b128 v[220:223], v1 offset:1408
	s_waitcnt vmcnt(10) lgkmcnt(2)
	v_mul_f64 v[48:49], v[36:37], v[4:5]
	v_mul_f64 v[4:5], v[34:35], v[4:5]
	s_delay_alu instid0(VALU_DEP_2) | instskip(NEXT) | instid1(VALU_DEP_2)
	v_fma_f64 v[48:49], v[34:35], v[2:3], -v[48:49]
	v_fma_f64 v[164:165], v[36:37], v[2:3], v[4:5]
	ds_load_b128 v[2:5], v1 offset:1392
	s_waitcnt vmcnt(9) lgkmcnt(2)
	v_mul_f64 v[50:51], v[157:158], v[8:9]
	v_mul_f64 v[8:9], v[159:160], v[8:9]
	scratch_load_b128 v[34:37], off, off offset:656
	s_waitcnt vmcnt(9) lgkmcnt(0)
	v_mul_f64 v[168:169], v[2:3], v[12:13]
	v_mul_f64 v[12:13], v[4:5], v[12:13]
	v_add_f64 v[48:49], v[48:49], 0
	v_fma_f64 v[50:51], v[159:160], v[6:7], v[50:51]
	v_fma_f64 v[157:158], v[157:158], v[6:7], -v[8:9]
	v_add_f64 v[159:160], v[164:165], 0
	scratch_load_b128 v[6:9], off, off offset:672
	v_fma_f64 v[168:169], v[4:5], v[10:11], v[168:169]
	v_fma_f64 v[226:227], v[2:3], v[10:11], -v[12:13]
	scratch_load_b128 v[10:13], off, off offset:688
	ds_load_b128 v[2:5], v1 offset:1424
	s_waitcnt vmcnt(10)
	v_mul_f64 v[164:165], v[220:221], v[16:17]
	v_mul_f64 v[16:17], v[222:223], v[16:17]
	v_add_f64 v[48:49], v[48:49], v[157:158]
	v_add_f64 v[50:51], v[159:160], v[50:51]
	ds_load_b128 v[157:160], v1 offset:1440
	s_waitcnt vmcnt(9) lgkmcnt(1)
	v_mul_f64 v[228:229], v[2:3], v[20:21]
	v_mul_f64 v[20:21], v[4:5], v[20:21]
	v_fma_f64 v[164:165], v[222:223], v[14:15], v[164:165]
	v_fma_f64 v[220:221], v[220:221], v[14:15], -v[16:17]
	scratch_load_b128 v[14:17], off, off offset:704
	v_add_f64 v[48:49], v[48:49], v[226:227]
	v_add_f64 v[50:51], v[50:51], v[168:169]
	v_fma_f64 v[226:227], v[4:5], v[18:19], v[228:229]
	v_fma_f64 v[228:229], v[2:3], v[18:19], -v[20:21]
	scratch_load_b128 v[18:21], off, off offset:720
	ds_load_b128 v[2:5], v1 offset:1456
	s_waitcnt vmcnt(10) lgkmcnt(1)
	v_mul_f64 v[168:169], v[157:158], v[24:25]
	v_mul_f64 v[24:25], v[159:160], v[24:25]
	v_add_f64 v[48:49], v[48:49], v[220:221]
	v_add_f64 v[50:51], v[50:51], v[164:165]
	s_waitcnt vmcnt(9) lgkmcnt(0)
	v_mul_f64 v[164:165], v[2:3], v[28:29]
	v_mul_f64 v[28:29], v[4:5], v[28:29]
	ds_load_b128 v[220:223], v1 offset:1472
	v_fma_f64 v[159:160], v[159:160], v[22:23], v[168:169]
	v_fma_f64 v[157:158], v[157:158], v[22:23], -v[24:25]
	scratch_load_b128 v[22:25], off, off offset:736
	v_add_f64 v[48:49], v[48:49], v[228:229]
	v_add_f64 v[50:51], v[50:51], v[226:227]
	v_fma_f64 v[164:165], v[4:5], v[26:27], v[164:165]
	v_fma_f64 v[226:227], v[2:3], v[26:27], -v[28:29]
	scratch_load_b128 v[26:29], off, off offset:752
	ds_load_b128 v[2:5], v1 offset:1488
	s_waitcnt vmcnt(10) lgkmcnt(1)
	v_mul_f64 v[168:169], v[220:221], v[32:33]
	v_mul_f64 v[32:33], v[222:223], v[32:33]
	s_waitcnt vmcnt(9) lgkmcnt(0)
	v_mul_f64 v[228:229], v[2:3], v[40:41]
	v_mul_f64 v[40:41], v[4:5], v[40:41]
	v_add_f64 v[48:49], v[48:49], v[157:158]
	v_add_f64 v[50:51], v[50:51], v[159:160]
	ds_load_b128 v[157:160], v1 offset:1504
	v_fma_f64 v[168:169], v[222:223], v[30:31], v[168:169]
	v_fma_f64 v[220:221], v[220:221], v[30:31], -v[32:33]
	scratch_load_b128 v[30:33], off, off offset:768
	v_add_f64 v[48:49], v[48:49], v[226:227]
	v_add_f64 v[50:51], v[50:51], v[164:165]
	v_fma_f64 v[226:227], v[4:5], v[38:39], v[228:229]
	v_fma_f64 v[228:229], v[2:3], v[38:39], -v[40:41]
	scratch_load_b128 v[38:41], off, off offset:784
	ds_load_b128 v[2:5], v1 offset:1520
	s_waitcnt vmcnt(9) lgkmcnt(1)
	v_mul_f64 v[164:165], v[157:158], v[173:174]
	v_mul_f64 v[173:174], v[159:160], v[173:174]
	v_add_f64 v[48:49], v[48:49], v[220:221]
	v_add_f64 v[50:51], v[50:51], v[168:169]
	ds_load_b128 v[220:223], v1 offset:1536
	v_fma_f64 v[164:165], v[159:160], v[171:172], v[164:165]
	v_fma_f64 v[171:172], v[157:158], v[171:172], -v[173:174]
	scratch_load_b128 v[157:160], off, off offset:800
	s_waitcnt vmcnt(9) lgkmcnt(1)
	v_mul_f64 v[168:169], v[2:3], v[36:37]
	v_mul_f64 v[36:37], v[4:5], v[36:37]
	v_add_f64 v[48:49], v[48:49], v[228:229]
	v_add_f64 v[50:51], v[50:51], v[226:227]
	s_delay_alu instid0(VALU_DEP_4) | instskip(NEXT) | instid1(VALU_DEP_4)
	v_fma_f64 v[168:169], v[4:5], v[34:35], v[168:169]
	v_fma_f64 v[228:229], v[2:3], v[34:35], -v[36:37]
	scratch_load_b128 v[34:37], off, off offset:816
	ds_load_b128 v[2:5], v1 offset:1552
	s_waitcnt vmcnt(9) lgkmcnt(1)
	v_mul_f64 v[226:227], v[220:221], v[8:9]
	v_mul_f64 v[8:9], v[222:223], v[8:9]
	v_add_f64 v[48:49], v[48:49], v[171:172]
	v_add_f64 v[50:51], v[50:51], v[164:165]
	s_waitcnt vmcnt(8) lgkmcnt(0)
	v_mul_f64 v[164:165], v[2:3], v[12:13]
	v_mul_f64 v[12:13], v[4:5], v[12:13]
	ds_load_b128 v[171:174], v1 offset:1568
	v_fma_f64 v[222:223], v[222:223], v[6:7], v[226:227]
	v_fma_f64 v[220:221], v[220:221], v[6:7], -v[8:9]
	scratch_load_b128 v[6:9], off, off offset:832
	v_add_f64 v[48:49], v[48:49], v[228:229]
	v_add_f64 v[50:51], v[50:51], v[168:169]
	v_fma_f64 v[164:165], v[4:5], v[10:11], v[164:165]
	v_fma_f64 v[226:227], v[2:3], v[10:11], -v[12:13]
	scratch_load_b128 v[10:13], off, off offset:848
	ds_load_b128 v[2:5], v1 offset:1584
	s_waitcnt vmcnt(9) lgkmcnt(1)
	v_mul_f64 v[168:169], v[171:172], v[16:17]
	v_mul_f64 v[16:17], v[173:174], v[16:17]
	s_waitcnt vmcnt(8) lgkmcnt(0)
	v_mul_f64 v[228:229], v[2:3], v[20:21]
	v_mul_f64 v[20:21], v[4:5], v[20:21]
	v_add_f64 v[48:49], v[48:49], v[220:221]
	v_add_f64 v[50:51], v[50:51], v[222:223]
	ds_load_b128 v[220:223], v1 offset:1600
	v_fma_f64 v[168:169], v[173:174], v[14:15], v[168:169]
	v_fma_f64 v[14:15], v[171:172], v[14:15], -v[16:17]
	v_add_f64 v[16:17], v[48:49], v[226:227]
	v_add_f64 v[48:49], v[50:51], v[164:165]
	s_waitcnt vmcnt(7) lgkmcnt(0)
	v_mul_f64 v[50:51], v[220:221], v[24:25]
	v_mul_f64 v[24:25], v[222:223], v[24:25]
	v_fma_f64 v[164:165], v[4:5], v[18:19], v[228:229]
	v_fma_f64 v[18:19], v[2:3], v[18:19], -v[20:21]
	v_add_f64 v[20:21], v[16:17], v[14:15]
	v_add_f64 v[48:49], v[48:49], v[168:169]
	ds_load_b128 v[2:5], v1 offset:1616
	ds_load_b128 v[14:17], v1 offset:1632
	v_fma_f64 v[50:51], v[222:223], v[22:23], v[50:51]
	v_fma_f64 v[22:23], v[220:221], v[22:23], -v[24:25]
	s_waitcnt vmcnt(6) lgkmcnt(1)
	v_mul_f64 v[168:169], v[2:3], v[28:29]
	v_mul_f64 v[28:29], v[4:5], v[28:29]
	s_waitcnt vmcnt(5) lgkmcnt(0)
	v_mul_f64 v[24:25], v[14:15], v[32:33]
	v_mul_f64 v[32:33], v[16:17], v[32:33]
	v_add_f64 v[18:19], v[20:21], v[18:19]
	v_add_f64 v[20:21], v[48:49], v[164:165]
	v_fma_f64 v[48:49], v[4:5], v[26:27], v[168:169]
	v_fma_f64 v[26:27], v[2:3], v[26:27], -v[28:29]
	v_fma_f64 v[16:17], v[16:17], v[30:31], v[24:25]
	v_fma_f64 v[14:15], v[14:15], v[30:31], -v[32:33]
	v_add_f64 v[22:23], v[18:19], v[22:23]
	v_add_f64 v[28:29], v[20:21], v[50:51]
	ds_load_b128 v[2:5], v1 offset:1648
	ds_load_b128 v[18:21], v1 offset:1664
	s_waitcnt vmcnt(4) lgkmcnt(1)
	v_mul_f64 v[50:51], v[2:3], v[40:41]
	v_mul_f64 v[40:41], v[4:5], v[40:41]
	v_add_f64 v[22:23], v[22:23], v[26:27]
	v_add_f64 v[24:25], v[28:29], v[48:49]
	s_waitcnt vmcnt(3) lgkmcnt(0)
	v_mul_f64 v[26:27], v[18:19], v[159:160]
	v_mul_f64 v[28:29], v[20:21], v[159:160]
	v_fma_f64 v[30:31], v[4:5], v[38:39], v[50:51]
	v_fma_f64 v[32:33], v[2:3], v[38:39], -v[40:41]
	v_add_f64 v[22:23], v[22:23], v[14:15]
	v_add_f64 v[24:25], v[24:25], v[16:17]
	ds_load_b128 v[2:5], v1 offset:1680
	ds_load_b128 v[14:17], v1 offset:1696
	v_fma_f64 v[20:21], v[20:21], v[157:158], v[26:27]
	v_fma_f64 v[18:19], v[18:19], v[157:158], -v[28:29]
	s_waitcnt vmcnt(2) lgkmcnt(1)
	v_mul_f64 v[38:39], v[2:3], v[36:37]
	v_mul_f64 v[36:37], v[4:5], v[36:37]
	v_add_f64 v[22:23], v[22:23], v[32:33]
	v_add_f64 v[24:25], v[24:25], v[30:31]
	s_waitcnt vmcnt(1) lgkmcnt(0)
	v_mul_f64 v[26:27], v[14:15], v[8:9]
	v_mul_f64 v[8:9], v[16:17], v[8:9]
	v_fma_f64 v[28:29], v[4:5], v[34:35], v[38:39]
	v_fma_f64 v[30:31], v[2:3], v[34:35], -v[36:37]
	ds_load_b128 v[2:5], v1 offset:1712
	v_add_f64 v[18:19], v[22:23], v[18:19]
	v_add_f64 v[20:21], v[24:25], v[20:21]
	v_fma_f64 v[16:17], v[16:17], v[6:7], v[26:27]
	v_fma_f64 v[6:7], v[14:15], v[6:7], -v[8:9]
	s_waitcnt vmcnt(0) lgkmcnt(0)
	v_mul_f64 v[22:23], v[2:3], v[12:13]
	v_mul_f64 v[12:13], v[4:5], v[12:13]
	v_add_f64 v[8:9], v[18:19], v[30:31]
	v_add_f64 v[14:15], v[20:21], v[28:29]
	s_delay_alu instid0(VALU_DEP_4) | instskip(NEXT) | instid1(VALU_DEP_4)
	v_fma_f64 v[4:5], v[4:5], v[10:11], v[22:23]
	v_fma_f64 v[2:3], v[2:3], v[10:11], -v[12:13]
	s_delay_alu instid0(VALU_DEP_4) | instskip(NEXT) | instid1(VALU_DEP_4)
	v_add_f64 v[6:7], v[8:9], v[6:7]
	v_add_f64 v[8:9], v[14:15], v[16:17]
	s_delay_alu instid0(VALU_DEP_2) | instskip(NEXT) | instid1(VALU_DEP_2)
	v_add_f64 v[2:3], v[6:7], v[2:3]
	v_add_f64 v[4:5], v[8:9], v[4:5]
	s_delay_alu instid0(VALU_DEP_2) | instskip(NEXT) | instid1(VALU_DEP_2)
	v_add_f64 v[2:3], v[42:43], -v[2:3]
	v_add_f64 v[4:5], v[44:45], -v[4:5]
	scratch_store_b128 off, v[2:5], off offset:480
	v_cmpx_lt_u32_e32 29, v154
	s_cbranch_execz .LBB53_279
; %bb.278:
	scratch_load_b128 v[5:8], v179, off
	v_mov_b32_e32 v2, v1
	v_mov_b32_e32 v3, v1
	;; [unrolled: 1-line block ×3, first 2 shown]
	scratch_store_b128 off, v[1:4], off offset:464
	s_waitcnt vmcnt(0)
	ds_store_b128 v208, v[5:8]
.LBB53_279:
	s_or_b32 exec_lo, exec_lo, s2
	s_waitcnt lgkmcnt(0)
	s_waitcnt_vscnt null, 0x0
	s_barrier
	buffer_gl0_inv
	s_clause 0x8
	scratch_load_b128 v[2:5], off, off offset:480
	scratch_load_b128 v[6:9], off, off offset:496
	;; [unrolled: 1-line block ×9, first 2 shown]
	ds_load_b128 v[38:41], v1 offset:1344
	ds_load_b128 v[42:45], v1 offset:1360
	s_clause 0x1
	scratch_load_b128 v[157:160], off, off offset:464
	scratch_load_b128 v[171:174], off, off offset:624
	s_mov_b32 s2, exec_lo
	ds_load_b128 v[220:223], v1 offset:1392
	s_waitcnt vmcnt(10) lgkmcnt(2)
	v_mul_f64 v[48:49], v[40:41], v[4:5]
	v_mul_f64 v[4:5], v[38:39], v[4:5]
	s_waitcnt vmcnt(9) lgkmcnt(1)
	v_mul_f64 v[50:51], v[42:43], v[8:9]
	v_mul_f64 v[8:9], v[44:45], v[8:9]
	s_delay_alu instid0(VALU_DEP_4) | instskip(NEXT) | instid1(VALU_DEP_4)
	v_fma_f64 v[48:49], v[38:39], v[2:3], -v[48:49]
	v_fma_f64 v[164:165], v[40:41], v[2:3], v[4:5]
	ds_load_b128 v[2:5], v1 offset:1376
	scratch_load_b128 v[38:41], off, off offset:640
	v_fma_f64 v[44:45], v[44:45], v[6:7], v[50:51]
	v_fma_f64 v[42:43], v[42:43], v[6:7], -v[8:9]
	scratch_load_b128 v[6:9], off, off offset:656
	s_waitcnt vmcnt(10) lgkmcnt(0)
	v_mul_f64 v[168:169], v[2:3], v[12:13]
	v_mul_f64 v[12:13], v[4:5], v[12:13]
	v_add_f64 v[48:49], v[48:49], 0
	v_add_f64 v[50:51], v[164:165], 0
	s_waitcnt vmcnt(9)
	v_mul_f64 v[164:165], v[220:221], v[16:17]
	v_mul_f64 v[16:17], v[222:223], v[16:17]
	v_fma_f64 v[168:169], v[4:5], v[10:11], v[168:169]
	v_fma_f64 v[226:227], v[2:3], v[10:11], -v[12:13]
	ds_load_b128 v[2:5], v1 offset:1408
	scratch_load_b128 v[10:13], off, off offset:672
	v_add_f64 v[48:49], v[48:49], v[42:43]
	v_add_f64 v[50:51], v[50:51], v[44:45]
	ds_load_b128 v[42:45], v1 offset:1424
	v_fma_f64 v[164:165], v[222:223], v[14:15], v[164:165]
	v_fma_f64 v[220:221], v[220:221], v[14:15], -v[16:17]
	scratch_load_b128 v[14:17], off, off offset:688
	s_waitcnt vmcnt(10) lgkmcnt(1)
	v_mul_f64 v[228:229], v[2:3], v[20:21]
	v_mul_f64 v[20:21], v[4:5], v[20:21]
	v_add_f64 v[48:49], v[48:49], v[226:227]
	v_add_f64 v[50:51], v[50:51], v[168:169]
	s_waitcnt vmcnt(9) lgkmcnt(0)
	v_mul_f64 v[168:169], v[42:43], v[24:25]
	v_mul_f64 v[24:25], v[44:45], v[24:25]
	v_fma_f64 v[226:227], v[4:5], v[18:19], v[228:229]
	v_fma_f64 v[228:229], v[2:3], v[18:19], -v[20:21]
	ds_load_b128 v[2:5], v1 offset:1440
	scratch_load_b128 v[18:21], off, off offset:704
	v_add_f64 v[48:49], v[48:49], v[220:221]
	v_add_f64 v[50:51], v[50:51], v[164:165]
	ds_load_b128 v[220:223], v1 offset:1456
	s_waitcnt vmcnt(9) lgkmcnt(1)
	v_mul_f64 v[164:165], v[2:3], v[28:29]
	v_mul_f64 v[28:29], v[4:5], v[28:29]
	v_fma_f64 v[44:45], v[44:45], v[22:23], v[168:169]
	v_fma_f64 v[42:43], v[42:43], v[22:23], -v[24:25]
	scratch_load_b128 v[22:25], off, off offset:720
	s_waitcnt vmcnt(9) lgkmcnt(0)
	v_mul_f64 v[168:169], v[220:221], v[32:33]
	v_mul_f64 v[32:33], v[222:223], v[32:33]
	v_add_f64 v[48:49], v[48:49], v[228:229]
	v_add_f64 v[50:51], v[50:51], v[226:227]
	v_fma_f64 v[164:165], v[4:5], v[26:27], v[164:165]
	v_fma_f64 v[226:227], v[2:3], v[26:27], -v[28:29]
	ds_load_b128 v[2:5], v1 offset:1472
	scratch_load_b128 v[26:29], off, off offset:736
	v_fma_f64 v[168:169], v[222:223], v[30:31], v[168:169]
	v_fma_f64 v[220:221], v[220:221], v[30:31], -v[32:33]
	scratch_load_b128 v[30:33], off, off offset:752
	v_add_f64 v[48:49], v[48:49], v[42:43]
	v_add_f64 v[50:51], v[50:51], v[44:45]
	ds_load_b128 v[42:45], v1 offset:1488
	s_waitcnt vmcnt(10) lgkmcnt(1)
	v_mul_f64 v[228:229], v[2:3], v[36:37]
	v_mul_f64 v[36:37], v[4:5], v[36:37]
	v_add_f64 v[48:49], v[48:49], v[226:227]
	v_add_f64 v[50:51], v[50:51], v[164:165]
	s_waitcnt vmcnt(8) lgkmcnt(0)
	v_mul_f64 v[164:165], v[42:43], v[173:174]
	v_mul_f64 v[173:174], v[44:45], v[173:174]
	v_fma_f64 v[226:227], v[4:5], v[34:35], v[228:229]
	v_fma_f64 v[228:229], v[2:3], v[34:35], -v[36:37]
	ds_load_b128 v[2:5], v1 offset:1504
	scratch_load_b128 v[34:37], off, off offset:768
	v_add_f64 v[48:49], v[48:49], v[220:221]
	v_add_f64 v[50:51], v[50:51], v[168:169]
	ds_load_b128 v[220:223], v1 offset:1520
	v_fma_f64 v[44:45], v[44:45], v[171:172], v[164:165]
	v_fma_f64 v[164:165], v[42:43], v[171:172], -v[173:174]
	scratch_load_b128 v[171:174], off, off offset:800
	s_waitcnt vmcnt(9) lgkmcnt(1)
	v_mul_f64 v[168:169], v[2:3], v[40:41]
	v_mul_f64 v[230:231], v[4:5], v[40:41]
	scratch_load_b128 v[40:43], off, off offset:784
	s_waitcnt vmcnt(9) lgkmcnt(0)
	v_mul_f64 v[232:233], v[220:221], v[8:9]
	v_mul_f64 v[8:9], v[222:223], v[8:9]
	v_add_f64 v[48:49], v[48:49], v[228:229]
	v_add_f64 v[50:51], v[50:51], v[226:227]
	ds_load_b128 v[226:229], v1 offset:1552
	v_fma_f64 v[168:169], v[4:5], v[38:39], v[168:169]
	v_fma_f64 v[38:39], v[2:3], v[38:39], -v[230:231]
	ds_load_b128 v[2:5], v1 offset:1536
	v_fma_f64 v[220:221], v[220:221], v[6:7], -v[8:9]
	v_add_f64 v[48:49], v[48:49], v[164:165]
	v_add_f64 v[44:45], v[50:51], v[44:45]
	v_fma_f64 v[164:165], v[222:223], v[6:7], v[232:233]
	s_waitcnt vmcnt(8) lgkmcnt(0)
	v_mul_f64 v[50:51], v[2:3], v[12:13]
	v_mul_f64 v[12:13], v[4:5], v[12:13]
	scratch_load_b128 v[6:9], off, off offset:816
	v_add_f64 v[38:39], v[48:49], v[38:39]
	v_add_f64 v[44:45], v[44:45], v[168:169]
	s_waitcnt vmcnt(8)
	v_mul_f64 v[48:49], v[226:227], v[16:17]
	v_mul_f64 v[16:17], v[228:229], v[16:17]
	v_fma_f64 v[50:51], v[4:5], v[10:11], v[50:51]
	v_fma_f64 v[168:169], v[2:3], v[10:11], -v[12:13]
	ds_load_b128 v[2:5], v1 offset:1568
	scratch_load_b128 v[10:13], off, off offset:832
	v_add_f64 v[38:39], v[38:39], v[220:221]
	v_add_f64 v[44:45], v[44:45], v[164:165]
	ds_load_b128 v[220:223], v1 offset:1584
	s_waitcnt vmcnt(8) lgkmcnt(1)
	v_mul_f64 v[164:165], v[2:3], v[20:21]
	v_mul_f64 v[20:21], v[4:5], v[20:21]
	v_fma_f64 v[48:49], v[228:229], v[14:15], v[48:49]
	v_fma_f64 v[226:227], v[226:227], v[14:15], -v[16:17]
	scratch_load_b128 v[14:17], off, off offset:848
	v_add_f64 v[38:39], v[38:39], v[168:169]
	v_add_f64 v[44:45], v[44:45], v[50:51]
	s_waitcnt vmcnt(8) lgkmcnt(0)
	v_mul_f64 v[50:51], v[220:221], v[24:25]
	v_mul_f64 v[24:25], v[222:223], v[24:25]
	v_fma_f64 v[164:165], v[4:5], v[18:19], v[164:165]
	v_fma_f64 v[168:169], v[2:3], v[18:19], -v[20:21]
	ds_load_b128 v[2:5], v1 offset:1600
	ds_load_b128 v[18:21], v1 offset:1616
	v_add_f64 v[38:39], v[38:39], v[226:227]
	v_add_f64 v[44:45], v[44:45], v[48:49]
	s_waitcnt vmcnt(7) lgkmcnt(1)
	v_mul_f64 v[48:49], v[2:3], v[28:29]
	v_mul_f64 v[28:29], v[4:5], v[28:29]
	v_fma_f64 v[50:51], v[222:223], v[22:23], v[50:51]
	v_fma_f64 v[22:23], v[220:221], v[22:23], -v[24:25]
	v_add_f64 v[24:25], v[38:39], v[168:169]
	v_add_f64 v[38:39], v[44:45], v[164:165]
	s_waitcnt vmcnt(6) lgkmcnt(0)
	v_mul_f64 v[44:45], v[18:19], v[32:33]
	v_mul_f64 v[32:33], v[20:21], v[32:33]
	v_fma_f64 v[48:49], v[4:5], v[26:27], v[48:49]
	v_fma_f64 v[26:27], v[2:3], v[26:27], -v[28:29]
	v_add_f64 v[28:29], v[24:25], v[22:23]
	v_add_f64 v[38:39], v[38:39], v[50:51]
	ds_load_b128 v[2:5], v1 offset:1632
	ds_load_b128 v[22:25], v1 offset:1648
	v_fma_f64 v[20:21], v[20:21], v[30:31], v[44:45]
	v_fma_f64 v[18:19], v[18:19], v[30:31], -v[32:33]
	s_waitcnt vmcnt(5) lgkmcnt(1)
	v_mul_f64 v[50:51], v[2:3], v[36:37]
	v_mul_f64 v[36:37], v[4:5], v[36:37]
	s_waitcnt vmcnt(3) lgkmcnt(0)
	v_mul_f64 v[30:31], v[22:23], v[42:43]
	v_add_f64 v[26:27], v[28:29], v[26:27]
	v_add_f64 v[28:29], v[38:39], v[48:49]
	v_mul_f64 v[32:33], v[24:25], v[42:43]
	v_fma_f64 v[38:39], v[4:5], v[34:35], v[50:51]
	v_fma_f64 v[34:35], v[2:3], v[34:35], -v[36:37]
	v_fma_f64 v[24:25], v[24:25], v[40:41], v[30:31]
	v_add_f64 v[26:27], v[26:27], v[18:19]
	v_add_f64 v[28:29], v[28:29], v[20:21]
	ds_load_b128 v[2:5], v1 offset:1664
	ds_load_b128 v[18:21], v1 offset:1680
	v_fma_f64 v[22:23], v[22:23], v[40:41], -v[32:33]
	s_waitcnt lgkmcnt(1)
	v_mul_f64 v[36:37], v[2:3], v[173:174]
	v_mul_f64 v[42:43], v[4:5], v[173:174]
	s_waitcnt vmcnt(2) lgkmcnt(0)
	v_mul_f64 v[30:31], v[18:19], v[8:9]
	v_mul_f64 v[8:9], v[20:21], v[8:9]
	v_add_f64 v[26:27], v[26:27], v[34:35]
	v_add_f64 v[28:29], v[28:29], v[38:39]
	v_fma_f64 v[32:33], v[4:5], v[171:172], v[36:37]
	v_fma_f64 v[34:35], v[2:3], v[171:172], -v[42:43]
	v_fma_f64 v[20:21], v[20:21], v[6:7], v[30:31]
	v_fma_f64 v[6:7], v[18:19], v[6:7], -v[8:9]
	v_add_f64 v[26:27], v[26:27], v[22:23]
	v_add_f64 v[28:29], v[28:29], v[24:25]
	ds_load_b128 v[2:5], v1 offset:1696
	ds_load_b128 v[22:25], v1 offset:1712
	s_waitcnt vmcnt(1) lgkmcnt(1)
	v_mul_f64 v[36:37], v[2:3], v[12:13]
	v_mul_f64 v[12:13], v[4:5], v[12:13]
	v_add_f64 v[8:9], v[26:27], v[34:35]
	v_add_f64 v[18:19], v[28:29], v[32:33]
	s_waitcnt vmcnt(0) lgkmcnt(0)
	v_mul_f64 v[26:27], v[22:23], v[16:17]
	v_mul_f64 v[16:17], v[24:25], v[16:17]
	v_fma_f64 v[4:5], v[4:5], v[10:11], v[36:37]
	v_fma_f64 v[1:2], v[2:3], v[10:11], -v[12:13]
	v_add_f64 v[6:7], v[8:9], v[6:7]
	v_add_f64 v[8:9], v[18:19], v[20:21]
	v_fma_f64 v[10:11], v[24:25], v[14:15], v[26:27]
	v_fma_f64 v[12:13], v[22:23], v[14:15], -v[16:17]
	s_delay_alu instid0(VALU_DEP_4) | instskip(NEXT) | instid1(VALU_DEP_4)
	v_add_f64 v[1:2], v[6:7], v[1:2]
	v_add_f64 v[3:4], v[8:9], v[4:5]
	s_delay_alu instid0(VALU_DEP_2) | instskip(NEXT) | instid1(VALU_DEP_2)
	v_add_f64 v[1:2], v[1:2], v[12:13]
	v_add_f64 v[3:4], v[3:4], v[10:11]
	s_delay_alu instid0(VALU_DEP_2) | instskip(NEXT) | instid1(VALU_DEP_2)
	v_add_f64 v[1:2], v[157:158], -v[1:2]
	v_add_f64 v[3:4], v[159:160], -v[3:4]
	scratch_store_b128 off, v[1:4], off offset:464
	v_cmpx_lt_u32_e32 28, v154
	s_cbranch_execz .LBB53_281
; %bb.280:
	scratch_load_b128 v[1:4], v180, off
	v_mov_b32_e32 v5, 0
	s_delay_alu instid0(VALU_DEP_1)
	v_mov_b32_e32 v6, v5
	v_mov_b32_e32 v7, v5
	;; [unrolled: 1-line block ×3, first 2 shown]
	scratch_store_b128 off, v[5:8], off offset:448
	s_waitcnt vmcnt(0)
	ds_store_b128 v208, v[1:4]
.LBB53_281:
	s_or_b32 exec_lo, exec_lo, s2
	s_waitcnt lgkmcnt(0)
	s_waitcnt_vscnt null, 0x0
	s_barrier
	buffer_gl0_inv
	s_clause 0x7
	scratch_load_b128 v[2:5], off, off offset:464
	scratch_load_b128 v[6:9], off, off offset:480
	;; [unrolled: 1-line block ×8, first 2 shown]
	v_mov_b32_e32 v1, 0
	s_mov_b32 s2, exec_lo
	ds_load_b128 v[34:37], v1 offset:1328
	s_clause 0x1
	scratch_load_b128 v[38:41], off, off offset:592
	scratch_load_b128 v[42:45], off, off offset:448
	ds_load_b128 v[157:160], v1 offset:1344
	scratch_load_b128 v[171:174], off, off offset:608
	ds_load_b128 v[220:223], v1 offset:1376
	s_waitcnt vmcnt(10) lgkmcnt(2)
	v_mul_f64 v[48:49], v[36:37], v[4:5]
	v_mul_f64 v[4:5], v[34:35], v[4:5]
	s_delay_alu instid0(VALU_DEP_2) | instskip(NEXT) | instid1(VALU_DEP_2)
	v_fma_f64 v[48:49], v[34:35], v[2:3], -v[48:49]
	v_fma_f64 v[164:165], v[36:37], v[2:3], v[4:5]
	ds_load_b128 v[2:5], v1 offset:1360
	s_waitcnt vmcnt(9) lgkmcnt(2)
	v_mul_f64 v[50:51], v[157:158], v[8:9]
	v_mul_f64 v[8:9], v[159:160], v[8:9]
	scratch_load_b128 v[34:37], off, off offset:624
	s_waitcnt vmcnt(9) lgkmcnt(0)
	v_mul_f64 v[168:169], v[2:3], v[12:13]
	v_mul_f64 v[12:13], v[4:5], v[12:13]
	v_add_f64 v[48:49], v[48:49], 0
	v_fma_f64 v[50:51], v[159:160], v[6:7], v[50:51]
	v_fma_f64 v[157:158], v[157:158], v[6:7], -v[8:9]
	v_add_f64 v[159:160], v[164:165], 0
	scratch_load_b128 v[6:9], off, off offset:640
	v_fma_f64 v[168:169], v[4:5], v[10:11], v[168:169]
	v_fma_f64 v[226:227], v[2:3], v[10:11], -v[12:13]
	scratch_load_b128 v[10:13], off, off offset:656
	ds_load_b128 v[2:5], v1 offset:1392
	s_waitcnt vmcnt(10)
	v_mul_f64 v[164:165], v[220:221], v[16:17]
	v_mul_f64 v[16:17], v[222:223], v[16:17]
	v_add_f64 v[48:49], v[48:49], v[157:158]
	v_add_f64 v[50:51], v[159:160], v[50:51]
	ds_load_b128 v[157:160], v1 offset:1408
	s_waitcnt vmcnt(9) lgkmcnt(1)
	v_mul_f64 v[228:229], v[2:3], v[20:21]
	v_mul_f64 v[20:21], v[4:5], v[20:21]
	v_fma_f64 v[164:165], v[222:223], v[14:15], v[164:165]
	v_fma_f64 v[220:221], v[220:221], v[14:15], -v[16:17]
	scratch_load_b128 v[14:17], off, off offset:672
	v_add_f64 v[48:49], v[48:49], v[226:227]
	v_add_f64 v[50:51], v[50:51], v[168:169]
	v_fma_f64 v[226:227], v[4:5], v[18:19], v[228:229]
	v_fma_f64 v[228:229], v[2:3], v[18:19], -v[20:21]
	scratch_load_b128 v[18:21], off, off offset:688
	ds_load_b128 v[2:5], v1 offset:1424
	s_waitcnt vmcnt(10) lgkmcnt(1)
	v_mul_f64 v[168:169], v[157:158], v[24:25]
	v_mul_f64 v[24:25], v[159:160], v[24:25]
	v_add_f64 v[48:49], v[48:49], v[220:221]
	v_add_f64 v[50:51], v[50:51], v[164:165]
	s_waitcnt vmcnt(9) lgkmcnt(0)
	v_mul_f64 v[164:165], v[2:3], v[28:29]
	v_mul_f64 v[28:29], v[4:5], v[28:29]
	ds_load_b128 v[220:223], v1 offset:1440
	v_fma_f64 v[159:160], v[159:160], v[22:23], v[168:169]
	v_fma_f64 v[157:158], v[157:158], v[22:23], -v[24:25]
	scratch_load_b128 v[22:25], off, off offset:704
	v_add_f64 v[48:49], v[48:49], v[228:229]
	v_add_f64 v[50:51], v[50:51], v[226:227]
	v_fma_f64 v[164:165], v[4:5], v[26:27], v[164:165]
	v_fma_f64 v[226:227], v[2:3], v[26:27], -v[28:29]
	scratch_load_b128 v[26:29], off, off offset:720
	ds_load_b128 v[2:5], v1 offset:1456
	s_waitcnt vmcnt(10) lgkmcnt(1)
	v_mul_f64 v[168:169], v[220:221], v[32:33]
	v_mul_f64 v[32:33], v[222:223], v[32:33]
	s_waitcnt vmcnt(9) lgkmcnt(0)
	v_mul_f64 v[228:229], v[2:3], v[40:41]
	v_mul_f64 v[40:41], v[4:5], v[40:41]
	v_add_f64 v[48:49], v[48:49], v[157:158]
	v_add_f64 v[50:51], v[50:51], v[159:160]
	ds_load_b128 v[157:160], v1 offset:1472
	v_fma_f64 v[168:169], v[222:223], v[30:31], v[168:169]
	v_fma_f64 v[220:221], v[220:221], v[30:31], -v[32:33]
	scratch_load_b128 v[30:33], off, off offset:736
	v_add_f64 v[48:49], v[48:49], v[226:227]
	v_add_f64 v[50:51], v[50:51], v[164:165]
	v_fma_f64 v[226:227], v[4:5], v[38:39], v[228:229]
	v_fma_f64 v[228:229], v[2:3], v[38:39], -v[40:41]
	scratch_load_b128 v[38:41], off, off offset:752
	ds_load_b128 v[2:5], v1 offset:1488
	s_waitcnt vmcnt(9) lgkmcnt(1)
	v_mul_f64 v[164:165], v[157:158], v[173:174]
	v_mul_f64 v[173:174], v[159:160], v[173:174]
	v_add_f64 v[48:49], v[48:49], v[220:221]
	v_add_f64 v[50:51], v[50:51], v[168:169]
	ds_load_b128 v[220:223], v1 offset:1504
	v_fma_f64 v[164:165], v[159:160], v[171:172], v[164:165]
	v_fma_f64 v[171:172], v[157:158], v[171:172], -v[173:174]
	scratch_load_b128 v[157:160], off, off offset:768
	s_waitcnt vmcnt(9) lgkmcnt(1)
	v_mul_f64 v[168:169], v[2:3], v[36:37]
	v_mul_f64 v[36:37], v[4:5], v[36:37]
	v_add_f64 v[48:49], v[48:49], v[228:229]
	v_add_f64 v[50:51], v[50:51], v[226:227]
	s_delay_alu instid0(VALU_DEP_4) | instskip(NEXT) | instid1(VALU_DEP_4)
	v_fma_f64 v[168:169], v[4:5], v[34:35], v[168:169]
	v_fma_f64 v[228:229], v[2:3], v[34:35], -v[36:37]
	scratch_load_b128 v[34:37], off, off offset:784
	ds_load_b128 v[2:5], v1 offset:1520
	s_waitcnt vmcnt(9) lgkmcnt(1)
	v_mul_f64 v[226:227], v[220:221], v[8:9]
	v_mul_f64 v[8:9], v[222:223], v[8:9]
	v_add_f64 v[48:49], v[48:49], v[171:172]
	v_add_f64 v[50:51], v[50:51], v[164:165]
	s_waitcnt vmcnt(8) lgkmcnt(0)
	v_mul_f64 v[164:165], v[2:3], v[12:13]
	v_mul_f64 v[12:13], v[4:5], v[12:13]
	ds_load_b128 v[171:174], v1 offset:1536
	v_fma_f64 v[222:223], v[222:223], v[6:7], v[226:227]
	v_fma_f64 v[220:221], v[220:221], v[6:7], -v[8:9]
	scratch_load_b128 v[6:9], off, off offset:800
	v_add_f64 v[48:49], v[48:49], v[228:229]
	v_add_f64 v[50:51], v[50:51], v[168:169]
	v_fma_f64 v[164:165], v[4:5], v[10:11], v[164:165]
	v_fma_f64 v[226:227], v[2:3], v[10:11], -v[12:13]
	scratch_load_b128 v[10:13], off, off offset:816
	ds_load_b128 v[2:5], v1 offset:1552
	s_waitcnt vmcnt(9) lgkmcnt(1)
	v_mul_f64 v[168:169], v[171:172], v[16:17]
	v_mul_f64 v[16:17], v[173:174], v[16:17]
	s_waitcnt vmcnt(8) lgkmcnt(0)
	v_mul_f64 v[228:229], v[2:3], v[20:21]
	v_mul_f64 v[20:21], v[4:5], v[20:21]
	v_add_f64 v[48:49], v[48:49], v[220:221]
	v_add_f64 v[50:51], v[50:51], v[222:223]
	ds_load_b128 v[220:223], v1 offset:1568
	v_fma_f64 v[168:169], v[173:174], v[14:15], v[168:169]
	v_fma_f64 v[171:172], v[171:172], v[14:15], -v[16:17]
	scratch_load_b128 v[14:17], off, off offset:832
	v_add_f64 v[48:49], v[48:49], v[226:227]
	v_add_f64 v[50:51], v[50:51], v[164:165]
	v_fma_f64 v[226:227], v[4:5], v[18:19], v[228:229]
	v_fma_f64 v[228:229], v[2:3], v[18:19], -v[20:21]
	scratch_load_b128 v[18:21], off, off offset:848
	ds_load_b128 v[2:5], v1 offset:1584
	s_waitcnt vmcnt(9) lgkmcnt(1)
	v_mul_f64 v[164:165], v[220:221], v[24:25]
	v_mul_f64 v[24:25], v[222:223], v[24:25]
	v_add_f64 v[48:49], v[48:49], v[171:172]
	v_add_f64 v[50:51], v[50:51], v[168:169]
	s_waitcnt vmcnt(8) lgkmcnt(0)
	v_mul_f64 v[168:169], v[2:3], v[28:29]
	v_mul_f64 v[28:29], v[4:5], v[28:29]
	ds_load_b128 v[171:174], v1 offset:1600
	v_fma_f64 v[164:165], v[222:223], v[22:23], v[164:165]
	v_fma_f64 v[22:23], v[220:221], v[22:23], -v[24:25]
	v_add_f64 v[24:25], v[48:49], v[228:229]
	v_add_f64 v[48:49], v[50:51], v[226:227]
	s_waitcnt vmcnt(7) lgkmcnt(0)
	v_mul_f64 v[50:51], v[171:172], v[32:33]
	v_mul_f64 v[32:33], v[173:174], v[32:33]
	v_fma_f64 v[168:169], v[4:5], v[26:27], v[168:169]
	v_fma_f64 v[26:27], v[2:3], v[26:27], -v[28:29]
	v_add_f64 v[28:29], v[24:25], v[22:23]
	v_add_f64 v[48:49], v[48:49], v[164:165]
	ds_load_b128 v[2:5], v1 offset:1616
	ds_load_b128 v[22:25], v1 offset:1632
	v_fma_f64 v[50:51], v[173:174], v[30:31], v[50:51]
	v_fma_f64 v[30:31], v[171:172], v[30:31], -v[32:33]
	s_waitcnt vmcnt(6) lgkmcnt(1)
	v_mul_f64 v[164:165], v[2:3], v[40:41]
	v_mul_f64 v[40:41], v[4:5], v[40:41]
	s_waitcnt vmcnt(5) lgkmcnt(0)
	v_mul_f64 v[32:33], v[22:23], v[159:160]
	v_add_f64 v[26:27], v[28:29], v[26:27]
	v_add_f64 v[28:29], v[48:49], v[168:169]
	v_mul_f64 v[48:49], v[24:25], v[159:160]
	v_fma_f64 v[159:160], v[4:5], v[38:39], v[164:165]
	v_fma_f64 v[38:39], v[2:3], v[38:39], -v[40:41]
	v_fma_f64 v[24:25], v[24:25], v[157:158], v[32:33]
	v_add_f64 v[30:31], v[26:27], v[30:31]
	v_add_f64 v[40:41], v[28:29], v[50:51]
	ds_load_b128 v[2:5], v1 offset:1648
	ds_load_b128 v[26:29], v1 offset:1664
	v_fma_f64 v[22:23], v[22:23], v[157:158], -v[48:49]
	s_waitcnt vmcnt(4) lgkmcnt(1)
	v_mul_f64 v[50:51], v[2:3], v[36:37]
	v_mul_f64 v[36:37], v[4:5], v[36:37]
	v_add_f64 v[30:31], v[30:31], v[38:39]
	v_add_f64 v[32:33], v[40:41], v[159:160]
	s_waitcnt vmcnt(3) lgkmcnt(0)
	v_mul_f64 v[38:39], v[26:27], v[8:9]
	v_mul_f64 v[8:9], v[28:29], v[8:9]
	v_fma_f64 v[40:41], v[4:5], v[34:35], v[50:51]
	v_fma_f64 v[34:35], v[2:3], v[34:35], -v[36:37]
	v_add_f64 v[30:31], v[30:31], v[22:23]
	v_add_f64 v[32:33], v[32:33], v[24:25]
	ds_load_b128 v[2:5], v1 offset:1680
	ds_load_b128 v[22:25], v1 offset:1696
	v_fma_f64 v[28:29], v[28:29], v[6:7], v[38:39]
	v_fma_f64 v[6:7], v[26:27], v[6:7], -v[8:9]
	s_waitcnt vmcnt(2) lgkmcnt(1)
	v_mul_f64 v[36:37], v[2:3], v[12:13]
	v_mul_f64 v[12:13], v[4:5], v[12:13]
	v_add_f64 v[8:9], v[30:31], v[34:35]
	v_add_f64 v[26:27], v[32:33], v[40:41]
	s_waitcnt vmcnt(1) lgkmcnt(0)
	v_mul_f64 v[30:31], v[22:23], v[16:17]
	v_mul_f64 v[16:17], v[24:25], v[16:17]
	v_fma_f64 v[32:33], v[4:5], v[10:11], v[36:37]
	v_fma_f64 v[10:11], v[2:3], v[10:11], -v[12:13]
	ds_load_b128 v[2:5], v1 offset:1712
	v_add_f64 v[6:7], v[8:9], v[6:7]
	v_add_f64 v[8:9], v[26:27], v[28:29]
	v_fma_f64 v[24:25], v[24:25], v[14:15], v[30:31]
	v_fma_f64 v[14:15], v[22:23], v[14:15], -v[16:17]
	s_waitcnt vmcnt(0) lgkmcnt(0)
	v_mul_f64 v[12:13], v[2:3], v[20:21]
	v_mul_f64 v[20:21], v[4:5], v[20:21]
	v_add_f64 v[6:7], v[6:7], v[10:11]
	v_add_f64 v[8:9], v[8:9], v[32:33]
	s_delay_alu instid0(VALU_DEP_4) | instskip(NEXT) | instid1(VALU_DEP_4)
	v_fma_f64 v[4:5], v[4:5], v[18:19], v[12:13]
	v_fma_f64 v[2:3], v[2:3], v[18:19], -v[20:21]
	s_delay_alu instid0(VALU_DEP_4) | instskip(NEXT) | instid1(VALU_DEP_4)
	v_add_f64 v[6:7], v[6:7], v[14:15]
	v_add_f64 v[8:9], v[8:9], v[24:25]
	s_delay_alu instid0(VALU_DEP_2) | instskip(NEXT) | instid1(VALU_DEP_2)
	v_add_f64 v[2:3], v[6:7], v[2:3]
	v_add_f64 v[4:5], v[8:9], v[4:5]
	s_delay_alu instid0(VALU_DEP_2) | instskip(NEXT) | instid1(VALU_DEP_2)
	v_add_f64 v[2:3], v[42:43], -v[2:3]
	v_add_f64 v[4:5], v[44:45], -v[4:5]
	scratch_store_b128 off, v[2:5], off offset:448
	v_cmpx_lt_u32_e32 27, v154
	s_cbranch_execz .LBB53_283
; %bb.282:
	scratch_load_b128 v[5:8], v181, off
	v_mov_b32_e32 v2, v1
	v_mov_b32_e32 v3, v1
	;; [unrolled: 1-line block ×3, first 2 shown]
	scratch_store_b128 off, v[1:4], off offset:432
	s_waitcnt vmcnt(0)
	ds_store_b128 v208, v[5:8]
.LBB53_283:
	s_or_b32 exec_lo, exec_lo, s2
	s_waitcnt lgkmcnt(0)
	s_waitcnt_vscnt null, 0x0
	s_barrier
	buffer_gl0_inv
	s_clause 0x8
	scratch_load_b128 v[2:5], off, off offset:448
	scratch_load_b128 v[6:9], off, off offset:464
	;; [unrolled: 1-line block ×9, first 2 shown]
	ds_load_b128 v[38:41], v1 offset:1312
	ds_load_b128 v[42:45], v1 offset:1328
	s_clause 0x1
	scratch_load_b128 v[157:160], off, off offset:432
	scratch_load_b128 v[171:174], off, off offset:592
	s_mov_b32 s2, exec_lo
	ds_load_b128 v[220:223], v1 offset:1360
	s_waitcnt vmcnt(10) lgkmcnt(2)
	v_mul_f64 v[48:49], v[40:41], v[4:5]
	v_mul_f64 v[4:5], v[38:39], v[4:5]
	s_waitcnt vmcnt(9) lgkmcnt(1)
	v_mul_f64 v[50:51], v[42:43], v[8:9]
	v_mul_f64 v[8:9], v[44:45], v[8:9]
	s_delay_alu instid0(VALU_DEP_4) | instskip(NEXT) | instid1(VALU_DEP_4)
	v_fma_f64 v[48:49], v[38:39], v[2:3], -v[48:49]
	v_fma_f64 v[164:165], v[40:41], v[2:3], v[4:5]
	ds_load_b128 v[2:5], v1 offset:1344
	scratch_load_b128 v[38:41], off, off offset:608
	v_fma_f64 v[44:45], v[44:45], v[6:7], v[50:51]
	v_fma_f64 v[42:43], v[42:43], v[6:7], -v[8:9]
	scratch_load_b128 v[6:9], off, off offset:624
	s_waitcnt vmcnt(10) lgkmcnt(0)
	v_mul_f64 v[168:169], v[2:3], v[12:13]
	v_mul_f64 v[12:13], v[4:5], v[12:13]
	v_add_f64 v[48:49], v[48:49], 0
	v_add_f64 v[50:51], v[164:165], 0
	s_waitcnt vmcnt(9)
	v_mul_f64 v[164:165], v[220:221], v[16:17]
	v_mul_f64 v[16:17], v[222:223], v[16:17]
	v_fma_f64 v[168:169], v[4:5], v[10:11], v[168:169]
	v_fma_f64 v[226:227], v[2:3], v[10:11], -v[12:13]
	ds_load_b128 v[2:5], v1 offset:1376
	scratch_load_b128 v[10:13], off, off offset:640
	v_add_f64 v[48:49], v[48:49], v[42:43]
	v_add_f64 v[50:51], v[50:51], v[44:45]
	ds_load_b128 v[42:45], v1 offset:1392
	v_fma_f64 v[164:165], v[222:223], v[14:15], v[164:165]
	v_fma_f64 v[220:221], v[220:221], v[14:15], -v[16:17]
	scratch_load_b128 v[14:17], off, off offset:656
	s_waitcnt vmcnt(10) lgkmcnt(1)
	v_mul_f64 v[228:229], v[2:3], v[20:21]
	v_mul_f64 v[20:21], v[4:5], v[20:21]
	v_add_f64 v[48:49], v[48:49], v[226:227]
	v_add_f64 v[50:51], v[50:51], v[168:169]
	s_waitcnt vmcnt(9) lgkmcnt(0)
	v_mul_f64 v[168:169], v[42:43], v[24:25]
	v_mul_f64 v[24:25], v[44:45], v[24:25]
	v_fma_f64 v[226:227], v[4:5], v[18:19], v[228:229]
	v_fma_f64 v[228:229], v[2:3], v[18:19], -v[20:21]
	ds_load_b128 v[2:5], v1 offset:1408
	scratch_load_b128 v[18:21], off, off offset:672
	v_add_f64 v[48:49], v[48:49], v[220:221]
	v_add_f64 v[50:51], v[50:51], v[164:165]
	ds_load_b128 v[220:223], v1 offset:1424
	s_waitcnt vmcnt(9) lgkmcnt(1)
	v_mul_f64 v[164:165], v[2:3], v[28:29]
	v_mul_f64 v[28:29], v[4:5], v[28:29]
	v_fma_f64 v[44:45], v[44:45], v[22:23], v[168:169]
	v_fma_f64 v[42:43], v[42:43], v[22:23], -v[24:25]
	scratch_load_b128 v[22:25], off, off offset:688
	s_waitcnt vmcnt(9) lgkmcnt(0)
	v_mul_f64 v[168:169], v[220:221], v[32:33]
	v_mul_f64 v[32:33], v[222:223], v[32:33]
	v_add_f64 v[48:49], v[48:49], v[228:229]
	v_add_f64 v[50:51], v[50:51], v[226:227]
	v_fma_f64 v[164:165], v[4:5], v[26:27], v[164:165]
	v_fma_f64 v[226:227], v[2:3], v[26:27], -v[28:29]
	ds_load_b128 v[2:5], v1 offset:1440
	scratch_load_b128 v[26:29], off, off offset:704
	v_fma_f64 v[168:169], v[222:223], v[30:31], v[168:169]
	v_fma_f64 v[220:221], v[220:221], v[30:31], -v[32:33]
	scratch_load_b128 v[30:33], off, off offset:720
	v_add_f64 v[48:49], v[48:49], v[42:43]
	v_add_f64 v[50:51], v[50:51], v[44:45]
	ds_load_b128 v[42:45], v1 offset:1456
	s_waitcnt vmcnt(10) lgkmcnt(1)
	v_mul_f64 v[228:229], v[2:3], v[36:37]
	v_mul_f64 v[36:37], v[4:5], v[36:37]
	v_add_f64 v[48:49], v[48:49], v[226:227]
	v_add_f64 v[50:51], v[50:51], v[164:165]
	s_waitcnt vmcnt(8) lgkmcnt(0)
	v_mul_f64 v[164:165], v[42:43], v[173:174]
	v_mul_f64 v[173:174], v[44:45], v[173:174]
	v_fma_f64 v[226:227], v[4:5], v[34:35], v[228:229]
	v_fma_f64 v[228:229], v[2:3], v[34:35], -v[36:37]
	ds_load_b128 v[2:5], v1 offset:1472
	scratch_load_b128 v[34:37], off, off offset:736
	v_add_f64 v[48:49], v[48:49], v[220:221]
	v_add_f64 v[50:51], v[50:51], v[168:169]
	ds_load_b128 v[220:223], v1 offset:1488
	v_fma_f64 v[44:45], v[44:45], v[171:172], v[164:165]
	v_fma_f64 v[164:165], v[42:43], v[171:172], -v[173:174]
	scratch_load_b128 v[171:174], off, off offset:768
	s_waitcnt vmcnt(9) lgkmcnt(1)
	v_mul_f64 v[168:169], v[2:3], v[40:41]
	v_mul_f64 v[230:231], v[4:5], v[40:41]
	scratch_load_b128 v[40:43], off, off offset:752
	s_waitcnt vmcnt(9) lgkmcnt(0)
	v_mul_f64 v[232:233], v[220:221], v[8:9]
	v_mul_f64 v[8:9], v[222:223], v[8:9]
	v_add_f64 v[48:49], v[48:49], v[228:229]
	v_add_f64 v[50:51], v[50:51], v[226:227]
	ds_load_b128 v[226:229], v1 offset:1520
	v_fma_f64 v[168:169], v[4:5], v[38:39], v[168:169]
	v_fma_f64 v[38:39], v[2:3], v[38:39], -v[230:231]
	ds_load_b128 v[2:5], v1 offset:1504
	v_fma_f64 v[220:221], v[220:221], v[6:7], -v[8:9]
	v_add_f64 v[48:49], v[48:49], v[164:165]
	v_add_f64 v[44:45], v[50:51], v[44:45]
	v_fma_f64 v[164:165], v[222:223], v[6:7], v[232:233]
	s_waitcnt vmcnt(8) lgkmcnt(0)
	v_mul_f64 v[50:51], v[2:3], v[12:13]
	v_mul_f64 v[12:13], v[4:5], v[12:13]
	scratch_load_b128 v[6:9], off, off offset:784
	v_add_f64 v[38:39], v[48:49], v[38:39]
	v_add_f64 v[44:45], v[44:45], v[168:169]
	s_waitcnt vmcnt(8)
	v_mul_f64 v[48:49], v[226:227], v[16:17]
	v_mul_f64 v[16:17], v[228:229], v[16:17]
	v_fma_f64 v[50:51], v[4:5], v[10:11], v[50:51]
	v_fma_f64 v[168:169], v[2:3], v[10:11], -v[12:13]
	ds_load_b128 v[2:5], v1 offset:1536
	scratch_load_b128 v[10:13], off, off offset:800
	v_add_f64 v[38:39], v[38:39], v[220:221]
	v_add_f64 v[44:45], v[44:45], v[164:165]
	ds_load_b128 v[220:223], v1 offset:1552
	s_waitcnt vmcnt(8) lgkmcnt(1)
	v_mul_f64 v[164:165], v[2:3], v[20:21]
	v_mul_f64 v[20:21], v[4:5], v[20:21]
	v_fma_f64 v[48:49], v[228:229], v[14:15], v[48:49]
	v_fma_f64 v[226:227], v[226:227], v[14:15], -v[16:17]
	scratch_load_b128 v[14:17], off, off offset:816
	v_add_f64 v[38:39], v[38:39], v[168:169]
	v_add_f64 v[44:45], v[44:45], v[50:51]
	s_waitcnt vmcnt(8) lgkmcnt(0)
	v_mul_f64 v[50:51], v[220:221], v[24:25]
	v_mul_f64 v[24:25], v[222:223], v[24:25]
	v_fma_f64 v[164:165], v[4:5], v[18:19], v[164:165]
	v_fma_f64 v[168:169], v[2:3], v[18:19], -v[20:21]
	ds_load_b128 v[2:5], v1 offset:1568
	scratch_load_b128 v[18:21], off, off offset:832
	v_add_f64 v[38:39], v[38:39], v[226:227]
	v_add_f64 v[44:45], v[44:45], v[48:49]
	ds_load_b128 v[226:229], v1 offset:1584
	s_waitcnt vmcnt(8) lgkmcnt(1)
	v_mul_f64 v[48:49], v[2:3], v[28:29]
	v_mul_f64 v[28:29], v[4:5], v[28:29]
	v_fma_f64 v[50:51], v[222:223], v[22:23], v[50:51]
	v_fma_f64 v[220:221], v[220:221], v[22:23], -v[24:25]
	scratch_load_b128 v[22:25], off, off offset:848
	v_add_f64 v[38:39], v[38:39], v[168:169]
	v_add_f64 v[44:45], v[44:45], v[164:165]
	s_waitcnt vmcnt(8) lgkmcnt(0)
	v_mul_f64 v[164:165], v[226:227], v[32:33]
	v_mul_f64 v[32:33], v[228:229], v[32:33]
	v_fma_f64 v[48:49], v[4:5], v[26:27], v[48:49]
	v_fma_f64 v[168:169], v[2:3], v[26:27], -v[28:29]
	ds_load_b128 v[2:5], v1 offset:1600
	ds_load_b128 v[26:29], v1 offset:1616
	v_add_f64 v[38:39], v[38:39], v[220:221]
	v_add_f64 v[44:45], v[44:45], v[50:51]
	s_waitcnt vmcnt(7) lgkmcnt(1)
	v_mul_f64 v[50:51], v[2:3], v[36:37]
	v_mul_f64 v[36:37], v[4:5], v[36:37]
	v_fma_f64 v[164:165], v[228:229], v[30:31], v[164:165]
	v_fma_f64 v[30:31], v[226:227], v[30:31], -v[32:33]
	v_add_f64 v[32:33], v[38:39], v[168:169]
	v_add_f64 v[38:39], v[44:45], v[48:49]
	s_waitcnt vmcnt(5) lgkmcnt(0)
	v_mul_f64 v[44:45], v[26:27], v[42:43]
	v_mul_f64 v[42:43], v[28:29], v[42:43]
	v_fma_f64 v[48:49], v[4:5], v[34:35], v[50:51]
	v_fma_f64 v[34:35], v[2:3], v[34:35], -v[36:37]
	v_add_f64 v[36:37], v[32:33], v[30:31]
	v_add_f64 v[38:39], v[38:39], v[164:165]
	ds_load_b128 v[2:5], v1 offset:1632
	ds_load_b128 v[30:33], v1 offset:1648
	v_fma_f64 v[28:29], v[28:29], v[40:41], v[44:45]
	v_fma_f64 v[26:27], v[26:27], v[40:41], -v[42:43]
	s_waitcnt lgkmcnt(1)
	v_mul_f64 v[50:51], v[2:3], v[173:174]
	v_mul_f64 v[164:165], v[4:5], v[173:174]
	v_add_f64 v[34:35], v[36:37], v[34:35]
	v_add_f64 v[36:37], v[38:39], v[48:49]
	s_waitcnt vmcnt(4) lgkmcnt(0)
	v_mul_f64 v[38:39], v[30:31], v[8:9]
	v_mul_f64 v[8:9], v[32:33], v[8:9]
	v_fma_f64 v[40:41], v[4:5], v[171:172], v[50:51]
	v_fma_f64 v[42:43], v[2:3], v[171:172], -v[164:165]
	v_add_f64 v[34:35], v[34:35], v[26:27]
	v_add_f64 v[36:37], v[36:37], v[28:29]
	ds_load_b128 v[2:5], v1 offset:1664
	ds_load_b128 v[26:29], v1 offset:1680
	v_fma_f64 v[32:33], v[32:33], v[6:7], v[38:39]
	v_fma_f64 v[6:7], v[30:31], v[6:7], -v[8:9]
	s_waitcnt vmcnt(3) lgkmcnt(1)
	v_mul_f64 v[44:45], v[2:3], v[12:13]
	v_mul_f64 v[12:13], v[4:5], v[12:13]
	v_add_f64 v[8:9], v[34:35], v[42:43]
	v_add_f64 v[30:31], v[36:37], v[40:41]
	s_waitcnt vmcnt(2) lgkmcnt(0)
	v_mul_f64 v[34:35], v[26:27], v[16:17]
	v_mul_f64 v[16:17], v[28:29], v[16:17]
	v_fma_f64 v[36:37], v[4:5], v[10:11], v[44:45]
	v_fma_f64 v[10:11], v[2:3], v[10:11], -v[12:13]
	v_add_f64 v[12:13], v[8:9], v[6:7]
	v_add_f64 v[30:31], v[30:31], v[32:33]
	ds_load_b128 v[2:5], v1 offset:1696
	ds_load_b128 v[6:9], v1 offset:1712
	v_fma_f64 v[28:29], v[28:29], v[14:15], v[34:35]
	v_fma_f64 v[14:15], v[26:27], v[14:15], -v[16:17]
	s_waitcnt vmcnt(1) lgkmcnt(1)
	v_mul_f64 v[32:33], v[2:3], v[20:21]
	v_mul_f64 v[20:21], v[4:5], v[20:21]
	s_waitcnt vmcnt(0) lgkmcnt(0)
	v_mul_f64 v[16:17], v[6:7], v[24:25]
	v_mul_f64 v[24:25], v[8:9], v[24:25]
	v_add_f64 v[10:11], v[12:13], v[10:11]
	v_add_f64 v[12:13], v[30:31], v[36:37]
	v_fma_f64 v[4:5], v[4:5], v[18:19], v[32:33]
	v_fma_f64 v[1:2], v[2:3], v[18:19], -v[20:21]
	v_fma_f64 v[8:9], v[8:9], v[22:23], v[16:17]
	v_fma_f64 v[6:7], v[6:7], v[22:23], -v[24:25]
	v_add_f64 v[10:11], v[10:11], v[14:15]
	v_add_f64 v[12:13], v[12:13], v[28:29]
	s_delay_alu instid0(VALU_DEP_2) | instskip(NEXT) | instid1(VALU_DEP_2)
	v_add_f64 v[1:2], v[10:11], v[1:2]
	v_add_f64 v[3:4], v[12:13], v[4:5]
	s_delay_alu instid0(VALU_DEP_2) | instskip(NEXT) | instid1(VALU_DEP_2)
	;; [unrolled: 3-line block ×3, first 2 shown]
	v_add_f64 v[1:2], v[157:158], -v[1:2]
	v_add_f64 v[3:4], v[159:160], -v[3:4]
	scratch_store_b128 off, v[1:4], off offset:432
	v_cmpx_lt_u32_e32 26, v154
	s_cbranch_execz .LBB53_285
; %bb.284:
	scratch_load_b128 v[1:4], v182, off
	v_mov_b32_e32 v5, 0
	s_delay_alu instid0(VALU_DEP_1)
	v_mov_b32_e32 v6, v5
	v_mov_b32_e32 v7, v5
	;; [unrolled: 1-line block ×3, first 2 shown]
	scratch_store_b128 off, v[5:8], off offset:416
	s_waitcnt vmcnt(0)
	ds_store_b128 v208, v[1:4]
.LBB53_285:
	s_or_b32 exec_lo, exec_lo, s2
	s_waitcnt lgkmcnt(0)
	s_waitcnt_vscnt null, 0x0
	s_barrier
	buffer_gl0_inv
	s_clause 0x7
	scratch_load_b128 v[2:5], off, off offset:432
	scratch_load_b128 v[6:9], off, off offset:448
	;; [unrolled: 1-line block ×8, first 2 shown]
	v_mov_b32_e32 v1, 0
	s_mov_b32 s2, exec_lo
	ds_load_b128 v[38:41], v1 offset:1296
	s_clause 0x1
	scratch_load_b128 v[34:37], off, off offset:560
	scratch_load_b128 v[42:45], off, off offset:416
	ds_load_b128 v[157:160], v1 offset:1312
	scratch_load_b128 v[171:174], off, off offset:576
	ds_load_b128 v[220:223], v1 offset:1344
	s_waitcnt vmcnt(10) lgkmcnt(2)
	v_mul_f64 v[48:49], v[40:41], v[4:5]
	v_mul_f64 v[4:5], v[38:39], v[4:5]
	s_delay_alu instid0(VALU_DEP_2) | instskip(NEXT) | instid1(VALU_DEP_2)
	v_fma_f64 v[48:49], v[38:39], v[2:3], -v[48:49]
	v_fma_f64 v[164:165], v[40:41], v[2:3], v[4:5]
	ds_load_b128 v[2:5], v1 offset:1328
	s_waitcnt vmcnt(9) lgkmcnt(2)
	v_mul_f64 v[50:51], v[157:158], v[8:9]
	v_mul_f64 v[8:9], v[159:160], v[8:9]
	scratch_load_b128 v[38:41], off, off offset:592
	s_waitcnt vmcnt(9) lgkmcnt(0)
	v_mul_f64 v[168:169], v[2:3], v[12:13]
	v_mul_f64 v[12:13], v[4:5], v[12:13]
	v_add_f64 v[48:49], v[48:49], 0
	v_fma_f64 v[50:51], v[159:160], v[6:7], v[50:51]
	v_fma_f64 v[157:158], v[157:158], v[6:7], -v[8:9]
	v_add_f64 v[159:160], v[164:165], 0
	scratch_load_b128 v[6:9], off, off offset:608
	v_fma_f64 v[168:169], v[4:5], v[10:11], v[168:169]
	v_fma_f64 v[226:227], v[2:3], v[10:11], -v[12:13]
	scratch_load_b128 v[10:13], off, off offset:624
	ds_load_b128 v[2:5], v1 offset:1360
	s_waitcnt vmcnt(10)
	v_mul_f64 v[164:165], v[220:221], v[16:17]
	v_mul_f64 v[16:17], v[222:223], v[16:17]
	v_add_f64 v[48:49], v[48:49], v[157:158]
	v_add_f64 v[50:51], v[159:160], v[50:51]
	ds_load_b128 v[157:160], v1 offset:1376
	s_waitcnt vmcnt(9) lgkmcnt(1)
	v_mul_f64 v[228:229], v[2:3], v[20:21]
	v_mul_f64 v[20:21], v[4:5], v[20:21]
	v_fma_f64 v[164:165], v[222:223], v[14:15], v[164:165]
	v_fma_f64 v[220:221], v[220:221], v[14:15], -v[16:17]
	scratch_load_b128 v[14:17], off, off offset:640
	v_add_f64 v[48:49], v[48:49], v[226:227]
	v_add_f64 v[50:51], v[50:51], v[168:169]
	v_fma_f64 v[226:227], v[4:5], v[18:19], v[228:229]
	v_fma_f64 v[228:229], v[2:3], v[18:19], -v[20:21]
	scratch_load_b128 v[18:21], off, off offset:656
	ds_load_b128 v[2:5], v1 offset:1392
	s_waitcnt vmcnt(10) lgkmcnt(1)
	v_mul_f64 v[168:169], v[157:158], v[24:25]
	v_mul_f64 v[24:25], v[159:160], v[24:25]
	v_add_f64 v[48:49], v[48:49], v[220:221]
	v_add_f64 v[50:51], v[50:51], v[164:165]
	s_waitcnt vmcnt(9) lgkmcnt(0)
	v_mul_f64 v[164:165], v[2:3], v[28:29]
	v_mul_f64 v[28:29], v[4:5], v[28:29]
	ds_load_b128 v[220:223], v1 offset:1408
	v_fma_f64 v[159:160], v[159:160], v[22:23], v[168:169]
	v_fma_f64 v[157:158], v[157:158], v[22:23], -v[24:25]
	scratch_load_b128 v[22:25], off, off offset:672
	v_add_f64 v[48:49], v[48:49], v[228:229]
	v_add_f64 v[50:51], v[50:51], v[226:227]
	v_fma_f64 v[164:165], v[4:5], v[26:27], v[164:165]
	v_fma_f64 v[226:227], v[2:3], v[26:27], -v[28:29]
	scratch_load_b128 v[26:29], off, off offset:688
	ds_load_b128 v[2:5], v1 offset:1424
	s_waitcnt vmcnt(10) lgkmcnt(1)
	v_mul_f64 v[168:169], v[220:221], v[32:33]
	v_mul_f64 v[32:33], v[222:223], v[32:33]
	s_waitcnt vmcnt(9) lgkmcnt(0)
	v_mul_f64 v[228:229], v[2:3], v[36:37]
	v_mul_f64 v[36:37], v[4:5], v[36:37]
	v_add_f64 v[48:49], v[48:49], v[157:158]
	v_add_f64 v[50:51], v[50:51], v[159:160]
	ds_load_b128 v[157:160], v1 offset:1440
	v_fma_f64 v[168:169], v[222:223], v[30:31], v[168:169]
	v_fma_f64 v[220:221], v[220:221], v[30:31], -v[32:33]
	scratch_load_b128 v[30:33], off, off offset:704
	v_add_f64 v[48:49], v[48:49], v[226:227]
	v_add_f64 v[50:51], v[50:51], v[164:165]
	v_fma_f64 v[226:227], v[4:5], v[34:35], v[228:229]
	v_fma_f64 v[228:229], v[2:3], v[34:35], -v[36:37]
	scratch_load_b128 v[34:37], off, off offset:720
	ds_load_b128 v[2:5], v1 offset:1456
	s_waitcnt vmcnt(9) lgkmcnt(1)
	v_mul_f64 v[164:165], v[157:158], v[173:174]
	v_mul_f64 v[173:174], v[159:160], v[173:174]
	v_add_f64 v[48:49], v[48:49], v[220:221]
	v_add_f64 v[50:51], v[50:51], v[168:169]
	ds_load_b128 v[220:223], v1 offset:1472
	v_fma_f64 v[164:165], v[159:160], v[171:172], v[164:165]
	v_fma_f64 v[171:172], v[157:158], v[171:172], -v[173:174]
	scratch_load_b128 v[157:160], off, off offset:736
	s_waitcnt vmcnt(9) lgkmcnt(1)
	v_mul_f64 v[168:169], v[2:3], v[40:41]
	v_mul_f64 v[40:41], v[4:5], v[40:41]
	v_add_f64 v[48:49], v[48:49], v[228:229]
	v_add_f64 v[50:51], v[50:51], v[226:227]
	s_delay_alu instid0(VALU_DEP_4) | instskip(NEXT) | instid1(VALU_DEP_4)
	v_fma_f64 v[168:169], v[4:5], v[38:39], v[168:169]
	v_fma_f64 v[228:229], v[2:3], v[38:39], -v[40:41]
	scratch_load_b128 v[38:41], off, off offset:752
	ds_load_b128 v[2:5], v1 offset:1488
	s_waitcnt vmcnt(9) lgkmcnt(1)
	v_mul_f64 v[226:227], v[220:221], v[8:9]
	v_mul_f64 v[8:9], v[222:223], v[8:9]
	v_add_f64 v[48:49], v[48:49], v[171:172]
	v_add_f64 v[50:51], v[50:51], v[164:165]
	s_waitcnt vmcnt(8) lgkmcnt(0)
	v_mul_f64 v[164:165], v[2:3], v[12:13]
	v_mul_f64 v[12:13], v[4:5], v[12:13]
	ds_load_b128 v[171:174], v1 offset:1504
	v_fma_f64 v[222:223], v[222:223], v[6:7], v[226:227]
	v_fma_f64 v[220:221], v[220:221], v[6:7], -v[8:9]
	scratch_load_b128 v[6:9], off, off offset:768
	v_add_f64 v[48:49], v[48:49], v[228:229]
	v_add_f64 v[50:51], v[50:51], v[168:169]
	v_fma_f64 v[164:165], v[4:5], v[10:11], v[164:165]
	v_fma_f64 v[226:227], v[2:3], v[10:11], -v[12:13]
	scratch_load_b128 v[10:13], off, off offset:784
	ds_load_b128 v[2:5], v1 offset:1520
	s_waitcnt vmcnt(9) lgkmcnt(1)
	v_mul_f64 v[168:169], v[171:172], v[16:17]
	v_mul_f64 v[16:17], v[173:174], v[16:17]
	s_waitcnt vmcnt(8) lgkmcnt(0)
	v_mul_f64 v[228:229], v[2:3], v[20:21]
	v_mul_f64 v[20:21], v[4:5], v[20:21]
	v_add_f64 v[48:49], v[48:49], v[220:221]
	v_add_f64 v[50:51], v[50:51], v[222:223]
	ds_load_b128 v[220:223], v1 offset:1536
	v_fma_f64 v[168:169], v[173:174], v[14:15], v[168:169]
	v_fma_f64 v[171:172], v[171:172], v[14:15], -v[16:17]
	scratch_load_b128 v[14:17], off, off offset:800
	v_add_f64 v[48:49], v[48:49], v[226:227]
	v_add_f64 v[50:51], v[50:51], v[164:165]
	v_fma_f64 v[226:227], v[4:5], v[18:19], v[228:229]
	v_fma_f64 v[228:229], v[2:3], v[18:19], -v[20:21]
	scratch_load_b128 v[18:21], off, off offset:816
	ds_load_b128 v[2:5], v1 offset:1552
	s_waitcnt vmcnt(9) lgkmcnt(1)
	v_mul_f64 v[164:165], v[220:221], v[24:25]
	v_mul_f64 v[24:25], v[222:223], v[24:25]
	v_add_f64 v[48:49], v[48:49], v[171:172]
	v_add_f64 v[50:51], v[50:51], v[168:169]
	s_waitcnt vmcnt(8) lgkmcnt(0)
	v_mul_f64 v[168:169], v[2:3], v[28:29]
	v_mul_f64 v[28:29], v[4:5], v[28:29]
	ds_load_b128 v[171:174], v1 offset:1568
	v_fma_f64 v[164:165], v[222:223], v[22:23], v[164:165]
	v_fma_f64 v[220:221], v[220:221], v[22:23], -v[24:25]
	scratch_load_b128 v[22:25], off, off offset:832
	v_add_f64 v[48:49], v[48:49], v[228:229]
	v_add_f64 v[50:51], v[50:51], v[226:227]
	v_fma_f64 v[168:169], v[4:5], v[26:27], v[168:169]
	v_fma_f64 v[228:229], v[2:3], v[26:27], -v[28:29]
	scratch_load_b128 v[26:29], off, off offset:848
	ds_load_b128 v[2:5], v1 offset:1584
	s_waitcnt vmcnt(9) lgkmcnt(1)
	v_mul_f64 v[226:227], v[171:172], v[32:33]
	v_mul_f64 v[32:33], v[173:174], v[32:33]
	v_add_f64 v[48:49], v[48:49], v[220:221]
	v_add_f64 v[50:51], v[50:51], v[164:165]
	s_waitcnt vmcnt(8) lgkmcnt(0)
	v_mul_f64 v[164:165], v[2:3], v[36:37]
	v_mul_f64 v[36:37], v[4:5], v[36:37]
	ds_load_b128 v[220:223], v1 offset:1600
	v_fma_f64 v[173:174], v[173:174], v[30:31], v[226:227]
	v_fma_f64 v[30:31], v[171:172], v[30:31], -v[32:33]
	v_add_f64 v[32:33], v[48:49], v[228:229]
	v_add_f64 v[48:49], v[50:51], v[168:169]
	s_waitcnt vmcnt(7) lgkmcnt(0)
	v_mul_f64 v[50:51], v[220:221], v[159:160]
	v_mul_f64 v[159:160], v[222:223], v[159:160]
	v_fma_f64 v[164:165], v[4:5], v[34:35], v[164:165]
	v_fma_f64 v[34:35], v[2:3], v[34:35], -v[36:37]
	v_add_f64 v[36:37], v[32:33], v[30:31]
	v_add_f64 v[48:49], v[48:49], v[173:174]
	ds_load_b128 v[2:5], v1 offset:1616
	ds_load_b128 v[30:33], v1 offset:1632
	v_fma_f64 v[50:51], v[222:223], v[157:158], v[50:51]
	v_fma_f64 v[157:158], v[220:221], v[157:158], -v[159:160]
	s_waitcnt vmcnt(6) lgkmcnt(1)
	v_mul_f64 v[168:169], v[2:3], v[40:41]
	v_mul_f64 v[40:41], v[4:5], v[40:41]
	v_add_f64 v[34:35], v[36:37], v[34:35]
	v_add_f64 v[36:37], v[48:49], v[164:165]
	s_waitcnt vmcnt(5) lgkmcnt(0)
	v_mul_f64 v[48:49], v[30:31], v[8:9]
	v_mul_f64 v[8:9], v[32:33], v[8:9]
	v_fma_f64 v[159:160], v[4:5], v[38:39], v[168:169]
	v_fma_f64 v[38:39], v[2:3], v[38:39], -v[40:41]
	v_add_f64 v[40:41], v[34:35], v[157:158]
	v_add_f64 v[50:51], v[36:37], v[50:51]
	ds_load_b128 v[2:5], v1 offset:1648
	ds_load_b128 v[34:37], v1 offset:1664
	v_fma_f64 v[32:33], v[32:33], v[6:7], v[48:49]
	v_fma_f64 v[6:7], v[30:31], v[6:7], -v[8:9]
	s_waitcnt vmcnt(4) lgkmcnt(1)
	v_mul_f64 v[157:158], v[2:3], v[12:13]
	v_mul_f64 v[12:13], v[4:5], v[12:13]
	;; [unrolled: 16-line block ×3, first 2 shown]
	s_waitcnt vmcnt(1) lgkmcnt(0)
	v_mul_f64 v[16:17], v[6:7], v[24:25]
	v_mul_f64 v[24:25], v[8:9], v[24:25]
	v_add_f64 v[10:11], v[12:13], v[10:11]
	v_add_f64 v[12:13], v[30:31], v[40:41]
	v_fma_f64 v[30:31], v[4:5], v[18:19], v[32:33]
	v_fma_f64 v[18:19], v[2:3], v[18:19], -v[20:21]
	ds_load_b128 v[2:5], v1 offset:1712
	v_fma_f64 v[8:9], v[8:9], v[22:23], v[16:17]
	v_fma_f64 v[6:7], v[6:7], v[22:23], -v[24:25]
	v_add_f64 v[10:11], v[10:11], v[14:15]
	v_add_f64 v[12:13], v[12:13], v[36:37]
	s_waitcnt vmcnt(0) lgkmcnt(0)
	v_mul_f64 v[14:15], v[2:3], v[28:29]
	v_mul_f64 v[20:21], v[4:5], v[28:29]
	s_delay_alu instid0(VALU_DEP_4) | instskip(NEXT) | instid1(VALU_DEP_4)
	v_add_f64 v[10:11], v[10:11], v[18:19]
	v_add_f64 v[12:13], v[12:13], v[30:31]
	s_delay_alu instid0(VALU_DEP_4) | instskip(NEXT) | instid1(VALU_DEP_4)
	v_fma_f64 v[4:5], v[4:5], v[26:27], v[14:15]
	v_fma_f64 v[2:3], v[2:3], v[26:27], -v[20:21]
	s_delay_alu instid0(VALU_DEP_4) | instskip(NEXT) | instid1(VALU_DEP_4)
	v_add_f64 v[6:7], v[10:11], v[6:7]
	v_add_f64 v[8:9], v[12:13], v[8:9]
	s_delay_alu instid0(VALU_DEP_2) | instskip(NEXT) | instid1(VALU_DEP_2)
	v_add_f64 v[2:3], v[6:7], v[2:3]
	v_add_f64 v[4:5], v[8:9], v[4:5]
	s_delay_alu instid0(VALU_DEP_2) | instskip(NEXT) | instid1(VALU_DEP_2)
	v_add_f64 v[2:3], v[42:43], -v[2:3]
	v_add_f64 v[4:5], v[44:45], -v[4:5]
	scratch_store_b128 off, v[2:5], off offset:416
	v_cmpx_lt_u32_e32 25, v154
	s_cbranch_execz .LBB53_287
; %bb.286:
	scratch_load_b128 v[5:8], v183, off
	v_mov_b32_e32 v2, v1
	v_mov_b32_e32 v3, v1
	;; [unrolled: 1-line block ×3, first 2 shown]
	scratch_store_b128 off, v[1:4], off offset:400
	s_waitcnt vmcnt(0)
	ds_store_b128 v208, v[5:8]
.LBB53_287:
	s_or_b32 exec_lo, exec_lo, s2
	s_waitcnt lgkmcnt(0)
	s_waitcnt_vscnt null, 0x0
	s_barrier
	buffer_gl0_inv
	s_clause 0x8
	scratch_load_b128 v[2:5], off, off offset:416
	scratch_load_b128 v[6:9], off, off offset:432
	scratch_load_b128 v[10:13], off, off offset:448
	scratch_load_b128 v[14:17], off, off offset:464
	scratch_load_b128 v[18:21], off, off offset:480
	scratch_load_b128 v[22:25], off, off offset:496
	scratch_load_b128 v[26:29], off, off offset:512
	scratch_load_b128 v[30:33], off, off offset:528
	scratch_load_b128 v[34:37], off, off offset:544
	ds_load_b128 v[42:45], v1 offset:1280
	ds_load_b128 v[38:41], v1 offset:1296
	s_clause 0x1
	scratch_load_b128 v[157:160], off, off offset:400
	scratch_load_b128 v[171:174], off, off offset:560
	s_mov_b32 s2, exec_lo
	ds_load_b128 v[220:223], v1 offset:1328
	s_waitcnt vmcnt(10) lgkmcnt(2)
	v_mul_f64 v[48:49], v[44:45], v[4:5]
	v_mul_f64 v[4:5], v[42:43], v[4:5]
	s_waitcnt vmcnt(9) lgkmcnt(1)
	v_mul_f64 v[50:51], v[38:39], v[8:9]
	v_mul_f64 v[8:9], v[40:41], v[8:9]
	s_delay_alu instid0(VALU_DEP_4) | instskip(NEXT) | instid1(VALU_DEP_4)
	v_fma_f64 v[48:49], v[42:43], v[2:3], -v[48:49]
	v_fma_f64 v[164:165], v[44:45], v[2:3], v[4:5]
	ds_load_b128 v[2:5], v1 offset:1312
	scratch_load_b128 v[42:45], off, off offset:576
	v_fma_f64 v[40:41], v[40:41], v[6:7], v[50:51]
	v_fma_f64 v[38:39], v[38:39], v[6:7], -v[8:9]
	scratch_load_b128 v[6:9], off, off offset:592
	s_waitcnt vmcnt(10) lgkmcnt(0)
	v_mul_f64 v[168:169], v[2:3], v[12:13]
	v_mul_f64 v[12:13], v[4:5], v[12:13]
	v_add_f64 v[48:49], v[48:49], 0
	v_add_f64 v[50:51], v[164:165], 0
	s_waitcnt vmcnt(9)
	v_mul_f64 v[164:165], v[220:221], v[16:17]
	v_mul_f64 v[16:17], v[222:223], v[16:17]
	v_fma_f64 v[168:169], v[4:5], v[10:11], v[168:169]
	v_fma_f64 v[226:227], v[2:3], v[10:11], -v[12:13]
	ds_load_b128 v[2:5], v1 offset:1344
	scratch_load_b128 v[10:13], off, off offset:608
	v_add_f64 v[48:49], v[48:49], v[38:39]
	v_add_f64 v[50:51], v[50:51], v[40:41]
	ds_load_b128 v[38:41], v1 offset:1360
	v_fma_f64 v[164:165], v[222:223], v[14:15], v[164:165]
	v_fma_f64 v[220:221], v[220:221], v[14:15], -v[16:17]
	scratch_load_b128 v[14:17], off, off offset:624
	s_waitcnt vmcnt(10) lgkmcnt(1)
	v_mul_f64 v[228:229], v[2:3], v[20:21]
	v_mul_f64 v[20:21], v[4:5], v[20:21]
	v_add_f64 v[48:49], v[48:49], v[226:227]
	v_add_f64 v[50:51], v[50:51], v[168:169]
	s_waitcnt vmcnt(9) lgkmcnt(0)
	v_mul_f64 v[168:169], v[38:39], v[24:25]
	v_mul_f64 v[24:25], v[40:41], v[24:25]
	v_fma_f64 v[226:227], v[4:5], v[18:19], v[228:229]
	v_fma_f64 v[228:229], v[2:3], v[18:19], -v[20:21]
	ds_load_b128 v[2:5], v1 offset:1376
	scratch_load_b128 v[18:21], off, off offset:640
	v_add_f64 v[48:49], v[48:49], v[220:221]
	v_add_f64 v[50:51], v[50:51], v[164:165]
	ds_load_b128 v[220:223], v1 offset:1392
	s_waitcnt vmcnt(9) lgkmcnt(1)
	v_mul_f64 v[164:165], v[2:3], v[28:29]
	v_mul_f64 v[28:29], v[4:5], v[28:29]
	v_fma_f64 v[40:41], v[40:41], v[22:23], v[168:169]
	v_fma_f64 v[38:39], v[38:39], v[22:23], -v[24:25]
	scratch_load_b128 v[22:25], off, off offset:656
	s_waitcnt vmcnt(9) lgkmcnt(0)
	v_mul_f64 v[168:169], v[220:221], v[32:33]
	v_mul_f64 v[32:33], v[222:223], v[32:33]
	v_add_f64 v[48:49], v[48:49], v[228:229]
	v_add_f64 v[50:51], v[50:51], v[226:227]
	v_fma_f64 v[164:165], v[4:5], v[26:27], v[164:165]
	v_fma_f64 v[226:227], v[2:3], v[26:27], -v[28:29]
	ds_load_b128 v[2:5], v1 offset:1408
	scratch_load_b128 v[26:29], off, off offset:672
	v_fma_f64 v[168:169], v[222:223], v[30:31], v[168:169]
	v_fma_f64 v[220:221], v[220:221], v[30:31], -v[32:33]
	scratch_load_b128 v[30:33], off, off offset:688
	v_add_f64 v[48:49], v[48:49], v[38:39]
	v_add_f64 v[50:51], v[50:51], v[40:41]
	ds_load_b128 v[38:41], v1 offset:1424
	s_waitcnt vmcnt(10) lgkmcnt(1)
	v_mul_f64 v[228:229], v[2:3], v[36:37]
	v_mul_f64 v[36:37], v[4:5], v[36:37]
	v_add_f64 v[48:49], v[48:49], v[226:227]
	v_add_f64 v[50:51], v[50:51], v[164:165]
	s_waitcnt vmcnt(8) lgkmcnt(0)
	v_mul_f64 v[164:165], v[38:39], v[173:174]
	v_mul_f64 v[173:174], v[40:41], v[173:174]
	v_fma_f64 v[226:227], v[4:5], v[34:35], v[228:229]
	v_fma_f64 v[228:229], v[2:3], v[34:35], -v[36:37]
	ds_load_b128 v[2:5], v1 offset:1440
	scratch_load_b128 v[34:37], off, off offset:704
	v_add_f64 v[48:49], v[48:49], v[220:221]
	v_add_f64 v[50:51], v[50:51], v[168:169]
	ds_load_b128 v[220:223], v1 offset:1456
	v_fma_f64 v[164:165], v[40:41], v[171:172], v[164:165]
	v_fma_f64 v[171:172], v[38:39], v[171:172], -v[173:174]
	scratch_load_b128 v[38:41], off, off offset:720
	s_waitcnt vmcnt(9) lgkmcnt(1)
	v_mul_f64 v[168:169], v[2:3], v[44:45]
	v_mul_f64 v[44:45], v[4:5], v[44:45]
	v_add_f64 v[48:49], v[48:49], v[228:229]
	v_add_f64 v[50:51], v[50:51], v[226:227]
	s_waitcnt vmcnt(8) lgkmcnt(0)
	v_mul_f64 v[226:227], v[220:221], v[8:9]
	v_mul_f64 v[8:9], v[222:223], v[8:9]
	v_fma_f64 v[168:169], v[4:5], v[42:43], v[168:169]
	v_fma_f64 v[228:229], v[2:3], v[42:43], -v[44:45]
	ds_load_b128 v[2:5], v1 offset:1472
	scratch_load_b128 v[42:45], off, off offset:736
	v_add_f64 v[48:49], v[48:49], v[171:172]
	v_add_f64 v[50:51], v[50:51], v[164:165]
	ds_load_b128 v[171:174], v1 offset:1488
	s_waitcnt vmcnt(8) lgkmcnt(1)
	v_mul_f64 v[164:165], v[2:3], v[12:13]
	v_mul_f64 v[12:13], v[4:5], v[12:13]
	v_fma_f64 v[222:223], v[222:223], v[6:7], v[226:227]
	v_fma_f64 v[220:221], v[220:221], v[6:7], -v[8:9]
	scratch_load_b128 v[6:9], off, off offset:752
	v_add_f64 v[48:49], v[48:49], v[228:229]
	v_add_f64 v[50:51], v[50:51], v[168:169]
	s_waitcnt vmcnt(8) lgkmcnt(0)
	v_mul_f64 v[168:169], v[171:172], v[16:17]
	v_mul_f64 v[16:17], v[173:174], v[16:17]
	v_fma_f64 v[164:165], v[4:5], v[10:11], v[164:165]
	v_fma_f64 v[226:227], v[2:3], v[10:11], -v[12:13]
	ds_load_b128 v[2:5], v1 offset:1504
	scratch_load_b128 v[10:13], off, off offset:768
	v_add_f64 v[48:49], v[48:49], v[220:221]
	v_add_f64 v[50:51], v[50:51], v[222:223]
	ds_load_b128 v[220:223], v1 offset:1520
	s_waitcnt vmcnt(8) lgkmcnt(1)
	v_mul_f64 v[228:229], v[2:3], v[20:21]
	v_mul_f64 v[20:21], v[4:5], v[20:21]
	v_fma_f64 v[168:169], v[173:174], v[14:15], v[168:169]
	v_fma_f64 v[171:172], v[171:172], v[14:15], -v[16:17]
	scratch_load_b128 v[14:17], off, off offset:784
	;; [unrolled: 18-line block ×4, first 2 shown]
	v_add_f64 v[48:49], v[48:49], v[228:229]
	v_add_f64 v[50:51], v[50:51], v[168:169]
	s_waitcnt vmcnt(8) lgkmcnt(0)
	v_mul_f64 v[168:169], v[220:221], v[40:41]
	v_mul_f64 v[40:41], v[222:223], v[40:41]
	v_fma_f64 v[164:165], v[4:5], v[34:35], v[164:165]
	v_fma_f64 v[226:227], v[2:3], v[34:35], -v[36:37]
	ds_load_b128 v[2:5], v1 offset:1600
	ds_load_b128 v[34:37], v1 offset:1616
	v_add_f64 v[48:49], v[48:49], v[171:172]
	v_add_f64 v[50:51], v[50:51], v[173:174]
	s_waitcnt vmcnt(7) lgkmcnt(1)
	v_mul_f64 v[171:172], v[2:3], v[44:45]
	v_mul_f64 v[44:45], v[4:5], v[44:45]
	v_fma_f64 v[168:169], v[222:223], v[38:39], v[168:169]
	v_fma_f64 v[38:39], v[220:221], v[38:39], -v[40:41]
	v_add_f64 v[40:41], v[48:49], v[226:227]
	v_add_f64 v[48:49], v[50:51], v[164:165]
	s_waitcnt vmcnt(6) lgkmcnt(0)
	v_mul_f64 v[50:51], v[34:35], v[8:9]
	v_mul_f64 v[8:9], v[36:37], v[8:9]
	v_fma_f64 v[164:165], v[4:5], v[42:43], v[171:172]
	v_fma_f64 v[42:43], v[2:3], v[42:43], -v[44:45]
	v_add_f64 v[44:45], v[40:41], v[38:39]
	v_add_f64 v[48:49], v[48:49], v[168:169]
	ds_load_b128 v[2:5], v1 offset:1632
	ds_load_b128 v[38:41], v1 offset:1648
	v_fma_f64 v[36:37], v[36:37], v[6:7], v[50:51]
	v_fma_f64 v[6:7], v[34:35], v[6:7], -v[8:9]
	s_waitcnt vmcnt(5) lgkmcnt(1)
	v_mul_f64 v[168:169], v[2:3], v[12:13]
	v_mul_f64 v[12:13], v[4:5], v[12:13]
	v_add_f64 v[8:9], v[44:45], v[42:43]
	v_add_f64 v[34:35], v[48:49], v[164:165]
	s_waitcnt vmcnt(4) lgkmcnt(0)
	v_mul_f64 v[42:43], v[38:39], v[16:17]
	v_mul_f64 v[16:17], v[40:41], v[16:17]
	v_fma_f64 v[44:45], v[4:5], v[10:11], v[168:169]
	v_fma_f64 v[10:11], v[2:3], v[10:11], -v[12:13]
	v_add_f64 v[12:13], v[8:9], v[6:7]
	v_add_f64 v[34:35], v[34:35], v[36:37]
	ds_load_b128 v[2:5], v1 offset:1664
	ds_load_b128 v[6:9], v1 offset:1680
	v_fma_f64 v[40:41], v[40:41], v[14:15], v[42:43]
	v_fma_f64 v[14:15], v[38:39], v[14:15], -v[16:17]
	s_waitcnt vmcnt(3) lgkmcnt(1)
	v_mul_f64 v[36:37], v[2:3], v[20:21]
	v_mul_f64 v[20:21], v[4:5], v[20:21]
	s_waitcnt vmcnt(2) lgkmcnt(0)
	v_mul_f64 v[16:17], v[6:7], v[24:25]
	v_mul_f64 v[24:25], v[8:9], v[24:25]
	v_add_f64 v[10:11], v[12:13], v[10:11]
	v_add_f64 v[12:13], v[34:35], v[44:45]
	v_fma_f64 v[34:35], v[4:5], v[18:19], v[36:37]
	v_fma_f64 v[18:19], v[2:3], v[18:19], -v[20:21]
	v_fma_f64 v[8:9], v[8:9], v[22:23], v[16:17]
	v_fma_f64 v[6:7], v[6:7], v[22:23], -v[24:25]
	v_add_f64 v[14:15], v[10:11], v[14:15]
	v_add_f64 v[20:21], v[12:13], v[40:41]
	ds_load_b128 v[2:5], v1 offset:1696
	ds_load_b128 v[10:13], v1 offset:1712
	s_waitcnt vmcnt(1) lgkmcnt(1)
	v_mul_f64 v[36:37], v[2:3], v[28:29]
	v_mul_f64 v[28:29], v[4:5], v[28:29]
	v_add_f64 v[14:15], v[14:15], v[18:19]
	v_add_f64 v[16:17], v[20:21], v[34:35]
	s_waitcnt vmcnt(0) lgkmcnt(0)
	v_mul_f64 v[18:19], v[10:11], v[32:33]
	v_mul_f64 v[20:21], v[12:13], v[32:33]
	v_fma_f64 v[4:5], v[4:5], v[26:27], v[36:37]
	v_fma_f64 v[1:2], v[2:3], v[26:27], -v[28:29]
	v_add_f64 v[6:7], v[14:15], v[6:7]
	v_add_f64 v[8:9], v[16:17], v[8:9]
	v_fma_f64 v[12:13], v[12:13], v[30:31], v[18:19]
	v_fma_f64 v[10:11], v[10:11], v[30:31], -v[20:21]
	s_delay_alu instid0(VALU_DEP_4) | instskip(NEXT) | instid1(VALU_DEP_4)
	v_add_f64 v[1:2], v[6:7], v[1:2]
	v_add_f64 v[3:4], v[8:9], v[4:5]
	s_delay_alu instid0(VALU_DEP_2) | instskip(NEXT) | instid1(VALU_DEP_2)
	v_add_f64 v[1:2], v[1:2], v[10:11]
	v_add_f64 v[3:4], v[3:4], v[12:13]
	s_delay_alu instid0(VALU_DEP_2) | instskip(NEXT) | instid1(VALU_DEP_2)
	v_add_f64 v[1:2], v[157:158], -v[1:2]
	v_add_f64 v[3:4], v[159:160], -v[3:4]
	scratch_store_b128 off, v[1:4], off offset:400
	v_cmpx_lt_u32_e32 24, v154
	s_cbranch_execz .LBB53_289
; %bb.288:
	scratch_load_b128 v[1:4], v184, off
	v_mov_b32_e32 v5, 0
	s_delay_alu instid0(VALU_DEP_1)
	v_mov_b32_e32 v6, v5
	v_mov_b32_e32 v7, v5
	;; [unrolled: 1-line block ×3, first 2 shown]
	scratch_store_b128 off, v[5:8], off offset:384
	s_waitcnt vmcnt(0)
	ds_store_b128 v208, v[1:4]
.LBB53_289:
	s_or_b32 exec_lo, exec_lo, s2
	s_waitcnt lgkmcnt(0)
	s_waitcnt_vscnt null, 0x0
	s_barrier
	buffer_gl0_inv
	s_clause 0x7
	scratch_load_b128 v[2:5], off, off offset:400
	scratch_load_b128 v[6:9], off, off offset:416
	;; [unrolled: 1-line block ×8, first 2 shown]
	v_mov_b32_e32 v1, 0
	s_mov_b32 s2, exec_lo
	ds_load_b128 v[38:41], v1 offset:1264
	s_clause 0x1
	scratch_load_b128 v[34:37], off, off offset:528
	scratch_load_b128 v[42:45], off, off offset:384
	ds_load_b128 v[157:160], v1 offset:1280
	scratch_load_b128 v[171:174], off, off offset:544
	ds_load_b128 v[220:223], v1 offset:1312
	s_waitcnt vmcnt(10) lgkmcnt(2)
	v_mul_f64 v[48:49], v[40:41], v[4:5]
	v_mul_f64 v[4:5], v[38:39], v[4:5]
	s_delay_alu instid0(VALU_DEP_2) | instskip(NEXT) | instid1(VALU_DEP_2)
	v_fma_f64 v[48:49], v[38:39], v[2:3], -v[48:49]
	v_fma_f64 v[164:165], v[40:41], v[2:3], v[4:5]
	ds_load_b128 v[2:5], v1 offset:1296
	s_waitcnt vmcnt(9) lgkmcnt(2)
	v_mul_f64 v[50:51], v[157:158], v[8:9]
	v_mul_f64 v[8:9], v[159:160], v[8:9]
	scratch_load_b128 v[38:41], off, off offset:560
	s_waitcnt vmcnt(9) lgkmcnt(0)
	v_mul_f64 v[168:169], v[2:3], v[12:13]
	v_mul_f64 v[12:13], v[4:5], v[12:13]
	v_add_f64 v[48:49], v[48:49], 0
	v_fma_f64 v[50:51], v[159:160], v[6:7], v[50:51]
	v_fma_f64 v[157:158], v[157:158], v[6:7], -v[8:9]
	v_add_f64 v[159:160], v[164:165], 0
	scratch_load_b128 v[6:9], off, off offset:576
	v_fma_f64 v[168:169], v[4:5], v[10:11], v[168:169]
	v_fma_f64 v[226:227], v[2:3], v[10:11], -v[12:13]
	scratch_load_b128 v[10:13], off, off offset:592
	ds_load_b128 v[2:5], v1 offset:1328
	s_waitcnt vmcnt(10)
	v_mul_f64 v[164:165], v[220:221], v[16:17]
	v_mul_f64 v[16:17], v[222:223], v[16:17]
	v_add_f64 v[48:49], v[48:49], v[157:158]
	v_add_f64 v[50:51], v[159:160], v[50:51]
	ds_load_b128 v[157:160], v1 offset:1344
	s_waitcnt vmcnt(9) lgkmcnt(1)
	v_mul_f64 v[228:229], v[2:3], v[20:21]
	v_mul_f64 v[20:21], v[4:5], v[20:21]
	v_fma_f64 v[164:165], v[222:223], v[14:15], v[164:165]
	v_fma_f64 v[220:221], v[220:221], v[14:15], -v[16:17]
	scratch_load_b128 v[14:17], off, off offset:608
	v_add_f64 v[48:49], v[48:49], v[226:227]
	v_add_f64 v[50:51], v[50:51], v[168:169]
	v_fma_f64 v[226:227], v[4:5], v[18:19], v[228:229]
	v_fma_f64 v[228:229], v[2:3], v[18:19], -v[20:21]
	scratch_load_b128 v[18:21], off, off offset:624
	ds_load_b128 v[2:5], v1 offset:1360
	s_waitcnt vmcnt(10) lgkmcnt(1)
	v_mul_f64 v[168:169], v[157:158], v[24:25]
	v_mul_f64 v[24:25], v[159:160], v[24:25]
	v_add_f64 v[48:49], v[48:49], v[220:221]
	v_add_f64 v[50:51], v[50:51], v[164:165]
	s_waitcnt vmcnt(9) lgkmcnt(0)
	v_mul_f64 v[164:165], v[2:3], v[28:29]
	v_mul_f64 v[28:29], v[4:5], v[28:29]
	ds_load_b128 v[220:223], v1 offset:1376
	v_fma_f64 v[159:160], v[159:160], v[22:23], v[168:169]
	v_fma_f64 v[157:158], v[157:158], v[22:23], -v[24:25]
	scratch_load_b128 v[22:25], off, off offset:640
	v_add_f64 v[48:49], v[48:49], v[228:229]
	v_add_f64 v[50:51], v[50:51], v[226:227]
	v_fma_f64 v[164:165], v[4:5], v[26:27], v[164:165]
	v_fma_f64 v[226:227], v[2:3], v[26:27], -v[28:29]
	scratch_load_b128 v[26:29], off, off offset:656
	ds_load_b128 v[2:5], v1 offset:1392
	s_waitcnt vmcnt(10) lgkmcnt(1)
	v_mul_f64 v[168:169], v[220:221], v[32:33]
	v_mul_f64 v[32:33], v[222:223], v[32:33]
	s_waitcnt vmcnt(9) lgkmcnt(0)
	v_mul_f64 v[228:229], v[2:3], v[36:37]
	v_mul_f64 v[36:37], v[4:5], v[36:37]
	v_add_f64 v[48:49], v[48:49], v[157:158]
	v_add_f64 v[50:51], v[50:51], v[159:160]
	ds_load_b128 v[157:160], v1 offset:1408
	v_fma_f64 v[168:169], v[222:223], v[30:31], v[168:169]
	v_fma_f64 v[220:221], v[220:221], v[30:31], -v[32:33]
	scratch_load_b128 v[30:33], off, off offset:672
	v_add_f64 v[48:49], v[48:49], v[226:227]
	v_add_f64 v[50:51], v[50:51], v[164:165]
	v_fma_f64 v[226:227], v[4:5], v[34:35], v[228:229]
	v_fma_f64 v[228:229], v[2:3], v[34:35], -v[36:37]
	scratch_load_b128 v[34:37], off, off offset:688
	ds_load_b128 v[2:5], v1 offset:1424
	s_waitcnt vmcnt(9) lgkmcnt(1)
	v_mul_f64 v[164:165], v[157:158], v[173:174]
	v_mul_f64 v[173:174], v[159:160], v[173:174]
	v_add_f64 v[48:49], v[48:49], v[220:221]
	v_add_f64 v[50:51], v[50:51], v[168:169]
	ds_load_b128 v[220:223], v1 offset:1440
	v_fma_f64 v[164:165], v[159:160], v[171:172], v[164:165]
	v_fma_f64 v[171:172], v[157:158], v[171:172], -v[173:174]
	scratch_load_b128 v[157:160], off, off offset:704
	s_waitcnt vmcnt(9) lgkmcnt(1)
	v_mul_f64 v[168:169], v[2:3], v[40:41]
	v_mul_f64 v[40:41], v[4:5], v[40:41]
	v_add_f64 v[48:49], v[48:49], v[228:229]
	v_add_f64 v[50:51], v[50:51], v[226:227]
	s_delay_alu instid0(VALU_DEP_4) | instskip(NEXT) | instid1(VALU_DEP_4)
	v_fma_f64 v[168:169], v[4:5], v[38:39], v[168:169]
	v_fma_f64 v[228:229], v[2:3], v[38:39], -v[40:41]
	scratch_load_b128 v[38:41], off, off offset:720
	ds_load_b128 v[2:5], v1 offset:1456
	s_waitcnt vmcnt(9) lgkmcnt(1)
	v_mul_f64 v[226:227], v[220:221], v[8:9]
	v_mul_f64 v[8:9], v[222:223], v[8:9]
	v_add_f64 v[48:49], v[48:49], v[171:172]
	v_add_f64 v[50:51], v[50:51], v[164:165]
	s_waitcnt vmcnt(8) lgkmcnt(0)
	v_mul_f64 v[164:165], v[2:3], v[12:13]
	v_mul_f64 v[12:13], v[4:5], v[12:13]
	ds_load_b128 v[171:174], v1 offset:1472
	v_fma_f64 v[222:223], v[222:223], v[6:7], v[226:227]
	v_fma_f64 v[220:221], v[220:221], v[6:7], -v[8:9]
	scratch_load_b128 v[6:9], off, off offset:736
	v_add_f64 v[48:49], v[48:49], v[228:229]
	v_add_f64 v[50:51], v[50:51], v[168:169]
	v_fma_f64 v[164:165], v[4:5], v[10:11], v[164:165]
	v_fma_f64 v[226:227], v[2:3], v[10:11], -v[12:13]
	scratch_load_b128 v[10:13], off, off offset:752
	ds_load_b128 v[2:5], v1 offset:1488
	s_waitcnt vmcnt(9) lgkmcnt(1)
	v_mul_f64 v[168:169], v[171:172], v[16:17]
	v_mul_f64 v[16:17], v[173:174], v[16:17]
	s_waitcnt vmcnt(8) lgkmcnt(0)
	v_mul_f64 v[228:229], v[2:3], v[20:21]
	v_mul_f64 v[20:21], v[4:5], v[20:21]
	v_add_f64 v[48:49], v[48:49], v[220:221]
	v_add_f64 v[50:51], v[50:51], v[222:223]
	ds_load_b128 v[220:223], v1 offset:1504
	v_fma_f64 v[168:169], v[173:174], v[14:15], v[168:169]
	v_fma_f64 v[171:172], v[171:172], v[14:15], -v[16:17]
	scratch_load_b128 v[14:17], off, off offset:768
	v_add_f64 v[48:49], v[48:49], v[226:227]
	v_add_f64 v[50:51], v[50:51], v[164:165]
	v_fma_f64 v[226:227], v[4:5], v[18:19], v[228:229]
	v_fma_f64 v[228:229], v[2:3], v[18:19], -v[20:21]
	scratch_load_b128 v[18:21], off, off offset:784
	ds_load_b128 v[2:5], v1 offset:1520
	s_waitcnt vmcnt(9) lgkmcnt(1)
	v_mul_f64 v[164:165], v[220:221], v[24:25]
	v_mul_f64 v[24:25], v[222:223], v[24:25]
	v_add_f64 v[48:49], v[48:49], v[171:172]
	v_add_f64 v[50:51], v[50:51], v[168:169]
	s_waitcnt vmcnt(8) lgkmcnt(0)
	v_mul_f64 v[168:169], v[2:3], v[28:29]
	v_mul_f64 v[28:29], v[4:5], v[28:29]
	ds_load_b128 v[171:174], v1 offset:1536
	v_fma_f64 v[164:165], v[222:223], v[22:23], v[164:165]
	v_fma_f64 v[220:221], v[220:221], v[22:23], -v[24:25]
	scratch_load_b128 v[22:25], off, off offset:800
	v_add_f64 v[48:49], v[48:49], v[228:229]
	v_add_f64 v[50:51], v[50:51], v[226:227]
	v_fma_f64 v[168:169], v[4:5], v[26:27], v[168:169]
	v_fma_f64 v[228:229], v[2:3], v[26:27], -v[28:29]
	scratch_load_b128 v[26:29], off, off offset:816
	ds_load_b128 v[2:5], v1 offset:1552
	s_waitcnt vmcnt(9) lgkmcnt(1)
	v_mul_f64 v[226:227], v[171:172], v[32:33]
	v_mul_f64 v[32:33], v[173:174], v[32:33]
	v_add_f64 v[48:49], v[48:49], v[220:221]
	v_add_f64 v[50:51], v[50:51], v[164:165]
	s_waitcnt vmcnt(8) lgkmcnt(0)
	v_mul_f64 v[164:165], v[2:3], v[36:37]
	v_mul_f64 v[36:37], v[4:5], v[36:37]
	ds_load_b128 v[220:223], v1 offset:1568
	v_fma_f64 v[173:174], v[173:174], v[30:31], v[226:227]
	v_fma_f64 v[171:172], v[171:172], v[30:31], -v[32:33]
	scratch_load_b128 v[30:33], off, off offset:832
	v_add_f64 v[48:49], v[48:49], v[228:229]
	v_add_f64 v[50:51], v[50:51], v[168:169]
	v_fma_f64 v[164:165], v[4:5], v[34:35], v[164:165]
	v_fma_f64 v[226:227], v[2:3], v[34:35], -v[36:37]
	scratch_load_b128 v[34:37], off, off offset:848
	ds_load_b128 v[2:5], v1 offset:1584
	s_waitcnt vmcnt(9) lgkmcnt(1)
	v_mul_f64 v[168:169], v[220:221], v[159:160]
	v_mul_f64 v[159:160], v[222:223], v[159:160]
	s_waitcnt vmcnt(8) lgkmcnt(0)
	v_mul_f64 v[228:229], v[2:3], v[40:41]
	v_mul_f64 v[40:41], v[4:5], v[40:41]
	v_add_f64 v[48:49], v[48:49], v[171:172]
	v_add_f64 v[50:51], v[50:51], v[173:174]
	ds_load_b128 v[171:174], v1 offset:1600
	v_fma_f64 v[168:169], v[222:223], v[157:158], v[168:169]
	v_fma_f64 v[157:158], v[220:221], v[157:158], -v[159:160]
	v_fma_f64 v[220:221], v[2:3], v[38:39], -v[40:41]
	v_add_f64 v[48:49], v[48:49], v[226:227]
	v_add_f64 v[50:51], v[50:51], v[164:165]
	s_waitcnt vmcnt(7) lgkmcnt(0)
	v_mul_f64 v[159:160], v[171:172], v[8:9]
	v_mul_f64 v[8:9], v[173:174], v[8:9]
	v_fma_f64 v[164:165], v[4:5], v[38:39], v[228:229]
	ds_load_b128 v[2:5], v1 offset:1616
	ds_load_b128 v[38:41], v1 offset:1632
	v_add_f64 v[48:49], v[48:49], v[157:158]
	v_add_f64 v[50:51], v[50:51], v[168:169]
	s_waitcnt vmcnt(6) lgkmcnt(1)
	v_mul_f64 v[157:158], v[2:3], v[12:13]
	v_mul_f64 v[12:13], v[4:5], v[12:13]
	v_fma_f64 v[159:160], v[173:174], v[6:7], v[159:160]
	v_fma_f64 v[6:7], v[171:172], v[6:7], -v[8:9]
	v_add_f64 v[8:9], v[48:49], v[220:221]
	v_add_f64 v[48:49], v[50:51], v[164:165]
	s_waitcnt vmcnt(5) lgkmcnt(0)
	v_mul_f64 v[50:51], v[38:39], v[16:17]
	v_mul_f64 v[16:17], v[40:41], v[16:17]
	v_fma_f64 v[157:158], v[4:5], v[10:11], v[157:158]
	v_fma_f64 v[10:11], v[2:3], v[10:11], -v[12:13]
	v_add_f64 v[12:13], v[8:9], v[6:7]
	v_add_f64 v[48:49], v[48:49], v[159:160]
	ds_load_b128 v[2:5], v1 offset:1648
	ds_load_b128 v[6:9], v1 offset:1664
	v_fma_f64 v[40:41], v[40:41], v[14:15], v[50:51]
	v_fma_f64 v[14:15], v[38:39], v[14:15], -v[16:17]
	s_waitcnt vmcnt(4) lgkmcnt(1)
	v_mul_f64 v[159:160], v[2:3], v[20:21]
	v_mul_f64 v[20:21], v[4:5], v[20:21]
	s_waitcnt vmcnt(3) lgkmcnt(0)
	v_mul_f64 v[16:17], v[6:7], v[24:25]
	v_mul_f64 v[24:25], v[8:9], v[24:25]
	v_add_f64 v[10:11], v[12:13], v[10:11]
	v_add_f64 v[12:13], v[48:49], v[157:158]
	v_fma_f64 v[38:39], v[4:5], v[18:19], v[159:160]
	v_fma_f64 v[18:19], v[2:3], v[18:19], -v[20:21]
	v_fma_f64 v[8:9], v[8:9], v[22:23], v[16:17]
	v_fma_f64 v[6:7], v[6:7], v[22:23], -v[24:25]
	v_add_f64 v[14:15], v[10:11], v[14:15]
	v_add_f64 v[20:21], v[12:13], v[40:41]
	ds_load_b128 v[2:5], v1 offset:1680
	ds_load_b128 v[10:13], v1 offset:1696
	s_waitcnt vmcnt(2) lgkmcnt(1)
	v_mul_f64 v[40:41], v[2:3], v[28:29]
	v_mul_f64 v[28:29], v[4:5], v[28:29]
	v_add_f64 v[14:15], v[14:15], v[18:19]
	v_add_f64 v[16:17], v[20:21], v[38:39]
	s_waitcnt vmcnt(1) lgkmcnt(0)
	v_mul_f64 v[18:19], v[10:11], v[32:33]
	v_mul_f64 v[20:21], v[12:13], v[32:33]
	v_fma_f64 v[22:23], v[4:5], v[26:27], v[40:41]
	v_fma_f64 v[24:25], v[2:3], v[26:27], -v[28:29]
	ds_load_b128 v[2:5], v1 offset:1712
	v_add_f64 v[6:7], v[14:15], v[6:7]
	v_add_f64 v[8:9], v[16:17], v[8:9]
	v_fma_f64 v[12:13], v[12:13], v[30:31], v[18:19]
	v_fma_f64 v[10:11], v[10:11], v[30:31], -v[20:21]
	s_waitcnt vmcnt(0) lgkmcnt(0)
	v_mul_f64 v[14:15], v[2:3], v[36:37]
	v_mul_f64 v[16:17], v[4:5], v[36:37]
	v_add_f64 v[6:7], v[6:7], v[24:25]
	v_add_f64 v[8:9], v[8:9], v[22:23]
	s_delay_alu instid0(VALU_DEP_4) | instskip(NEXT) | instid1(VALU_DEP_4)
	v_fma_f64 v[4:5], v[4:5], v[34:35], v[14:15]
	v_fma_f64 v[2:3], v[2:3], v[34:35], -v[16:17]
	s_delay_alu instid0(VALU_DEP_4) | instskip(NEXT) | instid1(VALU_DEP_4)
	v_add_f64 v[6:7], v[6:7], v[10:11]
	v_add_f64 v[8:9], v[8:9], v[12:13]
	s_delay_alu instid0(VALU_DEP_2) | instskip(NEXT) | instid1(VALU_DEP_2)
	v_add_f64 v[2:3], v[6:7], v[2:3]
	v_add_f64 v[4:5], v[8:9], v[4:5]
	s_delay_alu instid0(VALU_DEP_2) | instskip(NEXT) | instid1(VALU_DEP_2)
	v_add_f64 v[2:3], v[42:43], -v[2:3]
	v_add_f64 v[4:5], v[44:45], -v[4:5]
	scratch_store_b128 off, v[2:5], off offset:384
	v_cmpx_lt_u32_e32 23, v154
	s_cbranch_execz .LBB53_291
; %bb.290:
	scratch_load_b128 v[5:8], v185, off
	v_mov_b32_e32 v2, v1
	v_mov_b32_e32 v3, v1
	;; [unrolled: 1-line block ×3, first 2 shown]
	scratch_store_b128 off, v[1:4], off offset:368
	s_waitcnt vmcnt(0)
	ds_store_b128 v208, v[5:8]
.LBB53_291:
	s_or_b32 exec_lo, exec_lo, s2
	s_waitcnt lgkmcnt(0)
	s_waitcnt_vscnt null, 0x0
	s_barrier
	buffer_gl0_inv
	s_clause 0x8
	scratch_load_b128 v[2:5], off, off offset:384
	scratch_load_b128 v[6:9], off, off offset:400
	;; [unrolled: 1-line block ×9, first 2 shown]
	ds_load_b128 v[42:45], v1 offset:1248
	ds_load_b128 v[38:41], v1 offset:1264
	s_clause 0x1
	scratch_load_b128 v[157:160], off, off offset:368
	scratch_load_b128 v[171:174], off, off offset:528
	s_mov_b32 s2, exec_lo
	ds_load_b128 v[220:223], v1 offset:1296
	s_waitcnt vmcnt(10) lgkmcnt(2)
	v_mul_f64 v[48:49], v[44:45], v[4:5]
	v_mul_f64 v[4:5], v[42:43], v[4:5]
	s_waitcnt vmcnt(9) lgkmcnt(1)
	v_mul_f64 v[50:51], v[38:39], v[8:9]
	v_mul_f64 v[8:9], v[40:41], v[8:9]
	s_delay_alu instid0(VALU_DEP_4) | instskip(NEXT) | instid1(VALU_DEP_4)
	v_fma_f64 v[48:49], v[42:43], v[2:3], -v[48:49]
	v_fma_f64 v[164:165], v[44:45], v[2:3], v[4:5]
	ds_load_b128 v[2:5], v1 offset:1280
	scratch_load_b128 v[42:45], off, off offset:544
	v_fma_f64 v[40:41], v[40:41], v[6:7], v[50:51]
	v_fma_f64 v[38:39], v[38:39], v[6:7], -v[8:9]
	scratch_load_b128 v[6:9], off, off offset:560
	s_waitcnt vmcnt(10) lgkmcnt(0)
	v_mul_f64 v[168:169], v[2:3], v[12:13]
	v_mul_f64 v[12:13], v[4:5], v[12:13]
	v_add_f64 v[48:49], v[48:49], 0
	v_add_f64 v[50:51], v[164:165], 0
	s_waitcnt vmcnt(9)
	v_mul_f64 v[164:165], v[220:221], v[16:17]
	v_mul_f64 v[16:17], v[222:223], v[16:17]
	v_fma_f64 v[168:169], v[4:5], v[10:11], v[168:169]
	v_fma_f64 v[226:227], v[2:3], v[10:11], -v[12:13]
	ds_load_b128 v[2:5], v1 offset:1312
	scratch_load_b128 v[10:13], off, off offset:576
	v_add_f64 v[48:49], v[48:49], v[38:39]
	v_add_f64 v[50:51], v[50:51], v[40:41]
	ds_load_b128 v[38:41], v1 offset:1328
	v_fma_f64 v[164:165], v[222:223], v[14:15], v[164:165]
	v_fma_f64 v[220:221], v[220:221], v[14:15], -v[16:17]
	scratch_load_b128 v[14:17], off, off offset:592
	s_waitcnt vmcnt(10) lgkmcnt(1)
	v_mul_f64 v[228:229], v[2:3], v[20:21]
	v_mul_f64 v[20:21], v[4:5], v[20:21]
	v_add_f64 v[48:49], v[48:49], v[226:227]
	v_add_f64 v[50:51], v[50:51], v[168:169]
	s_waitcnt vmcnt(9) lgkmcnt(0)
	v_mul_f64 v[168:169], v[38:39], v[24:25]
	v_mul_f64 v[24:25], v[40:41], v[24:25]
	v_fma_f64 v[226:227], v[4:5], v[18:19], v[228:229]
	v_fma_f64 v[228:229], v[2:3], v[18:19], -v[20:21]
	ds_load_b128 v[2:5], v1 offset:1344
	scratch_load_b128 v[18:21], off, off offset:608
	v_add_f64 v[48:49], v[48:49], v[220:221]
	v_add_f64 v[50:51], v[50:51], v[164:165]
	ds_load_b128 v[220:223], v1 offset:1360
	s_waitcnt vmcnt(9) lgkmcnt(1)
	v_mul_f64 v[164:165], v[2:3], v[28:29]
	v_mul_f64 v[28:29], v[4:5], v[28:29]
	v_fma_f64 v[40:41], v[40:41], v[22:23], v[168:169]
	v_fma_f64 v[38:39], v[38:39], v[22:23], -v[24:25]
	scratch_load_b128 v[22:25], off, off offset:624
	s_waitcnt vmcnt(9) lgkmcnt(0)
	v_mul_f64 v[168:169], v[220:221], v[32:33]
	v_mul_f64 v[32:33], v[222:223], v[32:33]
	v_add_f64 v[48:49], v[48:49], v[228:229]
	v_add_f64 v[50:51], v[50:51], v[226:227]
	v_fma_f64 v[164:165], v[4:5], v[26:27], v[164:165]
	v_fma_f64 v[226:227], v[2:3], v[26:27], -v[28:29]
	ds_load_b128 v[2:5], v1 offset:1376
	scratch_load_b128 v[26:29], off, off offset:640
	v_fma_f64 v[168:169], v[222:223], v[30:31], v[168:169]
	v_fma_f64 v[220:221], v[220:221], v[30:31], -v[32:33]
	scratch_load_b128 v[30:33], off, off offset:656
	v_add_f64 v[48:49], v[48:49], v[38:39]
	v_add_f64 v[50:51], v[50:51], v[40:41]
	ds_load_b128 v[38:41], v1 offset:1392
	s_waitcnt vmcnt(10) lgkmcnt(1)
	v_mul_f64 v[228:229], v[2:3], v[36:37]
	v_mul_f64 v[36:37], v[4:5], v[36:37]
	v_add_f64 v[48:49], v[48:49], v[226:227]
	v_add_f64 v[50:51], v[50:51], v[164:165]
	s_waitcnt vmcnt(8) lgkmcnt(0)
	v_mul_f64 v[164:165], v[38:39], v[173:174]
	v_mul_f64 v[173:174], v[40:41], v[173:174]
	v_fma_f64 v[226:227], v[4:5], v[34:35], v[228:229]
	v_fma_f64 v[228:229], v[2:3], v[34:35], -v[36:37]
	ds_load_b128 v[2:5], v1 offset:1408
	scratch_load_b128 v[34:37], off, off offset:672
	v_add_f64 v[48:49], v[48:49], v[220:221]
	v_add_f64 v[50:51], v[50:51], v[168:169]
	ds_load_b128 v[220:223], v1 offset:1424
	v_fma_f64 v[164:165], v[40:41], v[171:172], v[164:165]
	v_fma_f64 v[171:172], v[38:39], v[171:172], -v[173:174]
	scratch_load_b128 v[38:41], off, off offset:688
	s_waitcnt vmcnt(9) lgkmcnt(1)
	v_mul_f64 v[168:169], v[2:3], v[44:45]
	v_mul_f64 v[44:45], v[4:5], v[44:45]
	v_add_f64 v[48:49], v[48:49], v[228:229]
	v_add_f64 v[50:51], v[50:51], v[226:227]
	s_waitcnt vmcnt(8) lgkmcnt(0)
	v_mul_f64 v[226:227], v[220:221], v[8:9]
	v_mul_f64 v[8:9], v[222:223], v[8:9]
	v_fma_f64 v[168:169], v[4:5], v[42:43], v[168:169]
	v_fma_f64 v[228:229], v[2:3], v[42:43], -v[44:45]
	ds_load_b128 v[2:5], v1 offset:1440
	scratch_load_b128 v[42:45], off, off offset:704
	v_add_f64 v[48:49], v[48:49], v[171:172]
	v_add_f64 v[50:51], v[50:51], v[164:165]
	ds_load_b128 v[171:174], v1 offset:1456
	s_waitcnt vmcnt(8) lgkmcnt(1)
	v_mul_f64 v[164:165], v[2:3], v[12:13]
	v_mul_f64 v[12:13], v[4:5], v[12:13]
	v_fma_f64 v[222:223], v[222:223], v[6:7], v[226:227]
	v_fma_f64 v[220:221], v[220:221], v[6:7], -v[8:9]
	scratch_load_b128 v[6:9], off, off offset:720
	v_add_f64 v[48:49], v[48:49], v[228:229]
	v_add_f64 v[50:51], v[50:51], v[168:169]
	s_waitcnt vmcnt(8) lgkmcnt(0)
	v_mul_f64 v[168:169], v[171:172], v[16:17]
	v_mul_f64 v[16:17], v[173:174], v[16:17]
	v_fma_f64 v[164:165], v[4:5], v[10:11], v[164:165]
	v_fma_f64 v[226:227], v[2:3], v[10:11], -v[12:13]
	ds_load_b128 v[2:5], v1 offset:1472
	scratch_load_b128 v[10:13], off, off offset:736
	v_add_f64 v[48:49], v[48:49], v[220:221]
	v_add_f64 v[50:51], v[50:51], v[222:223]
	ds_load_b128 v[220:223], v1 offset:1488
	s_waitcnt vmcnt(8) lgkmcnt(1)
	v_mul_f64 v[228:229], v[2:3], v[20:21]
	v_mul_f64 v[20:21], v[4:5], v[20:21]
	v_fma_f64 v[168:169], v[173:174], v[14:15], v[168:169]
	v_fma_f64 v[171:172], v[171:172], v[14:15], -v[16:17]
	scratch_load_b128 v[14:17], off, off offset:752
	;; [unrolled: 18-line block ×5, first 2 shown]
	v_add_f64 v[48:49], v[48:49], v[226:227]
	v_add_f64 v[50:51], v[50:51], v[164:165]
	s_waitcnt vmcnt(8) lgkmcnt(0)
	v_mul_f64 v[164:165], v[171:172], v[8:9]
	v_mul_f64 v[8:9], v[173:174], v[8:9]
	v_fma_f64 v[222:223], v[4:5], v[42:43], v[228:229]
	v_fma_f64 v[226:227], v[2:3], v[42:43], -v[44:45]
	ds_load_b128 v[2:5], v1 offset:1600
	ds_load_b128 v[42:45], v1 offset:1616
	v_add_f64 v[48:49], v[48:49], v[220:221]
	v_add_f64 v[50:51], v[50:51], v[168:169]
	s_waitcnt vmcnt(7) lgkmcnt(1)
	v_mul_f64 v[168:169], v[2:3], v[12:13]
	v_mul_f64 v[12:13], v[4:5], v[12:13]
	v_fma_f64 v[164:165], v[173:174], v[6:7], v[164:165]
	v_fma_f64 v[6:7], v[171:172], v[6:7], -v[8:9]
	v_add_f64 v[8:9], v[48:49], v[226:227]
	v_add_f64 v[48:49], v[50:51], v[222:223]
	s_waitcnt vmcnt(6) lgkmcnt(0)
	v_mul_f64 v[50:51], v[42:43], v[16:17]
	v_mul_f64 v[16:17], v[44:45], v[16:17]
	v_fma_f64 v[168:169], v[4:5], v[10:11], v[168:169]
	v_fma_f64 v[10:11], v[2:3], v[10:11], -v[12:13]
	v_add_f64 v[12:13], v[8:9], v[6:7]
	v_add_f64 v[48:49], v[48:49], v[164:165]
	ds_load_b128 v[2:5], v1 offset:1632
	ds_load_b128 v[6:9], v1 offset:1648
	v_fma_f64 v[44:45], v[44:45], v[14:15], v[50:51]
	v_fma_f64 v[14:15], v[42:43], v[14:15], -v[16:17]
	s_waitcnt vmcnt(5) lgkmcnt(1)
	v_mul_f64 v[164:165], v[2:3], v[20:21]
	v_mul_f64 v[20:21], v[4:5], v[20:21]
	s_waitcnt vmcnt(4) lgkmcnt(0)
	v_mul_f64 v[16:17], v[6:7], v[24:25]
	v_mul_f64 v[24:25], v[8:9], v[24:25]
	v_add_f64 v[10:11], v[12:13], v[10:11]
	v_add_f64 v[12:13], v[48:49], v[168:169]
	v_fma_f64 v[42:43], v[4:5], v[18:19], v[164:165]
	v_fma_f64 v[18:19], v[2:3], v[18:19], -v[20:21]
	v_fma_f64 v[8:9], v[8:9], v[22:23], v[16:17]
	v_fma_f64 v[6:7], v[6:7], v[22:23], -v[24:25]
	v_add_f64 v[14:15], v[10:11], v[14:15]
	v_add_f64 v[20:21], v[12:13], v[44:45]
	ds_load_b128 v[2:5], v1 offset:1664
	ds_load_b128 v[10:13], v1 offset:1680
	s_waitcnt vmcnt(3) lgkmcnt(1)
	v_mul_f64 v[44:45], v[2:3], v[28:29]
	v_mul_f64 v[28:29], v[4:5], v[28:29]
	v_add_f64 v[14:15], v[14:15], v[18:19]
	v_add_f64 v[16:17], v[20:21], v[42:43]
	s_waitcnt vmcnt(2) lgkmcnt(0)
	v_mul_f64 v[18:19], v[10:11], v[32:33]
	v_mul_f64 v[20:21], v[12:13], v[32:33]
	v_fma_f64 v[22:23], v[4:5], v[26:27], v[44:45]
	v_fma_f64 v[24:25], v[2:3], v[26:27], -v[28:29]
	v_add_f64 v[14:15], v[14:15], v[6:7]
	v_add_f64 v[16:17], v[16:17], v[8:9]
	ds_load_b128 v[2:5], v1 offset:1696
	ds_load_b128 v[6:9], v1 offset:1712
	v_fma_f64 v[12:13], v[12:13], v[30:31], v[18:19]
	v_fma_f64 v[10:11], v[10:11], v[30:31], -v[20:21]
	s_waitcnt vmcnt(1) lgkmcnt(1)
	v_mul_f64 v[26:27], v[2:3], v[36:37]
	v_mul_f64 v[28:29], v[4:5], v[36:37]
	s_waitcnt vmcnt(0) lgkmcnt(0)
	v_mul_f64 v[18:19], v[6:7], v[40:41]
	v_mul_f64 v[20:21], v[8:9], v[40:41]
	v_add_f64 v[14:15], v[14:15], v[24:25]
	v_add_f64 v[16:17], v[16:17], v[22:23]
	v_fma_f64 v[4:5], v[4:5], v[34:35], v[26:27]
	v_fma_f64 v[1:2], v[2:3], v[34:35], -v[28:29]
	v_fma_f64 v[8:9], v[8:9], v[38:39], v[18:19]
	v_fma_f64 v[6:7], v[6:7], v[38:39], -v[20:21]
	v_add_f64 v[10:11], v[14:15], v[10:11]
	v_add_f64 v[12:13], v[16:17], v[12:13]
	s_delay_alu instid0(VALU_DEP_2) | instskip(NEXT) | instid1(VALU_DEP_2)
	v_add_f64 v[1:2], v[10:11], v[1:2]
	v_add_f64 v[3:4], v[12:13], v[4:5]
	s_delay_alu instid0(VALU_DEP_2) | instskip(NEXT) | instid1(VALU_DEP_2)
	;; [unrolled: 3-line block ×3, first 2 shown]
	v_add_f64 v[1:2], v[157:158], -v[1:2]
	v_add_f64 v[3:4], v[159:160], -v[3:4]
	scratch_store_b128 off, v[1:4], off offset:368
	v_cmpx_lt_u32_e32 22, v154
	s_cbranch_execz .LBB53_293
; %bb.292:
	scratch_load_b128 v[1:4], v186, off
	v_mov_b32_e32 v5, 0
	s_delay_alu instid0(VALU_DEP_1)
	v_mov_b32_e32 v6, v5
	v_mov_b32_e32 v7, v5
	;; [unrolled: 1-line block ×3, first 2 shown]
	scratch_store_b128 off, v[5:8], off offset:352
	s_waitcnt vmcnt(0)
	ds_store_b128 v208, v[1:4]
.LBB53_293:
	s_or_b32 exec_lo, exec_lo, s2
	s_waitcnt lgkmcnt(0)
	s_waitcnt_vscnt null, 0x0
	s_barrier
	buffer_gl0_inv
	s_clause 0x7
	scratch_load_b128 v[2:5], off, off offset:368
	scratch_load_b128 v[6:9], off, off offset:384
	;; [unrolled: 1-line block ×8, first 2 shown]
	v_mov_b32_e32 v1, 0
	s_mov_b32 s2, exec_lo
	ds_load_b128 v[38:41], v1 offset:1232
	s_clause 0x1
	scratch_load_b128 v[34:37], off, off offset:496
	scratch_load_b128 v[42:45], off, off offset:352
	ds_load_b128 v[157:160], v1 offset:1248
	scratch_load_b128 v[171:174], off, off offset:512
	ds_load_b128 v[220:223], v1 offset:1280
	s_waitcnt vmcnt(10) lgkmcnt(2)
	v_mul_f64 v[48:49], v[40:41], v[4:5]
	v_mul_f64 v[4:5], v[38:39], v[4:5]
	s_delay_alu instid0(VALU_DEP_2) | instskip(NEXT) | instid1(VALU_DEP_2)
	v_fma_f64 v[48:49], v[38:39], v[2:3], -v[48:49]
	v_fma_f64 v[164:165], v[40:41], v[2:3], v[4:5]
	ds_load_b128 v[2:5], v1 offset:1264
	s_waitcnt vmcnt(9) lgkmcnt(2)
	v_mul_f64 v[50:51], v[157:158], v[8:9]
	v_mul_f64 v[8:9], v[159:160], v[8:9]
	scratch_load_b128 v[38:41], off, off offset:528
	s_waitcnt vmcnt(9) lgkmcnt(0)
	v_mul_f64 v[168:169], v[2:3], v[12:13]
	v_mul_f64 v[12:13], v[4:5], v[12:13]
	v_add_f64 v[48:49], v[48:49], 0
	v_fma_f64 v[50:51], v[159:160], v[6:7], v[50:51]
	v_fma_f64 v[157:158], v[157:158], v[6:7], -v[8:9]
	v_add_f64 v[159:160], v[164:165], 0
	scratch_load_b128 v[6:9], off, off offset:544
	v_fma_f64 v[168:169], v[4:5], v[10:11], v[168:169]
	v_fma_f64 v[226:227], v[2:3], v[10:11], -v[12:13]
	scratch_load_b128 v[10:13], off, off offset:560
	ds_load_b128 v[2:5], v1 offset:1296
	s_waitcnt vmcnt(10)
	v_mul_f64 v[164:165], v[220:221], v[16:17]
	v_mul_f64 v[16:17], v[222:223], v[16:17]
	v_add_f64 v[48:49], v[48:49], v[157:158]
	v_add_f64 v[50:51], v[159:160], v[50:51]
	ds_load_b128 v[157:160], v1 offset:1312
	s_waitcnt vmcnt(9) lgkmcnt(1)
	v_mul_f64 v[228:229], v[2:3], v[20:21]
	v_mul_f64 v[20:21], v[4:5], v[20:21]
	v_fma_f64 v[164:165], v[222:223], v[14:15], v[164:165]
	v_fma_f64 v[220:221], v[220:221], v[14:15], -v[16:17]
	scratch_load_b128 v[14:17], off, off offset:576
	v_add_f64 v[48:49], v[48:49], v[226:227]
	v_add_f64 v[50:51], v[50:51], v[168:169]
	v_fma_f64 v[226:227], v[4:5], v[18:19], v[228:229]
	v_fma_f64 v[228:229], v[2:3], v[18:19], -v[20:21]
	scratch_load_b128 v[18:21], off, off offset:592
	ds_load_b128 v[2:5], v1 offset:1328
	s_waitcnt vmcnt(10) lgkmcnt(1)
	v_mul_f64 v[168:169], v[157:158], v[24:25]
	v_mul_f64 v[24:25], v[159:160], v[24:25]
	v_add_f64 v[48:49], v[48:49], v[220:221]
	v_add_f64 v[50:51], v[50:51], v[164:165]
	s_waitcnt vmcnt(9) lgkmcnt(0)
	v_mul_f64 v[164:165], v[2:3], v[28:29]
	v_mul_f64 v[28:29], v[4:5], v[28:29]
	ds_load_b128 v[220:223], v1 offset:1344
	v_fma_f64 v[159:160], v[159:160], v[22:23], v[168:169]
	v_fma_f64 v[157:158], v[157:158], v[22:23], -v[24:25]
	scratch_load_b128 v[22:25], off, off offset:608
	v_add_f64 v[48:49], v[48:49], v[228:229]
	v_add_f64 v[50:51], v[50:51], v[226:227]
	v_fma_f64 v[164:165], v[4:5], v[26:27], v[164:165]
	v_fma_f64 v[226:227], v[2:3], v[26:27], -v[28:29]
	scratch_load_b128 v[26:29], off, off offset:624
	ds_load_b128 v[2:5], v1 offset:1360
	s_waitcnt vmcnt(10) lgkmcnt(1)
	v_mul_f64 v[168:169], v[220:221], v[32:33]
	v_mul_f64 v[32:33], v[222:223], v[32:33]
	s_waitcnt vmcnt(9) lgkmcnt(0)
	v_mul_f64 v[228:229], v[2:3], v[36:37]
	v_mul_f64 v[36:37], v[4:5], v[36:37]
	v_add_f64 v[48:49], v[48:49], v[157:158]
	v_add_f64 v[50:51], v[50:51], v[159:160]
	ds_load_b128 v[157:160], v1 offset:1376
	v_fma_f64 v[168:169], v[222:223], v[30:31], v[168:169]
	v_fma_f64 v[220:221], v[220:221], v[30:31], -v[32:33]
	scratch_load_b128 v[30:33], off, off offset:640
	v_add_f64 v[48:49], v[48:49], v[226:227]
	v_add_f64 v[50:51], v[50:51], v[164:165]
	v_fma_f64 v[226:227], v[4:5], v[34:35], v[228:229]
	v_fma_f64 v[228:229], v[2:3], v[34:35], -v[36:37]
	scratch_load_b128 v[34:37], off, off offset:656
	ds_load_b128 v[2:5], v1 offset:1392
	s_waitcnt vmcnt(9) lgkmcnt(1)
	v_mul_f64 v[164:165], v[157:158], v[173:174]
	v_mul_f64 v[173:174], v[159:160], v[173:174]
	v_add_f64 v[48:49], v[48:49], v[220:221]
	v_add_f64 v[50:51], v[50:51], v[168:169]
	ds_load_b128 v[220:223], v1 offset:1408
	v_fma_f64 v[164:165], v[159:160], v[171:172], v[164:165]
	v_fma_f64 v[171:172], v[157:158], v[171:172], -v[173:174]
	scratch_load_b128 v[157:160], off, off offset:672
	s_waitcnt vmcnt(9) lgkmcnt(1)
	v_mul_f64 v[168:169], v[2:3], v[40:41]
	v_mul_f64 v[40:41], v[4:5], v[40:41]
	v_add_f64 v[48:49], v[48:49], v[228:229]
	v_add_f64 v[50:51], v[50:51], v[226:227]
	s_delay_alu instid0(VALU_DEP_4) | instskip(NEXT) | instid1(VALU_DEP_4)
	v_fma_f64 v[168:169], v[4:5], v[38:39], v[168:169]
	v_fma_f64 v[228:229], v[2:3], v[38:39], -v[40:41]
	scratch_load_b128 v[38:41], off, off offset:688
	ds_load_b128 v[2:5], v1 offset:1424
	s_waitcnt vmcnt(9) lgkmcnt(1)
	v_mul_f64 v[226:227], v[220:221], v[8:9]
	v_mul_f64 v[8:9], v[222:223], v[8:9]
	v_add_f64 v[48:49], v[48:49], v[171:172]
	v_add_f64 v[50:51], v[50:51], v[164:165]
	s_waitcnt vmcnt(8) lgkmcnt(0)
	v_mul_f64 v[164:165], v[2:3], v[12:13]
	v_mul_f64 v[12:13], v[4:5], v[12:13]
	ds_load_b128 v[171:174], v1 offset:1440
	v_fma_f64 v[222:223], v[222:223], v[6:7], v[226:227]
	v_fma_f64 v[220:221], v[220:221], v[6:7], -v[8:9]
	scratch_load_b128 v[6:9], off, off offset:704
	v_add_f64 v[48:49], v[48:49], v[228:229]
	v_add_f64 v[50:51], v[50:51], v[168:169]
	v_fma_f64 v[164:165], v[4:5], v[10:11], v[164:165]
	v_fma_f64 v[226:227], v[2:3], v[10:11], -v[12:13]
	scratch_load_b128 v[10:13], off, off offset:720
	ds_load_b128 v[2:5], v1 offset:1456
	s_waitcnt vmcnt(9) lgkmcnt(1)
	v_mul_f64 v[168:169], v[171:172], v[16:17]
	v_mul_f64 v[16:17], v[173:174], v[16:17]
	s_waitcnt vmcnt(8) lgkmcnt(0)
	v_mul_f64 v[228:229], v[2:3], v[20:21]
	v_mul_f64 v[20:21], v[4:5], v[20:21]
	v_add_f64 v[48:49], v[48:49], v[220:221]
	v_add_f64 v[50:51], v[50:51], v[222:223]
	ds_load_b128 v[220:223], v1 offset:1472
	v_fma_f64 v[168:169], v[173:174], v[14:15], v[168:169]
	v_fma_f64 v[171:172], v[171:172], v[14:15], -v[16:17]
	scratch_load_b128 v[14:17], off, off offset:736
	v_add_f64 v[48:49], v[48:49], v[226:227]
	v_add_f64 v[50:51], v[50:51], v[164:165]
	v_fma_f64 v[226:227], v[4:5], v[18:19], v[228:229]
	v_fma_f64 v[228:229], v[2:3], v[18:19], -v[20:21]
	scratch_load_b128 v[18:21], off, off offset:752
	ds_load_b128 v[2:5], v1 offset:1488
	s_waitcnt vmcnt(9) lgkmcnt(1)
	v_mul_f64 v[164:165], v[220:221], v[24:25]
	v_mul_f64 v[24:25], v[222:223], v[24:25]
	v_add_f64 v[48:49], v[48:49], v[171:172]
	v_add_f64 v[50:51], v[50:51], v[168:169]
	s_waitcnt vmcnt(8) lgkmcnt(0)
	v_mul_f64 v[168:169], v[2:3], v[28:29]
	v_mul_f64 v[28:29], v[4:5], v[28:29]
	ds_load_b128 v[171:174], v1 offset:1504
	v_fma_f64 v[164:165], v[222:223], v[22:23], v[164:165]
	v_fma_f64 v[220:221], v[220:221], v[22:23], -v[24:25]
	scratch_load_b128 v[22:25], off, off offset:768
	v_add_f64 v[48:49], v[48:49], v[228:229]
	v_add_f64 v[50:51], v[50:51], v[226:227]
	v_fma_f64 v[168:169], v[4:5], v[26:27], v[168:169]
	v_fma_f64 v[228:229], v[2:3], v[26:27], -v[28:29]
	scratch_load_b128 v[26:29], off, off offset:784
	ds_load_b128 v[2:5], v1 offset:1520
	s_waitcnt vmcnt(9) lgkmcnt(1)
	v_mul_f64 v[226:227], v[171:172], v[32:33]
	v_mul_f64 v[32:33], v[173:174], v[32:33]
	v_add_f64 v[48:49], v[48:49], v[220:221]
	v_add_f64 v[50:51], v[50:51], v[164:165]
	s_waitcnt vmcnt(8) lgkmcnt(0)
	v_mul_f64 v[164:165], v[2:3], v[36:37]
	v_mul_f64 v[36:37], v[4:5], v[36:37]
	ds_load_b128 v[220:223], v1 offset:1536
	v_fma_f64 v[173:174], v[173:174], v[30:31], v[226:227]
	v_fma_f64 v[171:172], v[171:172], v[30:31], -v[32:33]
	scratch_load_b128 v[30:33], off, off offset:800
	v_add_f64 v[48:49], v[48:49], v[228:229]
	v_add_f64 v[50:51], v[50:51], v[168:169]
	v_fma_f64 v[164:165], v[4:5], v[34:35], v[164:165]
	v_fma_f64 v[226:227], v[2:3], v[34:35], -v[36:37]
	scratch_load_b128 v[34:37], off, off offset:816
	ds_load_b128 v[2:5], v1 offset:1552
	s_waitcnt vmcnt(9) lgkmcnt(1)
	v_mul_f64 v[168:169], v[220:221], v[159:160]
	v_mul_f64 v[159:160], v[222:223], v[159:160]
	s_waitcnt vmcnt(8) lgkmcnt(0)
	v_mul_f64 v[228:229], v[2:3], v[40:41]
	v_mul_f64 v[40:41], v[4:5], v[40:41]
	v_add_f64 v[48:49], v[48:49], v[171:172]
	v_add_f64 v[50:51], v[50:51], v[173:174]
	ds_load_b128 v[171:174], v1 offset:1568
	v_fma_f64 v[168:169], v[222:223], v[157:158], v[168:169]
	v_fma_f64 v[220:221], v[220:221], v[157:158], -v[159:160]
	scratch_load_b128 v[157:160], off, off offset:832
	v_add_f64 v[48:49], v[48:49], v[226:227]
	v_add_f64 v[50:51], v[50:51], v[164:165]
	v_fma_f64 v[226:227], v[4:5], v[38:39], v[228:229]
	v_fma_f64 v[228:229], v[2:3], v[38:39], -v[40:41]
	scratch_load_b128 v[38:41], off, off offset:848
	ds_load_b128 v[2:5], v1 offset:1584
	s_waitcnt vmcnt(9) lgkmcnt(1)
	v_mul_f64 v[164:165], v[171:172], v[8:9]
	v_mul_f64 v[8:9], v[173:174], v[8:9]
	v_add_f64 v[48:49], v[48:49], v[220:221]
	v_add_f64 v[50:51], v[50:51], v[168:169]
	s_waitcnt vmcnt(8) lgkmcnt(0)
	v_mul_f64 v[168:169], v[2:3], v[12:13]
	v_mul_f64 v[12:13], v[4:5], v[12:13]
	ds_load_b128 v[220:223], v1 offset:1600
	v_fma_f64 v[164:165], v[173:174], v[6:7], v[164:165]
	v_fma_f64 v[6:7], v[171:172], v[6:7], -v[8:9]
	v_add_f64 v[8:9], v[48:49], v[228:229]
	v_add_f64 v[48:49], v[50:51], v[226:227]
	s_waitcnt vmcnt(7) lgkmcnt(0)
	v_mul_f64 v[50:51], v[220:221], v[16:17]
	v_mul_f64 v[16:17], v[222:223], v[16:17]
	v_fma_f64 v[168:169], v[4:5], v[10:11], v[168:169]
	v_fma_f64 v[10:11], v[2:3], v[10:11], -v[12:13]
	v_add_f64 v[12:13], v[8:9], v[6:7]
	v_add_f64 v[48:49], v[48:49], v[164:165]
	ds_load_b128 v[2:5], v1 offset:1616
	ds_load_b128 v[6:9], v1 offset:1632
	v_fma_f64 v[50:51], v[222:223], v[14:15], v[50:51]
	v_fma_f64 v[14:15], v[220:221], v[14:15], -v[16:17]
	s_waitcnt vmcnt(6) lgkmcnt(1)
	v_mul_f64 v[164:165], v[2:3], v[20:21]
	v_mul_f64 v[20:21], v[4:5], v[20:21]
	s_waitcnt vmcnt(5) lgkmcnt(0)
	v_mul_f64 v[16:17], v[6:7], v[24:25]
	v_mul_f64 v[24:25], v[8:9], v[24:25]
	v_add_f64 v[10:11], v[12:13], v[10:11]
	v_add_f64 v[12:13], v[48:49], v[168:169]
	v_fma_f64 v[48:49], v[4:5], v[18:19], v[164:165]
	v_fma_f64 v[18:19], v[2:3], v[18:19], -v[20:21]
	v_fma_f64 v[8:9], v[8:9], v[22:23], v[16:17]
	v_fma_f64 v[6:7], v[6:7], v[22:23], -v[24:25]
	v_add_f64 v[14:15], v[10:11], v[14:15]
	v_add_f64 v[20:21], v[12:13], v[50:51]
	ds_load_b128 v[2:5], v1 offset:1648
	ds_load_b128 v[10:13], v1 offset:1664
	s_waitcnt vmcnt(4) lgkmcnt(1)
	v_mul_f64 v[50:51], v[2:3], v[28:29]
	v_mul_f64 v[28:29], v[4:5], v[28:29]
	v_add_f64 v[14:15], v[14:15], v[18:19]
	v_add_f64 v[16:17], v[20:21], v[48:49]
	s_waitcnt vmcnt(3) lgkmcnt(0)
	v_mul_f64 v[18:19], v[10:11], v[32:33]
	v_mul_f64 v[20:21], v[12:13], v[32:33]
	v_fma_f64 v[22:23], v[4:5], v[26:27], v[50:51]
	v_fma_f64 v[24:25], v[2:3], v[26:27], -v[28:29]
	v_add_f64 v[14:15], v[14:15], v[6:7]
	v_add_f64 v[16:17], v[16:17], v[8:9]
	ds_load_b128 v[2:5], v1 offset:1680
	ds_load_b128 v[6:9], v1 offset:1696
	v_fma_f64 v[12:13], v[12:13], v[30:31], v[18:19]
	v_fma_f64 v[10:11], v[10:11], v[30:31], -v[20:21]
	s_waitcnt vmcnt(2) lgkmcnt(1)
	v_mul_f64 v[26:27], v[2:3], v[36:37]
	v_mul_f64 v[28:29], v[4:5], v[36:37]
	s_waitcnt vmcnt(1) lgkmcnt(0)
	v_mul_f64 v[18:19], v[6:7], v[159:160]
	v_mul_f64 v[20:21], v[8:9], v[159:160]
	v_add_f64 v[14:15], v[14:15], v[24:25]
	v_add_f64 v[16:17], v[16:17], v[22:23]
	v_fma_f64 v[22:23], v[4:5], v[34:35], v[26:27]
	v_fma_f64 v[24:25], v[2:3], v[34:35], -v[28:29]
	ds_load_b128 v[2:5], v1 offset:1712
	v_fma_f64 v[8:9], v[8:9], v[157:158], v[18:19]
	v_fma_f64 v[6:7], v[6:7], v[157:158], -v[20:21]
	v_add_f64 v[10:11], v[14:15], v[10:11]
	v_add_f64 v[12:13], v[16:17], v[12:13]
	s_waitcnt vmcnt(0) lgkmcnt(0)
	v_mul_f64 v[14:15], v[2:3], v[40:41]
	v_mul_f64 v[16:17], v[4:5], v[40:41]
	s_delay_alu instid0(VALU_DEP_4) | instskip(NEXT) | instid1(VALU_DEP_4)
	v_add_f64 v[10:11], v[10:11], v[24:25]
	v_add_f64 v[12:13], v[12:13], v[22:23]
	s_delay_alu instid0(VALU_DEP_4) | instskip(NEXT) | instid1(VALU_DEP_4)
	v_fma_f64 v[4:5], v[4:5], v[38:39], v[14:15]
	v_fma_f64 v[2:3], v[2:3], v[38:39], -v[16:17]
	s_delay_alu instid0(VALU_DEP_4) | instskip(NEXT) | instid1(VALU_DEP_4)
	v_add_f64 v[6:7], v[10:11], v[6:7]
	v_add_f64 v[8:9], v[12:13], v[8:9]
	s_delay_alu instid0(VALU_DEP_2) | instskip(NEXT) | instid1(VALU_DEP_2)
	v_add_f64 v[2:3], v[6:7], v[2:3]
	v_add_f64 v[4:5], v[8:9], v[4:5]
	s_delay_alu instid0(VALU_DEP_2) | instskip(NEXT) | instid1(VALU_DEP_2)
	v_add_f64 v[2:3], v[42:43], -v[2:3]
	v_add_f64 v[4:5], v[44:45], -v[4:5]
	scratch_store_b128 off, v[2:5], off offset:352
	v_cmpx_lt_u32_e32 21, v154
	s_cbranch_execz .LBB53_295
; %bb.294:
	scratch_load_b128 v[5:8], v187, off
	v_mov_b32_e32 v2, v1
	v_mov_b32_e32 v3, v1
	;; [unrolled: 1-line block ×3, first 2 shown]
	scratch_store_b128 off, v[1:4], off offset:336
	s_waitcnt vmcnt(0)
	ds_store_b128 v208, v[5:8]
.LBB53_295:
	s_or_b32 exec_lo, exec_lo, s2
	s_waitcnt lgkmcnt(0)
	s_waitcnt_vscnt null, 0x0
	s_barrier
	buffer_gl0_inv
	s_clause 0x8
	scratch_load_b128 v[2:5], off, off offset:352
	scratch_load_b128 v[6:9], off, off offset:368
	;; [unrolled: 1-line block ×9, first 2 shown]
	ds_load_b128 v[42:45], v1 offset:1216
	ds_load_b128 v[38:41], v1 offset:1232
	s_clause 0x1
	scratch_load_b128 v[157:160], off, off offset:336
	scratch_load_b128 v[171:174], off, off offset:496
	s_mov_b32 s2, exec_lo
	ds_load_b128 v[220:223], v1 offset:1264
	s_waitcnt vmcnt(10) lgkmcnt(2)
	v_mul_f64 v[48:49], v[44:45], v[4:5]
	v_mul_f64 v[4:5], v[42:43], v[4:5]
	s_waitcnt vmcnt(9) lgkmcnt(1)
	v_mul_f64 v[50:51], v[38:39], v[8:9]
	v_mul_f64 v[8:9], v[40:41], v[8:9]
	s_delay_alu instid0(VALU_DEP_4) | instskip(NEXT) | instid1(VALU_DEP_4)
	v_fma_f64 v[48:49], v[42:43], v[2:3], -v[48:49]
	v_fma_f64 v[164:165], v[44:45], v[2:3], v[4:5]
	ds_load_b128 v[2:5], v1 offset:1248
	scratch_load_b128 v[42:45], off, off offset:512
	v_fma_f64 v[40:41], v[40:41], v[6:7], v[50:51]
	v_fma_f64 v[38:39], v[38:39], v[6:7], -v[8:9]
	scratch_load_b128 v[6:9], off, off offset:528
	s_waitcnt vmcnt(10) lgkmcnt(0)
	v_mul_f64 v[168:169], v[2:3], v[12:13]
	v_mul_f64 v[12:13], v[4:5], v[12:13]
	v_add_f64 v[48:49], v[48:49], 0
	v_add_f64 v[50:51], v[164:165], 0
	s_waitcnt vmcnt(9)
	v_mul_f64 v[164:165], v[220:221], v[16:17]
	v_mul_f64 v[16:17], v[222:223], v[16:17]
	v_fma_f64 v[168:169], v[4:5], v[10:11], v[168:169]
	v_fma_f64 v[226:227], v[2:3], v[10:11], -v[12:13]
	ds_load_b128 v[2:5], v1 offset:1280
	scratch_load_b128 v[10:13], off, off offset:544
	v_add_f64 v[48:49], v[48:49], v[38:39]
	v_add_f64 v[50:51], v[50:51], v[40:41]
	ds_load_b128 v[38:41], v1 offset:1296
	v_fma_f64 v[164:165], v[222:223], v[14:15], v[164:165]
	v_fma_f64 v[220:221], v[220:221], v[14:15], -v[16:17]
	scratch_load_b128 v[14:17], off, off offset:560
	s_waitcnt vmcnt(10) lgkmcnt(1)
	v_mul_f64 v[228:229], v[2:3], v[20:21]
	v_mul_f64 v[20:21], v[4:5], v[20:21]
	v_add_f64 v[48:49], v[48:49], v[226:227]
	v_add_f64 v[50:51], v[50:51], v[168:169]
	s_waitcnt vmcnt(9) lgkmcnt(0)
	v_mul_f64 v[168:169], v[38:39], v[24:25]
	v_mul_f64 v[24:25], v[40:41], v[24:25]
	v_fma_f64 v[226:227], v[4:5], v[18:19], v[228:229]
	v_fma_f64 v[228:229], v[2:3], v[18:19], -v[20:21]
	ds_load_b128 v[2:5], v1 offset:1312
	scratch_load_b128 v[18:21], off, off offset:576
	v_add_f64 v[48:49], v[48:49], v[220:221]
	v_add_f64 v[50:51], v[50:51], v[164:165]
	ds_load_b128 v[220:223], v1 offset:1328
	s_waitcnt vmcnt(9) lgkmcnt(1)
	v_mul_f64 v[164:165], v[2:3], v[28:29]
	v_mul_f64 v[28:29], v[4:5], v[28:29]
	v_fma_f64 v[40:41], v[40:41], v[22:23], v[168:169]
	v_fma_f64 v[38:39], v[38:39], v[22:23], -v[24:25]
	scratch_load_b128 v[22:25], off, off offset:592
	s_waitcnt vmcnt(9) lgkmcnt(0)
	v_mul_f64 v[168:169], v[220:221], v[32:33]
	v_mul_f64 v[32:33], v[222:223], v[32:33]
	v_add_f64 v[48:49], v[48:49], v[228:229]
	v_add_f64 v[50:51], v[50:51], v[226:227]
	v_fma_f64 v[164:165], v[4:5], v[26:27], v[164:165]
	v_fma_f64 v[226:227], v[2:3], v[26:27], -v[28:29]
	ds_load_b128 v[2:5], v1 offset:1344
	scratch_load_b128 v[26:29], off, off offset:608
	v_fma_f64 v[168:169], v[222:223], v[30:31], v[168:169]
	v_fma_f64 v[220:221], v[220:221], v[30:31], -v[32:33]
	scratch_load_b128 v[30:33], off, off offset:624
	v_add_f64 v[48:49], v[48:49], v[38:39]
	v_add_f64 v[50:51], v[50:51], v[40:41]
	ds_load_b128 v[38:41], v1 offset:1360
	s_waitcnt vmcnt(10) lgkmcnt(1)
	v_mul_f64 v[228:229], v[2:3], v[36:37]
	v_mul_f64 v[36:37], v[4:5], v[36:37]
	v_add_f64 v[48:49], v[48:49], v[226:227]
	v_add_f64 v[50:51], v[50:51], v[164:165]
	s_waitcnt vmcnt(8) lgkmcnt(0)
	v_mul_f64 v[164:165], v[38:39], v[173:174]
	v_mul_f64 v[173:174], v[40:41], v[173:174]
	v_fma_f64 v[226:227], v[4:5], v[34:35], v[228:229]
	v_fma_f64 v[228:229], v[2:3], v[34:35], -v[36:37]
	ds_load_b128 v[2:5], v1 offset:1376
	scratch_load_b128 v[34:37], off, off offset:640
	v_add_f64 v[48:49], v[48:49], v[220:221]
	v_add_f64 v[50:51], v[50:51], v[168:169]
	ds_load_b128 v[220:223], v1 offset:1392
	v_fma_f64 v[164:165], v[40:41], v[171:172], v[164:165]
	v_fma_f64 v[171:172], v[38:39], v[171:172], -v[173:174]
	scratch_load_b128 v[38:41], off, off offset:656
	s_waitcnt vmcnt(9) lgkmcnt(1)
	v_mul_f64 v[168:169], v[2:3], v[44:45]
	v_mul_f64 v[44:45], v[4:5], v[44:45]
	v_add_f64 v[48:49], v[48:49], v[228:229]
	v_add_f64 v[50:51], v[50:51], v[226:227]
	s_waitcnt vmcnt(8) lgkmcnt(0)
	v_mul_f64 v[226:227], v[220:221], v[8:9]
	v_mul_f64 v[8:9], v[222:223], v[8:9]
	v_fma_f64 v[168:169], v[4:5], v[42:43], v[168:169]
	v_fma_f64 v[228:229], v[2:3], v[42:43], -v[44:45]
	ds_load_b128 v[2:5], v1 offset:1408
	scratch_load_b128 v[42:45], off, off offset:672
	v_add_f64 v[48:49], v[48:49], v[171:172]
	v_add_f64 v[50:51], v[50:51], v[164:165]
	ds_load_b128 v[171:174], v1 offset:1424
	s_waitcnt vmcnt(8) lgkmcnt(1)
	v_mul_f64 v[164:165], v[2:3], v[12:13]
	v_mul_f64 v[12:13], v[4:5], v[12:13]
	v_fma_f64 v[222:223], v[222:223], v[6:7], v[226:227]
	v_fma_f64 v[220:221], v[220:221], v[6:7], -v[8:9]
	scratch_load_b128 v[6:9], off, off offset:688
	v_add_f64 v[48:49], v[48:49], v[228:229]
	v_add_f64 v[50:51], v[50:51], v[168:169]
	s_waitcnt vmcnt(8) lgkmcnt(0)
	v_mul_f64 v[168:169], v[171:172], v[16:17]
	v_mul_f64 v[16:17], v[173:174], v[16:17]
	v_fma_f64 v[164:165], v[4:5], v[10:11], v[164:165]
	v_fma_f64 v[226:227], v[2:3], v[10:11], -v[12:13]
	ds_load_b128 v[2:5], v1 offset:1440
	scratch_load_b128 v[10:13], off, off offset:704
	v_add_f64 v[48:49], v[48:49], v[220:221]
	v_add_f64 v[50:51], v[50:51], v[222:223]
	ds_load_b128 v[220:223], v1 offset:1456
	s_waitcnt vmcnt(8) lgkmcnt(1)
	v_mul_f64 v[228:229], v[2:3], v[20:21]
	v_mul_f64 v[20:21], v[4:5], v[20:21]
	v_fma_f64 v[168:169], v[173:174], v[14:15], v[168:169]
	v_fma_f64 v[171:172], v[171:172], v[14:15], -v[16:17]
	scratch_load_b128 v[14:17], off, off offset:720
	;; [unrolled: 18-line block ×6, first 2 shown]
	s_waitcnt vmcnt(8) lgkmcnt(0)
	v_mul_f64 v[173:174], v[220:221], v[16:17]
	v_mul_f64 v[16:17], v[222:223], v[16:17]
	v_add_f64 v[48:49], v[48:49], v[228:229]
	v_add_f64 v[50:51], v[50:51], v[226:227]
	v_fma_f64 v[168:169], v[4:5], v[10:11], v[168:169]
	v_fma_f64 v[226:227], v[2:3], v[10:11], -v[12:13]
	ds_load_b128 v[2:5], v1 offset:1600
	ds_load_b128 v[10:13], v1 offset:1616
	v_add_f64 v[48:49], v[48:49], v[171:172]
	v_add_f64 v[50:51], v[50:51], v[164:165]
	s_waitcnt vmcnt(7) lgkmcnt(1)
	v_mul_f64 v[164:165], v[2:3], v[20:21]
	v_mul_f64 v[20:21], v[4:5], v[20:21]
	v_fma_f64 v[171:172], v[222:223], v[14:15], v[173:174]
	v_fma_f64 v[14:15], v[220:221], v[14:15], -v[16:17]
	v_add_f64 v[16:17], v[48:49], v[226:227]
	v_add_f64 v[48:49], v[50:51], v[168:169]
	s_waitcnt vmcnt(6) lgkmcnt(0)
	v_mul_f64 v[50:51], v[10:11], v[24:25]
	v_mul_f64 v[24:25], v[12:13], v[24:25]
	v_fma_f64 v[164:165], v[4:5], v[18:19], v[164:165]
	v_fma_f64 v[18:19], v[2:3], v[18:19], -v[20:21]
	v_add_f64 v[20:21], v[16:17], v[14:15]
	v_add_f64 v[48:49], v[48:49], v[171:172]
	ds_load_b128 v[2:5], v1 offset:1632
	ds_load_b128 v[14:17], v1 offset:1648
	v_fma_f64 v[12:13], v[12:13], v[22:23], v[50:51]
	v_fma_f64 v[10:11], v[10:11], v[22:23], -v[24:25]
	s_waitcnt vmcnt(5) lgkmcnt(1)
	v_mul_f64 v[168:169], v[2:3], v[28:29]
	v_mul_f64 v[28:29], v[4:5], v[28:29]
	s_waitcnt vmcnt(4) lgkmcnt(0)
	v_mul_f64 v[22:23], v[14:15], v[32:33]
	v_mul_f64 v[24:25], v[16:17], v[32:33]
	v_add_f64 v[18:19], v[20:21], v[18:19]
	v_add_f64 v[20:21], v[48:49], v[164:165]
	v_fma_f64 v[32:33], v[4:5], v[26:27], v[168:169]
	v_fma_f64 v[26:27], v[2:3], v[26:27], -v[28:29]
	v_fma_f64 v[16:17], v[16:17], v[30:31], v[22:23]
	v_fma_f64 v[14:15], v[14:15], v[30:31], -v[24:25]
	v_add_f64 v[18:19], v[18:19], v[10:11]
	v_add_f64 v[20:21], v[20:21], v[12:13]
	ds_load_b128 v[2:5], v1 offset:1664
	ds_load_b128 v[10:13], v1 offset:1680
	s_waitcnt vmcnt(3) lgkmcnt(1)
	v_mul_f64 v[28:29], v[2:3], v[36:37]
	v_mul_f64 v[36:37], v[4:5], v[36:37]
	s_waitcnt vmcnt(2) lgkmcnt(0)
	v_mul_f64 v[22:23], v[10:11], v[40:41]
	v_mul_f64 v[24:25], v[12:13], v[40:41]
	v_add_f64 v[18:19], v[18:19], v[26:27]
	v_add_f64 v[20:21], v[20:21], v[32:33]
	v_fma_f64 v[26:27], v[4:5], v[34:35], v[28:29]
	v_fma_f64 v[28:29], v[2:3], v[34:35], -v[36:37]
	v_fma_f64 v[12:13], v[12:13], v[38:39], v[22:23]
	v_fma_f64 v[10:11], v[10:11], v[38:39], -v[24:25]
	v_add_f64 v[18:19], v[18:19], v[14:15]
	v_add_f64 v[20:21], v[20:21], v[16:17]
	ds_load_b128 v[2:5], v1 offset:1696
	ds_load_b128 v[14:17], v1 offset:1712
	s_waitcnt vmcnt(1) lgkmcnt(1)
	v_mul_f64 v[30:31], v[2:3], v[44:45]
	v_mul_f64 v[32:33], v[4:5], v[44:45]
	s_waitcnt vmcnt(0) lgkmcnt(0)
	v_mul_f64 v[22:23], v[14:15], v[8:9]
	v_mul_f64 v[8:9], v[16:17], v[8:9]
	v_add_f64 v[18:19], v[18:19], v[28:29]
	v_add_f64 v[20:21], v[20:21], v[26:27]
	v_fma_f64 v[4:5], v[4:5], v[42:43], v[30:31]
	v_fma_f64 v[1:2], v[2:3], v[42:43], -v[32:33]
	v_fma_f64 v[16:17], v[16:17], v[6:7], v[22:23]
	v_fma_f64 v[6:7], v[14:15], v[6:7], -v[8:9]
	v_add_f64 v[10:11], v[18:19], v[10:11]
	v_add_f64 v[12:13], v[20:21], v[12:13]
	s_delay_alu instid0(VALU_DEP_2) | instskip(NEXT) | instid1(VALU_DEP_2)
	v_add_f64 v[1:2], v[10:11], v[1:2]
	v_add_f64 v[3:4], v[12:13], v[4:5]
	s_delay_alu instid0(VALU_DEP_2) | instskip(NEXT) | instid1(VALU_DEP_2)
	;; [unrolled: 3-line block ×3, first 2 shown]
	v_add_f64 v[1:2], v[157:158], -v[1:2]
	v_add_f64 v[3:4], v[159:160], -v[3:4]
	scratch_store_b128 off, v[1:4], off offset:336
	v_cmpx_lt_u32_e32 20, v154
	s_cbranch_execz .LBB53_297
; %bb.296:
	scratch_load_b128 v[1:4], v188, off
	v_mov_b32_e32 v5, 0
	s_delay_alu instid0(VALU_DEP_1)
	v_mov_b32_e32 v6, v5
	v_mov_b32_e32 v7, v5
	;; [unrolled: 1-line block ×3, first 2 shown]
	scratch_store_b128 off, v[5:8], off offset:320
	s_waitcnt vmcnt(0)
	ds_store_b128 v208, v[1:4]
.LBB53_297:
	s_or_b32 exec_lo, exec_lo, s2
	s_waitcnt lgkmcnt(0)
	s_waitcnt_vscnt null, 0x0
	s_barrier
	buffer_gl0_inv
	s_clause 0x7
	scratch_load_b128 v[2:5], off, off offset:336
	scratch_load_b128 v[6:9], off, off offset:352
	;; [unrolled: 1-line block ×8, first 2 shown]
	v_mov_b32_e32 v1, 0
	s_mov_b32 s2, exec_lo
	ds_load_b128 v[38:41], v1 offset:1200
	s_clause 0x1
	scratch_load_b128 v[34:37], off, off offset:464
	scratch_load_b128 v[42:45], off, off offset:320
	ds_load_b128 v[157:160], v1 offset:1216
	scratch_load_b128 v[171:174], off, off offset:480
	ds_load_b128 v[220:223], v1 offset:1248
	s_waitcnt vmcnt(10) lgkmcnt(2)
	v_mul_f64 v[48:49], v[40:41], v[4:5]
	v_mul_f64 v[4:5], v[38:39], v[4:5]
	s_delay_alu instid0(VALU_DEP_2) | instskip(NEXT) | instid1(VALU_DEP_2)
	v_fma_f64 v[48:49], v[38:39], v[2:3], -v[48:49]
	v_fma_f64 v[164:165], v[40:41], v[2:3], v[4:5]
	ds_load_b128 v[2:5], v1 offset:1232
	s_waitcnt vmcnt(9) lgkmcnt(2)
	v_mul_f64 v[50:51], v[157:158], v[8:9]
	v_mul_f64 v[8:9], v[159:160], v[8:9]
	scratch_load_b128 v[38:41], off, off offset:496
	s_waitcnt vmcnt(9) lgkmcnt(0)
	v_mul_f64 v[168:169], v[2:3], v[12:13]
	v_mul_f64 v[12:13], v[4:5], v[12:13]
	v_add_f64 v[48:49], v[48:49], 0
	v_fma_f64 v[50:51], v[159:160], v[6:7], v[50:51]
	v_fma_f64 v[157:158], v[157:158], v[6:7], -v[8:9]
	v_add_f64 v[159:160], v[164:165], 0
	scratch_load_b128 v[6:9], off, off offset:512
	v_fma_f64 v[168:169], v[4:5], v[10:11], v[168:169]
	v_fma_f64 v[226:227], v[2:3], v[10:11], -v[12:13]
	scratch_load_b128 v[10:13], off, off offset:528
	ds_load_b128 v[2:5], v1 offset:1264
	s_waitcnt vmcnt(10)
	v_mul_f64 v[164:165], v[220:221], v[16:17]
	v_mul_f64 v[16:17], v[222:223], v[16:17]
	v_add_f64 v[48:49], v[48:49], v[157:158]
	v_add_f64 v[50:51], v[159:160], v[50:51]
	ds_load_b128 v[157:160], v1 offset:1280
	s_waitcnt vmcnt(9) lgkmcnt(1)
	v_mul_f64 v[228:229], v[2:3], v[20:21]
	v_mul_f64 v[20:21], v[4:5], v[20:21]
	v_fma_f64 v[164:165], v[222:223], v[14:15], v[164:165]
	v_fma_f64 v[220:221], v[220:221], v[14:15], -v[16:17]
	scratch_load_b128 v[14:17], off, off offset:544
	v_add_f64 v[48:49], v[48:49], v[226:227]
	v_add_f64 v[50:51], v[50:51], v[168:169]
	v_fma_f64 v[226:227], v[4:5], v[18:19], v[228:229]
	v_fma_f64 v[228:229], v[2:3], v[18:19], -v[20:21]
	scratch_load_b128 v[18:21], off, off offset:560
	ds_load_b128 v[2:5], v1 offset:1296
	s_waitcnt vmcnt(10) lgkmcnt(1)
	v_mul_f64 v[168:169], v[157:158], v[24:25]
	v_mul_f64 v[24:25], v[159:160], v[24:25]
	v_add_f64 v[48:49], v[48:49], v[220:221]
	v_add_f64 v[50:51], v[50:51], v[164:165]
	s_waitcnt vmcnt(9) lgkmcnt(0)
	v_mul_f64 v[164:165], v[2:3], v[28:29]
	v_mul_f64 v[28:29], v[4:5], v[28:29]
	ds_load_b128 v[220:223], v1 offset:1312
	v_fma_f64 v[159:160], v[159:160], v[22:23], v[168:169]
	v_fma_f64 v[157:158], v[157:158], v[22:23], -v[24:25]
	scratch_load_b128 v[22:25], off, off offset:576
	v_add_f64 v[48:49], v[48:49], v[228:229]
	v_add_f64 v[50:51], v[50:51], v[226:227]
	v_fma_f64 v[164:165], v[4:5], v[26:27], v[164:165]
	v_fma_f64 v[226:227], v[2:3], v[26:27], -v[28:29]
	scratch_load_b128 v[26:29], off, off offset:592
	ds_load_b128 v[2:5], v1 offset:1328
	s_waitcnt vmcnt(10) lgkmcnt(1)
	v_mul_f64 v[168:169], v[220:221], v[32:33]
	v_mul_f64 v[32:33], v[222:223], v[32:33]
	s_waitcnt vmcnt(9) lgkmcnt(0)
	v_mul_f64 v[228:229], v[2:3], v[36:37]
	v_mul_f64 v[36:37], v[4:5], v[36:37]
	v_add_f64 v[48:49], v[48:49], v[157:158]
	v_add_f64 v[50:51], v[50:51], v[159:160]
	ds_load_b128 v[157:160], v1 offset:1344
	v_fma_f64 v[168:169], v[222:223], v[30:31], v[168:169]
	v_fma_f64 v[220:221], v[220:221], v[30:31], -v[32:33]
	scratch_load_b128 v[30:33], off, off offset:608
	v_add_f64 v[48:49], v[48:49], v[226:227]
	v_add_f64 v[50:51], v[50:51], v[164:165]
	v_fma_f64 v[226:227], v[4:5], v[34:35], v[228:229]
	v_fma_f64 v[228:229], v[2:3], v[34:35], -v[36:37]
	scratch_load_b128 v[34:37], off, off offset:624
	ds_load_b128 v[2:5], v1 offset:1360
	s_waitcnt vmcnt(9) lgkmcnt(1)
	v_mul_f64 v[164:165], v[157:158], v[173:174]
	v_mul_f64 v[173:174], v[159:160], v[173:174]
	v_add_f64 v[48:49], v[48:49], v[220:221]
	v_add_f64 v[50:51], v[50:51], v[168:169]
	ds_load_b128 v[220:223], v1 offset:1376
	v_fma_f64 v[164:165], v[159:160], v[171:172], v[164:165]
	v_fma_f64 v[171:172], v[157:158], v[171:172], -v[173:174]
	scratch_load_b128 v[157:160], off, off offset:640
	s_waitcnt vmcnt(9) lgkmcnt(1)
	v_mul_f64 v[168:169], v[2:3], v[40:41]
	v_mul_f64 v[40:41], v[4:5], v[40:41]
	v_add_f64 v[48:49], v[48:49], v[228:229]
	v_add_f64 v[50:51], v[50:51], v[226:227]
	s_delay_alu instid0(VALU_DEP_4) | instskip(NEXT) | instid1(VALU_DEP_4)
	v_fma_f64 v[168:169], v[4:5], v[38:39], v[168:169]
	v_fma_f64 v[228:229], v[2:3], v[38:39], -v[40:41]
	scratch_load_b128 v[38:41], off, off offset:656
	ds_load_b128 v[2:5], v1 offset:1392
	s_waitcnt vmcnt(9) lgkmcnt(1)
	v_mul_f64 v[226:227], v[220:221], v[8:9]
	v_mul_f64 v[8:9], v[222:223], v[8:9]
	v_add_f64 v[48:49], v[48:49], v[171:172]
	v_add_f64 v[50:51], v[50:51], v[164:165]
	s_waitcnt vmcnt(8) lgkmcnt(0)
	v_mul_f64 v[164:165], v[2:3], v[12:13]
	v_mul_f64 v[12:13], v[4:5], v[12:13]
	ds_load_b128 v[171:174], v1 offset:1408
	v_fma_f64 v[222:223], v[222:223], v[6:7], v[226:227]
	v_fma_f64 v[220:221], v[220:221], v[6:7], -v[8:9]
	scratch_load_b128 v[6:9], off, off offset:672
	v_add_f64 v[48:49], v[48:49], v[228:229]
	v_add_f64 v[50:51], v[50:51], v[168:169]
	v_fma_f64 v[164:165], v[4:5], v[10:11], v[164:165]
	v_fma_f64 v[226:227], v[2:3], v[10:11], -v[12:13]
	scratch_load_b128 v[10:13], off, off offset:688
	ds_load_b128 v[2:5], v1 offset:1424
	s_waitcnt vmcnt(9) lgkmcnt(1)
	v_mul_f64 v[168:169], v[171:172], v[16:17]
	v_mul_f64 v[16:17], v[173:174], v[16:17]
	s_waitcnt vmcnt(8) lgkmcnt(0)
	v_mul_f64 v[228:229], v[2:3], v[20:21]
	v_mul_f64 v[20:21], v[4:5], v[20:21]
	v_add_f64 v[48:49], v[48:49], v[220:221]
	v_add_f64 v[50:51], v[50:51], v[222:223]
	ds_load_b128 v[220:223], v1 offset:1440
	v_fma_f64 v[168:169], v[173:174], v[14:15], v[168:169]
	v_fma_f64 v[171:172], v[171:172], v[14:15], -v[16:17]
	scratch_load_b128 v[14:17], off, off offset:704
	v_add_f64 v[48:49], v[48:49], v[226:227]
	v_add_f64 v[50:51], v[50:51], v[164:165]
	v_fma_f64 v[226:227], v[4:5], v[18:19], v[228:229]
	v_fma_f64 v[228:229], v[2:3], v[18:19], -v[20:21]
	scratch_load_b128 v[18:21], off, off offset:720
	ds_load_b128 v[2:5], v1 offset:1456
	s_waitcnt vmcnt(9) lgkmcnt(1)
	v_mul_f64 v[164:165], v[220:221], v[24:25]
	v_mul_f64 v[24:25], v[222:223], v[24:25]
	v_add_f64 v[48:49], v[48:49], v[171:172]
	v_add_f64 v[50:51], v[50:51], v[168:169]
	s_waitcnt vmcnt(8) lgkmcnt(0)
	v_mul_f64 v[168:169], v[2:3], v[28:29]
	v_mul_f64 v[28:29], v[4:5], v[28:29]
	ds_load_b128 v[171:174], v1 offset:1472
	v_fma_f64 v[164:165], v[222:223], v[22:23], v[164:165]
	v_fma_f64 v[220:221], v[220:221], v[22:23], -v[24:25]
	scratch_load_b128 v[22:25], off, off offset:736
	v_add_f64 v[48:49], v[48:49], v[228:229]
	v_add_f64 v[50:51], v[50:51], v[226:227]
	v_fma_f64 v[168:169], v[4:5], v[26:27], v[168:169]
	v_fma_f64 v[228:229], v[2:3], v[26:27], -v[28:29]
	scratch_load_b128 v[26:29], off, off offset:752
	ds_load_b128 v[2:5], v1 offset:1488
	s_waitcnt vmcnt(9) lgkmcnt(1)
	v_mul_f64 v[226:227], v[171:172], v[32:33]
	v_mul_f64 v[32:33], v[173:174], v[32:33]
	v_add_f64 v[48:49], v[48:49], v[220:221]
	v_add_f64 v[50:51], v[50:51], v[164:165]
	s_waitcnt vmcnt(8) lgkmcnt(0)
	v_mul_f64 v[164:165], v[2:3], v[36:37]
	v_mul_f64 v[36:37], v[4:5], v[36:37]
	ds_load_b128 v[220:223], v1 offset:1504
	v_fma_f64 v[173:174], v[173:174], v[30:31], v[226:227]
	v_fma_f64 v[171:172], v[171:172], v[30:31], -v[32:33]
	scratch_load_b128 v[30:33], off, off offset:768
	v_add_f64 v[48:49], v[48:49], v[228:229]
	v_add_f64 v[50:51], v[50:51], v[168:169]
	v_fma_f64 v[164:165], v[4:5], v[34:35], v[164:165]
	v_fma_f64 v[226:227], v[2:3], v[34:35], -v[36:37]
	scratch_load_b128 v[34:37], off, off offset:784
	ds_load_b128 v[2:5], v1 offset:1520
	s_waitcnt vmcnt(9) lgkmcnt(1)
	v_mul_f64 v[168:169], v[220:221], v[159:160]
	v_mul_f64 v[159:160], v[222:223], v[159:160]
	s_waitcnt vmcnt(8) lgkmcnt(0)
	v_mul_f64 v[228:229], v[2:3], v[40:41]
	v_mul_f64 v[40:41], v[4:5], v[40:41]
	v_add_f64 v[48:49], v[48:49], v[171:172]
	v_add_f64 v[50:51], v[50:51], v[173:174]
	ds_load_b128 v[171:174], v1 offset:1536
	v_fma_f64 v[168:169], v[222:223], v[157:158], v[168:169]
	v_fma_f64 v[220:221], v[220:221], v[157:158], -v[159:160]
	scratch_load_b128 v[157:160], off, off offset:800
	v_add_f64 v[48:49], v[48:49], v[226:227]
	v_add_f64 v[50:51], v[50:51], v[164:165]
	v_fma_f64 v[226:227], v[4:5], v[38:39], v[228:229]
	v_fma_f64 v[228:229], v[2:3], v[38:39], -v[40:41]
	scratch_load_b128 v[38:41], off, off offset:816
	ds_load_b128 v[2:5], v1 offset:1552
	s_waitcnt vmcnt(9) lgkmcnt(1)
	v_mul_f64 v[164:165], v[171:172], v[8:9]
	v_mul_f64 v[8:9], v[173:174], v[8:9]
	v_add_f64 v[48:49], v[48:49], v[220:221]
	v_add_f64 v[50:51], v[50:51], v[168:169]
	s_waitcnt vmcnt(8) lgkmcnt(0)
	v_mul_f64 v[168:169], v[2:3], v[12:13]
	v_mul_f64 v[12:13], v[4:5], v[12:13]
	ds_load_b128 v[220:223], v1 offset:1568
	v_fma_f64 v[164:165], v[173:174], v[6:7], v[164:165]
	v_fma_f64 v[171:172], v[171:172], v[6:7], -v[8:9]
	scratch_load_b128 v[6:9], off, off offset:832
	v_add_f64 v[48:49], v[48:49], v[228:229]
	v_add_f64 v[50:51], v[50:51], v[226:227]
	v_fma_f64 v[168:169], v[4:5], v[10:11], v[168:169]
	v_fma_f64 v[228:229], v[2:3], v[10:11], -v[12:13]
	scratch_load_b128 v[10:13], off, off offset:848
	ds_load_b128 v[2:5], v1 offset:1584
	s_waitcnt vmcnt(9) lgkmcnt(1)
	v_mul_f64 v[226:227], v[220:221], v[16:17]
	v_mul_f64 v[16:17], v[222:223], v[16:17]
	v_add_f64 v[48:49], v[48:49], v[171:172]
	v_add_f64 v[50:51], v[50:51], v[164:165]
	s_waitcnt vmcnt(8) lgkmcnt(0)
	v_mul_f64 v[164:165], v[2:3], v[20:21]
	v_mul_f64 v[20:21], v[4:5], v[20:21]
	ds_load_b128 v[171:174], v1 offset:1600
	v_fma_f64 v[222:223], v[222:223], v[14:15], v[226:227]
	v_fma_f64 v[14:15], v[220:221], v[14:15], -v[16:17]
	v_add_f64 v[16:17], v[48:49], v[228:229]
	v_add_f64 v[48:49], v[50:51], v[168:169]
	s_waitcnt vmcnt(7) lgkmcnt(0)
	v_mul_f64 v[50:51], v[171:172], v[24:25]
	v_mul_f64 v[24:25], v[173:174], v[24:25]
	v_fma_f64 v[164:165], v[4:5], v[18:19], v[164:165]
	v_fma_f64 v[18:19], v[2:3], v[18:19], -v[20:21]
	v_add_f64 v[20:21], v[16:17], v[14:15]
	v_add_f64 v[48:49], v[48:49], v[222:223]
	ds_load_b128 v[2:5], v1 offset:1616
	ds_load_b128 v[14:17], v1 offset:1632
	v_fma_f64 v[50:51], v[173:174], v[22:23], v[50:51]
	v_fma_f64 v[22:23], v[171:172], v[22:23], -v[24:25]
	s_waitcnt vmcnt(6) lgkmcnt(1)
	v_mul_f64 v[168:169], v[2:3], v[28:29]
	v_mul_f64 v[28:29], v[4:5], v[28:29]
	s_waitcnt vmcnt(5) lgkmcnt(0)
	v_mul_f64 v[24:25], v[14:15], v[32:33]
	v_mul_f64 v[32:33], v[16:17], v[32:33]
	v_add_f64 v[18:19], v[20:21], v[18:19]
	v_add_f64 v[20:21], v[48:49], v[164:165]
	v_fma_f64 v[48:49], v[4:5], v[26:27], v[168:169]
	v_fma_f64 v[26:27], v[2:3], v[26:27], -v[28:29]
	v_fma_f64 v[16:17], v[16:17], v[30:31], v[24:25]
	v_fma_f64 v[14:15], v[14:15], v[30:31], -v[32:33]
	v_add_f64 v[22:23], v[18:19], v[22:23]
	v_add_f64 v[28:29], v[20:21], v[50:51]
	ds_load_b128 v[2:5], v1 offset:1648
	ds_load_b128 v[18:21], v1 offset:1664
	s_waitcnt vmcnt(4) lgkmcnt(1)
	v_mul_f64 v[50:51], v[2:3], v[36:37]
	v_mul_f64 v[36:37], v[4:5], v[36:37]
	v_add_f64 v[22:23], v[22:23], v[26:27]
	v_add_f64 v[24:25], v[28:29], v[48:49]
	s_waitcnt vmcnt(3) lgkmcnt(0)
	v_mul_f64 v[26:27], v[18:19], v[159:160]
	v_mul_f64 v[28:29], v[20:21], v[159:160]
	v_fma_f64 v[30:31], v[4:5], v[34:35], v[50:51]
	v_fma_f64 v[32:33], v[2:3], v[34:35], -v[36:37]
	v_add_f64 v[22:23], v[22:23], v[14:15]
	v_add_f64 v[24:25], v[24:25], v[16:17]
	ds_load_b128 v[2:5], v1 offset:1680
	ds_load_b128 v[14:17], v1 offset:1696
	v_fma_f64 v[20:21], v[20:21], v[157:158], v[26:27]
	v_fma_f64 v[18:19], v[18:19], v[157:158], -v[28:29]
	s_waitcnt vmcnt(2) lgkmcnt(1)
	v_mul_f64 v[34:35], v[2:3], v[40:41]
	v_mul_f64 v[36:37], v[4:5], v[40:41]
	s_waitcnt vmcnt(1) lgkmcnt(0)
	v_mul_f64 v[26:27], v[14:15], v[8:9]
	v_mul_f64 v[8:9], v[16:17], v[8:9]
	v_add_f64 v[22:23], v[22:23], v[32:33]
	v_add_f64 v[24:25], v[24:25], v[30:31]
	v_fma_f64 v[28:29], v[4:5], v[38:39], v[34:35]
	v_fma_f64 v[30:31], v[2:3], v[38:39], -v[36:37]
	ds_load_b128 v[2:5], v1 offset:1712
	v_fma_f64 v[16:17], v[16:17], v[6:7], v[26:27]
	v_fma_f64 v[6:7], v[14:15], v[6:7], -v[8:9]
	v_add_f64 v[18:19], v[22:23], v[18:19]
	v_add_f64 v[20:21], v[24:25], v[20:21]
	s_waitcnt vmcnt(0) lgkmcnt(0)
	v_mul_f64 v[22:23], v[2:3], v[12:13]
	v_mul_f64 v[12:13], v[4:5], v[12:13]
	s_delay_alu instid0(VALU_DEP_4) | instskip(NEXT) | instid1(VALU_DEP_4)
	v_add_f64 v[8:9], v[18:19], v[30:31]
	v_add_f64 v[14:15], v[20:21], v[28:29]
	s_delay_alu instid0(VALU_DEP_4) | instskip(NEXT) | instid1(VALU_DEP_4)
	v_fma_f64 v[4:5], v[4:5], v[10:11], v[22:23]
	v_fma_f64 v[2:3], v[2:3], v[10:11], -v[12:13]
	s_delay_alu instid0(VALU_DEP_4) | instskip(NEXT) | instid1(VALU_DEP_4)
	v_add_f64 v[6:7], v[8:9], v[6:7]
	v_add_f64 v[8:9], v[14:15], v[16:17]
	s_delay_alu instid0(VALU_DEP_2) | instskip(NEXT) | instid1(VALU_DEP_2)
	v_add_f64 v[2:3], v[6:7], v[2:3]
	v_add_f64 v[4:5], v[8:9], v[4:5]
	s_delay_alu instid0(VALU_DEP_2) | instskip(NEXT) | instid1(VALU_DEP_2)
	v_add_f64 v[2:3], v[42:43], -v[2:3]
	v_add_f64 v[4:5], v[44:45], -v[4:5]
	scratch_store_b128 off, v[2:5], off offset:320
	v_cmpx_lt_u32_e32 19, v154
	s_cbranch_execz .LBB53_299
; %bb.298:
	scratch_load_b128 v[5:8], v189, off
	v_mov_b32_e32 v2, v1
	v_mov_b32_e32 v3, v1
	;; [unrolled: 1-line block ×3, first 2 shown]
	scratch_store_b128 off, v[1:4], off offset:304
	s_waitcnt vmcnt(0)
	ds_store_b128 v208, v[5:8]
.LBB53_299:
	s_or_b32 exec_lo, exec_lo, s2
	s_waitcnt lgkmcnt(0)
	s_waitcnt_vscnt null, 0x0
	s_barrier
	buffer_gl0_inv
	s_clause 0x8
	scratch_load_b128 v[2:5], off, off offset:320
	scratch_load_b128 v[6:9], off, off offset:336
	scratch_load_b128 v[10:13], off, off offset:352
	scratch_load_b128 v[14:17], off, off offset:368
	scratch_load_b128 v[18:21], off, off offset:384
	scratch_load_b128 v[22:25], off, off offset:400
	scratch_load_b128 v[26:29], off, off offset:416
	scratch_load_b128 v[30:33], off, off offset:432
	scratch_load_b128 v[34:37], off, off offset:448
	ds_load_b128 v[42:45], v1 offset:1184
	ds_load_b128 v[38:41], v1 offset:1200
	s_clause 0x1
	scratch_load_b128 v[157:160], off, off offset:304
	scratch_load_b128 v[171:174], off, off offset:464
	s_mov_b32 s2, exec_lo
	ds_load_b128 v[220:223], v1 offset:1232
	s_waitcnt vmcnt(10) lgkmcnt(2)
	v_mul_f64 v[48:49], v[44:45], v[4:5]
	v_mul_f64 v[4:5], v[42:43], v[4:5]
	s_waitcnt vmcnt(9) lgkmcnt(1)
	v_mul_f64 v[50:51], v[38:39], v[8:9]
	v_mul_f64 v[8:9], v[40:41], v[8:9]
	s_delay_alu instid0(VALU_DEP_4) | instskip(NEXT) | instid1(VALU_DEP_4)
	v_fma_f64 v[48:49], v[42:43], v[2:3], -v[48:49]
	v_fma_f64 v[164:165], v[44:45], v[2:3], v[4:5]
	ds_load_b128 v[2:5], v1 offset:1216
	scratch_load_b128 v[42:45], off, off offset:480
	v_fma_f64 v[40:41], v[40:41], v[6:7], v[50:51]
	v_fma_f64 v[38:39], v[38:39], v[6:7], -v[8:9]
	scratch_load_b128 v[6:9], off, off offset:496
	s_waitcnt vmcnt(10) lgkmcnt(0)
	v_mul_f64 v[168:169], v[2:3], v[12:13]
	v_mul_f64 v[12:13], v[4:5], v[12:13]
	v_add_f64 v[48:49], v[48:49], 0
	v_add_f64 v[50:51], v[164:165], 0
	s_waitcnt vmcnt(9)
	v_mul_f64 v[164:165], v[220:221], v[16:17]
	v_mul_f64 v[16:17], v[222:223], v[16:17]
	v_fma_f64 v[168:169], v[4:5], v[10:11], v[168:169]
	v_fma_f64 v[226:227], v[2:3], v[10:11], -v[12:13]
	ds_load_b128 v[2:5], v1 offset:1248
	scratch_load_b128 v[10:13], off, off offset:512
	v_add_f64 v[48:49], v[48:49], v[38:39]
	v_add_f64 v[50:51], v[50:51], v[40:41]
	ds_load_b128 v[38:41], v1 offset:1264
	v_fma_f64 v[164:165], v[222:223], v[14:15], v[164:165]
	v_fma_f64 v[220:221], v[220:221], v[14:15], -v[16:17]
	scratch_load_b128 v[14:17], off, off offset:528
	s_waitcnt vmcnt(10) lgkmcnt(1)
	v_mul_f64 v[228:229], v[2:3], v[20:21]
	v_mul_f64 v[20:21], v[4:5], v[20:21]
	v_add_f64 v[48:49], v[48:49], v[226:227]
	v_add_f64 v[50:51], v[50:51], v[168:169]
	s_waitcnt vmcnt(9) lgkmcnt(0)
	v_mul_f64 v[168:169], v[38:39], v[24:25]
	v_mul_f64 v[24:25], v[40:41], v[24:25]
	v_fma_f64 v[226:227], v[4:5], v[18:19], v[228:229]
	v_fma_f64 v[228:229], v[2:3], v[18:19], -v[20:21]
	ds_load_b128 v[2:5], v1 offset:1280
	scratch_load_b128 v[18:21], off, off offset:544
	v_add_f64 v[48:49], v[48:49], v[220:221]
	v_add_f64 v[50:51], v[50:51], v[164:165]
	ds_load_b128 v[220:223], v1 offset:1296
	s_waitcnt vmcnt(9) lgkmcnt(1)
	v_mul_f64 v[164:165], v[2:3], v[28:29]
	v_mul_f64 v[28:29], v[4:5], v[28:29]
	v_fma_f64 v[40:41], v[40:41], v[22:23], v[168:169]
	v_fma_f64 v[38:39], v[38:39], v[22:23], -v[24:25]
	scratch_load_b128 v[22:25], off, off offset:560
	s_waitcnt vmcnt(9) lgkmcnt(0)
	v_mul_f64 v[168:169], v[220:221], v[32:33]
	v_mul_f64 v[32:33], v[222:223], v[32:33]
	v_add_f64 v[48:49], v[48:49], v[228:229]
	v_add_f64 v[50:51], v[50:51], v[226:227]
	v_fma_f64 v[164:165], v[4:5], v[26:27], v[164:165]
	v_fma_f64 v[226:227], v[2:3], v[26:27], -v[28:29]
	ds_load_b128 v[2:5], v1 offset:1312
	scratch_load_b128 v[26:29], off, off offset:576
	v_fma_f64 v[168:169], v[222:223], v[30:31], v[168:169]
	v_fma_f64 v[220:221], v[220:221], v[30:31], -v[32:33]
	scratch_load_b128 v[30:33], off, off offset:592
	v_add_f64 v[48:49], v[48:49], v[38:39]
	v_add_f64 v[50:51], v[50:51], v[40:41]
	ds_load_b128 v[38:41], v1 offset:1328
	s_waitcnt vmcnt(10) lgkmcnt(1)
	v_mul_f64 v[228:229], v[2:3], v[36:37]
	v_mul_f64 v[36:37], v[4:5], v[36:37]
	v_add_f64 v[48:49], v[48:49], v[226:227]
	v_add_f64 v[50:51], v[50:51], v[164:165]
	s_waitcnt vmcnt(8) lgkmcnt(0)
	v_mul_f64 v[164:165], v[38:39], v[173:174]
	v_mul_f64 v[173:174], v[40:41], v[173:174]
	v_fma_f64 v[226:227], v[4:5], v[34:35], v[228:229]
	v_fma_f64 v[228:229], v[2:3], v[34:35], -v[36:37]
	ds_load_b128 v[2:5], v1 offset:1344
	scratch_load_b128 v[34:37], off, off offset:608
	v_add_f64 v[48:49], v[48:49], v[220:221]
	v_add_f64 v[50:51], v[50:51], v[168:169]
	ds_load_b128 v[220:223], v1 offset:1360
	v_fma_f64 v[164:165], v[40:41], v[171:172], v[164:165]
	v_fma_f64 v[171:172], v[38:39], v[171:172], -v[173:174]
	scratch_load_b128 v[38:41], off, off offset:624
	s_waitcnt vmcnt(9) lgkmcnt(1)
	v_mul_f64 v[168:169], v[2:3], v[44:45]
	v_mul_f64 v[44:45], v[4:5], v[44:45]
	v_add_f64 v[48:49], v[48:49], v[228:229]
	v_add_f64 v[50:51], v[50:51], v[226:227]
	s_waitcnt vmcnt(8) lgkmcnt(0)
	v_mul_f64 v[226:227], v[220:221], v[8:9]
	v_mul_f64 v[8:9], v[222:223], v[8:9]
	v_fma_f64 v[168:169], v[4:5], v[42:43], v[168:169]
	v_fma_f64 v[228:229], v[2:3], v[42:43], -v[44:45]
	ds_load_b128 v[2:5], v1 offset:1376
	scratch_load_b128 v[42:45], off, off offset:640
	v_add_f64 v[48:49], v[48:49], v[171:172]
	v_add_f64 v[50:51], v[50:51], v[164:165]
	ds_load_b128 v[171:174], v1 offset:1392
	s_waitcnt vmcnt(8) lgkmcnt(1)
	v_mul_f64 v[164:165], v[2:3], v[12:13]
	v_mul_f64 v[12:13], v[4:5], v[12:13]
	v_fma_f64 v[222:223], v[222:223], v[6:7], v[226:227]
	v_fma_f64 v[220:221], v[220:221], v[6:7], -v[8:9]
	scratch_load_b128 v[6:9], off, off offset:656
	v_add_f64 v[48:49], v[48:49], v[228:229]
	v_add_f64 v[50:51], v[50:51], v[168:169]
	s_waitcnt vmcnt(8) lgkmcnt(0)
	v_mul_f64 v[168:169], v[171:172], v[16:17]
	v_mul_f64 v[16:17], v[173:174], v[16:17]
	v_fma_f64 v[164:165], v[4:5], v[10:11], v[164:165]
	v_fma_f64 v[226:227], v[2:3], v[10:11], -v[12:13]
	ds_load_b128 v[2:5], v1 offset:1408
	scratch_load_b128 v[10:13], off, off offset:672
	v_add_f64 v[48:49], v[48:49], v[220:221]
	v_add_f64 v[50:51], v[50:51], v[222:223]
	ds_load_b128 v[220:223], v1 offset:1424
	s_waitcnt vmcnt(8) lgkmcnt(1)
	v_mul_f64 v[228:229], v[2:3], v[20:21]
	v_mul_f64 v[20:21], v[4:5], v[20:21]
	v_fma_f64 v[168:169], v[173:174], v[14:15], v[168:169]
	v_fma_f64 v[171:172], v[171:172], v[14:15], -v[16:17]
	scratch_load_b128 v[14:17], off, off offset:688
	;; [unrolled: 18-line block ×7, first 2 shown]
	v_add_f64 v[48:49], v[48:49], v[228:229]
	v_add_f64 v[50:51], v[50:51], v[168:169]
	s_waitcnt vmcnt(8) lgkmcnt(0)
	v_mul_f64 v[168:169], v[171:172], v[24:25]
	v_mul_f64 v[24:25], v[173:174], v[24:25]
	v_fma_f64 v[164:165], v[4:5], v[18:19], v[164:165]
	v_fma_f64 v[226:227], v[2:3], v[18:19], -v[20:21]
	ds_load_b128 v[2:5], v1 offset:1600
	ds_load_b128 v[18:21], v1 offset:1616
	v_add_f64 v[48:49], v[48:49], v[220:221]
	v_add_f64 v[50:51], v[50:51], v[222:223]
	s_waitcnt vmcnt(7) lgkmcnt(1)
	v_mul_f64 v[220:221], v[2:3], v[28:29]
	v_mul_f64 v[28:29], v[4:5], v[28:29]
	v_fma_f64 v[168:169], v[173:174], v[22:23], v[168:169]
	v_fma_f64 v[22:23], v[171:172], v[22:23], -v[24:25]
	v_add_f64 v[24:25], v[48:49], v[226:227]
	v_add_f64 v[48:49], v[50:51], v[164:165]
	s_waitcnt vmcnt(6) lgkmcnt(0)
	v_mul_f64 v[50:51], v[18:19], v[32:33]
	v_mul_f64 v[32:33], v[20:21], v[32:33]
	v_fma_f64 v[164:165], v[4:5], v[26:27], v[220:221]
	v_fma_f64 v[26:27], v[2:3], v[26:27], -v[28:29]
	v_add_f64 v[28:29], v[24:25], v[22:23]
	v_add_f64 v[48:49], v[48:49], v[168:169]
	ds_load_b128 v[2:5], v1 offset:1632
	ds_load_b128 v[22:25], v1 offset:1648
	v_fma_f64 v[20:21], v[20:21], v[30:31], v[50:51]
	v_fma_f64 v[18:19], v[18:19], v[30:31], -v[32:33]
	s_waitcnt vmcnt(5) lgkmcnt(1)
	v_mul_f64 v[168:169], v[2:3], v[36:37]
	v_mul_f64 v[36:37], v[4:5], v[36:37]
	s_waitcnt vmcnt(4) lgkmcnt(0)
	v_mul_f64 v[30:31], v[22:23], v[40:41]
	v_mul_f64 v[32:33], v[24:25], v[40:41]
	v_add_f64 v[26:27], v[28:29], v[26:27]
	v_add_f64 v[28:29], v[48:49], v[164:165]
	v_fma_f64 v[40:41], v[4:5], v[34:35], v[168:169]
	v_fma_f64 v[34:35], v[2:3], v[34:35], -v[36:37]
	v_fma_f64 v[24:25], v[24:25], v[38:39], v[30:31]
	v_fma_f64 v[22:23], v[22:23], v[38:39], -v[32:33]
	v_add_f64 v[26:27], v[26:27], v[18:19]
	v_add_f64 v[28:29], v[28:29], v[20:21]
	ds_load_b128 v[2:5], v1 offset:1664
	ds_load_b128 v[18:21], v1 offset:1680
	s_waitcnt vmcnt(3) lgkmcnt(1)
	v_mul_f64 v[36:37], v[2:3], v[44:45]
	v_mul_f64 v[44:45], v[4:5], v[44:45]
	s_waitcnt vmcnt(2) lgkmcnt(0)
	v_mul_f64 v[30:31], v[18:19], v[8:9]
	v_mul_f64 v[8:9], v[20:21], v[8:9]
	v_add_f64 v[26:27], v[26:27], v[34:35]
	v_add_f64 v[28:29], v[28:29], v[40:41]
	v_fma_f64 v[32:33], v[4:5], v[42:43], v[36:37]
	v_fma_f64 v[34:35], v[2:3], v[42:43], -v[44:45]
	v_fma_f64 v[20:21], v[20:21], v[6:7], v[30:31]
	v_fma_f64 v[6:7], v[18:19], v[6:7], -v[8:9]
	v_add_f64 v[26:27], v[26:27], v[22:23]
	v_add_f64 v[28:29], v[28:29], v[24:25]
	ds_load_b128 v[2:5], v1 offset:1696
	ds_load_b128 v[22:25], v1 offset:1712
	s_waitcnt vmcnt(1) lgkmcnt(1)
	v_mul_f64 v[36:37], v[2:3], v[12:13]
	v_mul_f64 v[12:13], v[4:5], v[12:13]
	v_add_f64 v[8:9], v[26:27], v[34:35]
	v_add_f64 v[18:19], v[28:29], v[32:33]
	s_waitcnt vmcnt(0) lgkmcnt(0)
	v_mul_f64 v[26:27], v[22:23], v[16:17]
	v_mul_f64 v[16:17], v[24:25], v[16:17]
	v_fma_f64 v[4:5], v[4:5], v[10:11], v[36:37]
	v_fma_f64 v[1:2], v[2:3], v[10:11], -v[12:13]
	v_add_f64 v[6:7], v[8:9], v[6:7]
	v_add_f64 v[8:9], v[18:19], v[20:21]
	v_fma_f64 v[10:11], v[24:25], v[14:15], v[26:27]
	v_fma_f64 v[12:13], v[22:23], v[14:15], -v[16:17]
	s_delay_alu instid0(VALU_DEP_4) | instskip(NEXT) | instid1(VALU_DEP_4)
	v_add_f64 v[1:2], v[6:7], v[1:2]
	v_add_f64 v[3:4], v[8:9], v[4:5]
	s_delay_alu instid0(VALU_DEP_2) | instskip(NEXT) | instid1(VALU_DEP_2)
	v_add_f64 v[1:2], v[1:2], v[12:13]
	v_add_f64 v[3:4], v[3:4], v[10:11]
	s_delay_alu instid0(VALU_DEP_2) | instskip(NEXT) | instid1(VALU_DEP_2)
	v_add_f64 v[1:2], v[157:158], -v[1:2]
	v_add_f64 v[3:4], v[159:160], -v[3:4]
	scratch_store_b128 off, v[1:4], off offset:304
	v_cmpx_lt_u32_e32 18, v154
	s_cbranch_execz .LBB53_301
; %bb.300:
	scratch_load_b128 v[1:4], v190, off
	v_mov_b32_e32 v5, 0
	s_delay_alu instid0(VALU_DEP_1)
	v_mov_b32_e32 v6, v5
	v_mov_b32_e32 v7, v5
	;; [unrolled: 1-line block ×3, first 2 shown]
	scratch_store_b128 off, v[5:8], off offset:288
	s_waitcnt vmcnt(0)
	ds_store_b128 v208, v[1:4]
.LBB53_301:
	s_or_b32 exec_lo, exec_lo, s2
	s_waitcnt lgkmcnt(0)
	s_waitcnt_vscnt null, 0x0
	s_barrier
	buffer_gl0_inv
	s_clause 0x7
	scratch_load_b128 v[2:5], off, off offset:304
	scratch_load_b128 v[6:9], off, off offset:320
	;; [unrolled: 1-line block ×8, first 2 shown]
	v_mov_b32_e32 v1, 0
	s_mov_b32 s2, exec_lo
	ds_load_b128 v[38:41], v1 offset:1168
	s_clause 0x1
	scratch_load_b128 v[34:37], off, off offset:432
	scratch_load_b128 v[42:45], off, off offset:288
	ds_load_b128 v[157:160], v1 offset:1184
	scratch_load_b128 v[171:174], off, off offset:448
	ds_load_b128 v[220:223], v1 offset:1216
	s_waitcnt vmcnt(10) lgkmcnt(2)
	v_mul_f64 v[48:49], v[40:41], v[4:5]
	v_mul_f64 v[4:5], v[38:39], v[4:5]
	s_delay_alu instid0(VALU_DEP_2) | instskip(NEXT) | instid1(VALU_DEP_2)
	v_fma_f64 v[48:49], v[38:39], v[2:3], -v[48:49]
	v_fma_f64 v[164:165], v[40:41], v[2:3], v[4:5]
	ds_load_b128 v[2:5], v1 offset:1200
	s_waitcnt vmcnt(9) lgkmcnt(2)
	v_mul_f64 v[50:51], v[157:158], v[8:9]
	v_mul_f64 v[8:9], v[159:160], v[8:9]
	scratch_load_b128 v[38:41], off, off offset:464
	s_waitcnt vmcnt(9) lgkmcnt(0)
	v_mul_f64 v[168:169], v[2:3], v[12:13]
	v_mul_f64 v[12:13], v[4:5], v[12:13]
	v_add_f64 v[48:49], v[48:49], 0
	v_fma_f64 v[50:51], v[159:160], v[6:7], v[50:51]
	v_fma_f64 v[157:158], v[157:158], v[6:7], -v[8:9]
	v_add_f64 v[159:160], v[164:165], 0
	scratch_load_b128 v[6:9], off, off offset:480
	v_fma_f64 v[168:169], v[4:5], v[10:11], v[168:169]
	v_fma_f64 v[226:227], v[2:3], v[10:11], -v[12:13]
	scratch_load_b128 v[10:13], off, off offset:496
	ds_load_b128 v[2:5], v1 offset:1232
	s_waitcnt vmcnt(10)
	v_mul_f64 v[164:165], v[220:221], v[16:17]
	v_mul_f64 v[16:17], v[222:223], v[16:17]
	v_add_f64 v[48:49], v[48:49], v[157:158]
	v_add_f64 v[50:51], v[159:160], v[50:51]
	ds_load_b128 v[157:160], v1 offset:1248
	s_waitcnt vmcnt(9) lgkmcnt(1)
	v_mul_f64 v[228:229], v[2:3], v[20:21]
	v_mul_f64 v[20:21], v[4:5], v[20:21]
	v_fma_f64 v[164:165], v[222:223], v[14:15], v[164:165]
	v_fma_f64 v[220:221], v[220:221], v[14:15], -v[16:17]
	scratch_load_b128 v[14:17], off, off offset:512
	v_add_f64 v[48:49], v[48:49], v[226:227]
	v_add_f64 v[50:51], v[50:51], v[168:169]
	v_fma_f64 v[226:227], v[4:5], v[18:19], v[228:229]
	v_fma_f64 v[228:229], v[2:3], v[18:19], -v[20:21]
	scratch_load_b128 v[18:21], off, off offset:528
	ds_load_b128 v[2:5], v1 offset:1264
	s_waitcnt vmcnt(10) lgkmcnt(1)
	v_mul_f64 v[168:169], v[157:158], v[24:25]
	v_mul_f64 v[24:25], v[159:160], v[24:25]
	v_add_f64 v[48:49], v[48:49], v[220:221]
	v_add_f64 v[50:51], v[50:51], v[164:165]
	s_waitcnt vmcnt(9) lgkmcnt(0)
	v_mul_f64 v[164:165], v[2:3], v[28:29]
	v_mul_f64 v[28:29], v[4:5], v[28:29]
	ds_load_b128 v[220:223], v1 offset:1280
	v_fma_f64 v[159:160], v[159:160], v[22:23], v[168:169]
	v_fma_f64 v[157:158], v[157:158], v[22:23], -v[24:25]
	scratch_load_b128 v[22:25], off, off offset:544
	v_add_f64 v[48:49], v[48:49], v[228:229]
	v_add_f64 v[50:51], v[50:51], v[226:227]
	v_fma_f64 v[164:165], v[4:5], v[26:27], v[164:165]
	v_fma_f64 v[226:227], v[2:3], v[26:27], -v[28:29]
	scratch_load_b128 v[26:29], off, off offset:560
	ds_load_b128 v[2:5], v1 offset:1296
	s_waitcnt vmcnt(10) lgkmcnt(1)
	v_mul_f64 v[168:169], v[220:221], v[32:33]
	v_mul_f64 v[32:33], v[222:223], v[32:33]
	s_waitcnt vmcnt(9) lgkmcnt(0)
	v_mul_f64 v[228:229], v[2:3], v[36:37]
	v_mul_f64 v[36:37], v[4:5], v[36:37]
	v_add_f64 v[48:49], v[48:49], v[157:158]
	v_add_f64 v[50:51], v[50:51], v[159:160]
	ds_load_b128 v[157:160], v1 offset:1312
	v_fma_f64 v[168:169], v[222:223], v[30:31], v[168:169]
	v_fma_f64 v[220:221], v[220:221], v[30:31], -v[32:33]
	scratch_load_b128 v[30:33], off, off offset:576
	v_add_f64 v[48:49], v[48:49], v[226:227]
	v_add_f64 v[50:51], v[50:51], v[164:165]
	v_fma_f64 v[226:227], v[4:5], v[34:35], v[228:229]
	v_fma_f64 v[228:229], v[2:3], v[34:35], -v[36:37]
	scratch_load_b128 v[34:37], off, off offset:592
	ds_load_b128 v[2:5], v1 offset:1328
	s_waitcnt vmcnt(9) lgkmcnt(1)
	v_mul_f64 v[164:165], v[157:158], v[173:174]
	v_mul_f64 v[173:174], v[159:160], v[173:174]
	v_add_f64 v[48:49], v[48:49], v[220:221]
	v_add_f64 v[50:51], v[50:51], v[168:169]
	ds_load_b128 v[220:223], v1 offset:1344
	v_fma_f64 v[164:165], v[159:160], v[171:172], v[164:165]
	v_fma_f64 v[171:172], v[157:158], v[171:172], -v[173:174]
	scratch_load_b128 v[157:160], off, off offset:608
	s_waitcnt vmcnt(9) lgkmcnt(1)
	v_mul_f64 v[168:169], v[2:3], v[40:41]
	v_mul_f64 v[40:41], v[4:5], v[40:41]
	v_add_f64 v[48:49], v[48:49], v[228:229]
	v_add_f64 v[50:51], v[50:51], v[226:227]
	s_delay_alu instid0(VALU_DEP_4) | instskip(NEXT) | instid1(VALU_DEP_4)
	v_fma_f64 v[168:169], v[4:5], v[38:39], v[168:169]
	v_fma_f64 v[228:229], v[2:3], v[38:39], -v[40:41]
	scratch_load_b128 v[38:41], off, off offset:624
	ds_load_b128 v[2:5], v1 offset:1360
	s_waitcnt vmcnt(9) lgkmcnt(1)
	v_mul_f64 v[226:227], v[220:221], v[8:9]
	v_mul_f64 v[8:9], v[222:223], v[8:9]
	v_add_f64 v[48:49], v[48:49], v[171:172]
	v_add_f64 v[50:51], v[50:51], v[164:165]
	s_waitcnt vmcnt(8) lgkmcnt(0)
	v_mul_f64 v[164:165], v[2:3], v[12:13]
	v_mul_f64 v[12:13], v[4:5], v[12:13]
	ds_load_b128 v[171:174], v1 offset:1376
	v_fma_f64 v[222:223], v[222:223], v[6:7], v[226:227]
	v_fma_f64 v[220:221], v[220:221], v[6:7], -v[8:9]
	scratch_load_b128 v[6:9], off, off offset:640
	v_add_f64 v[48:49], v[48:49], v[228:229]
	v_add_f64 v[50:51], v[50:51], v[168:169]
	v_fma_f64 v[164:165], v[4:5], v[10:11], v[164:165]
	v_fma_f64 v[226:227], v[2:3], v[10:11], -v[12:13]
	scratch_load_b128 v[10:13], off, off offset:656
	ds_load_b128 v[2:5], v1 offset:1392
	s_waitcnt vmcnt(9) lgkmcnt(1)
	v_mul_f64 v[168:169], v[171:172], v[16:17]
	v_mul_f64 v[16:17], v[173:174], v[16:17]
	s_waitcnt vmcnt(8) lgkmcnt(0)
	v_mul_f64 v[228:229], v[2:3], v[20:21]
	v_mul_f64 v[20:21], v[4:5], v[20:21]
	v_add_f64 v[48:49], v[48:49], v[220:221]
	v_add_f64 v[50:51], v[50:51], v[222:223]
	ds_load_b128 v[220:223], v1 offset:1408
	v_fma_f64 v[168:169], v[173:174], v[14:15], v[168:169]
	v_fma_f64 v[171:172], v[171:172], v[14:15], -v[16:17]
	scratch_load_b128 v[14:17], off, off offset:672
	v_add_f64 v[48:49], v[48:49], v[226:227]
	v_add_f64 v[50:51], v[50:51], v[164:165]
	v_fma_f64 v[226:227], v[4:5], v[18:19], v[228:229]
	v_fma_f64 v[228:229], v[2:3], v[18:19], -v[20:21]
	scratch_load_b128 v[18:21], off, off offset:688
	ds_load_b128 v[2:5], v1 offset:1424
	s_waitcnt vmcnt(9) lgkmcnt(1)
	v_mul_f64 v[164:165], v[220:221], v[24:25]
	v_mul_f64 v[24:25], v[222:223], v[24:25]
	v_add_f64 v[48:49], v[48:49], v[171:172]
	v_add_f64 v[50:51], v[50:51], v[168:169]
	s_waitcnt vmcnt(8) lgkmcnt(0)
	v_mul_f64 v[168:169], v[2:3], v[28:29]
	v_mul_f64 v[28:29], v[4:5], v[28:29]
	ds_load_b128 v[171:174], v1 offset:1440
	v_fma_f64 v[164:165], v[222:223], v[22:23], v[164:165]
	v_fma_f64 v[220:221], v[220:221], v[22:23], -v[24:25]
	scratch_load_b128 v[22:25], off, off offset:704
	v_add_f64 v[48:49], v[48:49], v[228:229]
	v_add_f64 v[50:51], v[50:51], v[226:227]
	v_fma_f64 v[168:169], v[4:5], v[26:27], v[168:169]
	v_fma_f64 v[228:229], v[2:3], v[26:27], -v[28:29]
	scratch_load_b128 v[26:29], off, off offset:720
	ds_load_b128 v[2:5], v1 offset:1456
	s_waitcnt vmcnt(9) lgkmcnt(1)
	v_mul_f64 v[226:227], v[171:172], v[32:33]
	v_mul_f64 v[32:33], v[173:174], v[32:33]
	v_add_f64 v[48:49], v[48:49], v[220:221]
	v_add_f64 v[50:51], v[50:51], v[164:165]
	s_waitcnt vmcnt(8) lgkmcnt(0)
	v_mul_f64 v[164:165], v[2:3], v[36:37]
	v_mul_f64 v[36:37], v[4:5], v[36:37]
	ds_load_b128 v[220:223], v1 offset:1472
	v_fma_f64 v[173:174], v[173:174], v[30:31], v[226:227]
	v_fma_f64 v[171:172], v[171:172], v[30:31], -v[32:33]
	scratch_load_b128 v[30:33], off, off offset:736
	v_add_f64 v[48:49], v[48:49], v[228:229]
	v_add_f64 v[50:51], v[50:51], v[168:169]
	v_fma_f64 v[164:165], v[4:5], v[34:35], v[164:165]
	v_fma_f64 v[226:227], v[2:3], v[34:35], -v[36:37]
	scratch_load_b128 v[34:37], off, off offset:752
	ds_load_b128 v[2:5], v1 offset:1488
	s_waitcnt vmcnt(9) lgkmcnt(1)
	v_mul_f64 v[168:169], v[220:221], v[159:160]
	v_mul_f64 v[159:160], v[222:223], v[159:160]
	s_waitcnt vmcnt(8) lgkmcnt(0)
	v_mul_f64 v[228:229], v[2:3], v[40:41]
	v_mul_f64 v[40:41], v[4:5], v[40:41]
	v_add_f64 v[48:49], v[48:49], v[171:172]
	v_add_f64 v[50:51], v[50:51], v[173:174]
	ds_load_b128 v[171:174], v1 offset:1504
	v_fma_f64 v[168:169], v[222:223], v[157:158], v[168:169]
	v_fma_f64 v[220:221], v[220:221], v[157:158], -v[159:160]
	scratch_load_b128 v[157:160], off, off offset:768
	v_add_f64 v[48:49], v[48:49], v[226:227]
	v_add_f64 v[50:51], v[50:51], v[164:165]
	v_fma_f64 v[226:227], v[4:5], v[38:39], v[228:229]
	v_fma_f64 v[228:229], v[2:3], v[38:39], -v[40:41]
	scratch_load_b128 v[38:41], off, off offset:784
	ds_load_b128 v[2:5], v1 offset:1520
	s_waitcnt vmcnt(9) lgkmcnt(1)
	v_mul_f64 v[164:165], v[171:172], v[8:9]
	v_mul_f64 v[8:9], v[173:174], v[8:9]
	v_add_f64 v[48:49], v[48:49], v[220:221]
	v_add_f64 v[50:51], v[50:51], v[168:169]
	s_waitcnt vmcnt(8) lgkmcnt(0)
	v_mul_f64 v[168:169], v[2:3], v[12:13]
	v_mul_f64 v[12:13], v[4:5], v[12:13]
	ds_load_b128 v[220:223], v1 offset:1536
	v_fma_f64 v[164:165], v[173:174], v[6:7], v[164:165]
	v_fma_f64 v[171:172], v[171:172], v[6:7], -v[8:9]
	scratch_load_b128 v[6:9], off, off offset:800
	v_add_f64 v[48:49], v[48:49], v[228:229]
	v_add_f64 v[50:51], v[50:51], v[226:227]
	v_fma_f64 v[168:169], v[4:5], v[10:11], v[168:169]
	v_fma_f64 v[228:229], v[2:3], v[10:11], -v[12:13]
	scratch_load_b128 v[10:13], off, off offset:816
	ds_load_b128 v[2:5], v1 offset:1552
	s_waitcnt vmcnt(9) lgkmcnt(1)
	v_mul_f64 v[226:227], v[220:221], v[16:17]
	v_mul_f64 v[16:17], v[222:223], v[16:17]
	v_add_f64 v[48:49], v[48:49], v[171:172]
	v_add_f64 v[50:51], v[50:51], v[164:165]
	s_waitcnt vmcnt(8) lgkmcnt(0)
	v_mul_f64 v[164:165], v[2:3], v[20:21]
	v_mul_f64 v[20:21], v[4:5], v[20:21]
	ds_load_b128 v[171:174], v1 offset:1568
	v_fma_f64 v[222:223], v[222:223], v[14:15], v[226:227]
	v_fma_f64 v[220:221], v[220:221], v[14:15], -v[16:17]
	scratch_load_b128 v[14:17], off, off offset:832
	v_add_f64 v[48:49], v[48:49], v[228:229]
	v_add_f64 v[50:51], v[50:51], v[168:169]
	v_fma_f64 v[164:165], v[4:5], v[18:19], v[164:165]
	v_fma_f64 v[226:227], v[2:3], v[18:19], -v[20:21]
	scratch_load_b128 v[18:21], off, off offset:848
	ds_load_b128 v[2:5], v1 offset:1584
	s_waitcnt vmcnt(9) lgkmcnt(1)
	v_mul_f64 v[168:169], v[171:172], v[24:25]
	v_mul_f64 v[24:25], v[173:174], v[24:25]
	s_waitcnt vmcnt(8) lgkmcnt(0)
	v_mul_f64 v[228:229], v[2:3], v[28:29]
	v_mul_f64 v[28:29], v[4:5], v[28:29]
	v_add_f64 v[48:49], v[48:49], v[220:221]
	v_add_f64 v[50:51], v[50:51], v[222:223]
	ds_load_b128 v[220:223], v1 offset:1600
	v_fma_f64 v[168:169], v[173:174], v[22:23], v[168:169]
	v_fma_f64 v[22:23], v[171:172], v[22:23], -v[24:25]
	v_add_f64 v[24:25], v[48:49], v[226:227]
	v_add_f64 v[48:49], v[50:51], v[164:165]
	s_waitcnt vmcnt(7) lgkmcnt(0)
	v_mul_f64 v[50:51], v[220:221], v[32:33]
	v_mul_f64 v[32:33], v[222:223], v[32:33]
	v_fma_f64 v[164:165], v[4:5], v[26:27], v[228:229]
	v_fma_f64 v[26:27], v[2:3], v[26:27], -v[28:29]
	v_add_f64 v[28:29], v[24:25], v[22:23]
	v_add_f64 v[48:49], v[48:49], v[168:169]
	ds_load_b128 v[2:5], v1 offset:1616
	ds_load_b128 v[22:25], v1 offset:1632
	v_fma_f64 v[50:51], v[222:223], v[30:31], v[50:51]
	v_fma_f64 v[30:31], v[220:221], v[30:31], -v[32:33]
	s_waitcnt vmcnt(6) lgkmcnt(1)
	v_mul_f64 v[168:169], v[2:3], v[36:37]
	v_mul_f64 v[36:37], v[4:5], v[36:37]
	s_waitcnt vmcnt(5) lgkmcnt(0)
	v_mul_f64 v[32:33], v[22:23], v[159:160]
	v_add_f64 v[26:27], v[28:29], v[26:27]
	v_add_f64 v[28:29], v[48:49], v[164:165]
	v_mul_f64 v[48:49], v[24:25], v[159:160]
	v_fma_f64 v[159:160], v[4:5], v[34:35], v[168:169]
	v_fma_f64 v[34:35], v[2:3], v[34:35], -v[36:37]
	v_fma_f64 v[24:25], v[24:25], v[157:158], v[32:33]
	v_add_f64 v[30:31], v[26:27], v[30:31]
	v_add_f64 v[36:37], v[28:29], v[50:51]
	ds_load_b128 v[2:5], v1 offset:1648
	ds_load_b128 v[26:29], v1 offset:1664
	v_fma_f64 v[22:23], v[22:23], v[157:158], -v[48:49]
	s_waitcnt vmcnt(4) lgkmcnt(1)
	v_mul_f64 v[50:51], v[2:3], v[40:41]
	v_mul_f64 v[40:41], v[4:5], v[40:41]
	v_add_f64 v[30:31], v[30:31], v[34:35]
	v_add_f64 v[32:33], v[36:37], v[159:160]
	s_waitcnt vmcnt(3) lgkmcnt(0)
	v_mul_f64 v[34:35], v[26:27], v[8:9]
	v_mul_f64 v[8:9], v[28:29], v[8:9]
	v_fma_f64 v[36:37], v[4:5], v[38:39], v[50:51]
	v_fma_f64 v[38:39], v[2:3], v[38:39], -v[40:41]
	v_add_f64 v[30:31], v[30:31], v[22:23]
	v_add_f64 v[32:33], v[32:33], v[24:25]
	ds_load_b128 v[2:5], v1 offset:1680
	ds_load_b128 v[22:25], v1 offset:1696
	v_fma_f64 v[28:29], v[28:29], v[6:7], v[34:35]
	v_fma_f64 v[6:7], v[26:27], v[6:7], -v[8:9]
	s_waitcnt vmcnt(2) lgkmcnt(1)
	v_mul_f64 v[40:41], v[2:3], v[12:13]
	v_mul_f64 v[12:13], v[4:5], v[12:13]
	v_add_f64 v[8:9], v[30:31], v[38:39]
	v_add_f64 v[26:27], v[32:33], v[36:37]
	s_waitcnt vmcnt(1) lgkmcnt(0)
	v_mul_f64 v[30:31], v[22:23], v[16:17]
	v_mul_f64 v[16:17], v[24:25], v[16:17]
	v_fma_f64 v[32:33], v[4:5], v[10:11], v[40:41]
	v_fma_f64 v[10:11], v[2:3], v[10:11], -v[12:13]
	ds_load_b128 v[2:5], v1 offset:1712
	v_add_f64 v[6:7], v[8:9], v[6:7]
	v_add_f64 v[8:9], v[26:27], v[28:29]
	v_fma_f64 v[24:25], v[24:25], v[14:15], v[30:31]
	v_fma_f64 v[14:15], v[22:23], v[14:15], -v[16:17]
	s_waitcnt vmcnt(0) lgkmcnt(0)
	v_mul_f64 v[12:13], v[2:3], v[20:21]
	v_mul_f64 v[20:21], v[4:5], v[20:21]
	v_add_f64 v[6:7], v[6:7], v[10:11]
	v_add_f64 v[8:9], v[8:9], v[32:33]
	s_delay_alu instid0(VALU_DEP_4) | instskip(NEXT) | instid1(VALU_DEP_4)
	v_fma_f64 v[4:5], v[4:5], v[18:19], v[12:13]
	v_fma_f64 v[2:3], v[2:3], v[18:19], -v[20:21]
	s_delay_alu instid0(VALU_DEP_4) | instskip(NEXT) | instid1(VALU_DEP_4)
	v_add_f64 v[6:7], v[6:7], v[14:15]
	v_add_f64 v[8:9], v[8:9], v[24:25]
	s_delay_alu instid0(VALU_DEP_2) | instskip(NEXT) | instid1(VALU_DEP_2)
	v_add_f64 v[2:3], v[6:7], v[2:3]
	v_add_f64 v[4:5], v[8:9], v[4:5]
	s_delay_alu instid0(VALU_DEP_2) | instskip(NEXT) | instid1(VALU_DEP_2)
	v_add_f64 v[2:3], v[42:43], -v[2:3]
	v_add_f64 v[4:5], v[44:45], -v[4:5]
	scratch_store_b128 off, v[2:5], off offset:288
	v_cmpx_lt_u32_e32 17, v154
	s_cbranch_execz .LBB53_303
; %bb.302:
	scratch_load_b128 v[5:8], v191, off
	v_mov_b32_e32 v2, v1
	v_mov_b32_e32 v3, v1
	v_mov_b32_e32 v4, v1
	scratch_store_b128 off, v[1:4], off offset:272
	s_waitcnt vmcnt(0)
	ds_store_b128 v208, v[5:8]
.LBB53_303:
	s_or_b32 exec_lo, exec_lo, s2
	s_waitcnt lgkmcnt(0)
	s_waitcnt_vscnt null, 0x0
	s_barrier
	buffer_gl0_inv
	s_clause 0x8
	scratch_load_b128 v[2:5], off, off offset:288
	scratch_load_b128 v[6:9], off, off offset:304
	;; [unrolled: 1-line block ×9, first 2 shown]
	ds_load_b128 v[42:45], v1 offset:1152
	ds_load_b128 v[38:41], v1 offset:1168
	s_clause 0x1
	scratch_load_b128 v[157:160], off, off offset:272
	scratch_load_b128 v[171:174], off, off offset:432
	s_mov_b32 s2, exec_lo
	ds_load_b128 v[220:223], v1 offset:1200
	s_waitcnt vmcnt(10) lgkmcnt(2)
	v_mul_f64 v[48:49], v[44:45], v[4:5]
	v_mul_f64 v[4:5], v[42:43], v[4:5]
	s_waitcnt vmcnt(9) lgkmcnt(1)
	v_mul_f64 v[50:51], v[38:39], v[8:9]
	v_mul_f64 v[8:9], v[40:41], v[8:9]
	s_delay_alu instid0(VALU_DEP_4) | instskip(NEXT) | instid1(VALU_DEP_4)
	v_fma_f64 v[48:49], v[42:43], v[2:3], -v[48:49]
	v_fma_f64 v[164:165], v[44:45], v[2:3], v[4:5]
	ds_load_b128 v[2:5], v1 offset:1184
	scratch_load_b128 v[42:45], off, off offset:448
	v_fma_f64 v[40:41], v[40:41], v[6:7], v[50:51]
	v_fma_f64 v[38:39], v[38:39], v[6:7], -v[8:9]
	scratch_load_b128 v[6:9], off, off offset:464
	s_waitcnt vmcnt(10) lgkmcnt(0)
	v_mul_f64 v[168:169], v[2:3], v[12:13]
	v_mul_f64 v[12:13], v[4:5], v[12:13]
	v_add_f64 v[48:49], v[48:49], 0
	v_add_f64 v[50:51], v[164:165], 0
	s_waitcnt vmcnt(9)
	v_mul_f64 v[164:165], v[220:221], v[16:17]
	v_mul_f64 v[16:17], v[222:223], v[16:17]
	v_fma_f64 v[168:169], v[4:5], v[10:11], v[168:169]
	v_fma_f64 v[226:227], v[2:3], v[10:11], -v[12:13]
	ds_load_b128 v[2:5], v1 offset:1216
	scratch_load_b128 v[10:13], off, off offset:480
	v_add_f64 v[48:49], v[48:49], v[38:39]
	v_add_f64 v[50:51], v[50:51], v[40:41]
	ds_load_b128 v[38:41], v1 offset:1232
	v_fma_f64 v[164:165], v[222:223], v[14:15], v[164:165]
	v_fma_f64 v[220:221], v[220:221], v[14:15], -v[16:17]
	scratch_load_b128 v[14:17], off, off offset:496
	s_waitcnt vmcnt(10) lgkmcnt(1)
	v_mul_f64 v[228:229], v[2:3], v[20:21]
	v_mul_f64 v[20:21], v[4:5], v[20:21]
	v_add_f64 v[48:49], v[48:49], v[226:227]
	v_add_f64 v[50:51], v[50:51], v[168:169]
	s_waitcnt vmcnt(9) lgkmcnt(0)
	v_mul_f64 v[168:169], v[38:39], v[24:25]
	v_mul_f64 v[24:25], v[40:41], v[24:25]
	v_fma_f64 v[226:227], v[4:5], v[18:19], v[228:229]
	v_fma_f64 v[228:229], v[2:3], v[18:19], -v[20:21]
	ds_load_b128 v[2:5], v1 offset:1248
	scratch_load_b128 v[18:21], off, off offset:512
	v_add_f64 v[48:49], v[48:49], v[220:221]
	v_add_f64 v[50:51], v[50:51], v[164:165]
	ds_load_b128 v[220:223], v1 offset:1264
	s_waitcnt vmcnt(9) lgkmcnt(1)
	v_mul_f64 v[164:165], v[2:3], v[28:29]
	v_mul_f64 v[28:29], v[4:5], v[28:29]
	v_fma_f64 v[40:41], v[40:41], v[22:23], v[168:169]
	v_fma_f64 v[38:39], v[38:39], v[22:23], -v[24:25]
	scratch_load_b128 v[22:25], off, off offset:528
	s_waitcnt vmcnt(9) lgkmcnt(0)
	v_mul_f64 v[168:169], v[220:221], v[32:33]
	v_mul_f64 v[32:33], v[222:223], v[32:33]
	v_add_f64 v[48:49], v[48:49], v[228:229]
	v_add_f64 v[50:51], v[50:51], v[226:227]
	v_fma_f64 v[164:165], v[4:5], v[26:27], v[164:165]
	v_fma_f64 v[226:227], v[2:3], v[26:27], -v[28:29]
	ds_load_b128 v[2:5], v1 offset:1280
	scratch_load_b128 v[26:29], off, off offset:544
	v_fma_f64 v[168:169], v[222:223], v[30:31], v[168:169]
	v_fma_f64 v[220:221], v[220:221], v[30:31], -v[32:33]
	scratch_load_b128 v[30:33], off, off offset:560
	v_add_f64 v[48:49], v[48:49], v[38:39]
	v_add_f64 v[50:51], v[50:51], v[40:41]
	ds_load_b128 v[38:41], v1 offset:1296
	s_waitcnt vmcnt(10) lgkmcnt(1)
	v_mul_f64 v[228:229], v[2:3], v[36:37]
	v_mul_f64 v[36:37], v[4:5], v[36:37]
	v_add_f64 v[48:49], v[48:49], v[226:227]
	v_add_f64 v[50:51], v[50:51], v[164:165]
	s_waitcnt vmcnt(8) lgkmcnt(0)
	v_mul_f64 v[164:165], v[38:39], v[173:174]
	v_mul_f64 v[173:174], v[40:41], v[173:174]
	v_fma_f64 v[226:227], v[4:5], v[34:35], v[228:229]
	v_fma_f64 v[228:229], v[2:3], v[34:35], -v[36:37]
	ds_load_b128 v[2:5], v1 offset:1312
	scratch_load_b128 v[34:37], off, off offset:576
	v_add_f64 v[48:49], v[48:49], v[220:221]
	v_add_f64 v[50:51], v[50:51], v[168:169]
	ds_load_b128 v[220:223], v1 offset:1328
	v_fma_f64 v[164:165], v[40:41], v[171:172], v[164:165]
	v_fma_f64 v[171:172], v[38:39], v[171:172], -v[173:174]
	scratch_load_b128 v[38:41], off, off offset:592
	s_waitcnt vmcnt(9) lgkmcnt(1)
	v_mul_f64 v[168:169], v[2:3], v[44:45]
	v_mul_f64 v[44:45], v[4:5], v[44:45]
	v_add_f64 v[48:49], v[48:49], v[228:229]
	v_add_f64 v[50:51], v[50:51], v[226:227]
	s_waitcnt vmcnt(8) lgkmcnt(0)
	v_mul_f64 v[226:227], v[220:221], v[8:9]
	v_mul_f64 v[8:9], v[222:223], v[8:9]
	v_fma_f64 v[168:169], v[4:5], v[42:43], v[168:169]
	v_fma_f64 v[228:229], v[2:3], v[42:43], -v[44:45]
	ds_load_b128 v[2:5], v1 offset:1344
	scratch_load_b128 v[42:45], off, off offset:608
	v_add_f64 v[48:49], v[48:49], v[171:172]
	v_add_f64 v[50:51], v[50:51], v[164:165]
	ds_load_b128 v[171:174], v1 offset:1360
	s_waitcnt vmcnt(8) lgkmcnt(1)
	v_mul_f64 v[164:165], v[2:3], v[12:13]
	v_mul_f64 v[12:13], v[4:5], v[12:13]
	v_fma_f64 v[222:223], v[222:223], v[6:7], v[226:227]
	v_fma_f64 v[220:221], v[220:221], v[6:7], -v[8:9]
	scratch_load_b128 v[6:9], off, off offset:624
	v_add_f64 v[48:49], v[48:49], v[228:229]
	v_add_f64 v[50:51], v[50:51], v[168:169]
	s_waitcnt vmcnt(8) lgkmcnt(0)
	v_mul_f64 v[168:169], v[171:172], v[16:17]
	v_mul_f64 v[16:17], v[173:174], v[16:17]
	v_fma_f64 v[164:165], v[4:5], v[10:11], v[164:165]
	v_fma_f64 v[226:227], v[2:3], v[10:11], -v[12:13]
	ds_load_b128 v[2:5], v1 offset:1376
	scratch_load_b128 v[10:13], off, off offset:640
	v_add_f64 v[48:49], v[48:49], v[220:221]
	v_add_f64 v[50:51], v[50:51], v[222:223]
	ds_load_b128 v[220:223], v1 offset:1392
	s_waitcnt vmcnt(8) lgkmcnt(1)
	v_mul_f64 v[228:229], v[2:3], v[20:21]
	v_mul_f64 v[20:21], v[4:5], v[20:21]
	v_fma_f64 v[168:169], v[173:174], v[14:15], v[168:169]
	v_fma_f64 v[171:172], v[171:172], v[14:15], -v[16:17]
	scratch_load_b128 v[14:17], off, off offset:656
	;; [unrolled: 18-line block ×8, first 2 shown]
	v_add_f64 v[48:49], v[48:49], v[226:227]
	v_add_f64 v[50:51], v[50:51], v[164:165]
	s_waitcnt vmcnt(8) lgkmcnt(0)
	v_mul_f64 v[164:165], v[220:221], v[32:33]
	v_mul_f64 v[32:33], v[222:223], v[32:33]
	v_fma_f64 v[173:174], v[4:5], v[26:27], v[228:229]
	v_fma_f64 v[226:227], v[2:3], v[26:27], -v[28:29]
	ds_load_b128 v[2:5], v1 offset:1600
	ds_load_b128 v[26:29], v1 offset:1616
	v_add_f64 v[48:49], v[48:49], v[171:172]
	v_add_f64 v[50:51], v[50:51], v[168:169]
	s_waitcnt vmcnt(7) lgkmcnt(1)
	v_mul_f64 v[168:169], v[2:3], v[36:37]
	v_mul_f64 v[36:37], v[4:5], v[36:37]
	v_fma_f64 v[164:165], v[222:223], v[30:31], v[164:165]
	v_fma_f64 v[30:31], v[220:221], v[30:31], -v[32:33]
	v_add_f64 v[32:33], v[48:49], v[226:227]
	v_add_f64 v[48:49], v[50:51], v[173:174]
	s_waitcnt vmcnt(6) lgkmcnt(0)
	v_mul_f64 v[50:51], v[26:27], v[40:41]
	v_mul_f64 v[40:41], v[28:29], v[40:41]
	v_fma_f64 v[168:169], v[4:5], v[34:35], v[168:169]
	v_fma_f64 v[34:35], v[2:3], v[34:35], -v[36:37]
	v_add_f64 v[36:37], v[32:33], v[30:31]
	v_add_f64 v[48:49], v[48:49], v[164:165]
	ds_load_b128 v[2:5], v1 offset:1632
	ds_load_b128 v[30:33], v1 offset:1648
	v_fma_f64 v[28:29], v[28:29], v[38:39], v[50:51]
	v_fma_f64 v[26:27], v[26:27], v[38:39], -v[40:41]
	s_waitcnt vmcnt(5) lgkmcnt(1)
	v_mul_f64 v[164:165], v[2:3], v[44:45]
	v_mul_f64 v[44:45], v[4:5], v[44:45]
	s_waitcnt vmcnt(4) lgkmcnt(0)
	v_mul_f64 v[38:39], v[30:31], v[8:9]
	v_mul_f64 v[8:9], v[32:33], v[8:9]
	v_add_f64 v[34:35], v[36:37], v[34:35]
	v_add_f64 v[36:37], v[48:49], v[168:169]
	v_fma_f64 v[40:41], v[4:5], v[42:43], v[164:165]
	v_fma_f64 v[42:43], v[2:3], v[42:43], -v[44:45]
	v_fma_f64 v[32:33], v[32:33], v[6:7], v[38:39]
	v_fma_f64 v[6:7], v[30:31], v[6:7], -v[8:9]
	v_add_f64 v[34:35], v[34:35], v[26:27]
	v_add_f64 v[36:37], v[36:37], v[28:29]
	ds_load_b128 v[2:5], v1 offset:1664
	ds_load_b128 v[26:29], v1 offset:1680
	s_waitcnt vmcnt(3) lgkmcnt(1)
	v_mul_f64 v[44:45], v[2:3], v[12:13]
	v_mul_f64 v[12:13], v[4:5], v[12:13]
	v_add_f64 v[8:9], v[34:35], v[42:43]
	v_add_f64 v[30:31], v[36:37], v[40:41]
	s_waitcnt vmcnt(2) lgkmcnt(0)
	v_mul_f64 v[34:35], v[26:27], v[16:17]
	v_mul_f64 v[16:17], v[28:29], v[16:17]
	v_fma_f64 v[36:37], v[4:5], v[10:11], v[44:45]
	v_fma_f64 v[10:11], v[2:3], v[10:11], -v[12:13]
	v_add_f64 v[12:13], v[8:9], v[6:7]
	v_add_f64 v[30:31], v[30:31], v[32:33]
	ds_load_b128 v[2:5], v1 offset:1696
	ds_load_b128 v[6:9], v1 offset:1712
	v_fma_f64 v[28:29], v[28:29], v[14:15], v[34:35]
	v_fma_f64 v[14:15], v[26:27], v[14:15], -v[16:17]
	s_waitcnt vmcnt(1) lgkmcnt(1)
	v_mul_f64 v[32:33], v[2:3], v[20:21]
	v_mul_f64 v[20:21], v[4:5], v[20:21]
	s_waitcnt vmcnt(0) lgkmcnt(0)
	v_mul_f64 v[16:17], v[6:7], v[24:25]
	v_mul_f64 v[24:25], v[8:9], v[24:25]
	v_add_f64 v[10:11], v[12:13], v[10:11]
	v_add_f64 v[12:13], v[30:31], v[36:37]
	v_fma_f64 v[4:5], v[4:5], v[18:19], v[32:33]
	v_fma_f64 v[1:2], v[2:3], v[18:19], -v[20:21]
	v_fma_f64 v[8:9], v[8:9], v[22:23], v[16:17]
	v_fma_f64 v[6:7], v[6:7], v[22:23], -v[24:25]
	v_add_f64 v[10:11], v[10:11], v[14:15]
	v_add_f64 v[12:13], v[12:13], v[28:29]
	s_delay_alu instid0(VALU_DEP_2) | instskip(NEXT) | instid1(VALU_DEP_2)
	v_add_f64 v[1:2], v[10:11], v[1:2]
	v_add_f64 v[3:4], v[12:13], v[4:5]
	s_delay_alu instid0(VALU_DEP_2) | instskip(NEXT) | instid1(VALU_DEP_2)
	;; [unrolled: 3-line block ×3, first 2 shown]
	v_add_f64 v[1:2], v[157:158], -v[1:2]
	v_add_f64 v[3:4], v[159:160], -v[3:4]
	scratch_store_b128 off, v[1:4], off offset:272
	v_cmpx_lt_u32_e32 16, v154
	s_cbranch_execz .LBB53_305
; %bb.304:
	scratch_load_b128 v[1:4], v192, off
	v_mov_b32_e32 v5, 0
	s_delay_alu instid0(VALU_DEP_1)
	v_mov_b32_e32 v6, v5
	v_mov_b32_e32 v7, v5
	;; [unrolled: 1-line block ×3, first 2 shown]
	scratch_store_b128 off, v[5:8], off offset:256
	s_waitcnt vmcnt(0)
	ds_store_b128 v208, v[1:4]
.LBB53_305:
	s_or_b32 exec_lo, exec_lo, s2
	s_waitcnt lgkmcnt(0)
	s_waitcnt_vscnt null, 0x0
	s_barrier
	buffer_gl0_inv
	s_clause 0x7
	scratch_load_b128 v[2:5], off, off offset:272
	scratch_load_b128 v[6:9], off, off offset:288
	;; [unrolled: 1-line block ×8, first 2 shown]
	v_mov_b32_e32 v1, 0
	s_mov_b32 s2, exec_lo
	ds_load_b128 v[38:41], v1 offset:1136
	s_clause 0x1
	scratch_load_b128 v[34:37], off, off offset:400
	scratch_load_b128 v[42:45], off, off offset:256
	ds_load_b128 v[157:160], v1 offset:1152
	scratch_load_b128 v[171:174], off, off offset:416
	ds_load_b128 v[220:223], v1 offset:1184
	s_waitcnt vmcnt(10) lgkmcnt(2)
	v_mul_f64 v[48:49], v[40:41], v[4:5]
	v_mul_f64 v[4:5], v[38:39], v[4:5]
	s_delay_alu instid0(VALU_DEP_2) | instskip(NEXT) | instid1(VALU_DEP_2)
	v_fma_f64 v[48:49], v[38:39], v[2:3], -v[48:49]
	v_fma_f64 v[164:165], v[40:41], v[2:3], v[4:5]
	ds_load_b128 v[2:5], v1 offset:1168
	s_waitcnt vmcnt(9) lgkmcnt(2)
	v_mul_f64 v[50:51], v[157:158], v[8:9]
	v_mul_f64 v[8:9], v[159:160], v[8:9]
	scratch_load_b128 v[38:41], off, off offset:432
	s_waitcnt vmcnt(9) lgkmcnt(0)
	v_mul_f64 v[168:169], v[2:3], v[12:13]
	v_mul_f64 v[12:13], v[4:5], v[12:13]
	v_add_f64 v[48:49], v[48:49], 0
	v_fma_f64 v[50:51], v[159:160], v[6:7], v[50:51]
	v_fma_f64 v[157:158], v[157:158], v[6:7], -v[8:9]
	v_add_f64 v[159:160], v[164:165], 0
	scratch_load_b128 v[6:9], off, off offset:448
	v_fma_f64 v[168:169], v[4:5], v[10:11], v[168:169]
	v_fma_f64 v[226:227], v[2:3], v[10:11], -v[12:13]
	scratch_load_b128 v[10:13], off, off offset:464
	ds_load_b128 v[2:5], v1 offset:1200
	s_waitcnt vmcnt(10)
	v_mul_f64 v[164:165], v[220:221], v[16:17]
	v_mul_f64 v[16:17], v[222:223], v[16:17]
	v_add_f64 v[48:49], v[48:49], v[157:158]
	v_add_f64 v[50:51], v[159:160], v[50:51]
	ds_load_b128 v[157:160], v1 offset:1216
	s_waitcnt vmcnt(9) lgkmcnt(1)
	v_mul_f64 v[228:229], v[2:3], v[20:21]
	v_mul_f64 v[20:21], v[4:5], v[20:21]
	v_fma_f64 v[164:165], v[222:223], v[14:15], v[164:165]
	v_fma_f64 v[220:221], v[220:221], v[14:15], -v[16:17]
	scratch_load_b128 v[14:17], off, off offset:480
	v_add_f64 v[48:49], v[48:49], v[226:227]
	v_add_f64 v[50:51], v[50:51], v[168:169]
	v_fma_f64 v[226:227], v[4:5], v[18:19], v[228:229]
	v_fma_f64 v[228:229], v[2:3], v[18:19], -v[20:21]
	scratch_load_b128 v[18:21], off, off offset:496
	ds_load_b128 v[2:5], v1 offset:1232
	s_waitcnt vmcnt(10) lgkmcnt(1)
	v_mul_f64 v[168:169], v[157:158], v[24:25]
	v_mul_f64 v[24:25], v[159:160], v[24:25]
	v_add_f64 v[48:49], v[48:49], v[220:221]
	v_add_f64 v[50:51], v[50:51], v[164:165]
	s_waitcnt vmcnt(9) lgkmcnt(0)
	v_mul_f64 v[164:165], v[2:3], v[28:29]
	v_mul_f64 v[28:29], v[4:5], v[28:29]
	ds_load_b128 v[220:223], v1 offset:1248
	v_fma_f64 v[159:160], v[159:160], v[22:23], v[168:169]
	v_fma_f64 v[157:158], v[157:158], v[22:23], -v[24:25]
	scratch_load_b128 v[22:25], off, off offset:512
	v_add_f64 v[48:49], v[48:49], v[228:229]
	v_add_f64 v[50:51], v[50:51], v[226:227]
	v_fma_f64 v[164:165], v[4:5], v[26:27], v[164:165]
	v_fma_f64 v[226:227], v[2:3], v[26:27], -v[28:29]
	scratch_load_b128 v[26:29], off, off offset:528
	ds_load_b128 v[2:5], v1 offset:1264
	s_waitcnt vmcnt(10) lgkmcnt(1)
	v_mul_f64 v[168:169], v[220:221], v[32:33]
	v_mul_f64 v[32:33], v[222:223], v[32:33]
	s_waitcnt vmcnt(9) lgkmcnt(0)
	v_mul_f64 v[228:229], v[2:3], v[36:37]
	v_mul_f64 v[36:37], v[4:5], v[36:37]
	v_add_f64 v[48:49], v[48:49], v[157:158]
	v_add_f64 v[50:51], v[50:51], v[159:160]
	ds_load_b128 v[157:160], v1 offset:1280
	v_fma_f64 v[168:169], v[222:223], v[30:31], v[168:169]
	v_fma_f64 v[220:221], v[220:221], v[30:31], -v[32:33]
	scratch_load_b128 v[30:33], off, off offset:544
	v_add_f64 v[48:49], v[48:49], v[226:227]
	v_add_f64 v[50:51], v[50:51], v[164:165]
	v_fma_f64 v[226:227], v[4:5], v[34:35], v[228:229]
	v_fma_f64 v[228:229], v[2:3], v[34:35], -v[36:37]
	scratch_load_b128 v[34:37], off, off offset:560
	ds_load_b128 v[2:5], v1 offset:1296
	s_waitcnt vmcnt(9) lgkmcnt(1)
	v_mul_f64 v[164:165], v[157:158], v[173:174]
	v_mul_f64 v[173:174], v[159:160], v[173:174]
	v_add_f64 v[48:49], v[48:49], v[220:221]
	v_add_f64 v[50:51], v[50:51], v[168:169]
	ds_load_b128 v[220:223], v1 offset:1312
	v_fma_f64 v[164:165], v[159:160], v[171:172], v[164:165]
	v_fma_f64 v[171:172], v[157:158], v[171:172], -v[173:174]
	scratch_load_b128 v[157:160], off, off offset:576
	s_waitcnt vmcnt(9) lgkmcnt(1)
	v_mul_f64 v[168:169], v[2:3], v[40:41]
	v_mul_f64 v[40:41], v[4:5], v[40:41]
	v_add_f64 v[48:49], v[48:49], v[228:229]
	v_add_f64 v[50:51], v[50:51], v[226:227]
	s_delay_alu instid0(VALU_DEP_4) | instskip(NEXT) | instid1(VALU_DEP_4)
	v_fma_f64 v[168:169], v[4:5], v[38:39], v[168:169]
	v_fma_f64 v[228:229], v[2:3], v[38:39], -v[40:41]
	scratch_load_b128 v[38:41], off, off offset:592
	ds_load_b128 v[2:5], v1 offset:1328
	s_waitcnt vmcnt(9) lgkmcnt(1)
	v_mul_f64 v[226:227], v[220:221], v[8:9]
	v_mul_f64 v[8:9], v[222:223], v[8:9]
	v_add_f64 v[48:49], v[48:49], v[171:172]
	v_add_f64 v[50:51], v[50:51], v[164:165]
	s_waitcnt vmcnt(8) lgkmcnt(0)
	v_mul_f64 v[164:165], v[2:3], v[12:13]
	v_mul_f64 v[12:13], v[4:5], v[12:13]
	ds_load_b128 v[171:174], v1 offset:1344
	v_fma_f64 v[222:223], v[222:223], v[6:7], v[226:227]
	v_fma_f64 v[220:221], v[220:221], v[6:7], -v[8:9]
	scratch_load_b128 v[6:9], off, off offset:608
	v_add_f64 v[48:49], v[48:49], v[228:229]
	v_add_f64 v[50:51], v[50:51], v[168:169]
	v_fma_f64 v[164:165], v[4:5], v[10:11], v[164:165]
	v_fma_f64 v[226:227], v[2:3], v[10:11], -v[12:13]
	scratch_load_b128 v[10:13], off, off offset:624
	ds_load_b128 v[2:5], v1 offset:1360
	s_waitcnt vmcnt(9) lgkmcnt(1)
	v_mul_f64 v[168:169], v[171:172], v[16:17]
	v_mul_f64 v[16:17], v[173:174], v[16:17]
	s_waitcnt vmcnt(8) lgkmcnt(0)
	v_mul_f64 v[228:229], v[2:3], v[20:21]
	v_mul_f64 v[20:21], v[4:5], v[20:21]
	v_add_f64 v[48:49], v[48:49], v[220:221]
	v_add_f64 v[50:51], v[50:51], v[222:223]
	ds_load_b128 v[220:223], v1 offset:1376
	v_fma_f64 v[168:169], v[173:174], v[14:15], v[168:169]
	v_fma_f64 v[171:172], v[171:172], v[14:15], -v[16:17]
	scratch_load_b128 v[14:17], off, off offset:640
	v_add_f64 v[48:49], v[48:49], v[226:227]
	v_add_f64 v[50:51], v[50:51], v[164:165]
	v_fma_f64 v[226:227], v[4:5], v[18:19], v[228:229]
	v_fma_f64 v[228:229], v[2:3], v[18:19], -v[20:21]
	scratch_load_b128 v[18:21], off, off offset:656
	ds_load_b128 v[2:5], v1 offset:1392
	s_waitcnt vmcnt(9) lgkmcnt(1)
	v_mul_f64 v[164:165], v[220:221], v[24:25]
	v_mul_f64 v[24:25], v[222:223], v[24:25]
	v_add_f64 v[48:49], v[48:49], v[171:172]
	v_add_f64 v[50:51], v[50:51], v[168:169]
	s_waitcnt vmcnt(8) lgkmcnt(0)
	v_mul_f64 v[168:169], v[2:3], v[28:29]
	v_mul_f64 v[28:29], v[4:5], v[28:29]
	ds_load_b128 v[171:174], v1 offset:1408
	v_fma_f64 v[164:165], v[222:223], v[22:23], v[164:165]
	v_fma_f64 v[220:221], v[220:221], v[22:23], -v[24:25]
	scratch_load_b128 v[22:25], off, off offset:672
	v_add_f64 v[48:49], v[48:49], v[228:229]
	v_add_f64 v[50:51], v[50:51], v[226:227]
	v_fma_f64 v[168:169], v[4:5], v[26:27], v[168:169]
	v_fma_f64 v[228:229], v[2:3], v[26:27], -v[28:29]
	scratch_load_b128 v[26:29], off, off offset:688
	ds_load_b128 v[2:5], v1 offset:1424
	s_waitcnt vmcnt(9) lgkmcnt(1)
	v_mul_f64 v[226:227], v[171:172], v[32:33]
	v_mul_f64 v[32:33], v[173:174], v[32:33]
	v_add_f64 v[48:49], v[48:49], v[220:221]
	v_add_f64 v[50:51], v[50:51], v[164:165]
	s_waitcnt vmcnt(8) lgkmcnt(0)
	v_mul_f64 v[164:165], v[2:3], v[36:37]
	v_mul_f64 v[36:37], v[4:5], v[36:37]
	ds_load_b128 v[220:223], v1 offset:1440
	v_fma_f64 v[173:174], v[173:174], v[30:31], v[226:227]
	v_fma_f64 v[171:172], v[171:172], v[30:31], -v[32:33]
	scratch_load_b128 v[30:33], off, off offset:704
	v_add_f64 v[48:49], v[48:49], v[228:229]
	v_add_f64 v[50:51], v[50:51], v[168:169]
	v_fma_f64 v[164:165], v[4:5], v[34:35], v[164:165]
	v_fma_f64 v[226:227], v[2:3], v[34:35], -v[36:37]
	scratch_load_b128 v[34:37], off, off offset:720
	ds_load_b128 v[2:5], v1 offset:1456
	s_waitcnt vmcnt(9) lgkmcnt(1)
	v_mul_f64 v[168:169], v[220:221], v[159:160]
	v_mul_f64 v[159:160], v[222:223], v[159:160]
	s_waitcnt vmcnt(8) lgkmcnt(0)
	v_mul_f64 v[228:229], v[2:3], v[40:41]
	v_mul_f64 v[40:41], v[4:5], v[40:41]
	v_add_f64 v[48:49], v[48:49], v[171:172]
	v_add_f64 v[50:51], v[50:51], v[173:174]
	ds_load_b128 v[171:174], v1 offset:1472
	v_fma_f64 v[168:169], v[222:223], v[157:158], v[168:169]
	v_fma_f64 v[220:221], v[220:221], v[157:158], -v[159:160]
	scratch_load_b128 v[157:160], off, off offset:736
	v_add_f64 v[48:49], v[48:49], v[226:227]
	v_add_f64 v[50:51], v[50:51], v[164:165]
	v_fma_f64 v[226:227], v[4:5], v[38:39], v[228:229]
	v_fma_f64 v[228:229], v[2:3], v[38:39], -v[40:41]
	scratch_load_b128 v[38:41], off, off offset:752
	ds_load_b128 v[2:5], v1 offset:1488
	s_waitcnt vmcnt(9) lgkmcnt(1)
	v_mul_f64 v[164:165], v[171:172], v[8:9]
	v_mul_f64 v[8:9], v[173:174], v[8:9]
	v_add_f64 v[48:49], v[48:49], v[220:221]
	v_add_f64 v[50:51], v[50:51], v[168:169]
	s_waitcnt vmcnt(8) lgkmcnt(0)
	v_mul_f64 v[168:169], v[2:3], v[12:13]
	v_mul_f64 v[12:13], v[4:5], v[12:13]
	ds_load_b128 v[220:223], v1 offset:1504
	v_fma_f64 v[164:165], v[173:174], v[6:7], v[164:165]
	v_fma_f64 v[171:172], v[171:172], v[6:7], -v[8:9]
	scratch_load_b128 v[6:9], off, off offset:768
	v_add_f64 v[48:49], v[48:49], v[228:229]
	v_add_f64 v[50:51], v[50:51], v[226:227]
	v_fma_f64 v[168:169], v[4:5], v[10:11], v[168:169]
	v_fma_f64 v[228:229], v[2:3], v[10:11], -v[12:13]
	scratch_load_b128 v[10:13], off, off offset:784
	ds_load_b128 v[2:5], v1 offset:1520
	s_waitcnt vmcnt(9) lgkmcnt(1)
	v_mul_f64 v[226:227], v[220:221], v[16:17]
	v_mul_f64 v[16:17], v[222:223], v[16:17]
	v_add_f64 v[48:49], v[48:49], v[171:172]
	v_add_f64 v[50:51], v[50:51], v[164:165]
	s_waitcnt vmcnt(8) lgkmcnt(0)
	v_mul_f64 v[164:165], v[2:3], v[20:21]
	v_mul_f64 v[20:21], v[4:5], v[20:21]
	ds_load_b128 v[171:174], v1 offset:1536
	v_fma_f64 v[222:223], v[222:223], v[14:15], v[226:227]
	v_fma_f64 v[220:221], v[220:221], v[14:15], -v[16:17]
	scratch_load_b128 v[14:17], off, off offset:800
	v_add_f64 v[48:49], v[48:49], v[228:229]
	v_add_f64 v[50:51], v[50:51], v[168:169]
	v_fma_f64 v[164:165], v[4:5], v[18:19], v[164:165]
	v_fma_f64 v[226:227], v[2:3], v[18:19], -v[20:21]
	scratch_load_b128 v[18:21], off, off offset:816
	ds_load_b128 v[2:5], v1 offset:1552
	s_waitcnt vmcnt(9) lgkmcnt(1)
	v_mul_f64 v[168:169], v[171:172], v[24:25]
	v_mul_f64 v[24:25], v[173:174], v[24:25]
	s_waitcnt vmcnt(8) lgkmcnt(0)
	v_mul_f64 v[228:229], v[2:3], v[28:29]
	v_mul_f64 v[28:29], v[4:5], v[28:29]
	v_add_f64 v[48:49], v[48:49], v[220:221]
	v_add_f64 v[50:51], v[50:51], v[222:223]
	ds_load_b128 v[220:223], v1 offset:1568
	v_fma_f64 v[168:169], v[173:174], v[22:23], v[168:169]
	v_fma_f64 v[171:172], v[171:172], v[22:23], -v[24:25]
	scratch_load_b128 v[22:25], off, off offset:832
	v_add_f64 v[48:49], v[48:49], v[226:227]
	v_add_f64 v[50:51], v[50:51], v[164:165]
	v_fma_f64 v[226:227], v[4:5], v[26:27], v[228:229]
	v_fma_f64 v[228:229], v[2:3], v[26:27], -v[28:29]
	scratch_load_b128 v[26:29], off, off offset:848
	ds_load_b128 v[2:5], v1 offset:1584
	s_waitcnt vmcnt(9) lgkmcnt(1)
	v_mul_f64 v[164:165], v[220:221], v[32:33]
	v_mul_f64 v[32:33], v[222:223], v[32:33]
	v_add_f64 v[48:49], v[48:49], v[171:172]
	v_add_f64 v[50:51], v[50:51], v[168:169]
	s_waitcnt vmcnt(8) lgkmcnt(0)
	v_mul_f64 v[168:169], v[2:3], v[36:37]
	v_mul_f64 v[36:37], v[4:5], v[36:37]
	ds_load_b128 v[171:174], v1 offset:1600
	v_fma_f64 v[164:165], v[222:223], v[30:31], v[164:165]
	v_fma_f64 v[30:31], v[220:221], v[30:31], -v[32:33]
	v_add_f64 v[32:33], v[48:49], v[228:229]
	v_add_f64 v[48:49], v[50:51], v[226:227]
	s_waitcnt vmcnt(7) lgkmcnt(0)
	v_mul_f64 v[50:51], v[171:172], v[159:160]
	v_mul_f64 v[159:160], v[173:174], v[159:160]
	v_fma_f64 v[168:169], v[4:5], v[34:35], v[168:169]
	v_fma_f64 v[34:35], v[2:3], v[34:35], -v[36:37]
	v_add_f64 v[36:37], v[32:33], v[30:31]
	v_add_f64 v[48:49], v[48:49], v[164:165]
	ds_load_b128 v[2:5], v1 offset:1616
	ds_load_b128 v[30:33], v1 offset:1632
	v_fma_f64 v[50:51], v[173:174], v[157:158], v[50:51]
	v_fma_f64 v[157:158], v[171:172], v[157:158], -v[159:160]
	s_waitcnt vmcnt(6) lgkmcnt(1)
	v_mul_f64 v[164:165], v[2:3], v[40:41]
	v_mul_f64 v[40:41], v[4:5], v[40:41]
	v_add_f64 v[34:35], v[36:37], v[34:35]
	v_add_f64 v[36:37], v[48:49], v[168:169]
	s_waitcnt vmcnt(5) lgkmcnt(0)
	v_mul_f64 v[48:49], v[30:31], v[8:9]
	v_mul_f64 v[8:9], v[32:33], v[8:9]
	v_fma_f64 v[159:160], v[4:5], v[38:39], v[164:165]
	v_fma_f64 v[38:39], v[2:3], v[38:39], -v[40:41]
	v_add_f64 v[40:41], v[34:35], v[157:158]
	v_add_f64 v[50:51], v[36:37], v[50:51]
	ds_load_b128 v[2:5], v1 offset:1648
	ds_load_b128 v[34:37], v1 offset:1664
	v_fma_f64 v[32:33], v[32:33], v[6:7], v[48:49]
	v_fma_f64 v[6:7], v[30:31], v[6:7], -v[8:9]
	s_waitcnt vmcnt(4) lgkmcnt(1)
	v_mul_f64 v[157:158], v[2:3], v[12:13]
	v_mul_f64 v[12:13], v[4:5], v[12:13]
	;; [unrolled: 16-line block ×3, first 2 shown]
	s_waitcnt vmcnt(1) lgkmcnt(0)
	v_mul_f64 v[16:17], v[6:7], v[24:25]
	v_mul_f64 v[24:25], v[8:9], v[24:25]
	v_add_f64 v[10:11], v[12:13], v[10:11]
	v_add_f64 v[12:13], v[30:31], v[40:41]
	v_fma_f64 v[30:31], v[4:5], v[18:19], v[32:33]
	v_fma_f64 v[18:19], v[2:3], v[18:19], -v[20:21]
	ds_load_b128 v[2:5], v1 offset:1712
	v_fma_f64 v[8:9], v[8:9], v[22:23], v[16:17]
	v_fma_f64 v[6:7], v[6:7], v[22:23], -v[24:25]
	v_add_f64 v[10:11], v[10:11], v[14:15]
	v_add_f64 v[12:13], v[12:13], v[36:37]
	s_waitcnt vmcnt(0) lgkmcnt(0)
	v_mul_f64 v[14:15], v[2:3], v[28:29]
	v_mul_f64 v[20:21], v[4:5], v[28:29]
	s_delay_alu instid0(VALU_DEP_4) | instskip(NEXT) | instid1(VALU_DEP_4)
	v_add_f64 v[10:11], v[10:11], v[18:19]
	v_add_f64 v[12:13], v[12:13], v[30:31]
	s_delay_alu instid0(VALU_DEP_4) | instskip(NEXT) | instid1(VALU_DEP_4)
	v_fma_f64 v[4:5], v[4:5], v[26:27], v[14:15]
	v_fma_f64 v[2:3], v[2:3], v[26:27], -v[20:21]
	s_delay_alu instid0(VALU_DEP_4) | instskip(NEXT) | instid1(VALU_DEP_4)
	v_add_f64 v[6:7], v[10:11], v[6:7]
	v_add_f64 v[8:9], v[12:13], v[8:9]
	s_delay_alu instid0(VALU_DEP_2) | instskip(NEXT) | instid1(VALU_DEP_2)
	v_add_f64 v[2:3], v[6:7], v[2:3]
	v_add_f64 v[4:5], v[8:9], v[4:5]
	s_delay_alu instid0(VALU_DEP_2) | instskip(NEXT) | instid1(VALU_DEP_2)
	v_add_f64 v[2:3], v[42:43], -v[2:3]
	v_add_f64 v[4:5], v[44:45], -v[4:5]
	scratch_store_b128 off, v[2:5], off offset:256
	v_cmpx_lt_u32_e32 15, v154
	s_cbranch_execz .LBB53_307
; %bb.306:
	scratch_load_b128 v[5:8], v193, off
	v_mov_b32_e32 v2, v1
	v_mov_b32_e32 v3, v1
	;; [unrolled: 1-line block ×3, first 2 shown]
	scratch_store_b128 off, v[1:4], off offset:240
	s_waitcnt vmcnt(0)
	ds_store_b128 v208, v[5:8]
.LBB53_307:
	s_or_b32 exec_lo, exec_lo, s2
	s_waitcnt lgkmcnt(0)
	s_waitcnt_vscnt null, 0x0
	s_barrier
	buffer_gl0_inv
	s_clause 0x8
	scratch_load_b128 v[2:5], off, off offset:256
	scratch_load_b128 v[6:9], off, off offset:272
	;; [unrolled: 1-line block ×9, first 2 shown]
	ds_load_b128 v[42:45], v1 offset:1120
	ds_load_b128 v[38:41], v1 offset:1136
	s_clause 0x1
	scratch_load_b128 v[157:160], off, off offset:240
	scratch_load_b128 v[171:174], off, off offset:400
	s_mov_b32 s2, exec_lo
	ds_load_b128 v[220:223], v1 offset:1168
	s_waitcnt vmcnt(10) lgkmcnt(2)
	v_mul_f64 v[48:49], v[44:45], v[4:5]
	v_mul_f64 v[4:5], v[42:43], v[4:5]
	s_waitcnt vmcnt(9) lgkmcnt(1)
	v_mul_f64 v[50:51], v[38:39], v[8:9]
	v_mul_f64 v[8:9], v[40:41], v[8:9]
	s_delay_alu instid0(VALU_DEP_4) | instskip(NEXT) | instid1(VALU_DEP_4)
	v_fma_f64 v[48:49], v[42:43], v[2:3], -v[48:49]
	v_fma_f64 v[164:165], v[44:45], v[2:3], v[4:5]
	ds_load_b128 v[2:5], v1 offset:1152
	scratch_load_b128 v[42:45], off, off offset:416
	v_fma_f64 v[40:41], v[40:41], v[6:7], v[50:51]
	v_fma_f64 v[38:39], v[38:39], v[6:7], -v[8:9]
	scratch_load_b128 v[6:9], off, off offset:432
	s_waitcnt vmcnt(10) lgkmcnt(0)
	v_mul_f64 v[168:169], v[2:3], v[12:13]
	v_mul_f64 v[12:13], v[4:5], v[12:13]
	v_add_f64 v[48:49], v[48:49], 0
	v_add_f64 v[50:51], v[164:165], 0
	s_waitcnt vmcnt(9)
	v_mul_f64 v[164:165], v[220:221], v[16:17]
	v_mul_f64 v[16:17], v[222:223], v[16:17]
	v_fma_f64 v[168:169], v[4:5], v[10:11], v[168:169]
	v_fma_f64 v[226:227], v[2:3], v[10:11], -v[12:13]
	ds_load_b128 v[2:5], v1 offset:1184
	scratch_load_b128 v[10:13], off, off offset:448
	v_add_f64 v[48:49], v[48:49], v[38:39]
	v_add_f64 v[50:51], v[50:51], v[40:41]
	ds_load_b128 v[38:41], v1 offset:1200
	v_fma_f64 v[164:165], v[222:223], v[14:15], v[164:165]
	v_fma_f64 v[220:221], v[220:221], v[14:15], -v[16:17]
	scratch_load_b128 v[14:17], off, off offset:464
	s_waitcnt vmcnt(10) lgkmcnt(1)
	v_mul_f64 v[228:229], v[2:3], v[20:21]
	v_mul_f64 v[20:21], v[4:5], v[20:21]
	v_add_f64 v[48:49], v[48:49], v[226:227]
	v_add_f64 v[50:51], v[50:51], v[168:169]
	s_waitcnt vmcnt(9) lgkmcnt(0)
	v_mul_f64 v[168:169], v[38:39], v[24:25]
	v_mul_f64 v[24:25], v[40:41], v[24:25]
	v_fma_f64 v[226:227], v[4:5], v[18:19], v[228:229]
	v_fma_f64 v[228:229], v[2:3], v[18:19], -v[20:21]
	ds_load_b128 v[2:5], v1 offset:1216
	scratch_load_b128 v[18:21], off, off offset:480
	v_add_f64 v[48:49], v[48:49], v[220:221]
	v_add_f64 v[50:51], v[50:51], v[164:165]
	ds_load_b128 v[220:223], v1 offset:1232
	s_waitcnt vmcnt(9) lgkmcnt(1)
	v_mul_f64 v[164:165], v[2:3], v[28:29]
	v_mul_f64 v[28:29], v[4:5], v[28:29]
	v_fma_f64 v[40:41], v[40:41], v[22:23], v[168:169]
	v_fma_f64 v[38:39], v[38:39], v[22:23], -v[24:25]
	scratch_load_b128 v[22:25], off, off offset:496
	s_waitcnt vmcnt(9) lgkmcnt(0)
	v_mul_f64 v[168:169], v[220:221], v[32:33]
	v_mul_f64 v[32:33], v[222:223], v[32:33]
	v_add_f64 v[48:49], v[48:49], v[228:229]
	v_add_f64 v[50:51], v[50:51], v[226:227]
	v_fma_f64 v[164:165], v[4:5], v[26:27], v[164:165]
	v_fma_f64 v[226:227], v[2:3], v[26:27], -v[28:29]
	ds_load_b128 v[2:5], v1 offset:1248
	scratch_load_b128 v[26:29], off, off offset:512
	v_fma_f64 v[168:169], v[222:223], v[30:31], v[168:169]
	v_fma_f64 v[220:221], v[220:221], v[30:31], -v[32:33]
	scratch_load_b128 v[30:33], off, off offset:528
	v_add_f64 v[48:49], v[48:49], v[38:39]
	v_add_f64 v[50:51], v[50:51], v[40:41]
	ds_load_b128 v[38:41], v1 offset:1264
	s_waitcnt vmcnt(10) lgkmcnt(1)
	v_mul_f64 v[228:229], v[2:3], v[36:37]
	v_mul_f64 v[36:37], v[4:5], v[36:37]
	v_add_f64 v[48:49], v[48:49], v[226:227]
	v_add_f64 v[50:51], v[50:51], v[164:165]
	s_waitcnt vmcnt(8) lgkmcnt(0)
	v_mul_f64 v[164:165], v[38:39], v[173:174]
	v_mul_f64 v[173:174], v[40:41], v[173:174]
	v_fma_f64 v[226:227], v[4:5], v[34:35], v[228:229]
	v_fma_f64 v[228:229], v[2:3], v[34:35], -v[36:37]
	ds_load_b128 v[2:5], v1 offset:1280
	scratch_load_b128 v[34:37], off, off offset:544
	v_add_f64 v[48:49], v[48:49], v[220:221]
	v_add_f64 v[50:51], v[50:51], v[168:169]
	ds_load_b128 v[220:223], v1 offset:1296
	v_fma_f64 v[164:165], v[40:41], v[171:172], v[164:165]
	v_fma_f64 v[171:172], v[38:39], v[171:172], -v[173:174]
	scratch_load_b128 v[38:41], off, off offset:560
	s_waitcnt vmcnt(9) lgkmcnt(1)
	v_mul_f64 v[168:169], v[2:3], v[44:45]
	v_mul_f64 v[44:45], v[4:5], v[44:45]
	v_add_f64 v[48:49], v[48:49], v[228:229]
	v_add_f64 v[50:51], v[50:51], v[226:227]
	s_waitcnt vmcnt(8) lgkmcnt(0)
	v_mul_f64 v[226:227], v[220:221], v[8:9]
	v_mul_f64 v[8:9], v[222:223], v[8:9]
	v_fma_f64 v[168:169], v[4:5], v[42:43], v[168:169]
	v_fma_f64 v[228:229], v[2:3], v[42:43], -v[44:45]
	ds_load_b128 v[2:5], v1 offset:1312
	scratch_load_b128 v[42:45], off, off offset:576
	v_add_f64 v[48:49], v[48:49], v[171:172]
	v_add_f64 v[50:51], v[50:51], v[164:165]
	ds_load_b128 v[171:174], v1 offset:1328
	s_waitcnt vmcnt(8) lgkmcnt(1)
	v_mul_f64 v[164:165], v[2:3], v[12:13]
	v_mul_f64 v[12:13], v[4:5], v[12:13]
	v_fma_f64 v[222:223], v[222:223], v[6:7], v[226:227]
	v_fma_f64 v[220:221], v[220:221], v[6:7], -v[8:9]
	scratch_load_b128 v[6:9], off, off offset:592
	v_add_f64 v[48:49], v[48:49], v[228:229]
	v_add_f64 v[50:51], v[50:51], v[168:169]
	s_waitcnt vmcnt(8) lgkmcnt(0)
	v_mul_f64 v[168:169], v[171:172], v[16:17]
	v_mul_f64 v[16:17], v[173:174], v[16:17]
	v_fma_f64 v[164:165], v[4:5], v[10:11], v[164:165]
	v_fma_f64 v[226:227], v[2:3], v[10:11], -v[12:13]
	ds_load_b128 v[2:5], v1 offset:1344
	scratch_load_b128 v[10:13], off, off offset:608
	v_add_f64 v[48:49], v[48:49], v[220:221]
	v_add_f64 v[50:51], v[50:51], v[222:223]
	ds_load_b128 v[220:223], v1 offset:1360
	s_waitcnt vmcnt(8) lgkmcnt(1)
	v_mul_f64 v[228:229], v[2:3], v[20:21]
	v_mul_f64 v[20:21], v[4:5], v[20:21]
	v_fma_f64 v[168:169], v[173:174], v[14:15], v[168:169]
	v_fma_f64 v[171:172], v[171:172], v[14:15], -v[16:17]
	scratch_load_b128 v[14:17], off, off offset:624
	;; [unrolled: 18-line block ×9, first 2 shown]
	s_waitcnt vmcnt(8) lgkmcnt(0)
	v_mul_f64 v[222:223], v[171:172], v[40:41]
	v_mul_f64 v[40:41], v[173:174], v[40:41]
	v_add_f64 v[48:49], v[48:49], v[228:229]
	v_add_f64 v[50:51], v[50:51], v[226:227]
	v_fma_f64 v[168:169], v[4:5], v[34:35], v[168:169]
	v_fma_f64 v[226:227], v[2:3], v[34:35], -v[36:37]
	ds_load_b128 v[2:5], v1 offset:1600
	ds_load_b128 v[34:37], v1 offset:1616
	v_fma_f64 v[173:174], v[173:174], v[38:39], v[222:223]
	v_fma_f64 v[38:39], v[171:172], v[38:39], -v[40:41]
	v_add_f64 v[48:49], v[48:49], v[220:221]
	v_add_f64 v[50:51], v[50:51], v[164:165]
	s_waitcnt vmcnt(7) lgkmcnt(1)
	v_mul_f64 v[164:165], v[2:3], v[44:45]
	v_mul_f64 v[44:45], v[4:5], v[44:45]
	s_delay_alu instid0(VALU_DEP_4) | instskip(NEXT) | instid1(VALU_DEP_4)
	v_add_f64 v[40:41], v[48:49], v[226:227]
	v_add_f64 v[48:49], v[50:51], v[168:169]
	s_waitcnt vmcnt(6) lgkmcnt(0)
	v_mul_f64 v[50:51], v[34:35], v[8:9]
	v_mul_f64 v[8:9], v[36:37], v[8:9]
	v_fma_f64 v[164:165], v[4:5], v[42:43], v[164:165]
	v_fma_f64 v[42:43], v[2:3], v[42:43], -v[44:45]
	v_add_f64 v[44:45], v[40:41], v[38:39]
	v_add_f64 v[48:49], v[48:49], v[173:174]
	ds_load_b128 v[2:5], v1 offset:1632
	ds_load_b128 v[38:41], v1 offset:1648
	v_fma_f64 v[36:37], v[36:37], v[6:7], v[50:51]
	v_fma_f64 v[6:7], v[34:35], v[6:7], -v[8:9]
	s_waitcnt vmcnt(5) lgkmcnt(1)
	v_mul_f64 v[168:169], v[2:3], v[12:13]
	v_mul_f64 v[12:13], v[4:5], v[12:13]
	v_add_f64 v[8:9], v[44:45], v[42:43]
	v_add_f64 v[34:35], v[48:49], v[164:165]
	s_waitcnt vmcnt(4) lgkmcnt(0)
	v_mul_f64 v[42:43], v[38:39], v[16:17]
	v_mul_f64 v[16:17], v[40:41], v[16:17]
	v_fma_f64 v[44:45], v[4:5], v[10:11], v[168:169]
	v_fma_f64 v[10:11], v[2:3], v[10:11], -v[12:13]
	v_add_f64 v[12:13], v[8:9], v[6:7]
	v_add_f64 v[34:35], v[34:35], v[36:37]
	ds_load_b128 v[2:5], v1 offset:1664
	ds_load_b128 v[6:9], v1 offset:1680
	v_fma_f64 v[40:41], v[40:41], v[14:15], v[42:43]
	v_fma_f64 v[14:15], v[38:39], v[14:15], -v[16:17]
	s_waitcnt vmcnt(3) lgkmcnt(1)
	v_mul_f64 v[36:37], v[2:3], v[20:21]
	v_mul_f64 v[20:21], v[4:5], v[20:21]
	s_waitcnt vmcnt(2) lgkmcnt(0)
	v_mul_f64 v[16:17], v[6:7], v[24:25]
	v_mul_f64 v[24:25], v[8:9], v[24:25]
	v_add_f64 v[10:11], v[12:13], v[10:11]
	v_add_f64 v[12:13], v[34:35], v[44:45]
	v_fma_f64 v[34:35], v[4:5], v[18:19], v[36:37]
	v_fma_f64 v[18:19], v[2:3], v[18:19], -v[20:21]
	v_fma_f64 v[8:9], v[8:9], v[22:23], v[16:17]
	v_fma_f64 v[6:7], v[6:7], v[22:23], -v[24:25]
	v_add_f64 v[14:15], v[10:11], v[14:15]
	v_add_f64 v[20:21], v[12:13], v[40:41]
	ds_load_b128 v[2:5], v1 offset:1696
	ds_load_b128 v[10:13], v1 offset:1712
	s_waitcnt vmcnt(1) lgkmcnt(1)
	v_mul_f64 v[36:37], v[2:3], v[28:29]
	v_mul_f64 v[28:29], v[4:5], v[28:29]
	v_add_f64 v[14:15], v[14:15], v[18:19]
	v_add_f64 v[16:17], v[20:21], v[34:35]
	s_waitcnt vmcnt(0) lgkmcnt(0)
	v_mul_f64 v[18:19], v[10:11], v[32:33]
	v_mul_f64 v[20:21], v[12:13], v[32:33]
	v_fma_f64 v[4:5], v[4:5], v[26:27], v[36:37]
	v_fma_f64 v[1:2], v[2:3], v[26:27], -v[28:29]
	v_add_f64 v[6:7], v[14:15], v[6:7]
	v_add_f64 v[8:9], v[16:17], v[8:9]
	v_fma_f64 v[12:13], v[12:13], v[30:31], v[18:19]
	v_fma_f64 v[10:11], v[10:11], v[30:31], -v[20:21]
	s_delay_alu instid0(VALU_DEP_4) | instskip(NEXT) | instid1(VALU_DEP_4)
	v_add_f64 v[1:2], v[6:7], v[1:2]
	v_add_f64 v[3:4], v[8:9], v[4:5]
	s_delay_alu instid0(VALU_DEP_2) | instskip(NEXT) | instid1(VALU_DEP_2)
	v_add_f64 v[1:2], v[1:2], v[10:11]
	v_add_f64 v[3:4], v[3:4], v[12:13]
	s_delay_alu instid0(VALU_DEP_2) | instskip(NEXT) | instid1(VALU_DEP_2)
	v_add_f64 v[1:2], v[157:158], -v[1:2]
	v_add_f64 v[3:4], v[159:160], -v[3:4]
	scratch_store_b128 off, v[1:4], off offset:240
	v_cmpx_lt_u32_e32 14, v154
	s_cbranch_execz .LBB53_309
; %bb.308:
	scratch_load_b128 v[1:4], v194, off
	v_mov_b32_e32 v5, 0
	s_delay_alu instid0(VALU_DEP_1)
	v_mov_b32_e32 v6, v5
	v_mov_b32_e32 v7, v5
	;; [unrolled: 1-line block ×3, first 2 shown]
	scratch_store_b128 off, v[5:8], off offset:224
	s_waitcnt vmcnt(0)
	ds_store_b128 v208, v[1:4]
.LBB53_309:
	s_or_b32 exec_lo, exec_lo, s2
	s_waitcnt lgkmcnt(0)
	s_waitcnt_vscnt null, 0x0
	s_barrier
	buffer_gl0_inv
	s_clause 0x7
	scratch_load_b128 v[2:5], off, off offset:240
	scratch_load_b128 v[6:9], off, off offset:256
	;; [unrolled: 1-line block ×8, first 2 shown]
	v_mov_b32_e32 v1, 0
	s_mov_b32 s2, exec_lo
	ds_load_b128 v[38:41], v1 offset:1104
	s_clause 0x1
	scratch_load_b128 v[34:37], off, off offset:368
	scratch_load_b128 v[42:45], off, off offset:224
	ds_load_b128 v[157:160], v1 offset:1120
	scratch_load_b128 v[171:174], off, off offset:384
	ds_load_b128 v[220:223], v1 offset:1152
	s_waitcnt vmcnt(10) lgkmcnt(2)
	v_mul_f64 v[48:49], v[40:41], v[4:5]
	v_mul_f64 v[4:5], v[38:39], v[4:5]
	s_delay_alu instid0(VALU_DEP_2) | instskip(NEXT) | instid1(VALU_DEP_2)
	v_fma_f64 v[48:49], v[38:39], v[2:3], -v[48:49]
	v_fma_f64 v[164:165], v[40:41], v[2:3], v[4:5]
	ds_load_b128 v[2:5], v1 offset:1136
	s_waitcnt vmcnt(9) lgkmcnt(2)
	v_mul_f64 v[50:51], v[157:158], v[8:9]
	v_mul_f64 v[8:9], v[159:160], v[8:9]
	scratch_load_b128 v[38:41], off, off offset:400
	s_waitcnt vmcnt(9) lgkmcnt(0)
	v_mul_f64 v[168:169], v[2:3], v[12:13]
	v_mul_f64 v[12:13], v[4:5], v[12:13]
	v_add_f64 v[48:49], v[48:49], 0
	v_fma_f64 v[50:51], v[159:160], v[6:7], v[50:51]
	v_fma_f64 v[157:158], v[157:158], v[6:7], -v[8:9]
	v_add_f64 v[159:160], v[164:165], 0
	scratch_load_b128 v[6:9], off, off offset:416
	v_fma_f64 v[168:169], v[4:5], v[10:11], v[168:169]
	v_fma_f64 v[226:227], v[2:3], v[10:11], -v[12:13]
	scratch_load_b128 v[10:13], off, off offset:432
	ds_load_b128 v[2:5], v1 offset:1168
	s_waitcnt vmcnt(10)
	v_mul_f64 v[164:165], v[220:221], v[16:17]
	v_mul_f64 v[16:17], v[222:223], v[16:17]
	v_add_f64 v[48:49], v[48:49], v[157:158]
	v_add_f64 v[50:51], v[159:160], v[50:51]
	ds_load_b128 v[157:160], v1 offset:1184
	s_waitcnt vmcnt(9) lgkmcnt(1)
	v_mul_f64 v[228:229], v[2:3], v[20:21]
	v_mul_f64 v[20:21], v[4:5], v[20:21]
	v_fma_f64 v[164:165], v[222:223], v[14:15], v[164:165]
	v_fma_f64 v[220:221], v[220:221], v[14:15], -v[16:17]
	scratch_load_b128 v[14:17], off, off offset:448
	v_add_f64 v[48:49], v[48:49], v[226:227]
	v_add_f64 v[50:51], v[50:51], v[168:169]
	v_fma_f64 v[226:227], v[4:5], v[18:19], v[228:229]
	v_fma_f64 v[228:229], v[2:3], v[18:19], -v[20:21]
	scratch_load_b128 v[18:21], off, off offset:464
	ds_load_b128 v[2:5], v1 offset:1200
	s_waitcnt vmcnt(10) lgkmcnt(1)
	v_mul_f64 v[168:169], v[157:158], v[24:25]
	v_mul_f64 v[24:25], v[159:160], v[24:25]
	v_add_f64 v[48:49], v[48:49], v[220:221]
	v_add_f64 v[50:51], v[50:51], v[164:165]
	s_waitcnt vmcnt(9) lgkmcnt(0)
	v_mul_f64 v[164:165], v[2:3], v[28:29]
	v_mul_f64 v[28:29], v[4:5], v[28:29]
	ds_load_b128 v[220:223], v1 offset:1216
	v_fma_f64 v[159:160], v[159:160], v[22:23], v[168:169]
	v_fma_f64 v[157:158], v[157:158], v[22:23], -v[24:25]
	scratch_load_b128 v[22:25], off, off offset:480
	v_add_f64 v[48:49], v[48:49], v[228:229]
	v_add_f64 v[50:51], v[50:51], v[226:227]
	v_fma_f64 v[164:165], v[4:5], v[26:27], v[164:165]
	v_fma_f64 v[226:227], v[2:3], v[26:27], -v[28:29]
	scratch_load_b128 v[26:29], off, off offset:496
	ds_load_b128 v[2:5], v1 offset:1232
	s_waitcnt vmcnt(10) lgkmcnt(1)
	v_mul_f64 v[168:169], v[220:221], v[32:33]
	v_mul_f64 v[32:33], v[222:223], v[32:33]
	s_waitcnt vmcnt(9) lgkmcnt(0)
	v_mul_f64 v[228:229], v[2:3], v[36:37]
	v_mul_f64 v[36:37], v[4:5], v[36:37]
	v_add_f64 v[48:49], v[48:49], v[157:158]
	v_add_f64 v[50:51], v[50:51], v[159:160]
	ds_load_b128 v[157:160], v1 offset:1248
	v_fma_f64 v[168:169], v[222:223], v[30:31], v[168:169]
	v_fma_f64 v[220:221], v[220:221], v[30:31], -v[32:33]
	scratch_load_b128 v[30:33], off, off offset:512
	v_add_f64 v[48:49], v[48:49], v[226:227]
	v_add_f64 v[50:51], v[50:51], v[164:165]
	v_fma_f64 v[226:227], v[4:5], v[34:35], v[228:229]
	v_fma_f64 v[228:229], v[2:3], v[34:35], -v[36:37]
	scratch_load_b128 v[34:37], off, off offset:528
	ds_load_b128 v[2:5], v1 offset:1264
	s_waitcnt vmcnt(9) lgkmcnt(1)
	v_mul_f64 v[164:165], v[157:158], v[173:174]
	v_mul_f64 v[173:174], v[159:160], v[173:174]
	v_add_f64 v[48:49], v[48:49], v[220:221]
	v_add_f64 v[50:51], v[50:51], v[168:169]
	ds_load_b128 v[220:223], v1 offset:1280
	v_fma_f64 v[164:165], v[159:160], v[171:172], v[164:165]
	v_fma_f64 v[171:172], v[157:158], v[171:172], -v[173:174]
	scratch_load_b128 v[157:160], off, off offset:544
	s_waitcnt vmcnt(9) lgkmcnt(1)
	v_mul_f64 v[168:169], v[2:3], v[40:41]
	v_mul_f64 v[40:41], v[4:5], v[40:41]
	v_add_f64 v[48:49], v[48:49], v[228:229]
	v_add_f64 v[50:51], v[50:51], v[226:227]
	s_delay_alu instid0(VALU_DEP_4) | instskip(NEXT) | instid1(VALU_DEP_4)
	v_fma_f64 v[168:169], v[4:5], v[38:39], v[168:169]
	v_fma_f64 v[228:229], v[2:3], v[38:39], -v[40:41]
	scratch_load_b128 v[38:41], off, off offset:560
	ds_load_b128 v[2:5], v1 offset:1296
	s_waitcnt vmcnt(9) lgkmcnt(1)
	v_mul_f64 v[226:227], v[220:221], v[8:9]
	v_mul_f64 v[8:9], v[222:223], v[8:9]
	v_add_f64 v[48:49], v[48:49], v[171:172]
	v_add_f64 v[50:51], v[50:51], v[164:165]
	s_waitcnt vmcnt(8) lgkmcnt(0)
	v_mul_f64 v[164:165], v[2:3], v[12:13]
	v_mul_f64 v[12:13], v[4:5], v[12:13]
	ds_load_b128 v[171:174], v1 offset:1312
	v_fma_f64 v[222:223], v[222:223], v[6:7], v[226:227]
	v_fma_f64 v[220:221], v[220:221], v[6:7], -v[8:9]
	scratch_load_b128 v[6:9], off, off offset:576
	v_add_f64 v[48:49], v[48:49], v[228:229]
	v_add_f64 v[50:51], v[50:51], v[168:169]
	v_fma_f64 v[164:165], v[4:5], v[10:11], v[164:165]
	v_fma_f64 v[226:227], v[2:3], v[10:11], -v[12:13]
	scratch_load_b128 v[10:13], off, off offset:592
	ds_load_b128 v[2:5], v1 offset:1328
	s_waitcnt vmcnt(9) lgkmcnt(1)
	v_mul_f64 v[168:169], v[171:172], v[16:17]
	v_mul_f64 v[16:17], v[173:174], v[16:17]
	s_waitcnt vmcnt(8) lgkmcnt(0)
	v_mul_f64 v[228:229], v[2:3], v[20:21]
	v_mul_f64 v[20:21], v[4:5], v[20:21]
	v_add_f64 v[48:49], v[48:49], v[220:221]
	v_add_f64 v[50:51], v[50:51], v[222:223]
	ds_load_b128 v[220:223], v1 offset:1344
	v_fma_f64 v[168:169], v[173:174], v[14:15], v[168:169]
	v_fma_f64 v[171:172], v[171:172], v[14:15], -v[16:17]
	scratch_load_b128 v[14:17], off, off offset:608
	v_add_f64 v[48:49], v[48:49], v[226:227]
	v_add_f64 v[50:51], v[50:51], v[164:165]
	v_fma_f64 v[226:227], v[4:5], v[18:19], v[228:229]
	v_fma_f64 v[228:229], v[2:3], v[18:19], -v[20:21]
	scratch_load_b128 v[18:21], off, off offset:624
	ds_load_b128 v[2:5], v1 offset:1360
	s_waitcnt vmcnt(9) lgkmcnt(1)
	v_mul_f64 v[164:165], v[220:221], v[24:25]
	v_mul_f64 v[24:25], v[222:223], v[24:25]
	v_add_f64 v[48:49], v[48:49], v[171:172]
	v_add_f64 v[50:51], v[50:51], v[168:169]
	s_waitcnt vmcnt(8) lgkmcnt(0)
	v_mul_f64 v[168:169], v[2:3], v[28:29]
	v_mul_f64 v[28:29], v[4:5], v[28:29]
	ds_load_b128 v[171:174], v1 offset:1376
	v_fma_f64 v[164:165], v[222:223], v[22:23], v[164:165]
	v_fma_f64 v[220:221], v[220:221], v[22:23], -v[24:25]
	scratch_load_b128 v[22:25], off, off offset:640
	v_add_f64 v[48:49], v[48:49], v[228:229]
	v_add_f64 v[50:51], v[50:51], v[226:227]
	v_fma_f64 v[168:169], v[4:5], v[26:27], v[168:169]
	v_fma_f64 v[228:229], v[2:3], v[26:27], -v[28:29]
	scratch_load_b128 v[26:29], off, off offset:656
	ds_load_b128 v[2:5], v1 offset:1392
	s_waitcnt vmcnt(9) lgkmcnt(1)
	v_mul_f64 v[226:227], v[171:172], v[32:33]
	v_mul_f64 v[32:33], v[173:174], v[32:33]
	v_add_f64 v[48:49], v[48:49], v[220:221]
	v_add_f64 v[50:51], v[50:51], v[164:165]
	s_waitcnt vmcnt(8) lgkmcnt(0)
	v_mul_f64 v[164:165], v[2:3], v[36:37]
	v_mul_f64 v[36:37], v[4:5], v[36:37]
	ds_load_b128 v[220:223], v1 offset:1408
	v_fma_f64 v[173:174], v[173:174], v[30:31], v[226:227]
	v_fma_f64 v[171:172], v[171:172], v[30:31], -v[32:33]
	scratch_load_b128 v[30:33], off, off offset:672
	v_add_f64 v[48:49], v[48:49], v[228:229]
	v_add_f64 v[50:51], v[50:51], v[168:169]
	v_fma_f64 v[164:165], v[4:5], v[34:35], v[164:165]
	v_fma_f64 v[226:227], v[2:3], v[34:35], -v[36:37]
	scratch_load_b128 v[34:37], off, off offset:688
	ds_load_b128 v[2:5], v1 offset:1424
	s_waitcnt vmcnt(9) lgkmcnt(1)
	v_mul_f64 v[168:169], v[220:221], v[159:160]
	v_mul_f64 v[159:160], v[222:223], v[159:160]
	s_waitcnt vmcnt(8) lgkmcnt(0)
	v_mul_f64 v[228:229], v[2:3], v[40:41]
	v_mul_f64 v[40:41], v[4:5], v[40:41]
	v_add_f64 v[48:49], v[48:49], v[171:172]
	v_add_f64 v[50:51], v[50:51], v[173:174]
	ds_load_b128 v[171:174], v1 offset:1440
	v_fma_f64 v[168:169], v[222:223], v[157:158], v[168:169]
	v_fma_f64 v[220:221], v[220:221], v[157:158], -v[159:160]
	scratch_load_b128 v[157:160], off, off offset:704
	v_add_f64 v[48:49], v[48:49], v[226:227]
	v_add_f64 v[50:51], v[50:51], v[164:165]
	v_fma_f64 v[226:227], v[4:5], v[38:39], v[228:229]
	v_fma_f64 v[228:229], v[2:3], v[38:39], -v[40:41]
	scratch_load_b128 v[38:41], off, off offset:720
	ds_load_b128 v[2:5], v1 offset:1456
	s_waitcnt vmcnt(9) lgkmcnt(1)
	v_mul_f64 v[164:165], v[171:172], v[8:9]
	v_mul_f64 v[8:9], v[173:174], v[8:9]
	v_add_f64 v[48:49], v[48:49], v[220:221]
	v_add_f64 v[50:51], v[50:51], v[168:169]
	s_waitcnt vmcnt(8) lgkmcnt(0)
	v_mul_f64 v[168:169], v[2:3], v[12:13]
	v_mul_f64 v[12:13], v[4:5], v[12:13]
	ds_load_b128 v[220:223], v1 offset:1472
	v_fma_f64 v[164:165], v[173:174], v[6:7], v[164:165]
	v_fma_f64 v[171:172], v[171:172], v[6:7], -v[8:9]
	scratch_load_b128 v[6:9], off, off offset:736
	v_add_f64 v[48:49], v[48:49], v[228:229]
	v_add_f64 v[50:51], v[50:51], v[226:227]
	;; [unrolled: 54-line block ×3, first 2 shown]
	v_fma_f64 v[168:169], v[4:5], v[34:35], v[168:169]
	v_fma_f64 v[228:229], v[2:3], v[34:35], -v[36:37]
	scratch_load_b128 v[34:37], off, off offset:848
	ds_load_b128 v[2:5], v1 offset:1584
	s_waitcnt vmcnt(9) lgkmcnt(1)
	v_mul_f64 v[226:227], v[171:172], v[159:160]
	v_mul_f64 v[159:160], v[173:174], v[159:160]
	v_add_f64 v[48:49], v[48:49], v[220:221]
	v_add_f64 v[50:51], v[50:51], v[164:165]
	s_waitcnt vmcnt(8) lgkmcnt(0)
	v_mul_f64 v[164:165], v[2:3], v[40:41]
	v_mul_f64 v[40:41], v[4:5], v[40:41]
	ds_load_b128 v[220:223], v1 offset:1600
	v_fma_f64 v[173:174], v[173:174], v[157:158], v[226:227]
	v_fma_f64 v[157:158], v[171:172], v[157:158], -v[159:160]
	s_waitcnt vmcnt(7) lgkmcnt(0)
	v_mul_f64 v[159:160], v[220:221], v[8:9]
	v_mul_f64 v[8:9], v[222:223], v[8:9]
	v_add_f64 v[48:49], v[48:49], v[228:229]
	v_add_f64 v[50:51], v[50:51], v[168:169]
	v_fma_f64 v[164:165], v[4:5], v[38:39], v[164:165]
	v_fma_f64 v[168:169], v[2:3], v[38:39], -v[40:41]
	ds_load_b128 v[2:5], v1 offset:1616
	ds_load_b128 v[38:41], v1 offset:1632
	v_fma_f64 v[159:160], v[222:223], v[6:7], v[159:160]
	v_fma_f64 v[6:7], v[220:221], v[6:7], -v[8:9]
	v_add_f64 v[48:49], v[48:49], v[157:158]
	v_add_f64 v[50:51], v[50:51], v[173:174]
	s_waitcnt vmcnt(6) lgkmcnt(1)
	v_mul_f64 v[157:158], v[2:3], v[12:13]
	v_mul_f64 v[12:13], v[4:5], v[12:13]
	s_delay_alu instid0(VALU_DEP_4) | instskip(NEXT) | instid1(VALU_DEP_4)
	v_add_f64 v[8:9], v[48:49], v[168:169]
	v_add_f64 v[48:49], v[50:51], v[164:165]
	s_waitcnt vmcnt(5) lgkmcnt(0)
	v_mul_f64 v[50:51], v[38:39], v[16:17]
	v_mul_f64 v[16:17], v[40:41], v[16:17]
	v_fma_f64 v[157:158], v[4:5], v[10:11], v[157:158]
	v_fma_f64 v[10:11], v[2:3], v[10:11], -v[12:13]
	v_add_f64 v[12:13], v[8:9], v[6:7]
	v_add_f64 v[48:49], v[48:49], v[159:160]
	ds_load_b128 v[2:5], v1 offset:1648
	ds_load_b128 v[6:9], v1 offset:1664
	v_fma_f64 v[40:41], v[40:41], v[14:15], v[50:51]
	v_fma_f64 v[14:15], v[38:39], v[14:15], -v[16:17]
	s_waitcnt vmcnt(4) lgkmcnt(1)
	v_mul_f64 v[159:160], v[2:3], v[20:21]
	v_mul_f64 v[20:21], v[4:5], v[20:21]
	s_waitcnt vmcnt(3) lgkmcnt(0)
	v_mul_f64 v[16:17], v[6:7], v[24:25]
	v_mul_f64 v[24:25], v[8:9], v[24:25]
	v_add_f64 v[10:11], v[12:13], v[10:11]
	v_add_f64 v[12:13], v[48:49], v[157:158]
	v_fma_f64 v[38:39], v[4:5], v[18:19], v[159:160]
	v_fma_f64 v[18:19], v[2:3], v[18:19], -v[20:21]
	v_fma_f64 v[8:9], v[8:9], v[22:23], v[16:17]
	v_fma_f64 v[6:7], v[6:7], v[22:23], -v[24:25]
	v_add_f64 v[14:15], v[10:11], v[14:15]
	v_add_f64 v[20:21], v[12:13], v[40:41]
	ds_load_b128 v[2:5], v1 offset:1680
	ds_load_b128 v[10:13], v1 offset:1696
	s_waitcnt vmcnt(2) lgkmcnt(1)
	v_mul_f64 v[40:41], v[2:3], v[28:29]
	v_mul_f64 v[28:29], v[4:5], v[28:29]
	v_add_f64 v[14:15], v[14:15], v[18:19]
	v_add_f64 v[16:17], v[20:21], v[38:39]
	s_waitcnt vmcnt(1) lgkmcnt(0)
	v_mul_f64 v[18:19], v[10:11], v[32:33]
	v_mul_f64 v[20:21], v[12:13], v[32:33]
	v_fma_f64 v[22:23], v[4:5], v[26:27], v[40:41]
	v_fma_f64 v[24:25], v[2:3], v[26:27], -v[28:29]
	ds_load_b128 v[2:5], v1 offset:1712
	v_add_f64 v[6:7], v[14:15], v[6:7]
	v_add_f64 v[8:9], v[16:17], v[8:9]
	v_fma_f64 v[12:13], v[12:13], v[30:31], v[18:19]
	v_fma_f64 v[10:11], v[10:11], v[30:31], -v[20:21]
	s_waitcnt vmcnt(0) lgkmcnt(0)
	v_mul_f64 v[14:15], v[2:3], v[36:37]
	v_mul_f64 v[16:17], v[4:5], v[36:37]
	v_add_f64 v[6:7], v[6:7], v[24:25]
	v_add_f64 v[8:9], v[8:9], v[22:23]
	s_delay_alu instid0(VALU_DEP_4) | instskip(NEXT) | instid1(VALU_DEP_4)
	v_fma_f64 v[4:5], v[4:5], v[34:35], v[14:15]
	v_fma_f64 v[2:3], v[2:3], v[34:35], -v[16:17]
	s_delay_alu instid0(VALU_DEP_4) | instskip(NEXT) | instid1(VALU_DEP_4)
	v_add_f64 v[6:7], v[6:7], v[10:11]
	v_add_f64 v[8:9], v[8:9], v[12:13]
	s_delay_alu instid0(VALU_DEP_2) | instskip(NEXT) | instid1(VALU_DEP_2)
	v_add_f64 v[2:3], v[6:7], v[2:3]
	v_add_f64 v[4:5], v[8:9], v[4:5]
	s_delay_alu instid0(VALU_DEP_2) | instskip(NEXT) | instid1(VALU_DEP_2)
	v_add_f64 v[2:3], v[42:43], -v[2:3]
	v_add_f64 v[4:5], v[44:45], -v[4:5]
	scratch_store_b128 off, v[2:5], off offset:224
	v_cmpx_lt_u32_e32 13, v154
	s_cbranch_execz .LBB53_311
; %bb.310:
	scratch_load_b128 v[5:8], v195, off
	v_mov_b32_e32 v2, v1
	v_mov_b32_e32 v3, v1
	;; [unrolled: 1-line block ×3, first 2 shown]
	scratch_store_b128 off, v[1:4], off offset:208
	s_waitcnt vmcnt(0)
	ds_store_b128 v208, v[5:8]
.LBB53_311:
	s_or_b32 exec_lo, exec_lo, s2
	s_waitcnt lgkmcnt(0)
	s_waitcnt_vscnt null, 0x0
	s_barrier
	buffer_gl0_inv
	s_clause 0x8
	scratch_load_b128 v[2:5], off, off offset:224
	scratch_load_b128 v[6:9], off, off offset:240
	;; [unrolled: 1-line block ×9, first 2 shown]
	ds_load_b128 v[42:45], v1 offset:1088
	ds_load_b128 v[38:41], v1 offset:1104
	s_clause 0x1
	scratch_load_b128 v[157:160], off, off offset:208
	scratch_load_b128 v[171:174], off, off offset:368
	s_mov_b32 s2, exec_lo
	ds_load_b128 v[220:223], v1 offset:1136
	s_waitcnt vmcnt(10) lgkmcnt(2)
	v_mul_f64 v[48:49], v[44:45], v[4:5]
	v_mul_f64 v[4:5], v[42:43], v[4:5]
	s_waitcnt vmcnt(9) lgkmcnt(1)
	v_mul_f64 v[50:51], v[38:39], v[8:9]
	v_mul_f64 v[8:9], v[40:41], v[8:9]
	s_delay_alu instid0(VALU_DEP_4) | instskip(NEXT) | instid1(VALU_DEP_4)
	v_fma_f64 v[48:49], v[42:43], v[2:3], -v[48:49]
	v_fma_f64 v[164:165], v[44:45], v[2:3], v[4:5]
	ds_load_b128 v[2:5], v1 offset:1120
	scratch_load_b128 v[42:45], off, off offset:384
	v_fma_f64 v[40:41], v[40:41], v[6:7], v[50:51]
	v_fma_f64 v[38:39], v[38:39], v[6:7], -v[8:9]
	scratch_load_b128 v[6:9], off, off offset:400
	s_waitcnt vmcnt(10) lgkmcnt(0)
	v_mul_f64 v[168:169], v[2:3], v[12:13]
	v_mul_f64 v[12:13], v[4:5], v[12:13]
	v_add_f64 v[48:49], v[48:49], 0
	v_add_f64 v[50:51], v[164:165], 0
	s_waitcnt vmcnt(9)
	v_mul_f64 v[164:165], v[220:221], v[16:17]
	v_mul_f64 v[16:17], v[222:223], v[16:17]
	v_fma_f64 v[168:169], v[4:5], v[10:11], v[168:169]
	v_fma_f64 v[226:227], v[2:3], v[10:11], -v[12:13]
	ds_load_b128 v[2:5], v1 offset:1152
	scratch_load_b128 v[10:13], off, off offset:416
	v_add_f64 v[48:49], v[48:49], v[38:39]
	v_add_f64 v[50:51], v[50:51], v[40:41]
	ds_load_b128 v[38:41], v1 offset:1168
	v_fma_f64 v[164:165], v[222:223], v[14:15], v[164:165]
	v_fma_f64 v[220:221], v[220:221], v[14:15], -v[16:17]
	scratch_load_b128 v[14:17], off, off offset:432
	s_waitcnt vmcnt(10) lgkmcnt(1)
	v_mul_f64 v[228:229], v[2:3], v[20:21]
	v_mul_f64 v[20:21], v[4:5], v[20:21]
	v_add_f64 v[48:49], v[48:49], v[226:227]
	v_add_f64 v[50:51], v[50:51], v[168:169]
	s_waitcnt vmcnt(9) lgkmcnt(0)
	v_mul_f64 v[168:169], v[38:39], v[24:25]
	v_mul_f64 v[24:25], v[40:41], v[24:25]
	v_fma_f64 v[226:227], v[4:5], v[18:19], v[228:229]
	v_fma_f64 v[228:229], v[2:3], v[18:19], -v[20:21]
	ds_load_b128 v[2:5], v1 offset:1184
	scratch_load_b128 v[18:21], off, off offset:448
	v_add_f64 v[48:49], v[48:49], v[220:221]
	v_add_f64 v[50:51], v[50:51], v[164:165]
	ds_load_b128 v[220:223], v1 offset:1200
	s_waitcnt vmcnt(9) lgkmcnt(1)
	v_mul_f64 v[164:165], v[2:3], v[28:29]
	v_mul_f64 v[28:29], v[4:5], v[28:29]
	v_fma_f64 v[40:41], v[40:41], v[22:23], v[168:169]
	v_fma_f64 v[38:39], v[38:39], v[22:23], -v[24:25]
	scratch_load_b128 v[22:25], off, off offset:464
	s_waitcnt vmcnt(9) lgkmcnt(0)
	v_mul_f64 v[168:169], v[220:221], v[32:33]
	v_mul_f64 v[32:33], v[222:223], v[32:33]
	v_add_f64 v[48:49], v[48:49], v[228:229]
	v_add_f64 v[50:51], v[50:51], v[226:227]
	v_fma_f64 v[164:165], v[4:5], v[26:27], v[164:165]
	v_fma_f64 v[226:227], v[2:3], v[26:27], -v[28:29]
	ds_load_b128 v[2:5], v1 offset:1216
	scratch_load_b128 v[26:29], off, off offset:480
	v_fma_f64 v[168:169], v[222:223], v[30:31], v[168:169]
	v_fma_f64 v[220:221], v[220:221], v[30:31], -v[32:33]
	scratch_load_b128 v[30:33], off, off offset:496
	v_add_f64 v[48:49], v[48:49], v[38:39]
	v_add_f64 v[50:51], v[50:51], v[40:41]
	ds_load_b128 v[38:41], v1 offset:1232
	s_waitcnt vmcnt(10) lgkmcnt(1)
	v_mul_f64 v[228:229], v[2:3], v[36:37]
	v_mul_f64 v[36:37], v[4:5], v[36:37]
	v_add_f64 v[48:49], v[48:49], v[226:227]
	v_add_f64 v[50:51], v[50:51], v[164:165]
	s_waitcnt vmcnt(8) lgkmcnt(0)
	v_mul_f64 v[164:165], v[38:39], v[173:174]
	v_mul_f64 v[173:174], v[40:41], v[173:174]
	v_fma_f64 v[226:227], v[4:5], v[34:35], v[228:229]
	v_fma_f64 v[228:229], v[2:3], v[34:35], -v[36:37]
	ds_load_b128 v[2:5], v1 offset:1248
	scratch_load_b128 v[34:37], off, off offset:512
	v_add_f64 v[48:49], v[48:49], v[220:221]
	v_add_f64 v[50:51], v[50:51], v[168:169]
	ds_load_b128 v[220:223], v1 offset:1264
	v_fma_f64 v[164:165], v[40:41], v[171:172], v[164:165]
	v_fma_f64 v[171:172], v[38:39], v[171:172], -v[173:174]
	scratch_load_b128 v[38:41], off, off offset:528
	s_waitcnt vmcnt(9) lgkmcnt(1)
	v_mul_f64 v[168:169], v[2:3], v[44:45]
	v_mul_f64 v[44:45], v[4:5], v[44:45]
	v_add_f64 v[48:49], v[48:49], v[228:229]
	v_add_f64 v[50:51], v[50:51], v[226:227]
	s_waitcnt vmcnt(8) lgkmcnt(0)
	v_mul_f64 v[226:227], v[220:221], v[8:9]
	v_mul_f64 v[8:9], v[222:223], v[8:9]
	v_fma_f64 v[168:169], v[4:5], v[42:43], v[168:169]
	v_fma_f64 v[228:229], v[2:3], v[42:43], -v[44:45]
	ds_load_b128 v[2:5], v1 offset:1280
	scratch_load_b128 v[42:45], off, off offset:544
	v_add_f64 v[48:49], v[48:49], v[171:172]
	v_add_f64 v[50:51], v[50:51], v[164:165]
	ds_load_b128 v[171:174], v1 offset:1296
	s_waitcnt vmcnt(8) lgkmcnt(1)
	v_mul_f64 v[164:165], v[2:3], v[12:13]
	v_mul_f64 v[12:13], v[4:5], v[12:13]
	v_fma_f64 v[222:223], v[222:223], v[6:7], v[226:227]
	v_fma_f64 v[220:221], v[220:221], v[6:7], -v[8:9]
	scratch_load_b128 v[6:9], off, off offset:560
	v_add_f64 v[48:49], v[48:49], v[228:229]
	v_add_f64 v[50:51], v[50:51], v[168:169]
	s_waitcnt vmcnt(8) lgkmcnt(0)
	v_mul_f64 v[168:169], v[171:172], v[16:17]
	v_mul_f64 v[16:17], v[173:174], v[16:17]
	v_fma_f64 v[164:165], v[4:5], v[10:11], v[164:165]
	v_fma_f64 v[226:227], v[2:3], v[10:11], -v[12:13]
	ds_load_b128 v[2:5], v1 offset:1312
	scratch_load_b128 v[10:13], off, off offset:576
	v_add_f64 v[48:49], v[48:49], v[220:221]
	v_add_f64 v[50:51], v[50:51], v[222:223]
	ds_load_b128 v[220:223], v1 offset:1328
	s_waitcnt vmcnt(8) lgkmcnt(1)
	v_mul_f64 v[228:229], v[2:3], v[20:21]
	v_mul_f64 v[20:21], v[4:5], v[20:21]
	v_fma_f64 v[168:169], v[173:174], v[14:15], v[168:169]
	v_fma_f64 v[171:172], v[171:172], v[14:15], -v[16:17]
	scratch_load_b128 v[14:17], off, off offset:592
	;; [unrolled: 18-line block ×10, first 2 shown]
	v_add_f64 v[48:49], v[48:49], v[228:229]
	v_add_f64 v[50:51], v[50:51], v[168:169]
	s_waitcnt vmcnt(8) lgkmcnt(0)
	v_mul_f64 v[168:169], v[220:221], v[8:9]
	v_mul_f64 v[8:9], v[222:223], v[8:9]
	v_fma_f64 v[164:165], v[4:5], v[42:43], v[164:165]
	v_fma_f64 v[226:227], v[2:3], v[42:43], -v[44:45]
	ds_load_b128 v[2:5], v1 offset:1600
	ds_load_b128 v[42:45], v1 offset:1616
	v_add_f64 v[48:49], v[48:49], v[171:172]
	v_add_f64 v[50:51], v[50:51], v[173:174]
	s_waitcnt vmcnt(7) lgkmcnt(1)
	v_mul_f64 v[171:172], v[2:3], v[12:13]
	v_mul_f64 v[12:13], v[4:5], v[12:13]
	v_fma_f64 v[168:169], v[222:223], v[6:7], v[168:169]
	v_fma_f64 v[6:7], v[220:221], v[6:7], -v[8:9]
	v_add_f64 v[8:9], v[48:49], v[226:227]
	v_add_f64 v[48:49], v[50:51], v[164:165]
	s_waitcnt vmcnt(6) lgkmcnt(0)
	v_mul_f64 v[50:51], v[42:43], v[16:17]
	v_mul_f64 v[16:17], v[44:45], v[16:17]
	v_fma_f64 v[164:165], v[4:5], v[10:11], v[171:172]
	v_fma_f64 v[10:11], v[2:3], v[10:11], -v[12:13]
	v_add_f64 v[12:13], v[8:9], v[6:7]
	v_add_f64 v[48:49], v[48:49], v[168:169]
	ds_load_b128 v[2:5], v1 offset:1632
	ds_load_b128 v[6:9], v1 offset:1648
	v_fma_f64 v[44:45], v[44:45], v[14:15], v[50:51]
	v_fma_f64 v[14:15], v[42:43], v[14:15], -v[16:17]
	s_waitcnt vmcnt(5) lgkmcnt(1)
	v_mul_f64 v[168:169], v[2:3], v[20:21]
	v_mul_f64 v[20:21], v[4:5], v[20:21]
	s_waitcnt vmcnt(4) lgkmcnt(0)
	v_mul_f64 v[16:17], v[6:7], v[24:25]
	v_mul_f64 v[24:25], v[8:9], v[24:25]
	v_add_f64 v[10:11], v[12:13], v[10:11]
	v_add_f64 v[12:13], v[48:49], v[164:165]
	v_fma_f64 v[42:43], v[4:5], v[18:19], v[168:169]
	v_fma_f64 v[18:19], v[2:3], v[18:19], -v[20:21]
	v_fma_f64 v[8:9], v[8:9], v[22:23], v[16:17]
	v_fma_f64 v[6:7], v[6:7], v[22:23], -v[24:25]
	v_add_f64 v[14:15], v[10:11], v[14:15]
	v_add_f64 v[20:21], v[12:13], v[44:45]
	ds_load_b128 v[2:5], v1 offset:1664
	ds_load_b128 v[10:13], v1 offset:1680
	s_waitcnt vmcnt(3) lgkmcnt(1)
	v_mul_f64 v[44:45], v[2:3], v[28:29]
	v_mul_f64 v[28:29], v[4:5], v[28:29]
	v_add_f64 v[14:15], v[14:15], v[18:19]
	v_add_f64 v[16:17], v[20:21], v[42:43]
	s_waitcnt vmcnt(2) lgkmcnt(0)
	v_mul_f64 v[18:19], v[10:11], v[32:33]
	v_mul_f64 v[20:21], v[12:13], v[32:33]
	v_fma_f64 v[22:23], v[4:5], v[26:27], v[44:45]
	v_fma_f64 v[24:25], v[2:3], v[26:27], -v[28:29]
	v_add_f64 v[14:15], v[14:15], v[6:7]
	v_add_f64 v[16:17], v[16:17], v[8:9]
	ds_load_b128 v[2:5], v1 offset:1696
	ds_load_b128 v[6:9], v1 offset:1712
	v_fma_f64 v[12:13], v[12:13], v[30:31], v[18:19]
	v_fma_f64 v[10:11], v[10:11], v[30:31], -v[20:21]
	s_waitcnt vmcnt(1) lgkmcnt(1)
	v_mul_f64 v[26:27], v[2:3], v[36:37]
	v_mul_f64 v[28:29], v[4:5], v[36:37]
	s_waitcnt vmcnt(0) lgkmcnt(0)
	v_mul_f64 v[18:19], v[6:7], v[40:41]
	v_mul_f64 v[20:21], v[8:9], v[40:41]
	v_add_f64 v[14:15], v[14:15], v[24:25]
	v_add_f64 v[16:17], v[16:17], v[22:23]
	v_fma_f64 v[4:5], v[4:5], v[34:35], v[26:27]
	v_fma_f64 v[1:2], v[2:3], v[34:35], -v[28:29]
	v_fma_f64 v[8:9], v[8:9], v[38:39], v[18:19]
	v_fma_f64 v[6:7], v[6:7], v[38:39], -v[20:21]
	v_add_f64 v[10:11], v[14:15], v[10:11]
	v_add_f64 v[12:13], v[16:17], v[12:13]
	s_delay_alu instid0(VALU_DEP_2) | instskip(NEXT) | instid1(VALU_DEP_2)
	v_add_f64 v[1:2], v[10:11], v[1:2]
	v_add_f64 v[3:4], v[12:13], v[4:5]
	s_delay_alu instid0(VALU_DEP_2) | instskip(NEXT) | instid1(VALU_DEP_2)
	;; [unrolled: 3-line block ×3, first 2 shown]
	v_add_f64 v[1:2], v[157:158], -v[1:2]
	v_add_f64 v[3:4], v[159:160], -v[3:4]
	scratch_store_b128 off, v[1:4], off offset:208
	v_cmpx_lt_u32_e32 12, v154
	s_cbranch_execz .LBB53_313
; %bb.312:
	scratch_load_b128 v[1:4], v196, off
	v_mov_b32_e32 v5, 0
	s_delay_alu instid0(VALU_DEP_1)
	v_mov_b32_e32 v6, v5
	v_mov_b32_e32 v7, v5
	;; [unrolled: 1-line block ×3, first 2 shown]
	scratch_store_b128 off, v[5:8], off offset:192
	s_waitcnt vmcnt(0)
	ds_store_b128 v208, v[1:4]
.LBB53_313:
	s_or_b32 exec_lo, exec_lo, s2
	s_waitcnt lgkmcnt(0)
	s_waitcnt_vscnt null, 0x0
	s_barrier
	buffer_gl0_inv
	s_clause 0x7
	scratch_load_b128 v[2:5], off, off offset:208
	scratch_load_b128 v[6:9], off, off offset:224
	;; [unrolled: 1-line block ×8, first 2 shown]
	v_mov_b32_e32 v1, 0
	s_mov_b32 s2, exec_lo
	ds_load_b128 v[38:41], v1 offset:1072
	s_clause 0x1
	scratch_load_b128 v[34:37], off, off offset:336
	scratch_load_b128 v[42:45], off, off offset:192
	ds_load_b128 v[157:160], v1 offset:1088
	scratch_load_b128 v[171:174], off, off offset:352
	ds_load_b128 v[220:223], v1 offset:1120
	s_waitcnt vmcnt(10) lgkmcnt(2)
	v_mul_f64 v[48:49], v[40:41], v[4:5]
	v_mul_f64 v[4:5], v[38:39], v[4:5]
	s_delay_alu instid0(VALU_DEP_2) | instskip(NEXT) | instid1(VALU_DEP_2)
	v_fma_f64 v[48:49], v[38:39], v[2:3], -v[48:49]
	v_fma_f64 v[164:165], v[40:41], v[2:3], v[4:5]
	ds_load_b128 v[2:5], v1 offset:1104
	s_waitcnt vmcnt(9) lgkmcnt(2)
	v_mul_f64 v[50:51], v[157:158], v[8:9]
	v_mul_f64 v[8:9], v[159:160], v[8:9]
	scratch_load_b128 v[38:41], off, off offset:368
	s_waitcnt vmcnt(9) lgkmcnt(0)
	v_mul_f64 v[168:169], v[2:3], v[12:13]
	v_mul_f64 v[12:13], v[4:5], v[12:13]
	v_add_f64 v[48:49], v[48:49], 0
	v_fma_f64 v[50:51], v[159:160], v[6:7], v[50:51]
	v_fma_f64 v[157:158], v[157:158], v[6:7], -v[8:9]
	v_add_f64 v[159:160], v[164:165], 0
	scratch_load_b128 v[6:9], off, off offset:384
	v_fma_f64 v[168:169], v[4:5], v[10:11], v[168:169]
	v_fma_f64 v[226:227], v[2:3], v[10:11], -v[12:13]
	scratch_load_b128 v[10:13], off, off offset:400
	ds_load_b128 v[2:5], v1 offset:1136
	s_waitcnt vmcnt(10)
	v_mul_f64 v[164:165], v[220:221], v[16:17]
	v_mul_f64 v[16:17], v[222:223], v[16:17]
	v_add_f64 v[48:49], v[48:49], v[157:158]
	v_add_f64 v[50:51], v[159:160], v[50:51]
	ds_load_b128 v[157:160], v1 offset:1152
	s_waitcnt vmcnt(9) lgkmcnt(1)
	v_mul_f64 v[228:229], v[2:3], v[20:21]
	v_mul_f64 v[20:21], v[4:5], v[20:21]
	v_fma_f64 v[164:165], v[222:223], v[14:15], v[164:165]
	v_fma_f64 v[220:221], v[220:221], v[14:15], -v[16:17]
	scratch_load_b128 v[14:17], off, off offset:416
	v_add_f64 v[48:49], v[48:49], v[226:227]
	v_add_f64 v[50:51], v[50:51], v[168:169]
	v_fma_f64 v[226:227], v[4:5], v[18:19], v[228:229]
	v_fma_f64 v[228:229], v[2:3], v[18:19], -v[20:21]
	scratch_load_b128 v[18:21], off, off offset:432
	ds_load_b128 v[2:5], v1 offset:1168
	s_waitcnt vmcnt(10) lgkmcnt(1)
	v_mul_f64 v[168:169], v[157:158], v[24:25]
	v_mul_f64 v[24:25], v[159:160], v[24:25]
	v_add_f64 v[48:49], v[48:49], v[220:221]
	v_add_f64 v[50:51], v[50:51], v[164:165]
	s_waitcnt vmcnt(9) lgkmcnt(0)
	v_mul_f64 v[164:165], v[2:3], v[28:29]
	v_mul_f64 v[28:29], v[4:5], v[28:29]
	ds_load_b128 v[220:223], v1 offset:1184
	v_fma_f64 v[159:160], v[159:160], v[22:23], v[168:169]
	v_fma_f64 v[157:158], v[157:158], v[22:23], -v[24:25]
	scratch_load_b128 v[22:25], off, off offset:448
	v_add_f64 v[48:49], v[48:49], v[228:229]
	v_add_f64 v[50:51], v[50:51], v[226:227]
	v_fma_f64 v[164:165], v[4:5], v[26:27], v[164:165]
	v_fma_f64 v[226:227], v[2:3], v[26:27], -v[28:29]
	scratch_load_b128 v[26:29], off, off offset:464
	ds_load_b128 v[2:5], v1 offset:1200
	s_waitcnt vmcnt(10) lgkmcnt(1)
	v_mul_f64 v[168:169], v[220:221], v[32:33]
	v_mul_f64 v[32:33], v[222:223], v[32:33]
	s_waitcnt vmcnt(9) lgkmcnt(0)
	v_mul_f64 v[228:229], v[2:3], v[36:37]
	v_mul_f64 v[36:37], v[4:5], v[36:37]
	v_add_f64 v[48:49], v[48:49], v[157:158]
	v_add_f64 v[50:51], v[50:51], v[159:160]
	ds_load_b128 v[157:160], v1 offset:1216
	v_fma_f64 v[168:169], v[222:223], v[30:31], v[168:169]
	v_fma_f64 v[220:221], v[220:221], v[30:31], -v[32:33]
	scratch_load_b128 v[30:33], off, off offset:480
	v_add_f64 v[48:49], v[48:49], v[226:227]
	v_add_f64 v[50:51], v[50:51], v[164:165]
	v_fma_f64 v[226:227], v[4:5], v[34:35], v[228:229]
	v_fma_f64 v[228:229], v[2:3], v[34:35], -v[36:37]
	scratch_load_b128 v[34:37], off, off offset:496
	ds_load_b128 v[2:5], v1 offset:1232
	s_waitcnt vmcnt(9) lgkmcnt(1)
	v_mul_f64 v[164:165], v[157:158], v[173:174]
	v_mul_f64 v[173:174], v[159:160], v[173:174]
	v_add_f64 v[48:49], v[48:49], v[220:221]
	v_add_f64 v[50:51], v[50:51], v[168:169]
	ds_load_b128 v[220:223], v1 offset:1248
	v_fma_f64 v[164:165], v[159:160], v[171:172], v[164:165]
	v_fma_f64 v[171:172], v[157:158], v[171:172], -v[173:174]
	scratch_load_b128 v[157:160], off, off offset:512
	s_waitcnt vmcnt(9) lgkmcnt(1)
	v_mul_f64 v[168:169], v[2:3], v[40:41]
	v_mul_f64 v[40:41], v[4:5], v[40:41]
	v_add_f64 v[48:49], v[48:49], v[228:229]
	v_add_f64 v[50:51], v[50:51], v[226:227]
	s_delay_alu instid0(VALU_DEP_4) | instskip(NEXT) | instid1(VALU_DEP_4)
	v_fma_f64 v[168:169], v[4:5], v[38:39], v[168:169]
	v_fma_f64 v[228:229], v[2:3], v[38:39], -v[40:41]
	scratch_load_b128 v[38:41], off, off offset:528
	ds_load_b128 v[2:5], v1 offset:1264
	s_waitcnt vmcnt(9) lgkmcnt(1)
	v_mul_f64 v[226:227], v[220:221], v[8:9]
	v_mul_f64 v[8:9], v[222:223], v[8:9]
	v_add_f64 v[48:49], v[48:49], v[171:172]
	v_add_f64 v[50:51], v[50:51], v[164:165]
	s_waitcnt vmcnt(8) lgkmcnt(0)
	v_mul_f64 v[164:165], v[2:3], v[12:13]
	v_mul_f64 v[12:13], v[4:5], v[12:13]
	ds_load_b128 v[171:174], v1 offset:1280
	v_fma_f64 v[222:223], v[222:223], v[6:7], v[226:227]
	v_fma_f64 v[220:221], v[220:221], v[6:7], -v[8:9]
	scratch_load_b128 v[6:9], off, off offset:544
	v_add_f64 v[48:49], v[48:49], v[228:229]
	v_add_f64 v[50:51], v[50:51], v[168:169]
	v_fma_f64 v[164:165], v[4:5], v[10:11], v[164:165]
	v_fma_f64 v[226:227], v[2:3], v[10:11], -v[12:13]
	scratch_load_b128 v[10:13], off, off offset:560
	ds_load_b128 v[2:5], v1 offset:1296
	s_waitcnt vmcnt(9) lgkmcnt(1)
	v_mul_f64 v[168:169], v[171:172], v[16:17]
	v_mul_f64 v[16:17], v[173:174], v[16:17]
	s_waitcnt vmcnt(8) lgkmcnt(0)
	v_mul_f64 v[228:229], v[2:3], v[20:21]
	v_mul_f64 v[20:21], v[4:5], v[20:21]
	v_add_f64 v[48:49], v[48:49], v[220:221]
	v_add_f64 v[50:51], v[50:51], v[222:223]
	ds_load_b128 v[220:223], v1 offset:1312
	v_fma_f64 v[168:169], v[173:174], v[14:15], v[168:169]
	v_fma_f64 v[171:172], v[171:172], v[14:15], -v[16:17]
	scratch_load_b128 v[14:17], off, off offset:576
	v_add_f64 v[48:49], v[48:49], v[226:227]
	v_add_f64 v[50:51], v[50:51], v[164:165]
	v_fma_f64 v[226:227], v[4:5], v[18:19], v[228:229]
	v_fma_f64 v[228:229], v[2:3], v[18:19], -v[20:21]
	scratch_load_b128 v[18:21], off, off offset:592
	ds_load_b128 v[2:5], v1 offset:1328
	s_waitcnt vmcnt(9) lgkmcnt(1)
	v_mul_f64 v[164:165], v[220:221], v[24:25]
	v_mul_f64 v[24:25], v[222:223], v[24:25]
	v_add_f64 v[48:49], v[48:49], v[171:172]
	v_add_f64 v[50:51], v[50:51], v[168:169]
	s_waitcnt vmcnt(8) lgkmcnt(0)
	v_mul_f64 v[168:169], v[2:3], v[28:29]
	v_mul_f64 v[28:29], v[4:5], v[28:29]
	ds_load_b128 v[171:174], v1 offset:1344
	v_fma_f64 v[164:165], v[222:223], v[22:23], v[164:165]
	v_fma_f64 v[220:221], v[220:221], v[22:23], -v[24:25]
	scratch_load_b128 v[22:25], off, off offset:608
	v_add_f64 v[48:49], v[48:49], v[228:229]
	v_add_f64 v[50:51], v[50:51], v[226:227]
	v_fma_f64 v[168:169], v[4:5], v[26:27], v[168:169]
	v_fma_f64 v[228:229], v[2:3], v[26:27], -v[28:29]
	scratch_load_b128 v[26:29], off, off offset:624
	ds_load_b128 v[2:5], v1 offset:1360
	s_waitcnt vmcnt(9) lgkmcnt(1)
	v_mul_f64 v[226:227], v[171:172], v[32:33]
	v_mul_f64 v[32:33], v[173:174], v[32:33]
	v_add_f64 v[48:49], v[48:49], v[220:221]
	v_add_f64 v[50:51], v[50:51], v[164:165]
	s_waitcnt vmcnt(8) lgkmcnt(0)
	v_mul_f64 v[164:165], v[2:3], v[36:37]
	v_mul_f64 v[36:37], v[4:5], v[36:37]
	ds_load_b128 v[220:223], v1 offset:1376
	v_fma_f64 v[173:174], v[173:174], v[30:31], v[226:227]
	v_fma_f64 v[171:172], v[171:172], v[30:31], -v[32:33]
	scratch_load_b128 v[30:33], off, off offset:640
	v_add_f64 v[48:49], v[48:49], v[228:229]
	v_add_f64 v[50:51], v[50:51], v[168:169]
	v_fma_f64 v[164:165], v[4:5], v[34:35], v[164:165]
	v_fma_f64 v[226:227], v[2:3], v[34:35], -v[36:37]
	scratch_load_b128 v[34:37], off, off offset:656
	ds_load_b128 v[2:5], v1 offset:1392
	s_waitcnt vmcnt(9) lgkmcnt(1)
	v_mul_f64 v[168:169], v[220:221], v[159:160]
	v_mul_f64 v[159:160], v[222:223], v[159:160]
	s_waitcnt vmcnt(8) lgkmcnt(0)
	v_mul_f64 v[228:229], v[2:3], v[40:41]
	v_mul_f64 v[40:41], v[4:5], v[40:41]
	v_add_f64 v[48:49], v[48:49], v[171:172]
	v_add_f64 v[50:51], v[50:51], v[173:174]
	ds_load_b128 v[171:174], v1 offset:1408
	v_fma_f64 v[168:169], v[222:223], v[157:158], v[168:169]
	v_fma_f64 v[220:221], v[220:221], v[157:158], -v[159:160]
	scratch_load_b128 v[157:160], off, off offset:672
	v_add_f64 v[48:49], v[48:49], v[226:227]
	v_add_f64 v[50:51], v[50:51], v[164:165]
	v_fma_f64 v[226:227], v[4:5], v[38:39], v[228:229]
	v_fma_f64 v[228:229], v[2:3], v[38:39], -v[40:41]
	scratch_load_b128 v[38:41], off, off offset:688
	ds_load_b128 v[2:5], v1 offset:1424
	s_waitcnt vmcnt(9) lgkmcnt(1)
	v_mul_f64 v[164:165], v[171:172], v[8:9]
	v_mul_f64 v[8:9], v[173:174], v[8:9]
	v_add_f64 v[48:49], v[48:49], v[220:221]
	v_add_f64 v[50:51], v[50:51], v[168:169]
	s_waitcnt vmcnt(8) lgkmcnt(0)
	v_mul_f64 v[168:169], v[2:3], v[12:13]
	v_mul_f64 v[12:13], v[4:5], v[12:13]
	ds_load_b128 v[220:223], v1 offset:1440
	v_fma_f64 v[164:165], v[173:174], v[6:7], v[164:165]
	v_fma_f64 v[171:172], v[171:172], v[6:7], -v[8:9]
	scratch_load_b128 v[6:9], off, off offset:704
	v_add_f64 v[48:49], v[48:49], v[228:229]
	v_add_f64 v[50:51], v[50:51], v[226:227]
	;; [unrolled: 54-line block ×3, first 2 shown]
	v_fma_f64 v[168:169], v[4:5], v[34:35], v[168:169]
	v_fma_f64 v[228:229], v[2:3], v[34:35], -v[36:37]
	scratch_load_b128 v[34:37], off, off offset:816
	ds_load_b128 v[2:5], v1 offset:1552
	s_waitcnt vmcnt(9) lgkmcnt(1)
	v_mul_f64 v[226:227], v[171:172], v[159:160]
	v_mul_f64 v[159:160], v[173:174], v[159:160]
	v_add_f64 v[48:49], v[48:49], v[220:221]
	v_add_f64 v[50:51], v[50:51], v[164:165]
	s_waitcnt vmcnt(8) lgkmcnt(0)
	v_mul_f64 v[164:165], v[2:3], v[40:41]
	v_mul_f64 v[40:41], v[4:5], v[40:41]
	ds_load_b128 v[220:223], v1 offset:1568
	v_fma_f64 v[173:174], v[173:174], v[157:158], v[226:227]
	v_fma_f64 v[171:172], v[171:172], v[157:158], -v[159:160]
	scratch_load_b128 v[157:160], off, off offset:832
	v_add_f64 v[48:49], v[48:49], v[228:229]
	v_add_f64 v[50:51], v[50:51], v[168:169]
	v_fma_f64 v[164:165], v[4:5], v[38:39], v[164:165]
	v_fma_f64 v[226:227], v[2:3], v[38:39], -v[40:41]
	scratch_load_b128 v[38:41], off, off offset:848
	ds_load_b128 v[2:5], v1 offset:1584
	s_waitcnt vmcnt(9) lgkmcnt(1)
	v_mul_f64 v[168:169], v[220:221], v[8:9]
	v_mul_f64 v[8:9], v[222:223], v[8:9]
	s_waitcnt vmcnt(8) lgkmcnt(0)
	v_mul_f64 v[228:229], v[2:3], v[12:13]
	v_mul_f64 v[12:13], v[4:5], v[12:13]
	v_add_f64 v[48:49], v[48:49], v[171:172]
	v_add_f64 v[50:51], v[50:51], v[173:174]
	ds_load_b128 v[171:174], v1 offset:1600
	v_fma_f64 v[168:169], v[222:223], v[6:7], v[168:169]
	v_fma_f64 v[6:7], v[220:221], v[6:7], -v[8:9]
	v_add_f64 v[8:9], v[48:49], v[226:227]
	v_add_f64 v[48:49], v[50:51], v[164:165]
	s_waitcnt vmcnt(7) lgkmcnt(0)
	v_mul_f64 v[50:51], v[171:172], v[16:17]
	v_mul_f64 v[16:17], v[173:174], v[16:17]
	v_fma_f64 v[164:165], v[4:5], v[10:11], v[228:229]
	v_fma_f64 v[10:11], v[2:3], v[10:11], -v[12:13]
	v_add_f64 v[12:13], v[8:9], v[6:7]
	v_add_f64 v[48:49], v[48:49], v[168:169]
	ds_load_b128 v[2:5], v1 offset:1616
	ds_load_b128 v[6:9], v1 offset:1632
	v_fma_f64 v[50:51], v[173:174], v[14:15], v[50:51]
	v_fma_f64 v[14:15], v[171:172], v[14:15], -v[16:17]
	s_waitcnt vmcnt(6) lgkmcnt(1)
	v_mul_f64 v[168:169], v[2:3], v[20:21]
	v_mul_f64 v[20:21], v[4:5], v[20:21]
	s_waitcnt vmcnt(5) lgkmcnt(0)
	v_mul_f64 v[16:17], v[6:7], v[24:25]
	v_mul_f64 v[24:25], v[8:9], v[24:25]
	v_add_f64 v[10:11], v[12:13], v[10:11]
	v_add_f64 v[12:13], v[48:49], v[164:165]
	v_fma_f64 v[48:49], v[4:5], v[18:19], v[168:169]
	v_fma_f64 v[18:19], v[2:3], v[18:19], -v[20:21]
	v_fma_f64 v[8:9], v[8:9], v[22:23], v[16:17]
	v_fma_f64 v[6:7], v[6:7], v[22:23], -v[24:25]
	v_add_f64 v[14:15], v[10:11], v[14:15]
	v_add_f64 v[20:21], v[12:13], v[50:51]
	ds_load_b128 v[2:5], v1 offset:1648
	ds_load_b128 v[10:13], v1 offset:1664
	s_waitcnt vmcnt(4) lgkmcnt(1)
	v_mul_f64 v[50:51], v[2:3], v[28:29]
	v_mul_f64 v[28:29], v[4:5], v[28:29]
	v_add_f64 v[14:15], v[14:15], v[18:19]
	v_add_f64 v[16:17], v[20:21], v[48:49]
	s_waitcnt vmcnt(3) lgkmcnt(0)
	v_mul_f64 v[18:19], v[10:11], v[32:33]
	v_mul_f64 v[20:21], v[12:13], v[32:33]
	v_fma_f64 v[22:23], v[4:5], v[26:27], v[50:51]
	v_fma_f64 v[24:25], v[2:3], v[26:27], -v[28:29]
	v_add_f64 v[14:15], v[14:15], v[6:7]
	v_add_f64 v[16:17], v[16:17], v[8:9]
	ds_load_b128 v[2:5], v1 offset:1680
	ds_load_b128 v[6:9], v1 offset:1696
	v_fma_f64 v[12:13], v[12:13], v[30:31], v[18:19]
	v_fma_f64 v[10:11], v[10:11], v[30:31], -v[20:21]
	s_waitcnt vmcnt(2) lgkmcnt(1)
	v_mul_f64 v[26:27], v[2:3], v[36:37]
	v_mul_f64 v[28:29], v[4:5], v[36:37]
	s_waitcnt vmcnt(1) lgkmcnt(0)
	v_mul_f64 v[18:19], v[6:7], v[159:160]
	v_mul_f64 v[20:21], v[8:9], v[159:160]
	v_add_f64 v[14:15], v[14:15], v[24:25]
	v_add_f64 v[16:17], v[16:17], v[22:23]
	v_fma_f64 v[22:23], v[4:5], v[34:35], v[26:27]
	v_fma_f64 v[24:25], v[2:3], v[34:35], -v[28:29]
	ds_load_b128 v[2:5], v1 offset:1712
	v_fma_f64 v[8:9], v[8:9], v[157:158], v[18:19]
	v_fma_f64 v[6:7], v[6:7], v[157:158], -v[20:21]
	v_add_f64 v[10:11], v[14:15], v[10:11]
	v_add_f64 v[12:13], v[16:17], v[12:13]
	s_waitcnt vmcnt(0) lgkmcnt(0)
	v_mul_f64 v[14:15], v[2:3], v[40:41]
	v_mul_f64 v[16:17], v[4:5], v[40:41]
	s_delay_alu instid0(VALU_DEP_4) | instskip(NEXT) | instid1(VALU_DEP_4)
	v_add_f64 v[10:11], v[10:11], v[24:25]
	v_add_f64 v[12:13], v[12:13], v[22:23]
	s_delay_alu instid0(VALU_DEP_4) | instskip(NEXT) | instid1(VALU_DEP_4)
	v_fma_f64 v[4:5], v[4:5], v[38:39], v[14:15]
	v_fma_f64 v[2:3], v[2:3], v[38:39], -v[16:17]
	s_delay_alu instid0(VALU_DEP_4) | instskip(NEXT) | instid1(VALU_DEP_4)
	v_add_f64 v[6:7], v[10:11], v[6:7]
	v_add_f64 v[8:9], v[12:13], v[8:9]
	s_delay_alu instid0(VALU_DEP_2) | instskip(NEXT) | instid1(VALU_DEP_2)
	v_add_f64 v[2:3], v[6:7], v[2:3]
	v_add_f64 v[4:5], v[8:9], v[4:5]
	s_delay_alu instid0(VALU_DEP_2) | instskip(NEXT) | instid1(VALU_DEP_2)
	v_add_f64 v[2:3], v[42:43], -v[2:3]
	v_add_f64 v[4:5], v[44:45], -v[4:5]
	scratch_store_b128 off, v[2:5], off offset:192
	v_cmpx_lt_u32_e32 11, v154
	s_cbranch_execz .LBB53_315
; %bb.314:
	scratch_load_b128 v[5:8], v197, off
	v_mov_b32_e32 v2, v1
	v_mov_b32_e32 v3, v1
	;; [unrolled: 1-line block ×3, first 2 shown]
	scratch_store_b128 off, v[1:4], off offset:176
	s_waitcnt vmcnt(0)
	ds_store_b128 v208, v[5:8]
.LBB53_315:
	s_or_b32 exec_lo, exec_lo, s2
	s_waitcnt lgkmcnt(0)
	s_waitcnt_vscnt null, 0x0
	s_barrier
	buffer_gl0_inv
	s_clause 0x8
	scratch_load_b128 v[2:5], off, off offset:192
	scratch_load_b128 v[6:9], off, off offset:208
	;; [unrolled: 1-line block ×9, first 2 shown]
	ds_load_b128 v[42:45], v1 offset:1056
	ds_load_b128 v[38:41], v1 offset:1072
	s_clause 0x1
	scratch_load_b128 v[157:160], off, off offset:176
	scratch_load_b128 v[171:174], off, off offset:336
	s_mov_b32 s2, exec_lo
	ds_load_b128 v[220:223], v1 offset:1104
	s_waitcnt vmcnt(10) lgkmcnt(2)
	v_mul_f64 v[48:49], v[44:45], v[4:5]
	v_mul_f64 v[4:5], v[42:43], v[4:5]
	s_waitcnt vmcnt(9) lgkmcnt(1)
	v_mul_f64 v[50:51], v[38:39], v[8:9]
	v_mul_f64 v[8:9], v[40:41], v[8:9]
	s_delay_alu instid0(VALU_DEP_4) | instskip(NEXT) | instid1(VALU_DEP_4)
	v_fma_f64 v[48:49], v[42:43], v[2:3], -v[48:49]
	v_fma_f64 v[164:165], v[44:45], v[2:3], v[4:5]
	ds_load_b128 v[2:5], v1 offset:1088
	scratch_load_b128 v[42:45], off, off offset:352
	v_fma_f64 v[40:41], v[40:41], v[6:7], v[50:51]
	v_fma_f64 v[38:39], v[38:39], v[6:7], -v[8:9]
	scratch_load_b128 v[6:9], off, off offset:368
	s_waitcnt vmcnt(10) lgkmcnt(0)
	v_mul_f64 v[168:169], v[2:3], v[12:13]
	v_mul_f64 v[12:13], v[4:5], v[12:13]
	v_add_f64 v[48:49], v[48:49], 0
	v_add_f64 v[50:51], v[164:165], 0
	s_waitcnt vmcnt(9)
	v_mul_f64 v[164:165], v[220:221], v[16:17]
	v_mul_f64 v[16:17], v[222:223], v[16:17]
	v_fma_f64 v[168:169], v[4:5], v[10:11], v[168:169]
	v_fma_f64 v[226:227], v[2:3], v[10:11], -v[12:13]
	ds_load_b128 v[2:5], v1 offset:1120
	scratch_load_b128 v[10:13], off, off offset:384
	v_add_f64 v[48:49], v[48:49], v[38:39]
	v_add_f64 v[50:51], v[50:51], v[40:41]
	ds_load_b128 v[38:41], v1 offset:1136
	v_fma_f64 v[164:165], v[222:223], v[14:15], v[164:165]
	v_fma_f64 v[220:221], v[220:221], v[14:15], -v[16:17]
	scratch_load_b128 v[14:17], off, off offset:400
	s_waitcnt vmcnt(10) lgkmcnt(1)
	v_mul_f64 v[228:229], v[2:3], v[20:21]
	v_mul_f64 v[20:21], v[4:5], v[20:21]
	v_add_f64 v[48:49], v[48:49], v[226:227]
	v_add_f64 v[50:51], v[50:51], v[168:169]
	s_waitcnt vmcnt(9) lgkmcnt(0)
	v_mul_f64 v[168:169], v[38:39], v[24:25]
	v_mul_f64 v[24:25], v[40:41], v[24:25]
	v_fma_f64 v[226:227], v[4:5], v[18:19], v[228:229]
	v_fma_f64 v[228:229], v[2:3], v[18:19], -v[20:21]
	ds_load_b128 v[2:5], v1 offset:1152
	scratch_load_b128 v[18:21], off, off offset:416
	v_add_f64 v[48:49], v[48:49], v[220:221]
	v_add_f64 v[50:51], v[50:51], v[164:165]
	ds_load_b128 v[220:223], v1 offset:1168
	s_waitcnt vmcnt(9) lgkmcnt(1)
	v_mul_f64 v[164:165], v[2:3], v[28:29]
	v_mul_f64 v[28:29], v[4:5], v[28:29]
	v_fma_f64 v[40:41], v[40:41], v[22:23], v[168:169]
	v_fma_f64 v[38:39], v[38:39], v[22:23], -v[24:25]
	scratch_load_b128 v[22:25], off, off offset:432
	s_waitcnt vmcnt(9) lgkmcnt(0)
	v_mul_f64 v[168:169], v[220:221], v[32:33]
	v_mul_f64 v[32:33], v[222:223], v[32:33]
	v_add_f64 v[48:49], v[48:49], v[228:229]
	v_add_f64 v[50:51], v[50:51], v[226:227]
	v_fma_f64 v[164:165], v[4:5], v[26:27], v[164:165]
	v_fma_f64 v[226:227], v[2:3], v[26:27], -v[28:29]
	ds_load_b128 v[2:5], v1 offset:1184
	scratch_load_b128 v[26:29], off, off offset:448
	v_fma_f64 v[168:169], v[222:223], v[30:31], v[168:169]
	v_fma_f64 v[220:221], v[220:221], v[30:31], -v[32:33]
	scratch_load_b128 v[30:33], off, off offset:464
	v_add_f64 v[48:49], v[48:49], v[38:39]
	v_add_f64 v[50:51], v[50:51], v[40:41]
	ds_load_b128 v[38:41], v1 offset:1200
	s_waitcnt vmcnt(10) lgkmcnt(1)
	v_mul_f64 v[228:229], v[2:3], v[36:37]
	v_mul_f64 v[36:37], v[4:5], v[36:37]
	v_add_f64 v[48:49], v[48:49], v[226:227]
	v_add_f64 v[50:51], v[50:51], v[164:165]
	s_waitcnt vmcnt(8) lgkmcnt(0)
	v_mul_f64 v[164:165], v[38:39], v[173:174]
	v_mul_f64 v[173:174], v[40:41], v[173:174]
	v_fma_f64 v[226:227], v[4:5], v[34:35], v[228:229]
	v_fma_f64 v[228:229], v[2:3], v[34:35], -v[36:37]
	ds_load_b128 v[2:5], v1 offset:1216
	scratch_load_b128 v[34:37], off, off offset:480
	v_add_f64 v[48:49], v[48:49], v[220:221]
	v_add_f64 v[50:51], v[50:51], v[168:169]
	ds_load_b128 v[220:223], v1 offset:1232
	v_fma_f64 v[164:165], v[40:41], v[171:172], v[164:165]
	v_fma_f64 v[171:172], v[38:39], v[171:172], -v[173:174]
	scratch_load_b128 v[38:41], off, off offset:496
	s_waitcnt vmcnt(9) lgkmcnt(1)
	v_mul_f64 v[168:169], v[2:3], v[44:45]
	v_mul_f64 v[44:45], v[4:5], v[44:45]
	v_add_f64 v[48:49], v[48:49], v[228:229]
	v_add_f64 v[50:51], v[50:51], v[226:227]
	s_waitcnt vmcnt(8) lgkmcnt(0)
	v_mul_f64 v[226:227], v[220:221], v[8:9]
	v_mul_f64 v[8:9], v[222:223], v[8:9]
	v_fma_f64 v[168:169], v[4:5], v[42:43], v[168:169]
	v_fma_f64 v[228:229], v[2:3], v[42:43], -v[44:45]
	ds_load_b128 v[2:5], v1 offset:1248
	scratch_load_b128 v[42:45], off, off offset:512
	v_add_f64 v[48:49], v[48:49], v[171:172]
	v_add_f64 v[50:51], v[50:51], v[164:165]
	ds_load_b128 v[171:174], v1 offset:1264
	s_waitcnt vmcnt(8) lgkmcnt(1)
	v_mul_f64 v[164:165], v[2:3], v[12:13]
	v_mul_f64 v[12:13], v[4:5], v[12:13]
	v_fma_f64 v[222:223], v[222:223], v[6:7], v[226:227]
	v_fma_f64 v[220:221], v[220:221], v[6:7], -v[8:9]
	scratch_load_b128 v[6:9], off, off offset:528
	v_add_f64 v[48:49], v[48:49], v[228:229]
	v_add_f64 v[50:51], v[50:51], v[168:169]
	s_waitcnt vmcnt(8) lgkmcnt(0)
	v_mul_f64 v[168:169], v[171:172], v[16:17]
	v_mul_f64 v[16:17], v[173:174], v[16:17]
	v_fma_f64 v[164:165], v[4:5], v[10:11], v[164:165]
	v_fma_f64 v[226:227], v[2:3], v[10:11], -v[12:13]
	ds_load_b128 v[2:5], v1 offset:1280
	scratch_load_b128 v[10:13], off, off offset:544
	v_add_f64 v[48:49], v[48:49], v[220:221]
	v_add_f64 v[50:51], v[50:51], v[222:223]
	ds_load_b128 v[220:223], v1 offset:1296
	s_waitcnt vmcnt(8) lgkmcnt(1)
	v_mul_f64 v[228:229], v[2:3], v[20:21]
	v_mul_f64 v[20:21], v[4:5], v[20:21]
	v_fma_f64 v[168:169], v[173:174], v[14:15], v[168:169]
	v_fma_f64 v[171:172], v[171:172], v[14:15], -v[16:17]
	scratch_load_b128 v[14:17], off, off offset:560
	;; [unrolled: 18-line block ×11, first 2 shown]
	v_add_f64 v[48:49], v[48:49], v[226:227]
	v_add_f64 v[50:51], v[50:51], v[164:165]
	s_waitcnt vmcnt(8) lgkmcnt(0)
	v_mul_f64 v[164:165], v[171:172], v[16:17]
	v_mul_f64 v[16:17], v[173:174], v[16:17]
	v_fma_f64 v[222:223], v[4:5], v[10:11], v[228:229]
	v_fma_f64 v[226:227], v[2:3], v[10:11], -v[12:13]
	ds_load_b128 v[2:5], v1 offset:1600
	ds_load_b128 v[10:13], v1 offset:1616
	v_add_f64 v[48:49], v[48:49], v[220:221]
	v_add_f64 v[50:51], v[50:51], v[168:169]
	s_waitcnt vmcnt(7) lgkmcnt(1)
	v_mul_f64 v[168:169], v[2:3], v[20:21]
	v_mul_f64 v[20:21], v[4:5], v[20:21]
	v_fma_f64 v[164:165], v[173:174], v[14:15], v[164:165]
	v_fma_f64 v[14:15], v[171:172], v[14:15], -v[16:17]
	v_add_f64 v[16:17], v[48:49], v[226:227]
	v_add_f64 v[48:49], v[50:51], v[222:223]
	s_waitcnt vmcnt(6) lgkmcnt(0)
	v_mul_f64 v[50:51], v[10:11], v[24:25]
	v_mul_f64 v[24:25], v[12:13], v[24:25]
	v_fma_f64 v[168:169], v[4:5], v[18:19], v[168:169]
	v_fma_f64 v[18:19], v[2:3], v[18:19], -v[20:21]
	v_add_f64 v[20:21], v[16:17], v[14:15]
	v_add_f64 v[48:49], v[48:49], v[164:165]
	ds_load_b128 v[2:5], v1 offset:1632
	ds_load_b128 v[14:17], v1 offset:1648
	v_fma_f64 v[12:13], v[12:13], v[22:23], v[50:51]
	v_fma_f64 v[10:11], v[10:11], v[22:23], -v[24:25]
	s_waitcnt vmcnt(5) lgkmcnt(1)
	v_mul_f64 v[164:165], v[2:3], v[28:29]
	v_mul_f64 v[28:29], v[4:5], v[28:29]
	s_waitcnt vmcnt(4) lgkmcnt(0)
	v_mul_f64 v[22:23], v[14:15], v[32:33]
	v_mul_f64 v[24:25], v[16:17], v[32:33]
	v_add_f64 v[18:19], v[20:21], v[18:19]
	v_add_f64 v[20:21], v[48:49], v[168:169]
	v_fma_f64 v[32:33], v[4:5], v[26:27], v[164:165]
	v_fma_f64 v[26:27], v[2:3], v[26:27], -v[28:29]
	v_fma_f64 v[16:17], v[16:17], v[30:31], v[22:23]
	v_fma_f64 v[14:15], v[14:15], v[30:31], -v[24:25]
	v_add_f64 v[18:19], v[18:19], v[10:11]
	v_add_f64 v[20:21], v[20:21], v[12:13]
	ds_load_b128 v[2:5], v1 offset:1664
	ds_load_b128 v[10:13], v1 offset:1680
	s_waitcnt vmcnt(3) lgkmcnt(1)
	v_mul_f64 v[28:29], v[2:3], v[36:37]
	v_mul_f64 v[36:37], v[4:5], v[36:37]
	s_waitcnt vmcnt(2) lgkmcnt(0)
	v_mul_f64 v[22:23], v[10:11], v[40:41]
	v_mul_f64 v[24:25], v[12:13], v[40:41]
	v_add_f64 v[18:19], v[18:19], v[26:27]
	v_add_f64 v[20:21], v[20:21], v[32:33]
	v_fma_f64 v[26:27], v[4:5], v[34:35], v[28:29]
	v_fma_f64 v[28:29], v[2:3], v[34:35], -v[36:37]
	v_fma_f64 v[12:13], v[12:13], v[38:39], v[22:23]
	v_fma_f64 v[10:11], v[10:11], v[38:39], -v[24:25]
	v_add_f64 v[18:19], v[18:19], v[14:15]
	v_add_f64 v[20:21], v[20:21], v[16:17]
	ds_load_b128 v[2:5], v1 offset:1696
	ds_load_b128 v[14:17], v1 offset:1712
	s_waitcnt vmcnt(1) lgkmcnt(1)
	v_mul_f64 v[30:31], v[2:3], v[44:45]
	v_mul_f64 v[32:33], v[4:5], v[44:45]
	s_waitcnt vmcnt(0) lgkmcnt(0)
	v_mul_f64 v[22:23], v[14:15], v[8:9]
	v_mul_f64 v[8:9], v[16:17], v[8:9]
	v_add_f64 v[18:19], v[18:19], v[28:29]
	v_add_f64 v[20:21], v[20:21], v[26:27]
	v_fma_f64 v[4:5], v[4:5], v[42:43], v[30:31]
	v_fma_f64 v[1:2], v[2:3], v[42:43], -v[32:33]
	v_fma_f64 v[16:17], v[16:17], v[6:7], v[22:23]
	v_fma_f64 v[6:7], v[14:15], v[6:7], -v[8:9]
	v_add_f64 v[10:11], v[18:19], v[10:11]
	v_add_f64 v[12:13], v[20:21], v[12:13]
	s_delay_alu instid0(VALU_DEP_2) | instskip(NEXT) | instid1(VALU_DEP_2)
	v_add_f64 v[1:2], v[10:11], v[1:2]
	v_add_f64 v[3:4], v[12:13], v[4:5]
	s_delay_alu instid0(VALU_DEP_2) | instskip(NEXT) | instid1(VALU_DEP_2)
	;; [unrolled: 3-line block ×3, first 2 shown]
	v_add_f64 v[1:2], v[157:158], -v[1:2]
	v_add_f64 v[3:4], v[159:160], -v[3:4]
	scratch_store_b128 off, v[1:4], off offset:176
	v_cmpx_lt_u32_e32 10, v154
	s_cbranch_execz .LBB53_317
; %bb.316:
	scratch_load_b128 v[1:4], v198, off
	v_mov_b32_e32 v5, 0
	s_delay_alu instid0(VALU_DEP_1)
	v_mov_b32_e32 v6, v5
	v_mov_b32_e32 v7, v5
	;; [unrolled: 1-line block ×3, first 2 shown]
	scratch_store_b128 off, v[5:8], off offset:160
	s_waitcnt vmcnt(0)
	ds_store_b128 v208, v[1:4]
.LBB53_317:
	s_or_b32 exec_lo, exec_lo, s2
	s_waitcnt lgkmcnt(0)
	s_waitcnt_vscnt null, 0x0
	s_barrier
	buffer_gl0_inv
	s_clause 0x7
	scratch_load_b128 v[2:5], off, off offset:176
	scratch_load_b128 v[6:9], off, off offset:192
	;; [unrolled: 1-line block ×8, first 2 shown]
	v_mov_b32_e32 v1, 0
	s_mov_b32 s2, exec_lo
	ds_load_b128 v[38:41], v1 offset:1040
	s_clause 0x1
	scratch_load_b128 v[34:37], off, off offset:304
	scratch_load_b128 v[42:45], off, off offset:160
	ds_load_b128 v[157:160], v1 offset:1056
	scratch_load_b128 v[171:174], off, off offset:320
	ds_load_b128 v[220:223], v1 offset:1088
	s_waitcnt vmcnt(10) lgkmcnt(2)
	v_mul_f64 v[48:49], v[40:41], v[4:5]
	v_mul_f64 v[4:5], v[38:39], v[4:5]
	s_delay_alu instid0(VALU_DEP_2) | instskip(NEXT) | instid1(VALU_DEP_2)
	v_fma_f64 v[48:49], v[38:39], v[2:3], -v[48:49]
	v_fma_f64 v[164:165], v[40:41], v[2:3], v[4:5]
	ds_load_b128 v[2:5], v1 offset:1072
	s_waitcnt vmcnt(9) lgkmcnt(2)
	v_mul_f64 v[50:51], v[157:158], v[8:9]
	v_mul_f64 v[8:9], v[159:160], v[8:9]
	scratch_load_b128 v[38:41], off, off offset:336
	s_waitcnt vmcnt(9) lgkmcnt(0)
	v_mul_f64 v[168:169], v[2:3], v[12:13]
	v_mul_f64 v[12:13], v[4:5], v[12:13]
	v_add_f64 v[48:49], v[48:49], 0
	v_fma_f64 v[50:51], v[159:160], v[6:7], v[50:51]
	v_fma_f64 v[157:158], v[157:158], v[6:7], -v[8:9]
	v_add_f64 v[159:160], v[164:165], 0
	scratch_load_b128 v[6:9], off, off offset:352
	v_fma_f64 v[168:169], v[4:5], v[10:11], v[168:169]
	v_fma_f64 v[226:227], v[2:3], v[10:11], -v[12:13]
	scratch_load_b128 v[10:13], off, off offset:368
	ds_load_b128 v[2:5], v1 offset:1104
	s_waitcnt vmcnt(10)
	v_mul_f64 v[164:165], v[220:221], v[16:17]
	v_mul_f64 v[16:17], v[222:223], v[16:17]
	v_add_f64 v[48:49], v[48:49], v[157:158]
	v_add_f64 v[50:51], v[159:160], v[50:51]
	ds_load_b128 v[157:160], v1 offset:1120
	s_waitcnt vmcnt(9) lgkmcnt(1)
	v_mul_f64 v[228:229], v[2:3], v[20:21]
	v_mul_f64 v[20:21], v[4:5], v[20:21]
	v_fma_f64 v[164:165], v[222:223], v[14:15], v[164:165]
	v_fma_f64 v[220:221], v[220:221], v[14:15], -v[16:17]
	scratch_load_b128 v[14:17], off, off offset:384
	v_add_f64 v[48:49], v[48:49], v[226:227]
	v_add_f64 v[50:51], v[50:51], v[168:169]
	v_fma_f64 v[226:227], v[4:5], v[18:19], v[228:229]
	v_fma_f64 v[228:229], v[2:3], v[18:19], -v[20:21]
	scratch_load_b128 v[18:21], off, off offset:400
	ds_load_b128 v[2:5], v1 offset:1136
	s_waitcnt vmcnt(10) lgkmcnt(1)
	v_mul_f64 v[168:169], v[157:158], v[24:25]
	v_mul_f64 v[24:25], v[159:160], v[24:25]
	v_add_f64 v[48:49], v[48:49], v[220:221]
	v_add_f64 v[50:51], v[50:51], v[164:165]
	s_waitcnt vmcnt(9) lgkmcnt(0)
	v_mul_f64 v[164:165], v[2:3], v[28:29]
	v_mul_f64 v[28:29], v[4:5], v[28:29]
	ds_load_b128 v[220:223], v1 offset:1152
	v_fma_f64 v[159:160], v[159:160], v[22:23], v[168:169]
	v_fma_f64 v[157:158], v[157:158], v[22:23], -v[24:25]
	scratch_load_b128 v[22:25], off, off offset:416
	v_add_f64 v[48:49], v[48:49], v[228:229]
	v_add_f64 v[50:51], v[50:51], v[226:227]
	v_fma_f64 v[164:165], v[4:5], v[26:27], v[164:165]
	v_fma_f64 v[226:227], v[2:3], v[26:27], -v[28:29]
	scratch_load_b128 v[26:29], off, off offset:432
	ds_load_b128 v[2:5], v1 offset:1168
	s_waitcnt vmcnt(10) lgkmcnt(1)
	v_mul_f64 v[168:169], v[220:221], v[32:33]
	v_mul_f64 v[32:33], v[222:223], v[32:33]
	s_waitcnt vmcnt(9) lgkmcnt(0)
	v_mul_f64 v[228:229], v[2:3], v[36:37]
	v_mul_f64 v[36:37], v[4:5], v[36:37]
	v_add_f64 v[48:49], v[48:49], v[157:158]
	v_add_f64 v[50:51], v[50:51], v[159:160]
	ds_load_b128 v[157:160], v1 offset:1184
	v_fma_f64 v[168:169], v[222:223], v[30:31], v[168:169]
	v_fma_f64 v[220:221], v[220:221], v[30:31], -v[32:33]
	scratch_load_b128 v[30:33], off, off offset:448
	v_add_f64 v[48:49], v[48:49], v[226:227]
	v_add_f64 v[50:51], v[50:51], v[164:165]
	v_fma_f64 v[226:227], v[4:5], v[34:35], v[228:229]
	v_fma_f64 v[228:229], v[2:3], v[34:35], -v[36:37]
	scratch_load_b128 v[34:37], off, off offset:464
	ds_load_b128 v[2:5], v1 offset:1200
	s_waitcnt vmcnt(9) lgkmcnt(1)
	v_mul_f64 v[164:165], v[157:158], v[173:174]
	v_mul_f64 v[173:174], v[159:160], v[173:174]
	v_add_f64 v[48:49], v[48:49], v[220:221]
	v_add_f64 v[50:51], v[50:51], v[168:169]
	ds_load_b128 v[220:223], v1 offset:1216
	v_fma_f64 v[164:165], v[159:160], v[171:172], v[164:165]
	v_fma_f64 v[171:172], v[157:158], v[171:172], -v[173:174]
	scratch_load_b128 v[157:160], off, off offset:480
	s_waitcnt vmcnt(9) lgkmcnt(1)
	v_mul_f64 v[168:169], v[2:3], v[40:41]
	v_mul_f64 v[40:41], v[4:5], v[40:41]
	v_add_f64 v[48:49], v[48:49], v[228:229]
	v_add_f64 v[50:51], v[50:51], v[226:227]
	s_delay_alu instid0(VALU_DEP_4) | instskip(NEXT) | instid1(VALU_DEP_4)
	v_fma_f64 v[168:169], v[4:5], v[38:39], v[168:169]
	v_fma_f64 v[228:229], v[2:3], v[38:39], -v[40:41]
	scratch_load_b128 v[38:41], off, off offset:496
	ds_load_b128 v[2:5], v1 offset:1232
	s_waitcnt vmcnt(9) lgkmcnt(1)
	v_mul_f64 v[226:227], v[220:221], v[8:9]
	v_mul_f64 v[8:9], v[222:223], v[8:9]
	v_add_f64 v[48:49], v[48:49], v[171:172]
	v_add_f64 v[50:51], v[50:51], v[164:165]
	s_waitcnt vmcnt(8) lgkmcnt(0)
	v_mul_f64 v[164:165], v[2:3], v[12:13]
	v_mul_f64 v[12:13], v[4:5], v[12:13]
	ds_load_b128 v[171:174], v1 offset:1248
	v_fma_f64 v[222:223], v[222:223], v[6:7], v[226:227]
	v_fma_f64 v[220:221], v[220:221], v[6:7], -v[8:9]
	scratch_load_b128 v[6:9], off, off offset:512
	v_add_f64 v[48:49], v[48:49], v[228:229]
	v_add_f64 v[50:51], v[50:51], v[168:169]
	v_fma_f64 v[164:165], v[4:5], v[10:11], v[164:165]
	v_fma_f64 v[226:227], v[2:3], v[10:11], -v[12:13]
	scratch_load_b128 v[10:13], off, off offset:528
	ds_load_b128 v[2:5], v1 offset:1264
	s_waitcnt vmcnt(9) lgkmcnt(1)
	v_mul_f64 v[168:169], v[171:172], v[16:17]
	v_mul_f64 v[16:17], v[173:174], v[16:17]
	s_waitcnt vmcnt(8) lgkmcnt(0)
	v_mul_f64 v[228:229], v[2:3], v[20:21]
	v_mul_f64 v[20:21], v[4:5], v[20:21]
	v_add_f64 v[48:49], v[48:49], v[220:221]
	v_add_f64 v[50:51], v[50:51], v[222:223]
	ds_load_b128 v[220:223], v1 offset:1280
	v_fma_f64 v[168:169], v[173:174], v[14:15], v[168:169]
	v_fma_f64 v[171:172], v[171:172], v[14:15], -v[16:17]
	scratch_load_b128 v[14:17], off, off offset:544
	v_add_f64 v[48:49], v[48:49], v[226:227]
	v_add_f64 v[50:51], v[50:51], v[164:165]
	v_fma_f64 v[226:227], v[4:5], v[18:19], v[228:229]
	v_fma_f64 v[228:229], v[2:3], v[18:19], -v[20:21]
	scratch_load_b128 v[18:21], off, off offset:560
	ds_load_b128 v[2:5], v1 offset:1296
	s_waitcnt vmcnt(9) lgkmcnt(1)
	v_mul_f64 v[164:165], v[220:221], v[24:25]
	v_mul_f64 v[24:25], v[222:223], v[24:25]
	v_add_f64 v[48:49], v[48:49], v[171:172]
	v_add_f64 v[50:51], v[50:51], v[168:169]
	s_waitcnt vmcnt(8) lgkmcnt(0)
	v_mul_f64 v[168:169], v[2:3], v[28:29]
	v_mul_f64 v[28:29], v[4:5], v[28:29]
	ds_load_b128 v[171:174], v1 offset:1312
	v_fma_f64 v[164:165], v[222:223], v[22:23], v[164:165]
	v_fma_f64 v[220:221], v[220:221], v[22:23], -v[24:25]
	scratch_load_b128 v[22:25], off, off offset:576
	v_add_f64 v[48:49], v[48:49], v[228:229]
	v_add_f64 v[50:51], v[50:51], v[226:227]
	v_fma_f64 v[168:169], v[4:5], v[26:27], v[168:169]
	v_fma_f64 v[228:229], v[2:3], v[26:27], -v[28:29]
	scratch_load_b128 v[26:29], off, off offset:592
	ds_load_b128 v[2:5], v1 offset:1328
	s_waitcnt vmcnt(9) lgkmcnt(1)
	v_mul_f64 v[226:227], v[171:172], v[32:33]
	v_mul_f64 v[32:33], v[173:174], v[32:33]
	v_add_f64 v[48:49], v[48:49], v[220:221]
	v_add_f64 v[50:51], v[50:51], v[164:165]
	s_waitcnt vmcnt(8) lgkmcnt(0)
	v_mul_f64 v[164:165], v[2:3], v[36:37]
	v_mul_f64 v[36:37], v[4:5], v[36:37]
	ds_load_b128 v[220:223], v1 offset:1344
	v_fma_f64 v[173:174], v[173:174], v[30:31], v[226:227]
	v_fma_f64 v[171:172], v[171:172], v[30:31], -v[32:33]
	scratch_load_b128 v[30:33], off, off offset:608
	v_add_f64 v[48:49], v[48:49], v[228:229]
	v_add_f64 v[50:51], v[50:51], v[168:169]
	v_fma_f64 v[164:165], v[4:5], v[34:35], v[164:165]
	v_fma_f64 v[226:227], v[2:3], v[34:35], -v[36:37]
	scratch_load_b128 v[34:37], off, off offset:624
	ds_load_b128 v[2:5], v1 offset:1360
	s_waitcnt vmcnt(9) lgkmcnt(1)
	v_mul_f64 v[168:169], v[220:221], v[159:160]
	v_mul_f64 v[159:160], v[222:223], v[159:160]
	s_waitcnt vmcnt(8) lgkmcnt(0)
	v_mul_f64 v[228:229], v[2:3], v[40:41]
	v_mul_f64 v[40:41], v[4:5], v[40:41]
	v_add_f64 v[48:49], v[48:49], v[171:172]
	v_add_f64 v[50:51], v[50:51], v[173:174]
	ds_load_b128 v[171:174], v1 offset:1376
	v_fma_f64 v[168:169], v[222:223], v[157:158], v[168:169]
	v_fma_f64 v[220:221], v[220:221], v[157:158], -v[159:160]
	scratch_load_b128 v[157:160], off, off offset:640
	v_add_f64 v[48:49], v[48:49], v[226:227]
	v_add_f64 v[50:51], v[50:51], v[164:165]
	v_fma_f64 v[226:227], v[4:5], v[38:39], v[228:229]
	v_fma_f64 v[228:229], v[2:3], v[38:39], -v[40:41]
	scratch_load_b128 v[38:41], off, off offset:656
	ds_load_b128 v[2:5], v1 offset:1392
	s_waitcnt vmcnt(9) lgkmcnt(1)
	v_mul_f64 v[164:165], v[171:172], v[8:9]
	v_mul_f64 v[8:9], v[173:174], v[8:9]
	v_add_f64 v[48:49], v[48:49], v[220:221]
	v_add_f64 v[50:51], v[50:51], v[168:169]
	s_waitcnt vmcnt(8) lgkmcnt(0)
	v_mul_f64 v[168:169], v[2:3], v[12:13]
	v_mul_f64 v[12:13], v[4:5], v[12:13]
	ds_load_b128 v[220:223], v1 offset:1408
	v_fma_f64 v[164:165], v[173:174], v[6:7], v[164:165]
	v_fma_f64 v[171:172], v[171:172], v[6:7], -v[8:9]
	scratch_load_b128 v[6:9], off, off offset:672
	v_add_f64 v[48:49], v[48:49], v[228:229]
	v_add_f64 v[50:51], v[50:51], v[226:227]
	;; [unrolled: 54-line block ×3, first 2 shown]
	v_fma_f64 v[168:169], v[4:5], v[34:35], v[168:169]
	v_fma_f64 v[228:229], v[2:3], v[34:35], -v[36:37]
	scratch_load_b128 v[34:37], off, off offset:784
	ds_load_b128 v[2:5], v1 offset:1520
	s_waitcnt vmcnt(9) lgkmcnt(1)
	v_mul_f64 v[226:227], v[171:172], v[159:160]
	v_mul_f64 v[159:160], v[173:174], v[159:160]
	v_add_f64 v[48:49], v[48:49], v[220:221]
	v_add_f64 v[50:51], v[50:51], v[164:165]
	s_waitcnt vmcnt(8) lgkmcnt(0)
	v_mul_f64 v[164:165], v[2:3], v[40:41]
	v_mul_f64 v[40:41], v[4:5], v[40:41]
	ds_load_b128 v[220:223], v1 offset:1536
	v_fma_f64 v[173:174], v[173:174], v[157:158], v[226:227]
	v_fma_f64 v[171:172], v[171:172], v[157:158], -v[159:160]
	scratch_load_b128 v[157:160], off, off offset:800
	v_add_f64 v[48:49], v[48:49], v[228:229]
	v_add_f64 v[50:51], v[50:51], v[168:169]
	v_fma_f64 v[164:165], v[4:5], v[38:39], v[164:165]
	v_fma_f64 v[226:227], v[2:3], v[38:39], -v[40:41]
	scratch_load_b128 v[38:41], off, off offset:816
	ds_load_b128 v[2:5], v1 offset:1552
	s_waitcnt vmcnt(9) lgkmcnt(1)
	v_mul_f64 v[168:169], v[220:221], v[8:9]
	v_mul_f64 v[8:9], v[222:223], v[8:9]
	s_waitcnt vmcnt(8) lgkmcnt(0)
	v_mul_f64 v[228:229], v[2:3], v[12:13]
	v_mul_f64 v[12:13], v[4:5], v[12:13]
	v_add_f64 v[48:49], v[48:49], v[171:172]
	v_add_f64 v[50:51], v[50:51], v[173:174]
	ds_load_b128 v[171:174], v1 offset:1568
	v_fma_f64 v[168:169], v[222:223], v[6:7], v[168:169]
	v_fma_f64 v[220:221], v[220:221], v[6:7], -v[8:9]
	scratch_load_b128 v[6:9], off, off offset:832
	v_add_f64 v[48:49], v[48:49], v[226:227]
	v_add_f64 v[50:51], v[50:51], v[164:165]
	v_fma_f64 v[226:227], v[4:5], v[10:11], v[228:229]
	v_fma_f64 v[228:229], v[2:3], v[10:11], -v[12:13]
	scratch_load_b128 v[10:13], off, off offset:848
	ds_load_b128 v[2:5], v1 offset:1584
	s_waitcnt vmcnt(9) lgkmcnt(1)
	v_mul_f64 v[164:165], v[171:172], v[16:17]
	v_mul_f64 v[16:17], v[173:174], v[16:17]
	v_add_f64 v[48:49], v[48:49], v[220:221]
	v_add_f64 v[50:51], v[50:51], v[168:169]
	s_waitcnt vmcnt(8) lgkmcnt(0)
	v_mul_f64 v[168:169], v[2:3], v[20:21]
	v_mul_f64 v[20:21], v[4:5], v[20:21]
	ds_load_b128 v[220:223], v1 offset:1600
	v_fma_f64 v[164:165], v[173:174], v[14:15], v[164:165]
	v_fma_f64 v[14:15], v[171:172], v[14:15], -v[16:17]
	v_add_f64 v[16:17], v[48:49], v[228:229]
	v_add_f64 v[48:49], v[50:51], v[226:227]
	s_waitcnt vmcnt(7) lgkmcnt(0)
	v_mul_f64 v[50:51], v[220:221], v[24:25]
	v_mul_f64 v[24:25], v[222:223], v[24:25]
	v_fma_f64 v[168:169], v[4:5], v[18:19], v[168:169]
	v_fma_f64 v[18:19], v[2:3], v[18:19], -v[20:21]
	v_add_f64 v[20:21], v[16:17], v[14:15]
	v_add_f64 v[48:49], v[48:49], v[164:165]
	ds_load_b128 v[2:5], v1 offset:1616
	ds_load_b128 v[14:17], v1 offset:1632
	v_fma_f64 v[50:51], v[222:223], v[22:23], v[50:51]
	v_fma_f64 v[22:23], v[220:221], v[22:23], -v[24:25]
	s_waitcnt vmcnt(6) lgkmcnt(1)
	v_mul_f64 v[164:165], v[2:3], v[28:29]
	v_mul_f64 v[28:29], v[4:5], v[28:29]
	s_waitcnt vmcnt(5) lgkmcnt(0)
	v_mul_f64 v[24:25], v[14:15], v[32:33]
	v_mul_f64 v[32:33], v[16:17], v[32:33]
	v_add_f64 v[18:19], v[20:21], v[18:19]
	v_add_f64 v[20:21], v[48:49], v[168:169]
	v_fma_f64 v[48:49], v[4:5], v[26:27], v[164:165]
	v_fma_f64 v[26:27], v[2:3], v[26:27], -v[28:29]
	v_fma_f64 v[16:17], v[16:17], v[30:31], v[24:25]
	v_fma_f64 v[14:15], v[14:15], v[30:31], -v[32:33]
	v_add_f64 v[22:23], v[18:19], v[22:23]
	v_add_f64 v[28:29], v[20:21], v[50:51]
	ds_load_b128 v[2:5], v1 offset:1648
	ds_load_b128 v[18:21], v1 offset:1664
	s_waitcnt vmcnt(4) lgkmcnt(1)
	v_mul_f64 v[50:51], v[2:3], v[36:37]
	v_mul_f64 v[36:37], v[4:5], v[36:37]
	v_add_f64 v[22:23], v[22:23], v[26:27]
	v_add_f64 v[24:25], v[28:29], v[48:49]
	s_waitcnt vmcnt(3) lgkmcnt(0)
	v_mul_f64 v[26:27], v[18:19], v[159:160]
	v_mul_f64 v[28:29], v[20:21], v[159:160]
	v_fma_f64 v[30:31], v[4:5], v[34:35], v[50:51]
	v_fma_f64 v[32:33], v[2:3], v[34:35], -v[36:37]
	v_add_f64 v[22:23], v[22:23], v[14:15]
	v_add_f64 v[24:25], v[24:25], v[16:17]
	ds_load_b128 v[2:5], v1 offset:1680
	ds_load_b128 v[14:17], v1 offset:1696
	v_fma_f64 v[20:21], v[20:21], v[157:158], v[26:27]
	v_fma_f64 v[18:19], v[18:19], v[157:158], -v[28:29]
	s_waitcnt vmcnt(2) lgkmcnt(1)
	v_mul_f64 v[34:35], v[2:3], v[40:41]
	v_mul_f64 v[36:37], v[4:5], v[40:41]
	s_waitcnt vmcnt(1) lgkmcnt(0)
	v_mul_f64 v[26:27], v[14:15], v[8:9]
	v_mul_f64 v[8:9], v[16:17], v[8:9]
	v_add_f64 v[22:23], v[22:23], v[32:33]
	v_add_f64 v[24:25], v[24:25], v[30:31]
	v_fma_f64 v[28:29], v[4:5], v[38:39], v[34:35]
	v_fma_f64 v[30:31], v[2:3], v[38:39], -v[36:37]
	ds_load_b128 v[2:5], v1 offset:1712
	v_fma_f64 v[16:17], v[16:17], v[6:7], v[26:27]
	v_fma_f64 v[6:7], v[14:15], v[6:7], -v[8:9]
	v_add_f64 v[18:19], v[22:23], v[18:19]
	v_add_f64 v[20:21], v[24:25], v[20:21]
	s_waitcnt vmcnt(0) lgkmcnt(0)
	v_mul_f64 v[22:23], v[2:3], v[12:13]
	v_mul_f64 v[12:13], v[4:5], v[12:13]
	s_delay_alu instid0(VALU_DEP_4) | instskip(NEXT) | instid1(VALU_DEP_4)
	v_add_f64 v[8:9], v[18:19], v[30:31]
	v_add_f64 v[14:15], v[20:21], v[28:29]
	s_delay_alu instid0(VALU_DEP_4) | instskip(NEXT) | instid1(VALU_DEP_4)
	v_fma_f64 v[4:5], v[4:5], v[10:11], v[22:23]
	v_fma_f64 v[2:3], v[2:3], v[10:11], -v[12:13]
	s_delay_alu instid0(VALU_DEP_4) | instskip(NEXT) | instid1(VALU_DEP_4)
	v_add_f64 v[6:7], v[8:9], v[6:7]
	v_add_f64 v[8:9], v[14:15], v[16:17]
	s_delay_alu instid0(VALU_DEP_2) | instskip(NEXT) | instid1(VALU_DEP_2)
	v_add_f64 v[2:3], v[6:7], v[2:3]
	v_add_f64 v[4:5], v[8:9], v[4:5]
	s_delay_alu instid0(VALU_DEP_2) | instskip(NEXT) | instid1(VALU_DEP_2)
	v_add_f64 v[2:3], v[42:43], -v[2:3]
	v_add_f64 v[4:5], v[44:45], -v[4:5]
	scratch_store_b128 off, v[2:5], off offset:160
	v_cmpx_lt_u32_e32 9, v154
	s_cbranch_execz .LBB53_319
; %bb.318:
	scratch_load_b128 v[5:8], v199, off
	v_mov_b32_e32 v2, v1
	v_mov_b32_e32 v3, v1
	;; [unrolled: 1-line block ×3, first 2 shown]
	scratch_store_b128 off, v[1:4], off offset:144
	s_waitcnt vmcnt(0)
	ds_store_b128 v208, v[5:8]
.LBB53_319:
	s_or_b32 exec_lo, exec_lo, s2
	s_waitcnt lgkmcnt(0)
	s_waitcnt_vscnt null, 0x0
	s_barrier
	buffer_gl0_inv
	s_clause 0x8
	scratch_load_b128 v[2:5], off, off offset:160
	scratch_load_b128 v[6:9], off, off offset:176
	;; [unrolled: 1-line block ×9, first 2 shown]
	ds_load_b128 v[42:45], v1 offset:1024
	ds_load_b128 v[38:41], v1 offset:1040
	s_clause 0x1
	scratch_load_b128 v[157:160], off, off offset:144
	scratch_load_b128 v[171:174], off, off offset:304
	s_mov_b32 s2, exec_lo
	ds_load_b128 v[220:223], v1 offset:1072
	s_waitcnt vmcnt(10) lgkmcnt(2)
	v_mul_f64 v[48:49], v[44:45], v[4:5]
	v_mul_f64 v[4:5], v[42:43], v[4:5]
	s_waitcnt vmcnt(9) lgkmcnt(1)
	v_mul_f64 v[50:51], v[38:39], v[8:9]
	v_mul_f64 v[8:9], v[40:41], v[8:9]
	s_delay_alu instid0(VALU_DEP_4) | instskip(NEXT) | instid1(VALU_DEP_4)
	v_fma_f64 v[48:49], v[42:43], v[2:3], -v[48:49]
	v_fma_f64 v[164:165], v[44:45], v[2:3], v[4:5]
	ds_load_b128 v[2:5], v1 offset:1056
	scratch_load_b128 v[42:45], off, off offset:320
	v_fma_f64 v[40:41], v[40:41], v[6:7], v[50:51]
	v_fma_f64 v[38:39], v[38:39], v[6:7], -v[8:9]
	scratch_load_b128 v[6:9], off, off offset:336
	s_waitcnt vmcnt(10) lgkmcnt(0)
	v_mul_f64 v[168:169], v[2:3], v[12:13]
	v_mul_f64 v[12:13], v[4:5], v[12:13]
	v_add_f64 v[48:49], v[48:49], 0
	v_add_f64 v[50:51], v[164:165], 0
	s_waitcnt vmcnt(9)
	v_mul_f64 v[164:165], v[220:221], v[16:17]
	v_mul_f64 v[16:17], v[222:223], v[16:17]
	v_fma_f64 v[168:169], v[4:5], v[10:11], v[168:169]
	v_fma_f64 v[226:227], v[2:3], v[10:11], -v[12:13]
	ds_load_b128 v[2:5], v1 offset:1088
	scratch_load_b128 v[10:13], off, off offset:352
	v_add_f64 v[48:49], v[48:49], v[38:39]
	v_add_f64 v[50:51], v[50:51], v[40:41]
	ds_load_b128 v[38:41], v1 offset:1104
	v_fma_f64 v[164:165], v[222:223], v[14:15], v[164:165]
	v_fma_f64 v[220:221], v[220:221], v[14:15], -v[16:17]
	scratch_load_b128 v[14:17], off, off offset:368
	s_waitcnt vmcnt(10) lgkmcnt(1)
	v_mul_f64 v[228:229], v[2:3], v[20:21]
	v_mul_f64 v[20:21], v[4:5], v[20:21]
	v_add_f64 v[48:49], v[48:49], v[226:227]
	v_add_f64 v[50:51], v[50:51], v[168:169]
	s_waitcnt vmcnt(9) lgkmcnt(0)
	v_mul_f64 v[168:169], v[38:39], v[24:25]
	v_mul_f64 v[24:25], v[40:41], v[24:25]
	v_fma_f64 v[226:227], v[4:5], v[18:19], v[228:229]
	v_fma_f64 v[228:229], v[2:3], v[18:19], -v[20:21]
	ds_load_b128 v[2:5], v1 offset:1120
	scratch_load_b128 v[18:21], off, off offset:384
	v_add_f64 v[48:49], v[48:49], v[220:221]
	v_add_f64 v[50:51], v[50:51], v[164:165]
	ds_load_b128 v[220:223], v1 offset:1136
	s_waitcnt vmcnt(9) lgkmcnt(1)
	v_mul_f64 v[164:165], v[2:3], v[28:29]
	v_mul_f64 v[28:29], v[4:5], v[28:29]
	v_fma_f64 v[40:41], v[40:41], v[22:23], v[168:169]
	v_fma_f64 v[38:39], v[38:39], v[22:23], -v[24:25]
	scratch_load_b128 v[22:25], off, off offset:400
	s_waitcnt vmcnt(9) lgkmcnt(0)
	v_mul_f64 v[168:169], v[220:221], v[32:33]
	v_mul_f64 v[32:33], v[222:223], v[32:33]
	v_add_f64 v[48:49], v[48:49], v[228:229]
	v_add_f64 v[50:51], v[50:51], v[226:227]
	v_fma_f64 v[164:165], v[4:5], v[26:27], v[164:165]
	v_fma_f64 v[226:227], v[2:3], v[26:27], -v[28:29]
	ds_load_b128 v[2:5], v1 offset:1152
	scratch_load_b128 v[26:29], off, off offset:416
	v_fma_f64 v[168:169], v[222:223], v[30:31], v[168:169]
	v_fma_f64 v[220:221], v[220:221], v[30:31], -v[32:33]
	scratch_load_b128 v[30:33], off, off offset:432
	v_add_f64 v[48:49], v[48:49], v[38:39]
	v_add_f64 v[50:51], v[50:51], v[40:41]
	ds_load_b128 v[38:41], v1 offset:1168
	s_waitcnt vmcnt(10) lgkmcnt(1)
	v_mul_f64 v[228:229], v[2:3], v[36:37]
	v_mul_f64 v[36:37], v[4:5], v[36:37]
	v_add_f64 v[48:49], v[48:49], v[226:227]
	v_add_f64 v[50:51], v[50:51], v[164:165]
	s_waitcnt vmcnt(8) lgkmcnt(0)
	v_mul_f64 v[164:165], v[38:39], v[173:174]
	v_mul_f64 v[173:174], v[40:41], v[173:174]
	v_fma_f64 v[226:227], v[4:5], v[34:35], v[228:229]
	v_fma_f64 v[228:229], v[2:3], v[34:35], -v[36:37]
	ds_load_b128 v[2:5], v1 offset:1184
	scratch_load_b128 v[34:37], off, off offset:448
	v_add_f64 v[48:49], v[48:49], v[220:221]
	v_add_f64 v[50:51], v[50:51], v[168:169]
	ds_load_b128 v[220:223], v1 offset:1200
	v_fma_f64 v[164:165], v[40:41], v[171:172], v[164:165]
	v_fma_f64 v[171:172], v[38:39], v[171:172], -v[173:174]
	scratch_load_b128 v[38:41], off, off offset:464
	s_waitcnt vmcnt(9) lgkmcnt(1)
	v_mul_f64 v[168:169], v[2:3], v[44:45]
	v_mul_f64 v[44:45], v[4:5], v[44:45]
	v_add_f64 v[48:49], v[48:49], v[228:229]
	v_add_f64 v[50:51], v[50:51], v[226:227]
	s_waitcnt vmcnt(8) lgkmcnt(0)
	v_mul_f64 v[226:227], v[220:221], v[8:9]
	v_mul_f64 v[8:9], v[222:223], v[8:9]
	v_fma_f64 v[168:169], v[4:5], v[42:43], v[168:169]
	v_fma_f64 v[228:229], v[2:3], v[42:43], -v[44:45]
	ds_load_b128 v[2:5], v1 offset:1216
	scratch_load_b128 v[42:45], off, off offset:480
	v_add_f64 v[48:49], v[48:49], v[171:172]
	v_add_f64 v[50:51], v[50:51], v[164:165]
	ds_load_b128 v[171:174], v1 offset:1232
	s_waitcnt vmcnt(8) lgkmcnt(1)
	v_mul_f64 v[164:165], v[2:3], v[12:13]
	v_mul_f64 v[12:13], v[4:5], v[12:13]
	v_fma_f64 v[222:223], v[222:223], v[6:7], v[226:227]
	v_fma_f64 v[220:221], v[220:221], v[6:7], -v[8:9]
	scratch_load_b128 v[6:9], off, off offset:496
	v_add_f64 v[48:49], v[48:49], v[228:229]
	v_add_f64 v[50:51], v[50:51], v[168:169]
	s_waitcnt vmcnt(8) lgkmcnt(0)
	v_mul_f64 v[168:169], v[171:172], v[16:17]
	v_mul_f64 v[16:17], v[173:174], v[16:17]
	v_fma_f64 v[164:165], v[4:5], v[10:11], v[164:165]
	v_fma_f64 v[226:227], v[2:3], v[10:11], -v[12:13]
	ds_load_b128 v[2:5], v1 offset:1248
	scratch_load_b128 v[10:13], off, off offset:512
	v_add_f64 v[48:49], v[48:49], v[220:221]
	v_add_f64 v[50:51], v[50:51], v[222:223]
	ds_load_b128 v[220:223], v1 offset:1264
	s_waitcnt vmcnt(8) lgkmcnt(1)
	v_mul_f64 v[228:229], v[2:3], v[20:21]
	v_mul_f64 v[20:21], v[4:5], v[20:21]
	v_fma_f64 v[168:169], v[173:174], v[14:15], v[168:169]
	v_fma_f64 v[171:172], v[171:172], v[14:15], -v[16:17]
	scratch_load_b128 v[14:17], off, off offset:528
	;; [unrolled: 18-line block ×12, first 2 shown]
	s_waitcnt vmcnt(8) lgkmcnt(0)
	v_mul_f64 v[173:174], v[220:221], v[24:25]
	v_mul_f64 v[24:25], v[222:223], v[24:25]
	v_add_f64 v[48:49], v[48:49], v[228:229]
	v_add_f64 v[50:51], v[50:51], v[226:227]
	v_fma_f64 v[168:169], v[4:5], v[18:19], v[168:169]
	v_fma_f64 v[226:227], v[2:3], v[18:19], -v[20:21]
	ds_load_b128 v[2:5], v1 offset:1600
	ds_load_b128 v[18:21], v1 offset:1616
	v_add_f64 v[48:49], v[48:49], v[171:172]
	v_add_f64 v[50:51], v[50:51], v[164:165]
	s_waitcnt vmcnt(7) lgkmcnt(1)
	v_mul_f64 v[164:165], v[2:3], v[28:29]
	v_mul_f64 v[28:29], v[4:5], v[28:29]
	v_fma_f64 v[171:172], v[222:223], v[22:23], v[173:174]
	v_fma_f64 v[22:23], v[220:221], v[22:23], -v[24:25]
	v_add_f64 v[24:25], v[48:49], v[226:227]
	v_add_f64 v[48:49], v[50:51], v[168:169]
	s_waitcnt vmcnt(6) lgkmcnt(0)
	v_mul_f64 v[50:51], v[18:19], v[32:33]
	v_mul_f64 v[32:33], v[20:21], v[32:33]
	v_fma_f64 v[164:165], v[4:5], v[26:27], v[164:165]
	v_fma_f64 v[26:27], v[2:3], v[26:27], -v[28:29]
	v_add_f64 v[28:29], v[24:25], v[22:23]
	v_add_f64 v[48:49], v[48:49], v[171:172]
	ds_load_b128 v[2:5], v1 offset:1632
	ds_load_b128 v[22:25], v1 offset:1648
	v_fma_f64 v[20:21], v[20:21], v[30:31], v[50:51]
	v_fma_f64 v[18:19], v[18:19], v[30:31], -v[32:33]
	s_waitcnt vmcnt(5) lgkmcnt(1)
	v_mul_f64 v[168:169], v[2:3], v[36:37]
	v_mul_f64 v[36:37], v[4:5], v[36:37]
	s_waitcnt vmcnt(4) lgkmcnt(0)
	v_mul_f64 v[30:31], v[22:23], v[40:41]
	v_mul_f64 v[32:33], v[24:25], v[40:41]
	v_add_f64 v[26:27], v[28:29], v[26:27]
	v_add_f64 v[28:29], v[48:49], v[164:165]
	v_fma_f64 v[40:41], v[4:5], v[34:35], v[168:169]
	v_fma_f64 v[34:35], v[2:3], v[34:35], -v[36:37]
	v_fma_f64 v[24:25], v[24:25], v[38:39], v[30:31]
	v_fma_f64 v[22:23], v[22:23], v[38:39], -v[32:33]
	v_add_f64 v[26:27], v[26:27], v[18:19]
	v_add_f64 v[28:29], v[28:29], v[20:21]
	ds_load_b128 v[2:5], v1 offset:1664
	ds_load_b128 v[18:21], v1 offset:1680
	s_waitcnt vmcnt(3) lgkmcnt(1)
	v_mul_f64 v[36:37], v[2:3], v[44:45]
	v_mul_f64 v[44:45], v[4:5], v[44:45]
	s_waitcnt vmcnt(2) lgkmcnt(0)
	v_mul_f64 v[30:31], v[18:19], v[8:9]
	v_mul_f64 v[8:9], v[20:21], v[8:9]
	v_add_f64 v[26:27], v[26:27], v[34:35]
	v_add_f64 v[28:29], v[28:29], v[40:41]
	v_fma_f64 v[32:33], v[4:5], v[42:43], v[36:37]
	v_fma_f64 v[34:35], v[2:3], v[42:43], -v[44:45]
	v_fma_f64 v[20:21], v[20:21], v[6:7], v[30:31]
	v_fma_f64 v[6:7], v[18:19], v[6:7], -v[8:9]
	v_add_f64 v[26:27], v[26:27], v[22:23]
	v_add_f64 v[28:29], v[28:29], v[24:25]
	ds_load_b128 v[2:5], v1 offset:1696
	ds_load_b128 v[22:25], v1 offset:1712
	s_waitcnt vmcnt(1) lgkmcnt(1)
	v_mul_f64 v[36:37], v[2:3], v[12:13]
	v_mul_f64 v[12:13], v[4:5], v[12:13]
	v_add_f64 v[8:9], v[26:27], v[34:35]
	v_add_f64 v[18:19], v[28:29], v[32:33]
	s_waitcnt vmcnt(0) lgkmcnt(0)
	v_mul_f64 v[26:27], v[22:23], v[16:17]
	v_mul_f64 v[16:17], v[24:25], v[16:17]
	v_fma_f64 v[4:5], v[4:5], v[10:11], v[36:37]
	v_fma_f64 v[1:2], v[2:3], v[10:11], -v[12:13]
	v_add_f64 v[6:7], v[8:9], v[6:7]
	v_add_f64 v[8:9], v[18:19], v[20:21]
	v_fma_f64 v[10:11], v[24:25], v[14:15], v[26:27]
	v_fma_f64 v[12:13], v[22:23], v[14:15], -v[16:17]
	s_delay_alu instid0(VALU_DEP_4) | instskip(NEXT) | instid1(VALU_DEP_4)
	v_add_f64 v[1:2], v[6:7], v[1:2]
	v_add_f64 v[3:4], v[8:9], v[4:5]
	s_delay_alu instid0(VALU_DEP_2) | instskip(NEXT) | instid1(VALU_DEP_2)
	v_add_f64 v[1:2], v[1:2], v[12:13]
	v_add_f64 v[3:4], v[3:4], v[10:11]
	s_delay_alu instid0(VALU_DEP_2) | instskip(NEXT) | instid1(VALU_DEP_2)
	v_add_f64 v[1:2], v[157:158], -v[1:2]
	v_add_f64 v[3:4], v[159:160], -v[3:4]
	scratch_store_b128 off, v[1:4], off offset:144
	v_cmpx_lt_u32_e32 8, v154
	s_cbranch_execz .LBB53_321
; %bb.320:
	scratch_load_b128 v[1:4], v200, off
	v_mov_b32_e32 v5, 0
	s_delay_alu instid0(VALU_DEP_1)
	v_mov_b32_e32 v6, v5
	v_mov_b32_e32 v7, v5
	;; [unrolled: 1-line block ×3, first 2 shown]
	scratch_store_b128 off, v[5:8], off offset:128
	s_waitcnt vmcnt(0)
	ds_store_b128 v208, v[1:4]
.LBB53_321:
	s_or_b32 exec_lo, exec_lo, s2
	s_waitcnt lgkmcnt(0)
	s_waitcnt_vscnt null, 0x0
	s_barrier
	buffer_gl0_inv
	s_clause 0x7
	scratch_load_b128 v[2:5], off, off offset:144
	scratch_load_b128 v[6:9], off, off offset:160
	scratch_load_b128 v[10:13], off, off offset:176
	scratch_load_b128 v[14:17], off, off offset:192
	scratch_load_b128 v[18:21], off, off offset:208
	scratch_load_b128 v[22:25], off, off offset:224
	scratch_load_b128 v[26:29], off, off offset:240
	scratch_load_b128 v[30:33], off, off offset:256
	v_mov_b32_e32 v1, 0
	s_mov_b32 s2, exec_lo
	ds_load_b128 v[38:41], v1 offset:1008
	s_clause 0x1
	scratch_load_b128 v[34:37], off, off offset:272
	scratch_load_b128 v[42:45], off, off offset:128
	ds_load_b128 v[157:160], v1 offset:1024
	scratch_load_b128 v[171:174], off, off offset:288
	ds_load_b128 v[220:223], v1 offset:1056
	s_waitcnt vmcnt(10) lgkmcnt(2)
	v_mul_f64 v[48:49], v[40:41], v[4:5]
	v_mul_f64 v[4:5], v[38:39], v[4:5]
	s_delay_alu instid0(VALU_DEP_2) | instskip(NEXT) | instid1(VALU_DEP_2)
	v_fma_f64 v[48:49], v[38:39], v[2:3], -v[48:49]
	v_fma_f64 v[164:165], v[40:41], v[2:3], v[4:5]
	ds_load_b128 v[2:5], v1 offset:1040
	s_waitcnt vmcnt(9) lgkmcnt(2)
	v_mul_f64 v[50:51], v[157:158], v[8:9]
	v_mul_f64 v[8:9], v[159:160], v[8:9]
	scratch_load_b128 v[38:41], off, off offset:304
	s_waitcnt vmcnt(9) lgkmcnt(0)
	v_mul_f64 v[168:169], v[2:3], v[12:13]
	v_mul_f64 v[12:13], v[4:5], v[12:13]
	v_add_f64 v[48:49], v[48:49], 0
	v_fma_f64 v[50:51], v[159:160], v[6:7], v[50:51]
	v_fma_f64 v[157:158], v[157:158], v[6:7], -v[8:9]
	v_add_f64 v[159:160], v[164:165], 0
	scratch_load_b128 v[6:9], off, off offset:320
	v_fma_f64 v[168:169], v[4:5], v[10:11], v[168:169]
	v_fma_f64 v[226:227], v[2:3], v[10:11], -v[12:13]
	scratch_load_b128 v[10:13], off, off offset:336
	ds_load_b128 v[2:5], v1 offset:1072
	s_waitcnt vmcnt(10)
	v_mul_f64 v[164:165], v[220:221], v[16:17]
	v_mul_f64 v[16:17], v[222:223], v[16:17]
	v_add_f64 v[48:49], v[48:49], v[157:158]
	v_add_f64 v[50:51], v[159:160], v[50:51]
	ds_load_b128 v[157:160], v1 offset:1088
	s_waitcnt vmcnt(9) lgkmcnt(1)
	v_mul_f64 v[228:229], v[2:3], v[20:21]
	v_mul_f64 v[20:21], v[4:5], v[20:21]
	v_fma_f64 v[164:165], v[222:223], v[14:15], v[164:165]
	v_fma_f64 v[220:221], v[220:221], v[14:15], -v[16:17]
	scratch_load_b128 v[14:17], off, off offset:352
	v_add_f64 v[48:49], v[48:49], v[226:227]
	v_add_f64 v[50:51], v[50:51], v[168:169]
	v_fma_f64 v[226:227], v[4:5], v[18:19], v[228:229]
	v_fma_f64 v[228:229], v[2:3], v[18:19], -v[20:21]
	scratch_load_b128 v[18:21], off, off offset:368
	ds_load_b128 v[2:5], v1 offset:1104
	s_waitcnt vmcnt(10) lgkmcnt(1)
	v_mul_f64 v[168:169], v[157:158], v[24:25]
	v_mul_f64 v[24:25], v[159:160], v[24:25]
	v_add_f64 v[48:49], v[48:49], v[220:221]
	v_add_f64 v[50:51], v[50:51], v[164:165]
	s_waitcnt vmcnt(9) lgkmcnt(0)
	v_mul_f64 v[164:165], v[2:3], v[28:29]
	v_mul_f64 v[28:29], v[4:5], v[28:29]
	ds_load_b128 v[220:223], v1 offset:1120
	v_fma_f64 v[159:160], v[159:160], v[22:23], v[168:169]
	v_fma_f64 v[157:158], v[157:158], v[22:23], -v[24:25]
	scratch_load_b128 v[22:25], off, off offset:384
	v_add_f64 v[48:49], v[48:49], v[228:229]
	v_add_f64 v[50:51], v[50:51], v[226:227]
	v_fma_f64 v[164:165], v[4:5], v[26:27], v[164:165]
	v_fma_f64 v[226:227], v[2:3], v[26:27], -v[28:29]
	scratch_load_b128 v[26:29], off, off offset:400
	ds_load_b128 v[2:5], v1 offset:1136
	s_waitcnt vmcnt(10) lgkmcnt(1)
	v_mul_f64 v[168:169], v[220:221], v[32:33]
	v_mul_f64 v[32:33], v[222:223], v[32:33]
	s_waitcnt vmcnt(9) lgkmcnt(0)
	v_mul_f64 v[228:229], v[2:3], v[36:37]
	v_mul_f64 v[36:37], v[4:5], v[36:37]
	v_add_f64 v[48:49], v[48:49], v[157:158]
	v_add_f64 v[50:51], v[50:51], v[159:160]
	ds_load_b128 v[157:160], v1 offset:1152
	v_fma_f64 v[168:169], v[222:223], v[30:31], v[168:169]
	v_fma_f64 v[220:221], v[220:221], v[30:31], -v[32:33]
	scratch_load_b128 v[30:33], off, off offset:416
	v_add_f64 v[48:49], v[48:49], v[226:227]
	v_add_f64 v[50:51], v[50:51], v[164:165]
	v_fma_f64 v[226:227], v[4:5], v[34:35], v[228:229]
	v_fma_f64 v[228:229], v[2:3], v[34:35], -v[36:37]
	scratch_load_b128 v[34:37], off, off offset:432
	ds_load_b128 v[2:5], v1 offset:1168
	s_waitcnt vmcnt(9) lgkmcnt(1)
	v_mul_f64 v[164:165], v[157:158], v[173:174]
	v_mul_f64 v[173:174], v[159:160], v[173:174]
	v_add_f64 v[48:49], v[48:49], v[220:221]
	v_add_f64 v[50:51], v[50:51], v[168:169]
	ds_load_b128 v[220:223], v1 offset:1184
	v_fma_f64 v[164:165], v[159:160], v[171:172], v[164:165]
	v_fma_f64 v[171:172], v[157:158], v[171:172], -v[173:174]
	scratch_load_b128 v[157:160], off, off offset:448
	s_waitcnt vmcnt(9) lgkmcnt(1)
	v_mul_f64 v[168:169], v[2:3], v[40:41]
	v_mul_f64 v[40:41], v[4:5], v[40:41]
	v_add_f64 v[48:49], v[48:49], v[228:229]
	v_add_f64 v[50:51], v[50:51], v[226:227]
	s_delay_alu instid0(VALU_DEP_4) | instskip(NEXT) | instid1(VALU_DEP_4)
	v_fma_f64 v[168:169], v[4:5], v[38:39], v[168:169]
	v_fma_f64 v[228:229], v[2:3], v[38:39], -v[40:41]
	scratch_load_b128 v[38:41], off, off offset:464
	ds_load_b128 v[2:5], v1 offset:1200
	s_waitcnt vmcnt(9) lgkmcnt(1)
	v_mul_f64 v[226:227], v[220:221], v[8:9]
	v_mul_f64 v[8:9], v[222:223], v[8:9]
	v_add_f64 v[48:49], v[48:49], v[171:172]
	v_add_f64 v[50:51], v[50:51], v[164:165]
	s_waitcnt vmcnt(8) lgkmcnt(0)
	v_mul_f64 v[164:165], v[2:3], v[12:13]
	v_mul_f64 v[12:13], v[4:5], v[12:13]
	ds_load_b128 v[171:174], v1 offset:1216
	v_fma_f64 v[222:223], v[222:223], v[6:7], v[226:227]
	v_fma_f64 v[220:221], v[220:221], v[6:7], -v[8:9]
	scratch_load_b128 v[6:9], off, off offset:480
	v_add_f64 v[48:49], v[48:49], v[228:229]
	v_add_f64 v[50:51], v[50:51], v[168:169]
	v_fma_f64 v[164:165], v[4:5], v[10:11], v[164:165]
	v_fma_f64 v[226:227], v[2:3], v[10:11], -v[12:13]
	scratch_load_b128 v[10:13], off, off offset:496
	ds_load_b128 v[2:5], v1 offset:1232
	s_waitcnt vmcnt(9) lgkmcnt(1)
	v_mul_f64 v[168:169], v[171:172], v[16:17]
	v_mul_f64 v[16:17], v[173:174], v[16:17]
	s_waitcnt vmcnt(8) lgkmcnt(0)
	v_mul_f64 v[228:229], v[2:3], v[20:21]
	v_mul_f64 v[20:21], v[4:5], v[20:21]
	v_add_f64 v[48:49], v[48:49], v[220:221]
	v_add_f64 v[50:51], v[50:51], v[222:223]
	ds_load_b128 v[220:223], v1 offset:1248
	v_fma_f64 v[168:169], v[173:174], v[14:15], v[168:169]
	v_fma_f64 v[171:172], v[171:172], v[14:15], -v[16:17]
	scratch_load_b128 v[14:17], off, off offset:512
	v_add_f64 v[48:49], v[48:49], v[226:227]
	v_add_f64 v[50:51], v[50:51], v[164:165]
	v_fma_f64 v[226:227], v[4:5], v[18:19], v[228:229]
	v_fma_f64 v[228:229], v[2:3], v[18:19], -v[20:21]
	scratch_load_b128 v[18:21], off, off offset:528
	ds_load_b128 v[2:5], v1 offset:1264
	s_waitcnt vmcnt(9) lgkmcnt(1)
	v_mul_f64 v[164:165], v[220:221], v[24:25]
	v_mul_f64 v[24:25], v[222:223], v[24:25]
	v_add_f64 v[48:49], v[48:49], v[171:172]
	v_add_f64 v[50:51], v[50:51], v[168:169]
	s_waitcnt vmcnt(8) lgkmcnt(0)
	v_mul_f64 v[168:169], v[2:3], v[28:29]
	v_mul_f64 v[28:29], v[4:5], v[28:29]
	ds_load_b128 v[171:174], v1 offset:1280
	v_fma_f64 v[164:165], v[222:223], v[22:23], v[164:165]
	v_fma_f64 v[220:221], v[220:221], v[22:23], -v[24:25]
	scratch_load_b128 v[22:25], off, off offset:544
	v_add_f64 v[48:49], v[48:49], v[228:229]
	v_add_f64 v[50:51], v[50:51], v[226:227]
	v_fma_f64 v[168:169], v[4:5], v[26:27], v[168:169]
	v_fma_f64 v[228:229], v[2:3], v[26:27], -v[28:29]
	scratch_load_b128 v[26:29], off, off offset:560
	ds_load_b128 v[2:5], v1 offset:1296
	s_waitcnt vmcnt(9) lgkmcnt(1)
	v_mul_f64 v[226:227], v[171:172], v[32:33]
	v_mul_f64 v[32:33], v[173:174], v[32:33]
	v_add_f64 v[48:49], v[48:49], v[220:221]
	v_add_f64 v[50:51], v[50:51], v[164:165]
	s_waitcnt vmcnt(8) lgkmcnt(0)
	v_mul_f64 v[164:165], v[2:3], v[36:37]
	v_mul_f64 v[36:37], v[4:5], v[36:37]
	ds_load_b128 v[220:223], v1 offset:1312
	v_fma_f64 v[173:174], v[173:174], v[30:31], v[226:227]
	v_fma_f64 v[171:172], v[171:172], v[30:31], -v[32:33]
	scratch_load_b128 v[30:33], off, off offset:576
	v_add_f64 v[48:49], v[48:49], v[228:229]
	v_add_f64 v[50:51], v[50:51], v[168:169]
	v_fma_f64 v[164:165], v[4:5], v[34:35], v[164:165]
	v_fma_f64 v[226:227], v[2:3], v[34:35], -v[36:37]
	scratch_load_b128 v[34:37], off, off offset:592
	ds_load_b128 v[2:5], v1 offset:1328
	s_waitcnt vmcnt(9) lgkmcnt(1)
	v_mul_f64 v[168:169], v[220:221], v[159:160]
	v_mul_f64 v[159:160], v[222:223], v[159:160]
	s_waitcnt vmcnt(8) lgkmcnt(0)
	v_mul_f64 v[228:229], v[2:3], v[40:41]
	v_mul_f64 v[40:41], v[4:5], v[40:41]
	v_add_f64 v[48:49], v[48:49], v[171:172]
	v_add_f64 v[50:51], v[50:51], v[173:174]
	ds_load_b128 v[171:174], v1 offset:1344
	v_fma_f64 v[168:169], v[222:223], v[157:158], v[168:169]
	v_fma_f64 v[220:221], v[220:221], v[157:158], -v[159:160]
	scratch_load_b128 v[157:160], off, off offset:608
	v_add_f64 v[48:49], v[48:49], v[226:227]
	v_add_f64 v[50:51], v[50:51], v[164:165]
	v_fma_f64 v[226:227], v[4:5], v[38:39], v[228:229]
	v_fma_f64 v[228:229], v[2:3], v[38:39], -v[40:41]
	scratch_load_b128 v[38:41], off, off offset:624
	ds_load_b128 v[2:5], v1 offset:1360
	s_waitcnt vmcnt(9) lgkmcnt(1)
	v_mul_f64 v[164:165], v[171:172], v[8:9]
	v_mul_f64 v[8:9], v[173:174], v[8:9]
	v_add_f64 v[48:49], v[48:49], v[220:221]
	v_add_f64 v[50:51], v[50:51], v[168:169]
	s_waitcnt vmcnt(8) lgkmcnt(0)
	v_mul_f64 v[168:169], v[2:3], v[12:13]
	v_mul_f64 v[12:13], v[4:5], v[12:13]
	ds_load_b128 v[220:223], v1 offset:1376
	v_fma_f64 v[164:165], v[173:174], v[6:7], v[164:165]
	v_fma_f64 v[171:172], v[171:172], v[6:7], -v[8:9]
	scratch_load_b128 v[6:9], off, off offset:640
	v_add_f64 v[48:49], v[48:49], v[228:229]
	v_add_f64 v[50:51], v[50:51], v[226:227]
	;; [unrolled: 54-line block ×4, first 2 shown]
	v_fma_f64 v[168:169], v[4:5], v[18:19], v[168:169]
	v_fma_f64 v[228:229], v[2:3], v[18:19], -v[20:21]
	scratch_load_b128 v[18:21], off, off offset:848
	ds_load_b128 v[2:5], v1 offset:1584
	s_waitcnt vmcnt(9) lgkmcnt(1)
	v_mul_f64 v[226:227], v[220:221], v[24:25]
	v_mul_f64 v[24:25], v[222:223], v[24:25]
	v_add_f64 v[48:49], v[48:49], v[171:172]
	v_add_f64 v[50:51], v[50:51], v[164:165]
	s_waitcnt vmcnt(8) lgkmcnt(0)
	v_mul_f64 v[164:165], v[2:3], v[28:29]
	v_mul_f64 v[28:29], v[4:5], v[28:29]
	ds_load_b128 v[171:174], v1 offset:1600
	v_fma_f64 v[222:223], v[222:223], v[22:23], v[226:227]
	v_fma_f64 v[22:23], v[220:221], v[22:23], -v[24:25]
	v_add_f64 v[24:25], v[48:49], v[228:229]
	v_add_f64 v[48:49], v[50:51], v[168:169]
	s_waitcnt vmcnt(7) lgkmcnt(0)
	v_mul_f64 v[50:51], v[171:172], v[32:33]
	v_mul_f64 v[32:33], v[173:174], v[32:33]
	v_fma_f64 v[164:165], v[4:5], v[26:27], v[164:165]
	v_fma_f64 v[26:27], v[2:3], v[26:27], -v[28:29]
	v_add_f64 v[28:29], v[24:25], v[22:23]
	v_add_f64 v[48:49], v[48:49], v[222:223]
	ds_load_b128 v[2:5], v1 offset:1616
	ds_load_b128 v[22:25], v1 offset:1632
	v_fma_f64 v[50:51], v[173:174], v[30:31], v[50:51]
	v_fma_f64 v[30:31], v[171:172], v[30:31], -v[32:33]
	s_waitcnt vmcnt(6) lgkmcnt(1)
	v_mul_f64 v[168:169], v[2:3], v[36:37]
	v_mul_f64 v[36:37], v[4:5], v[36:37]
	s_waitcnt vmcnt(5) lgkmcnt(0)
	v_mul_f64 v[32:33], v[22:23], v[159:160]
	v_add_f64 v[26:27], v[28:29], v[26:27]
	v_add_f64 v[28:29], v[48:49], v[164:165]
	v_mul_f64 v[48:49], v[24:25], v[159:160]
	v_fma_f64 v[159:160], v[4:5], v[34:35], v[168:169]
	v_fma_f64 v[34:35], v[2:3], v[34:35], -v[36:37]
	v_fma_f64 v[24:25], v[24:25], v[157:158], v[32:33]
	v_add_f64 v[30:31], v[26:27], v[30:31]
	v_add_f64 v[36:37], v[28:29], v[50:51]
	ds_load_b128 v[2:5], v1 offset:1648
	ds_load_b128 v[26:29], v1 offset:1664
	v_fma_f64 v[22:23], v[22:23], v[157:158], -v[48:49]
	s_waitcnt vmcnt(4) lgkmcnt(1)
	v_mul_f64 v[50:51], v[2:3], v[40:41]
	v_mul_f64 v[40:41], v[4:5], v[40:41]
	v_add_f64 v[30:31], v[30:31], v[34:35]
	v_add_f64 v[32:33], v[36:37], v[159:160]
	s_waitcnt vmcnt(3) lgkmcnt(0)
	v_mul_f64 v[34:35], v[26:27], v[8:9]
	v_mul_f64 v[8:9], v[28:29], v[8:9]
	v_fma_f64 v[36:37], v[4:5], v[38:39], v[50:51]
	v_fma_f64 v[38:39], v[2:3], v[38:39], -v[40:41]
	v_add_f64 v[30:31], v[30:31], v[22:23]
	v_add_f64 v[32:33], v[32:33], v[24:25]
	ds_load_b128 v[2:5], v1 offset:1680
	ds_load_b128 v[22:25], v1 offset:1696
	v_fma_f64 v[28:29], v[28:29], v[6:7], v[34:35]
	v_fma_f64 v[6:7], v[26:27], v[6:7], -v[8:9]
	s_waitcnt vmcnt(2) lgkmcnt(1)
	v_mul_f64 v[40:41], v[2:3], v[12:13]
	v_mul_f64 v[12:13], v[4:5], v[12:13]
	v_add_f64 v[8:9], v[30:31], v[38:39]
	v_add_f64 v[26:27], v[32:33], v[36:37]
	s_waitcnt vmcnt(1) lgkmcnt(0)
	v_mul_f64 v[30:31], v[22:23], v[16:17]
	v_mul_f64 v[16:17], v[24:25], v[16:17]
	v_fma_f64 v[32:33], v[4:5], v[10:11], v[40:41]
	v_fma_f64 v[10:11], v[2:3], v[10:11], -v[12:13]
	ds_load_b128 v[2:5], v1 offset:1712
	v_add_f64 v[6:7], v[8:9], v[6:7]
	v_add_f64 v[8:9], v[26:27], v[28:29]
	v_fma_f64 v[24:25], v[24:25], v[14:15], v[30:31]
	v_fma_f64 v[14:15], v[22:23], v[14:15], -v[16:17]
	s_waitcnt vmcnt(0) lgkmcnt(0)
	v_mul_f64 v[12:13], v[2:3], v[20:21]
	v_mul_f64 v[20:21], v[4:5], v[20:21]
	v_add_f64 v[6:7], v[6:7], v[10:11]
	v_add_f64 v[8:9], v[8:9], v[32:33]
	s_delay_alu instid0(VALU_DEP_4) | instskip(NEXT) | instid1(VALU_DEP_4)
	v_fma_f64 v[4:5], v[4:5], v[18:19], v[12:13]
	v_fma_f64 v[2:3], v[2:3], v[18:19], -v[20:21]
	s_delay_alu instid0(VALU_DEP_4) | instskip(NEXT) | instid1(VALU_DEP_4)
	v_add_f64 v[6:7], v[6:7], v[14:15]
	v_add_f64 v[8:9], v[8:9], v[24:25]
	s_delay_alu instid0(VALU_DEP_2) | instskip(NEXT) | instid1(VALU_DEP_2)
	v_add_f64 v[2:3], v[6:7], v[2:3]
	v_add_f64 v[4:5], v[8:9], v[4:5]
	s_delay_alu instid0(VALU_DEP_2) | instskip(NEXT) | instid1(VALU_DEP_2)
	v_add_f64 v[2:3], v[42:43], -v[2:3]
	v_add_f64 v[4:5], v[44:45], -v[4:5]
	scratch_store_b128 off, v[2:5], off offset:128
	v_cmpx_lt_u32_e32 7, v154
	s_cbranch_execz .LBB53_323
; %bb.322:
	scratch_load_b128 v[5:8], v201, off
	v_mov_b32_e32 v2, v1
	v_mov_b32_e32 v3, v1
	;; [unrolled: 1-line block ×3, first 2 shown]
	scratch_store_b128 off, v[1:4], off offset:112
	s_waitcnt vmcnt(0)
	ds_store_b128 v208, v[5:8]
.LBB53_323:
	s_or_b32 exec_lo, exec_lo, s2
	s_waitcnt lgkmcnt(0)
	s_waitcnt_vscnt null, 0x0
	s_barrier
	buffer_gl0_inv
	s_clause 0x8
	scratch_load_b128 v[2:5], off, off offset:128
	scratch_load_b128 v[6:9], off, off offset:144
	;; [unrolled: 1-line block ×9, first 2 shown]
	ds_load_b128 v[42:45], v1 offset:992
	ds_load_b128 v[38:41], v1 offset:1008
	s_clause 0x1
	scratch_load_b128 v[157:160], off, off offset:112
	scratch_load_b128 v[171:174], off, off offset:272
	s_mov_b32 s2, exec_lo
	ds_load_b128 v[220:223], v1 offset:1040
	s_waitcnt vmcnt(10) lgkmcnt(2)
	v_mul_f64 v[48:49], v[44:45], v[4:5]
	v_mul_f64 v[4:5], v[42:43], v[4:5]
	s_waitcnt vmcnt(9) lgkmcnt(1)
	v_mul_f64 v[50:51], v[38:39], v[8:9]
	v_mul_f64 v[8:9], v[40:41], v[8:9]
	s_delay_alu instid0(VALU_DEP_4) | instskip(NEXT) | instid1(VALU_DEP_4)
	v_fma_f64 v[48:49], v[42:43], v[2:3], -v[48:49]
	v_fma_f64 v[164:165], v[44:45], v[2:3], v[4:5]
	ds_load_b128 v[2:5], v1 offset:1024
	scratch_load_b128 v[42:45], off, off offset:288
	v_fma_f64 v[40:41], v[40:41], v[6:7], v[50:51]
	v_fma_f64 v[38:39], v[38:39], v[6:7], -v[8:9]
	scratch_load_b128 v[6:9], off, off offset:304
	s_waitcnt vmcnt(10) lgkmcnt(0)
	v_mul_f64 v[168:169], v[2:3], v[12:13]
	v_mul_f64 v[12:13], v[4:5], v[12:13]
	v_add_f64 v[48:49], v[48:49], 0
	v_add_f64 v[50:51], v[164:165], 0
	s_waitcnt vmcnt(9)
	v_mul_f64 v[164:165], v[220:221], v[16:17]
	v_mul_f64 v[16:17], v[222:223], v[16:17]
	v_fma_f64 v[168:169], v[4:5], v[10:11], v[168:169]
	v_fma_f64 v[226:227], v[2:3], v[10:11], -v[12:13]
	ds_load_b128 v[2:5], v1 offset:1056
	scratch_load_b128 v[10:13], off, off offset:320
	v_add_f64 v[48:49], v[48:49], v[38:39]
	v_add_f64 v[50:51], v[50:51], v[40:41]
	ds_load_b128 v[38:41], v1 offset:1072
	v_fma_f64 v[164:165], v[222:223], v[14:15], v[164:165]
	v_fma_f64 v[220:221], v[220:221], v[14:15], -v[16:17]
	scratch_load_b128 v[14:17], off, off offset:336
	s_waitcnt vmcnt(10) lgkmcnt(1)
	v_mul_f64 v[228:229], v[2:3], v[20:21]
	v_mul_f64 v[20:21], v[4:5], v[20:21]
	v_add_f64 v[48:49], v[48:49], v[226:227]
	v_add_f64 v[50:51], v[50:51], v[168:169]
	s_waitcnt vmcnt(9) lgkmcnt(0)
	v_mul_f64 v[168:169], v[38:39], v[24:25]
	v_mul_f64 v[24:25], v[40:41], v[24:25]
	v_fma_f64 v[226:227], v[4:5], v[18:19], v[228:229]
	v_fma_f64 v[228:229], v[2:3], v[18:19], -v[20:21]
	ds_load_b128 v[2:5], v1 offset:1088
	scratch_load_b128 v[18:21], off, off offset:352
	v_add_f64 v[48:49], v[48:49], v[220:221]
	v_add_f64 v[50:51], v[50:51], v[164:165]
	ds_load_b128 v[220:223], v1 offset:1104
	s_waitcnt vmcnt(9) lgkmcnt(1)
	v_mul_f64 v[164:165], v[2:3], v[28:29]
	v_mul_f64 v[28:29], v[4:5], v[28:29]
	v_fma_f64 v[40:41], v[40:41], v[22:23], v[168:169]
	v_fma_f64 v[38:39], v[38:39], v[22:23], -v[24:25]
	scratch_load_b128 v[22:25], off, off offset:368
	s_waitcnt vmcnt(9) lgkmcnt(0)
	v_mul_f64 v[168:169], v[220:221], v[32:33]
	v_mul_f64 v[32:33], v[222:223], v[32:33]
	v_add_f64 v[48:49], v[48:49], v[228:229]
	v_add_f64 v[50:51], v[50:51], v[226:227]
	v_fma_f64 v[164:165], v[4:5], v[26:27], v[164:165]
	v_fma_f64 v[226:227], v[2:3], v[26:27], -v[28:29]
	ds_load_b128 v[2:5], v1 offset:1120
	scratch_load_b128 v[26:29], off, off offset:384
	v_fma_f64 v[168:169], v[222:223], v[30:31], v[168:169]
	v_fma_f64 v[220:221], v[220:221], v[30:31], -v[32:33]
	scratch_load_b128 v[30:33], off, off offset:400
	v_add_f64 v[48:49], v[48:49], v[38:39]
	v_add_f64 v[50:51], v[50:51], v[40:41]
	ds_load_b128 v[38:41], v1 offset:1136
	s_waitcnt vmcnt(10) lgkmcnt(1)
	v_mul_f64 v[228:229], v[2:3], v[36:37]
	v_mul_f64 v[36:37], v[4:5], v[36:37]
	v_add_f64 v[48:49], v[48:49], v[226:227]
	v_add_f64 v[50:51], v[50:51], v[164:165]
	s_waitcnt vmcnt(8) lgkmcnt(0)
	v_mul_f64 v[164:165], v[38:39], v[173:174]
	v_mul_f64 v[173:174], v[40:41], v[173:174]
	v_fma_f64 v[226:227], v[4:5], v[34:35], v[228:229]
	v_fma_f64 v[228:229], v[2:3], v[34:35], -v[36:37]
	ds_load_b128 v[2:5], v1 offset:1152
	scratch_load_b128 v[34:37], off, off offset:416
	v_add_f64 v[48:49], v[48:49], v[220:221]
	v_add_f64 v[50:51], v[50:51], v[168:169]
	ds_load_b128 v[220:223], v1 offset:1168
	v_fma_f64 v[164:165], v[40:41], v[171:172], v[164:165]
	v_fma_f64 v[171:172], v[38:39], v[171:172], -v[173:174]
	scratch_load_b128 v[38:41], off, off offset:432
	s_waitcnt vmcnt(9) lgkmcnt(1)
	v_mul_f64 v[168:169], v[2:3], v[44:45]
	v_mul_f64 v[44:45], v[4:5], v[44:45]
	v_add_f64 v[48:49], v[48:49], v[228:229]
	v_add_f64 v[50:51], v[50:51], v[226:227]
	s_waitcnt vmcnt(8) lgkmcnt(0)
	v_mul_f64 v[226:227], v[220:221], v[8:9]
	v_mul_f64 v[8:9], v[222:223], v[8:9]
	v_fma_f64 v[168:169], v[4:5], v[42:43], v[168:169]
	v_fma_f64 v[228:229], v[2:3], v[42:43], -v[44:45]
	ds_load_b128 v[2:5], v1 offset:1184
	scratch_load_b128 v[42:45], off, off offset:448
	v_add_f64 v[48:49], v[48:49], v[171:172]
	v_add_f64 v[50:51], v[50:51], v[164:165]
	ds_load_b128 v[171:174], v1 offset:1200
	s_waitcnt vmcnt(8) lgkmcnt(1)
	v_mul_f64 v[164:165], v[2:3], v[12:13]
	v_mul_f64 v[12:13], v[4:5], v[12:13]
	v_fma_f64 v[222:223], v[222:223], v[6:7], v[226:227]
	v_fma_f64 v[220:221], v[220:221], v[6:7], -v[8:9]
	scratch_load_b128 v[6:9], off, off offset:464
	v_add_f64 v[48:49], v[48:49], v[228:229]
	v_add_f64 v[50:51], v[50:51], v[168:169]
	s_waitcnt vmcnt(8) lgkmcnt(0)
	v_mul_f64 v[168:169], v[171:172], v[16:17]
	v_mul_f64 v[16:17], v[173:174], v[16:17]
	v_fma_f64 v[164:165], v[4:5], v[10:11], v[164:165]
	v_fma_f64 v[226:227], v[2:3], v[10:11], -v[12:13]
	ds_load_b128 v[2:5], v1 offset:1216
	scratch_load_b128 v[10:13], off, off offset:480
	v_add_f64 v[48:49], v[48:49], v[220:221]
	v_add_f64 v[50:51], v[50:51], v[222:223]
	ds_load_b128 v[220:223], v1 offset:1232
	s_waitcnt vmcnt(8) lgkmcnt(1)
	v_mul_f64 v[228:229], v[2:3], v[20:21]
	v_mul_f64 v[20:21], v[4:5], v[20:21]
	v_fma_f64 v[168:169], v[173:174], v[14:15], v[168:169]
	v_fma_f64 v[171:172], v[171:172], v[14:15], -v[16:17]
	scratch_load_b128 v[14:17], off, off offset:496
	;; [unrolled: 18-line block ×13, first 2 shown]
	v_add_f64 v[48:49], v[48:49], v[228:229]
	v_add_f64 v[50:51], v[50:51], v[168:169]
	s_waitcnt vmcnt(8) lgkmcnt(0)
	v_mul_f64 v[168:169], v[171:172], v[32:33]
	v_mul_f64 v[32:33], v[173:174], v[32:33]
	v_fma_f64 v[164:165], v[4:5], v[26:27], v[164:165]
	v_fma_f64 v[226:227], v[2:3], v[26:27], -v[28:29]
	ds_load_b128 v[2:5], v1 offset:1600
	ds_load_b128 v[26:29], v1 offset:1616
	v_add_f64 v[48:49], v[48:49], v[220:221]
	v_add_f64 v[50:51], v[50:51], v[222:223]
	s_waitcnt vmcnt(7) lgkmcnt(1)
	v_mul_f64 v[220:221], v[2:3], v[36:37]
	v_mul_f64 v[36:37], v[4:5], v[36:37]
	v_fma_f64 v[168:169], v[173:174], v[30:31], v[168:169]
	v_fma_f64 v[30:31], v[171:172], v[30:31], -v[32:33]
	v_add_f64 v[32:33], v[48:49], v[226:227]
	v_add_f64 v[48:49], v[50:51], v[164:165]
	s_waitcnt vmcnt(6) lgkmcnt(0)
	v_mul_f64 v[50:51], v[26:27], v[40:41]
	v_mul_f64 v[40:41], v[28:29], v[40:41]
	v_fma_f64 v[164:165], v[4:5], v[34:35], v[220:221]
	v_fma_f64 v[34:35], v[2:3], v[34:35], -v[36:37]
	v_add_f64 v[36:37], v[32:33], v[30:31]
	v_add_f64 v[48:49], v[48:49], v[168:169]
	ds_load_b128 v[2:5], v1 offset:1632
	ds_load_b128 v[30:33], v1 offset:1648
	v_fma_f64 v[28:29], v[28:29], v[38:39], v[50:51]
	v_fma_f64 v[26:27], v[26:27], v[38:39], -v[40:41]
	s_waitcnt vmcnt(5) lgkmcnt(1)
	v_mul_f64 v[168:169], v[2:3], v[44:45]
	v_mul_f64 v[44:45], v[4:5], v[44:45]
	s_waitcnt vmcnt(4) lgkmcnt(0)
	v_mul_f64 v[38:39], v[30:31], v[8:9]
	v_mul_f64 v[8:9], v[32:33], v[8:9]
	v_add_f64 v[34:35], v[36:37], v[34:35]
	v_add_f64 v[36:37], v[48:49], v[164:165]
	v_fma_f64 v[40:41], v[4:5], v[42:43], v[168:169]
	v_fma_f64 v[42:43], v[2:3], v[42:43], -v[44:45]
	v_fma_f64 v[32:33], v[32:33], v[6:7], v[38:39]
	v_fma_f64 v[6:7], v[30:31], v[6:7], -v[8:9]
	v_add_f64 v[34:35], v[34:35], v[26:27]
	v_add_f64 v[36:37], v[36:37], v[28:29]
	ds_load_b128 v[2:5], v1 offset:1664
	ds_load_b128 v[26:29], v1 offset:1680
	s_waitcnt vmcnt(3) lgkmcnt(1)
	v_mul_f64 v[44:45], v[2:3], v[12:13]
	v_mul_f64 v[12:13], v[4:5], v[12:13]
	v_add_f64 v[8:9], v[34:35], v[42:43]
	v_add_f64 v[30:31], v[36:37], v[40:41]
	s_waitcnt vmcnt(2) lgkmcnt(0)
	v_mul_f64 v[34:35], v[26:27], v[16:17]
	v_mul_f64 v[16:17], v[28:29], v[16:17]
	v_fma_f64 v[36:37], v[4:5], v[10:11], v[44:45]
	v_fma_f64 v[10:11], v[2:3], v[10:11], -v[12:13]
	v_add_f64 v[12:13], v[8:9], v[6:7]
	v_add_f64 v[30:31], v[30:31], v[32:33]
	ds_load_b128 v[2:5], v1 offset:1696
	ds_load_b128 v[6:9], v1 offset:1712
	v_fma_f64 v[28:29], v[28:29], v[14:15], v[34:35]
	v_fma_f64 v[14:15], v[26:27], v[14:15], -v[16:17]
	s_waitcnt vmcnt(1) lgkmcnt(1)
	v_mul_f64 v[32:33], v[2:3], v[20:21]
	v_mul_f64 v[20:21], v[4:5], v[20:21]
	s_waitcnt vmcnt(0) lgkmcnt(0)
	v_mul_f64 v[16:17], v[6:7], v[24:25]
	v_mul_f64 v[24:25], v[8:9], v[24:25]
	v_add_f64 v[10:11], v[12:13], v[10:11]
	v_add_f64 v[12:13], v[30:31], v[36:37]
	v_fma_f64 v[4:5], v[4:5], v[18:19], v[32:33]
	v_fma_f64 v[1:2], v[2:3], v[18:19], -v[20:21]
	v_fma_f64 v[8:9], v[8:9], v[22:23], v[16:17]
	v_fma_f64 v[6:7], v[6:7], v[22:23], -v[24:25]
	v_add_f64 v[10:11], v[10:11], v[14:15]
	v_add_f64 v[12:13], v[12:13], v[28:29]
	s_delay_alu instid0(VALU_DEP_2) | instskip(NEXT) | instid1(VALU_DEP_2)
	v_add_f64 v[1:2], v[10:11], v[1:2]
	v_add_f64 v[3:4], v[12:13], v[4:5]
	s_delay_alu instid0(VALU_DEP_2) | instskip(NEXT) | instid1(VALU_DEP_2)
	;; [unrolled: 3-line block ×3, first 2 shown]
	v_add_f64 v[1:2], v[157:158], -v[1:2]
	v_add_f64 v[3:4], v[159:160], -v[3:4]
	scratch_store_b128 off, v[1:4], off offset:112
	v_cmpx_lt_u32_e32 6, v154
	s_cbranch_execz .LBB53_325
; %bb.324:
	scratch_load_b128 v[1:4], v202, off
	v_mov_b32_e32 v5, 0
	s_delay_alu instid0(VALU_DEP_1)
	v_mov_b32_e32 v6, v5
	v_mov_b32_e32 v7, v5
	;; [unrolled: 1-line block ×3, first 2 shown]
	scratch_store_b128 off, v[5:8], off offset:96
	s_waitcnt vmcnt(0)
	ds_store_b128 v208, v[1:4]
.LBB53_325:
	s_or_b32 exec_lo, exec_lo, s2
	s_waitcnt lgkmcnt(0)
	s_waitcnt_vscnt null, 0x0
	s_barrier
	buffer_gl0_inv
	s_clause 0x7
	scratch_load_b128 v[2:5], off, off offset:112
	scratch_load_b128 v[6:9], off, off offset:128
	;; [unrolled: 1-line block ×8, first 2 shown]
	v_mov_b32_e32 v1, 0
	s_mov_b32 s2, exec_lo
	ds_load_b128 v[38:41], v1 offset:976
	s_clause 0x1
	scratch_load_b128 v[34:37], off, off offset:240
	scratch_load_b128 v[42:45], off, off offset:96
	ds_load_b128 v[157:160], v1 offset:992
	scratch_load_b128 v[171:174], off, off offset:256
	ds_load_b128 v[220:223], v1 offset:1024
	s_waitcnt vmcnt(10) lgkmcnt(2)
	v_mul_f64 v[48:49], v[40:41], v[4:5]
	v_mul_f64 v[4:5], v[38:39], v[4:5]
	s_delay_alu instid0(VALU_DEP_2) | instskip(NEXT) | instid1(VALU_DEP_2)
	v_fma_f64 v[48:49], v[38:39], v[2:3], -v[48:49]
	v_fma_f64 v[164:165], v[40:41], v[2:3], v[4:5]
	ds_load_b128 v[2:5], v1 offset:1008
	s_waitcnt vmcnt(9) lgkmcnt(2)
	v_mul_f64 v[50:51], v[157:158], v[8:9]
	v_mul_f64 v[8:9], v[159:160], v[8:9]
	scratch_load_b128 v[38:41], off, off offset:272
	s_waitcnt vmcnt(9) lgkmcnt(0)
	v_mul_f64 v[168:169], v[2:3], v[12:13]
	v_mul_f64 v[12:13], v[4:5], v[12:13]
	v_add_f64 v[48:49], v[48:49], 0
	v_fma_f64 v[50:51], v[159:160], v[6:7], v[50:51]
	v_fma_f64 v[157:158], v[157:158], v[6:7], -v[8:9]
	v_add_f64 v[159:160], v[164:165], 0
	scratch_load_b128 v[6:9], off, off offset:288
	v_fma_f64 v[168:169], v[4:5], v[10:11], v[168:169]
	v_fma_f64 v[226:227], v[2:3], v[10:11], -v[12:13]
	scratch_load_b128 v[10:13], off, off offset:304
	ds_load_b128 v[2:5], v1 offset:1040
	s_waitcnt vmcnt(10)
	v_mul_f64 v[164:165], v[220:221], v[16:17]
	v_mul_f64 v[16:17], v[222:223], v[16:17]
	v_add_f64 v[48:49], v[48:49], v[157:158]
	v_add_f64 v[50:51], v[159:160], v[50:51]
	ds_load_b128 v[157:160], v1 offset:1056
	s_waitcnt vmcnt(9) lgkmcnt(1)
	v_mul_f64 v[228:229], v[2:3], v[20:21]
	v_mul_f64 v[20:21], v[4:5], v[20:21]
	v_fma_f64 v[164:165], v[222:223], v[14:15], v[164:165]
	v_fma_f64 v[220:221], v[220:221], v[14:15], -v[16:17]
	scratch_load_b128 v[14:17], off, off offset:320
	v_add_f64 v[48:49], v[48:49], v[226:227]
	v_add_f64 v[50:51], v[50:51], v[168:169]
	v_fma_f64 v[226:227], v[4:5], v[18:19], v[228:229]
	v_fma_f64 v[228:229], v[2:3], v[18:19], -v[20:21]
	scratch_load_b128 v[18:21], off, off offset:336
	ds_load_b128 v[2:5], v1 offset:1072
	s_waitcnt vmcnt(10) lgkmcnt(1)
	v_mul_f64 v[168:169], v[157:158], v[24:25]
	v_mul_f64 v[24:25], v[159:160], v[24:25]
	v_add_f64 v[48:49], v[48:49], v[220:221]
	v_add_f64 v[50:51], v[50:51], v[164:165]
	s_waitcnt vmcnt(9) lgkmcnt(0)
	v_mul_f64 v[164:165], v[2:3], v[28:29]
	v_mul_f64 v[28:29], v[4:5], v[28:29]
	ds_load_b128 v[220:223], v1 offset:1088
	v_fma_f64 v[159:160], v[159:160], v[22:23], v[168:169]
	v_fma_f64 v[157:158], v[157:158], v[22:23], -v[24:25]
	scratch_load_b128 v[22:25], off, off offset:352
	v_add_f64 v[48:49], v[48:49], v[228:229]
	v_add_f64 v[50:51], v[50:51], v[226:227]
	v_fma_f64 v[164:165], v[4:5], v[26:27], v[164:165]
	v_fma_f64 v[226:227], v[2:3], v[26:27], -v[28:29]
	scratch_load_b128 v[26:29], off, off offset:368
	ds_load_b128 v[2:5], v1 offset:1104
	s_waitcnt vmcnt(10) lgkmcnt(1)
	v_mul_f64 v[168:169], v[220:221], v[32:33]
	v_mul_f64 v[32:33], v[222:223], v[32:33]
	s_waitcnt vmcnt(9) lgkmcnt(0)
	v_mul_f64 v[228:229], v[2:3], v[36:37]
	v_mul_f64 v[36:37], v[4:5], v[36:37]
	v_add_f64 v[48:49], v[48:49], v[157:158]
	v_add_f64 v[50:51], v[50:51], v[159:160]
	ds_load_b128 v[157:160], v1 offset:1120
	v_fma_f64 v[168:169], v[222:223], v[30:31], v[168:169]
	v_fma_f64 v[220:221], v[220:221], v[30:31], -v[32:33]
	scratch_load_b128 v[30:33], off, off offset:384
	v_add_f64 v[48:49], v[48:49], v[226:227]
	v_add_f64 v[50:51], v[50:51], v[164:165]
	v_fma_f64 v[226:227], v[4:5], v[34:35], v[228:229]
	v_fma_f64 v[228:229], v[2:3], v[34:35], -v[36:37]
	scratch_load_b128 v[34:37], off, off offset:400
	ds_load_b128 v[2:5], v1 offset:1136
	s_waitcnt vmcnt(9) lgkmcnt(1)
	v_mul_f64 v[164:165], v[157:158], v[173:174]
	v_mul_f64 v[173:174], v[159:160], v[173:174]
	v_add_f64 v[48:49], v[48:49], v[220:221]
	v_add_f64 v[50:51], v[50:51], v[168:169]
	ds_load_b128 v[220:223], v1 offset:1152
	v_fma_f64 v[164:165], v[159:160], v[171:172], v[164:165]
	v_fma_f64 v[171:172], v[157:158], v[171:172], -v[173:174]
	scratch_load_b128 v[157:160], off, off offset:416
	s_waitcnt vmcnt(9) lgkmcnt(1)
	v_mul_f64 v[168:169], v[2:3], v[40:41]
	v_mul_f64 v[40:41], v[4:5], v[40:41]
	v_add_f64 v[48:49], v[48:49], v[228:229]
	v_add_f64 v[50:51], v[50:51], v[226:227]
	s_delay_alu instid0(VALU_DEP_4) | instskip(NEXT) | instid1(VALU_DEP_4)
	v_fma_f64 v[168:169], v[4:5], v[38:39], v[168:169]
	v_fma_f64 v[228:229], v[2:3], v[38:39], -v[40:41]
	scratch_load_b128 v[38:41], off, off offset:432
	ds_load_b128 v[2:5], v1 offset:1168
	s_waitcnt vmcnt(9) lgkmcnt(1)
	v_mul_f64 v[226:227], v[220:221], v[8:9]
	v_mul_f64 v[8:9], v[222:223], v[8:9]
	v_add_f64 v[48:49], v[48:49], v[171:172]
	v_add_f64 v[50:51], v[50:51], v[164:165]
	s_waitcnt vmcnt(8) lgkmcnt(0)
	v_mul_f64 v[164:165], v[2:3], v[12:13]
	v_mul_f64 v[12:13], v[4:5], v[12:13]
	ds_load_b128 v[171:174], v1 offset:1184
	v_fma_f64 v[222:223], v[222:223], v[6:7], v[226:227]
	v_fma_f64 v[220:221], v[220:221], v[6:7], -v[8:9]
	scratch_load_b128 v[6:9], off, off offset:448
	v_add_f64 v[48:49], v[48:49], v[228:229]
	v_add_f64 v[50:51], v[50:51], v[168:169]
	v_fma_f64 v[164:165], v[4:5], v[10:11], v[164:165]
	v_fma_f64 v[226:227], v[2:3], v[10:11], -v[12:13]
	scratch_load_b128 v[10:13], off, off offset:464
	ds_load_b128 v[2:5], v1 offset:1200
	s_waitcnt vmcnt(9) lgkmcnt(1)
	v_mul_f64 v[168:169], v[171:172], v[16:17]
	v_mul_f64 v[16:17], v[173:174], v[16:17]
	s_waitcnt vmcnt(8) lgkmcnt(0)
	v_mul_f64 v[228:229], v[2:3], v[20:21]
	v_mul_f64 v[20:21], v[4:5], v[20:21]
	v_add_f64 v[48:49], v[48:49], v[220:221]
	v_add_f64 v[50:51], v[50:51], v[222:223]
	ds_load_b128 v[220:223], v1 offset:1216
	v_fma_f64 v[168:169], v[173:174], v[14:15], v[168:169]
	v_fma_f64 v[171:172], v[171:172], v[14:15], -v[16:17]
	scratch_load_b128 v[14:17], off, off offset:480
	v_add_f64 v[48:49], v[48:49], v[226:227]
	v_add_f64 v[50:51], v[50:51], v[164:165]
	v_fma_f64 v[226:227], v[4:5], v[18:19], v[228:229]
	v_fma_f64 v[228:229], v[2:3], v[18:19], -v[20:21]
	scratch_load_b128 v[18:21], off, off offset:496
	ds_load_b128 v[2:5], v1 offset:1232
	s_waitcnt vmcnt(9) lgkmcnt(1)
	v_mul_f64 v[164:165], v[220:221], v[24:25]
	v_mul_f64 v[24:25], v[222:223], v[24:25]
	v_add_f64 v[48:49], v[48:49], v[171:172]
	v_add_f64 v[50:51], v[50:51], v[168:169]
	s_waitcnt vmcnt(8) lgkmcnt(0)
	v_mul_f64 v[168:169], v[2:3], v[28:29]
	v_mul_f64 v[28:29], v[4:5], v[28:29]
	ds_load_b128 v[171:174], v1 offset:1248
	v_fma_f64 v[164:165], v[222:223], v[22:23], v[164:165]
	v_fma_f64 v[220:221], v[220:221], v[22:23], -v[24:25]
	scratch_load_b128 v[22:25], off, off offset:512
	v_add_f64 v[48:49], v[48:49], v[228:229]
	v_add_f64 v[50:51], v[50:51], v[226:227]
	v_fma_f64 v[168:169], v[4:5], v[26:27], v[168:169]
	v_fma_f64 v[228:229], v[2:3], v[26:27], -v[28:29]
	scratch_load_b128 v[26:29], off, off offset:528
	ds_load_b128 v[2:5], v1 offset:1264
	s_waitcnt vmcnt(9) lgkmcnt(1)
	v_mul_f64 v[226:227], v[171:172], v[32:33]
	v_mul_f64 v[32:33], v[173:174], v[32:33]
	v_add_f64 v[48:49], v[48:49], v[220:221]
	v_add_f64 v[50:51], v[50:51], v[164:165]
	s_waitcnt vmcnt(8) lgkmcnt(0)
	v_mul_f64 v[164:165], v[2:3], v[36:37]
	v_mul_f64 v[36:37], v[4:5], v[36:37]
	ds_load_b128 v[220:223], v1 offset:1280
	v_fma_f64 v[173:174], v[173:174], v[30:31], v[226:227]
	v_fma_f64 v[171:172], v[171:172], v[30:31], -v[32:33]
	scratch_load_b128 v[30:33], off, off offset:544
	v_add_f64 v[48:49], v[48:49], v[228:229]
	v_add_f64 v[50:51], v[50:51], v[168:169]
	v_fma_f64 v[164:165], v[4:5], v[34:35], v[164:165]
	v_fma_f64 v[226:227], v[2:3], v[34:35], -v[36:37]
	scratch_load_b128 v[34:37], off, off offset:560
	ds_load_b128 v[2:5], v1 offset:1296
	s_waitcnt vmcnt(9) lgkmcnt(1)
	v_mul_f64 v[168:169], v[220:221], v[159:160]
	v_mul_f64 v[159:160], v[222:223], v[159:160]
	s_waitcnt vmcnt(8) lgkmcnt(0)
	v_mul_f64 v[228:229], v[2:3], v[40:41]
	v_mul_f64 v[40:41], v[4:5], v[40:41]
	v_add_f64 v[48:49], v[48:49], v[171:172]
	v_add_f64 v[50:51], v[50:51], v[173:174]
	ds_load_b128 v[171:174], v1 offset:1312
	v_fma_f64 v[168:169], v[222:223], v[157:158], v[168:169]
	v_fma_f64 v[220:221], v[220:221], v[157:158], -v[159:160]
	scratch_load_b128 v[157:160], off, off offset:576
	v_add_f64 v[48:49], v[48:49], v[226:227]
	v_add_f64 v[50:51], v[50:51], v[164:165]
	v_fma_f64 v[226:227], v[4:5], v[38:39], v[228:229]
	v_fma_f64 v[228:229], v[2:3], v[38:39], -v[40:41]
	scratch_load_b128 v[38:41], off, off offset:592
	ds_load_b128 v[2:5], v1 offset:1328
	s_waitcnt vmcnt(9) lgkmcnt(1)
	v_mul_f64 v[164:165], v[171:172], v[8:9]
	v_mul_f64 v[8:9], v[173:174], v[8:9]
	v_add_f64 v[48:49], v[48:49], v[220:221]
	v_add_f64 v[50:51], v[50:51], v[168:169]
	s_waitcnt vmcnt(8) lgkmcnt(0)
	v_mul_f64 v[168:169], v[2:3], v[12:13]
	v_mul_f64 v[12:13], v[4:5], v[12:13]
	ds_load_b128 v[220:223], v1 offset:1344
	v_fma_f64 v[164:165], v[173:174], v[6:7], v[164:165]
	v_fma_f64 v[171:172], v[171:172], v[6:7], -v[8:9]
	scratch_load_b128 v[6:9], off, off offset:608
	v_add_f64 v[48:49], v[48:49], v[228:229]
	v_add_f64 v[50:51], v[50:51], v[226:227]
	;; [unrolled: 54-line block ×4, first 2 shown]
	v_fma_f64 v[168:169], v[4:5], v[18:19], v[168:169]
	v_fma_f64 v[228:229], v[2:3], v[18:19], -v[20:21]
	scratch_load_b128 v[18:21], off, off offset:816
	ds_load_b128 v[2:5], v1 offset:1552
	s_waitcnt vmcnt(9) lgkmcnt(1)
	v_mul_f64 v[226:227], v[220:221], v[24:25]
	v_mul_f64 v[24:25], v[222:223], v[24:25]
	v_add_f64 v[48:49], v[48:49], v[171:172]
	v_add_f64 v[50:51], v[50:51], v[164:165]
	s_waitcnt vmcnt(8) lgkmcnt(0)
	v_mul_f64 v[164:165], v[2:3], v[28:29]
	v_mul_f64 v[28:29], v[4:5], v[28:29]
	ds_load_b128 v[171:174], v1 offset:1568
	v_fma_f64 v[222:223], v[222:223], v[22:23], v[226:227]
	v_fma_f64 v[220:221], v[220:221], v[22:23], -v[24:25]
	scratch_load_b128 v[22:25], off, off offset:832
	v_add_f64 v[48:49], v[48:49], v[228:229]
	v_add_f64 v[50:51], v[50:51], v[168:169]
	v_fma_f64 v[164:165], v[4:5], v[26:27], v[164:165]
	v_fma_f64 v[226:227], v[2:3], v[26:27], -v[28:29]
	scratch_load_b128 v[26:29], off, off offset:848
	ds_load_b128 v[2:5], v1 offset:1584
	s_waitcnt vmcnt(9) lgkmcnt(1)
	v_mul_f64 v[168:169], v[171:172], v[32:33]
	v_mul_f64 v[32:33], v[173:174], v[32:33]
	s_waitcnt vmcnt(8) lgkmcnt(0)
	v_mul_f64 v[228:229], v[2:3], v[36:37]
	v_mul_f64 v[36:37], v[4:5], v[36:37]
	v_add_f64 v[48:49], v[48:49], v[220:221]
	v_add_f64 v[50:51], v[50:51], v[222:223]
	ds_load_b128 v[220:223], v1 offset:1600
	v_fma_f64 v[168:169], v[173:174], v[30:31], v[168:169]
	v_fma_f64 v[30:31], v[171:172], v[30:31], -v[32:33]
	v_add_f64 v[32:33], v[48:49], v[226:227]
	v_add_f64 v[48:49], v[50:51], v[164:165]
	s_waitcnt vmcnt(7) lgkmcnt(0)
	v_mul_f64 v[50:51], v[220:221], v[159:160]
	v_mul_f64 v[159:160], v[222:223], v[159:160]
	v_fma_f64 v[164:165], v[4:5], v[34:35], v[228:229]
	v_fma_f64 v[34:35], v[2:3], v[34:35], -v[36:37]
	v_add_f64 v[36:37], v[32:33], v[30:31]
	v_add_f64 v[48:49], v[48:49], v[168:169]
	ds_load_b128 v[2:5], v1 offset:1616
	ds_load_b128 v[30:33], v1 offset:1632
	v_fma_f64 v[50:51], v[222:223], v[157:158], v[50:51]
	v_fma_f64 v[157:158], v[220:221], v[157:158], -v[159:160]
	s_waitcnt vmcnt(6) lgkmcnt(1)
	v_mul_f64 v[168:169], v[2:3], v[40:41]
	v_mul_f64 v[40:41], v[4:5], v[40:41]
	v_add_f64 v[34:35], v[36:37], v[34:35]
	v_add_f64 v[36:37], v[48:49], v[164:165]
	s_waitcnt vmcnt(5) lgkmcnt(0)
	v_mul_f64 v[48:49], v[30:31], v[8:9]
	v_mul_f64 v[8:9], v[32:33], v[8:9]
	v_fma_f64 v[159:160], v[4:5], v[38:39], v[168:169]
	v_fma_f64 v[38:39], v[2:3], v[38:39], -v[40:41]
	v_add_f64 v[40:41], v[34:35], v[157:158]
	v_add_f64 v[50:51], v[36:37], v[50:51]
	ds_load_b128 v[2:5], v1 offset:1648
	ds_load_b128 v[34:37], v1 offset:1664
	v_fma_f64 v[32:33], v[32:33], v[6:7], v[48:49]
	v_fma_f64 v[6:7], v[30:31], v[6:7], -v[8:9]
	s_waitcnt vmcnt(4) lgkmcnt(1)
	v_mul_f64 v[157:158], v[2:3], v[12:13]
	v_mul_f64 v[12:13], v[4:5], v[12:13]
	;; [unrolled: 16-line block ×3, first 2 shown]
	s_waitcnt vmcnt(1) lgkmcnt(0)
	v_mul_f64 v[16:17], v[6:7], v[24:25]
	v_mul_f64 v[24:25], v[8:9], v[24:25]
	v_add_f64 v[10:11], v[12:13], v[10:11]
	v_add_f64 v[12:13], v[30:31], v[40:41]
	v_fma_f64 v[30:31], v[4:5], v[18:19], v[32:33]
	v_fma_f64 v[18:19], v[2:3], v[18:19], -v[20:21]
	ds_load_b128 v[2:5], v1 offset:1712
	v_fma_f64 v[8:9], v[8:9], v[22:23], v[16:17]
	v_fma_f64 v[6:7], v[6:7], v[22:23], -v[24:25]
	v_add_f64 v[10:11], v[10:11], v[14:15]
	v_add_f64 v[12:13], v[12:13], v[36:37]
	s_waitcnt vmcnt(0) lgkmcnt(0)
	v_mul_f64 v[14:15], v[2:3], v[28:29]
	v_mul_f64 v[20:21], v[4:5], v[28:29]
	s_delay_alu instid0(VALU_DEP_4) | instskip(NEXT) | instid1(VALU_DEP_4)
	v_add_f64 v[10:11], v[10:11], v[18:19]
	v_add_f64 v[12:13], v[12:13], v[30:31]
	s_delay_alu instid0(VALU_DEP_4) | instskip(NEXT) | instid1(VALU_DEP_4)
	v_fma_f64 v[4:5], v[4:5], v[26:27], v[14:15]
	v_fma_f64 v[2:3], v[2:3], v[26:27], -v[20:21]
	s_delay_alu instid0(VALU_DEP_4) | instskip(NEXT) | instid1(VALU_DEP_4)
	v_add_f64 v[6:7], v[10:11], v[6:7]
	v_add_f64 v[8:9], v[12:13], v[8:9]
	s_delay_alu instid0(VALU_DEP_2) | instskip(NEXT) | instid1(VALU_DEP_2)
	v_add_f64 v[2:3], v[6:7], v[2:3]
	v_add_f64 v[4:5], v[8:9], v[4:5]
	s_delay_alu instid0(VALU_DEP_2) | instskip(NEXT) | instid1(VALU_DEP_2)
	v_add_f64 v[2:3], v[42:43], -v[2:3]
	v_add_f64 v[4:5], v[44:45], -v[4:5]
	scratch_store_b128 off, v[2:5], off offset:96
	v_cmpx_lt_u32_e32 5, v154
	s_cbranch_execz .LBB53_327
; %bb.326:
	scratch_load_b128 v[5:8], v203, off
	v_mov_b32_e32 v2, v1
	v_mov_b32_e32 v3, v1
	;; [unrolled: 1-line block ×3, first 2 shown]
	scratch_store_b128 off, v[1:4], off offset:80
	s_waitcnt vmcnt(0)
	ds_store_b128 v208, v[5:8]
.LBB53_327:
	s_or_b32 exec_lo, exec_lo, s2
	s_waitcnt lgkmcnt(0)
	s_waitcnt_vscnt null, 0x0
	s_barrier
	buffer_gl0_inv
	s_clause 0x8
	scratch_load_b128 v[2:5], off, off offset:96
	scratch_load_b128 v[6:9], off, off offset:112
	scratch_load_b128 v[10:13], off, off offset:128
	scratch_load_b128 v[14:17], off, off offset:144
	scratch_load_b128 v[18:21], off, off offset:160
	scratch_load_b128 v[22:25], off, off offset:176
	scratch_load_b128 v[26:29], off, off offset:192
	scratch_load_b128 v[30:33], off, off offset:208
	scratch_load_b128 v[34:37], off, off offset:224
	ds_load_b128 v[42:45], v1 offset:960
	ds_load_b128 v[38:41], v1 offset:976
	s_clause 0x1
	scratch_load_b128 v[157:160], off, off offset:80
	scratch_load_b128 v[171:174], off, off offset:240
	s_mov_b32 s2, exec_lo
	ds_load_b128 v[220:223], v1 offset:1008
	s_waitcnt vmcnt(10) lgkmcnt(2)
	v_mul_f64 v[48:49], v[44:45], v[4:5]
	v_mul_f64 v[4:5], v[42:43], v[4:5]
	s_waitcnt vmcnt(9) lgkmcnt(1)
	v_mul_f64 v[50:51], v[38:39], v[8:9]
	v_mul_f64 v[8:9], v[40:41], v[8:9]
	s_delay_alu instid0(VALU_DEP_4) | instskip(NEXT) | instid1(VALU_DEP_4)
	v_fma_f64 v[48:49], v[42:43], v[2:3], -v[48:49]
	v_fma_f64 v[164:165], v[44:45], v[2:3], v[4:5]
	ds_load_b128 v[2:5], v1 offset:992
	scratch_load_b128 v[42:45], off, off offset:256
	v_fma_f64 v[40:41], v[40:41], v[6:7], v[50:51]
	v_fma_f64 v[38:39], v[38:39], v[6:7], -v[8:9]
	scratch_load_b128 v[6:9], off, off offset:272
	s_waitcnt vmcnt(10) lgkmcnt(0)
	v_mul_f64 v[168:169], v[2:3], v[12:13]
	v_mul_f64 v[12:13], v[4:5], v[12:13]
	v_add_f64 v[48:49], v[48:49], 0
	v_add_f64 v[50:51], v[164:165], 0
	s_waitcnt vmcnt(9)
	v_mul_f64 v[164:165], v[220:221], v[16:17]
	v_mul_f64 v[16:17], v[222:223], v[16:17]
	v_fma_f64 v[168:169], v[4:5], v[10:11], v[168:169]
	v_fma_f64 v[226:227], v[2:3], v[10:11], -v[12:13]
	ds_load_b128 v[2:5], v1 offset:1024
	scratch_load_b128 v[10:13], off, off offset:288
	v_add_f64 v[48:49], v[48:49], v[38:39]
	v_add_f64 v[50:51], v[50:51], v[40:41]
	ds_load_b128 v[38:41], v1 offset:1040
	v_fma_f64 v[164:165], v[222:223], v[14:15], v[164:165]
	v_fma_f64 v[220:221], v[220:221], v[14:15], -v[16:17]
	scratch_load_b128 v[14:17], off, off offset:304
	s_waitcnt vmcnt(10) lgkmcnt(1)
	v_mul_f64 v[228:229], v[2:3], v[20:21]
	v_mul_f64 v[20:21], v[4:5], v[20:21]
	v_add_f64 v[48:49], v[48:49], v[226:227]
	v_add_f64 v[50:51], v[50:51], v[168:169]
	s_waitcnt vmcnt(9) lgkmcnt(0)
	v_mul_f64 v[168:169], v[38:39], v[24:25]
	v_mul_f64 v[24:25], v[40:41], v[24:25]
	v_fma_f64 v[226:227], v[4:5], v[18:19], v[228:229]
	v_fma_f64 v[228:229], v[2:3], v[18:19], -v[20:21]
	ds_load_b128 v[2:5], v1 offset:1056
	scratch_load_b128 v[18:21], off, off offset:320
	v_add_f64 v[48:49], v[48:49], v[220:221]
	v_add_f64 v[50:51], v[50:51], v[164:165]
	ds_load_b128 v[220:223], v1 offset:1072
	s_waitcnt vmcnt(9) lgkmcnt(1)
	v_mul_f64 v[164:165], v[2:3], v[28:29]
	v_mul_f64 v[28:29], v[4:5], v[28:29]
	v_fma_f64 v[40:41], v[40:41], v[22:23], v[168:169]
	v_fma_f64 v[38:39], v[38:39], v[22:23], -v[24:25]
	scratch_load_b128 v[22:25], off, off offset:336
	s_waitcnt vmcnt(9) lgkmcnt(0)
	v_mul_f64 v[168:169], v[220:221], v[32:33]
	v_mul_f64 v[32:33], v[222:223], v[32:33]
	v_add_f64 v[48:49], v[48:49], v[228:229]
	v_add_f64 v[50:51], v[50:51], v[226:227]
	v_fma_f64 v[164:165], v[4:5], v[26:27], v[164:165]
	v_fma_f64 v[226:227], v[2:3], v[26:27], -v[28:29]
	ds_load_b128 v[2:5], v1 offset:1088
	scratch_load_b128 v[26:29], off, off offset:352
	v_fma_f64 v[168:169], v[222:223], v[30:31], v[168:169]
	v_fma_f64 v[220:221], v[220:221], v[30:31], -v[32:33]
	scratch_load_b128 v[30:33], off, off offset:368
	v_add_f64 v[48:49], v[48:49], v[38:39]
	v_add_f64 v[50:51], v[50:51], v[40:41]
	ds_load_b128 v[38:41], v1 offset:1104
	s_waitcnt vmcnt(10) lgkmcnt(1)
	v_mul_f64 v[228:229], v[2:3], v[36:37]
	v_mul_f64 v[36:37], v[4:5], v[36:37]
	v_add_f64 v[48:49], v[48:49], v[226:227]
	v_add_f64 v[50:51], v[50:51], v[164:165]
	s_waitcnt vmcnt(8) lgkmcnt(0)
	v_mul_f64 v[164:165], v[38:39], v[173:174]
	v_mul_f64 v[173:174], v[40:41], v[173:174]
	v_fma_f64 v[226:227], v[4:5], v[34:35], v[228:229]
	v_fma_f64 v[228:229], v[2:3], v[34:35], -v[36:37]
	ds_load_b128 v[2:5], v1 offset:1120
	scratch_load_b128 v[34:37], off, off offset:384
	v_add_f64 v[48:49], v[48:49], v[220:221]
	v_add_f64 v[50:51], v[50:51], v[168:169]
	ds_load_b128 v[220:223], v1 offset:1136
	v_fma_f64 v[164:165], v[40:41], v[171:172], v[164:165]
	v_fma_f64 v[171:172], v[38:39], v[171:172], -v[173:174]
	scratch_load_b128 v[38:41], off, off offset:400
	s_waitcnt vmcnt(9) lgkmcnt(1)
	v_mul_f64 v[168:169], v[2:3], v[44:45]
	v_mul_f64 v[44:45], v[4:5], v[44:45]
	v_add_f64 v[48:49], v[48:49], v[228:229]
	v_add_f64 v[50:51], v[50:51], v[226:227]
	s_waitcnt vmcnt(8) lgkmcnt(0)
	v_mul_f64 v[226:227], v[220:221], v[8:9]
	v_mul_f64 v[8:9], v[222:223], v[8:9]
	v_fma_f64 v[168:169], v[4:5], v[42:43], v[168:169]
	v_fma_f64 v[228:229], v[2:3], v[42:43], -v[44:45]
	ds_load_b128 v[2:5], v1 offset:1152
	scratch_load_b128 v[42:45], off, off offset:416
	v_add_f64 v[48:49], v[48:49], v[171:172]
	v_add_f64 v[50:51], v[50:51], v[164:165]
	ds_load_b128 v[171:174], v1 offset:1168
	s_waitcnt vmcnt(8) lgkmcnt(1)
	v_mul_f64 v[164:165], v[2:3], v[12:13]
	v_mul_f64 v[12:13], v[4:5], v[12:13]
	v_fma_f64 v[222:223], v[222:223], v[6:7], v[226:227]
	v_fma_f64 v[220:221], v[220:221], v[6:7], -v[8:9]
	scratch_load_b128 v[6:9], off, off offset:432
	v_add_f64 v[48:49], v[48:49], v[228:229]
	v_add_f64 v[50:51], v[50:51], v[168:169]
	s_waitcnt vmcnt(8) lgkmcnt(0)
	v_mul_f64 v[168:169], v[171:172], v[16:17]
	v_mul_f64 v[16:17], v[173:174], v[16:17]
	v_fma_f64 v[164:165], v[4:5], v[10:11], v[164:165]
	v_fma_f64 v[226:227], v[2:3], v[10:11], -v[12:13]
	ds_load_b128 v[2:5], v1 offset:1184
	scratch_load_b128 v[10:13], off, off offset:448
	v_add_f64 v[48:49], v[48:49], v[220:221]
	v_add_f64 v[50:51], v[50:51], v[222:223]
	ds_load_b128 v[220:223], v1 offset:1200
	s_waitcnt vmcnt(8) lgkmcnt(1)
	v_mul_f64 v[228:229], v[2:3], v[20:21]
	v_mul_f64 v[20:21], v[4:5], v[20:21]
	v_fma_f64 v[168:169], v[173:174], v[14:15], v[168:169]
	v_fma_f64 v[171:172], v[171:172], v[14:15], -v[16:17]
	scratch_load_b128 v[14:17], off, off offset:464
	;; [unrolled: 18-line block ×14, first 2 shown]
	v_add_f64 v[48:49], v[48:49], v[226:227]
	v_add_f64 v[50:51], v[50:51], v[164:165]
	s_waitcnt vmcnt(8) lgkmcnt(0)
	v_mul_f64 v[164:165], v[220:221], v[40:41]
	v_mul_f64 v[40:41], v[222:223], v[40:41]
	v_fma_f64 v[173:174], v[4:5], v[34:35], v[228:229]
	v_fma_f64 v[226:227], v[2:3], v[34:35], -v[36:37]
	ds_load_b128 v[2:5], v1 offset:1600
	ds_load_b128 v[34:37], v1 offset:1616
	v_add_f64 v[48:49], v[48:49], v[171:172]
	v_add_f64 v[50:51], v[50:51], v[168:169]
	s_waitcnt vmcnt(7) lgkmcnt(1)
	v_mul_f64 v[168:169], v[2:3], v[44:45]
	v_mul_f64 v[44:45], v[4:5], v[44:45]
	v_fma_f64 v[164:165], v[222:223], v[38:39], v[164:165]
	v_fma_f64 v[38:39], v[220:221], v[38:39], -v[40:41]
	v_add_f64 v[40:41], v[48:49], v[226:227]
	v_add_f64 v[48:49], v[50:51], v[173:174]
	s_waitcnt vmcnt(6) lgkmcnt(0)
	v_mul_f64 v[50:51], v[34:35], v[8:9]
	v_mul_f64 v[8:9], v[36:37], v[8:9]
	v_fma_f64 v[168:169], v[4:5], v[42:43], v[168:169]
	v_fma_f64 v[42:43], v[2:3], v[42:43], -v[44:45]
	v_add_f64 v[44:45], v[40:41], v[38:39]
	v_add_f64 v[48:49], v[48:49], v[164:165]
	ds_load_b128 v[2:5], v1 offset:1632
	ds_load_b128 v[38:41], v1 offset:1648
	v_fma_f64 v[36:37], v[36:37], v[6:7], v[50:51]
	v_fma_f64 v[6:7], v[34:35], v[6:7], -v[8:9]
	s_waitcnt vmcnt(5) lgkmcnt(1)
	v_mul_f64 v[164:165], v[2:3], v[12:13]
	v_mul_f64 v[12:13], v[4:5], v[12:13]
	v_add_f64 v[8:9], v[44:45], v[42:43]
	v_add_f64 v[34:35], v[48:49], v[168:169]
	s_waitcnt vmcnt(4) lgkmcnt(0)
	v_mul_f64 v[42:43], v[38:39], v[16:17]
	v_mul_f64 v[16:17], v[40:41], v[16:17]
	v_fma_f64 v[44:45], v[4:5], v[10:11], v[164:165]
	v_fma_f64 v[10:11], v[2:3], v[10:11], -v[12:13]
	v_add_f64 v[12:13], v[8:9], v[6:7]
	v_add_f64 v[34:35], v[34:35], v[36:37]
	ds_load_b128 v[2:5], v1 offset:1664
	ds_load_b128 v[6:9], v1 offset:1680
	v_fma_f64 v[40:41], v[40:41], v[14:15], v[42:43]
	v_fma_f64 v[14:15], v[38:39], v[14:15], -v[16:17]
	s_waitcnt vmcnt(3) lgkmcnt(1)
	v_mul_f64 v[36:37], v[2:3], v[20:21]
	v_mul_f64 v[20:21], v[4:5], v[20:21]
	s_waitcnt vmcnt(2) lgkmcnt(0)
	v_mul_f64 v[16:17], v[6:7], v[24:25]
	v_mul_f64 v[24:25], v[8:9], v[24:25]
	v_add_f64 v[10:11], v[12:13], v[10:11]
	v_add_f64 v[12:13], v[34:35], v[44:45]
	v_fma_f64 v[34:35], v[4:5], v[18:19], v[36:37]
	v_fma_f64 v[18:19], v[2:3], v[18:19], -v[20:21]
	v_fma_f64 v[8:9], v[8:9], v[22:23], v[16:17]
	v_fma_f64 v[6:7], v[6:7], v[22:23], -v[24:25]
	v_add_f64 v[14:15], v[10:11], v[14:15]
	v_add_f64 v[20:21], v[12:13], v[40:41]
	ds_load_b128 v[2:5], v1 offset:1696
	ds_load_b128 v[10:13], v1 offset:1712
	s_waitcnt vmcnt(1) lgkmcnt(1)
	v_mul_f64 v[36:37], v[2:3], v[28:29]
	v_mul_f64 v[28:29], v[4:5], v[28:29]
	v_add_f64 v[14:15], v[14:15], v[18:19]
	v_add_f64 v[16:17], v[20:21], v[34:35]
	s_waitcnt vmcnt(0) lgkmcnt(0)
	v_mul_f64 v[18:19], v[10:11], v[32:33]
	v_mul_f64 v[20:21], v[12:13], v[32:33]
	v_fma_f64 v[4:5], v[4:5], v[26:27], v[36:37]
	v_fma_f64 v[1:2], v[2:3], v[26:27], -v[28:29]
	v_add_f64 v[6:7], v[14:15], v[6:7]
	v_add_f64 v[8:9], v[16:17], v[8:9]
	v_fma_f64 v[12:13], v[12:13], v[30:31], v[18:19]
	v_fma_f64 v[10:11], v[10:11], v[30:31], -v[20:21]
	s_delay_alu instid0(VALU_DEP_4) | instskip(NEXT) | instid1(VALU_DEP_4)
	v_add_f64 v[1:2], v[6:7], v[1:2]
	v_add_f64 v[3:4], v[8:9], v[4:5]
	s_delay_alu instid0(VALU_DEP_2) | instskip(NEXT) | instid1(VALU_DEP_2)
	v_add_f64 v[1:2], v[1:2], v[10:11]
	v_add_f64 v[3:4], v[3:4], v[12:13]
	s_delay_alu instid0(VALU_DEP_2) | instskip(NEXT) | instid1(VALU_DEP_2)
	v_add_f64 v[1:2], v[157:158], -v[1:2]
	v_add_f64 v[3:4], v[159:160], -v[3:4]
	scratch_store_b128 off, v[1:4], off offset:80
	v_cmpx_lt_u32_e32 4, v154
	s_cbranch_execz .LBB53_329
; %bb.328:
	scratch_load_b128 v[1:4], v204, off
	v_mov_b32_e32 v5, 0
	s_delay_alu instid0(VALU_DEP_1)
	v_mov_b32_e32 v6, v5
	v_mov_b32_e32 v7, v5
	;; [unrolled: 1-line block ×3, first 2 shown]
	scratch_store_b128 off, v[5:8], off offset:64
	s_waitcnt vmcnt(0)
	ds_store_b128 v208, v[1:4]
.LBB53_329:
	s_or_b32 exec_lo, exec_lo, s2
	s_waitcnt lgkmcnt(0)
	s_waitcnt_vscnt null, 0x0
	s_barrier
	buffer_gl0_inv
	s_clause 0x7
	scratch_load_b128 v[2:5], off, off offset:80
	scratch_load_b128 v[6:9], off, off offset:96
	;; [unrolled: 1-line block ×8, first 2 shown]
	v_mov_b32_e32 v1, 0
	s_mov_b32 s2, exec_lo
	ds_load_b128 v[38:41], v1 offset:944
	s_clause 0x1
	scratch_load_b128 v[34:37], off, off offset:208
	scratch_load_b128 v[42:45], off, off offset:64
	ds_load_b128 v[157:160], v1 offset:960
	scratch_load_b128 v[171:174], off, off offset:224
	ds_load_b128 v[220:223], v1 offset:992
	s_waitcnt vmcnt(10) lgkmcnt(2)
	v_mul_f64 v[48:49], v[40:41], v[4:5]
	v_mul_f64 v[4:5], v[38:39], v[4:5]
	s_delay_alu instid0(VALU_DEP_2) | instskip(NEXT) | instid1(VALU_DEP_2)
	v_fma_f64 v[48:49], v[38:39], v[2:3], -v[48:49]
	v_fma_f64 v[164:165], v[40:41], v[2:3], v[4:5]
	ds_load_b128 v[2:5], v1 offset:976
	s_waitcnt vmcnt(9) lgkmcnt(2)
	v_mul_f64 v[50:51], v[157:158], v[8:9]
	v_mul_f64 v[8:9], v[159:160], v[8:9]
	scratch_load_b128 v[38:41], off, off offset:240
	s_waitcnt vmcnt(9) lgkmcnt(0)
	v_mul_f64 v[168:169], v[2:3], v[12:13]
	v_mul_f64 v[12:13], v[4:5], v[12:13]
	v_add_f64 v[48:49], v[48:49], 0
	v_fma_f64 v[50:51], v[159:160], v[6:7], v[50:51]
	v_fma_f64 v[157:158], v[157:158], v[6:7], -v[8:9]
	v_add_f64 v[159:160], v[164:165], 0
	scratch_load_b128 v[6:9], off, off offset:256
	v_fma_f64 v[168:169], v[4:5], v[10:11], v[168:169]
	v_fma_f64 v[226:227], v[2:3], v[10:11], -v[12:13]
	scratch_load_b128 v[10:13], off, off offset:272
	ds_load_b128 v[2:5], v1 offset:1008
	s_waitcnt vmcnt(10)
	v_mul_f64 v[164:165], v[220:221], v[16:17]
	v_mul_f64 v[16:17], v[222:223], v[16:17]
	v_add_f64 v[48:49], v[48:49], v[157:158]
	v_add_f64 v[50:51], v[159:160], v[50:51]
	ds_load_b128 v[157:160], v1 offset:1024
	s_waitcnt vmcnt(9) lgkmcnt(1)
	v_mul_f64 v[228:229], v[2:3], v[20:21]
	v_mul_f64 v[20:21], v[4:5], v[20:21]
	v_fma_f64 v[164:165], v[222:223], v[14:15], v[164:165]
	v_fma_f64 v[220:221], v[220:221], v[14:15], -v[16:17]
	scratch_load_b128 v[14:17], off, off offset:288
	v_add_f64 v[48:49], v[48:49], v[226:227]
	v_add_f64 v[50:51], v[50:51], v[168:169]
	v_fma_f64 v[226:227], v[4:5], v[18:19], v[228:229]
	v_fma_f64 v[228:229], v[2:3], v[18:19], -v[20:21]
	scratch_load_b128 v[18:21], off, off offset:304
	ds_load_b128 v[2:5], v1 offset:1040
	s_waitcnt vmcnt(10) lgkmcnt(1)
	v_mul_f64 v[168:169], v[157:158], v[24:25]
	v_mul_f64 v[24:25], v[159:160], v[24:25]
	v_add_f64 v[48:49], v[48:49], v[220:221]
	v_add_f64 v[50:51], v[50:51], v[164:165]
	s_waitcnt vmcnt(9) lgkmcnt(0)
	v_mul_f64 v[164:165], v[2:3], v[28:29]
	v_mul_f64 v[28:29], v[4:5], v[28:29]
	ds_load_b128 v[220:223], v1 offset:1056
	v_fma_f64 v[159:160], v[159:160], v[22:23], v[168:169]
	v_fma_f64 v[157:158], v[157:158], v[22:23], -v[24:25]
	scratch_load_b128 v[22:25], off, off offset:320
	v_add_f64 v[48:49], v[48:49], v[228:229]
	v_add_f64 v[50:51], v[50:51], v[226:227]
	v_fma_f64 v[164:165], v[4:5], v[26:27], v[164:165]
	v_fma_f64 v[226:227], v[2:3], v[26:27], -v[28:29]
	scratch_load_b128 v[26:29], off, off offset:336
	ds_load_b128 v[2:5], v1 offset:1072
	s_waitcnt vmcnt(10) lgkmcnt(1)
	v_mul_f64 v[168:169], v[220:221], v[32:33]
	v_mul_f64 v[32:33], v[222:223], v[32:33]
	s_waitcnt vmcnt(9) lgkmcnt(0)
	v_mul_f64 v[228:229], v[2:3], v[36:37]
	v_mul_f64 v[36:37], v[4:5], v[36:37]
	v_add_f64 v[48:49], v[48:49], v[157:158]
	v_add_f64 v[50:51], v[50:51], v[159:160]
	ds_load_b128 v[157:160], v1 offset:1088
	v_fma_f64 v[168:169], v[222:223], v[30:31], v[168:169]
	v_fma_f64 v[220:221], v[220:221], v[30:31], -v[32:33]
	scratch_load_b128 v[30:33], off, off offset:352
	v_add_f64 v[48:49], v[48:49], v[226:227]
	v_add_f64 v[50:51], v[50:51], v[164:165]
	v_fma_f64 v[226:227], v[4:5], v[34:35], v[228:229]
	v_fma_f64 v[228:229], v[2:3], v[34:35], -v[36:37]
	scratch_load_b128 v[34:37], off, off offset:368
	ds_load_b128 v[2:5], v1 offset:1104
	s_waitcnt vmcnt(9) lgkmcnt(1)
	v_mul_f64 v[164:165], v[157:158], v[173:174]
	v_mul_f64 v[173:174], v[159:160], v[173:174]
	v_add_f64 v[48:49], v[48:49], v[220:221]
	v_add_f64 v[50:51], v[50:51], v[168:169]
	ds_load_b128 v[220:223], v1 offset:1120
	v_fma_f64 v[164:165], v[159:160], v[171:172], v[164:165]
	v_fma_f64 v[171:172], v[157:158], v[171:172], -v[173:174]
	scratch_load_b128 v[157:160], off, off offset:384
	s_waitcnt vmcnt(9) lgkmcnt(1)
	v_mul_f64 v[168:169], v[2:3], v[40:41]
	v_mul_f64 v[40:41], v[4:5], v[40:41]
	v_add_f64 v[48:49], v[48:49], v[228:229]
	v_add_f64 v[50:51], v[50:51], v[226:227]
	s_delay_alu instid0(VALU_DEP_4) | instskip(NEXT) | instid1(VALU_DEP_4)
	v_fma_f64 v[168:169], v[4:5], v[38:39], v[168:169]
	v_fma_f64 v[228:229], v[2:3], v[38:39], -v[40:41]
	scratch_load_b128 v[38:41], off, off offset:400
	ds_load_b128 v[2:5], v1 offset:1136
	s_waitcnt vmcnt(9) lgkmcnt(1)
	v_mul_f64 v[226:227], v[220:221], v[8:9]
	v_mul_f64 v[8:9], v[222:223], v[8:9]
	v_add_f64 v[48:49], v[48:49], v[171:172]
	v_add_f64 v[50:51], v[50:51], v[164:165]
	s_waitcnt vmcnt(8) lgkmcnt(0)
	v_mul_f64 v[164:165], v[2:3], v[12:13]
	v_mul_f64 v[12:13], v[4:5], v[12:13]
	ds_load_b128 v[171:174], v1 offset:1152
	v_fma_f64 v[222:223], v[222:223], v[6:7], v[226:227]
	v_fma_f64 v[220:221], v[220:221], v[6:7], -v[8:9]
	scratch_load_b128 v[6:9], off, off offset:416
	v_add_f64 v[48:49], v[48:49], v[228:229]
	v_add_f64 v[50:51], v[50:51], v[168:169]
	v_fma_f64 v[164:165], v[4:5], v[10:11], v[164:165]
	v_fma_f64 v[226:227], v[2:3], v[10:11], -v[12:13]
	scratch_load_b128 v[10:13], off, off offset:432
	ds_load_b128 v[2:5], v1 offset:1168
	s_waitcnt vmcnt(9) lgkmcnt(1)
	v_mul_f64 v[168:169], v[171:172], v[16:17]
	v_mul_f64 v[16:17], v[173:174], v[16:17]
	s_waitcnt vmcnt(8) lgkmcnt(0)
	v_mul_f64 v[228:229], v[2:3], v[20:21]
	v_mul_f64 v[20:21], v[4:5], v[20:21]
	v_add_f64 v[48:49], v[48:49], v[220:221]
	v_add_f64 v[50:51], v[50:51], v[222:223]
	ds_load_b128 v[220:223], v1 offset:1184
	v_fma_f64 v[168:169], v[173:174], v[14:15], v[168:169]
	v_fma_f64 v[171:172], v[171:172], v[14:15], -v[16:17]
	scratch_load_b128 v[14:17], off, off offset:448
	v_add_f64 v[48:49], v[48:49], v[226:227]
	v_add_f64 v[50:51], v[50:51], v[164:165]
	v_fma_f64 v[226:227], v[4:5], v[18:19], v[228:229]
	v_fma_f64 v[228:229], v[2:3], v[18:19], -v[20:21]
	scratch_load_b128 v[18:21], off, off offset:464
	ds_load_b128 v[2:5], v1 offset:1200
	s_waitcnt vmcnt(9) lgkmcnt(1)
	v_mul_f64 v[164:165], v[220:221], v[24:25]
	v_mul_f64 v[24:25], v[222:223], v[24:25]
	v_add_f64 v[48:49], v[48:49], v[171:172]
	v_add_f64 v[50:51], v[50:51], v[168:169]
	s_waitcnt vmcnt(8) lgkmcnt(0)
	v_mul_f64 v[168:169], v[2:3], v[28:29]
	v_mul_f64 v[28:29], v[4:5], v[28:29]
	ds_load_b128 v[171:174], v1 offset:1216
	v_fma_f64 v[164:165], v[222:223], v[22:23], v[164:165]
	v_fma_f64 v[220:221], v[220:221], v[22:23], -v[24:25]
	scratch_load_b128 v[22:25], off, off offset:480
	v_add_f64 v[48:49], v[48:49], v[228:229]
	v_add_f64 v[50:51], v[50:51], v[226:227]
	v_fma_f64 v[168:169], v[4:5], v[26:27], v[168:169]
	v_fma_f64 v[228:229], v[2:3], v[26:27], -v[28:29]
	scratch_load_b128 v[26:29], off, off offset:496
	ds_load_b128 v[2:5], v1 offset:1232
	s_waitcnt vmcnt(9) lgkmcnt(1)
	v_mul_f64 v[226:227], v[171:172], v[32:33]
	v_mul_f64 v[32:33], v[173:174], v[32:33]
	v_add_f64 v[48:49], v[48:49], v[220:221]
	v_add_f64 v[50:51], v[50:51], v[164:165]
	s_waitcnt vmcnt(8) lgkmcnt(0)
	v_mul_f64 v[164:165], v[2:3], v[36:37]
	v_mul_f64 v[36:37], v[4:5], v[36:37]
	ds_load_b128 v[220:223], v1 offset:1248
	v_fma_f64 v[173:174], v[173:174], v[30:31], v[226:227]
	v_fma_f64 v[171:172], v[171:172], v[30:31], -v[32:33]
	scratch_load_b128 v[30:33], off, off offset:512
	v_add_f64 v[48:49], v[48:49], v[228:229]
	v_add_f64 v[50:51], v[50:51], v[168:169]
	v_fma_f64 v[164:165], v[4:5], v[34:35], v[164:165]
	v_fma_f64 v[226:227], v[2:3], v[34:35], -v[36:37]
	scratch_load_b128 v[34:37], off, off offset:528
	ds_load_b128 v[2:5], v1 offset:1264
	s_waitcnt vmcnt(9) lgkmcnt(1)
	v_mul_f64 v[168:169], v[220:221], v[159:160]
	v_mul_f64 v[159:160], v[222:223], v[159:160]
	s_waitcnt vmcnt(8) lgkmcnt(0)
	v_mul_f64 v[228:229], v[2:3], v[40:41]
	v_mul_f64 v[40:41], v[4:5], v[40:41]
	v_add_f64 v[48:49], v[48:49], v[171:172]
	v_add_f64 v[50:51], v[50:51], v[173:174]
	ds_load_b128 v[171:174], v1 offset:1280
	v_fma_f64 v[168:169], v[222:223], v[157:158], v[168:169]
	v_fma_f64 v[220:221], v[220:221], v[157:158], -v[159:160]
	scratch_load_b128 v[157:160], off, off offset:544
	v_add_f64 v[48:49], v[48:49], v[226:227]
	v_add_f64 v[50:51], v[50:51], v[164:165]
	v_fma_f64 v[226:227], v[4:5], v[38:39], v[228:229]
	v_fma_f64 v[228:229], v[2:3], v[38:39], -v[40:41]
	scratch_load_b128 v[38:41], off, off offset:560
	ds_load_b128 v[2:5], v1 offset:1296
	s_waitcnt vmcnt(9) lgkmcnt(1)
	v_mul_f64 v[164:165], v[171:172], v[8:9]
	v_mul_f64 v[8:9], v[173:174], v[8:9]
	v_add_f64 v[48:49], v[48:49], v[220:221]
	v_add_f64 v[50:51], v[50:51], v[168:169]
	s_waitcnt vmcnt(8) lgkmcnt(0)
	v_mul_f64 v[168:169], v[2:3], v[12:13]
	v_mul_f64 v[12:13], v[4:5], v[12:13]
	ds_load_b128 v[220:223], v1 offset:1312
	v_fma_f64 v[164:165], v[173:174], v[6:7], v[164:165]
	v_fma_f64 v[171:172], v[171:172], v[6:7], -v[8:9]
	scratch_load_b128 v[6:9], off, off offset:576
	v_add_f64 v[48:49], v[48:49], v[228:229]
	v_add_f64 v[50:51], v[50:51], v[226:227]
	;; [unrolled: 54-line block ×4, first 2 shown]
	v_fma_f64 v[168:169], v[4:5], v[18:19], v[168:169]
	v_fma_f64 v[228:229], v[2:3], v[18:19], -v[20:21]
	scratch_load_b128 v[18:21], off, off offset:784
	ds_load_b128 v[2:5], v1 offset:1520
	s_waitcnt vmcnt(9) lgkmcnt(1)
	v_mul_f64 v[226:227], v[220:221], v[24:25]
	v_mul_f64 v[24:25], v[222:223], v[24:25]
	v_add_f64 v[48:49], v[48:49], v[171:172]
	v_add_f64 v[50:51], v[50:51], v[164:165]
	s_waitcnt vmcnt(8) lgkmcnt(0)
	v_mul_f64 v[164:165], v[2:3], v[28:29]
	v_mul_f64 v[28:29], v[4:5], v[28:29]
	ds_load_b128 v[171:174], v1 offset:1536
	v_fma_f64 v[222:223], v[222:223], v[22:23], v[226:227]
	v_fma_f64 v[220:221], v[220:221], v[22:23], -v[24:25]
	scratch_load_b128 v[22:25], off, off offset:800
	v_add_f64 v[48:49], v[48:49], v[228:229]
	v_add_f64 v[50:51], v[50:51], v[168:169]
	v_fma_f64 v[164:165], v[4:5], v[26:27], v[164:165]
	v_fma_f64 v[226:227], v[2:3], v[26:27], -v[28:29]
	scratch_load_b128 v[26:29], off, off offset:816
	ds_load_b128 v[2:5], v1 offset:1552
	s_waitcnt vmcnt(9) lgkmcnt(1)
	v_mul_f64 v[168:169], v[171:172], v[32:33]
	v_mul_f64 v[32:33], v[173:174], v[32:33]
	s_waitcnt vmcnt(8) lgkmcnt(0)
	v_mul_f64 v[228:229], v[2:3], v[36:37]
	v_mul_f64 v[36:37], v[4:5], v[36:37]
	v_add_f64 v[48:49], v[48:49], v[220:221]
	v_add_f64 v[50:51], v[50:51], v[222:223]
	ds_load_b128 v[220:223], v1 offset:1568
	v_fma_f64 v[168:169], v[173:174], v[30:31], v[168:169]
	v_fma_f64 v[171:172], v[171:172], v[30:31], -v[32:33]
	scratch_load_b128 v[30:33], off, off offset:832
	v_add_f64 v[48:49], v[48:49], v[226:227]
	v_add_f64 v[50:51], v[50:51], v[164:165]
	v_fma_f64 v[226:227], v[4:5], v[34:35], v[228:229]
	v_fma_f64 v[228:229], v[2:3], v[34:35], -v[36:37]
	scratch_load_b128 v[34:37], off, off offset:848
	ds_load_b128 v[2:5], v1 offset:1584
	s_waitcnt vmcnt(9) lgkmcnt(1)
	v_mul_f64 v[164:165], v[220:221], v[159:160]
	v_mul_f64 v[159:160], v[222:223], v[159:160]
	v_add_f64 v[48:49], v[48:49], v[171:172]
	v_add_f64 v[50:51], v[50:51], v[168:169]
	s_waitcnt vmcnt(8) lgkmcnt(0)
	v_mul_f64 v[168:169], v[2:3], v[40:41]
	v_mul_f64 v[40:41], v[4:5], v[40:41]
	ds_load_b128 v[171:174], v1 offset:1600
	v_fma_f64 v[164:165], v[222:223], v[157:158], v[164:165]
	v_fma_f64 v[157:158], v[220:221], v[157:158], -v[159:160]
	s_waitcnt vmcnt(7) lgkmcnt(0)
	v_mul_f64 v[159:160], v[171:172], v[8:9]
	v_mul_f64 v[8:9], v[173:174], v[8:9]
	v_add_f64 v[48:49], v[48:49], v[228:229]
	v_add_f64 v[50:51], v[50:51], v[226:227]
	v_fma_f64 v[168:169], v[4:5], v[38:39], v[168:169]
	v_fma_f64 v[220:221], v[2:3], v[38:39], -v[40:41]
	ds_load_b128 v[2:5], v1 offset:1616
	ds_load_b128 v[38:41], v1 offset:1632
	v_fma_f64 v[159:160], v[173:174], v[6:7], v[159:160]
	v_fma_f64 v[6:7], v[171:172], v[6:7], -v[8:9]
	v_add_f64 v[48:49], v[48:49], v[157:158]
	v_add_f64 v[50:51], v[50:51], v[164:165]
	s_waitcnt vmcnt(6) lgkmcnt(1)
	v_mul_f64 v[157:158], v[2:3], v[12:13]
	v_mul_f64 v[12:13], v[4:5], v[12:13]
	s_delay_alu instid0(VALU_DEP_4) | instskip(NEXT) | instid1(VALU_DEP_4)
	v_add_f64 v[8:9], v[48:49], v[220:221]
	v_add_f64 v[48:49], v[50:51], v[168:169]
	s_waitcnt vmcnt(5) lgkmcnt(0)
	v_mul_f64 v[50:51], v[38:39], v[16:17]
	v_mul_f64 v[16:17], v[40:41], v[16:17]
	v_fma_f64 v[157:158], v[4:5], v[10:11], v[157:158]
	v_fma_f64 v[10:11], v[2:3], v[10:11], -v[12:13]
	v_add_f64 v[12:13], v[8:9], v[6:7]
	v_add_f64 v[48:49], v[48:49], v[159:160]
	ds_load_b128 v[2:5], v1 offset:1648
	ds_load_b128 v[6:9], v1 offset:1664
	v_fma_f64 v[40:41], v[40:41], v[14:15], v[50:51]
	v_fma_f64 v[14:15], v[38:39], v[14:15], -v[16:17]
	s_waitcnt vmcnt(4) lgkmcnt(1)
	v_mul_f64 v[159:160], v[2:3], v[20:21]
	v_mul_f64 v[20:21], v[4:5], v[20:21]
	s_waitcnt vmcnt(3) lgkmcnt(0)
	v_mul_f64 v[16:17], v[6:7], v[24:25]
	v_mul_f64 v[24:25], v[8:9], v[24:25]
	v_add_f64 v[10:11], v[12:13], v[10:11]
	v_add_f64 v[12:13], v[48:49], v[157:158]
	v_fma_f64 v[38:39], v[4:5], v[18:19], v[159:160]
	v_fma_f64 v[18:19], v[2:3], v[18:19], -v[20:21]
	v_fma_f64 v[8:9], v[8:9], v[22:23], v[16:17]
	v_fma_f64 v[6:7], v[6:7], v[22:23], -v[24:25]
	v_add_f64 v[14:15], v[10:11], v[14:15]
	v_add_f64 v[20:21], v[12:13], v[40:41]
	ds_load_b128 v[2:5], v1 offset:1680
	ds_load_b128 v[10:13], v1 offset:1696
	s_waitcnt vmcnt(2) lgkmcnt(1)
	v_mul_f64 v[40:41], v[2:3], v[28:29]
	v_mul_f64 v[28:29], v[4:5], v[28:29]
	v_add_f64 v[14:15], v[14:15], v[18:19]
	v_add_f64 v[16:17], v[20:21], v[38:39]
	s_waitcnt vmcnt(1) lgkmcnt(0)
	v_mul_f64 v[18:19], v[10:11], v[32:33]
	v_mul_f64 v[20:21], v[12:13], v[32:33]
	v_fma_f64 v[22:23], v[4:5], v[26:27], v[40:41]
	v_fma_f64 v[24:25], v[2:3], v[26:27], -v[28:29]
	ds_load_b128 v[2:5], v1 offset:1712
	v_add_f64 v[6:7], v[14:15], v[6:7]
	v_add_f64 v[8:9], v[16:17], v[8:9]
	v_fma_f64 v[12:13], v[12:13], v[30:31], v[18:19]
	v_fma_f64 v[10:11], v[10:11], v[30:31], -v[20:21]
	s_waitcnt vmcnt(0) lgkmcnt(0)
	v_mul_f64 v[14:15], v[2:3], v[36:37]
	v_mul_f64 v[16:17], v[4:5], v[36:37]
	v_add_f64 v[6:7], v[6:7], v[24:25]
	v_add_f64 v[8:9], v[8:9], v[22:23]
	s_delay_alu instid0(VALU_DEP_4) | instskip(NEXT) | instid1(VALU_DEP_4)
	v_fma_f64 v[4:5], v[4:5], v[34:35], v[14:15]
	v_fma_f64 v[2:3], v[2:3], v[34:35], -v[16:17]
	s_delay_alu instid0(VALU_DEP_4) | instskip(NEXT) | instid1(VALU_DEP_4)
	v_add_f64 v[6:7], v[6:7], v[10:11]
	v_add_f64 v[8:9], v[8:9], v[12:13]
	s_delay_alu instid0(VALU_DEP_2) | instskip(NEXT) | instid1(VALU_DEP_2)
	v_add_f64 v[2:3], v[6:7], v[2:3]
	v_add_f64 v[4:5], v[8:9], v[4:5]
	s_delay_alu instid0(VALU_DEP_2) | instskip(NEXT) | instid1(VALU_DEP_2)
	v_add_f64 v[2:3], v[42:43], -v[2:3]
	v_add_f64 v[4:5], v[44:45], -v[4:5]
	scratch_store_b128 off, v[2:5], off offset:64
	v_cmpx_lt_u32_e32 3, v154
	s_cbranch_execz .LBB53_331
; %bb.330:
	scratch_load_b128 v[5:8], v205, off
	v_mov_b32_e32 v2, v1
	v_mov_b32_e32 v3, v1
	;; [unrolled: 1-line block ×3, first 2 shown]
	scratch_store_b128 off, v[1:4], off offset:48
	s_waitcnt vmcnt(0)
	ds_store_b128 v208, v[5:8]
.LBB53_331:
	s_or_b32 exec_lo, exec_lo, s2
	s_waitcnt lgkmcnt(0)
	s_waitcnt_vscnt null, 0x0
	s_barrier
	buffer_gl0_inv
	s_clause 0x8
	scratch_load_b128 v[2:5], off, off offset:64
	scratch_load_b128 v[6:9], off, off offset:80
	;; [unrolled: 1-line block ×9, first 2 shown]
	ds_load_b128 v[42:45], v1 offset:928
	ds_load_b128 v[38:41], v1 offset:944
	s_clause 0x1
	scratch_load_b128 v[157:160], off, off offset:48
	scratch_load_b128 v[171:174], off, off offset:208
	s_mov_b32 s2, exec_lo
	ds_load_b128 v[220:223], v1 offset:976
	s_waitcnt vmcnt(10) lgkmcnt(2)
	v_mul_f64 v[48:49], v[44:45], v[4:5]
	v_mul_f64 v[4:5], v[42:43], v[4:5]
	s_waitcnt vmcnt(9) lgkmcnt(1)
	v_mul_f64 v[50:51], v[38:39], v[8:9]
	v_mul_f64 v[8:9], v[40:41], v[8:9]
	s_delay_alu instid0(VALU_DEP_4) | instskip(NEXT) | instid1(VALU_DEP_4)
	v_fma_f64 v[48:49], v[42:43], v[2:3], -v[48:49]
	v_fma_f64 v[164:165], v[44:45], v[2:3], v[4:5]
	ds_load_b128 v[2:5], v1 offset:960
	scratch_load_b128 v[42:45], off, off offset:224
	v_fma_f64 v[40:41], v[40:41], v[6:7], v[50:51]
	v_fma_f64 v[38:39], v[38:39], v[6:7], -v[8:9]
	scratch_load_b128 v[6:9], off, off offset:240
	s_waitcnt vmcnt(10) lgkmcnt(0)
	v_mul_f64 v[168:169], v[2:3], v[12:13]
	v_mul_f64 v[12:13], v[4:5], v[12:13]
	v_add_f64 v[48:49], v[48:49], 0
	v_add_f64 v[50:51], v[164:165], 0
	s_waitcnt vmcnt(9)
	v_mul_f64 v[164:165], v[220:221], v[16:17]
	v_mul_f64 v[16:17], v[222:223], v[16:17]
	v_fma_f64 v[168:169], v[4:5], v[10:11], v[168:169]
	v_fma_f64 v[226:227], v[2:3], v[10:11], -v[12:13]
	ds_load_b128 v[2:5], v1 offset:992
	scratch_load_b128 v[10:13], off, off offset:256
	v_add_f64 v[48:49], v[48:49], v[38:39]
	v_add_f64 v[50:51], v[50:51], v[40:41]
	ds_load_b128 v[38:41], v1 offset:1008
	v_fma_f64 v[164:165], v[222:223], v[14:15], v[164:165]
	v_fma_f64 v[220:221], v[220:221], v[14:15], -v[16:17]
	scratch_load_b128 v[14:17], off, off offset:272
	s_waitcnt vmcnt(10) lgkmcnt(1)
	v_mul_f64 v[228:229], v[2:3], v[20:21]
	v_mul_f64 v[20:21], v[4:5], v[20:21]
	v_add_f64 v[48:49], v[48:49], v[226:227]
	v_add_f64 v[50:51], v[50:51], v[168:169]
	s_waitcnt vmcnt(9) lgkmcnt(0)
	v_mul_f64 v[168:169], v[38:39], v[24:25]
	v_mul_f64 v[24:25], v[40:41], v[24:25]
	v_fma_f64 v[226:227], v[4:5], v[18:19], v[228:229]
	v_fma_f64 v[228:229], v[2:3], v[18:19], -v[20:21]
	ds_load_b128 v[2:5], v1 offset:1024
	scratch_load_b128 v[18:21], off, off offset:288
	v_add_f64 v[48:49], v[48:49], v[220:221]
	v_add_f64 v[50:51], v[50:51], v[164:165]
	ds_load_b128 v[220:223], v1 offset:1040
	s_waitcnt vmcnt(9) lgkmcnt(1)
	v_mul_f64 v[164:165], v[2:3], v[28:29]
	v_mul_f64 v[28:29], v[4:5], v[28:29]
	v_fma_f64 v[40:41], v[40:41], v[22:23], v[168:169]
	v_fma_f64 v[38:39], v[38:39], v[22:23], -v[24:25]
	scratch_load_b128 v[22:25], off, off offset:304
	s_waitcnt vmcnt(9) lgkmcnt(0)
	v_mul_f64 v[168:169], v[220:221], v[32:33]
	v_mul_f64 v[32:33], v[222:223], v[32:33]
	v_add_f64 v[48:49], v[48:49], v[228:229]
	v_add_f64 v[50:51], v[50:51], v[226:227]
	v_fma_f64 v[164:165], v[4:5], v[26:27], v[164:165]
	v_fma_f64 v[226:227], v[2:3], v[26:27], -v[28:29]
	ds_load_b128 v[2:5], v1 offset:1056
	scratch_load_b128 v[26:29], off, off offset:320
	v_fma_f64 v[168:169], v[222:223], v[30:31], v[168:169]
	v_fma_f64 v[220:221], v[220:221], v[30:31], -v[32:33]
	scratch_load_b128 v[30:33], off, off offset:336
	v_add_f64 v[48:49], v[48:49], v[38:39]
	v_add_f64 v[50:51], v[50:51], v[40:41]
	ds_load_b128 v[38:41], v1 offset:1072
	s_waitcnt vmcnt(10) lgkmcnt(1)
	v_mul_f64 v[228:229], v[2:3], v[36:37]
	v_mul_f64 v[36:37], v[4:5], v[36:37]
	v_add_f64 v[48:49], v[48:49], v[226:227]
	v_add_f64 v[50:51], v[50:51], v[164:165]
	s_waitcnt vmcnt(8) lgkmcnt(0)
	v_mul_f64 v[164:165], v[38:39], v[173:174]
	v_mul_f64 v[173:174], v[40:41], v[173:174]
	v_fma_f64 v[226:227], v[4:5], v[34:35], v[228:229]
	v_fma_f64 v[228:229], v[2:3], v[34:35], -v[36:37]
	ds_load_b128 v[2:5], v1 offset:1088
	scratch_load_b128 v[34:37], off, off offset:352
	v_add_f64 v[48:49], v[48:49], v[220:221]
	v_add_f64 v[50:51], v[50:51], v[168:169]
	ds_load_b128 v[220:223], v1 offset:1104
	v_fma_f64 v[164:165], v[40:41], v[171:172], v[164:165]
	v_fma_f64 v[171:172], v[38:39], v[171:172], -v[173:174]
	scratch_load_b128 v[38:41], off, off offset:368
	s_waitcnt vmcnt(9) lgkmcnt(1)
	v_mul_f64 v[168:169], v[2:3], v[44:45]
	v_mul_f64 v[44:45], v[4:5], v[44:45]
	v_add_f64 v[48:49], v[48:49], v[228:229]
	v_add_f64 v[50:51], v[50:51], v[226:227]
	s_waitcnt vmcnt(8) lgkmcnt(0)
	v_mul_f64 v[226:227], v[220:221], v[8:9]
	v_mul_f64 v[8:9], v[222:223], v[8:9]
	v_fma_f64 v[168:169], v[4:5], v[42:43], v[168:169]
	v_fma_f64 v[228:229], v[2:3], v[42:43], -v[44:45]
	ds_load_b128 v[2:5], v1 offset:1120
	scratch_load_b128 v[42:45], off, off offset:384
	v_add_f64 v[48:49], v[48:49], v[171:172]
	v_add_f64 v[50:51], v[50:51], v[164:165]
	ds_load_b128 v[171:174], v1 offset:1136
	s_waitcnt vmcnt(8) lgkmcnt(1)
	v_mul_f64 v[164:165], v[2:3], v[12:13]
	v_mul_f64 v[12:13], v[4:5], v[12:13]
	v_fma_f64 v[222:223], v[222:223], v[6:7], v[226:227]
	v_fma_f64 v[220:221], v[220:221], v[6:7], -v[8:9]
	scratch_load_b128 v[6:9], off, off offset:400
	v_add_f64 v[48:49], v[48:49], v[228:229]
	v_add_f64 v[50:51], v[50:51], v[168:169]
	s_waitcnt vmcnt(8) lgkmcnt(0)
	v_mul_f64 v[168:169], v[171:172], v[16:17]
	v_mul_f64 v[16:17], v[173:174], v[16:17]
	v_fma_f64 v[164:165], v[4:5], v[10:11], v[164:165]
	v_fma_f64 v[226:227], v[2:3], v[10:11], -v[12:13]
	ds_load_b128 v[2:5], v1 offset:1152
	scratch_load_b128 v[10:13], off, off offset:416
	v_add_f64 v[48:49], v[48:49], v[220:221]
	v_add_f64 v[50:51], v[50:51], v[222:223]
	ds_load_b128 v[220:223], v1 offset:1168
	s_waitcnt vmcnt(8) lgkmcnt(1)
	v_mul_f64 v[228:229], v[2:3], v[20:21]
	v_mul_f64 v[20:21], v[4:5], v[20:21]
	v_fma_f64 v[168:169], v[173:174], v[14:15], v[168:169]
	v_fma_f64 v[171:172], v[171:172], v[14:15], -v[16:17]
	scratch_load_b128 v[14:17], off, off offset:432
	;; [unrolled: 18-line block ×15, first 2 shown]
	s_waitcnt vmcnt(8) lgkmcnt(0)
	v_mul_f64 v[222:223], v[171:172], v[8:9]
	v_mul_f64 v[8:9], v[173:174], v[8:9]
	v_add_f64 v[48:49], v[48:49], v[228:229]
	v_add_f64 v[50:51], v[50:51], v[226:227]
	v_fma_f64 v[168:169], v[4:5], v[42:43], v[168:169]
	v_fma_f64 v[226:227], v[2:3], v[42:43], -v[44:45]
	ds_load_b128 v[2:5], v1 offset:1600
	ds_load_b128 v[42:45], v1 offset:1616
	v_fma_f64 v[173:174], v[173:174], v[6:7], v[222:223]
	v_fma_f64 v[6:7], v[171:172], v[6:7], -v[8:9]
	v_add_f64 v[48:49], v[48:49], v[220:221]
	v_add_f64 v[50:51], v[50:51], v[164:165]
	s_waitcnt vmcnt(7) lgkmcnt(1)
	v_mul_f64 v[164:165], v[2:3], v[12:13]
	v_mul_f64 v[12:13], v[4:5], v[12:13]
	s_delay_alu instid0(VALU_DEP_4) | instskip(NEXT) | instid1(VALU_DEP_4)
	v_add_f64 v[8:9], v[48:49], v[226:227]
	v_add_f64 v[48:49], v[50:51], v[168:169]
	s_waitcnt vmcnt(6) lgkmcnt(0)
	v_mul_f64 v[50:51], v[42:43], v[16:17]
	v_mul_f64 v[16:17], v[44:45], v[16:17]
	v_fma_f64 v[164:165], v[4:5], v[10:11], v[164:165]
	v_fma_f64 v[10:11], v[2:3], v[10:11], -v[12:13]
	v_add_f64 v[12:13], v[8:9], v[6:7]
	v_add_f64 v[48:49], v[48:49], v[173:174]
	ds_load_b128 v[2:5], v1 offset:1632
	ds_load_b128 v[6:9], v1 offset:1648
	v_fma_f64 v[44:45], v[44:45], v[14:15], v[50:51]
	v_fma_f64 v[14:15], v[42:43], v[14:15], -v[16:17]
	s_waitcnt vmcnt(5) lgkmcnt(1)
	v_mul_f64 v[168:169], v[2:3], v[20:21]
	v_mul_f64 v[20:21], v[4:5], v[20:21]
	s_waitcnt vmcnt(4) lgkmcnt(0)
	v_mul_f64 v[16:17], v[6:7], v[24:25]
	v_mul_f64 v[24:25], v[8:9], v[24:25]
	v_add_f64 v[10:11], v[12:13], v[10:11]
	v_add_f64 v[12:13], v[48:49], v[164:165]
	v_fma_f64 v[42:43], v[4:5], v[18:19], v[168:169]
	v_fma_f64 v[18:19], v[2:3], v[18:19], -v[20:21]
	v_fma_f64 v[8:9], v[8:9], v[22:23], v[16:17]
	v_fma_f64 v[6:7], v[6:7], v[22:23], -v[24:25]
	v_add_f64 v[14:15], v[10:11], v[14:15]
	v_add_f64 v[20:21], v[12:13], v[44:45]
	ds_load_b128 v[2:5], v1 offset:1664
	ds_load_b128 v[10:13], v1 offset:1680
	s_waitcnt vmcnt(3) lgkmcnt(1)
	v_mul_f64 v[44:45], v[2:3], v[28:29]
	v_mul_f64 v[28:29], v[4:5], v[28:29]
	v_add_f64 v[14:15], v[14:15], v[18:19]
	v_add_f64 v[16:17], v[20:21], v[42:43]
	s_waitcnt vmcnt(2) lgkmcnt(0)
	v_mul_f64 v[18:19], v[10:11], v[32:33]
	v_mul_f64 v[20:21], v[12:13], v[32:33]
	v_fma_f64 v[22:23], v[4:5], v[26:27], v[44:45]
	v_fma_f64 v[24:25], v[2:3], v[26:27], -v[28:29]
	v_add_f64 v[14:15], v[14:15], v[6:7]
	v_add_f64 v[16:17], v[16:17], v[8:9]
	ds_load_b128 v[2:5], v1 offset:1696
	ds_load_b128 v[6:9], v1 offset:1712
	v_fma_f64 v[12:13], v[12:13], v[30:31], v[18:19]
	v_fma_f64 v[10:11], v[10:11], v[30:31], -v[20:21]
	s_waitcnt vmcnt(1) lgkmcnt(1)
	v_mul_f64 v[26:27], v[2:3], v[36:37]
	v_mul_f64 v[28:29], v[4:5], v[36:37]
	s_waitcnt vmcnt(0) lgkmcnt(0)
	v_mul_f64 v[18:19], v[6:7], v[40:41]
	v_mul_f64 v[20:21], v[8:9], v[40:41]
	v_add_f64 v[14:15], v[14:15], v[24:25]
	v_add_f64 v[16:17], v[16:17], v[22:23]
	v_fma_f64 v[4:5], v[4:5], v[34:35], v[26:27]
	v_fma_f64 v[1:2], v[2:3], v[34:35], -v[28:29]
	v_fma_f64 v[8:9], v[8:9], v[38:39], v[18:19]
	v_fma_f64 v[6:7], v[6:7], v[38:39], -v[20:21]
	v_add_f64 v[10:11], v[14:15], v[10:11]
	v_add_f64 v[12:13], v[16:17], v[12:13]
	s_delay_alu instid0(VALU_DEP_2) | instskip(NEXT) | instid1(VALU_DEP_2)
	v_add_f64 v[1:2], v[10:11], v[1:2]
	v_add_f64 v[3:4], v[12:13], v[4:5]
	s_delay_alu instid0(VALU_DEP_2) | instskip(NEXT) | instid1(VALU_DEP_2)
	;; [unrolled: 3-line block ×3, first 2 shown]
	v_add_f64 v[1:2], v[157:158], -v[1:2]
	v_add_f64 v[3:4], v[159:160], -v[3:4]
	scratch_store_b128 off, v[1:4], off offset:48
	v_cmpx_lt_u32_e32 2, v154
	s_cbranch_execz .LBB53_333
; %bb.332:
	scratch_load_b128 v[1:4], v206, off
	v_mov_b32_e32 v5, 0
	s_delay_alu instid0(VALU_DEP_1)
	v_mov_b32_e32 v6, v5
	v_mov_b32_e32 v7, v5
	;; [unrolled: 1-line block ×3, first 2 shown]
	scratch_store_b128 off, v[5:8], off offset:32
	s_waitcnt vmcnt(0)
	ds_store_b128 v208, v[1:4]
.LBB53_333:
	s_or_b32 exec_lo, exec_lo, s2
	s_waitcnt lgkmcnt(0)
	s_waitcnt_vscnt null, 0x0
	s_barrier
	buffer_gl0_inv
	s_clause 0x7
	scratch_load_b128 v[2:5], off, off offset:48
	scratch_load_b128 v[6:9], off, off offset:64
	;; [unrolled: 1-line block ×8, first 2 shown]
	v_mov_b32_e32 v1, 0
	s_mov_b32 s2, exec_lo
	ds_load_b128 v[38:41], v1 offset:912
	s_clause 0x1
	scratch_load_b128 v[34:37], off, off offset:176
	scratch_load_b128 v[42:45], off, off offset:32
	ds_load_b128 v[157:160], v1 offset:928
	scratch_load_b128 v[171:174], off, off offset:192
	ds_load_b128 v[220:223], v1 offset:960
	s_waitcnt vmcnt(10) lgkmcnt(2)
	v_mul_f64 v[48:49], v[40:41], v[4:5]
	v_mul_f64 v[4:5], v[38:39], v[4:5]
	s_delay_alu instid0(VALU_DEP_2) | instskip(NEXT) | instid1(VALU_DEP_2)
	v_fma_f64 v[48:49], v[38:39], v[2:3], -v[48:49]
	v_fma_f64 v[164:165], v[40:41], v[2:3], v[4:5]
	ds_load_b128 v[2:5], v1 offset:944
	s_waitcnt vmcnt(9) lgkmcnt(2)
	v_mul_f64 v[50:51], v[157:158], v[8:9]
	v_mul_f64 v[8:9], v[159:160], v[8:9]
	scratch_load_b128 v[38:41], off, off offset:208
	s_waitcnt vmcnt(9) lgkmcnt(0)
	v_mul_f64 v[168:169], v[2:3], v[12:13]
	v_mul_f64 v[12:13], v[4:5], v[12:13]
	v_add_f64 v[48:49], v[48:49], 0
	v_fma_f64 v[50:51], v[159:160], v[6:7], v[50:51]
	v_fma_f64 v[157:158], v[157:158], v[6:7], -v[8:9]
	v_add_f64 v[159:160], v[164:165], 0
	scratch_load_b128 v[6:9], off, off offset:224
	v_fma_f64 v[168:169], v[4:5], v[10:11], v[168:169]
	v_fma_f64 v[226:227], v[2:3], v[10:11], -v[12:13]
	scratch_load_b128 v[10:13], off, off offset:240
	ds_load_b128 v[2:5], v1 offset:976
	s_waitcnt vmcnt(10)
	v_mul_f64 v[164:165], v[220:221], v[16:17]
	v_mul_f64 v[16:17], v[222:223], v[16:17]
	v_add_f64 v[48:49], v[48:49], v[157:158]
	v_add_f64 v[50:51], v[159:160], v[50:51]
	ds_load_b128 v[157:160], v1 offset:992
	s_waitcnt vmcnt(9) lgkmcnt(1)
	v_mul_f64 v[228:229], v[2:3], v[20:21]
	v_mul_f64 v[20:21], v[4:5], v[20:21]
	v_fma_f64 v[164:165], v[222:223], v[14:15], v[164:165]
	v_fma_f64 v[220:221], v[220:221], v[14:15], -v[16:17]
	scratch_load_b128 v[14:17], off, off offset:256
	v_add_f64 v[48:49], v[48:49], v[226:227]
	v_add_f64 v[50:51], v[50:51], v[168:169]
	v_fma_f64 v[226:227], v[4:5], v[18:19], v[228:229]
	v_fma_f64 v[228:229], v[2:3], v[18:19], -v[20:21]
	scratch_load_b128 v[18:21], off, off offset:272
	ds_load_b128 v[2:5], v1 offset:1008
	s_waitcnt vmcnt(10) lgkmcnt(1)
	v_mul_f64 v[168:169], v[157:158], v[24:25]
	v_mul_f64 v[24:25], v[159:160], v[24:25]
	v_add_f64 v[48:49], v[48:49], v[220:221]
	v_add_f64 v[50:51], v[50:51], v[164:165]
	s_waitcnt vmcnt(9) lgkmcnt(0)
	v_mul_f64 v[164:165], v[2:3], v[28:29]
	v_mul_f64 v[28:29], v[4:5], v[28:29]
	ds_load_b128 v[220:223], v1 offset:1024
	v_fma_f64 v[159:160], v[159:160], v[22:23], v[168:169]
	v_fma_f64 v[157:158], v[157:158], v[22:23], -v[24:25]
	scratch_load_b128 v[22:25], off, off offset:288
	v_add_f64 v[48:49], v[48:49], v[228:229]
	v_add_f64 v[50:51], v[50:51], v[226:227]
	v_fma_f64 v[164:165], v[4:5], v[26:27], v[164:165]
	v_fma_f64 v[226:227], v[2:3], v[26:27], -v[28:29]
	scratch_load_b128 v[26:29], off, off offset:304
	ds_load_b128 v[2:5], v1 offset:1040
	s_waitcnt vmcnt(10) lgkmcnt(1)
	v_mul_f64 v[168:169], v[220:221], v[32:33]
	v_mul_f64 v[32:33], v[222:223], v[32:33]
	s_waitcnt vmcnt(9) lgkmcnt(0)
	v_mul_f64 v[228:229], v[2:3], v[36:37]
	v_mul_f64 v[36:37], v[4:5], v[36:37]
	v_add_f64 v[48:49], v[48:49], v[157:158]
	v_add_f64 v[50:51], v[50:51], v[159:160]
	ds_load_b128 v[157:160], v1 offset:1056
	v_fma_f64 v[168:169], v[222:223], v[30:31], v[168:169]
	v_fma_f64 v[220:221], v[220:221], v[30:31], -v[32:33]
	scratch_load_b128 v[30:33], off, off offset:320
	v_add_f64 v[48:49], v[48:49], v[226:227]
	v_add_f64 v[50:51], v[50:51], v[164:165]
	v_fma_f64 v[226:227], v[4:5], v[34:35], v[228:229]
	v_fma_f64 v[228:229], v[2:3], v[34:35], -v[36:37]
	scratch_load_b128 v[34:37], off, off offset:336
	ds_load_b128 v[2:5], v1 offset:1072
	s_waitcnt vmcnt(9) lgkmcnt(1)
	v_mul_f64 v[164:165], v[157:158], v[173:174]
	v_mul_f64 v[173:174], v[159:160], v[173:174]
	v_add_f64 v[48:49], v[48:49], v[220:221]
	v_add_f64 v[50:51], v[50:51], v[168:169]
	ds_load_b128 v[220:223], v1 offset:1088
	v_fma_f64 v[164:165], v[159:160], v[171:172], v[164:165]
	v_fma_f64 v[171:172], v[157:158], v[171:172], -v[173:174]
	scratch_load_b128 v[157:160], off, off offset:352
	s_waitcnt vmcnt(9) lgkmcnt(1)
	v_mul_f64 v[168:169], v[2:3], v[40:41]
	v_mul_f64 v[40:41], v[4:5], v[40:41]
	v_add_f64 v[48:49], v[48:49], v[228:229]
	v_add_f64 v[50:51], v[50:51], v[226:227]
	s_delay_alu instid0(VALU_DEP_4) | instskip(NEXT) | instid1(VALU_DEP_4)
	v_fma_f64 v[168:169], v[4:5], v[38:39], v[168:169]
	v_fma_f64 v[228:229], v[2:3], v[38:39], -v[40:41]
	scratch_load_b128 v[38:41], off, off offset:368
	ds_load_b128 v[2:5], v1 offset:1104
	s_waitcnt vmcnt(9) lgkmcnt(1)
	v_mul_f64 v[226:227], v[220:221], v[8:9]
	v_mul_f64 v[8:9], v[222:223], v[8:9]
	v_add_f64 v[48:49], v[48:49], v[171:172]
	v_add_f64 v[50:51], v[50:51], v[164:165]
	s_waitcnt vmcnt(8) lgkmcnt(0)
	v_mul_f64 v[164:165], v[2:3], v[12:13]
	v_mul_f64 v[12:13], v[4:5], v[12:13]
	ds_load_b128 v[171:174], v1 offset:1120
	v_fma_f64 v[222:223], v[222:223], v[6:7], v[226:227]
	v_fma_f64 v[220:221], v[220:221], v[6:7], -v[8:9]
	scratch_load_b128 v[6:9], off, off offset:384
	v_add_f64 v[48:49], v[48:49], v[228:229]
	v_add_f64 v[50:51], v[50:51], v[168:169]
	v_fma_f64 v[164:165], v[4:5], v[10:11], v[164:165]
	v_fma_f64 v[226:227], v[2:3], v[10:11], -v[12:13]
	scratch_load_b128 v[10:13], off, off offset:400
	ds_load_b128 v[2:5], v1 offset:1136
	s_waitcnt vmcnt(9) lgkmcnt(1)
	v_mul_f64 v[168:169], v[171:172], v[16:17]
	v_mul_f64 v[16:17], v[173:174], v[16:17]
	s_waitcnt vmcnt(8) lgkmcnt(0)
	v_mul_f64 v[228:229], v[2:3], v[20:21]
	v_mul_f64 v[20:21], v[4:5], v[20:21]
	v_add_f64 v[48:49], v[48:49], v[220:221]
	v_add_f64 v[50:51], v[50:51], v[222:223]
	ds_load_b128 v[220:223], v1 offset:1152
	v_fma_f64 v[168:169], v[173:174], v[14:15], v[168:169]
	v_fma_f64 v[171:172], v[171:172], v[14:15], -v[16:17]
	scratch_load_b128 v[14:17], off, off offset:416
	v_add_f64 v[48:49], v[48:49], v[226:227]
	v_add_f64 v[50:51], v[50:51], v[164:165]
	v_fma_f64 v[226:227], v[4:5], v[18:19], v[228:229]
	v_fma_f64 v[228:229], v[2:3], v[18:19], -v[20:21]
	scratch_load_b128 v[18:21], off, off offset:432
	ds_load_b128 v[2:5], v1 offset:1168
	s_waitcnt vmcnt(9) lgkmcnt(1)
	v_mul_f64 v[164:165], v[220:221], v[24:25]
	v_mul_f64 v[24:25], v[222:223], v[24:25]
	v_add_f64 v[48:49], v[48:49], v[171:172]
	v_add_f64 v[50:51], v[50:51], v[168:169]
	s_waitcnt vmcnt(8) lgkmcnt(0)
	v_mul_f64 v[168:169], v[2:3], v[28:29]
	v_mul_f64 v[28:29], v[4:5], v[28:29]
	ds_load_b128 v[171:174], v1 offset:1184
	v_fma_f64 v[164:165], v[222:223], v[22:23], v[164:165]
	v_fma_f64 v[220:221], v[220:221], v[22:23], -v[24:25]
	scratch_load_b128 v[22:25], off, off offset:448
	v_add_f64 v[48:49], v[48:49], v[228:229]
	v_add_f64 v[50:51], v[50:51], v[226:227]
	v_fma_f64 v[168:169], v[4:5], v[26:27], v[168:169]
	v_fma_f64 v[228:229], v[2:3], v[26:27], -v[28:29]
	scratch_load_b128 v[26:29], off, off offset:464
	ds_load_b128 v[2:5], v1 offset:1200
	s_waitcnt vmcnt(9) lgkmcnt(1)
	v_mul_f64 v[226:227], v[171:172], v[32:33]
	v_mul_f64 v[32:33], v[173:174], v[32:33]
	v_add_f64 v[48:49], v[48:49], v[220:221]
	v_add_f64 v[50:51], v[50:51], v[164:165]
	s_waitcnt vmcnt(8) lgkmcnt(0)
	v_mul_f64 v[164:165], v[2:3], v[36:37]
	v_mul_f64 v[36:37], v[4:5], v[36:37]
	ds_load_b128 v[220:223], v1 offset:1216
	v_fma_f64 v[173:174], v[173:174], v[30:31], v[226:227]
	v_fma_f64 v[171:172], v[171:172], v[30:31], -v[32:33]
	scratch_load_b128 v[30:33], off, off offset:480
	v_add_f64 v[48:49], v[48:49], v[228:229]
	v_add_f64 v[50:51], v[50:51], v[168:169]
	v_fma_f64 v[164:165], v[4:5], v[34:35], v[164:165]
	v_fma_f64 v[226:227], v[2:3], v[34:35], -v[36:37]
	scratch_load_b128 v[34:37], off, off offset:496
	ds_load_b128 v[2:5], v1 offset:1232
	s_waitcnt vmcnt(9) lgkmcnt(1)
	v_mul_f64 v[168:169], v[220:221], v[159:160]
	v_mul_f64 v[159:160], v[222:223], v[159:160]
	s_waitcnt vmcnt(8) lgkmcnt(0)
	v_mul_f64 v[228:229], v[2:3], v[40:41]
	v_mul_f64 v[40:41], v[4:5], v[40:41]
	v_add_f64 v[48:49], v[48:49], v[171:172]
	v_add_f64 v[50:51], v[50:51], v[173:174]
	ds_load_b128 v[171:174], v1 offset:1248
	v_fma_f64 v[168:169], v[222:223], v[157:158], v[168:169]
	v_fma_f64 v[220:221], v[220:221], v[157:158], -v[159:160]
	scratch_load_b128 v[157:160], off, off offset:512
	v_add_f64 v[48:49], v[48:49], v[226:227]
	v_add_f64 v[50:51], v[50:51], v[164:165]
	v_fma_f64 v[226:227], v[4:5], v[38:39], v[228:229]
	v_fma_f64 v[228:229], v[2:3], v[38:39], -v[40:41]
	scratch_load_b128 v[38:41], off, off offset:528
	ds_load_b128 v[2:5], v1 offset:1264
	s_waitcnt vmcnt(9) lgkmcnt(1)
	v_mul_f64 v[164:165], v[171:172], v[8:9]
	v_mul_f64 v[8:9], v[173:174], v[8:9]
	v_add_f64 v[48:49], v[48:49], v[220:221]
	v_add_f64 v[50:51], v[50:51], v[168:169]
	s_waitcnt vmcnt(8) lgkmcnt(0)
	v_mul_f64 v[168:169], v[2:3], v[12:13]
	v_mul_f64 v[12:13], v[4:5], v[12:13]
	ds_load_b128 v[220:223], v1 offset:1280
	v_fma_f64 v[164:165], v[173:174], v[6:7], v[164:165]
	v_fma_f64 v[171:172], v[171:172], v[6:7], -v[8:9]
	scratch_load_b128 v[6:9], off, off offset:544
	v_add_f64 v[48:49], v[48:49], v[228:229]
	v_add_f64 v[50:51], v[50:51], v[226:227]
	;; [unrolled: 54-line block ×5, first 2 shown]
	v_fma_f64 v[168:169], v[4:5], v[38:39], v[168:169]
	v_fma_f64 v[228:229], v[2:3], v[38:39], -v[40:41]
	scratch_load_b128 v[38:41], off, off offset:848
	ds_load_b128 v[2:5], v1 offset:1584
	s_waitcnt vmcnt(9) lgkmcnt(1)
	v_mul_f64 v[226:227], v[171:172], v[8:9]
	v_mul_f64 v[8:9], v[173:174], v[8:9]
	v_add_f64 v[48:49], v[48:49], v[220:221]
	v_add_f64 v[50:51], v[50:51], v[164:165]
	s_waitcnt vmcnt(8) lgkmcnt(0)
	v_mul_f64 v[164:165], v[2:3], v[12:13]
	v_mul_f64 v[12:13], v[4:5], v[12:13]
	ds_load_b128 v[220:223], v1 offset:1600
	v_fma_f64 v[173:174], v[173:174], v[6:7], v[226:227]
	v_fma_f64 v[6:7], v[171:172], v[6:7], -v[8:9]
	v_add_f64 v[8:9], v[48:49], v[228:229]
	v_add_f64 v[48:49], v[50:51], v[168:169]
	s_waitcnt vmcnt(7) lgkmcnt(0)
	v_mul_f64 v[50:51], v[220:221], v[16:17]
	v_mul_f64 v[16:17], v[222:223], v[16:17]
	v_fma_f64 v[164:165], v[4:5], v[10:11], v[164:165]
	v_fma_f64 v[10:11], v[2:3], v[10:11], -v[12:13]
	v_add_f64 v[12:13], v[8:9], v[6:7]
	v_add_f64 v[48:49], v[48:49], v[173:174]
	ds_load_b128 v[2:5], v1 offset:1616
	ds_load_b128 v[6:9], v1 offset:1632
	v_fma_f64 v[50:51], v[222:223], v[14:15], v[50:51]
	v_fma_f64 v[14:15], v[220:221], v[14:15], -v[16:17]
	s_waitcnt vmcnt(6) lgkmcnt(1)
	v_mul_f64 v[168:169], v[2:3], v[20:21]
	v_mul_f64 v[20:21], v[4:5], v[20:21]
	s_waitcnt vmcnt(5) lgkmcnt(0)
	v_mul_f64 v[16:17], v[6:7], v[24:25]
	v_mul_f64 v[24:25], v[8:9], v[24:25]
	v_add_f64 v[10:11], v[12:13], v[10:11]
	v_add_f64 v[12:13], v[48:49], v[164:165]
	v_fma_f64 v[48:49], v[4:5], v[18:19], v[168:169]
	v_fma_f64 v[18:19], v[2:3], v[18:19], -v[20:21]
	v_fma_f64 v[8:9], v[8:9], v[22:23], v[16:17]
	v_fma_f64 v[6:7], v[6:7], v[22:23], -v[24:25]
	v_add_f64 v[14:15], v[10:11], v[14:15]
	v_add_f64 v[20:21], v[12:13], v[50:51]
	ds_load_b128 v[2:5], v1 offset:1648
	ds_load_b128 v[10:13], v1 offset:1664
	s_waitcnt vmcnt(4) lgkmcnt(1)
	v_mul_f64 v[50:51], v[2:3], v[28:29]
	v_mul_f64 v[28:29], v[4:5], v[28:29]
	v_add_f64 v[14:15], v[14:15], v[18:19]
	v_add_f64 v[16:17], v[20:21], v[48:49]
	s_waitcnt vmcnt(3) lgkmcnt(0)
	v_mul_f64 v[18:19], v[10:11], v[32:33]
	v_mul_f64 v[20:21], v[12:13], v[32:33]
	v_fma_f64 v[22:23], v[4:5], v[26:27], v[50:51]
	v_fma_f64 v[24:25], v[2:3], v[26:27], -v[28:29]
	v_add_f64 v[14:15], v[14:15], v[6:7]
	v_add_f64 v[16:17], v[16:17], v[8:9]
	ds_load_b128 v[2:5], v1 offset:1680
	ds_load_b128 v[6:9], v1 offset:1696
	v_fma_f64 v[12:13], v[12:13], v[30:31], v[18:19]
	v_fma_f64 v[10:11], v[10:11], v[30:31], -v[20:21]
	s_waitcnt vmcnt(2) lgkmcnt(1)
	v_mul_f64 v[26:27], v[2:3], v[36:37]
	v_mul_f64 v[28:29], v[4:5], v[36:37]
	s_waitcnt vmcnt(1) lgkmcnt(0)
	v_mul_f64 v[18:19], v[6:7], v[159:160]
	v_mul_f64 v[20:21], v[8:9], v[159:160]
	v_add_f64 v[14:15], v[14:15], v[24:25]
	v_add_f64 v[16:17], v[16:17], v[22:23]
	v_fma_f64 v[22:23], v[4:5], v[34:35], v[26:27]
	v_fma_f64 v[24:25], v[2:3], v[34:35], -v[28:29]
	ds_load_b128 v[2:5], v1 offset:1712
	v_fma_f64 v[8:9], v[8:9], v[157:158], v[18:19]
	v_fma_f64 v[6:7], v[6:7], v[157:158], -v[20:21]
	v_add_f64 v[10:11], v[14:15], v[10:11]
	v_add_f64 v[12:13], v[16:17], v[12:13]
	s_waitcnt vmcnt(0) lgkmcnt(0)
	v_mul_f64 v[14:15], v[2:3], v[40:41]
	v_mul_f64 v[16:17], v[4:5], v[40:41]
	s_delay_alu instid0(VALU_DEP_4) | instskip(NEXT) | instid1(VALU_DEP_4)
	v_add_f64 v[10:11], v[10:11], v[24:25]
	v_add_f64 v[12:13], v[12:13], v[22:23]
	s_delay_alu instid0(VALU_DEP_4) | instskip(NEXT) | instid1(VALU_DEP_4)
	v_fma_f64 v[4:5], v[4:5], v[38:39], v[14:15]
	v_fma_f64 v[2:3], v[2:3], v[38:39], -v[16:17]
	s_delay_alu instid0(VALU_DEP_4) | instskip(NEXT) | instid1(VALU_DEP_4)
	v_add_f64 v[6:7], v[10:11], v[6:7]
	v_add_f64 v[8:9], v[12:13], v[8:9]
	s_delay_alu instid0(VALU_DEP_2) | instskip(NEXT) | instid1(VALU_DEP_2)
	v_add_f64 v[2:3], v[6:7], v[2:3]
	v_add_f64 v[4:5], v[8:9], v[4:5]
	s_delay_alu instid0(VALU_DEP_2) | instskip(NEXT) | instid1(VALU_DEP_2)
	v_add_f64 v[2:3], v[42:43], -v[2:3]
	v_add_f64 v[4:5], v[44:45], -v[4:5]
	scratch_store_b128 off, v[2:5], off offset:32
	v_cmpx_lt_u32_e32 1, v154
	s_cbranch_execz .LBB53_335
; %bb.334:
	scratch_load_b128 v[5:8], v207, off
	v_mov_b32_e32 v2, v1
	v_mov_b32_e32 v3, v1
	;; [unrolled: 1-line block ×3, first 2 shown]
	scratch_store_b128 off, v[1:4], off offset:16
	s_waitcnt vmcnt(0)
	ds_store_b128 v208, v[5:8]
.LBB53_335:
	s_or_b32 exec_lo, exec_lo, s2
	s_waitcnt lgkmcnt(0)
	s_waitcnt_vscnt null, 0x0
	s_barrier
	buffer_gl0_inv
	s_clause 0x8
	scratch_load_b128 v[2:5], off, off offset:32
	scratch_load_b128 v[6:9], off, off offset:48
	;; [unrolled: 1-line block ×9, first 2 shown]
	ds_load_b128 v[42:45], v1 offset:896
	ds_load_b128 v[38:41], v1 offset:912
	s_clause 0x1
	scratch_load_b128 v[157:160], off, off offset:16
	scratch_load_b128 v[171:174], off, off offset:176
	s_mov_b32 s2, exec_lo
	ds_load_b128 v[220:223], v1 offset:944
	s_waitcnt vmcnt(10) lgkmcnt(2)
	v_mul_f64 v[48:49], v[44:45], v[4:5]
	v_mul_f64 v[4:5], v[42:43], v[4:5]
	s_waitcnt vmcnt(9) lgkmcnt(1)
	v_mul_f64 v[50:51], v[38:39], v[8:9]
	v_mul_f64 v[8:9], v[40:41], v[8:9]
	s_delay_alu instid0(VALU_DEP_4) | instskip(NEXT) | instid1(VALU_DEP_4)
	v_fma_f64 v[48:49], v[42:43], v[2:3], -v[48:49]
	v_fma_f64 v[164:165], v[44:45], v[2:3], v[4:5]
	ds_load_b128 v[2:5], v1 offset:928
	scratch_load_b128 v[42:45], off, off offset:192
	v_fma_f64 v[40:41], v[40:41], v[6:7], v[50:51]
	v_fma_f64 v[38:39], v[38:39], v[6:7], -v[8:9]
	scratch_load_b128 v[6:9], off, off offset:208
	s_waitcnt vmcnt(10) lgkmcnt(0)
	v_mul_f64 v[168:169], v[2:3], v[12:13]
	v_mul_f64 v[12:13], v[4:5], v[12:13]
	v_add_f64 v[48:49], v[48:49], 0
	v_add_f64 v[50:51], v[164:165], 0
	s_waitcnt vmcnt(9)
	v_mul_f64 v[164:165], v[220:221], v[16:17]
	v_mul_f64 v[16:17], v[222:223], v[16:17]
	v_fma_f64 v[168:169], v[4:5], v[10:11], v[168:169]
	v_fma_f64 v[226:227], v[2:3], v[10:11], -v[12:13]
	ds_load_b128 v[2:5], v1 offset:960
	scratch_load_b128 v[10:13], off, off offset:224
	v_add_f64 v[48:49], v[48:49], v[38:39]
	v_add_f64 v[50:51], v[50:51], v[40:41]
	ds_load_b128 v[38:41], v1 offset:976
	v_fma_f64 v[164:165], v[222:223], v[14:15], v[164:165]
	v_fma_f64 v[220:221], v[220:221], v[14:15], -v[16:17]
	scratch_load_b128 v[14:17], off, off offset:240
	s_waitcnt vmcnt(10) lgkmcnt(1)
	v_mul_f64 v[228:229], v[2:3], v[20:21]
	v_mul_f64 v[20:21], v[4:5], v[20:21]
	v_add_f64 v[48:49], v[48:49], v[226:227]
	v_add_f64 v[50:51], v[50:51], v[168:169]
	s_waitcnt vmcnt(9) lgkmcnt(0)
	v_mul_f64 v[168:169], v[38:39], v[24:25]
	v_mul_f64 v[24:25], v[40:41], v[24:25]
	v_fma_f64 v[226:227], v[4:5], v[18:19], v[228:229]
	v_fma_f64 v[228:229], v[2:3], v[18:19], -v[20:21]
	ds_load_b128 v[2:5], v1 offset:992
	scratch_load_b128 v[18:21], off, off offset:256
	v_add_f64 v[48:49], v[48:49], v[220:221]
	v_add_f64 v[50:51], v[50:51], v[164:165]
	ds_load_b128 v[220:223], v1 offset:1008
	s_waitcnt vmcnt(9) lgkmcnt(1)
	v_mul_f64 v[164:165], v[2:3], v[28:29]
	v_mul_f64 v[28:29], v[4:5], v[28:29]
	v_fma_f64 v[40:41], v[40:41], v[22:23], v[168:169]
	v_fma_f64 v[38:39], v[38:39], v[22:23], -v[24:25]
	scratch_load_b128 v[22:25], off, off offset:272
	s_waitcnt vmcnt(9) lgkmcnt(0)
	v_mul_f64 v[168:169], v[220:221], v[32:33]
	v_mul_f64 v[32:33], v[222:223], v[32:33]
	v_add_f64 v[48:49], v[48:49], v[228:229]
	v_add_f64 v[50:51], v[50:51], v[226:227]
	v_fma_f64 v[164:165], v[4:5], v[26:27], v[164:165]
	v_fma_f64 v[226:227], v[2:3], v[26:27], -v[28:29]
	ds_load_b128 v[2:5], v1 offset:1024
	scratch_load_b128 v[26:29], off, off offset:288
	v_fma_f64 v[168:169], v[222:223], v[30:31], v[168:169]
	v_fma_f64 v[220:221], v[220:221], v[30:31], -v[32:33]
	scratch_load_b128 v[30:33], off, off offset:304
	v_add_f64 v[48:49], v[48:49], v[38:39]
	v_add_f64 v[50:51], v[50:51], v[40:41]
	ds_load_b128 v[38:41], v1 offset:1040
	s_waitcnt vmcnt(10) lgkmcnt(1)
	v_mul_f64 v[228:229], v[2:3], v[36:37]
	v_mul_f64 v[36:37], v[4:5], v[36:37]
	v_add_f64 v[48:49], v[48:49], v[226:227]
	v_add_f64 v[50:51], v[50:51], v[164:165]
	s_waitcnt vmcnt(8) lgkmcnt(0)
	v_mul_f64 v[164:165], v[38:39], v[173:174]
	v_mul_f64 v[173:174], v[40:41], v[173:174]
	v_fma_f64 v[226:227], v[4:5], v[34:35], v[228:229]
	v_fma_f64 v[228:229], v[2:3], v[34:35], -v[36:37]
	ds_load_b128 v[2:5], v1 offset:1056
	scratch_load_b128 v[34:37], off, off offset:320
	v_add_f64 v[48:49], v[48:49], v[220:221]
	v_add_f64 v[50:51], v[50:51], v[168:169]
	ds_load_b128 v[220:223], v1 offset:1072
	v_fma_f64 v[164:165], v[40:41], v[171:172], v[164:165]
	v_fma_f64 v[171:172], v[38:39], v[171:172], -v[173:174]
	scratch_load_b128 v[38:41], off, off offset:336
	s_waitcnt vmcnt(9) lgkmcnt(1)
	v_mul_f64 v[168:169], v[2:3], v[44:45]
	v_mul_f64 v[44:45], v[4:5], v[44:45]
	v_add_f64 v[48:49], v[48:49], v[228:229]
	v_add_f64 v[50:51], v[50:51], v[226:227]
	s_waitcnt vmcnt(8) lgkmcnt(0)
	v_mul_f64 v[226:227], v[220:221], v[8:9]
	v_mul_f64 v[8:9], v[222:223], v[8:9]
	v_fma_f64 v[168:169], v[4:5], v[42:43], v[168:169]
	v_fma_f64 v[228:229], v[2:3], v[42:43], -v[44:45]
	ds_load_b128 v[2:5], v1 offset:1088
	scratch_load_b128 v[42:45], off, off offset:352
	v_add_f64 v[48:49], v[48:49], v[171:172]
	v_add_f64 v[50:51], v[50:51], v[164:165]
	ds_load_b128 v[171:174], v1 offset:1104
	s_waitcnt vmcnt(8) lgkmcnt(1)
	v_mul_f64 v[164:165], v[2:3], v[12:13]
	v_mul_f64 v[12:13], v[4:5], v[12:13]
	v_fma_f64 v[222:223], v[222:223], v[6:7], v[226:227]
	v_fma_f64 v[220:221], v[220:221], v[6:7], -v[8:9]
	scratch_load_b128 v[6:9], off, off offset:368
	v_add_f64 v[48:49], v[48:49], v[228:229]
	v_add_f64 v[50:51], v[50:51], v[168:169]
	s_waitcnt vmcnt(8) lgkmcnt(0)
	v_mul_f64 v[168:169], v[171:172], v[16:17]
	v_mul_f64 v[16:17], v[173:174], v[16:17]
	v_fma_f64 v[164:165], v[4:5], v[10:11], v[164:165]
	v_fma_f64 v[226:227], v[2:3], v[10:11], -v[12:13]
	ds_load_b128 v[2:5], v1 offset:1120
	scratch_load_b128 v[10:13], off, off offset:384
	v_add_f64 v[48:49], v[48:49], v[220:221]
	v_add_f64 v[50:51], v[50:51], v[222:223]
	ds_load_b128 v[220:223], v1 offset:1136
	s_waitcnt vmcnt(8) lgkmcnt(1)
	v_mul_f64 v[228:229], v[2:3], v[20:21]
	v_mul_f64 v[20:21], v[4:5], v[20:21]
	v_fma_f64 v[168:169], v[173:174], v[14:15], v[168:169]
	v_fma_f64 v[171:172], v[171:172], v[14:15], -v[16:17]
	scratch_load_b128 v[14:17], off, off offset:400
	;; [unrolled: 18-line block ×16, first 2 shown]
	v_add_f64 v[48:49], v[48:49], v[228:229]
	v_add_f64 v[50:51], v[50:51], v[168:169]
	s_waitcnt vmcnt(8) lgkmcnt(0)
	v_mul_f64 v[168:169], v[220:221], v[16:17]
	v_mul_f64 v[16:17], v[222:223], v[16:17]
	v_fma_f64 v[164:165], v[4:5], v[10:11], v[164:165]
	v_fma_f64 v[226:227], v[2:3], v[10:11], -v[12:13]
	ds_load_b128 v[2:5], v1 offset:1600
	ds_load_b128 v[10:13], v1 offset:1616
	v_add_f64 v[48:49], v[48:49], v[171:172]
	v_add_f64 v[50:51], v[50:51], v[173:174]
	s_waitcnt vmcnt(7) lgkmcnt(1)
	v_mul_f64 v[171:172], v[2:3], v[20:21]
	v_mul_f64 v[20:21], v[4:5], v[20:21]
	v_fma_f64 v[168:169], v[222:223], v[14:15], v[168:169]
	v_fma_f64 v[14:15], v[220:221], v[14:15], -v[16:17]
	v_add_f64 v[16:17], v[48:49], v[226:227]
	v_add_f64 v[48:49], v[50:51], v[164:165]
	s_waitcnt vmcnt(6) lgkmcnt(0)
	v_mul_f64 v[50:51], v[10:11], v[24:25]
	v_mul_f64 v[24:25], v[12:13], v[24:25]
	v_fma_f64 v[164:165], v[4:5], v[18:19], v[171:172]
	v_fma_f64 v[18:19], v[2:3], v[18:19], -v[20:21]
	v_add_f64 v[20:21], v[16:17], v[14:15]
	v_add_f64 v[48:49], v[48:49], v[168:169]
	ds_load_b128 v[2:5], v1 offset:1632
	ds_load_b128 v[14:17], v1 offset:1648
	v_fma_f64 v[12:13], v[12:13], v[22:23], v[50:51]
	v_fma_f64 v[10:11], v[10:11], v[22:23], -v[24:25]
	s_waitcnt vmcnt(5) lgkmcnt(1)
	v_mul_f64 v[168:169], v[2:3], v[28:29]
	v_mul_f64 v[28:29], v[4:5], v[28:29]
	s_waitcnt vmcnt(4) lgkmcnt(0)
	v_mul_f64 v[22:23], v[14:15], v[32:33]
	v_mul_f64 v[24:25], v[16:17], v[32:33]
	v_add_f64 v[18:19], v[20:21], v[18:19]
	v_add_f64 v[20:21], v[48:49], v[164:165]
	v_fma_f64 v[32:33], v[4:5], v[26:27], v[168:169]
	v_fma_f64 v[26:27], v[2:3], v[26:27], -v[28:29]
	v_fma_f64 v[16:17], v[16:17], v[30:31], v[22:23]
	v_fma_f64 v[14:15], v[14:15], v[30:31], -v[24:25]
	v_add_f64 v[18:19], v[18:19], v[10:11]
	v_add_f64 v[20:21], v[20:21], v[12:13]
	ds_load_b128 v[2:5], v1 offset:1664
	ds_load_b128 v[10:13], v1 offset:1680
	s_waitcnt vmcnt(3) lgkmcnt(1)
	v_mul_f64 v[28:29], v[2:3], v[36:37]
	v_mul_f64 v[36:37], v[4:5], v[36:37]
	s_waitcnt vmcnt(2) lgkmcnt(0)
	v_mul_f64 v[22:23], v[10:11], v[40:41]
	v_mul_f64 v[24:25], v[12:13], v[40:41]
	v_add_f64 v[18:19], v[18:19], v[26:27]
	v_add_f64 v[20:21], v[20:21], v[32:33]
	v_fma_f64 v[26:27], v[4:5], v[34:35], v[28:29]
	v_fma_f64 v[28:29], v[2:3], v[34:35], -v[36:37]
	v_fma_f64 v[12:13], v[12:13], v[38:39], v[22:23]
	v_fma_f64 v[10:11], v[10:11], v[38:39], -v[24:25]
	v_add_f64 v[18:19], v[18:19], v[14:15]
	v_add_f64 v[20:21], v[20:21], v[16:17]
	ds_load_b128 v[2:5], v1 offset:1696
	ds_load_b128 v[14:17], v1 offset:1712
	s_waitcnt vmcnt(1) lgkmcnt(1)
	v_mul_f64 v[30:31], v[2:3], v[44:45]
	v_mul_f64 v[32:33], v[4:5], v[44:45]
	s_waitcnt vmcnt(0) lgkmcnt(0)
	v_mul_f64 v[22:23], v[14:15], v[8:9]
	v_mul_f64 v[8:9], v[16:17], v[8:9]
	v_add_f64 v[18:19], v[18:19], v[28:29]
	v_add_f64 v[20:21], v[20:21], v[26:27]
	v_fma_f64 v[4:5], v[4:5], v[42:43], v[30:31]
	v_fma_f64 v[1:2], v[2:3], v[42:43], -v[32:33]
	v_fma_f64 v[16:17], v[16:17], v[6:7], v[22:23]
	v_fma_f64 v[6:7], v[14:15], v[6:7], -v[8:9]
	v_add_f64 v[10:11], v[18:19], v[10:11]
	v_add_f64 v[12:13], v[20:21], v[12:13]
	s_delay_alu instid0(VALU_DEP_2) | instskip(NEXT) | instid1(VALU_DEP_2)
	v_add_f64 v[1:2], v[10:11], v[1:2]
	v_add_f64 v[3:4], v[12:13], v[4:5]
	s_delay_alu instid0(VALU_DEP_2) | instskip(NEXT) | instid1(VALU_DEP_2)
	;; [unrolled: 3-line block ×3, first 2 shown]
	v_add_f64 v[1:2], v[157:158], -v[1:2]
	v_add_f64 v[3:4], v[159:160], -v[3:4]
	scratch_store_b128 off, v[1:4], off offset:16
	v_cmpx_ne_u32_e32 0, v154
	s_cbranch_execz .LBB53_337
; %bb.336:
	scratch_load_b128 v[1:4], off, off
	v_mov_b32_e32 v5, 0
	s_delay_alu instid0(VALU_DEP_1)
	v_mov_b32_e32 v6, v5
	v_mov_b32_e32 v7, v5
	;; [unrolled: 1-line block ×3, first 2 shown]
	scratch_store_b128 off, v[5:8], off
	s_waitcnt vmcnt(0)
	ds_store_b128 v208, v[1:4]
.LBB53_337:
	s_or_b32 exec_lo, exec_lo, s2
	s_waitcnt lgkmcnt(0)
	s_waitcnt_vscnt null, 0x0
	s_barrier
	buffer_gl0_inv
	s_clause 0x7
	scratch_load_b128 v[1:4], off, off offset:16
	scratch_load_b128 v[5:8], off, off offset:32
	;; [unrolled: 1-line block ×8, first 2 shown]
	v_mov_b32_e32 v41, 0
	s_and_b32 vcc_lo, exec_lo, s20
	ds_load_b128 v[37:40], v41 offset:880
	s_clause 0x1
	scratch_load_b128 v[33:36], off, off offset:144
	scratch_load_b128 v[42:45], off, off
	ds_load_b128 v[157:160], v41 offset:896
	scratch_load_b128 v[171:174], off, off offset:160
	ds_load_b128 v[220:223], v41 offset:928
	s_waitcnt vmcnt(10) lgkmcnt(2)
	v_mul_f64 v[48:49], v[39:40], v[3:4]
	v_mul_f64 v[3:4], v[37:38], v[3:4]
	s_delay_alu instid0(VALU_DEP_2) | instskip(NEXT) | instid1(VALU_DEP_2)
	v_fma_f64 v[48:49], v[37:38], v[1:2], -v[48:49]
	v_fma_f64 v[164:165], v[39:40], v[1:2], v[3:4]
	ds_load_b128 v[1:4], v41 offset:912
	s_waitcnt vmcnt(9) lgkmcnt(2)
	v_mul_f64 v[50:51], v[157:158], v[7:8]
	v_mul_f64 v[7:8], v[159:160], v[7:8]
	scratch_load_b128 v[37:40], off, off offset:176
	s_waitcnt vmcnt(9) lgkmcnt(0)
	v_mul_f64 v[168:169], v[1:2], v[11:12]
	v_mul_f64 v[11:12], v[3:4], v[11:12]
	v_add_f64 v[48:49], v[48:49], 0
	v_fma_f64 v[50:51], v[159:160], v[5:6], v[50:51]
	v_fma_f64 v[157:158], v[157:158], v[5:6], -v[7:8]
	v_add_f64 v[159:160], v[164:165], 0
	scratch_load_b128 v[5:8], off, off offset:192
	v_fma_f64 v[168:169], v[3:4], v[9:10], v[168:169]
	v_fma_f64 v[226:227], v[1:2], v[9:10], -v[11:12]
	scratch_load_b128 v[9:12], off, off offset:208
	ds_load_b128 v[1:4], v41 offset:944
	s_waitcnt vmcnt(10)
	v_mul_f64 v[164:165], v[220:221], v[15:16]
	v_mul_f64 v[15:16], v[222:223], v[15:16]
	v_add_f64 v[48:49], v[48:49], v[157:158]
	v_add_f64 v[50:51], v[159:160], v[50:51]
	ds_load_b128 v[157:160], v41 offset:960
	s_waitcnt vmcnt(9) lgkmcnt(1)
	v_mul_f64 v[228:229], v[1:2], v[19:20]
	v_mul_f64 v[19:20], v[3:4], v[19:20]
	v_fma_f64 v[164:165], v[222:223], v[13:14], v[164:165]
	v_fma_f64 v[220:221], v[220:221], v[13:14], -v[15:16]
	scratch_load_b128 v[13:16], off, off offset:224
	v_add_f64 v[48:49], v[48:49], v[226:227]
	v_add_f64 v[50:51], v[50:51], v[168:169]
	v_fma_f64 v[226:227], v[3:4], v[17:18], v[228:229]
	v_fma_f64 v[228:229], v[1:2], v[17:18], -v[19:20]
	scratch_load_b128 v[17:20], off, off offset:240
	ds_load_b128 v[1:4], v41 offset:976
	s_waitcnt vmcnt(10) lgkmcnt(1)
	v_mul_f64 v[168:169], v[157:158], v[23:24]
	v_mul_f64 v[23:24], v[159:160], v[23:24]
	v_add_f64 v[48:49], v[48:49], v[220:221]
	v_add_f64 v[50:51], v[50:51], v[164:165]
	s_waitcnt vmcnt(9) lgkmcnt(0)
	v_mul_f64 v[164:165], v[1:2], v[27:28]
	v_mul_f64 v[27:28], v[3:4], v[27:28]
	ds_load_b128 v[220:223], v41 offset:992
	v_fma_f64 v[159:160], v[159:160], v[21:22], v[168:169]
	v_fma_f64 v[157:158], v[157:158], v[21:22], -v[23:24]
	scratch_load_b128 v[21:24], off, off offset:256
	v_add_f64 v[48:49], v[48:49], v[228:229]
	v_add_f64 v[50:51], v[50:51], v[226:227]
	v_fma_f64 v[164:165], v[3:4], v[25:26], v[164:165]
	v_fma_f64 v[226:227], v[1:2], v[25:26], -v[27:28]
	scratch_load_b128 v[25:28], off, off offset:272
	ds_load_b128 v[1:4], v41 offset:1008
	s_waitcnt vmcnt(10) lgkmcnt(1)
	v_mul_f64 v[168:169], v[220:221], v[31:32]
	v_mul_f64 v[31:32], v[222:223], v[31:32]
	s_waitcnt vmcnt(9) lgkmcnt(0)
	v_mul_f64 v[228:229], v[1:2], v[35:36]
	v_mul_f64 v[35:36], v[3:4], v[35:36]
	v_add_f64 v[48:49], v[48:49], v[157:158]
	v_add_f64 v[50:51], v[50:51], v[159:160]
	ds_load_b128 v[157:160], v41 offset:1024
	v_fma_f64 v[168:169], v[222:223], v[29:30], v[168:169]
	v_fma_f64 v[220:221], v[220:221], v[29:30], -v[31:32]
	scratch_load_b128 v[29:32], off, off offset:288
	v_add_f64 v[48:49], v[48:49], v[226:227]
	v_add_f64 v[50:51], v[50:51], v[164:165]
	v_fma_f64 v[226:227], v[3:4], v[33:34], v[228:229]
	v_fma_f64 v[228:229], v[1:2], v[33:34], -v[35:36]
	scratch_load_b128 v[33:36], off, off offset:304
	ds_load_b128 v[1:4], v41 offset:1040
	s_waitcnt vmcnt(9) lgkmcnt(1)
	v_mul_f64 v[164:165], v[157:158], v[173:174]
	v_mul_f64 v[173:174], v[159:160], v[173:174]
	v_add_f64 v[48:49], v[48:49], v[220:221]
	v_add_f64 v[50:51], v[50:51], v[168:169]
	ds_load_b128 v[220:223], v41 offset:1056
	v_fma_f64 v[164:165], v[159:160], v[171:172], v[164:165]
	v_fma_f64 v[171:172], v[157:158], v[171:172], -v[173:174]
	scratch_load_b128 v[157:160], off, off offset:320
	s_waitcnt vmcnt(9) lgkmcnt(1)
	v_mul_f64 v[168:169], v[1:2], v[39:40]
	v_mul_f64 v[39:40], v[3:4], v[39:40]
	v_add_f64 v[48:49], v[48:49], v[228:229]
	v_add_f64 v[50:51], v[50:51], v[226:227]
	s_delay_alu instid0(VALU_DEP_4) | instskip(NEXT) | instid1(VALU_DEP_4)
	v_fma_f64 v[168:169], v[3:4], v[37:38], v[168:169]
	v_fma_f64 v[228:229], v[1:2], v[37:38], -v[39:40]
	scratch_load_b128 v[37:40], off, off offset:336
	ds_load_b128 v[1:4], v41 offset:1072
	s_waitcnt vmcnt(9) lgkmcnt(1)
	v_mul_f64 v[226:227], v[220:221], v[7:8]
	v_mul_f64 v[7:8], v[222:223], v[7:8]
	v_add_f64 v[48:49], v[48:49], v[171:172]
	v_add_f64 v[50:51], v[50:51], v[164:165]
	s_waitcnt vmcnt(8) lgkmcnt(0)
	v_mul_f64 v[164:165], v[1:2], v[11:12]
	v_mul_f64 v[11:12], v[3:4], v[11:12]
	ds_load_b128 v[171:174], v41 offset:1088
	v_fma_f64 v[222:223], v[222:223], v[5:6], v[226:227]
	v_fma_f64 v[220:221], v[220:221], v[5:6], -v[7:8]
	scratch_load_b128 v[5:8], off, off offset:352
	v_add_f64 v[48:49], v[48:49], v[228:229]
	v_add_f64 v[50:51], v[50:51], v[168:169]
	v_fma_f64 v[164:165], v[3:4], v[9:10], v[164:165]
	v_fma_f64 v[226:227], v[1:2], v[9:10], -v[11:12]
	scratch_load_b128 v[9:12], off, off offset:368
	ds_load_b128 v[1:4], v41 offset:1104
	s_waitcnt vmcnt(9) lgkmcnt(1)
	v_mul_f64 v[168:169], v[171:172], v[15:16]
	v_mul_f64 v[15:16], v[173:174], v[15:16]
	s_waitcnt vmcnt(8) lgkmcnt(0)
	v_mul_f64 v[228:229], v[1:2], v[19:20]
	v_mul_f64 v[19:20], v[3:4], v[19:20]
	v_add_f64 v[48:49], v[48:49], v[220:221]
	v_add_f64 v[50:51], v[50:51], v[222:223]
	ds_load_b128 v[220:223], v41 offset:1120
	v_fma_f64 v[168:169], v[173:174], v[13:14], v[168:169]
	v_fma_f64 v[171:172], v[171:172], v[13:14], -v[15:16]
	scratch_load_b128 v[13:16], off, off offset:384
	v_add_f64 v[48:49], v[48:49], v[226:227]
	v_add_f64 v[50:51], v[50:51], v[164:165]
	v_fma_f64 v[226:227], v[3:4], v[17:18], v[228:229]
	v_fma_f64 v[228:229], v[1:2], v[17:18], -v[19:20]
	scratch_load_b128 v[17:20], off, off offset:400
	ds_load_b128 v[1:4], v41 offset:1136
	s_waitcnt vmcnt(9) lgkmcnt(1)
	v_mul_f64 v[164:165], v[220:221], v[23:24]
	v_mul_f64 v[23:24], v[222:223], v[23:24]
	v_add_f64 v[48:49], v[48:49], v[171:172]
	v_add_f64 v[50:51], v[50:51], v[168:169]
	s_waitcnt vmcnt(8) lgkmcnt(0)
	v_mul_f64 v[168:169], v[1:2], v[27:28]
	v_mul_f64 v[27:28], v[3:4], v[27:28]
	ds_load_b128 v[171:174], v41 offset:1152
	v_fma_f64 v[164:165], v[222:223], v[21:22], v[164:165]
	v_fma_f64 v[220:221], v[220:221], v[21:22], -v[23:24]
	scratch_load_b128 v[21:24], off, off offset:416
	v_add_f64 v[48:49], v[48:49], v[228:229]
	v_add_f64 v[50:51], v[50:51], v[226:227]
	v_fma_f64 v[168:169], v[3:4], v[25:26], v[168:169]
	v_fma_f64 v[228:229], v[1:2], v[25:26], -v[27:28]
	scratch_load_b128 v[25:28], off, off offset:432
	ds_load_b128 v[1:4], v41 offset:1168
	s_waitcnt vmcnt(9) lgkmcnt(1)
	v_mul_f64 v[226:227], v[171:172], v[31:32]
	v_mul_f64 v[31:32], v[173:174], v[31:32]
	v_add_f64 v[48:49], v[48:49], v[220:221]
	v_add_f64 v[50:51], v[50:51], v[164:165]
	s_waitcnt vmcnt(8) lgkmcnt(0)
	v_mul_f64 v[164:165], v[1:2], v[35:36]
	v_mul_f64 v[35:36], v[3:4], v[35:36]
	ds_load_b128 v[220:223], v41 offset:1184
	v_fma_f64 v[173:174], v[173:174], v[29:30], v[226:227]
	v_fma_f64 v[171:172], v[171:172], v[29:30], -v[31:32]
	scratch_load_b128 v[29:32], off, off offset:448
	v_add_f64 v[48:49], v[48:49], v[228:229]
	v_add_f64 v[50:51], v[50:51], v[168:169]
	v_fma_f64 v[164:165], v[3:4], v[33:34], v[164:165]
	v_fma_f64 v[226:227], v[1:2], v[33:34], -v[35:36]
	scratch_load_b128 v[33:36], off, off offset:464
	ds_load_b128 v[1:4], v41 offset:1200
	s_waitcnt vmcnt(9) lgkmcnt(1)
	v_mul_f64 v[168:169], v[220:221], v[159:160]
	v_mul_f64 v[159:160], v[222:223], v[159:160]
	s_waitcnt vmcnt(8) lgkmcnt(0)
	v_mul_f64 v[228:229], v[1:2], v[39:40]
	v_mul_f64 v[39:40], v[3:4], v[39:40]
	v_add_f64 v[48:49], v[48:49], v[171:172]
	v_add_f64 v[50:51], v[50:51], v[173:174]
	ds_load_b128 v[171:174], v41 offset:1216
	v_fma_f64 v[168:169], v[222:223], v[157:158], v[168:169]
	v_fma_f64 v[220:221], v[220:221], v[157:158], -v[159:160]
	scratch_load_b128 v[157:160], off, off offset:480
	v_add_f64 v[48:49], v[48:49], v[226:227]
	v_add_f64 v[50:51], v[50:51], v[164:165]
	v_fma_f64 v[226:227], v[3:4], v[37:38], v[228:229]
	v_fma_f64 v[228:229], v[1:2], v[37:38], -v[39:40]
	scratch_load_b128 v[37:40], off, off offset:496
	ds_load_b128 v[1:4], v41 offset:1232
	s_waitcnt vmcnt(9) lgkmcnt(1)
	v_mul_f64 v[164:165], v[171:172], v[7:8]
	v_mul_f64 v[7:8], v[173:174], v[7:8]
	v_add_f64 v[48:49], v[48:49], v[220:221]
	v_add_f64 v[50:51], v[50:51], v[168:169]
	s_waitcnt vmcnt(8) lgkmcnt(0)
	v_mul_f64 v[168:169], v[1:2], v[11:12]
	v_mul_f64 v[11:12], v[3:4], v[11:12]
	ds_load_b128 v[220:223], v41 offset:1248
	v_fma_f64 v[164:165], v[173:174], v[5:6], v[164:165]
	v_fma_f64 v[171:172], v[171:172], v[5:6], -v[7:8]
	scratch_load_b128 v[5:8], off, off offset:512
	v_add_f64 v[48:49], v[48:49], v[228:229]
	v_add_f64 v[50:51], v[50:51], v[226:227]
	;; [unrolled: 54-line block ×5, first 2 shown]
	v_fma_f64 v[168:169], v[3:4], v[37:38], v[168:169]
	v_fma_f64 v[228:229], v[1:2], v[37:38], -v[39:40]
	scratch_load_b128 v[37:40], off, off offset:816
	ds_load_b128 v[1:4], v41 offset:1552
	s_waitcnt vmcnt(9) lgkmcnt(1)
	v_mul_f64 v[226:227], v[171:172], v[7:8]
	v_mul_f64 v[7:8], v[173:174], v[7:8]
	v_add_f64 v[48:49], v[48:49], v[220:221]
	v_add_f64 v[50:51], v[50:51], v[164:165]
	s_waitcnt vmcnt(8) lgkmcnt(0)
	v_mul_f64 v[164:165], v[1:2], v[11:12]
	v_mul_f64 v[11:12], v[3:4], v[11:12]
	ds_load_b128 v[220:223], v41 offset:1568
	v_fma_f64 v[173:174], v[173:174], v[5:6], v[226:227]
	v_fma_f64 v[171:172], v[171:172], v[5:6], -v[7:8]
	scratch_load_b128 v[5:8], off, off offset:832
	v_add_f64 v[48:49], v[48:49], v[228:229]
	v_add_f64 v[50:51], v[50:51], v[168:169]
	v_fma_f64 v[164:165], v[3:4], v[9:10], v[164:165]
	v_fma_f64 v[226:227], v[1:2], v[9:10], -v[11:12]
	scratch_load_b128 v[9:12], off, off offset:848
	ds_load_b128 v[1:4], v41 offset:1584
	s_waitcnt vmcnt(9) lgkmcnt(1)
	v_mul_f64 v[168:169], v[220:221], v[15:16]
	v_mul_f64 v[15:16], v[222:223], v[15:16]
	s_waitcnt vmcnt(8) lgkmcnt(0)
	v_mul_f64 v[228:229], v[1:2], v[19:20]
	v_mul_f64 v[19:20], v[3:4], v[19:20]
	v_add_f64 v[48:49], v[48:49], v[171:172]
	v_add_f64 v[50:51], v[50:51], v[173:174]
	ds_load_b128 v[171:174], v41 offset:1600
	v_fma_f64 v[168:169], v[222:223], v[13:14], v[168:169]
	v_fma_f64 v[13:14], v[220:221], v[13:14], -v[15:16]
	v_add_f64 v[15:16], v[48:49], v[226:227]
	v_add_f64 v[48:49], v[50:51], v[164:165]
	s_waitcnt vmcnt(7) lgkmcnt(0)
	v_mul_f64 v[50:51], v[171:172], v[23:24]
	v_mul_f64 v[23:24], v[173:174], v[23:24]
	v_fma_f64 v[164:165], v[3:4], v[17:18], v[228:229]
	v_fma_f64 v[17:18], v[1:2], v[17:18], -v[19:20]
	v_add_f64 v[19:20], v[15:16], v[13:14]
	v_add_f64 v[48:49], v[48:49], v[168:169]
	ds_load_b128 v[1:4], v41 offset:1616
	ds_load_b128 v[13:16], v41 offset:1632
	v_fma_f64 v[50:51], v[173:174], v[21:22], v[50:51]
	v_fma_f64 v[21:22], v[171:172], v[21:22], -v[23:24]
	s_waitcnt vmcnt(6) lgkmcnt(1)
	v_mul_f64 v[168:169], v[1:2], v[27:28]
	v_mul_f64 v[27:28], v[3:4], v[27:28]
	s_waitcnt vmcnt(5) lgkmcnt(0)
	v_mul_f64 v[23:24], v[13:14], v[31:32]
	v_mul_f64 v[31:32], v[15:16], v[31:32]
	v_add_f64 v[17:18], v[19:20], v[17:18]
	v_add_f64 v[19:20], v[48:49], v[164:165]
	v_fma_f64 v[48:49], v[3:4], v[25:26], v[168:169]
	v_fma_f64 v[25:26], v[1:2], v[25:26], -v[27:28]
	v_fma_f64 v[15:16], v[15:16], v[29:30], v[23:24]
	v_fma_f64 v[13:14], v[13:14], v[29:30], -v[31:32]
	v_add_f64 v[21:22], v[17:18], v[21:22]
	v_add_f64 v[27:28], v[19:20], v[50:51]
	ds_load_b128 v[1:4], v41 offset:1648
	ds_load_b128 v[17:20], v41 offset:1664
	s_waitcnt vmcnt(4) lgkmcnt(1)
	v_mul_f64 v[50:51], v[1:2], v[35:36]
	v_mul_f64 v[35:36], v[3:4], v[35:36]
	v_add_f64 v[21:22], v[21:22], v[25:26]
	v_add_f64 v[23:24], v[27:28], v[48:49]
	s_waitcnt vmcnt(3) lgkmcnt(0)
	v_mul_f64 v[25:26], v[17:18], v[159:160]
	v_mul_f64 v[27:28], v[19:20], v[159:160]
	v_fma_f64 v[29:30], v[3:4], v[33:34], v[50:51]
	v_fma_f64 v[31:32], v[1:2], v[33:34], -v[35:36]
	v_add_f64 v[21:22], v[21:22], v[13:14]
	v_add_f64 v[23:24], v[23:24], v[15:16]
	ds_load_b128 v[1:4], v41 offset:1680
	ds_load_b128 v[13:16], v41 offset:1696
	v_fma_f64 v[19:20], v[19:20], v[157:158], v[25:26]
	v_fma_f64 v[17:18], v[17:18], v[157:158], -v[27:28]
	s_waitcnt vmcnt(2) lgkmcnt(1)
	v_mul_f64 v[33:34], v[1:2], v[39:40]
	v_mul_f64 v[35:36], v[3:4], v[39:40]
	s_waitcnt vmcnt(1) lgkmcnt(0)
	v_mul_f64 v[25:26], v[13:14], v[7:8]
	v_mul_f64 v[7:8], v[15:16], v[7:8]
	v_add_f64 v[21:22], v[21:22], v[31:32]
	v_add_f64 v[23:24], v[23:24], v[29:30]
	v_fma_f64 v[27:28], v[3:4], v[37:38], v[33:34]
	v_fma_f64 v[29:30], v[1:2], v[37:38], -v[35:36]
	ds_load_b128 v[1:4], v41 offset:1712
	v_fma_f64 v[15:16], v[15:16], v[5:6], v[25:26]
	v_fma_f64 v[5:6], v[13:14], v[5:6], -v[7:8]
	v_add_f64 v[17:18], v[21:22], v[17:18]
	v_add_f64 v[19:20], v[23:24], v[19:20]
	s_waitcnt vmcnt(0) lgkmcnt(0)
	v_mul_f64 v[21:22], v[1:2], v[11:12]
	v_mul_f64 v[11:12], v[3:4], v[11:12]
	s_delay_alu instid0(VALU_DEP_4) | instskip(NEXT) | instid1(VALU_DEP_4)
	v_add_f64 v[7:8], v[17:18], v[29:30]
	v_add_f64 v[13:14], v[19:20], v[27:28]
	s_delay_alu instid0(VALU_DEP_4) | instskip(NEXT) | instid1(VALU_DEP_4)
	v_fma_f64 v[3:4], v[3:4], v[9:10], v[21:22]
	v_fma_f64 v[1:2], v[1:2], v[9:10], -v[11:12]
	s_delay_alu instid0(VALU_DEP_4) | instskip(NEXT) | instid1(VALU_DEP_4)
	v_add_f64 v[5:6], v[7:8], v[5:6]
	v_add_f64 v[7:8], v[13:14], v[15:16]
	s_delay_alu instid0(VALU_DEP_2) | instskip(NEXT) | instid1(VALU_DEP_2)
	v_add_f64 v[1:2], v[5:6], v[1:2]
	v_add_f64 v[3:4], v[7:8], v[3:4]
	s_delay_alu instid0(VALU_DEP_2) | instskip(NEXT) | instid1(VALU_DEP_2)
	v_add_f64 v[1:2], v[42:43], -v[1:2]
	v_add_f64 v[3:4], v[44:45], -v[3:4]
	scratch_store_b128 off, v[1:4], off
	s_cbranch_vccz .LBB53_445
; %bb.338:
	v_dual_mov_b32 v1, s16 :: v_dual_mov_b32 v2, s17
	s_load_b64 s[0:1], s[0:1], 0x4
	flat_load_b32 v1, v[1:2] offset:208
	v_bfe_u32 v2, v0, 10, 10
	v_bfe_u32 v0, v0, 20, 10
	s_waitcnt lgkmcnt(0)
	s_lshr_b32 s0, s0, 16
	s_delay_alu instid0(VALU_DEP_2) | instskip(SKIP_1) | instid1(SALU_CYCLE_1)
	v_mul_u32_u24_e32 v2, s1, v2
	s_mul_i32 s0, s0, s1
	v_mul_u32_u24_e32 v3, s0, v154
	s_mov_b32 s0, exec_lo
	s_delay_alu instid0(VALU_DEP_1) | instskip(NEXT) | instid1(VALU_DEP_1)
	v_add3_u32 v0, v3, v2, v0
	v_lshl_add_u32 v0, v0, 4, 0x6c8
	s_waitcnt vmcnt(0)
	v_cmpx_ne_u32_e32 53, v1
	s_cbranch_execz .LBB53_340
; %bb.339:
	v_lshl_add_u32 v9, v1, 4, 0
	s_clause 0x1
	scratch_load_b128 v[1:4], v163, off
	scratch_load_b128 v[5:8], v9, off offset:-16
	s_waitcnt vmcnt(1)
	ds_store_2addr_b64 v0, v[1:2], v[3:4] offset1:1
	s_waitcnt vmcnt(0)
	s_clause 0x1
	scratch_store_b128 v163, v[5:8], off
	scratch_store_b128 v9, v[1:4], off offset:-16
.LBB53_340:
	s_or_b32 exec_lo, exec_lo, s0
	v_dual_mov_b32 v1, s16 :: v_dual_mov_b32 v2, s17
	s_mov_b32 s0, exec_lo
	flat_load_b32 v1, v[1:2] offset:204
	s_waitcnt vmcnt(0) lgkmcnt(0)
	v_cmpx_ne_u32_e32 52, v1
	s_cbranch_execz .LBB53_342
; %bb.341:
	v_lshl_add_u32 v9, v1, 4, 0
	s_clause 0x1
	scratch_load_b128 v[1:4], v166, off
	scratch_load_b128 v[5:8], v9, off offset:-16
	s_waitcnt vmcnt(1)
	ds_store_2addr_b64 v0, v[1:2], v[3:4] offset1:1
	s_waitcnt vmcnt(0)
	s_clause 0x1
	scratch_store_b128 v166, v[5:8], off
	scratch_store_b128 v9, v[1:4], off offset:-16
.LBB53_342:
	s_or_b32 exec_lo, exec_lo, s0
	v_dual_mov_b32 v1, s16 :: v_dual_mov_b32 v2, s17
	s_mov_b32 s0, exec_lo
	flat_load_b32 v1, v[1:2] offset:200
	s_waitcnt vmcnt(0) lgkmcnt(0)
	;; [unrolled: 19-line block ×51, first 2 shown]
	v_cmpx_ne_u32_e32 2, v1
	s_cbranch_execz .LBB53_442
; %bb.441:
	v_lshl_add_u32 v9, v1, 4, 0
	s_clause 0x1
	scratch_load_b128 v[1:4], v207, off
	scratch_load_b128 v[5:8], v9, off offset:-16
	s_waitcnt vmcnt(1)
	ds_store_2addr_b64 v0, v[1:2], v[3:4] offset1:1
	s_waitcnt vmcnt(0)
	s_clause 0x1
	scratch_store_b128 v207, v[5:8], off
	scratch_store_b128 v9, v[1:4], off offset:-16
.LBB53_442:
	s_or_b32 exec_lo, exec_lo, s0
	v_dual_mov_b32 v1, s16 :: v_dual_mov_b32 v2, s17
	s_mov_b32 s0, exec_lo
	flat_load_b32 v1, v[1:2]
	s_waitcnt vmcnt(0) lgkmcnt(0)
	v_cmpx_ne_u32_e32 1, v1
	s_cbranch_execz .LBB53_444
; %bb.443:
	v_lshl_add_u32 v9, v1, 4, 0
	scratch_load_b128 v[1:4], off, off
	scratch_load_b128 v[5:8], v9, off offset:-16
	s_waitcnt vmcnt(1)
	ds_store_2addr_b64 v0, v[1:2], v[3:4] offset1:1
	s_waitcnt vmcnt(0)
	scratch_store_b128 off, v[5:8], off
	scratch_store_b128 v9, v[1:4], off offset:-16
.LBB53_444:
	s_or_b32 exec_lo, exec_lo, s0
.LBB53_445:
	scratch_load_b128 v[0:3], off, off
	s_clause 0x16
	scratch_load_b128 v[4:7], v207, off
	scratch_load_b128 v[8:11], v206, off
	;; [unrolled: 1-line block ×23, first 2 shown]
	s_waitcnt vmcnt(23)
	global_store_b128 v[46:47], v[0:3], off
	s_clause 0x1
	scratch_load_b128 v[0:3], v184, off
	scratch_load_b128 v[44:47], v183, off
	scratch_load_b64 v[48:49], off, off offset:864 ; 8-byte Folded Reload
	s_waitcnt vmcnt(0)
	global_store_b128 v[48:49], v[4:7], off
	s_clause 0x1
	scratch_load_b128 v[4:7], v182, off
	scratch_load_b128 v[181:184], v181, off
	scratch_load_b64 v[48:49], off, off offset:872 ; 8-byte Folded Reload
	s_waitcnt vmcnt(0)
	global_store_b128 v[48:49], v[8:11], off
	s_clause 0x1
	scratch_load_b128 v[8:11], v180, off
	scratch_load_b128 v[48:51], v179, off
	global_store_b128 v[52:53], v[12:15], off
	s_clause 0x1
	scratch_load_b128 v[12:15], v178, off
	scratch_load_b128 v[177:180], v177, off
	;; [unrolled: 4-line block ×13, first 2 shown]
	s_clause 0xc
	global_store_b128 v[76:77], v[203:206], off
	global_store_b128 v[78:79], v[220:223], off
	;; [unrolled: 1-line block ×13, first 2 shown]
	s_waitcnt vmcnt(25)
	global_store_b128 v[104:105], v[8:11], off
	s_waitcnt vmcnt(24)
	global_store_b128 v[106:107], v[48:51], off
	;; [unrolled: 2-line block ×26, first 2 shown]
	s_endpgm
	.section	.rodata,"a",@progbits
	.p2align	6, 0x0
	.amdhsa_kernel _ZN9rocsolver6v33100L18getri_kernel_smallILi54E19rocblas_complex_numIdEPS3_EEvT1_iilPiilS6_bb
		.amdhsa_group_segment_fixed_size 2760
		.amdhsa_private_segment_fixed_size 896
		.amdhsa_kernarg_size 60
		.amdhsa_user_sgpr_count 15
		.amdhsa_user_sgpr_dispatch_ptr 1
		.amdhsa_user_sgpr_queue_ptr 0
		.amdhsa_user_sgpr_kernarg_segment_ptr 1
		.amdhsa_user_sgpr_dispatch_id 0
		.amdhsa_user_sgpr_private_segment_size 0
		.amdhsa_wavefront_size32 1
		.amdhsa_uses_dynamic_stack 0
		.amdhsa_enable_private_segment 1
		.amdhsa_system_sgpr_workgroup_id_x 1
		.amdhsa_system_sgpr_workgroup_id_y 0
		.amdhsa_system_sgpr_workgroup_id_z 0
		.amdhsa_system_sgpr_workgroup_info 0
		.amdhsa_system_vgpr_workitem_id 2
		.amdhsa_next_free_vgpr 256
		.amdhsa_next_free_sgpr 60
		.amdhsa_reserve_vcc 1
		.amdhsa_float_round_mode_32 0
		.amdhsa_float_round_mode_16_64 0
		.amdhsa_float_denorm_mode_32 3
		.amdhsa_float_denorm_mode_16_64 3
		.amdhsa_dx10_clamp 1
		.amdhsa_ieee_mode 1
		.amdhsa_fp16_overflow 0
		.amdhsa_workgroup_processor_mode 1
		.amdhsa_memory_ordered 1
		.amdhsa_forward_progress 0
		.amdhsa_shared_vgpr_count 0
		.amdhsa_exception_fp_ieee_invalid_op 0
		.amdhsa_exception_fp_denorm_src 0
		.amdhsa_exception_fp_ieee_div_zero 0
		.amdhsa_exception_fp_ieee_overflow 0
		.amdhsa_exception_fp_ieee_underflow 0
		.amdhsa_exception_fp_ieee_inexact 0
		.amdhsa_exception_int_div_zero 0
	.end_amdhsa_kernel
	.section	.text._ZN9rocsolver6v33100L18getri_kernel_smallILi54E19rocblas_complex_numIdEPS3_EEvT1_iilPiilS6_bb,"axG",@progbits,_ZN9rocsolver6v33100L18getri_kernel_smallILi54E19rocblas_complex_numIdEPS3_EEvT1_iilPiilS6_bb,comdat
.Lfunc_end53:
	.size	_ZN9rocsolver6v33100L18getri_kernel_smallILi54E19rocblas_complex_numIdEPS3_EEvT1_iilPiilS6_bb, .Lfunc_end53-_ZN9rocsolver6v33100L18getri_kernel_smallILi54E19rocblas_complex_numIdEPS3_EEvT1_iilPiilS6_bb
                                        ; -- End function
	.section	.AMDGPU.csdata,"",@progbits
; Kernel info:
; codeLenInByte = 130708
; NumSgprs: 62
; NumVgprs: 256
; ScratchSize: 896
; MemoryBound: 0
; FloatMode: 240
; IeeeMode: 1
; LDSByteSize: 2760 bytes/workgroup (compile time only)
; SGPRBlocks: 7
; VGPRBlocks: 31
; NumSGPRsForWavesPerEU: 62
; NumVGPRsForWavesPerEU: 256
; Occupancy: 5
; WaveLimiterHint : 1
; COMPUTE_PGM_RSRC2:SCRATCH_EN: 1
; COMPUTE_PGM_RSRC2:USER_SGPR: 15
; COMPUTE_PGM_RSRC2:TRAP_HANDLER: 0
; COMPUTE_PGM_RSRC2:TGID_X_EN: 1
; COMPUTE_PGM_RSRC2:TGID_Y_EN: 0
; COMPUTE_PGM_RSRC2:TGID_Z_EN: 0
; COMPUTE_PGM_RSRC2:TIDIG_COMP_CNT: 2
	.section	.text._ZN9rocsolver6v33100L18getri_kernel_smallILi55E19rocblas_complex_numIdEPS3_EEvT1_iilPiilS6_bb,"axG",@progbits,_ZN9rocsolver6v33100L18getri_kernel_smallILi55E19rocblas_complex_numIdEPS3_EEvT1_iilPiilS6_bb,comdat
	.globl	_ZN9rocsolver6v33100L18getri_kernel_smallILi55E19rocblas_complex_numIdEPS3_EEvT1_iilPiilS6_bb ; -- Begin function _ZN9rocsolver6v33100L18getri_kernel_smallILi55E19rocblas_complex_numIdEPS3_EEvT1_iilPiilS6_bb
	.p2align	8
	.type	_ZN9rocsolver6v33100L18getri_kernel_smallILi55E19rocblas_complex_numIdEPS3_EEvT1_iilPiilS6_bb,@function
_ZN9rocsolver6v33100L18getri_kernel_smallILi55E19rocblas_complex_numIdEPS3_EEvT1_iilPiilS6_bb: ; @_ZN9rocsolver6v33100L18getri_kernel_smallILi55E19rocblas_complex_numIdEPS3_EEvT1_iilPiilS6_bb
; %bb.0:
	v_and_b32_e32 v156, 0x3ff, v0
	s_mov_b32 s4, exec_lo
	s_delay_alu instid0(VALU_DEP_1)
	v_cmpx_gt_u32_e32 55, v156
	s_cbranch_execz .LBB54_234
; %bb.1:
	s_mov_b32 s18, s15
	s_clause 0x2
	s_load_b32 s21, s[2:3], 0x38
	s_load_b128 s[12:15], s[2:3], 0x10
	s_load_b128 s[4:7], s[2:3], 0x28
                                        ; implicit-def: $sgpr16_sgpr17
	s_waitcnt lgkmcnt(0)
	s_bitcmp1_b32 s21, 8
	s_cselect_b32 s20, -1, 0
	s_bfe_u32 s8, s21, 0x10008
	s_ashr_i32 s19, s18, 31
	s_cmp_eq_u32 s8, 0
	s_cbranch_scc1 .LBB54_3
; %bb.2:
	s_load_b32 s8, s[2:3], 0x20
	s_mul_i32 s5, s18, s5
	s_mul_hi_u32 s9, s18, s4
	s_mul_i32 s10, s19, s4
	s_add_i32 s5, s9, s5
	s_mul_i32 s4, s18, s4
	s_add_i32 s5, s5, s10
	s_delay_alu instid0(SALU_CYCLE_1)
	s_lshl_b64 s[4:5], s[4:5], 2
	s_waitcnt lgkmcnt(0)
	s_ashr_i32 s9, s8, 31
	s_add_u32 s10, s14, s4
	s_addc_u32 s11, s15, s5
	s_lshl_b64 s[4:5], s[8:9], 2
	s_delay_alu instid0(SALU_CYCLE_1)
	s_add_u32 s16, s10, s4
	s_addc_u32 s17, s11, s5
.LBB54_3:
	s_load_b128 s[8:11], s[2:3], 0x0
	s_mul_i32 s2, s18, s13
	s_mul_hi_u32 s3, s18, s12
	s_mul_i32 s4, s19, s12
	s_add_i32 s3, s3, s2
	s_mul_i32 s2, s18, s12
	s_add_i32 s3, s3, s4
	v_lshlrev_b32_e32 v13, 4, v156
	s_lshl_b64 s[2:3], s[2:3], 4
	s_movk_i32 s12, 0xd0
	s_movk_i32 s13, 0xe0
	;; [unrolled: 1-line block ×11, first 2 shown]
	s_waitcnt lgkmcnt(0)
	v_add3_u32 v5, s11, s11, v156
	s_ashr_i32 s5, s10, 31
	s_mov_b32 s4, s10
	s_add_u32 s8, s8, s2
	s_addc_u32 s9, s9, s3
	v_add_nc_u32_e32 v7, s11, v5
	s_lshl_b64 s[2:3], s[4:5], 4
	v_ashrrev_i32_e32 v6, 31, v5
	s_add_u32 s2, s8, s2
	s_addc_u32 s3, s9, s3
	v_add_nc_u32_e32 v9, s11, v7
	v_add_co_u32 v46, s8, s2, v13
	v_ashrrev_i32_e32 v8, 31, v7
	s_mov_b32 s4, s11
	s_ashr_i32 s5, s11, 31
	v_add_co_ci_u32_e64 v47, null, s3, 0, s8
	v_lshlrev_b64 v[11:12], 4, v[5:6]
	s_lshl_b64 s[4:5], s[4:5], 4
	v_add_nc_u32_e32 v16, s11, v9
	v_add_co_u32 v48, vcc_lo, v46, s4
	v_lshlrev_b64 v[14:15], 4, v[7:8]
	v_ashrrev_i32_e32 v10, 31, v9
	v_add_co_ci_u32_e32 v49, vcc_lo, s5, v47, vcc_lo
	v_add_co_u32 v50, vcc_lo, s2, v11
	v_ashrrev_i32_e32 v17, 31, v16
	v_add_nc_u32_e32 v11, s11, v16
	v_add_co_ci_u32_e32 v51, vcc_lo, s3, v12, vcc_lo
	v_lshlrev_b64 v[9:10], 4, v[9:10]
	v_add_co_u32 v52, vcc_lo, s2, v14
	v_add_co_ci_u32_e32 v53, vcc_lo, s3, v15, vcc_lo
	v_lshlrev_b64 v[14:15], 4, v[16:17]
	v_ashrrev_i32_e32 v12, 31, v11
	v_add_nc_u32_e32 v16, s11, v11
	v_add_co_u32 v54, vcc_lo, s2, v9
	v_add_co_ci_u32_e32 v55, vcc_lo, s3, v10, vcc_lo
	s_delay_alu instid0(VALU_DEP_4) | instskip(NEXT) | instid1(VALU_DEP_4)
	v_lshlrev_b64 v[9:10], 4, v[11:12]
	v_ashrrev_i32_e32 v17, 31, v16
	v_add_nc_u32_e32 v11, s11, v16
	v_add_co_u32 v56, vcc_lo, s2, v14
	v_add_co_ci_u32_e32 v57, vcc_lo, s3, v15, vcc_lo
	s_delay_alu instid0(VALU_DEP_4) | instskip(NEXT) | instid1(VALU_DEP_4)
	v_lshlrev_b64 v[14:15], 4, v[16:17]
	v_add_nc_u32_e32 v16, s11, v11
	v_ashrrev_i32_e32 v12, 31, v11
	v_add_co_u32 v58, vcc_lo, s2, v9
	v_add_co_ci_u32_e32 v59, vcc_lo, s3, v10, vcc_lo
	s_delay_alu instid0(VALU_DEP_4) | instskip(SKIP_3) | instid1(VALU_DEP_4)
	v_add_nc_u32_e32 v20, s11, v16
	v_ashrrev_i32_e32 v17, 31, v16
	v_lshlrev_b64 v[18:19], 4, v[11:12]
	v_add_co_u32 v60, vcc_lo, s2, v14
	v_add_nc_u32_e32 v24, s11, v20
	v_ashrrev_i32_e32 v21, 31, v20
	v_lshlrev_b64 v[22:23], 4, v[16:17]
	v_add_co_ci_u32_e32 v61, vcc_lo, s3, v15, vcc_lo
	s_delay_alu instid0(VALU_DEP_4) | instskip(SKIP_3) | instid1(VALU_DEP_4)
	v_add_nc_u32_e32 v28, s11, v24
	v_ashrrev_i32_e32 v25, 31, v24
	v_add_co_u32 v62, vcc_lo, s2, v18
	v_lshlrev_b64 v[26:27], 4, v[20:21]
	v_add_nc_u32_e32 v32, s11, v28
	v_add_co_ci_u32_e32 v63, vcc_lo, s3, v19, vcc_lo
	s_clause 0x1
	global_load_b128 v[1:4], v13, s[2:3]
	global_load_b128 v[5:8], v[48:49], off
	v_add_co_u32 v64, vcc_lo, s2, v22
	v_lshlrev_b64 v[30:31], 4, v[24:25]
	s_clause 0x2
	global_load_b128 v[9:12], v[50:51], off
	global_load_b128 v[14:17], v[52:53], off
	;; [unrolled: 1-line block ×3, first 2 shown]
	v_add_co_ci_u32_e32 v65, vcc_lo, s3, v23, vcc_lo
	v_ashrrev_i32_e32 v29, 31, v28
	v_add_co_u32 v66, vcc_lo, s2, v26
	v_ashrrev_i32_e32 v33, 31, v32
	v_add_nc_u32_e32 v40, s11, v32
	v_add_co_ci_u32_e32 v67, vcc_lo, s3, v27, vcc_lo
	v_add_co_u32 v68, vcc_lo, s2, v30
	global_load_b128 v[22:25], v[56:57], off
	v_lshlrev_b64 v[38:39], 4, v[28:29]
	v_add_co_ci_u32_e32 v69, vcc_lo, s3, v31, vcc_lo
	v_lshlrev_b64 v[42:43], 4, v[32:33]
	s_clause 0x1
	global_load_b128 v[26:29], v[58:59], off
	global_load_b128 v[30:33], v[60:61], off
	v_add_nc_u32_e32 v44, s11, v40
	global_load_b128 v[34:37], v[62:63], off
	v_ashrrev_i32_e32 v41, 31, v40
	v_add_co_u32 v70, vcc_lo, s2, v38
	v_ashrrev_i32_e32 v45, 31, v44
	v_add_co_ci_u32_e32 v71, vcc_lo, s3, v39, vcc_lo
	v_add_co_u32 v72, vcc_lo, s2, v42
	v_add_nc_u32_e32 v76, s11, v44
	v_lshlrev_b64 v[74:75], 4, v[40:41]
	v_add_co_ci_u32_e32 v73, vcc_lo, s3, v43, vcc_lo
	v_lshlrev_b64 v[78:79], 4, v[44:45]
	s_clause 0x1
	global_load_b128 v[38:41], v[64:65], off
	global_load_b128 v[42:45], v[66:67], off
	v_add_nc_u32_e32 v80, s11, v76
	v_ashrrev_i32_e32 v77, 31, v76
	v_add_co_u32 v74, vcc_lo, s2, v74
	global_load_b128 v[138:141], v[68:69], off
	v_add_nc_u32_e32 v84, s11, v80
	s_clause 0x1
	global_load_b128 v[142:145], v[70:71], off
	global_load_b128 v[146:149], v[72:73], off
	v_add_co_ci_u32_e32 v75, vcc_lo, s3, v75, vcc_lo
	v_lshlrev_b64 v[82:83], 4, v[76:77]
	v_ashrrev_i32_e32 v81, 31, v80
	v_add_nc_u32_e32 v86, s11, v84
	v_add_co_u32 v76, vcc_lo, s2, v78
	v_ashrrev_i32_e32 v85, 31, v84
	global_load_b128 v[150:153], v[74:75], off
	v_add_co_ci_u32_e32 v77, vcc_lo, s3, v79, vcc_lo
	v_lshlrev_b64 v[80:81], 4, v[80:81]
	v_add_co_u32 v78, vcc_lo, s2, v82
	v_ashrrev_i32_e32 v87, 31, v86
	v_add_co_ci_u32_e32 v79, vcc_lo, s3, v83, vcc_lo
	v_lshlrev_b64 v[82:83], 4, v[84:85]
	v_add_nc_u32_e32 v84, s11, v86
	v_add_co_u32 v80, vcc_lo, s2, v80
	v_lshlrev_b64 v[86:87], 4, v[86:87]
	v_add_co_ci_u32_e32 v81, vcc_lo, s3, v81, vcc_lo
	s_delay_alu instid0(VALU_DEP_4) | instskip(SKIP_3) | instid1(VALU_DEP_4)
	v_ashrrev_i32_e32 v85, 31, v84
	v_add_nc_u32_e32 v88, s11, v84
	v_add_co_u32 v82, vcc_lo, s2, v82
	v_add_co_ci_u32_e32 v83, vcc_lo, s3, v83, vcc_lo
	v_lshlrev_b64 v[90:91], 4, v[84:85]
	v_add_co_u32 v84, vcc_lo, s2, v86
	v_ashrrev_i32_e32 v89, 31, v88
	v_add_co_ci_u32_e32 v85, vcc_lo, s3, v87, vcc_lo
	s_clause 0x4
	global_load_b128 v[157:160], v[76:77], off
	global_load_b128 v[161:164], v[78:79], off
	;; [unrolled: 1-line block ×5, first 2 shown]
	v_add_nc_u32_e32 v92, s11, v88
	v_lshlrev_b64 v[88:89], 4, v[88:89]
	v_add_co_u32 v86, vcc_lo, s2, v90
	v_add_co_ci_u32_e32 v87, vcc_lo, s3, v91, vcc_lo
	s_delay_alu instid0(VALU_DEP_4) | instskip(NEXT) | instid1(VALU_DEP_4)
	v_add_nc_u32_e32 v94, s11, v92
	v_add_co_u32 v88, vcc_lo, s2, v88
	v_add_co_ci_u32_e32 v89, vcc_lo, s3, v89, vcc_lo
	s_clause 0x1
	global_load_b128 v[177:180], v[86:87], off
	global_load_b128 v[181:184], v[88:89], off
	v_ashrrev_i32_e32 v93, 31, v92
	v_ashrrev_i32_e32 v95, 31, v94
	s_movk_i32 s4, 0x70
	s_movk_i32 s5, 0x80
	;; [unrolled: 1-line block ×3, first 2 shown]
	v_lshlrev_b64 v[90:91], 4, v[92:93]
	v_lshlrev_b64 v[92:93], 4, v[94:95]
	v_add_nc_u32_e32 v94, s11, v94
	s_movk_i32 s9, 0xa0
	s_movk_i32 s10, 0xb0
	;; [unrolled: 1-line block ×3, first 2 shown]
	v_add_co_u32 v90, vcc_lo, s2, v90
	v_add_nc_u32_e32 v96, s11, v94
	v_ashrrev_i32_e32 v95, 31, v94
	v_add_co_ci_u32_e32 v91, vcc_lo, s3, v91, vcc_lo
	v_add_co_u32 v92, vcc_lo, s2, v92
	s_delay_alu instid0(VALU_DEP_4) | instskip(SKIP_3) | instid1(VALU_DEP_4)
	v_add_nc_u32_e32 v98, s11, v96
	v_ashrrev_i32_e32 v97, 31, v96
	v_lshlrev_b64 v[94:95], 4, v[94:95]
	v_add_co_ci_u32_e32 v93, vcc_lo, s3, v93, vcc_lo
	v_add_nc_u32_e32 v100, s11, v98
	v_ashrrev_i32_e32 v99, 31, v98
	v_lshlrev_b64 v[96:97], 4, v[96:97]
	v_add_co_u32 v94, vcc_lo, s2, v94
	s_delay_alu instid0(VALU_DEP_4) | instskip(SKIP_3) | instid1(VALU_DEP_4)
	v_add_nc_u32_e32 v102, s11, v100
	v_ashrrev_i32_e32 v101, 31, v100
	v_lshlrev_b64 v[98:99], 4, v[98:99]
	v_add_co_ci_u32_e32 v95, vcc_lo, s3, v95, vcc_lo
	v_add_nc_u32_e32 v104, s11, v102
	v_ashrrev_i32_e32 v103, 31, v102
	v_add_co_u32 v96, vcc_lo, s2, v96
	v_lshlrev_b64 v[100:101], 4, v[100:101]
	s_delay_alu instid0(VALU_DEP_4) | instskip(SKIP_3) | instid1(VALU_DEP_4)
	v_add_nc_u32_e32 v106, s11, v104
	v_ashrrev_i32_e32 v105, 31, v104
	v_add_co_ci_u32_e32 v97, vcc_lo, s3, v97, vcc_lo
	v_add_co_u32 v98, vcc_lo, s2, v98
	v_add_nc_u32_e32 v108, s11, v106
	v_lshlrev_b64 v[102:103], 4, v[102:103]
	v_ashrrev_i32_e32 v107, 31, v106
	v_add_co_ci_u32_e32 v99, vcc_lo, s3, v99, vcc_lo
	s_delay_alu instid0(VALU_DEP_4) | instskip(SKIP_3) | instid1(VALU_DEP_4)
	v_add_nc_u32_e32 v110, s11, v108
	v_add_co_u32 v100, vcc_lo, s2, v100
	v_lshlrev_b64 v[104:105], 4, v[104:105]
	v_ashrrev_i32_e32 v109, 31, v108
	v_add_nc_u32_e32 v112, s11, v110
	v_add_co_ci_u32_e32 v101, vcc_lo, s3, v101, vcc_lo
	v_add_co_u32 v102, vcc_lo, s2, v102
	s_delay_alu instid0(VALU_DEP_3) | instskip(SKIP_3) | instid1(VALU_DEP_4)
	v_add_nc_u32_e32 v114, s11, v112
	v_lshlrev_b64 v[106:107], 4, v[106:107]
	v_ashrrev_i32_e32 v111, 31, v110
	v_add_co_ci_u32_e32 v103, vcc_lo, s3, v103, vcc_lo
	v_add_nc_u32_e32 v116, s11, v114
	v_add_co_u32 v104, vcc_lo, s2, v104
	v_lshlrev_b64 v[108:109], 4, v[108:109]
	v_ashrrev_i32_e32 v113, 31, v112
	s_delay_alu instid0(VALU_DEP_4) | instskip(SKIP_2) | instid1(VALU_DEP_3)
	v_add_nc_u32_e32 v118, s11, v116
	v_add_co_ci_u32_e32 v105, vcc_lo, s3, v105, vcc_lo
	v_add_co_u32 v106, vcc_lo, s2, v106
	v_add_nc_u32_e32 v120, s11, v118
	v_lshlrev_b64 v[110:111], 4, v[110:111]
	v_ashrrev_i32_e32 v115, 31, v114
	v_add_co_ci_u32_e32 v107, vcc_lo, s3, v107, vcc_lo
	s_delay_alu instid0(VALU_DEP_4) | instskip(SKIP_3) | instid1(VALU_DEP_4)
	v_add_nc_u32_e32 v122, s11, v120
	v_add_co_u32 v108, vcc_lo, s2, v108
	v_lshlrev_b64 v[112:113], 4, v[112:113]
	v_ashrrev_i32_e32 v117, 31, v116
	v_add_nc_u32_e32 v124, s11, v122
	v_add_co_ci_u32_e32 v109, vcc_lo, s3, v109, vcc_lo
	v_add_co_u32 v110, vcc_lo, s2, v110
	v_lshlrev_b64 v[114:115], 4, v[114:115]
	v_ashrrev_i32_e32 v119, 31, v118
	v_add_nc_u32_e32 v126, s11, v124
	v_add_co_ci_u32_e32 v111, vcc_lo, s3, v111, vcc_lo
	v_add_co_u32 v112, vcc_lo, s2, v112
	v_lshlrev_b64 v[116:117], 4, v[116:117]
	v_ashrrev_i32_e32 v121, 31, v120
	v_add_co_ci_u32_e32 v113, vcc_lo, s3, v113, vcc_lo
	v_add_co_u32 v114, vcc_lo, s2, v114
	v_lshlrev_b64 v[118:119], 4, v[118:119]
	v_add_nc_u32_e32 v128, s11, v126
	v_ashrrev_i32_e32 v123, 31, v122
	v_add_co_ci_u32_e32 v115, vcc_lo, s3, v115, vcc_lo
	v_add_co_u32 v116, vcc_lo, s2, v116
	v_lshlrev_b64 v[120:121], 4, v[120:121]
	v_ashrrev_i32_e32 v125, 31, v124
	v_add_co_ci_u32_e32 v117, vcc_lo, s3, v117, vcc_lo
	v_add_nc_u32_e32 v130, s11, v128
	v_add_co_u32 v118, vcc_lo, s2, v118
	v_lshlrev_b64 v[122:123], 4, v[122:123]
	v_ashrrev_i32_e32 v127, 31, v126
	v_add_co_ci_u32_e32 v119, vcc_lo, s3, v119, vcc_lo
	v_add_co_u32 v120, vcc_lo, s2, v120
	v_lshlrev_b64 v[124:125], 4, v[124:125]
	v_ashrrev_i32_e32 v129, 31, v128
	v_add_nc_u32_e32 v132, s11, v130
	v_add_co_ci_u32_e32 v121, vcc_lo, s3, v121, vcc_lo
	v_add_co_u32 v122, vcc_lo, s2, v122
	v_lshlrev_b64 v[126:127], 4, v[126:127]
	v_ashrrev_i32_e32 v131, 31, v130
	v_add_co_ci_u32_e32 v123, vcc_lo, s3, v123, vcc_lo
	v_add_co_u32 v124, vcc_lo, s2, v124
	v_lshlrev_b64 v[128:129], 4, v[128:129]
	v_add_nc_u32_e32 v134, s11, v132
	v_add_co_ci_u32_e32 v125, vcc_lo, s3, v125, vcc_lo
	v_ashrrev_i32_e32 v133, 31, v132
	v_add_co_u32 v126, vcc_lo, s2, v126
	v_lshlrev_b64 v[130:131], 4, v[130:131]
	v_add_co_ci_u32_e32 v127, vcc_lo, s3, v127, vcc_lo
	v_add_nc_u32_e32 v136, s11, v134
	s_clause 0xe
	global_load_b128 v[185:188], v[90:91], off
	global_load_b128 v[189:192], v[92:93], off
	;; [unrolled: 1-line block ×15, first 2 shown]
	v_add_co_u32 v128, vcc_lo, s2, v128
	v_add_co_ci_u32_e32 v129, vcc_lo, s3, v129, vcc_lo
	v_add_co_u32 v130, vcc_lo, s2, v130
	s_waitcnt vmcnt(36)
	scratch_store_b128 off, v[1:4], off
	s_waitcnt vmcnt(35)
	scratch_store_b128 off, v[5:8], off offset:16
	s_clause 0x1
	global_load_b128 v[1:4], v[120:121], off
	global_load_b128 v[5:8], v[122:123], off
	v_add_nc_u32_e32 v154, s11, v136
	v_add_co_ci_u32_e32 v131, vcc_lo, s3, v131, vcc_lo
	s_waitcnt vmcnt(36)
	scratch_store_b128 off, v[9:12], off offset:32
	s_waitcnt vmcnt(35)
	scratch_store_b128 off, v[14:17], off offset:48
	;; [unrolled: 2-line block ×3, first 2 shown]
	v_lshlrev_b64 v[18:19], 4, v[132:133]
	s_clause 0x1
	global_load_b128 v[9:12], v[124:125], off
	global_load_b128 v[14:17], v[126:127], off
	v_ashrrev_i32_e32 v155, 31, v154
	v_ashrrev_i32_e32 v135, 31, v134
	;; [unrolled: 1-line block ×3, first 2 shown]
	s_movk_i32 s30, 0x190
	v_add_co_u32 v132, vcc_lo, s2, v18
	v_add_co_ci_u32_e32 v133, vcc_lo, s3, v19, vcc_lo
	v_lshlrev_b64 v[134:135], 4, v[134:135]
	s_waitcnt vmcnt(35)
	scratch_store_b128 off, v[22:25], off offset:80
	s_waitcnt vmcnt(34)
	scratch_store_b128 off, v[26:29], off offset:96
	;; [unrolled: 2-line block ×3, first 2 shown]
	s_clause 0x1
	global_load_b128 v[18:21], v[128:129], off
	global_load_b128 v[22:25], v[130:131], off
	s_waitcnt vmcnt(34)
	scratch_store_b128 off, v[34:37], off offset:128
	v_add_nc_u32_e32 v34, s11, v154
	v_lshlrev_b64 v[36:37], 4, v[154:155]
	s_waitcnt vmcnt(33)
	scratch_store_b128 off, v[38:41], off offset:144
	s_waitcnt vmcnt(32)
	scratch_store_b128 off, v[42:45], off offset:160
	v_add_nc_u32_e32 v154, s11, v34
	v_lshlrev_b64 v[26:27], 4, v[136:137]
	v_ashrrev_i32_e32 v35, 31, v34
	v_add_co_u32 v134, vcc_lo, s2, v134
	s_delay_alu instid0(VALU_DEP_4) | instskip(SKIP_3) | instid1(VALU_DEP_4)
	v_ashrrev_i32_e32 v155, 31, v154
	v_add_nc_u32_e32 v42, s11, v154
	v_add_co_ci_u32_e32 v135, vcc_lo, s3, v135, vcc_lo
	v_add_co_u32 v136, vcc_lo, s2, v26
	v_lshlrev_b64 v[44:45], 4, v[154:155]
	s_delay_alu instid0(VALU_DEP_4)
	v_add_nc_u32_e32 v154, s11, v42
	v_lshlrev_b64 v[34:35], 4, v[34:35]
	v_add_co_ci_u32_e32 v137, vcc_lo, s3, v27, vcc_lo
	v_ashrrev_i32_e32 v43, 31, v42
	s_clause 0x1
	global_load_b128 v[26:29], v[132:133], off
	global_load_b128 v[30:33], v[134:135], off
	s_waitcnt vmcnt(33)
	scratch_store_b128 off, v[138:141], off offset:176
	v_add_co_u32 v138, vcc_lo, s2, v36
	s_waitcnt vmcnt(32)
	scratch_store_b128 off, v[142:145], off offset:192
	s_waitcnt vmcnt(31)
	scratch_store_b128 off, v[146:149], off offset:208
	v_add_nc_u32_e32 v146, s11, v154
	v_add_co_ci_u32_e32 v139, vcc_lo, s3, v37, vcc_lo
	v_ashrrev_i32_e32 v155, 31, v154
	v_add_co_u32 v140, vcc_lo, s2, v34
	v_lshlrev_b64 v[42:43], 4, v[42:43]
	v_ashrrev_i32_e32 v147, 31, v146
	v_add_co_ci_u32_e32 v141, vcc_lo, s3, v35, vcc_lo
	s_clause 0x1
	global_load_b128 v[34:37], v[136:137], off
	global_load_b128 v[38:41], v[138:139], off
	s_waitcnt vmcnt(32)
	scratch_store_b128 off, v[150:153], off offset:224
	v_add_nc_u32_e32 v150, s11, v146
	v_add_co_u32 v142, vcc_lo, s2, v44
	v_lshlrev_b64 v[148:149], 4, v[154:155]
	v_add_co_ci_u32_e32 v143, vcc_lo, s3, v45, vcc_lo
	v_add_co_u32 v144, vcc_lo, s2, v42
	v_lshlrev_b64 v[152:153], 4, v[146:147]
	v_add_nc_u32_e32 v154, s11, v150
	v_add_co_ci_u32_e32 v145, vcc_lo, s3, v43, vcc_lo
	v_add_co_u32 v146, vcc_lo, s2, v148
	v_ashrrev_i32_e32 v151, 31, v150
	v_add_co_ci_u32_e32 v147, vcc_lo, s3, v149, vcc_lo
	v_add_co_u32 v148, vcc_lo, s2, v152
	v_add_nc_u32_e32 v152, s11, v154
	v_ashrrev_i32_e32 v155, 31, v154
	v_lshlrev_b64 v[150:151], 4, v[150:151]
	v_add_co_ci_u32_e32 v149, vcc_lo, s3, v153, vcc_lo
	s_delay_alu instid0(VALU_DEP_4) | instskip(NEXT) | instid1(VALU_DEP_4)
	v_ashrrev_i32_e32 v153, 31, v152
	v_lshlrev_b64 v[154:155], 4, v[154:155]
	s_waitcnt vmcnt(31)
	scratch_store_b128 off, v[157:160], off offset:240
	s_waitcnt vmcnt(30)
	scratch_store_b128 off, v[161:164], off offset:256
	s_clause 0x1
	global_load_b128 v[42:45], v[140:141], off
	global_load_b128 v[157:160], v[142:143], off
	s_waitcnt vmcnt(31)
	scratch_store_b128 off, v[165:168], off offset:272
	s_waitcnt vmcnt(30)
	scratch_store_b128 off, v[169:172], off offset:288
	;; [unrolled: 2-line block ×3, first 2 shown]
	v_add_co_u32 v150, vcc_lo, s2, v150
	v_lshlrev_b64 v[173:174], 4, v[152:153]
	v_add_co_ci_u32_e32 v151, vcc_lo, s3, v151, vcc_lo
	v_add_co_u32 v152, vcc_lo, s2, v154
	v_add_co_ci_u32_e32 v153, vcc_lo, s3, v155, vcc_lo
	s_delay_alu instid0(VALU_DEP_4)
	v_add_co_u32 v154, vcc_lo, s2, v173
	s_clause 0x1
	global_load_b128 v[161:164], v[144:145], off
	global_load_b128 v[165:168], v[146:147], off
	v_add_co_ci_u32_e32 v155, vcc_lo, s3, v174, vcc_lo
	s_waitcnt vmcnt(30)
	scratch_store_b128 off, v[177:180], off offset:320
	s_waitcnt vmcnt(29)
	scratch_store_b128 off, v[181:184], off offset:336
	s_clause 0x3
	global_load_b128 v[169:172], v[148:149], off
	global_load_b128 v[173:176], v[150:151], off
	;; [unrolled: 1-line block ×4, first 2 shown]
	s_movk_i32 s2, 0x50
	s_movk_i32 s3, 0x60
	;; [unrolled: 1-line block ×32, first 2 shown]
	v_add_nc_u32_e64 v210, 0, 16
	v_add_nc_u32_e64 v209, 0, 32
	;; [unrolled: 1-line block ×10, first 2 shown]
	s_bitcmp0_b32 s21, 0
	s_mov_b32 s3, -1
	s_waitcnt vmcnt(32)
	scratch_store_b128 off, v[185:188], off offset:352
	s_waitcnt vmcnt(31)
	scratch_store_b128 off, v[189:192], off offset:368
	;; [unrolled: 2-line block ×6, first 2 shown]
	v_add_nc_u32_e64 v200, s10, 0
	v_add_nc_u32_e64 v199, s11, 0
	v_add_nc_u32_e64 v198, s12, 0
	v_add_nc_u32_e64 v197, s13, 0
	v_add_nc_u32_e64 v196, s14, 0
	v_add_nc_u32_e64 v195, s15, 0
	s_waitcnt vmcnt(26)
	scratch_store_b128 off, v[219:222], off offset:448
	s_waitcnt vmcnt(25)
	scratch_store_b128 off, v[223:226], off offset:464
	v_add_nc_u32_e64 v194, s22, 0
	v_add_nc_u32_e64 v193, s23, 0
	v_add_nc_u32_e64 v192, s24, 0
	v_add_nc_u32_e64 v191, s25, 0
	v_add_nc_u32_e64 v190, s26, 0
	v_add_nc_u32_e64 v189, s27, 0
	v_add_nc_u32_e64 v188, s28, 0
	v_add_nc_u32_e64 v187, s29, 0
	s_waitcnt vmcnt(24)
	scratch_store_b128 off, v[227:230], off offset:480
	s_waitcnt vmcnt(23)
	scratch_store_b128 off, v[231:234], off offset:496
	v_add_nc_u32_e64 v186, s30, 0
	v_add_nc_u32_e64 v185, s31, 0
	;; [unrolled: 12-line block ×3, first 2 shown]
	v_add_nc_u32_e64 v220, s41, 0
	v_add_nc_u32_e64 v219, s42, 0
	;; [unrolled: 1-line block ×6, first 2 shown]
	s_waitcnt vmcnt(20)
	scratch_store_b128 off, v[243:246], off offset:544
	v_add_nc_u32_e64 v214, s47, 0
	v_add_nc_u32_e64 v213, s48, 0
	;; [unrolled: 1-line block ×3, first 2 shown]
	s_waitcnt vmcnt(19)
	scratch_store_b128 off, v[247:250], off offset:560
	s_waitcnt vmcnt(18)
	scratch_store_b128 off, v[251:254], off offset:576
	;; [unrolled: 2-line block ×17, first 2 shown]
	v_add_nc_u32_e64 v163, s50, 0
	v_add_nc_u32_e64 v161, s51, 0
	;; [unrolled: 1-line block ×11, first 2 shown]
	s_waitcnt vmcnt(2)
	scratch_store_b128 off, v[173:176], off offset:832
	s_waitcnt vmcnt(1)
	scratch_store_b128 off, v[177:180], off offset:848
	;; [unrolled: 2-line block ×3, first 2 shown]
	s_cbranch_scc1 .LBB54_232
; %bb.4:
	v_cmp_eq_u32_e64 s2, 0, v156
	s_delay_alu instid0(VALU_DEP_1)
	s_and_saveexec_b32 s3, s2
	s_cbranch_execz .LBB54_6
; %bb.5:
	v_mov_b32_e32 v1, 0
	ds_store_b32 v1, v1 offset:1760
.LBB54_6:
	s_or_b32 exec_lo, exec_lo, s3
	s_waitcnt lgkmcnt(0)
	s_waitcnt_vscnt null, 0x0
	s_barrier
	buffer_gl0_inv
	scratch_load_b128 v[1:4], v13, off
	s_waitcnt vmcnt(0)
	v_cmp_eq_f64_e32 vcc_lo, 0, v[1:2]
	v_cmp_eq_f64_e64 s3, 0, v[3:4]
	s_delay_alu instid0(VALU_DEP_1) | instskip(NEXT) | instid1(SALU_CYCLE_1)
	s_and_b32 s3, vcc_lo, s3
	s_and_saveexec_b32 s4, s3
	s_cbranch_execz .LBB54_10
; %bb.7:
	v_mov_b32_e32 v1, 0
	s_mov_b32 s5, 0
	ds_load_b32 v2, v1 offset:1760
	s_waitcnt lgkmcnt(0)
	v_readfirstlane_b32 s3, v2
	v_add_nc_u32_e32 v2, 1, v156
	s_delay_alu instid0(VALU_DEP_2) | instskip(NEXT) | instid1(VALU_DEP_1)
	s_cmp_eq_u32 s3, 0
	v_cmp_gt_i32_e32 vcc_lo, s3, v2
	s_cselect_b32 s8, -1, 0
	s_delay_alu instid0(SALU_CYCLE_1) | instskip(NEXT) | instid1(SALU_CYCLE_1)
	s_or_b32 s8, s8, vcc_lo
	s_and_b32 exec_lo, exec_lo, s8
	s_cbranch_execz .LBB54_10
; %bb.8:
	v_mov_b32_e32 v3, s3
.LBB54_9:                               ; =>This Inner Loop Header: Depth=1
	ds_cmpstore_rtn_b32 v3, v1, v2, v3 offset:1760
	s_waitcnt lgkmcnt(0)
	v_cmp_ne_u32_e32 vcc_lo, 0, v3
	v_cmp_le_i32_e64 s3, v3, v2
	s_delay_alu instid0(VALU_DEP_1) | instskip(NEXT) | instid1(SALU_CYCLE_1)
	s_and_b32 s3, vcc_lo, s3
	s_and_b32 s3, exec_lo, s3
	s_delay_alu instid0(SALU_CYCLE_1) | instskip(NEXT) | instid1(SALU_CYCLE_1)
	s_or_b32 s5, s3, s5
	s_and_not1_b32 exec_lo, exec_lo, s5
	s_cbranch_execnz .LBB54_9
.LBB54_10:
	s_or_b32 exec_lo, exec_lo, s4
	v_mov_b32_e32 v1, 0
	s_barrier
	buffer_gl0_inv
	ds_load_b32 v2, v1 offset:1760
	s_and_saveexec_b32 s3, s2
	s_cbranch_execz .LBB54_12
; %bb.11:
	s_lshl_b64 s[4:5], s[18:19], 2
	s_delay_alu instid0(SALU_CYCLE_1)
	s_add_u32 s4, s6, s4
	s_addc_u32 s5, s7, s5
	s_waitcnt lgkmcnt(0)
	global_store_b32 v1, v2, s[4:5]
.LBB54_12:
	s_or_b32 exec_lo, exec_lo, s3
	s_waitcnt lgkmcnt(0)
	v_cmp_ne_u32_e32 vcc_lo, 0, v2
	s_mov_b32 s3, 0
	s_cbranch_vccnz .LBB54_232
; %bb.13:
	v_add_nc_u32_e32 v14, 0, v13
                                        ; implicit-def: $vgpr9_vgpr10
	scratch_load_b128 v[1:4], v14, off
	s_waitcnt vmcnt(0)
	v_mov_b32_e32 v5, v1
	v_cmp_gt_f64_e32 vcc_lo, 0, v[1:2]
	v_xor_b32_e32 v6, 0x80000000, v2
	v_xor_b32_e32 v7, 0x80000000, v4
	s_delay_alu instid0(VALU_DEP_2) | instskip(SKIP_1) | instid1(VALU_DEP_3)
	v_cndmask_b32_e32 v6, v2, v6, vcc_lo
	v_cmp_gt_f64_e32 vcc_lo, 0, v[3:4]
	v_dual_cndmask_b32 v8, v4, v7 :: v_dual_mov_b32 v7, v3
	s_delay_alu instid0(VALU_DEP_1) | instskip(SKIP_1) | instid1(SALU_CYCLE_1)
	v_cmp_ngt_f64_e32 vcc_lo, v[5:6], v[7:8]
                                        ; implicit-def: $vgpr5_vgpr6
	s_and_saveexec_b32 s3, vcc_lo
	s_xor_b32 s3, exec_lo, s3
	s_cbranch_execz .LBB54_15
; %bb.14:
	v_div_scale_f64 v[5:6], null, v[3:4], v[3:4], v[1:2]
	v_div_scale_f64 v[11:12], vcc_lo, v[1:2], v[3:4], v[1:2]
	s_delay_alu instid0(VALU_DEP_2) | instskip(SKIP_2) | instid1(VALU_DEP_1)
	v_rcp_f64_e32 v[7:8], v[5:6]
	s_waitcnt_depctr 0xfff
	v_fma_f64 v[9:10], -v[5:6], v[7:8], 1.0
	v_fma_f64 v[7:8], v[7:8], v[9:10], v[7:8]
	s_delay_alu instid0(VALU_DEP_1) | instskip(NEXT) | instid1(VALU_DEP_1)
	v_fma_f64 v[9:10], -v[5:6], v[7:8], 1.0
	v_fma_f64 v[7:8], v[7:8], v[9:10], v[7:8]
	s_delay_alu instid0(VALU_DEP_1) | instskip(NEXT) | instid1(VALU_DEP_1)
	v_mul_f64 v[9:10], v[11:12], v[7:8]
	v_fma_f64 v[5:6], -v[5:6], v[9:10], v[11:12]
	s_delay_alu instid0(VALU_DEP_1) | instskip(NEXT) | instid1(VALU_DEP_1)
	v_div_fmas_f64 v[5:6], v[5:6], v[7:8], v[9:10]
	v_div_fixup_f64 v[5:6], v[5:6], v[3:4], v[1:2]
	s_delay_alu instid0(VALU_DEP_1) | instskip(NEXT) | instid1(VALU_DEP_1)
	v_fma_f64 v[1:2], v[1:2], v[5:6], v[3:4]
	v_div_scale_f64 v[3:4], null, v[1:2], v[1:2], 1.0
	v_div_scale_f64 v[11:12], vcc_lo, 1.0, v[1:2], 1.0
	s_delay_alu instid0(VALU_DEP_2) | instskip(SKIP_2) | instid1(VALU_DEP_1)
	v_rcp_f64_e32 v[7:8], v[3:4]
	s_waitcnt_depctr 0xfff
	v_fma_f64 v[9:10], -v[3:4], v[7:8], 1.0
	v_fma_f64 v[7:8], v[7:8], v[9:10], v[7:8]
	s_delay_alu instid0(VALU_DEP_1) | instskip(NEXT) | instid1(VALU_DEP_1)
	v_fma_f64 v[9:10], -v[3:4], v[7:8], 1.0
	v_fma_f64 v[7:8], v[7:8], v[9:10], v[7:8]
	s_delay_alu instid0(VALU_DEP_1) | instskip(NEXT) | instid1(VALU_DEP_1)
	v_mul_f64 v[9:10], v[11:12], v[7:8]
	v_fma_f64 v[3:4], -v[3:4], v[9:10], v[11:12]
	s_delay_alu instid0(VALU_DEP_1) | instskip(NEXT) | instid1(VALU_DEP_1)
	v_div_fmas_f64 v[3:4], v[3:4], v[7:8], v[9:10]
	v_div_fixup_f64 v[7:8], v[3:4], v[1:2], 1.0
                                        ; implicit-def: $vgpr1_vgpr2
	s_delay_alu instid0(VALU_DEP_1) | instskip(SKIP_1) | instid1(VALU_DEP_2)
	v_mul_f64 v[5:6], v[5:6], v[7:8]
	v_xor_b32_e32 v8, 0x80000000, v8
	v_xor_b32_e32 v10, 0x80000000, v6
	s_delay_alu instid0(VALU_DEP_3)
	v_mov_b32_e32 v9, v5
.LBB54_15:
	s_and_not1_saveexec_b32 s3, s3
	s_cbranch_execz .LBB54_17
; %bb.16:
	v_div_scale_f64 v[5:6], null, v[1:2], v[1:2], v[3:4]
	v_div_scale_f64 v[11:12], vcc_lo, v[3:4], v[1:2], v[3:4]
	s_delay_alu instid0(VALU_DEP_2) | instskip(SKIP_2) | instid1(VALU_DEP_1)
	v_rcp_f64_e32 v[7:8], v[5:6]
	s_waitcnt_depctr 0xfff
	v_fma_f64 v[9:10], -v[5:6], v[7:8], 1.0
	v_fma_f64 v[7:8], v[7:8], v[9:10], v[7:8]
	s_delay_alu instid0(VALU_DEP_1) | instskip(NEXT) | instid1(VALU_DEP_1)
	v_fma_f64 v[9:10], -v[5:6], v[7:8], 1.0
	v_fma_f64 v[7:8], v[7:8], v[9:10], v[7:8]
	s_delay_alu instid0(VALU_DEP_1) | instskip(NEXT) | instid1(VALU_DEP_1)
	v_mul_f64 v[9:10], v[11:12], v[7:8]
	v_fma_f64 v[5:6], -v[5:6], v[9:10], v[11:12]
	s_delay_alu instid0(VALU_DEP_1) | instskip(NEXT) | instid1(VALU_DEP_1)
	v_div_fmas_f64 v[5:6], v[5:6], v[7:8], v[9:10]
	v_div_fixup_f64 v[7:8], v[5:6], v[1:2], v[3:4]
	s_delay_alu instid0(VALU_DEP_1) | instskip(NEXT) | instid1(VALU_DEP_1)
	v_fma_f64 v[1:2], v[3:4], v[7:8], v[1:2]
	v_div_scale_f64 v[3:4], null, v[1:2], v[1:2], 1.0
	s_delay_alu instid0(VALU_DEP_1) | instskip(SKIP_2) | instid1(VALU_DEP_1)
	v_rcp_f64_e32 v[5:6], v[3:4]
	s_waitcnt_depctr 0xfff
	v_fma_f64 v[9:10], -v[3:4], v[5:6], 1.0
	v_fma_f64 v[5:6], v[5:6], v[9:10], v[5:6]
	s_delay_alu instid0(VALU_DEP_1) | instskip(NEXT) | instid1(VALU_DEP_1)
	v_fma_f64 v[9:10], -v[3:4], v[5:6], 1.0
	v_fma_f64 v[5:6], v[5:6], v[9:10], v[5:6]
	v_div_scale_f64 v[9:10], vcc_lo, 1.0, v[1:2], 1.0
	s_delay_alu instid0(VALU_DEP_1) | instskip(NEXT) | instid1(VALU_DEP_1)
	v_mul_f64 v[11:12], v[9:10], v[5:6]
	v_fma_f64 v[3:4], -v[3:4], v[11:12], v[9:10]
	s_delay_alu instid0(VALU_DEP_1) | instskip(NEXT) | instid1(VALU_DEP_1)
	v_div_fmas_f64 v[3:4], v[3:4], v[5:6], v[11:12]
	v_div_fixup_f64 v[5:6], v[3:4], v[1:2], 1.0
	s_delay_alu instid0(VALU_DEP_1)
	v_mul_f64 v[7:8], v[7:8], -v[5:6]
	v_xor_b32_e32 v10, 0x80000000, v6
	v_mov_b32_e32 v9, v5
.LBB54_17:
	s_or_b32 exec_lo, exec_lo, s3
	scratch_store_b128 v14, v[5:8], off
	scratch_load_b128 v[1:4], v210, off
	v_xor_b32_e32 v12, 0x80000000, v8
	v_mov_b32_e32 v11, v7
	v_add_nc_u32_e32 v5, 0x370, v13
	ds_store_b128 v13, v[9:12]
	s_waitcnt vmcnt(0)
	ds_store_b128 v13, v[1:4] offset:880
	s_waitcnt lgkmcnt(0)
	s_waitcnt_vscnt null, 0x0
	s_barrier
	buffer_gl0_inv
	s_and_saveexec_b32 s3, s2
	s_cbranch_execz .LBB54_19
; %bb.18:
	scratch_load_b128 v[1:4], v14, off
	ds_load_b128 v[6:9], v5
	v_mov_b32_e32 v10, 0
	ds_load_b128 v[15:18], v10 offset:16
	s_waitcnt vmcnt(0) lgkmcnt(1)
	v_mul_f64 v[10:11], v[6:7], v[3:4]
	v_mul_f64 v[3:4], v[8:9], v[3:4]
	s_delay_alu instid0(VALU_DEP_2) | instskip(NEXT) | instid1(VALU_DEP_2)
	v_fma_f64 v[8:9], v[8:9], v[1:2], v[10:11]
	v_fma_f64 v[1:2], v[6:7], v[1:2], -v[3:4]
	s_delay_alu instid0(VALU_DEP_2) | instskip(NEXT) | instid1(VALU_DEP_2)
	v_add_f64 v[3:4], v[8:9], 0
	v_add_f64 v[1:2], v[1:2], 0
	s_waitcnt lgkmcnt(0)
	s_delay_alu instid0(VALU_DEP_2) | instskip(NEXT) | instid1(VALU_DEP_2)
	v_mul_f64 v[6:7], v[3:4], v[17:18]
	v_mul_f64 v[8:9], v[1:2], v[17:18]
	s_delay_alu instid0(VALU_DEP_2) | instskip(NEXT) | instid1(VALU_DEP_2)
	v_fma_f64 v[1:2], v[1:2], v[15:16], -v[6:7]
	v_fma_f64 v[3:4], v[3:4], v[15:16], v[8:9]
	scratch_store_b128 off, v[1:4], off offset:16
.LBB54_19:
	s_or_b32 exec_lo, exec_lo, s3
	s_waitcnt_vscnt null, 0x0
	s_barrier
	buffer_gl0_inv
	scratch_load_b128 v[1:4], v209, off
	s_mov_b32 s3, exec_lo
	s_waitcnt vmcnt(0)
	ds_store_b128 v5, v[1:4]
	s_waitcnt lgkmcnt(0)
	s_barrier
	buffer_gl0_inv
	v_cmpx_gt_u32_e32 2, v156
	s_cbranch_execz .LBB54_23
; %bb.20:
	scratch_load_b128 v[1:4], v14, off
	ds_load_b128 v[6:9], v5
	s_waitcnt vmcnt(0) lgkmcnt(0)
	v_mul_f64 v[10:11], v[8:9], v[3:4]
	v_mul_f64 v[3:4], v[6:7], v[3:4]
	s_delay_alu instid0(VALU_DEP_2) | instskip(NEXT) | instid1(VALU_DEP_2)
	v_fma_f64 v[6:7], v[6:7], v[1:2], -v[10:11]
	v_fma_f64 v[3:4], v[8:9], v[1:2], v[3:4]
	s_delay_alu instid0(VALU_DEP_2) | instskip(NEXT) | instid1(VALU_DEP_2)
	v_add_f64 v[1:2], v[6:7], 0
	v_add_f64 v[3:4], v[3:4], 0
	s_and_saveexec_b32 s4, s2
	s_cbranch_execz .LBB54_22
; %bb.21:
	scratch_load_b128 v[6:9], off, off offset:16
	v_mov_b32_e32 v10, 0
	ds_load_b128 v[15:18], v10 offset:896
	s_waitcnt vmcnt(0) lgkmcnt(0)
	v_mul_f64 v[10:11], v[15:16], v[8:9]
	v_mul_f64 v[8:9], v[17:18], v[8:9]
	s_delay_alu instid0(VALU_DEP_2) | instskip(NEXT) | instid1(VALU_DEP_2)
	v_fma_f64 v[10:11], v[17:18], v[6:7], v[10:11]
	v_fma_f64 v[6:7], v[15:16], v[6:7], -v[8:9]
	s_delay_alu instid0(VALU_DEP_2) | instskip(NEXT) | instid1(VALU_DEP_2)
	v_add_f64 v[3:4], v[3:4], v[10:11]
	v_add_f64 v[1:2], v[1:2], v[6:7]
.LBB54_22:
	s_or_b32 exec_lo, exec_lo, s4
	v_mov_b32_e32 v6, 0
	ds_load_b128 v[6:9], v6 offset:32
	s_waitcnt lgkmcnt(0)
	v_mul_f64 v[10:11], v[3:4], v[8:9]
	v_mul_f64 v[8:9], v[1:2], v[8:9]
	s_delay_alu instid0(VALU_DEP_2) | instskip(NEXT) | instid1(VALU_DEP_2)
	v_fma_f64 v[1:2], v[1:2], v[6:7], -v[10:11]
	v_fma_f64 v[3:4], v[3:4], v[6:7], v[8:9]
	scratch_store_b128 off, v[1:4], off offset:32
.LBB54_23:
	s_or_b32 exec_lo, exec_lo, s3
	s_waitcnt_vscnt null, 0x0
	s_barrier
	buffer_gl0_inv
	scratch_load_b128 v[1:4], v208, off
	v_add_nc_u32_e32 v6, -1, v156
	s_mov_b32 s2, exec_lo
	s_waitcnt vmcnt(0)
	ds_store_b128 v5, v[1:4]
	s_waitcnt lgkmcnt(0)
	s_barrier
	buffer_gl0_inv
	v_cmpx_gt_u32_e32 3, v156
	s_cbranch_execz .LBB54_27
; %bb.24:
	v_dual_mov_b32 v1, 0 :: v_dual_add_nc_u32 v8, 0x370, v13
	v_dual_mov_b32 v2, 0 :: v_dual_add_nc_u32 v7, -1, v156
	v_or_b32_e32 v9, 8, v14
	s_mov_b32 s3, 0
	s_delay_alu instid0(VALU_DEP_2)
	v_dual_mov_b32 v4, v2 :: v_dual_mov_b32 v3, v1
	.p2align	6
.LBB54_25:                              ; =>This Inner Loop Header: Depth=1
	scratch_load_b128 v[15:18], v9, off offset:-8
	ds_load_b128 v[19:22], v8
	v_add_nc_u32_e32 v7, 1, v7
	v_add_nc_u32_e32 v8, 16, v8
	;; [unrolled: 1-line block ×3, first 2 shown]
	s_delay_alu instid0(VALU_DEP_3) | instskip(SKIP_4) | instid1(VALU_DEP_2)
	v_cmp_lt_u32_e32 vcc_lo, 1, v7
	s_or_b32 s3, vcc_lo, s3
	s_waitcnt vmcnt(0) lgkmcnt(0)
	v_mul_f64 v[10:11], v[21:22], v[17:18]
	v_mul_f64 v[17:18], v[19:20], v[17:18]
	v_fma_f64 v[10:11], v[19:20], v[15:16], -v[10:11]
	s_delay_alu instid0(VALU_DEP_2) | instskip(NEXT) | instid1(VALU_DEP_2)
	v_fma_f64 v[15:16], v[21:22], v[15:16], v[17:18]
	v_add_f64 v[3:4], v[3:4], v[10:11]
	s_delay_alu instid0(VALU_DEP_2)
	v_add_f64 v[1:2], v[1:2], v[15:16]
	s_and_not1_b32 exec_lo, exec_lo, s3
	s_cbranch_execnz .LBB54_25
; %bb.26:
	s_or_b32 exec_lo, exec_lo, s3
	v_mov_b32_e32 v7, 0
	ds_load_b128 v[7:10], v7 offset:48
	s_waitcnt lgkmcnt(0)
	v_mul_f64 v[11:12], v[1:2], v[9:10]
	v_mul_f64 v[15:16], v[3:4], v[9:10]
	s_delay_alu instid0(VALU_DEP_2) | instskip(NEXT) | instid1(VALU_DEP_2)
	v_fma_f64 v[9:10], v[3:4], v[7:8], -v[11:12]
	v_fma_f64 v[11:12], v[1:2], v[7:8], v[15:16]
	scratch_store_b128 off, v[9:12], off offset:48
.LBB54_27:
	s_or_b32 exec_lo, exec_lo, s2
	s_waitcnt_vscnt null, 0x0
	s_barrier
	buffer_gl0_inv
	scratch_load_b128 v[1:4], v207, off
	s_mov_b32 s2, exec_lo
	s_waitcnt vmcnt(0)
	ds_store_b128 v5, v[1:4]
	s_waitcnt lgkmcnt(0)
	s_barrier
	buffer_gl0_inv
	v_cmpx_gt_u32_e32 4, v156
	s_cbranch_execz .LBB54_31
; %bb.28:
	v_dual_mov_b32 v1, 0 :: v_dual_add_nc_u32 v8, 0x370, v13
	v_dual_mov_b32 v2, 0 :: v_dual_add_nc_u32 v7, -1, v156
	v_or_b32_e32 v9, 8, v14
	s_mov_b32 s3, 0
	s_delay_alu instid0(VALU_DEP_2)
	v_dual_mov_b32 v4, v2 :: v_dual_mov_b32 v3, v1
	.p2align	6
.LBB54_29:                              ; =>This Inner Loop Header: Depth=1
	scratch_load_b128 v[15:18], v9, off offset:-8
	ds_load_b128 v[19:22], v8
	v_add_nc_u32_e32 v7, 1, v7
	v_add_nc_u32_e32 v8, 16, v8
	;; [unrolled: 1-line block ×3, first 2 shown]
	s_delay_alu instid0(VALU_DEP_3) | instskip(SKIP_4) | instid1(VALU_DEP_2)
	v_cmp_lt_u32_e32 vcc_lo, 2, v7
	s_or_b32 s3, vcc_lo, s3
	s_waitcnt vmcnt(0) lgkmcnt(0)
	v_mul_f64 v[10:11], v[21:22], v[17:18]
	v_mul_f64 v[17:18], v[19:20], v[17:18]
	v_fma_f64 v[10:11], v[19:20], v[15:16], -v[10:11]
	s_delay_alu instid0(VALU_DEP_2) | instskip(NEXT) | instid1(VALU_DEP_2)
	v_fma_f64 v[15:16], v[21:22], v[15:16], v[17:18]
	v_add_f64 v[3:4], v[3:4], v[10:11]
	s_delay_alu instid0(VALU_DEP_2)
	v_add_f64 v[1:2], v[1:2], v[15:16]
	s_and_not1_b32 exec_lo, exec_lo, s3
	s_cbranch_execnz .LBB54_29
; %bb.30:
	s_or_b32 exec_lo, exec_lo, s3
	v_mov_b32_e32 v7, 0
	ds_load_b128 v[7:10], v7 offset:64
	s_waitcnt lgkmcnt(0)
	v_mul_f64 v[11:12], v[1:2], v[9:10]
	v_mul_f64 v[15:16], v[3:4], v[9:10]
	s_delay_alu instid0(VALU_DEP_2) | instskip(NEXT) | instid1(VALU_DEP_2)
	v_fma_f64 v[9:10], v[3:4], v[7:8], -v[11:12]
	v_fma_f64 v[11:12], v[1:2], v[7:8], v[15:16]
	scratch_store_b128 off, v[9:12], off offset:64
.LBB54_31:
	s_or_b32 exec_lo, exec_lo, s2
	s_waitcnt_vscnt null, 0x0
	s_barrier
	buffer_gl0_inv
	scratch_load_b128 v[1:4], v206, off
	s_mov_b32 s2, exec_lo
	s_waitcnt vmcnt(0)
	ds_store_b128 v5, v[1:4]
	s_waitcnt lgkmcnt(0)
	s_barrier
	buffer_gl0_inv
	v_cmpx_gt_u32_e32 5, v156
	s_cbranch_execz .LBB54_35
; %bb.32:
	v_dual_mov_b32 v1, 0 :: v_dual_add_nc_u32 v8, 0x370, v13
	v_dual_mov_b32 v2, 0 :: v_dual_add_nc_u32 v7, -1, v156
	v_or_b32_e32 v9, 8, v14
	s_mov_b32 s3, 0
	s_delay_alu instid0(VALU_DEP_2)
	v_dual_mov_b32 v4, v2 :: v_dual_mov_b32 v3, v1
	.p2align	6
.LBB54_33:                              ; =>This Inner Loop Header: Depth=1
	scratch_load_b128 v[15:18], v9, off offset:-8
	ds_load_b128 v[19:22], v8
	v_add_nc_u32_e32 v7, 1, v7
	v_add_nc_u32_e32 v8, 16, v8
	;; [unrolled: 1-line block ×3, first 2 shown]
	s_delay_alu instid0(VALU_DEP_3) | instskip(SKIP_4) | instid1(VALU_DEP_2)
	v_cmp_lt_u32_e32 vcc_lo, 3, v7
	s_or_b32 s3, vcc_lo, s3
	s_waitcnt vmcnt(0) lgkmcnt(0)
	v_mul_f64 v[10:11], v[21:22], v[17:18]
	v_mul_f64 v[17:18], v[19:20], v[17:18]
	v_fma_f64 v[10:11], v[19:20], v[15:16], -v[10:11]
	s_delay_alu instid0(VALU_DEP_2) | instskip(NEXT) | instid1(VALU_DEP_2)
	v_fma_f64 v[15:16], v[21:22], v[15:16], v[17:18]
	v_add_f64 v[3:4], v[3:4], v[10:11]
	s_delay_alu instid0(VALU_DEP_2)
	v_add_f64 v[1:2], v[1:2], v[15:16]
	s_and_not1_b32 exec_lo, exec_lo, s3
	s_cbranch_execnz .LBB54_33
; %bb.34:
	s_or_b32 exec_lo, exec_lo, s3
	v_mov_b32_e32 v7, 0
	ds_load_b128 v[7:10], v7 offset:80
	s_waitcnt lgkmcnt(0)
	v_mul_f64 v[11:12], v[1:2], v[9:10]
	v_mul_f64 v[15:16], v[3:4], v[9:10]
	s_delay_alu instid0(VALU_DEP_2) | instskip(NEXT) | instid1(VALU_DEP_2)
	v_fma_f64 v[9:10], v[3:4], v[7:8], -v[11:12]
	v_fma_f64 v[11:12], v[1:2], v[7:8], v[15:16]
	scratch_store_b128 off, v[9:12], off offset:80
.LBB54_35:
	s_or_b32 exec_lo, exec_lo, s2
	s_waitcnt_vscnt null, 0x0
	s_barrier
	buffer_gl0_inv
	scratch_load_b128 v[1:4], v205, off
	s_mov_b32 s2, exec_lo
	s_waitcnt vmcnt(0)
	ds_store_b128 v5, v[1:4]
	s_waitcnt lgkmcnt(0)
	s_barrier
	buffer_gl0_inv
	v_cmpx_gt_u32_e32 6, v156
	s_cbranch_execz .LBB54_39
; %bb.36:
	v_dual_mov_b32 v1, 0 :: v_dual_add_nc_u32 v8, 0x370, v13
	v_dual_mov_b32 v2, 0 :: v_dual_add_nc_u32 v7, -1, v156
	v_or_b32_e32 v9, 8, v14
	s_mov_b32 s3, 0
	s_delay_alu instid0(VALU_DEP_2)
	v_dual_mov_b32 v4, v2 :: v_dual_mov_b32 v3, v1
	.p2align	6
.LBB54_37:                              ; =>This Inner Loop Header: Depth=1
	scratch_load_b128 v[15:18], v9, off offset:-8
	ds_load_b128 v[19:22], v8
	v_add_nc_u32_e32 v7, 1, v7
	v_add_nc_u32_e32 v8, 16, v8
	;; [unrolled: 1-line block ×3, first 2 shown]
	s_delay_alu instid0(VALU_DEP_3) | instskip(SKIP_4) | instid1(VALU_DEP_2)
	v_cmp_lt_u32_e32 vcc_lo, 4, v7
	s_or_b32 s3, vcc_lo, s3
	s_waitcnt vmcnt(0) lgkmcnt(0)
	v_mul_f64 v[10:11], v[21:22], v[17:18]
	v_mul_f64 v[17:18], v[19:20], v[17:18]
	v_fma_f64 v[10:11], v[19:20], v[15:16], -v[10:11]
	s_delay_alu instid0(VALU_DEP_2) | instskip(NEXT) | instid1(VALU_DEP_2)
	v_fma_f64 v[15:16], v[21:22], v[15:16], v[17:18]
	v_add_f64 v[3:4], v[3:4], v[10:11]
	s_delay_alu instid0(VALU_DEP_2)
	v_add_f64 v[1:2], v[1:2], v[15:16]
	s_and_not1_b32 exec_lo, exec_lo, s3
	s_cbranch_execnz .LBB54_37
; %bb.38:
	s_or_b32 exec_lo, exec_lo, s3
	v_mov_b32_e32 v7, 0
	ds_load_b128 v[7:10], v7 offset:96
	s_waitcnt lgkmcnt(0)
	v_mul_f64 v[11:12], v[1:2], v[9:10]
	v_mul_f64 v[15:16], v[3:4], v[9:10]
	s_delay_alu instid0(VALU_DEP_2) | instskip(NEXT) | instid1(VALU_DEP_2)
	v_fma_f64 v[9:10], v[3:4], v[7:8], -v[11:12]
	v_fma_f64 v[11:12], v[1:2], v[7:8], v[15:16]
	scratch_store_b128 off, v[9:12], off offset:96
.LBB54_39:
	s_or_b32 exec_lo, exec_lo, s2
	s_waitcnt_vscnt null, 0x0
	s_barrier
	buffer_gl0_inv
	scratch_load_b128 v[1:4], v204, off
	s_mov_b32 s2, exec_lo
	s_waitcnt vmcnt(0)
	ds_store_b128 v5, v[1:4]
	s_waitcnt lgkmcnt(0)
	s_barrier
	buffer_gl0_inv
	v_cmpx_gt_u32_e32 7, v156
	s_cbranch_execz .LBB54_43
; %bb.40:
	v_dual_mov_b32 v1, 0 :: v_dual_add_nc_u32 v8, 0x370, v13
	v_dual_mov_b32 v2, 0 :: v_dual_add_nc_u32 v7, -1, v156
	v_or_b32_e32 v9, 8, v14
	s_mov_b32 s3, 0
	s_delay_alu instid0(VALU_DEP_2)
	v_dual_mov_b32 v4, v2 :: v_dual_mov_b32 v3, v1
	.p2align	6
.LBB54_41:                              ; =>This Inner Loop Header: Depth=1
	scratch_load_b128 v[15:18], v9, off offset:-8
	ds_load_b128 v[19:22], v8
	v_add_nc_u32_e32 v7, 1, v7
	v_add_nc_u32_e32 v8, 16, v8
	v_add_nc_u32_e32 v9, 16, v9
	s_delay_alu instid0(VALU_DEP_3) | instskip(SKIP_4) | instid1(VALU_DEP_2)
	v_cmp_lt_u32_e32 vcc_lo, 5, v7
	s_or_b32 s3, vcc_lo, s3
	s_waitcnt vmcnt(0) lgkmcnt(0)
	v_mul_f64 v[10:11], v[21:22], v[17:18]
	v_mul_f64 v[17:18], v[19:20], v[17:18]
	v_fma_f64 v[10:11], v[19:20], v[15:16], -v[10:11]
	s_delay_alu instid0(VALU_DEP_2) | instskip(NEXT) | instid1(VALU_DEP_2)
	v_fma_f64 v[15:16], v[21:22], v[15:16], v[17:18]
	v_add_f64 v[3:4], v[3:4], v[10:11]
	s_delay_alu instid0(VALU_DEP_2)
	v_add_f64 v[1:2], v[1:2], v[15:16]
	s_and_not1_b32 exec_lo, exec_lo, s3
	s_cbranch_execnz .LBB54_41
; %bb.42:
	s_or_b32 exec_lo, exec_lo, s3
	v_mov_b32_e32 v7, 0
	ds_load_b128 v[7:10], v7 offset:112
	s_waitcnt lgkmcnt(0)
	v_mul_f64 v[11:12], v[1:2], v[9:10]
	v_mul_f64 v[15:16], v[3:4], v[9:10]
	s_delay_alu instid0(VALU_DEP_2) | instskip(NEXT) | instid1(VALU_DEP_2)
	v_fma_f64 v[9:10], v[3:4], v[7:8], -v[11:12]
	v_fma_f64 v[11:12], v[1:2], v[7:8], v[15:16]
	scratch_store_b128 off, v[9:12], off offset:112
.LBB54_43:
	s_or_b32 exec_lo, exec_lo, s2
	s_waitcnt_vscnt null, 0x0
	s_barrier
	buffer_gl0_inv
	scratch_load_b128 v[1:4], v203, off
	s_mov_b32 s2, exec_lo
	s_waitcnt vmcnt(0)
	ds_store_b128 v5, v[1:4]
	s_waitcnt lgkmcnt(0)
	s_barrier
	buffer_gl0_inv
	v_cmpx_gt_u32_e32 8, v156
	s_cbranch_execz .LBB54_47
; %bb.44:
	v_dual_mov_b32 v1, 0 :: v_dual_add_nc_u32 v8, 0x370, v13
	v_dual_mov_b32 v2, 0 :: v_dual_add_nc_u32 v7, -1, v156
	v_or_b32_e32 v9, 8, v14
	s_mov_b32 s3, 0
	s_delay_alu instid0(VALU_DEP_2)
	v_dual_mov_b32 v4, v2 :: v_dual_mov_b32 v3, v1
	.p2align	6
.LBB54_45:                              ; =>This Inner Loop Header: Depth=1
	scratch_load_b128 v[15:18], v9, off offset:-8
	ds_load_b128 v[19:22], v8
	v_add_nc_u32_e32 v7, 1, v7
	v_add_nc_u32_e32 v8, 16, v8
	;; [unrolled: 1-line block ×3, first 2 shown]
	s_delay_alu instid0(VALU_DEP_3) | instskip(SKIP_4) | instid1(VALU_DEP_2)
	v_cmp_lt_u32_e32 vcc_lo, 6, v7
	s_or_b32 s3, vcc_lo, s3
	s_waitcnt vmcnt(0) lgkmcnt(0)
	v_mul_f64 v[10:11], v[21:22], v[17:18]
	v_mul_f64 v[17:18], v[19:20], v[17:18]
	v_fma_f64 v[10:11], v[19:20], v[15:16], -v[10:11]
	s_delay_alu instid0(VALU_DEP_2) | instskip(NEXT) | instid1(VALU_DEP_2)
	v_fma_f64 v[15:16], v[21:22], v[15:16], v[17:18]
	v_add_f64 v[3:4], v[3:4], v[10:11]
	s_delay_alu instid0(VALU_DEP_2)
	v_add_f64 v[1:2], v[1:2], v[15:16]
	s_and_not1_b32 exec_lo, exec_lo, s3
	s_cbranch_execnz .LBB54_45
; %bb.46:
	s_or_b32 exec_lo, exec_lo, s3
	v_mov_b32_e32 v7, 0
	ds_load_b128 v[7:10], v7 offset:128
	s_waitcnt lgkmcnt(0)
	v_mul_f64 v[11:12], v[1:2], v[9:10]
	v_mul_f64 v[15:16], v[3:4], v[9:10]
	s_delay_alu instid0(VALU_DEP_2) | instskip(NEXT) | instid1(VALU_DEP_2)
	v_fma_f64 v[9:10], v[3:4], v[7:8], -v[11:12]
	v_fma_f64 v[11:12], v[1:2], v[7:8], v[15:16]
	scratch_store_b128 off, v[9:12], off offset:128
.LBB54_47:
	s_or_b32 exec_lo, exec_lo, s2
	s_waitcnt_vscnt null, 0x0
	s_barrier
	buffer_gl0_inv
	scratch_load_b128 v[1:4], v202, off
	s_mov_b32 s2, exec_lo
	s_waitcnt vmcnt(0)
	ds_store_b128 v5, v[1:4]
	s_waitcnt lgkmcnt(0)
	s_barrier
	buffer_gl0_inv
	v_cmpx_gt_u32_e32 9, v156
	s_cbranch_execz .LBB54_51
; %bb.48:
	v_dual_mov_b32 v1, 0 :: v_dual_add_nc_u32 v8, 0x370, v13
	v_dual_mov_b32 v2, 0 :: v_dual_add_nc_u32 v7, -1, v156
	v_or_b32_e32 v9, 8, v14
	s_mov_b32 s3, 0
	s_delay_alu instid0(VALU_DEP_2)
	v_dual_mov_b32 v4, v2 :: v_dual_mov_b32 v3, v1
	.p2align	6
.LBB54_49:                              ; =>This Inner Loop Header: Depth=1
	scratch_load_b128 v[15:18], v9, off offset:-8
	ds_load_b128 v[19:22], v8
	v_add_nc_u32_e32 v7, 1, v7
	v_add_nc_u32_e32 v8, 16, v8
	;; [unrolled: 1-line block ×3, first 2 shown]
	s_delay_alu instid0(VALU_DEP_3) | instskip(SKIP_4) | instid1(VALU_DEP_2)
	v_cmp_lt_u32_e32 vcc_lo, 7, v7
	s_or_b32 s3, vcc_lo, s3
	s_waitcnt vmcnt(0) lgkmcnt(0)
	v_mul_f64 v[10:11], v[21:22], v[17:18]
	v_mul_f64 v[17:18], v[19:20], v[17:18]
	v_fma_f64 v[10:11], v[19:20], v[15:16], -v[10:11]
	s_delay_alu instid0(VALU_DEP_2) | instskip(NEXT) | instid1(VALU_DEP_2)
	v_fma_f64 v[15:16], v[21:22], v[15:16], v[17:18]
	v_add_f64 v[3:4], v[3:4], v[10:11]
	s_delay_alu instid0(VALU_DEP_2)
	v_add_f64 v[1:2], v[1:2], v[15:16]
	s_and_not1_b32 exec_lo, exec_lo, s3
	s_cbranch_execnz .LBB54_49
; %bb.50:
	s_or_b32 exec_lo, exec_lo, s3
	v_mov_b32_e32 v7, 0
	ds_load_b128 v[7:10], v7 offset:144
	s_waitcnt lgkmcnt(0)
	v_mul_f64 v[11:12], v[1:2], v[9:10]
	v_mul_f64 v[15:16], v[3:4], v[9:10]
	s_delay_alu instid0(VALU_DEP_2) | instskip(NEXT) | instid1(VALU_DEP_2)
	v_fma_f64 v[9:10], v[3:4], v[7:8], -v[11:12]
	v_fma_f64 v[11:12], v[1:2], v[7:8], v[15:16]
	scratch_store_b128 off, v[9:12], off offset:144
.LBB54_51:
	s_or_b32 exec_lo, exec_lo, s2
	s_waitcnt_vscnt null, 0x0
	s_barrier
	buffer_gl0_inv
	scratch_load_b128 v[1:4], v201, off
	s_mov_b32 s2, exec_lo
	s_waitcnt vmcnt(0)
	ds_store_b128 v5, v[1:4]
	s_waitcnt lgkmcnt(0)
	s_barrier
	buffer_gl0_inv
	v_cmpx_gt_u32_e32 10, v156
	s_cbranch_execz .LBB54_55
; %bb.52:
	v_dual_mov_b32 v1, 0 :: v_dual_add_nc_u32 v8, 0x370, v13
	v_dual_mov_b32 v2, 0 :: v_dual_add_nc_u32 v7, -1, v156
	v_or_b32_e32 v9, 8, v14
	s_mov_b32 s3, 0
	s_delay_alu instid0(VALU_DEP_2)
	v_dual_mov_b32 v4, v2 :: v_dual_mov_b32 v3, v1
	.p2align	6
.LBB54_53:                              ; =>This Inner Loop Header: Depth=1
	scratch_load_b128 v[15:18], v9, off offset:-8
	ds_load_b128 v[19:22], v8
	v_add_nc_u32_e32 v7, 1, v7
	v_add_nc_u32_e32 v8, 16, v8
	;; [unrolled: 1-line block ×3, first 2 shown]
	s_delay_alu instid0(VALU_DEP_3) | instskip(SKIP_4) | instid1(VALU_DEP_2)
	v_cmp_lt_u32_e32 vcc_lo, 8, v7
	s_or_b32 s3, vcc_lo, s3
	s_waitcnt vmcnt(0) lgkmcnt(0)
	v_mul_f64 v[10:11], v[21:22], v[17:18]
	v_mul_f64 v[17:18], v[19:20], v[17:18]
	v_fma_f64 v[10:11], v[19:20], v[15:16], -v[10:11]
	s_delay_alu instid0(VALU_DEP_2) | instskip(NEXT) | instid1(VALU_DEP_2)
	v_fma_f64 v[15:16], v[21:22], v[15:16], v[17:18]
	v_add_f64 v[3:4], v[3:4], v[10:11]
	s_delay_alu instid0(VALU_DEP_2)
	v_add_f64 v[1:2], v[1:2], v[15:16]
	s_and_not1_b32 exec_lo, exec_lo, s3
	s_cbranch_execnz .LBB54_53
; %bb.54:
	s_or_b32 exec_lo, exec_lo, s3
	v_mov_b32_e32 v7, 0
	ds_load_b128 v[7:10], v7 offset:160
	s_waitcnt lgkmcnt(0)
	v_mul_f64 v[11:12], v[1:2], v[9:10]
	v_mul_f64 v[15:16], v[3:4], v[9:10]
	s_delay_alu instid0(VALU_DEP_2) | instskip(NEXT) | instid1(VALU_DEP_2)
	v_fma_f64 v[9:10], v[3:4], v[7:8], -v[11:12]
	v_fma_f64 v[11:12], v[1:2], v[7:8], v[15:16]
	scratch_store_b128 off, v[9:12], off offset:160
.LBB54_55:
	s_or_b32 exec_lo, exec_lo, s2
	s_waitcnt_vscnt null, 0x0
	s_barrier
	buffer_gl0_inv
	scratch_load_b128 v[1:4], v200, off
	s_mov_b32 s2, exec_lo
	s_waitcnt vmcnt(0)
	ds_store_b128 v5, v[1:4]
	s_waitcnt lgkmcnt(0)
	s_barrier
	buffer_gl0_inv
	v_cmpx_gt_u32_e32 11, v156
	s_cbranch_execz .LBB54_59
; %bb.56:
	v_dual_mov_b32 v1, 0 :: v_dual_add_nc_u32 v8, 0x370, v13
	v_dual_mov_b32 v2, 0 :: v_dual_add_nc_u32 v7, -1, v156
	v_or_b32_e32 v9, 8, v14
	s_mov_b32 s3, 0
	s_delay_alu instid0(VALU_DEP_2)
	v_dual_mov_b32 v4, v2 :: v_dual_mov_b32 v3, v1
	.p2align	6
.LBB54_57:                              ; =>This Inner Loop Header: Depth=1
	scratch_load_b128 v[15:18], v9, off offset:-8
	ds_load_b128 v[19:22], v8
	v_add_nc_u32_e32 v7, 1, v7
	v_add_nc_u32_e32 v8, 16, v8
	;; [unrolled: 1-line block ×3, first 2 shown]
	s_delay_alu instid0(VALU_DEP_3) | instskip(SKIP_4) | instid1(VALU_DEP_2)
	v_cmp_lt_u32_e32 vcc_lo, 9, v7
	s_or_b32 s3, vcc_lo, s3
	s_waitcnt vmcnt(0) lgkmcnt(0)
	v_mul_f64 v[10:11], v[21:22], v[17:18]
	v_mul_f64 v[17:18], v[19:20], v[17:18]
	v_fma_f64 v[10:11], v[19:20], v[15:16], -v[10:11]
	s_delay_alu instid0(VALU_DEP_2) | instskip(NEXT) | instid1(VALU_DEP_2)
	v_fma_f64 v[15:16], v[21:22], v[15:16], v[17:18]
	v_add_f64 v[3:4], v[3:4], v[10:11]
	s_delay_alu instid0(VALU_DEP_2)
	v_add_f64 v[1:2], v[1:2], v[15:16]
	s_and_not1_b32 exec_lo, exec_lo, s3
	s_cbranch_execnz .LBB54_57
; %bb.58:
	s_or_b32 exec_lo, exec_lo, s3
	v_mov_b32_e32 v7, 0
	ds_load_b128 v[7:10], v7 offset:176
	s_waitcnt lgkmcnt(0)
	v_mul_f64 v[11:12], v[1:2], v[9:10]
	v_mul_f64 v[15:16], v[3:4], v[9:10]
	s_delay_alu instid0(VALU_DEP_2) | instskip(NEXT) | instid1(VALU_DEP_2)
	v_fma_f64 v[9:10], v[3:4], v[7:8], -v[11:12]
	v_fma_f64 v[11:12], v[1:2], v[7:8], v[15:16]
	scratch_store_b128 off, v[9:12], off offset:176
.LBB54_59:
	s_or_b32 exec_lo, exec_lo, s2
	s_waitcnt_vscnt null, 0x0
	s_barrier
	buffer_gl0_inv
	scratch_load_b128 v[1:4], v199, off
	s_mov_b32 s2, exec_lo
	s_waitcnt vmcnt(0)
	ds_store_b128 v5, v[1:4]
	s_waitcnt lgkmcnt(0)
	s_barrier
	buffer_gl0_inv
	v_cmpx_gt_u32_e32 12, v156
	s_cbranch_execz .LBB54_63
; %bb.60:
	v_dual_mov_b32 v1, 0 :: v_dual_add_nc_u32 v8, 0x370, v13
	v_dual_mov_b32 v2, 0 :: v_dual_add_nc_u32 v7, -1, v156
	v_or_b32_e32 v9, 8, v14
	s_mov_b32 s3, 0
	s_delay_alu instid0(VALU_DEP_2)
	v_dual_mov_b32 v4, v2 :: v_dual_mov_b32 v3, v1
	.p2align	6
.LBB54_61:                              ; =>This Inner Loop Header: Depth=1
	scratch_load_b128 v[15:18], v9, off offset:-8
	ds_load_b128 v[19:22], v8
	v_add_nc_u32_e32 v7, 1, v7
	v_add_nc_u32_e32 v8, 16, v8
	;; [unrolled: 1-line block ×3, first 2 shown]
	s_delay_alu instid0(VALU_DEP_3) | instskip(SKIP_4) | instid1(VALU_DEP_2)
	v_cmp_lt_u32_e32 vcc_lo, 10, v7
	s_or_b32 s3, vcc_lo, s3
	s_waitcnt vmcnt(0) lgkmcnt(0)
	v_mul_f64 v[10:11], v[21:22], v[17:18]
	v_mul_f64 v[17:18], v[19:20], v[17:18]
	v_fma_f64 v[10:11], v[19:20], v[15:16], -v[10:11]
	s_delay_alu instid0(VALU_DEP_2) | instskip(NEXT) | instid1(VALU_DEP_2)
	v_fma_f64 v[15:16], v[21:22], v[15:16], v[17:18]
	v_add_f64 v[3:4], v[3:4], v[10:11]
	s_delay_alu instid0(VALU_DEP_2)
	v_add_f64 v[1:2], v[1:2], v[15:16]
	s_and_not1_b32 exec_lo, exec_lo, s3
	s_cbranch_execnz .LBB54_61
; %bb.62:
	s_or_b32 exec_lo, exec_lo, s3
	v_mov_b32_e32 v7, 0
	ds_load_b128 v[7:10], v7 offset:192
	s_waitcnt lgkmcnt(0)
	v_mul_f64 v[11:12], v[1:2], v[9:10]
	v_mul_f64 v[15:16], v[3:4], v[9:10]
	s_delay_alu instid0(VALU_DEP_2) | instskip(NEXT) | instid1(VALU_DEP_2)
	v_fma_f64 v[9:10], v[3:4], v[7:8], -v[11:12]
	v_fma_f64 v[11:12], v[1:2], v[7:8], v[15:16]
	scratch_store_b128 off, v[9:12], off offset:192
.LBB54_63:
	s_or_b32 exec_lo, exec_lo, s2
	s_waitcnt_vscnt null, 0x0
	s_barrier
	buffer_gl0_inv
	scratch_load_b128 v[1:4], v198, off
	s_mov_b32 s2, exec_lo
	s_waitcnt vmcnt(0)
	ds_store_b128 v5, v[1:4]
	s_waitcnt lgkmcnt(0)
	s_barrier
	buffer_gl0_inv
	v_cmpx_gt_u32_e32 13, v156
	s_cbranch_execz .LBB54_67
; %bb.64:
	v_dual_mov_b32 v1, 0 :: v_dual_add_nc_u32 v8, 0x370, v13
	v_dual_mov_b32 v2, 0 :: v_dual_add_nc_u32 v7, -1, v156
	v_or_b32_e32 v9, 8, v14
	s_mov_b32 s3, 0
	s_delay_alu instid0(VALU_DEP_2)
	v_dual_mov_b32 v4, v2 :: v_dual_mov_b32 v3, v1
	.p2align	6
.LBB54_65:                              ; =>This Inner Loop Header: Depth=1
	scratch_load_b128 v[15:18], v9, off offset:-8
	ds_load_b128 v[19:22], v8
	v_add_nc_u32_e32 v7, 1, v7
	v_add_nc_u32_e32 v8, 16, v8
	;; [unrolled: 1-line block ×3, first 2 shown]
	s_delay_alu instid0(VALU_DEP_3) | instskip(SKIP_4) | instid1(VALU_DEP_2)
	v_cmp_lt_u32_e32 vcc_lo, 11, v7
	s_or_b32 s3, vcc_lo, s3
	s_waitcnt vmcnt(0) lgkmcnt(0)
	v_mul_f64 v[10:11], v[21:22], v[17:18]
	v_mul_f64 v[17:18], v[19:20], v[17:18]
	v_fma_f64 v[10:11], v[19:20], v[15:16], -v[10:11]
	s_delay_alu instid0(VALU_DEP_2) | instskip(NEXT) | instid1(VALU_DEP_2)
	v_fma_f64 v[15:16], v[21:22], v[15:16], v[17:18]
	v_add_f64 v[3:4], v[3:4], v[10:11]
	s_delay_alu instid0(VALU_DEP_2)
	v_add_f64 v[1:2], v[1:2], v[15:16]
	s_and_not1_b32 exec_lo, exec_lo, s3
	s_cbranch_execnz .LBB54_65
; %bb.66:
	s_or_b32 exec_lo, exec_lo, s3
	v_mov_b32_e32 v7, 0
	ds_load_b128 v[7:10], v7 offset:208
	s_waitcnt lgkmcnt(0)
	v_mul_f64 v[11:12], v[1:2], v[9:10]
	v_mul_f64 v[15:16], v[3:4], v[9:10]
	s_delay_alu instid0(VALU_DEP_2) | instskip(NEXT) | instid1(VALU_DEP_2)
	v_fma_f64 v[9:10], v[3:4], v[7:8], -v[11:12]
	v_fma_f64 v[11:12], v[1:2], v[7:8], v[15:16]
	scratch_store_b128 off, v[9:12], off offset:208
.LBB54_67:
	s_or_b32 exec_lo, exec_lo, s2
	s_waitcnt_vscnt null, 0x0
	s_barrier
	buffer_gl0_inv
	scratch_load_b128 v[1:4], v197, off
	s_mov_b32 s2, exec_lo
	s_waitcnt vmcnt(0)
	ds_store_b128 v5, v[1:4]
	s_waitcnt lgkmcnt(0)
	s_barrier
	buffer_gl0_inv
	v_cmpx_gt_u32_e32 14, v156
	s_cbranch_execz .LBB54_71
; %bb.68:
	v_dual_mov_b32 v1, 0 :: v_dual_add_nc_u32 v8, 0x370, v13
	v_dual_mov_b32 v2, 0 :: v_dual_add_nc_u32 v7, -1, v156
	v_or_b32_e32 v9, 8, v14
	s_mov_b32 s3, 0
	s_delay_alu instid0(VALU_DEP_2)
	v_dual_mov_b32 v4, v2 :: v_dual_mov_b32 v3, v1
	.p2align	6
.LBB54_69:                              ; =>This Inner Loop Header: Depth=1
	scratch_load_b128 v[15:18], v9, off offset:-8
	ds_load_b128 v[19:22], v8
	v_add_nc_u32_e32 v7, 1, v7
	v_add_nc_u32_e32 v8, 16, v8
	;; [unrolled: 1-line block ×3, first 2 shown]
	s_delay_alu instid0(VALU_DEP_3) | instskip(SKIP_4) | instid1(VALU_DEP_2)
	v_cmp_lt_u32_e32 vcc_lo, 12, v7
	s_or_b32 s3, vcc_lo, s3
	s_waitcnt vmcnt(0) lgkmcnt(0)
	v_mul_f64 v[10:11], v[21:22], v[17:18]
	v_mul_f64 v[17:18], v[19:20], v[17:18]
	v_fma_f64 v[10:11], v[19:20], v[15:16], -v[10:11]
	s_delay_alu instid0(VALU_DEP_2) | instskip(NEXT) | instid1(VALU_DEP_2)
	v_fma_f64 v[15:16], v[21:22], v[15:16], v[17:18]
	v_add_f64 v[3:4], v[3:4], v[10:11]
	s_delay_alu instid0(VALU_DEP_2)
	v_add_f64 v[1:2], v[1:2], v[15:16]
	s_and_not1_b32 exec_lo, exec_lo, s3
	s_cbranch_execnz .LBB54_69
; %bb.70:
	s_or_b32 exec_lo, exec_lo, s3
	v_mov_b32_e32 v7, 0
	ds_load_b128 v[7:10], v7 offset:224
	s_waitcnt lgkmcnt(0)
	v_mul_f64 v[11:12], v[1:2], v[9:10]
	v_mul_f64 v[15:16], v[3:4], v[9:10]
	s_delay_alu instid0(VALU_DEP_2) | instskip(NEXT) | instid1(VALU_DEP_2)
	v_fma_f64 v[9:10], v[3:4], v[7:8], -v[11:12]
	v_fma_f64 v[11:12], v[1:2], v[7:8], v[15:16]
	scratch_store_b128 off, v[9:12], off offset:224
.LBB54_71:
	s_or_b32 exec_lo, exec_lo, s2
	s_waitcnt_vscnt null, 0x0
	s_barrier
	buffer_gl0_inv
	scratch_load_b128 v[1:4], v196, off
	s_mov_b32 s2, exec_lo
	s_waitcnt vmcnt(0)
	ds_store_b128 v5, v[1:4]
	s_waitcnt lgkmcnt(0)
	s_barrier
	buffer_gl0_inv
	v_cmpx_gt_u32_e32 15, v156
	s_cbranch_execz .LBB54_75
; %bb.72:
	v_dual_mov_b32 v1, 0 :: v_dual_add_nc_u32 v8, 0x370, v13
	v_dual_mov_b32 v2, 0 :: v_dual_add_nc_u32 v7, -1, v156
	v_or_b32_e32 v9, 8, v14
	s_mov_b32 s3, 0
	s_delay_alu instid0(VALU_DEP_2)
	v_dual_mov_b32 v4, v2 :: v_dual_mov_b32 v3, v1
	.p2align	6
.LBB54_73:                              ; =>This Inner Loop Header: Depth=1
	scratch_load_b128 v[15:18], v9, off offset:-8
	ds_load_b128 v[19:22], v8
	v_add_nc_u32_e32 v7, 1, v7
	v_add_nc_u32_e32 v8, 16, v8
	;; [unrolled: 1-line block ×3, first 2 shown]
	s_delay_alu instid0(VALU_DEP_3) | instskip(SKIP_4) | instid1(VALU_DEP_2)
	v_cmp_lt_u32_e32 vcc_lo, 13, v7
	s_or_b32 s3, vcc_lo, s3
	s_waitcnt vmcnt(0) lgkmcnt(0)
	v_mul_f64 v[10:11], v[21:22], v[17:18]
	v_mul_f64 v[17:18], v[19:20], v[17:18]
	v_fma_f64 v[10:11], v[19:20], v[15:16], -v[10:11]
	s_delay_alu instid0(VALU_DEP_2) | instskip(NEXT) | instid1(VALU_DEP_2)
	v_fma_f64 v[15:16], v[21:22], v[15:16], v[17:18]
	v_add_f64 v[3:4], v[3:4], v[10:11]
	s_delay_alu instid0(VALU_DEP_2)
	v_add_f64 v[1:2], v[1:2], v[15:16]
	s_and_not1_b32 exec_lo, exec_lo, s3
	s_cbranch_execnz .LBB54_73
; %bb.74:
	s_or_b32 exec_lo, exec_lo, s3
	v_mov_b32_e32 v7, 0
	ds_load_b128 v[7:10], v7 offset:240
	s_waitcnt lgkmcnt(0)
	v_mul_f64 v[11:12], v[1:2], v[9:10]
	v_mul_f64 v[15:16], v[3:4], v[9:10]
	s_delay_alu instid0(VALU_DEP_2) | instskip(NEXT) | instid1(VALU_DEP_2)
	v_fma_f64 v[9:10], v[3:4], v[7:8], -v[11:12]
	v_fma_f64 v[11:12], v[1:2], v[7:8], v[15:16]
	scratch_store_b128 off, v[9:12], off offset:240
.LBB54_75:
	s_or_b32 exec_lo, exec_lo, s2
	s_waitcnt_vscnt null, 0x0
	s_barrier
	buffer_gl0_inv
	scratch_load_b128 v[1:4], v195, off
	s_mov_b32 s2, exec_lo
	s_waitcnt vmcnt(0)
	ds_store_b128 v5, v[1:4]
	s_waitcnt lgkmcnt(0)
	s_barrier
	buffer_gl0_inv
	v_cmpx_gt_u32_e32 16, v156
	s_cbranch_execz .LBB54_79
; %bb.76:
	v_dual_mov_b32 v1, 0 :: v_dual_add_nc_u32 v8, 0x370, v13
	v_dual_mov_b32 v2, 0 :: v_dual_add_nc_u32 v7, -1, v156
	v_or_b32_e32 v9, 8, v14
	s_mov_b32 s3, 0
	s_delay_alu instid0(VALU_DEP_2)
	v_dual_mov_b32 v4, v2 :: v_dual_mov_b32 v3, v1
	.p2align	6
.LBB54_77:                              ; =>This Inner Loop Header: Depth=1
	scratch_load_b128 v[15:18], v9, off offset:-8
	ds_load_b128 v[19:22], v8
	v_add_nc_u32_e32 v7, 1, v7
	v_add_nc_u32_e32 v8, 16, v8
	;; [unrolled: 1-line block ×3, first 2 shown]
	s_delay_alu instid0(VALU_DEP_3) | instskip(SKIP_4) | instid1(VALU_DEP_2)
	v_cmp_lt_u32_e32 vcc_lo, 14, v7
	s_or_b32 s3, vcc_lo, s3
	s_waitcnt vmcnt(0) lgkmcnt(0)
	v_mul_f64 v[10:11], v[21:22], v[17:18]
	v_mul_f64 v[17:18], v[19:20], v[17:18]
	v_fma_f64 v[10:11], v[19:20], v[15:16], -v[10:11]
	s_delay_alu instid0(VALU_DEP_2) | instskip(NEXT) | instid1(VALU_DEP_2)
	v_fma_f64 v[15:16], v[21:22], v[15:16], v[17:18]
	v_add_f64 v[3:4], v[3:4], v[10:11]
	s_delay_alu instid0(VALU_DEP_2)
	v_add_f64 v[1:2], v[1:2], v[15:16]
	s_and_not1_b32 exec_lo, exec_lo, s3
	s_cbranch_execnz .LBB54_77
; %bb.78:
	s_or_b32 exec_lo, exec_lo, s3
	v_mov_b32_e32 v7, 0
	ds_load_b128 v[7:10], v7 offset:256
	s_waitcnt lgkmcnt(0)
	v_mul_f64 v[11:12], v[1:2], v[9:10]
	v_mul_f64 v[15:16], v[3:4], v[9:10]
	s_delay_alu instid0(VALU_DEP_2) | instskip(NEXT) | instid1(VALU_DEP_2)
	v_fma_f64 v[9:10], v[3:4], v[7:8], -v[11:12]
	v_fma_f64 v[11:12], v[1:2], v[7:8], v[15:16]
	scratch_store_b128 off, v[9:12], off offset:256
.LBB54_79:
	s_or_b32 exec_lo, exec_lo, s2
	s_waitcnt_vscnt null, 0x0
	s_barrier
	buffer_gl0_inv
	scratch_load_b128 v[1:4], v194, off
	s_mov_b32 s2, exec_lo
	s_waitcnt vmcnt(0)
	ds_store_b128 v5, v[1:4]
	s_waitcnt lgkmcnt(0)
	s_barrier
	buffer_gl0_inv
	v_cmpx_gt_u32_e32 17, v156
	s_cbranch_execz .LBB54_83
; %bb.80:
	v_dual_mov_b32 v1, 0 :: v_dual_add_nc_u32 v8, 0x370, v13
	v_dual_mov_b32 v2, 0 :: v_dual_add_nc_u32 v7, -1, v156
	v_or_b32_e32 v9, 8, v14
	s_mov_b32 s3, 0
	s_delay_alu instid0(VALU_DEP_2)
	v_dual_mov_b32 v4, v2 :: v_dual_mov_b32 v3, v1
	.p2align	6
.LBB54_81:                              ; =>This Inner Loop Header: Depth=1
	scratch_load_b128 v[15:18], v9, off offset:-8
	ds_load_b128 v[19:22], v8
	v_add_nc_u32_e32 v7, 1, v7
	v_add_nc_u32_e32 v8, 16, v8
	;; [unrolled: 1-line block ×3, first 2 shown]
	s_delay_alu instid0(VALU_DEP_3) | instskip(SKIP_4) | instid1(VALU_DEP_2)
	v_cmp_lt_u32_e32 vcc_lo, 15, v7
	s_or_b32 s3, vcc_lo, s3
	s_waitcnt vmcnt(0) lgkmcnt(0)
	v_mul_f64 v[10:11], v[21:22], v[17:18]
	v_mul_f64 v[17:18], v[19:20], v[17:18]
	v_fma_f64 v[10:11], v[19:20], v[15:16], -v[10:11]
	s_delay_alu instid0(VALU_DEP_2) | instskip(NEXT) | instid1(VALU_DEP_2)
	v_fma_f64 v[15:16], v[21:22], v[15:16], v[17:18]
	v_add_f64 v[3:4], v[3:4], v[10:11]
	s_delay_alu instid0(VALU_DEP_2)
	v_add_f64 v[1:2], v[1:2], v[15:16]
	s_and_not1_b32 exec_lo, exec_lo, s3
	s_cbranch_execnz .LBB54_81
; %bb.82:
	s_or_b32 exec_lo, exec_lo, s3
	v_mov_b32_e32 v7, 0
	ds_load_b128 v[7:10], v7 offset:272
	s_waitcnt lgkmcnt(0)
	v_mul_f64 v[11:12], v[1:2], v[9:10]
	v_mul_f64 v[15:16], v[3:4], v[9:10]
	s_delay_alu instid0(VALU_DEP_2) | instskip(NEXT) | instid1(VALU_DEP_2)
	v_fma_f64 v[9:10], v[3:4], v[7:8], -v[11:12]
	v_fma_f64 v[11:12], v[1:2], v[7:8], v[15:16]
	scratch_store_b128 off, v[9:12], off offset:272
.LBB54_83:
	s_or_b32 exec_lo, exec_lo, s2
	s_waitcnt_vscnt null, 0x0
	s_barrier
	buffer_gl0_inv
	scratch_load_b128 v[1:4], v193, off
	s_mov_b32 s2, exec_lo
	s_waitcnt vmcnt(0)
	ds_store_b128 v5, v[1:4]
	s_waitcnt lgkmcnt(0)
	s_barrier
	buffer_gl0_inv
	v_cmpx_gt_u32_e32 18, v156
	s_cbranch_execz .LBB54_87
; %bb.84:
	v_dual_mov_b32 v1, 0 :: v_dual_add_nc_u32 v8, 0x370, v13
	v_dual_mov_b32 v2, 0 :: v_dual_add_nc_u32 v7, -1, v156
	v_or_b32_e32 v9, 8, v14
	s_mov_b32 s3, 0
	s_delay_alu instid0(VALU_DEP_2)
	v_dual_mov_b32 v4, v2 :: v_dual_mov_b32 v3, v1
	.p2align	6
.LBB54_85:                              ; =>This Inner Loop Header: Depth=1
	scratch_load_b128 v[15:18], v9, off offset:-8
	ds_load_b128 v[19:22], v8
	v_add_nc_u32_e32 v7, 1, v7
	v_add_nc_u32_e32 v8, 16, v8
	;; [unrolled: 1-line block ×3, first 2 shown]
	s_delay_alu instid0(VALU_DEP_3) | instskip(SKIP_4) | instid1(VALU_DEP_2)
	v_cmp_lt_u32_e32 vcc_lo, 16, v7
	s_or_b32 s3, vcc_lo, s3
	s_waitcnt vmcnt(0) lgkmcnt(0)
	v_mul_f64 v[10:11], v[21:22], v[17:18]
	v_mul_f64 v[17:18], v[19:20], v[17:18]
	v_fma_f64 v[10:11], v[19:20], v[15:16], -v[10:11]
	s_delay_alu instid0(VALU_DEP_2) | instskip(NEXT) | instid1(VALU_DEP_2)
	v_fma_f64 v[15:16], v[21:22], v[15:16], v[17:18]
	v_add_f64 v[3:4], v[3:4], v[10:11]
	s_delay_alu instid0(VALU_DEP_2)
	v_add_f64 v[1:2], v[1:2], v[15:16]
	s_and_not1_b32 exec_lo, exec_lo, s3
	s_cbranch_execnz .LBB54_85
; %bb.86:
	s_or_b32 exec_lo, exec_lo, s3
	v_mov_b32_e32 v7, 0
	ds_load_b128 v[7:10], v7 offset:288
	s_waitcnt lgkmcnt(0)
	v_mul_f64 v[11:12], v[1:2], v[9:10]
	v_mul_f64 v[15:16], v[3:4], v[9:10]
	s_delay_alu instid0(VALU_DEP_2) | instskip(NEXT) | instid1(VALU_DEP_2)
	v_fma_f64 v[9:10], v[3:4], v[7:8], -v[11:12]
	v_fma_f64 v[11:12], v[1:2], v[7:8], v[15:16]
	scratch_store_b128 off, v[9:12], off offset:288
.LBB54_87:
	s_or_b32 exec_lo, exec_lo, s2
	s_waitcnt_vscnt null, 0x0
	s_barrier
	buffer_gl0_inv
	scratch_load_b128 v[1:4], v192, off
	s_mov_b32 s2, exec_lo
	s_waitcnt vmcnt(0)
	ds_store_b128 v5, v[1:4]
	s_waitcnt lgkmcnt(0)
	s_barrier
	buffer_gl0_inv
	v_cmpx_gt_u32_e32 19, v156
	s_cbranch_execz .LBB54_91
; %bb.88:
	v_dual_mov_b32 v1, 0 :: v_dual_add_nc_u32 v8, 0x370, v13
	v_dual_mov_b32 v2, 0 :: v_dual_add_nc_u32 v7, -1, v156
	v_or_b32_e32 v9, 8, v14
	s_mov_b32 s3, 0
	s_delay_alu instid0(VALU_DEP_2)
	v_dual_mov_b32 v4, v2 :: v_dual_mov_b32 v3, v1
	.p2align	6
.LBB54_89:                              ; =>This Inner Loop Header: Depth=1
	scratch_load_b128 v[15:18], v9, off offset:-8
	ds_load_b128 v[19:22], v8
	v_add_nc_u32_e32 v7, 1, v7
	v_add_nc_u32_e32 v8, 16, v8
	;; [unrolled: 1-line block ×3, first 2 shown]
	s_delay_alu instid0(VALU_DEP_3) | instskip(SKIP_4) | instid1(VALU_DEP_2)
	v_cmp_lt_u32_e32 vcc_lo, 17, v7
	s_or_b32 s3, vcc_lo, s3
	s_waitcnt vmcnt(0) lgkmcnt(0)
	v_mul_f64 v[10:11], v[21:22], v[17:18]
	v_mul_f64 v[17:18], v[19:20], v[17:18]
	v_fma_f64 v[10:11], v[19:20], v[15:16], -v[10:11]
	s_delay_alu instid0(VALU_DEP_2) | instskip(NEXT) | instid1(VALU_DEP_2)
	v_fma_f64 v[15:16], v[21:22], v[15:16], v[17:18]
	v_add_f64 v[3:4], v[3:4], v[10:11]
	s_delay_alu instid0(VALU_DEP_2)
	v_add_f64 v[1:2], v[1:2], v[15:16]
	s_and_not1_b32 exec_lo, exec_lo, s3
	s_cbranch_execnz .LBB54_89
; %bb.90:
	s_or_b32 exec_lo, exec_lo, s3
	v_mov_b32_e32 v7, 0
	ds_load_b128 v[7:10], v7 offset:304
	s_waitcnt lgkmcnt(0)
	v_mul_f64 v[11:12], v[1:2], v[9:10]
	v_mul_f64 v[15:16], v[3:4], v[9:10]
	s_delay_alu instid0(VALU_DEP_2) | instskip(NEXT) | instid1(VALU_DEP_2)
	v_fma_f64 v[9:10], v[3:4], v[7:8], -v[11:12]
	v_fma_f64 v[11:12], v[1:2], v[7:8], v[15:16]
	scratch_store_b128 off, v[9:12], off offset:304
.LBB54_91:
	s_or_b32 exec_lo, exec_lo, s2
	s_waitcnt_vscnt null, 0x0
	s_barrier
	buffer_gl0_inv
	scratch_load_b128 v[1:4], v191, off
	s_mov_b32 s2, exec_lo
	s_waitcnt vmcnt(0)
	ds_store_b128 v5, v[1:4]
	s_waitcnt lgkmcnt(0)
	s_barrier
	buffer_gl0_inv
	v_cmpx_gt_u32_e32 20, v156
	s_cbranch_execz .LBB54_95
; %bb.92:
	v_dual_mov_b32 v1, 0 :: v_dual_add_nc_u32 v8, 0x370, v13
	v_dual_mov_b32 v2, 0 :: v_dual_add_nc_u32 v7, -1, v156
	v_or_b32_e32 v9, 8, v14
	s_mov_b32 s3, 0
	s_delay_alu instid0(VALU_DEP_2)
	v_dual_mov_b32 v4, v2 :: v_dual_mov_b32 v3, v1
	.p2align	6
.LBB54_93:                              ; =>This Inner Loop Header: Depth=1
	scratch_load_b128 v[15:18], v9, off offset:-8
	ds_load_b128 v[19:22], v8
	v_add_nc_u32_e32 v7, 1, v7
	v_add_nc_u32_e32 v8, 16, v8
	;; [unrolled: 1-line block ×3, first 2 shown]
	s_delay_alu instid0(VALU_DEP_3) | instskip(SKIP_4) | instid1(VALU_DEP_2)
	v_cmp_lt_u32_e32 vcc_lo, 18, v7
	s_or_b32 s3, vcc_lo, s3
	s_waitcnt vmcnt(0) lgkmcnt(0)
	v_mul_f64 v[10:11], v[21:22], v[17:18]
	v_mul_f64 v[17:18], v[19:20], v[17:18]
	v_fma_f64 v[10:11], v[19:20], v[15:16], -v[10:11]
	s_delay_alu instid0(VALU_DEP_2) | instskip(NEXT) | instid1(VALU_DEP_2)
	v_fma_f64 v[15:16], v[21:22], v[15:16], v[17:18]
	v_add_f64 v[3:4], v[3:4], v[10:11]
	s_delay_alu instid0(VALU_DEP_2)
	v_add_f64 v[1:2], v[1:2], v[15:16]
	s_and_not1_b32 exec_lo, exec_lo, s3
	s_cbranch_execnz .LBB54_93
; %bb.94:
	s_or_b32 exec_lo, exec_lo, s3
	v_mov_b32_e32 v7, 0
	ds_load_b128 v[7:10], v7 offset:320
	s_waitcnt lgkmcnt(0)
	v_mul_f64 v[11:12], v[1:2], v[9:10]
	v_mul_f64 v[15:16], v[3:4], v[9:10]
	s_delay_alu instid0(VALU_DEP_2) | instskip(NEXT) | instid1(VALU_DEP_2)
	v_fma_f64 v[9:10], v[3:4], v[7:8], -v[11:12]
	v_fma_f64 v[11:12], v[1:2], v[7:8], v[15:16]
	scratch_store_b128 off, v[9:12], off offset:320
.LBB54_95:
	s_or_b32 exec_lo, exec_lo, s2
	s_waitcnt_vscnt null, 0x0
	s_barrier
	buffer_gl0_inv
	scratch_load_b128 v[1:4], v190, off
	s_mov_b32 s2, exec_lo
	s_waitcnt vmcnt(0)
	ds_store_b128 v5, v[1:4]
	s_waitcnt lgkmcnt(0)
	s_barrier
	buffer_gl0_inv
	v_cmpx_gt_u32_e32 21, v156
	s_cbranch_execz .LBB54_99
; %bb.96:
	v_dual_mov_b32 v1, 0 :: v_dual_add_nc_u32 v8, 0x370, v13
	v_dual_mov_b32 v2, 0 :: v_dual_add_nc_u32 v7, -1, v156
	v_or_b32_e32 v9, 8, v14
	s_mov_b32 s3, 0
	s_delay_alu instid0(VALU_DEP_2)
	v_dual_mov_b32 v4, v2 :: v_dual_mov_b32 v3, v1
	.p2align	6
.LBB54_97:                              ; =>This Inner Loop Header: Depth=1
	scratch_load_b128 v[15:18], v9, off offset:-8
	ds_load_b128 v[19:22], v8
	v_add_nc_u32_e32 v7, 1, v7
	v_add_nc_u32_e32 v8, 16, v8
	;; [unrolled: 1-line block ×3, first 2 shown]
	s_delay_alu instid0(VALU_DEP_3) | instskip(SKIP_4) | instid1(VALU_DEP_2)
	v_cmp_lt_u32_e32 vcc_lo, 19, v7
	s_or_b32 s3, vcc_lo, s3
	s_waitcnt vmcnt(0) lgkmcnt(0)
	v_mul_f64 v[10:11], v[21:22], v[17:18]
	v_mul_f64 v[17:18], v[19:20], v[17:18]
	v_fma_f64 v[10:11], v[19:20], v[15:16], -v[10:11]
	s_delay_alu instid0(VALU_DEP_2) | instskip(NEXT) | instid1(VALU_DEP_2)
	v_fma_f64 v[15:16], v[21:22], v[15:16], v[17:18]
	v_add_f64 v[3:4], v[3:4], v[10:11]
	s_delay_alu instid0(VALU_DEP_2)
	v_add_f64 v[1:2], v[1:2], v[15:16]
	s_and_not1_b32 exec_lo, exec_lo, s3
	s_cbranch_execnz .LBB54_97
; %bb.98:
	s_or_b32 exec_lo, exec_lo, s3
	v_mov_b32_e32 v7, 0
	ds_load_b128 v[7:10], v7 offset:336
	s_waitcnt lgkmcnt(0)
	v_mul_f64 v[11:12], v[1:2], v[9:10]
	v_mul_f64 v[15:16], v[3:4], v[9:10]
	s_delay_alu instid0(VALU_DEP_2) | instskip(NEXT) | instid1(VALU_DEP_2)
	v_fma_f64 v[9:10], v[3:4], v[7:8], -v[11:12]
	v_fma_f64 v[11:12], v[1:2], v[7:8], v[15:16]
	scratch_store_b128 off, v[9:12], off offset:336
.LBB54_99:
	s_or_b32 exec_lo, exec_lo, s2
	s_waitcnt_vscnt null, 0x0
	s_barrier
	buffer_gl0_inv
	scratch_load_b128 v[1:4], v189, off
	s_mov_b32 s2, exec_lo
	s_waitcnt vmcnt(0)
	ds_store_b128 v5, v[1:4]
	s_waitcnt lgkmcnt(0)
	s_barrier
	buffer_gl0_inv
	v_cmpx_gt_u32_e32 22, v156
	s_cbranch_execz .LBB54_103
; %bb.100:
	v_dual_mov_b32 v1, 0 :: v_dual_add_nc_u32 v8, 0x370, v13
	v_dual_mov_b32 v2, 0 :: v_dual_add_nc_u32 v7, -1, v156
	v_or_b32_e32 v9, 8, v14
	s_mov_b32 s3, 0
	s_delay_alu instid0(VALU_DEP_2)
	v_dual_mov_b32 v4, v2 :: v_dual_mov_b32 v3, v1
	.p2align	6
.LBB54_101:                             ; =>This Inner Loop Header: Depth=1
	scratch_load_b128 v[15:18], v9, off offset:-8
	ds_load_b128 v[19:22], v8
	v_add_nc_u32_e32 v7, 1, v7
	v_add_nc_u32_e32 v8, 16, v8
	;; [unrolled: 1-line block ×3, first 2 shown]
	s_delay_alu instid0(VALU_DEP_3) | instskip(SKIP_4) | instid1(VALU_DEP_2)
	v_cmp_lt_u32_e32 vcc_lo, 20, v7
	s_or_b32 s3, vcc_lo, s3
	s_waitcnt vmcnt(0) lgkmcnt(0)
	v_mul_f64 v[10:11], v[21:22], v[17:18]
	v_mul_f64 v[17:18], v[19:20], v[17:18]
	v_fma_f64 v[10:11], v[19:20], v[15:16], -v[10:11]
	s_delay_alu instid0(VALU_DEP_2) | instskip(NEXT) | instid1(VALU_DEP_2)
	v_fma_f64 v[15:16], v[21:22], v[15:16], v[17:18]
	v_add_f64 v[3:4], v[3:4], v[10:11]
	s_delay_alu instid0(VALU_DEP_2)
	v_add_f64 v[1:2], v[1:2], v[15:16]
	s_and_not1_b32 exec_lo, exec_lo, s3
	s_cbranch_execnz .LBB54_101
; %bb.102:
	s_or_b32 exec_lo, exec_lo, s3
	v_mov_b32_e32 v7, 0
	ds_load_b128 v[7:10], v7 offset:352
	s_waitcnt lgkmcnt(0)
	v_mul_f64 v[11:12], v[1:2], v[9:10]
	v_mul_f64 v[15:16], v[3:4], v[9:10]
	s_delay_alu instid0(VALU_DEP_2) | instskip(NEXT) | instid1(VALU_DEP_2)
	v_fma_f64 v[9:10], v[3:4], v[7:8], -v[11:12]
	v_fma_f64 v[11:12], v[1:2], v[7:8], v[15:16]
	scratch_store_b128 off, v[9:12], off offset:352
.LBB54_103:
	s_or_b32 exec_lo, exec_lo, s2
	s_waitcnt_vscnt null, 0x0
	s_barrier
	buffer_gl0_inv
	scratch_load_b128 v[1:4], v188, off
	s_mov_b32 s2, exec_lo
	s_waitcnt vmcnt(0)
	ds_store_b128 v5, v[1:4]
	s_waitcnt lgkmcnt(0)
	s_barrier
	buffer_gl0_inv
	v_cmpx_gt_u32_e32 23, v156
	s_cbranch_execz .LBB54_107
; %bb.104:
	v_dual_mov_b32 v1, 0 :: v_dual_add_nc_u32 v8, 0x370, v13
	v_dual_mov_b32 v2, 0 :: v_dual_add_nc_u32 v7, -1, v156
	v_or_b32_e32 v9, 8, v14
	s_mov_b32 s3, 0
	s_delay_alu instid0(VALU_DEP_2)
	v_dual_mov_b32 v4, v2 :: v_dual_mov_b32 v3, v1
	.p2align	6
.LBB54_105:                             ; =>This Inner Loop Header: Depth=1
	scratch_load_b128 v[15:18], v9, off offset:-8
	ds_load_b128 v[19:22], v8
	v_add_nc_u32_e32 v7, 1, v7
	v_add_nc_u32_e32 v8, 16, v8
	;; [unrolled: 1-line block ×3, first 2 shown]
	s_delay_alu instid0(VALU_DEP_3) | instskip(SKIP_4) | instid1(VALU_DEP_2)
	v_cmp_lt_u32_e32 vcc_lo, 21, v7
	s_or_b32 s3, vcc_lo, s3
	s_waitcnt vmcnt(0) lgkmcnt(0)
	v_mul_f64 v[10:11], v[21:22], v[17:18]
	v_mul_f64 v[17:18], v[19:20], v[17:18]
	v_fma_f64 v[10:11], v[19:20], v[15:16], -v[10:11]
	s_delay_alu instid0(VALU_DEP_2) | instskip(NEXT) | instid1(VALU_DEP_2)
	v_fma_f64 v[15:16], v[21:22], v[15:16], v[17:18]
	v_add_f64 v[3:4], v[3:4], v[10:11]
	s_delay_alu instid0(VALU_DEP_2)
	v_add_f64 v[1:2], v[1:2], v[15:16]
	s_and_not1_b32 exec_lo, exec_lo, s3
	s_cbranch_execnz .LBB54_105
; %bb.106:
	s_or_b32 exec_lo, exec_lo, s3
	v_mov_b32_e32 v7, 0
	ds_load_b128 v[7:10], v7 offset:368
	s_waitcnt lgkmcnt(0)
	v_mul_f64 v[11:12], v[1:2], v[9:10]
	v_mul_f64 v[15:16], v[3:4], v[9:10]
	s_delay_alu instid0(VALU_DEP_2) | instskip(NEXT) | instid1(VALU_DEP_2)
	v_fma_f64 v[9:10], v[3:4], v[7:8], -v[11:12]
	v_fma_f64 v[11:12], v[1:2], v[7:8], v[15:16]
	scratch_store_b128 off, v[9:12], off offset:368
.LBB54_107:
	s_or_b32 exec_lo, exec_lo, s2
	s_waitcnt_vscnt null, 0x0
	s_barrier
	buffer_gl0_inv
	scratch_load_b128 v[1:4], v187, off
	s_mov_b32 s2, exec_lo
	s_waitcnt vmcnt(0)
	ds_store_b128 v5, v[1:4]
	s_waitcnt lgkmcnt(0)
	s_barrier
	buffer_gl0_inv
	v_cmpx_gt_u32_e32 24, v156
	s_cbranch_execz .LBB54_111
; %bb.108:
	v_dual_mov_b32 v1, 0 :: v_dual_add_nc_u32 v8, 0x370, v13
	v_dual_mov_b32 v2, 0 :: v_dual_add_nc_u32 v7, -1, v156
	v_or_b32_e32 v9, 8, v14
	s_mov_b32 s3, 0
	s_delay_alu instid0(VALU_DEP_2)
	v_dual_mov_b32 v4, v2 :: v_dual_mov_b32 v3, v1
	.p2align	6
.LBB54_109:                             ; =>This Inner Loop Header: Depth=1
	scratch_load_b128 v[15:18], v9, off offset:-8
	ds_load_b128 v[19:22], v8
	v_add_nc_u32_e32 v7, 1, v7
	v_add_nc_u32_e32 v8, 16, v8
	;; [unrolled: 1-line block ×3, first 2 shown]
	s_delay_alu instid0(VALU_DEP_3) | instskip(SKIP_4) | instid1(VALU_DEP_2)
	v_cmp_lt_u32_e32 vcc_lo, 22, v7
	s_or_b32 s3, vcc_lo, s3
	s_waitcnt vmcnt(0) lgkmcnt(0)
	v_mul_f64 v[10:11], v[21:22], v[17:18]
	v_mul_f64 v[17:18], v[19:20], v[17:18]
	v_fma_f64 v[10:11], v[19:20], v[15:16], -v[10:11]
	s_delay_alu instid0(VALU_DEP_2) | instskip(NEXT) | instid1(VALU_DEP_2)
	v_fma_f64 v[15:16], v[21:22], v[15:16], v[17:18]
	v_add_f64 v[3:4], v[3:4], v[10:11]
	s_delay_alu instid0(VALU_DEP_2)
	v_add_f64 v[1:2], v[1:2], v[15:16]
	s_and_not1_b32 exec_lo, exec_lo, s3
	s_cbranch_execnz .LBB54_109
; %bb.110:
	s_or_b32 exec_lo, exec_lo, s3
	v_mov_b32_e32 v7, 0
	ds_load_b128 v[7:10], v7 offset:384
	s_waitcnt lgkmcnt(0)
	v_mul_f64 v[11:12], v[1:2], v[9:10]
	v_mul_f64 v[15:16], v[3:4], v[9:10]
	s_delay_alu instid0(VALU_DEP_2) | instskip(NEXT) | instid1(VALU_DEP_2)
	v_fma_f64 v[9:10], v[3:4], v[7:8], -v[11:12]
	v_fma_f64 v[11:12], v[1:2], v[7:8], v[15:16]
	scratch_store_b128 off, v[9:12], off offset:384
.LBB54_111:
	s_or_b32 exec_lo, exec_lo, s2
	s_waitcnt_vscnt null, 0x0
	s_barrier
	buffer_gl0_inv
	scratch_load_b128 v[1:4], v186, off
	s_mov_b32 s2, exec_lo
	s_waitcnt vmcnt(0)
	ds_store_b128 v5, v[1:4]
	s_waitcnt lgkmcnt(0)
	s_barrier
	buffer_gl0_inv
	v_cmpx_gt_u32_e32 25, v156
	s_cbranch_execz .LBB54_115
; %bb.112:
	v_dual_mov_b32 v1, 0 :: v_dual_add_nc_u32 v8, 0x370, v13
	v_dual_mov_b32 v2, 0 :: v_dual_add_nc_u32 v7, -1, v156
	v_or_b32_e32 v9, 8, v14
	s_mov_b32 s3, 0
	s_delay_alu instid0(VALU_DEP_2)
	v_dual_mov_b32 v4, v2 :: v_dual_mov_b32 v3, v1
	.p2align	6
.LBB54_113:                             ; =>This Inner Loop Header: Depth=1
	scratch_load_b128 v[15:18], v9, off offset:-8
	ds_load_b128 v[19:22], v8
	v_add_nc_u32_e32 v7, 1, v7
	v_add_nc_u32_e32 v8, 16, v8
	;; [unrolled: 1-line block ×3, first 2 shown]
	s_delay_alu instid0(VALU_DEP_3) | instskip(SKIP_4) | instid1(VALU_DEP_2)
	v_cmp_lt_u32_e32 vcc_lo, 23, v7
	s_or_b32 s3, vcc_lo, s3
	s_waitcnt vmcnt(0) lgkmcnt(0)
	v_mul_f64 v[10:11], v[21:22], v[17:18]
	v_mul_f64 v[17:18], v[19:20], v[17:18]
	v_fma_f64 v[10:11], v[19:20], v[15:16], -v[10:11]
	s_delay_alu instid0(VALU_DEP_2) | instskip(NEXT) | instid1(VALU_DEP_2)
	v_fma_f64 v[15:16], v[21:22], v[15:16], v[17:18]
	v_add_f64 v[3:4], v[3:4], v[10:11]
	s_delay_alu instid0(VALU_DEP_2)
	v_add_f64 v[1:2], v[1:2], v[15:16]
	s_and_not1_b32 exec_lo, exec_lo, s3
	s_cbranch_execnz .LBB54_113
; %bb.114:
	s_or_b32 exec_lo, exec_lo, s3
	v_mov_b32_e32 v7, 0
	ds_load_b128 v[7:10], v7 offset:400
	s_waitcnt lgkmcnt(0)
	v_mul_f64 v[11:12], v[1:2], v[9:10]
	v_mul_f64 v[15:16], v[3:4], v[9:10]
	s_delay_alu instid0(VALU_DEP_2) | instskip(NEXT) | instid1(VALU_DEP_2)
	v_fma_f64 v[9:10], v[3:4], v[7:8], -v[11:12]
	v_fma_f64 v[11:12], v[1:2], v[7:8], v[15:16]
	scratch_store_b128 off, v[9:12], off offset:400
.LBB54_115:
	s_or_b32 exec_lo, exec_lo, s2
	s_waitcnt_vscnt null, 0x0
	s_barrier
	buffer_gl0_inv
	scratch_load_b128 v[1:4], v185, off
	s_mov_b32 s2, exec_lo
	s_waitcnt vmcnt(0)
	ds_store_b128 v5, v[1:4]
	s_waitcnt lgkmcnt(0)
	s_barrier
	buffer_gl0_inv
	v_cmpx_gt_u32_e32 26, v156
	s_cbranch_execz .LBB54_119
; %bb.116:
	v_dual_mov_b32 v1, 0 :: v_dual_add_nc_u32 v8, 0x370, v13
	v_dual_mov_b32 v2, 0 :: v_dual_add_nc_u32 v7, -1, v156
	v_or_b32_e32 v9, 8, v14
	s_mov_b32 s3, 0
	s_delay_alu instid0(VALU_DEP_2)
	v_dual_mov_b32 v4, v2 :: v_dual_mov_b32 v3, v1
	.p2align	6
.LBB54_117:                             ; =>This Inner Loop Header: Depth=1
	scratch_load_b128 v[15:18], v9, off offset:-8
	ds_load_b128 v[19:22], v8
	v_add_nc_u32_e32 v7, 1, v7
	v_add_nc_u32_e32 v8, 16, v8
	;; [unrolled: 1-line block ×3, first 2 shown]
	s_delay_alu instid0(VALU_DEP_3) | instskip(SKIP_4) | instid1(VALU_DEP_2)
	v_cmp_lt_u32_e32 vcc_lo, 24, v7
	s_or_b32 s3, vcc_lo, s3
	s_waitcnt vmcnt(0) lgkmcnt(0)
	v_mul_f64 v[10:11], v[21:22], v[17:18]
	v_mul_f64 v[17:18], v[19:20], v[17:18]
	v_fma_f64 v[10:11], v[19:20], v[15:16], -v[10:11]
	s_delay_alu instid0(VALU_DEP_2) | instskip(NEXT) | instid1(VALU_DEP_2)
	v_fma_f64 v[15:16], v[21:22], v[15:16], v[17:18]
	v_add_f64 v[3:4], v[3:4], v[10:11]
	s_delay_alu instid0(VALU_DEP_2)
	v_add_f64 v[1:2], v[1:2], v[15:16]
	s_and_not1_b32 exec_lo, exec_lo, s3
	s_cbranch_execnz .LBB54_117
; %bb.118:
	s_or_b32 exec_lo, exec_lo, s3
	v_mov_b32_e32 v7, 0
	ds_load_b128 v[7:10], v7 offset:416
	s_waitcnt lgkmcnt(0)
	v_mul_f64 v[11:12], v[1:2], v[9:10]
	v_mul_f64 v[15:16], v[3:4], v[9:10]
	s_delay_alu instid0(VALU_DEP_2) | instskip(NEXT) | instid1(VALU_DEP_2)
	v_fma_f64 v[9:10], v[3:4], v[7:8], -v[11:12]
	v_fma_f64 v[11:12], v[1:2], v[7:8], v[15:16]
	scratch_store_b128 off, v[9:12], off offset:416
.LBB54_119:
	s_or_b32 exec_lo, exec_lo, s2
	s_waitcnt_vscnt null, 0x0
	s_barrier
	buffer_gl0_inv
	scratch_load_b128 v[1:4], v228, off
	s_mov_b32 s2, exec_lo
	s_waitcnt vmcnt(0)
	ds_store_b128 v5, v[1:4]
	s_waitcnt lgkmcnt(0)
	s_barrier
	buffer_gl0_inv
	v_cmpx_gt_u32_e32 27, v156
	s_cbranch_execz .LBB54_123
; %bb.120:
	v_dual_mov_b32 v1, 0 :: v_dual_add_nc_u32 v8, 0x370, v13
	v_dual_mov_b32 v2, 0 :: v_dual_add_nc_u32 v7, -1, v156
	v_or_b32_e32 v9, 8, v14
	s_mov_b32 s3, 0
	s_delay_alu instid0(VALU_DEP_2)
	v_dual_mov_b32 v4, v2 :: v_dual_mov_b32 v3, v1
	.p2align	6
.LBB54_121:                             ; =>This Inner Loop Header: Depth=1
	scratch_load_b128 v[15:18], v9, off offset:-8
	ds_load_b128 v[19:22], v8
	v_add_nc_u32_e32 v7, 1, v7
	v_add_nc_u32_e32 v8, 16, v8
	;; [unrolled: 1-line block ×3, first 2 shown]
	s_delay_alu instid0(VALU_DEP_3) | instskip(SKIP_4) | instid1(VALU_DEP_2)
	v_cmp_lt_u32_e32 vcc_lo, 25, v7
	s_or_b32 s3, vcc_lo, s3
	s_waitcnt vmcnt(0) lgkmcnt(0)
	v_mul_f64 v[10:11], v[21:22], v[17:18]
	v_mul_f64 v[17:18], v[19:20], v[17:18]
	v_fma_f64 v[10:11], v[19:20], v[15:16], -v[10:11]
	s_delay_alu instid0(VALU_DEP_2) | instskip(NEXT) | instid1(VALU_DEP_2)
	v_fma_f64 v[15:16], v[21:22], v[15:16], v[17:18]
	v_add_f64 v[3:4], v[3:4], v[10:11]
	s_delay_alu instid0(VALU_DEP_2)
	v_add_f64 v[1:2], v[1:2], v[15:16]
	s_and_not1_b32 exec_lo, exec_lo, s3
	s_cbranch_execnz .LBB54_121
; %bb.122:
	s_or_b32 exec_lo, exec_lo, s3
	v_mov_b32_e32 v7, 0
	ds_load_b128 v[7:10], v7 offset:432
	s_waitcnt lgkmcnt(0)
	v_mul_f64 v[11:12], v[1:2], v[9:10]
	v_mul_f64 v[15:16], v[3:4], v[9:10]
	s_delay_alu instid0(VALU_DEP_2) | instskip(NEXT) | instid1(VALU_DEP_2)
	v_fma_f64 v[9:10], v[3:4], v[7:8], -v[11:12]
	v_fma_f64 v[11:12], v[1:2], v[7:8], v[15:16]
	scratch_store_b128 off, v[9:12], off offset:432
.LBB54_123:
	s_or_b32 exec_lo, exec_lo, s2
	s_waitcnt_vscnt null, 0x0
	s_barrier
	buffer_gl0_inv
	scratch_load_b128 v[1:4], v227, off
	s_mov_b32 s2, exec_lo
	s_waitcnt vmcnt(0)
	ds_store_b128 v5, v[1:4]
	s_waitcnt lgkmcnt(0)
	s_barrier
	buffer_gl0_inv
	v_cmpx_gt_u32_e32 28, v156
	s_cbranch_execz .LBB54_127
; %bb.124:
	v_dual_mov_b32 v1, 0 :: v_dual_add_nc_u32 v8, 0x370, v13
	v_dual_mov_b32 v2, 0 :: v_dual_add_nc_u32 v7, -1, v156
	v_or_b32_e32 v9, 8, v14
	s_mov_b32 s3, 0
	s_delay_alu instid0(VALU_DEP_2)
	v_dual_mov_b32 v4, v2 :: v_dual_mov_b32 v3, v1
	.p2align	6
.LBB54_125:                             ; =>This Inner Loop Header: Depth=1
	scratch_load_b128 v[15:18], v9, off offset:-8
	ds_load_b128 v[19:22], v8
	v_add_nc_u32_e32 v7, 1, v7
	v_add_nc_u32_e32 v8, 16, v8
	;; [unrolled: 1-line block ×3, first 2 shown]
	s_delay_alu instid0(VALU_DEP_3) | instskip(SKIP_4) | instid1(VALU_DEP_2)
	v_cmp_lt_u32_e32 vcc_lo, 26, v7
	s_or_b32 s3, vcc_lo, s3
	s_waitcnt vmcnt(0) lgkmcnt(0)
	v_mul_f64 v[10:11], v[21:22], v[17:18]
	v_mul_f64 v[17:18], v[19:20], v[17:18]
	v_fma_f64 v[10:11], v[19:20], v[15:16], -v[10:11]
	s_delay_alu instid0(VALU_DEP_2) | instskip(NEXT) | instid1(VALU_DEP_2)
	v_fma_f64 v[15:16], v[21:22], v[15:16], v[17:18]
	v_add_f64 v[3:4], v[3:4], v[10:11]
	s_delay_alu instid0(VALU_DEP_2)
	v_add_f64 v[1:2], v[1:2], v[15:16]
	s_and_not1_b32 exec_lo, exec_lo, s3
	s_cbranch_execnz .LBB54_125
; %bb.126:
	s_or_b32 exec_lo, exec_lo, s3
	v_mov_b32_e32 v7, 0
	ds_load_b128 v[7:10], v7 offset:448
	s_waitcnt lgkmcnt(0)
	v_mul_f64 v[11:12], v[1:2], v[9:10]
	v_mul_f64 v[15:16], v[3:4], v[9:10]
	s_delay_alu instid0(VALU_DEP_2) | instskip(NEXT) | instid1(VALU_DEP_2)
	v_fma_f64 v[9:10], v[3:4], v[7:8], -v[11:12]
	v_fma_f64 v[11:12], v[1:2], v[7:8], v[15:16]
	scratch_store_b128 off, v[9:12], off offset:448
.LBB54_127:
	s_or_b32 exec_lo, exec_lo, s2
	s_waitcnt_vscnt null, 0x0
	s_barrier
	buffer_gl0_inv
	scratch_load_b128 v[1:4], v226, off
	s_mov_b32 s2, exec_lo
	s_waitcnt vmcnt(0)
	ds_store_b128 v5, v[1:4]
	s_waitcnt lgkmcnt(0)
	s_barrier
	buffer_gl0_inv
	v_cmpx_gt_u32_e32 29, v156
	s_cbranch_execz .LBB54_131
; %bb.128:
	v_dual_mov_b32 v1, 0 :: v_dual_add_nc_u32 v8, 0x370, v13
	v_dual_mov_b32 v2, 0 :: v_dual_add_nc_u32 v7, -1, v156
	v_or_b32_e32 v9, 8, v14
	s_mov_b32 s3, 0
	s_delay_alu instid0(VALU_DEP_2)
	v_dual_mov_b32 v4, v2 :: v_dual_mov_b32 v3, v1
	.p2align	6
.LBB54_129:                             ; =>This Inner Loop Header: Depth=1
	scratch_load_b128 v[15:18], v9, off offset:-8
	ds_load_b128 v[19:22], v8
	v_add_nc_u32_e32 v7, 1, v7
	v_add_nc_u32_e32 v8, 16, v8
	;; [unrolled: 1-line block ×3, first 2 shown]
	s_delay_alu instid0(VALU_DEP_3) | instskip(SKIP_4) | instid1(VALU_DEP_2)
	v_cmp_lt_u32_e32 vcc_lo, 27, v7
	s_or_b32 s3, vcc_lo, s3
	s_waitcnt vmcnt(0) lgkmcnt(0)
	v_mul_f64 v[10:11], v[21:22], v[17:18]
	v_mul_f64 v[17:18], v[19:20], v[17:18]
	v_fma_f64 v[10:11], v[19:20], v[15:16], -v[10:11]
	s_delay_alu instid0(VALU_DEP_2) | instskip(NEXT) | instid1(VALU_DEP_2)
	v_fma_f64 v[15:16], v[21:22], v[15:16], v[17:18]
	v_add_f64 v[3:4], v[3:4], v[10:11]
	s_delay_alu instid0(VALU_DEP_2)
	v_add_f64 v[1:2], v[1:2], v[15:16]
	s_and_not1_b32 exec_lo, exec_lo, s3
	s_cbranch_execnz .LBB54_129
; %bb.130:
	s_or_b32 exec_lo, exec_lo, s3
	v_mov_b32_e32 v7, 0
	ds_load_b128 v[7:10], v7 offset:464
	s_waitcnt lgkmcnt(0)
	v_mul_f64 v[11:12], v[1:2], v[9:10]
	v_mul_f64 v[15:16], v[3:4], v[9:10]
	s_delay_alu instid0(VALU_DEP_2) | instskip(NEXT) | instid1(VALU_DEP_2)
	v_fma_f64 v[9:10], v[3:4], v[7:8], -v[11:12]
	v_fma_f64 v[11:12], v[1:2], v[7:8], v[15:16]
	scratch_store_b128 off, v[9:12], off offset:464
.LBB54_131:
	s_or_b32 exec_lo, exec_lo, s2
	s_waitcnt_vscnt null, 0x0
	s_barrier
	buffer_gl0_inv
	scratch_load_b128 v[1:4], v225, off
	s_mov_b32 s2, exec_lo
	s_waitcnt vmcnt(0)
	ds_store_b128 v5, v[1:4]
	s_waitcnt lgkmcnt(0)
	s_barrier
	buffer_gl0_inv
	v_cmpx_gt_u32_e32 30, v156
	s_cbranch_execz .LBB54_135
; %bb.132:
	v_dual_mov_b32 v1, 0 :: v_dual_add_nc_u32 v8, 0x370, v13
	v_dual_mov_b32 v2, 0 :: v_dual_add_nc_u32 v7, -1, v156
	v_or_b32_e32 v9, 8, v14
	s_mov_b32 s3, 0
	s_delay_alu instid0(VALU_DEP_2)
	v_dual_mov_b32 v4, v2 :: v_dual_mov_b32 v3, v1
	.p2align	6
.LBB54_133:                             ; =>This Inner Loop Header: Depth=1
	scratch_load_b128 v[15:18], v9, off offset:-8
	ds_load_b128 v[19:22], v8
	v_add_nc_u32_e32 v7, 1, v7
	v_add_nc_u32_e32 v8, 16, v8
	;; [unrolled: 1-line block ×3, first 2 shown]
	s_delay_alu instid0(VALU_DEP_3) | instskip(SKIP_4) | instid1(VALU_DEP_2)
	v_cmp_lt_u32_e32 vcc_lo, 28, v7
	s_or_b32 s3, vcc_lo, s3
	s_waitcnt vmcnt(0) lgkmcnt(0)
	v_mul_f64 v[10:11], v[21:22], v[17:18]
	v_mul_f64 v[17:18], v[19:20], v[17:18]
	v_fma_f64 v[10:11], v[19:20], v[15:16], -v[10:11]
	s_delay_alu instid0(VALU_DEP_2) | instskip(NEXT) | instid1(VALU_DEP_2)
	v_fma_f64 v[15:16], v[21:22], v[15:16], v[17:18]
	v_add_f64 v[3:4], v[3:4], v[10:11]
	s_delay_alu instid0(VALU_DEP_2)
	v_add_f64 v[1:2], v[1:2], v[15:16]
	s_and_not1_b32 exec_lo, exec_lo, s3
	s_cbranch_execnz .LBB54_133
; %bb.134:
	s_or_b32 exec_lo, exec_lo, s3
	v_mov_b32_e32 v7, 0
	ds_load_b128 v[7:10], v7 offset:480
	s_waitcnt lgkmcnt(0)
	v_mul_f64 v[11:12], v[1:2], v[9:10]
	v_mul_f64 v[15:16], v[3:4], v[9:10]
	s_delay_alu instid0(VALU_DEP_2) | instskip(NEXT) | instid1(VALU_DEP_2)
	v_fma_f64 v[9:10], v[3:4], v[7:8], -v[11:12]
	v_fma_f64 v[11:12], v[1:2], v[7:8], v[15:16]
	scratch_store_b128 off, v[9:12], off offset:480
.LBB54_135:
	s_or_b32 exec_lo, exec_lo, s2
	s_waitcnt_vscnt null, 0x0
	s_barrier
	buffer_gl0_inv
	scratch_load_b128 v[1:4], v224, off
	s_mov_b32 s2, exec_lo
	s_waitcnt vmcnt(0)
	ds_store_b128 v5, v[1:4]
	s_waitcnt lgkmcnt(0)
	s_barrier
	buffer_gl0_inv
	v_cmpx_gt_u32_e32 31, v156
	s_cbranch_execz .LBB54_139
; %bb.136:
	v_dual_mov_b32 v1, 0 :: v_dual_add_nc_u32 v8, 0x370, v13
	v_dual_mov_b32 v2, 0 :: v_dual_add_nc_u32 v7, -1, v156
	v_or_b32_e32 v9, 8, v14
	s_mov_b32 s3, 0
	s_delay_alu instid0(VALU_DEP_2)
	v_dual_mov_b32 v4, v2 :: v_dual_mov_b32 v3, v1
	.p2align	6
.LBB54_137:                             ; =>This Inner Loop Header: Depth=1
	scratch_load_b128 v[15:18], v9, off offset:-8
	ds_load_b128 v[19:22], v8
	v_add_nc_u32_e32 v7, 1, v7
	v_add_nc_u32_e32 v8, 16, v8
	;; [unrolled: 1-line block ×3, first 2 shown]
	s_delay_alu instid0(VALU_DEP_3) | instskip(SKIP_4) | instid1(VALU_DEP_2)
	v_cmp_lt_u32_e32 vcc_lo, 29, v7
	s_or_b32 s3, vcc_lo, s3
	s_waitcnt vmcnt(0) lgkmcnt(0)
	v_mul_f64 v[10:11], v[21:22], v[17:18]
	v_mul_f64 v[17:18], v[19:20], v[17:18]
	v_fma_f64 v[10:11], v[19:20], v[15:16], -v[10:11]
	s_delay_alu instid0(VALU_DEP_2) | instskip(NEXT) | instid1(VALU_DEP_2)
	v_fma_f64 v[15:16], v[21:22], v[15:16], v[17:18]
	v_add_f64 v[3:4], v[3:4], v[10:11]
	s_delay_alu instid0(VALU_DEP_2)
	v_add_f64 v[1:2], v[1:2], v[15:16]
	s_and_not1_b32 exec_lo, exec_lo, s3
	s_cbranch_execnz .LBB54_137
; %bb.138:
	s_or_b32 exec_lo, exec_lo, s3
	v_mov_b32_e32 v7, 0
	ds_load_b128 v[7:10], v7 offset:496
	s_waitcnt lgkmcnt(0)
	v_mul_f64 v[11:12], v[1:2], v[9:10]
	v_mul_f64 v[15:16], v[3:4], v[9:10]
	s_delay_alu instid0(VALU_DEP_2) | instskip(NEXT) | instid1(VALU_DEP_2)
	v_fma_f64 v[9:10], v[3:4], v[7:8], -v[11:12]
	v_fma_f64 v[11:12], v[1:2], v[7:8], v[15:16]
	scratch_store_b128 off, v[9:12], off offset:496
.LBB54_139:
	s_or_b32 exec_lo, exec_lo, s2
	s_waitcnt_vscnt null, 0x0
	s_barrier
	buffer_gl0_inv
	scratch_load_b128 v[1:4], v223, off
	s_mov_b32 s2, exec_lo
	s_waitcnt vmcnt(0)
	ds_store_b128 v5, v[1:4]
	s_waitcnt lgkmcnt(0)
	s_barrier
	buffer_gl0_inv
	v_cmpx_gt_u32_e32 32, v156
	s_cbranch_execz .LBB54_143
; %bb.140:
	v_dual_mov_b32 v1, 0 :: v_dual_add_nc_u32 v8, 0x370, v13
	v_dual_mov_b32 v2, 0 :: v_dual_add_nc_u32 v7, -1, v156
	v_or_b32_e32 v9, 8, v14
	s_mov_b32 s3, 0
	s_delay_alu instid0(VALU_DEP_2)
	v_dual_mov_b32 v4, v2 :: v_dual_mov_b32 v3, v1
	.p2align	6
.LBB54_141:                             ; =>This Inner Loop Header: Depth=1
	scratch_load_b128 v[15:18], v9, off offset:-8
	ds_load_b128 v[19:22], v8
	v_add_nc_u32_e32 v7, 1, v7
	v_add_nc_u32_e32 v8, 16, v8
	;; [unrolled: 1-line block ×3, first 2 shown]
	s_delay_alu instid0(VALU_DEP_3) | instskip(SKIP_4) | instid1(VALU_DEP_2)
	v_cmp_lt_u32_e32 vcc_lo, 30, v7
	s_or_b32 s3, vcc_lo, s3
	s_waitcnt vmcnt(0) lgkmcnt(0)
	v_mul_f64 v[10:11], v[21:22], v[17:18]
	v_mul_f64 v[17:18], v[19:20], v[17:18]
	v_fma_f64 v[10:11], v[19:20], v[15:16], -v[10:11]
	s_delay_alu instid0(VALU_DEP_2) | instskip(NEXT) | instid1(VALU_DEP_2)
	v_fma_f64 v[15:16], v[21:22], v[15:16], v[17:18]
	v_add_f64 v[3:4], v[3:4], v[10:11]
	s_delay_alu instid0(VALU_DEP_2)
	v_add_f64 v[1:2], v[1:2], v[15:16]
	s_and_not1_b32 exec_lo, exec_lo, s3
	s_cbranch_execnz .LBB54_141
; %bb.142:
	s_or_b32 exec_lo, exec_lo, s3
	v_mov_b32_e32 v7, 0
	ds_load_b128 v[7:10], v7 offset:512
	s_waitcnt lgkmcnt(0)
	v_mul_f64 v[11:12], v[1:2], v[9:10]
	v_mul_f64 v[15:16], v[3:4], v[9:10]
	s_delay_alu instid0(VALU_DEP_2) | instskip(NEXT) | instid1(VALU_DEP_2)
	v_fma_f64 v[9:10], v[3:4], v[7:8], -v[11:12]
	v_fma_f64 v[11:12], v[1:2], v[7:8], v[15:16]
	scratch_store_b128 off, v[9:12], off offset:512
.LBB54_143:
	s_or_b32 exec_lo, exec_lo, s2
	s_waitcnt_vscnt null, 0x0
	s_barrier
	buffer_gl0_inv
	scratch_load_b128 v[1:4], v222, off
	s_mov_b32 s2, exec_lo
	s_waitcnt vmcnt(0)
	ds_store_b128 v5, v[1:4]
	s_waitcnt lgkmcnt(0)
	s_barrier
	buffer_gl0_inv
	v_cmpx_gt_u32_e32 33, v156
	s_cbranch_execz .LBB54_147
; %bb.144:
	v_dual_mov_b32 v1, 0 :: v_dual_add_nc_u32 v8, 0x370, v13
	v_dual_mov_b32 v2, 0 :: v_dual_add_nc_u32 v7, -1, v156
	v_or_b32_e32 v9, 8, v14
	s_mov_b32 s3, 0
	s_delay_alu instid0(VALU_DEP_2)
	v_dual_mov_b32 v4, v2 :: v_dual_mov_b32 v3, v1
	.p2align	6
.LBB54_145:                             ; =>This Inner Loop Header: Depth=1
	scratch_load_b128 v[15:18], v9, off offset:-8
	ds_load_b128 v[19:22], v8
	v_add_nc_u32_e32 v7, 1, v7
	v_add_nc_u32_e32 v8, 16, v8
	;; [unrolled: 1-line block ×3, first 2 shown]
	s_delay_alu instid0(VALU_DEP_3) | instskip(SKIP_4) | instid1(VALU_DEP_2)
	v_cmp_lt_u32_e32 vcc_lo, 31, v7
	s_or_b32 s3, vcc_lo, s3
	s_waitcnt vmcnt(0) lgkmcnt(0)
	v_mul_f64 v[10:11], v[21:22], v[17:18]
	v_mul_f64 v[17:18], v[19:20], v[17:18]
	v_fma_f64 v[10:11], v[19:20], v[15:16], -v[10:11]
	s_delay_alu instid0(VALU_DEP_2) | instskip(NEXT) | instid1(VALU_DEP_2)
	v_fma_f64 v[15:16], v[21:22], v[15:16], v[17:18]
	v_add_f64 v[3:4], v[3:4], v[10:11]
	s_delay_alu instid0(VALU_DEP_2)
	v_add_f64 v[1:2], v[1:2], v[15:16]
	s_and_not1_b32 exec_lo, exec_lo, s3
	s_cbranch_execnz .LBB54_145
; %bb.146:
	s_or_b32 exec_lo, exec_lo, s3
	v_mov_b32_e32 v7, 0
	ds_load_b128 v[7:10], v7 offset:528
	s_waitcnt lgkmcnt(0)
	v_mul_f64 v[11:12], v[1:2], v[9:10]
	v_mul_f64 v[15:16], v[3:4], v[9:10]
	s_delay_alu instid0(VALU_DEP_2) | instskip(NEXT) | instid1(VALU_DEP_2)
	v_fma_f64 v[9:10], v[3:4], v[7:8], -v[11:12]
	v_fma_f64 v[11:12], v[1:2], v[7:8], v[15:16]
	scratch_store_b128 off, v[9:12], off offset:528
.LBB54_147:
	s_or_b32 exec_lo, exec_lo, s2
	s_waitcnt_vscnt null, 0x0
	s_barrier
	buffer_gl0_inv
	scratch_load_b128 v[1:4], v221, off
	s_mov_b32 s2, exec_lo
	s_waitcnt vmcnt(0)
	ds_store_b128 v5, v[1:4]
	s_waitcnt lgkmcnt(0)
	s_barrier
	buffer_gl0_inv
	v_cmpx_gt_u32_e32 34, v156
	s_cbranch_execz .LBB54_151
; %bb.148:
	v_dual_mov_b32 v1, 0 :: v_dual_add_nc_u32 v8, 0x370, v13
	v_dual_mov_b32 v2, 0 :: v_dual_add_nc_u32 v7, -1, v156
	v_or_b32_e32 v9, 8, v14
	s_mov_b32 s3, 0
	s_delay_alu instid0(VALU_DEP_2)
	v_dual_mov_b32 v4, v2 :: v_dual_mov_b32 v3, v1
	.p2align	6
.LBB54_149:                             ; =>This Inner Loop Header: Depth=1
	scratch_load_b128 v[15:18], v9, off offset:-8
	ds_load_b128 v[19:22], v8
	v_add_nc_u32_e32 v7, 1, v7
	v_add_nc_u32_e32 v8, 16, v8
	v_add_nc_u32_e32 v9, 16, v9
	s_delay_alu instid0(VALU_DEP_3) | instskip(SKIP_4) | instid1(VALU_DEP_2)
	v_cmp_lt_u32_e32 vcc_lo, 32, v7
	s_or_b32 s3, vcc_lo, s3
	s_waitcnt vmcnt(0) lgkmcnt(0)
	v_mul_f64 v[10:11], v[21:22], v[17:18]
	v_mul_f64 v[17:18], v[19:20], v[17:18]
	v_fma_f64 v[10:11], v[19:20], v[15:16], -v[10:11]
	s_delay_alu instid0(VALU_DEP_2) | instskip(NEXT) | instid1(VALU_DEP_2)
	v_fma_f64 v[15:16], v[21:22], v[15:16], v[17:18]
	v_add_f64 v[3:4], v[3:4], v[10:11]
	s_delay_alu instid0(VALU_DEP_2)
	v_add_f64 v[1:2], v[1:2], v[15:16]
	s_and_not1_b32 exec_lo, exec_lo, s3
	s_cbranch_execnz .LBB54_149
; %bb.150:
	s_or_b32 exec_lo, exec_lo, s3
	v_mov_b32_e32 v7, 0
	ds_load_b128 v[7:10], v7 offset:544
	s_waitcnt lgkmcnt(0)
	v_mul_f64 v[11:12], v[1:2], v[9:10]
	v_mul_f64 v[15:16], v[3:4], v[9:10]
	s_delay_alu instid0(VALU_DEP_2) | instskip(NEXT) | instid1(VALU_DEP_2)
	v_fma_f64 v[9:10], v[3:4], v[7:8], -v[11:12]
	v_fma_f64 v[11:12], v[1:2], v[7:8], v[15:16]
	scratch_store_b128 off, v[9:12], off offset:544
.LBB54_151:
	s_or_b32 exec_lo, exec_lo, s2
	s_waitcnt_vscnt null, 0x0
	s_barrier
	buffer_gl0_inv
	scratch_load_b128 v[1:4], v220, off
	s_mov_b32 s2, exec_lo
	s_waitcnt vmcnt(0)
	ds_store_b128 v5, v[1:4]
	s_waitcnt lgkmcnt(0)
	s_barrier
	buffer_gl0_inv
	v_cmpx_gt_u32_e32 35, v156
	s_cbranch_execz .LBB54_155
; %bb.152:
	v_dual_mov_b32 v1, 0 :: v_dual_add_nc_u32 v8, 0x370, v13
	v_dual_mov_b32 v2, 0 :: v_dual_add_nc_u32 v7, -1, v156
	v_or_b32_e32 v9, 8, v14
	s_mov_b32 s3, 0
	s_delay_alu instid0(VALU_DEP_2)
	v_dual_mov_b32 v4, v2 :: v_dual_mov_b32 v3, v1
	.p2align	6
.LBB54_153:                             ; =>This Inner Loop Header: Depth=1
	scratch_load_b128 v[15:18], v9, off offset:-8
	ds_load_b128 v[19:22], v8
	v_add_nc_u32_e32 v7, 1, v7
	v_add_nc_u32_e32 v8, 16, v8
	;; [unrolled: 1-line block ×3, first 2 shown]
	s_delay_alu instid0(VALU_DEP_3) | instskip(SKIP_4) | instid1(VALU_DEP_2)
	v_cmp_lt_u32_e32 vcc_lo, 33, v7
	s_or_b32 s3, vcc_lo, s3
	s_waitcnt vmcnt(0) lgkmcnt(0)
	v_mul_f64 v[10:11], v[21:22], v[17:18]
	v_mul_f64 v[17:18], v[19:20], v[17:18]
	v_fma_f64 v[10:11], v[19:20], v[15:16], -v[10:11]
	s_delay_alu instid0(VALU_DEP_2) | instskip(NEXT) | instid1(VALU_DEP_2)
	v_fma_f64 v[15:16], v[21:22], v[15:16], v[17:18]
	v_add_f64 v[3:4], v[3:4], v[10:11]
	s_delay_alu instid0(VALU_DEP_2)
	v_add_f64 v[1:2], v[1:2], v[15:16]
	s_and_not1_b32 exec_lo, exec_lo, s3
	s_cbranch_execnz .LBB54_153
; %bb.154:
	s_or_b32 exec_lo, exec_lo, s3
	v_mov_b32_e32 v7, 0
	ds_load_b128 v[7:10], v7 offset:560
	s_waitcnt lgkmcnt(0)
	v_mul_f64 v[11:12], v[1:2], v[9:10]
	v_mul_f64 v[15:16], v[3:4], v[9:10]
	s_delay_alu instid0(VALU_DEP_2) | instskip(NEXT) | instid1(VALU_DEP_2)
	v_fma_f64 v[9:10], v[3:4], v[7:8], -v[11:12]
	v_fma_f64 v[11:12], v[1:2], v[7:8], v[15:16]
	scratch_store_b128 off, v[9:12], off offset:560
.LBB54_155:
	s_or_b32 exec_lo, exec_lo, s2
	s_waitcnt_vscnt null, 0x0
	s_barrier
	buffer_gl0_inv
	scratch_load_b128 v[1:4], v219, off
	s_mov_b32 s2, exec_lo
	s_waitcnt vmcnt(0)
	ds_store_b128 v5, v[1:4]
	s_waitcnt lgkmcnt(0)
	s_barrier
	buffer_gl0_inv
	v_cmpx_gt_u32_e32 36, v156
	s_cbranch_execz .LBB54_159
; %bb.156:
	v_dual_mov_b32 v1, 0 :: v_dual_add_nc_u32 v8, 0x370, v13
	v_dual_mov_b32 v2, 0 :: v_dual_add_nc_u32 v7, -1, v156
	v_or_b32_e32 v9, 8, v14
	s_mov_b32 s3, 0
	s_delay_alu instid0(VALU_DEP_2)
	v_dual_mov_b32 v4, v2 :: v_dual_mov_b32 v3, v1
	.p2align	6
.LBB54_157:                             ; =>This Inner Loop Header: Depth=1
	scratch_load_b128 v[15:18], v9, off offset:-8
	ds_load_b128 v[19:22], v8
	v_add_nc_u32_e32 v7, 1, v7
	v_add_nc_u32_e32 v8, 16, v8
	;; [unrolled: 1-line block ×3, first 2 shown]
	s_delay_alu instid0(VALU_DEP_3) | instskip(SKIP_4) | instid1(VALU_DEP_2)
	v_cmp_lt_u32_e32 vcc_lo, 34, v7
	s_or_b32 s3, vcc_lo, s3
	s_waitcnt vmcnt(0) lgkmcnt(0)
	v_mul_f64 v[10:11], v[21:22], v[17:18]
	v_mul_f64 v[17:18], v[19:20], v[17:18]
	v_fma_f64 v[10:11], v[19:20], v[15:16], -v[10:11]
	s_delay_alu instid0(VALU_DEP_2) | instskip(NEXT) | instid1(VALU_DEP_2)
	v_fma_f64 v[15:16], v[21:22], v[15:16], v[17:18]
	v_add_f64 v[3:4], v[3:4], v[10:11]
	s_delay_alu instid0(VALU_DEP_2)
	v_add_f64 v[1:2], v[1:2], v[15:16]
	s_and_not1_b32 exec_lo, exec_lo, s3
	s_cbranch_execnz .LBB54_157
; %bb.158:
	s_or_b32 exec_lo, exec_lo, s3
	v_mov_b32_e32 v7, 0
	ds_load_b128 v[7:10], v7 offset:576
	s_waitcnt lgkmcnt(0)
	v_mul_f64 v[11:12], v[1:2], v[9:10]
	v_mul_f64 v[15:16], v[3:4], v[9:10]
	s_delay_alu instid0(VALU_DEP_2) | instskip(NEXT) | instid1(VALU_DEP_2)
	v_fma_f64 v[9:10], v[3:4], v[7:8], -v[11:12]
	v_fma_f64 v[11:12], v[1:2], v[7:8], v[15:16]
	scratch_store_b128 off, v[9:12], off offset:576
.LBB54_159:
	s_or_b32 exec_lo, exec_lo, s2
	s_waitcnt_vscnt null, 0x0
	s_barrier
	buffer_gl0_inv
	scratch_load_b128 v[1:4], v218, off
	s_mov_b32 s2, exec_lo
	s_waitcnt vmcnt(0)
	ds_store_b128 v5, v[1:4]
	s_waitcnt lgkmcnt(0)
	s_barrier
	buffer_gl0_inv
	v_cmpx_gt_u32_e32 37, v156
	s_cbranch_execz .LBB54_163
; %bb.160:
	v_dual_mov_b32 v1, 0 :: v_dual_add_nc_u32 v8, 0x370, v13
	v_dual_mov_b32 v2, 0 :: v_dual_add_nc_u32 v7, -1, v156
	v_or_b32_e32 v9, 8, v14
	s_mov_b32 s3, 0
	s_delay_alu instid0(VALU_DEP_2)
	v_dual_mov_b32 v4, v2 :: v_dual_mov_b32 v3, v1
	.p2align	6
.LBB54_161:                             ; =>This Inner Loop Header: Depth=1
	scratch_load_b128 v[15:18], v9, off offset:-8
	ds_load_b128 v[19:22], v8
	v_add_nc_u32_e32 v7, 1, v7
	v_add_nc_u32_e32 v8, 16, v8
	;; [unrolled: 1-line block ×3, first 2 shown]
	s_delay_alu instid0(VALU_DEP_3) | instskip(SKIP_4) | instid1(VALU_DEP_2)
	v_cmp_lt_u32_e32 vcc_lo, 35, v7
	s_or_b32 s3, vcc_lo, s3
	s_waitcnt vmcnt(0) lgkmcnt(0)
	v_mul_f64 v[10:11], v[21:22], v[17:18]
	v_mul_f64 v[17:18], v[19:20], v[17:18]
	v_fma_f64 v[10:11], v[19:20], v[15:16], -v[10:11]
	s_delay_alu instid0(VALU_DEP_2) | instskip(NEXT) | instid1(VALU_DEP_2)
	v_fma_f64 v[15:16], v[21:22], v[15:16], v[17:18]
	v_add_f64 v[3:4], v[3:4], v[10:11]
	s_delay_alu instid0(VALU_DEP_2)
	v_add_f64 v[1:2], v[1:2], v[15:16]
	s_and_not1_b32 exec_lo, exec_lo, s3
	s_cbranch_execnz .LBB54_161
; %bb.162:
	s_or_b32 exec_lo, exec_lo, s3
	v_mov_b32_e32 v7, 0
	ds_load_b128 v[7:10], v7 offset:592
	s_waitcnt lgkmcnt(0)
	v_mul_f64 v[11:12], v[1:2], v[9:10]
	v_mul_f64 v[15:16], v[3:4], v[9:10]
	s_delay_alu instid0(VALU_DEP_2) | instskip(NEXT) | instid1(VALU_DEP_2)
	v_fma_f64 v[9:10], v[3:4], v[7:8], -v[11:12]
	v_fma_f64 v[11:12], v[1:2], v[7:8], v[15:16]
	scratch_store_b128 off, v[9:12], off offset:592
.LBB54_163:
	s_or_b32 exec_lo, exec_lo, s2
	s_waitcnt_vscnt null, 0x0
	s_barrier
	buffer_gl0_inv
	scratch_load_b128 v[1:4], v217, off
	s_mov_b32 s2, exec_lo
	s_waitcnt vmcnt(0)
	ds_store_b128 v5, v[1:4]
	s_waitcnt lgkmcnt(0)
	s_barrier
	buffer_gl0_inv
	v_cmpx_gt_u32_e32 38, v156
	s_cbranch_execz .LBB54_167
; %bb.164:
	v_dual_mov_b32 v1, 0 :: v_dual_add_nc_u32 v8, 0x370, v13
	v_dual_mov_b32 v2, 0 :: v_dual_add_nc_u32 v7, -1, v156
	v_or_b32_e32 v9, 8, v14
	s_mov_b32 s3, 0
	s_delay_alu instid0(VALU_DEP_2)
	v_dual_mov_b32 v4, v2 :: v_dual_mov_b32 v3, v1
	.p2align	6
.LBB54_165:                             ; =>This Inner Loop Header: Depth=1
	scratch_load_b128 v[15:18], v9, off offset:-8
	ds_load_b128 v[19:22], v8
	v_add_nc_u32_e32 v7, 1, v7
	v_add_nc_u32_e32 v8, 16, v8
	;; [unrolled: 1-line block ×3, first 2 shown]
	s_delay_alu instid0(VALU_DEP_3) | instskip(SKIP_4) | instid1(VALU_DEP_2)
	v_cmp_lt_u32_e32 vcc_lo, 36, v7
	s_or_b32 s3, vcc_lo, s3
	s_waitcnt vmcnt(0) lgkmcnt(0)
	v_mul_f64 v[10:11], v[21:22], v[17:18]
	v_mul_f64 v[17:18], v[19:20], v[17:18]
	v_fma_f64 v[10:11], v[19:20], v[15:16], -v[10:11]
	s_delay_alu instid0(VALU_DEP_2) | instskip(NEXT) | instid1(VALU_DEP_2)
	v_fma_f64 v[15:16], v[21:22], v[15:16], v[17:18]
	v_add_f64 v[3:4], v[3:4], v[10:11]
	s_delay_alu instid0(VALU_DEP_2)
	v_add_f64 v[1:2], v[1:2], v[15:16]
	s_and_not1_b32 exec_lo, exec_lo, s3
	s_cbranch_execnz .LBB54_165
; %bb.166:
	s_or_b32 exec_lo, exec_lo, s3
	v_mov_b32_e32 v7, 0
	ds_load_b128 v[7:10], v7 offset:608
	s_waitcnt lgkmcnt(0)
	v_mul_f64 v[11:12], v[1:2], v[9:10]
	v_mul_f64 v[15:16], v[3:4], v[9:10]
	s_delay_alu instid0(VALU_DEP_2) | instskip(NEXT) | instid1(VALU_DEP_2)
	v_fma_f64 v[9:10], v[3:4], v[7:8], -v[11:12]
	v_fma_f64 v[11:12], v[1:2], v[7:8], v[15:16]
	scratch_store_b128 off, v[9:12], off offset:608
.LBB54_167:
	s_or_b32 exec_lo, exec_lo, s2
	s_waitcnt_vscnt null, 0x0
	s_barrier
	buffer_gl0_inv
	scratch_load_b128 v[1:4], v216, off
	s_mov_b32 s2, exec_lo
	s_waitcnt vmcnt(0)
	ds_store_b128 v5, v[1:4]
	s_waitcnt lgkmcnt(0)
	s_barrier
	buffer_gl0_inv
	v_cmpx_gt_u32_e32 39, v156
	s_cbranch_execz .LBB54_171
; %bb.168:
	v_dual_mov_b32 v1, 0 :: v_dual_add_nc_u32 v8, 0x370, v13
	v_dual_mov_b32 v2, 0 :: v_dual_add_nc_u32 v7, -1, v156
	v_or_b32_e32 v9, 8, v14
	s_mov_b32 s3, 0
	s_delay_alu instid0(VALU_DEP_2)
	v_dual_mov_b32 v4, v2 :: v_dual_mov_b32 v3, v1
	.p2align	6
.LBB54_169:                             ; =>This Inner Loop Header: Depth=1
	scratch_load_b128 v[15:18], v9, off offset:-8
	ds_load_b128 v[19:22], v8
	v_add_nc_u32_e32 v7, 1, v7
	v_add_nc_u32_e32 v8, 16, v8
	;; [unrolled: 1-line block ×3, first 2 shown]
	s_delay_alu instid0(VALU_DEP_3) | instskip(SKIP_4) | instid1(VALU_DEP_2)
	v_cmp_lt_u32_e32 vcc_lo, 37, v7
	s_or_b32 s3, vcc_lo, s3
	s_waitcnt vmcnt(0) lgkmcnt(0)
	v_mul_f64 v[10:11], v[21:22], v[17:18]
	v_mul_f64 v[17:18], v[19:20], v[17:18]
	v_fma_f64 v[10:11], v[19:20], v[15:16], -v[10:11]
	s_delay_alu instid0(VALU_DEP_2) | instskip(NEXT) | instid1(VALU_DEP_2)
	v_fma_f64 v[15:16], v[21:22], v[15:16], v[17:18]
	v_add_f64 v[3:4], v[3:4], v[10:11]
	s_delay_alu instid0(VALU_DEP_2)
	v_add_f64 v[1:2], v[1:2], v[15:16]
	s_and_not1_b32 exec_lo, exec_lo, s3
	s_cbranch_execnz .LBB54_169
; %bb.170:
	s_or_b32 exec_lo, exec_lo, s3
	v_mov_b32_e32 v7, 0
	ds_load_b128 v[7:10], v7 offset:624
	s_waitcnt lgkmcnt(0)
	v_mul_f64 v[11:12], v[1:2], v[9:10]
	v_mul_f64 v[15:16], v[3:4], v[9:10]
	s_delay_alu instid0(VALU_DEP_2) | instskip(NEXT) | instid1(VALU_DEP_2)
	v_fma_f64 v[9:10], v[3:4], v[7:8], -v[11:12]
	v_fma_f64 v[11:12], v[1:2], v[7:8], v[15:16]
	scratch_store_b128 off, v[9:12], off offset:624
.LBB54_171:
	s_or_b32 exec_lo, exec_lo, s2
	s_waitcnt_vscnt null, 0x0
	s_barrier
	buffer_gl0_inv
	scratch_load_b128 v[1:4], v215, off
	s_mov_b32 s2, exec_lo
	s_waitcnt vmcnt(0)
	ds_store_b128 v5, v[1:4]
	s_waitcnt lgkmcnt(0)
	s_barrier
	buffer_gl0_inv
	v_cmpx_gt_u32_e32 40, v156
	s_cbranch_execz .LBB54_175
; %bb.172:
	v_dual_mov_b32 v1, 0 :: v_dual_add_nc_u32 v8, 0x370, v13
	v_dual_mov_b32 v2, 0 :: v_dual_add_nc_u32 v7, -1, v156
	v_or_b32_e32 v9, 8, v14
	s_mov_b32 s3, 0
	s_delay_alu instid0(VALU_DEP_2)
	v_dual_mov_b32 v4, v2 :: v_dual_mov_b32 v3, v1
	.p2align	6
.LBB54_173:                             ; =>This Inner Loop Header: Depth=1
	scratch_load_b128 v[15:18], v9, off offset:-8
	ds_load_b128 v[19:22], v8
	v_add_nc_u32_e32 v7, 1, v7
	v_add_nc_u32_e32 v8, 16, v8
	;; [unrolled: 1-line block ×3, first 2 shown]
	s_delay_alu instid0(VALU_DEP_3) | instskip(SKIP_4) | instid1(VALU_DEP_2)
	v_cmp_lt_u32_e32 vcc_lo, 38, v7
	s_or_b32 s3, vcc_lo, s3
	s_waitcnt vmcnt(0) lgkmcnt(0)
	v_mul_f64 v[10:11], v[21:22], v[17:18]
	v_mul_f64 v[17:18], v[19:20], v[17:18]
	v_fma_f64 v[10:11], v[19:20], v[15:16], -v[10:11]
	s_delay_alu instid0(VALU_DEP_2) | instskip(NEXT) | instid1(VALU_DEP_2)
	v_fma_f64 v[15:16], v[21:22], v[15:16], v[17:18]
	v_add_f64 v[3:4], v[3:4], v[10:11]
	s_delay_alu instid0(VALU_DEP_2)
	v_add_f64 v[1:2], v[1:2], v[15:16]
	s_and_not1_b32 exec_lo, exec_lo, s3
	s_cbranch_execnz .LBB54_173
; %bb.174:
	s_or_b32 exec_lo, exec_lo, s3
	v_mov_b32_e32 v7, 0
	ds_load_b128 v[7:10], v7 offset:640
	s_waitcnt lgkmcnt(0)
	v_mul_f64 v[11:12], v[1:2], v[9:10]
	v_mul_f64 v[15:16], v[3:4], v[9:10]
	s_delay_alu instid0(VALU_DEP_2) | instskip(NEXT) | instid1(VALU_DEP_2)
	v_fma_f64 v[9:10], v[3:4], v[7:8], -v[11:12]
	v_fma_f64 v[11:12], v[1:2], v[7:8], v[15:16]
	scratch_store_b128 off, v[9:12], off offset:640
.LBB54_175:
	s_or_b32 exec_lo, exec_lo, s2
	s_waitcnt_vscnt null, 0x0
	s_barrier
	buffer_gl0_inv
	scratch_load_b128 v[1:4], v214, off
	s_mov_b32 s2, exec_lo
	s_waitcnt vmcnt(0)
	ds_store_b128 v5, v[1:4]
	s_waitcnt lgkmcnt(0)
	s_barrier
	buffer_gl0_inv
	v_cmpx_gt_u32_e32 41, v156
	s_cbranch_execz .LBB54_179
; %bb.176:
	v_dual_mov_b32 v1, 0 :: v_dual_add_nc_u32 v8, 0x370, v13
	v_dual_mov_b32 v2, 0 :: v_dual_add_nc_u32 v7, -1, v156
	v_or_b32_e32 v9, 8, v14
	s_mov_b32 s3, 0
	s_delay_alu instid0(VALU_DEP_2)
	v_dual_mov_b32 v4, v2 :: v_dual_mov_b32 v3, v1
	.p2align	6
.LBB54_177:                             ; =>This Inner Loop Header: Depth=1
	scratch_load_b128 v[15:18], v9, off offset:-8
	ds_load_b128 v[19:22], v8
	v_add_nc_u32_e32 v7, 1, v7
	v_add_nc_u32_e32 v8, 16, v8
	;; [unrolled: 1-line block ×3, first 2 shown]
	s_delay_alu instid0(VALU_DEP_3) | instskip(SKIP_4) | instid1(VALU_DEP_2)
	v_cmp_lt_u32_e32 vcc_lo, 39, v7
	s_or_b32 s3, vcc_lo, s3
	s_waitcnt vmcnt(0) lgkmcnt(0)
	v_mul_f64 v[10:11], v[21:22], v[17:18]
	v_mul_f64 v[17:18], v[19:20], v[17:18]
	v_fma_f64 v[10:11], v[19:20], v[15:16], -v[10:11]
	s_delay_alu instid0(VALU_DEP_2) | instskip(NEXT) | instid1(VALU_DEP_2)
	v_fma_f64 v[15:16], v[21:22], v[15:16], v[17:18]
	v_add_f64 v[3:4], v[3:4], v[10:11]
	s_delay_alu instid0(VALU_DEP_2)
	v_add_f64 v[1:2], v[1:2], v[15:16]
	s_and_not1_b32 exec_lo, exec_lo, s3
	s_cbranch_execnz .LBB54_177
; %bb.178:
	s_or_b32 exec_lo, exec_lo, s3
	v_mov_b32_e32 v7, 0
	ds_load_b128 v[7:10], v7 offset:656
	s_waitcnt lgkmcnt(0)
	v_mul_f64 v[11:12], v[1:2], v[9:10]
	v_mul_f64 v[15:16], v[3:4], v[9:10]
	s_delay_alu instid0(VALU_DEP_2) | instskip(NEXT) | instid1(VALU_DEP_2)
	v_fma_f64 v[9:10], v[3:4], v[7:8], -v[11:12]
	v_fma_f64 v[11:12], v[1:2], v[7:8], v[15:16]
	scratch_store_b128 off, v[9:12], off offset:656
.LBB54_179:
	s_or_b32 exec_lo, exec_lo, s2
	s_waitcnt_vscnt null, 0x0
	s_barrier
	buffer_gl0_inv
	scratch_load_b128 v[1:4], v213, off
	s_mov_b32 s2, exec_lo
	s_waitcnt vmcnt(0)
	ds_store_b128 v5, v[1:4]
	s_waitcnt lgkmcnt(0)
	s_barrier
	buffer_gl0_inv
	v_cmpx_gt_u32_e32 42, v156
	s_cbranch_execz .LBB54_183
; %bb.180:
	v_dual_mov_b32 v1, 0 :: v_dual_add_nc_u32 v8, 0x370, v13
	v_dual_mov_b32 v2, 0 :: v_dual_add_nc_u32 v7, -1, v156
	v_or_b32_e32 v9, 8, v14
	s_mov_b32 s3, 0
	s_delay_alu instid0(VALU_DEP_2)
	v_dual_mov_b32 v4, v2 :: v_dual_mov_b32 v3, v1
	.p2align	6
.LBB54_181:                             ; =>This Inner Loop Header: Depth=1
	scratch_load_b128 v[15:18], v9, off offset:-8
	ds_load_b128 v[19:22], v8
	v_add_nc_u32_e32 v7, 1, v7
	v_add_nc_u32_e32 v8, 16, v8
	;; [unrolled: 1-line block ×3, first 2 shown]
	s_delay_alu instid0(VALU_DEP_3) | instskip(SKIP_4) | instid1(VALU_DEP_2)
	v_cmp_lt_u32_e32 vcc_lo, 40, v7
	s_or_b32 s3, vcc_lo, s3
	s_waitcnt vmcnt(0) lgkmcnt(0)
	v_mul_f64 v[10:11], v[21:22], v[17:18]
	v_mul_f64 v[17:18], v[19:20], v[17:18]
	v_fma_f64 v[10:11], v[19:20], v[15:16], -v[10:11]
	s_delay_alu instid0(VALU_DEP_2) | instskip(NEXT) | instid1(VALU_DEP_2)
	v_fma_f64 v[15:16], v[21:22], v[15:16], v[17:18]
	v_add_f64 v[3:4], v[3:4], v[10:11]
	s_delay_alu instid0(VALU_DEP_2)
	v_add_f64 v[1:2], v[1:2], v[15:16]
	s_and_not1_b32 exec_lo, exec_lo, s3
	s_cbranch_execnz .LBB54_181
; %bb.182:
	s_or_b32 exec_lo, exec_lo, s3
	v_mov_b32_e32 v7, 0
	ds_load_b128 v[7:10], v7 offset:672
	s_waitcnt lgkmcnt(0)
	v_mul_f64 v[11:12], v[1:2], v[9:10]
	v_mul_f64 v[15:16], v[3:4], v[9:10]
	s_delay_alu instid0(VALU_DEP_2) | instskip(NEXT) | instid1(VALU_DEP_2)
	v_fma_f64 v[9:10], v[3:4], v[7:8], -v[11:12]
	v_fma_f64 v[11:12], v[1:2], v[7:8], v[15:16]
	scratch_store_b128 off, v[9:12], off offset:672
.LBB54_183:
	s_or_b32 exec_lo, exec_lo, s2
	s_waitcnt_vscnt null, 0x0
	s_barrier
	buffer_gl0_inv
	scratch_load_b128 v[1:4], v212, off
	s_mov_b32 s2, exec_lo
	s_waitcnt vmcnt(0)
	ds_store_b128 v5, v[1:4]
	s_waitcnt lgkmcnt(0)
	s_barrier
	buffer_gl0_inv
	v_cmpx_gt_u32_e32 43, v156
	s_cbranch_execz .LBB54_187
; %bb.184:
	v_dual_mov_b32 v1, 0 :: v_dual_add_nc_u32 v8, 0x370, v13
	v_dual_mov_b32 v2, 0 :: v_dual_add_nc_u32 v7, -1, v156
	v_or_b32_e32 v9, 8, v14
	s_mov_b32 s3, 0
	s_delay_alu instid0(VALU_DEP_2)
	v_dual_mov_b32 v4, v2 :: v_dual_mov_b32 v3, v1
	.p2align	6
.LBB54_185:                             ; =>This Inner Loop Header: Depth=1
	scratch_load_b128 v[15:18], v9, off offset:-8
	ds_load_b128 v[19:22], v8
	v_add_nc_u32_e32 v7, 1, v7
	v_add_nc_u32_e32 v8, 16, v8
	;; [unrolled: 1-line block ×3, first 2 shown]
	s_delay_alu instid0(VALU_DEP_3) | instskip(SKIP_4) | instid1(VALU_DEP_2)
	v_cmp_lt_u32_e32 vcc_lo, 41, v7
	s_or_b32 s3, vcc_lo, s3
	s_waitcnt vmcnt(0) lgkmcnt(0)
	v_mul_f64 v[10:11], v[21:22], v[17:18]
	v_mul_f64 v[17:18], v[19:20], v[17:18]
	v_fma_f64 v[10:11], v[19:20], v[15:16], -v[10:11]
	s_delay_alu instid0(VALU_DEP_2) | instskip(NEXT) | instid1(VALU_DEP_2)
	v_fma_f64 v[15:16], v[21:22], v[15:16], v[17:18]
	v_add_f64 v[3:4], v[3:4], v[10:11]
	s_delay_alu instid0(VALU_DEP_2)
	v_add_f64 v[1:2], v[1:2], v[15:16]
	s_and_not1_b32 exec_lo, exec_lo, s3
	s_cbranch_execnz .LBB54_185
; %bb.186:
	s_or_b32 exec_lo, exec_lo, s3
	v_mov_b32_e32 v7, 0
	ds_load_b128 v[7:10], v7 offset:688
	s_waitcnt lgkmcnt(0)
	v_mul_f64 v[11:12], v[1:2], v[9:10]
	v_mul_f64 v[15:16], v[3:4], v[9:10]
	s_delay_alu instid0(VALU_DEP_2) | instskip(NEXT) | instid1(VALU_DEP_2)
	v_fma_f64 v[9:10], v[3:4], v[7:8], -v[11:12]
	v_fma_f64 v[11:12], v[1:2], v[7:8], v[15:16]
	scratch_store_b128 off, v[9:12], off offset:688
.LBB54_187:
	s_or_b32 exec_lo, exec_lo, s2
	s_waitcnt_vscnt null, 0x0
	s_barrier
	buffer_gl0_inv
	scratch_load_b128 v[1:4], v163, off
	s_mov_b32 s2, exec_lo
	s_waitcnt vmcnt(0)
	ds_store_b128 v5, v[1:4]
	s_waitcnt lgkmcnt(0)
	s_barrier
	buffer_gl0_inv
	v_cmpx_gt_u32_e32 44, v156
	s_cbranch_execz .LBB54_191
; %bb.188:
	v_dual_mov_b32 v1, 0 :: v_dual_add_nc_u32 v8, 0x370, v13
	v_dual_mov_b32 v2, 0 :: v_dual_add_nc_u32 v7, -1, v156
	v_or_b32_e32 v9, 8, v14
	s_mov_b32 s3, 0
	s_delay_alu instid0(VALU_DEP_2)
	v_dual_mov_b32 v4, v2 :: v_dual_mov_b32 v3, v1
	.p2align	6
.LBB54_189:                             ; =>This Inner Loop Header: Depth=1
	scratch_load_b128 v[15:18], v9, off offset:-8
	ds_load_b128 v[19:22], v8
	v_add_nc_u32_e32 v7, 1, v7
	v_add_nc_u32_e32 v8, 16, v8
	v_add_nc_u32_e32 v9, 16, v9
	s_delay_alu instid0(VALU_DEP_3) | instskip(SKIP_4) | instid1(VALU_DEP_2)
	v_cmp_lt_u32_e32 vcc_lo, 42, v7
	s_or_b32 s3, vcc_lo, s3
	s_waitcnt vmcnt(0) lgkmcnt(0)
	v_mul_f64 v[10:11], v[21:22], v[17:18]
	v_mul_f64 v[17:18], v[19:20], v[17:18]
	v_fma_f64 v[10:11], v[19:20], v[15:16], -v[10:11]
	s_delay_alu instid0(VALU_DEP_2) | instskip(NEXT) | instid1(VALU_DEP_2)
	v_fma_f64 v[15:16], v[21:22], v[15:16], v[17:18]
	v_add_f64 v[3:4], v[3:4], v[10:11]
	s_delay_alu instid0(VALU_DEP_2)
	v_add_f64 v[1:2], v[1:2], v[15:16]
	s_and_not1_b32 exec_lo, exec_lo, s3
	s_cbranch_execnz .LBB54_189
; %bb.190:
	s_or_b32 exec_lo, exec_lo, s3
	v_mov_b32_e32 v7, 0
	ds_load_b128 v[7:10], v7 offset:704
	s_waitcnt lgkmcnt(0)
	v_mul_f64 v[11:12], v[1:2], v[9:10]
	v_mul_f64 v[15:16], v[3:4], v[9:10]
	s_delay_alu instid0(VALU_DEP_2) | instskip(NEXT) | instid1(VALU_DEP_2)
	v_fma_f64 v[9:10], v[3:4], v[7:8], -v[11:12]
	v_fma_f64 v[11:12], v[1:2], v[7:8], v[15:16]
	scratch_store_b128 off, v[9:12], off offset:704
.LBB54_191:
	s_or_b32 exec_lo, exec_lo, s2
	s_waitcnt_vscnt null, 0x0
	s_barrier
	buffer_gl0_inv
	scratch_load_b128 v[1:4], v161, off
	s_mov_b32 s2, exec_lo
	s_waitcnt vmcnt(0)
	ds_store_b128 v5, v[1:4]
	s_waitcnt lgkmcnt(0)
	s_barrier
	buffer_gl0_inv
	v_cmpx_gt_u32_e32 45, v156
	s_cbranch_execz .LBB54_195
; %bb.192:
	v_dual_mov_b32 v1, 0 :: v_dual_add_nc_u32 v8, 0x370, v13
	v_dual_mov_b32 v2, 0 :: v_dual_add_nc_u32 v7, -1, v156
	v_or_b32_e32 v9, 8, v14
	s_mov_b32 s3, 0
	s_delay_alu instid0(VALU_DEP_2)
	v_dual_mov_b32 v4, v2 :: v_dual_mov_b32 v3, v1
	.p2align	6
.LBB54_193:                             ; =>This Inner Loop Header: Depth=1
	scratch_load_b128 v[15:18], v9, off offset:-8
	ds_load_b128 v[19:22], v8
	v_add_nc_u32_e32 v7, 1, v7
	v_add_nc_u32_e32 v8, 16, v8
	v_add_nc_u32_e32 v9, 16, v9
	s_delay_alu instid0(VALU_DEP_3) | instskip(SKIP_4) | instid1(VALU_DEP_2)
	v_cmp_lt_u32_e32 vcc_lo, 43, v7
	s_or_b32 s3, vcc_lo, s3
	s_waitcnt vmcnt(0) lgkmcnt(0)
	v_mul_f64 v[10:11], v[21:22], v[17:18]
	v_mul_f64 v[17:18], v[19:20], v[17:18]
	v_fma_f64 v[10:11], v[19:20], v[15:16], -v[10:11]
	s_delay_alu instid0(VALU_DEP_2) | instskip(NEXT) | instid1(VALU_DEP_2)
	v_fma_f64 v[15:16], v[21:22], v[15:16], v[17:18]
	v_add_f64 v[3:4], v[3:4], v[10:11]
	s_delay_alu instid0(VALU_DEP_2)
	v_add_f64 v[1:2], v[1:2], v[15:16]
	s_and_not1_b32 exec_lo, exec_lo, s3
	s_cbranch_execnz .LBB54_193
; %bb.194:
	s_or_b32 exec_lo, exec_lo, s3
	v_mov_b32_e32 v7, 0
	ds_load_b128 v[7:10], v7 offset:720
	s_waitcnt lgkmcnt(0)
	v_mul_f64 v[11:12], v[1:2], v[9:10]
	v_mul_f64 v[15:16], v[3:4], v[9:10]
	s_delay_alu instid0(VALU_DEP_2) | instskip(NEXT) | instid1(VALU_DEP_2)
	v_fma_f64 v[9:10], v[3:4], v[7:8], -v[11:12]
	v_fma_f64 v[11:12], v[1:2], v[7:8], v[15:16]
	scratch_store_b128 off, v[9:12], off offset:720
.LBB54_195:
	s_or_b32 exec_lo, exec_lo, s2
	s_waitcnt_vscnt null, 0x0
	s_barrier
	buffer_gl0_inv
	scratch_load_b128 v[1:4], v160, off
	s_mov_b32 s2, exec_lo
	s_waitcnt vmcnt(0)
	ds_store_b128 v5, v[1:4]
	s_waitcnt lgkmcnt(0)
	s_barrier
	buffer_gl0_inv
	v_cmpx_gt_u32_e32 46, v156
	s_cbranch_execz .LBB54_199
; %bb.196:
	v_dual_mov_b32 v1, 0 :: v_dual_add_nc_u32 v8, 0x370, v13
	v_dual_mov_b32 v2, 0 :: v_dual_add_nc_u32 v7, -1, v156
	v_or_b32_e32 v9, 8, v14
	s_mov_b32 s3, 0
	s_delay_alu instid0(VALU_DEP_2)
	v_dual_mov_b32 v4, v2 :: v_dual_mov_b32 v3, v1
	.p2align	6
.LBB54_197:                             ; =>This Inner Loop Header: Depth=1
	scratch_load_b128 v[15:18], v9, off offset:-8
	ds_load_b128 v[19:22], v8
	v_add_nc_u32_e32 v7, 1, v7
	v_add_nc_u32_e32 v8, 16, v8
	v_add_nc_u32_e32 v9, 16, v9
	s_delay_alu instid0(VALU_DEP_3) | instskip(SKIP_4) | instid1(VALU_DEP_2)
	v_cmp_lt_u32_e32 vcc_lo, 44, v7
	s_or_b32 s3, vcc_lo, s3
	s_waitcnt vmcnt(0) lgkmcnt(0)
	v_mul_f64 v[10:11], v[21:22], v[17:18]
	v_mul_f64 v[17:18], v[19:20], v[17:18]
	v_fma_f64 v[10:11], v[19:20], v[15:16], -v[10:11]
	s_delay_alu instid0(VALU_DEP_2) | instskip(NEXT) | instid1(VALU_DEP_2)
	v_fma_f64 v[15:16], v[21:22], v[15:16], v[17:18]
	v_add_f64 v[3:4], v[3:4], v[10:11]
	s_delay_alu instid0(VALU_DEP_2)
	v_add_f64 v[1:2], v[1:2], v[15:16]
	s_and_not1_b32 exec_lo, exec_lo, s3
	s_cbranch_execnz .LBB54_197
; %bb.198:
	s_or_b32 exec_lo, exec_lo, s3
	v_mov_b32_e32 v7, 0
	ds_load_b128 v[7:10], v7 offset:736
	s_waitcnt lgkmcnt(0)
	v_mul_f64 v[11:12], v[1:2], v[9:10]
	v_mul_f64 v[15:16], v[3:4], v[9:10]
	s_delay_alu instid0(VALU_DEP_2) | instskip(NEXT) | instid1(VALU_DEP_2)
	v_fma_f64 v[9:10], v[3:4], v[7:8], -v[11:12]
	v_fma_f64 v[11:12], v[1:2], v[7:8], v[15:16]
	scratch_store_b128 off, v[9:12], off offset:736
.LBB54_199:
	s_or_b32 exec_lo, exec_lo, s2
	s_waitcnt_vscnt null, 0x0
	s_barrier
	buffer_gl0_inv
	scratch_load_b128 v[1:4], v157, off
	s_mov_b32 s2, exec_lo
	s_waitcnt vmcnt(0)
	ds_store_b128 v5, v[1:4]
	s_waitcnt lgkmcnt(0)
	s_barrier
	buffer_gl0_inv
	v_cmpx_gt_u32_e32 47, v156
	s_cbranch_execz .LBB54_203
; %bb.200:
	v_dual_mov_b32 v1, 0 :: v_dual_add_nc_u32 v8, 0x370, v13
	v_dual_mov_b32 v2, 0 :: v_dual_add_nc_u32 v7, -1, v156
	v_or_b32_e32 v9, 8, v14
	s_mov_b32 s3, 0
	s_delay_alu instid0(VALU_DEP_2)
	v_dual_mov_b32 v4, v2 :: v_dual_mov_b32 v3, v1
	.p2align	6
.LBB54_201:                             ; =>This Inner Loop Header: Depth=1
	scratch_load_b128 v[15:18], v9, off offset:-8
	ds_load_b128 v[19:22], v8
	v_add_nc_u32_e32 v7, 1, v7
	v_add_nc_u32_e32 v8, 16, v8
	;; [unrolled: 1-line block ×3, first 2 shown]
	s_delay_alu instid0(VALU_DEP_3) | instskip(SKIP_4) | instid1(VALU_DEP_2)
	v_cmp_lt_u32_e32 vcc_lo, 45, v7
	s_or_b32 s3, vcc_lo, s3
	s_waitcnt vmcnt(0) lgkmcnt(0)
	v_mul_f64 v[10:11], v[21:22], v[17:18]
	v_mul_f64 v[17:18], v[19:20], v[17:18]
	v_fma_f64 v[10:11], v[19:20], v[15:16], -v[10:11]
	s_delay_alu instid0(VALU_DEP_2) | instskip(NEXT) | instid1(VALU_DEP_2)
	v_fma_f64 v[15:16], v[21:22], v[15:16], v[17:18]
	v_add_f64 v[3:4], v[3:4], v[10:11]
	s_delay_alu instid0(VALU_DEP_2)
	v_add_f64 v[1:2], v[1:2], v[15:16]
	s_and_not1_b32 exec_lo, exec_lo, s3
	s_cbranch_execnz .LBB54_201
; %bb.202:
	s_or_b32 exec_lo, exec_lo, s3
	v_mov_b32_e32 v7, 0
	ds_load_b128 v[7:10], v7 offset:752
	s_waitcnt lgkmcnt(0)
	v_mul_f64 v[11:12], v[1:2], v[9:10]
	v_mul_f64 v[15:16], v[3:4], v[9:10]
	s_delay_alu instid0(VALU_DEP_2) | instskip(NEXT) | instid1(VALU_DEP_2)
	v_fma_f64 v[9:10], v[3:4], v[7:8], -v[11:12]
	v_fma_f64 v[11:12], v[1:2], v[7:8], v[15:16]
	scratch_store_b128 off, v[9:12], off offset:752
.LBB54_203:
	s_or_b32 exec_lo, exec_lo, s2
	s_waitcnt_vscnt null, 0x0
	s_barrier
	buffer_gl0_inv
	scratch_load_b128 v[1:4], v171, off
	s_mov_b32 s2, exec_lo
	s_waitcnt vmcnt(0)
	ds_store_b128 v5, v[1:4]
	s_waitcnt lgkmcnt(0)
	s_barrier
	buffer_gl0_inv
	v_cmpx_gt_u32_e32 48, v156
	s_cbranch_execz .LBB54_207
; %bb.204:
	v_dual_mov_b32 v1, 0 :: v_dual_add_nc_u32 v8, 0x370, v13
	v_dual_mov_b32 v2, 0 :: v_dual_add_nc_u32 v7, -1, v156
	v_or_b32_e32 v9, 8, v14
	s_mov_b32 s3, 0
	s_delay_alu instid0(VALU_DEP_2)
	v_dual_mov_b32 v4, v2 :: v_dual_mov_b32 v3, v1
	.p2align	6
.LBB54_205:                             ; =>This Inner Loop Header: Depth=1
	scratch_load_b128 v[15:18], v9, off offset:-8
	ds_load_b128 v[19:22], v8
	v_add_nc_u32_e32 v7, 1, v7
	v_add_nc_u32_e32 v8, 16, v8
	;; [unrolled: 1-line block ×3, first 2 shown]
	s_delay_alu instid0(VALU_DEP_3) | instskip(SKIP_4) | instid1(VALU_DEP_2)
	v_cmp_lt_u32_e32 vcc_lo, 46, v7
	s_or_b32 s3, vcc_lo, s3
	s_waitcnt vmcnt(0) lgkmcnt(0)
	v_mul_f64 v[10:11], v[21:22], v[17:18]
	v_mul_f64 v[17:18], v[19:20], v[17:18]
	v_fma_f64 v[10:11], v[19:20], v[15:16], -v[10:11]
	s_delay_alu instid0(VALU_DEP_2) | instskip(NEXT) | instid1(VALU_DEP_2)
	v_fma_f64 v[15:16], v[21:22], v[15:16], v[17:18]
	v_add_f64 v[3:4], v[3:4], v[10:11]
	s_delay_alu instid0(VALU_DEP_2)
	v_add_f64 v[1:2], v[1:2], v[15:16]
	s_and_not1_b32 exec_lo, exec_lo, s3
	s_cbranch_execnz .LBB54_205
; %bb.206:
	s_or_b32 exec_lo, exec_lo, s3
	v_mov_b32_e32 v7, 0
	ds_load_b128 v[7:10], v7 offset:768
	s_waitcnt lgkmcnt(0)
	v_mul_f64 v[11:12], v[1:2], v[9:10]
	v_mul_f64 v[15:16], v[3:4], v[9:10]
	s_delay_alu instid0(VALU_DEP_2) | instskip(NEXT) | instid1(VALU_DEP_2)
	v_fma_f64 v[9:10], v[3:4], v[7:8], -v[11:12]
	v_fma_f64 v[11:12], v[1:2], v[7:8], v[15:16]
	scratch_store_b128 off, v[9:12], off offset:768
.LBB54_207:
	s_or_b32 exec_lo, exec_lo, s2
	s_waitcnt_vscnt null, 0x0
	s_barrier
	buffer_gl0_inv
	scratch_load_b128 v[1:4], v168, off
	s_mov_b32 s2, exec_lo
	s_waitcnt vmcnt(0)
	ds_store_b128 v5, v[1:4]
	s_waitcnt lgkmcnt(0)
	s_barrier
	buffer_gl0_inv
	v_cmpx_gt_u32_e32 49, v156
	s_cbranch_execz .LBB54_211
; %bb.208:
	v_dual_mov_b32 v1, 0 :: v_dual_add_nc_u32 v8, 0x370, v13
	v_dual_mov_b32 v2, 0 :: v_dual_add_nc_u32 v7, -1, v156
	v_or_b32_e32 v9, 8, v14
	s_mov_b32 s3, 0
	s_delay_alu instid0(VALU_DEP_2)
	v_dual_mov_b32 v4, v2 :: v_dual_mov_b32 v3, v1
	.p2align	6
.LBB54_209:                             ; =>This Inner Loop Header: Depth=1
	scratch_load_b128 v[15:18], v9, off offset:-8
	ds_load_b128 v[19:22], v8
	v_add_nc_u32_e32 v7, 1, v7
	v_add_nc_u32_e32 v8, 16, v8
	;; [unrolled: 1-line block ×3, first 2 shown]
	s_delay_alu instid0(VALU_DEP_3) | instskip(SKIP_4) | instid1(VALU_DEP_2)
	v_cmp_lt_u32_e32 vcc_lo, 47, v7
	s_or_b32 s3, vcc_lo, s3
	s_waitcnt vmcnt(0) lgkmcnt(0)
	v_mul_f64 v[10:11], v[21:22], v[17:18]
	v_mul_f64 v[17:18], v[19:20], v[17:18]
	v_fma_f64 v[10:11], v[19:20], v[15:16], -v[10:11]
	s_delay_alu instid0(VALU_DEP_2) | instskip(NEXT) | instid1(VALU_DEP_2)
	v_fma_f64 v[15:16], v[21:22], v[15:16], v[17:18]
	v_add_f64 v[3:4], v[3:4], v[10:11]
	s_delay_alu instid0(VALU_DEP_2)
	v_add_f64 v[1:2], v[1:2], v[15:16]
	s_and_not1_b32 exec_lo, exec_lo, s3
	s_cbranch_execnz .LBB54_209
; %bb.210:
	s_or_b32 exec_lo, exec_lo, s3
	v_mov_b32_e32 v7, 0
	ds_load_b128 v[7:10], v7 offset:784
	s_waitcnt lgkmcnt(0)
	v_mul_f64 v[11:12], v[1:2], v[9:10]
	v_mul_f64 v[15:16], v[3:4], v[9:10]
	s_delay_alu instid0(VALU_DEP_2) | instskip(NEXT) | instid1(VALU_DEP_2)
	v_fma_f64 v[9:10], v[3:4], v[7:8], -v[11:12]
	v_fma_f64 v[11:12], v[1:2], v[7:8], v[15:16]
	scratch_store_b128 off, v[9:12], off offset:784
.LBB54_211:
	s_or_b32 exec_lo, exec_lo, s2
	s_waitcnt_vscnt null, 0x0
	s_barrier
	buffer_gl0_inv
	scratch_load_b128 v[1:4], v166, off
	s_mov_b32 s2, exec_lo
	s_waitcnt vmcnt(0)
	ds_store_b128 v5, v[1:4]
	s_waitcnt lgkmcnt(0)
	s_barrier
	buffer_gl0_inv
	v_cmpx_gt_u32_e32 50, v156
	s_cbranch_execz .LBB54_215
; %bb.212:
	v_dual_mov_b32 v1, 0 :: v_dual_add_nc_u32 v8, 0x370, v13
	v_dual_mov_b32 v2, 0 :: v_dual_add_nc_u32 v7, -1, v156
	v_or_b32_e32 v9, 8, v14
	s_mov_b32 s3, 0
	s_delay_alu instid0(VALU_DEP_2)
	v_dual_mov_b32 v4, v2 :: v_dual_mov_b32 v3, v1
	.p2align	6
.LBB54_213:                             ; =>This Inner Loop Header: Depth=1
	scratch_load_b128 v[15:18], v9, off offset:-8
	ds_load_b128 v[19:22], v8
	v_add_nc_u32_e32 v7, 1, v7
	v_add_nc_u32_e32 v8, 16, v8
	;; [unrolled: 1-line block ×3, first 2 shown]
	s_delay_alu instid0(VALU_DEP_3) | instskip(SKIP_4) | instid1(VALU_DEP_2)
	v_cmp_lt_u32_e32 vcc_lo, 48, v7
	s_or_b32 s3, vcc_lo, s3
	s_waitcnt vmcnt(0) lgkmcnt(0)
	v_mul_f64 v[10:11], v[21:22], v[17:18]
	v_mul_f64 v[17:18], v[19:20], v[17:18]
	v_fma_f64 v[10:11], v[19:20], v[15:16], -v[10:11]
	s_delay_alu instid0(VALU_DEP_2) | instskip(NEXT) | instid1(VALU_DEP_2)
	v_fma_f64 v[15:16], v[21:22], v[15:16], v[17:18]
	v_add_f64 v[3:4], v[3:4], v[10:11]
	s_delay_alu instid0(VALU_DEP_2)
	v_add_f64 v[1:2], v[1:2], v[15:16]
	s_and_not1_b32 exec_lo, exec_lo, s3
	s_cbranch_execnz .LBB54_213
; %bb.214:
	s_or_b32 exec_lo, exec_lo, s3
	v_mov_b32_e32 v7, 0
	ds_load_b128 v[7:10], v7 offset:800
	s_waitcnt lgkmcnt(0)
	v_mul_f64 v[11:12], v[1:2], v[9:10]
	v_mul_f64 v[15:16], v[3:4], v[9:10]
	s_delay_alu instid0(VALU_DEP_2) | instskip(NEXT) | instid1(VALU_DEP_2)
	v_fma_f64 v[9:10], v[3:4], v[7:8], -v[11:12]
	v_fma_f64 v[11:12], v[1:2], v[7:8], v[15:16]
	scratch_store_b128 off, v[9:12], off offset:800
.LBB54_215:
	s_or_b32 exec_lo, exec_lo, s2
	s_waitcnt_vscnt null, 0x0
	s_barrier
	buffer_gl0_inv
	scratch_load_b128 v[1:4], v164, off
	s_mov_b32 s2, exec_lo
	s_waitcnt vmcnt(0)
	ds_store_b128 v5, v[1:4]
	s_waitcnt lgkmcnt(0)
	s_barrier
	buffer_gl0_inv
	v_cmpx_gt_u32_e32 51, v156
	s_cbranch_execz .LBB54_219
; %bb.216:
	v_dual_mov_b32 v1, 0 :: v_dual_add_nc_u32 v8, 0x370, v13
	v_dual_mov_b32 v2, 0 :: v_dual_add_nc_u32 v7, -1, v156
	v_or_b32_e32 v9, 8, v14
	s_mov_b32 s3, 0
	s_delay_alu instid0(VALU_DEP_2)
	v_dual_mov_b32 v4, v2 :: v_dual_mov_b32 v3, v1
	.p2align	6
.LBB54_217:                             ; =>This Inner Loop Header: Depth=1
	scratch_load_b128 v[15:18], v9, off offset:-8
	ds_load_b128 v[19:22], v8
	v_add_nc_u32_e32 v7, 1, v7
	v_add_nc_u32_e32 v8, 16, v8
	;; [unrolled: 1-line block ×3, first 2 shown]
	s_delay_alu instid0(VALU_DEP_3) | instskip(SKIP_4) | instid1(VALU_DEP_2)
	v_cmp_lt_u32_e32 vcc_lo, 49, v7
	s_or_b32 s3, vcc_lo, s3
	s_waitcnt vmcnt(0) lgkmcnt(0)
	v_mul_f64 v[10:11], v[21:22], v[17:18]
	v_mul_f64 v[17:18], v[19:20], v[17:18]
	v_fma_f64 v[10:11], v[19:20], v[15:16], -v[10:11]
	s_delay_alu instid0(VALU_DEP_2) | instskip(NEXT) | instid1(VALU_DEP_2)
	v_fma_f64 v[15:16], v[21:22], v[15:16], v[17:18]
	v_add_f64 v[3:4], v[3:4], v[10:11]
	s_delay_alu instid0(VALU_DEP_2)
	v_add_f64 v[1:2], v[1:2], v[15:16]
	s_and_not1_b32 exec_lo, exec_lo, s3
	s_cbranch_execnz .LBB54_217
; %bb.218:
	s_or_b32 exec_lo, exec_lo, s3
	v_mov_b32_e32 v7, 0
	ds_load_b128 v[7:10], v7 offset:816
	s_waitcnt lgkmcnt(0)
	v_mul_f64 v[11:12], v[1:2], v[9:10]
	v_mul_f64 v[15:16], v[3:4], v[9:10]
	s_delay_alu instid0(VALU_DEP_2) | instskip(NEXT) | instid1(VALU_DEP_2)
	v_fma_f64 v[9:10], v[3:4], v[7:8], -v[11:12]
	v_fma_f64 v[11:12], v[1:2], v[7:8], v[15:16]
	scratch_store_b128 off, v[9:12], off offset:816
.LBB54_219:
	s_or_b32 exec_lo, exec_lo, s2
	s_waitcnt_vscnt null, 0x0
	s_barrier
	buffer_gl0_inv
	scratch_load_b128 v[1:4], v162, off
	s_mov_b32 s2, exec_lo
	s_waitcnt vmcnt(0)
	ds_store_b128 v5, v[1:4]
	s_waitcnt lgkmcnt(0)
	s_barrier
	buffer_gl0_inv
	v_cmpx_gt_u32_e32 52, v156
	s_cbranch_execz .LBB54_223
; %bb.220:
	v_dual_mov_b32 v1, 0 :: v_dual_add_nc_u32 v8, 0x370, v13
	v_dual_mov_b32 v2, 0 :: v_dual_add_nc_u32 v7, -1, v156
	v_or_b32_e32 v9, 8, v14
	s_mov_b32 s3, 0
	s_delay_alu instid0(VALU_DEP_2)
	v_dual_mov_b32 v4, v2 :: v_dual_mov_b32 v3, v1
	.p2align	6
.LBB54_221:                             ; =>This Inner Loop Header: Depth=1
	scratch_load_b128 v[15:18], v9, off offset:-8
	ds_load_b128 v[19:22], v8
	v_add_nc_u32_e32 v7, 1, v7
	v_add_nc_u32_e32 v8, 16, v8
	;; [unrolled: 1-line block ×3, first 2 shown]
	s_delay_alu instid0(VALU_DEP_3) | instskip(SKIP_4) | instid1(VALU_DEP_2)
	v_cmp_lt_u32_e32 vcc_lo, 50, v7
	s_or_b32 s3, vcc_lo, s3
	s_waitcnt vmcnt(0) lgkmcnt(0)
	v_mul_f64 v[10:11], v[21:22], v[17:18]
	v_mul_f64 v[17:18], v[19:20], v[17:18]
	v_fma_f64 v[10:11], v[19:20], v[15:16], -v[10:11]
	s_delay_alu instid0(VALU_DEP_2) | instskip(NEXT) | instid1(VALU_DEP_2)
	v_fma_f64 v[15:16], v[21:22], v[15:16], v[17:18]
	v_add_f64 v[3:4], v[3:4], v[10:11]
	s_delay_alu instid0(VALU_DEP_2)
	v_add_f64 v[1:2], v[1:2], v[15:16]
	s_and_not1_b32 exec_lo, exec_lo, s3
	s_cbranch_execnz .LBB54_221
; %bb.222:
	s_or_b32 exec_lo, exec_lo, s3
	v_mov_b32_e32 v7, 0
	ds_load_b128 v[7:10], v7 offset:832
	s_waitcnt lgkmcnt(0)
	v_mul_f64 v[11:12], v[1:2], v[9:10]
	v_mul_f64 v[15:16], v[3:4], v[9:10]
	s_delay_alu instid0(VALU_DEP_2) | instskip(NEXT) | instid1(VALU_DEP_2)
	v_fma_f64 v[9:10], v[3:4], v[7:8], -v[11:12]
	v_fma_f64 v[11:12], v[1:2], v[7:8], v[15:16]
	scratch_store_b128 off, v[9:12], off offset:832
.LBB54_223:
	s_or_b32 exec_lo, exec_lo, s2
	s_waitcnt_vscnt null, 0x0
	s_barrier
	buffer_gl0_inv
	scratch_load_b128 v[1:4], v159, off
	s_mov_b32 s2, exec_lo
	s_waitcnt vmcnt(0)
	ds_store_b128 v5, v[1:4]
	s_waitcnt lgkmcnt(0)
	s_barrier
	buffer_gl0_inv
	v_cmpx_gt_u32_e32 53, v156
	s_cbranch_execz .LBB54_227
; %bb.224:
	v_dual_mov_b32 v1, 0 :: v_dual_add_nc_u32 v8, 0x370, v13
	v_dual_mov_b32 v2, 0 :: v_dual_add_nc_u32 v7, -1, v156
	v_or_b32_e32 v9, 8, v14
	s_mov_b32 s3, 0
	s_delay_alu instid0(VALU_DEP_2)
	v_dual_mov_b32 v4, v2 :: v_dual_mov_b32 v3, v1
	.p2align	6
.LBB54_225:                             ; =>This Inner Loop Header: Depth=1
	scratch_load_b128 v[10:13], v9, off offset:-8
	ds_load_b128 v[15:18], v8
	v_add_nc_u32_e32 v7, 1, v7
	v_add_nc_u32_e32 v8, 16, v8
	;; [unrolled: 1-line block ×3, first 2 shown]
	s_delay_alu instid0(VALU_DEP_3) | instskip(SKIP_4) | instid1(VALU_DEP_2)
	v_cmp_lt_u32_e32 vcc_lo, 51, v7
	s_or_b32 s3, vcc_lo, s3
	s_waitcnt vmcnt(0) lgkmcnt(0)
	v_mul_f64 v[19:20], v[17:18], v[12:13]
	v_mul_f64 v[12:13], v[15:16], v[12:13]
	v_fma_f64 v[15:16], v[15:16], v[10:11], -v[19:20]
	s_delay_alu instid0(VALU_DEP_2) | instskip(NEXT) | instid1(VALU_DEP_2)
	v_fma_f64 v[10:11], v[17:18], v[10:11], v[12:13]
	v_add_f64 v[3:4], v[3:4], v[15:16]
	s_delay_alu instid0(VALU_DEP_2)
	v_add_f64 v[1:2], v[1:2], v[10:11]
	s_and_not1_b32 exec_lo, exec_lo, s3
	s_cbranch_execnz .LBB54_225
; %bb.226:
	s_or_b32 exec_lo, exec_lo, s3
	v_mov_b32_e32 v7, 0
	ds_load_b128 v[7:10], v7 offset:848
	s_waitcnt lgkmcnt(0)
	v_mul_f64 v[11:12], v[1:2], v[9:10]
	v_mul_f64 v[15:16], v[3:4], v[9:10]
	s_delay_alu instid0(VALU_DEP_2) | instskip(NEXT) | instid1(VALU_DEP_2)
	v_fma_f64 v[9:10], v[3:4], v[7:8], -v[11:12]
	v_fma_f64 v[11:12], v[1:2], v[7:8], v[15:16]
	scratch_store_b128 off, v[9:12], off offset:848
.LBB54_227:
	s_or_b32 exec_lo, exec_lo, s2
	s_waitcnt_vscnt null, 0x0
	s_barrier
	buffer_gl0_inv
	scratch_load_b128 v[1:4], v158, off
	s_mov_b32 s2, exec_lo
	s_waitcnt vmcnt(0)
	ds_store_b128 v5, v[1:4]
	s_waitcnt lgkmcnt(0)
	s_barrier
	buffer_gl0_inv
	v_cmpx_ne_u32_e32 54, v156
	s_cbranch_execz .LBB54_231
; %bb.228:
	v_mov_b32_e32 v1, 0
	v_mov_b32_e32 v2, 0
	v_or_b32_e32 v7, 8, v14
	s_mov_b32 s3, 0
	s_delay_alu instid0(VALU_DEP_2)
	v_dual_mov_b32 v4, v2 :: v_dual_mov_b32 v3, v1
	.p2align	6
.LBB54_229:                             ; =>This Inner Loop Header: Depth=1
	scratch_load_b128 v[8:11], v7, off offset:-8
	ds_load_b128 v[12:15], v5
	v_add_nc_u32_e32 v6, 1, v6
	v_add_nc_u32_e32 v5, 16, v5
	;; [unrolled: 1-line block ×3, first 2 shown]
	s_delay_alu instid0(VALU_DEP_3) | instskip(SKIP_4) | instid1(VALU_DEP_2)
	v_cmp_lt_u32_e32 vcc_lo, 52, v6
	s_or_b32 s3, vcc_lo, s3
	s_waitcnt vmcnt(0) lgkmcnt(0)
	v_mul_f64 v[16:17], v[14:15], v[10:11]
	v_mul_f64 v[10:11], v[12:13], v[10:11]
	v_fma_f64 v[12:13], v[12:13], v[8:9], -v[16:17]
	s_delay_alu instid0(VALU_DEP_2) | instskip(NEXT) | instid1(VALU_DEP_2)
	v_fma_f64 v[8:9], v[14:15], v[8:9], v[10:11]
	v_add_f64 v[3:4], v[3:4], v[12:13]
	s_delay_alu instid0(VALU_DEP_2)
	v_add_f64 v[1:2], v[1:2], v[8:9]
	s_and_not1_b32 exec_lo, exec_lo, s3
	s_cbranch_execnz .LBB54_229
; %bb.230:
	s_or_b32 exec_lo, exec_lo, s3
	v_mov_b32_e32 v5, 0
	ds_load_b128 v[5:8], v5 offset:864
	s_waitcnt lgkmcnt(0)
	v_mul_f64 v[9:10], v[1:2], v[7:8]
	v_mul_f64 v[7:8], v[3:4], v[7:8]
	s_delay_alu instid0(VALU_DEP_2) | instskip(NEXT) | instid1(VALU_DEP_2)
	v_fma_f64 v[3:4], v[3:4], v[5:6], -v[9:10]
	v_fma_f64 v[5:6], v[1:2], v[5:6], v[7:8]
	scratch_store_b128 off, v[3:6], off offset:864
.LBB54_231:
	s_or_b32 exec_lo, exec_lo, s2
	s_mov_b32 s3, -1
	s_waitcnt_vscnt null, 0x0
	s_barrier
	buffer_gl0_inv
.LBB54_232:
	s_and_b32 vcc_lo, exec_lo, s3
	s_cbranch_vccz .LBB54_234
; %bb.233:
	s_lshl_b64 s[2:3], s[18:19], 2
	v_mov_b32_e32 v1, 0
	s_add_u32 s2, s6, s2
	s_addc_u32 s3, s7, s3
	global_load_b32 v1, v1, s[2:3]
	s_waitcnt vmcnt(0)
	v_cmp_ne_u32_e32 vcc_lo, 0, v1
	s_cbranch_vccz .LBB54_235
.LBB54_234:
	s_endpgm
.LBB54_235:
	v_lshl_add_u32 v211, v156, 4, 0x370
	s_mov_b32 s2, exec_lo
	v_cmpx_eq_u32_e32 54, v156
	s_cbranch_execz .LBB54_237
; %bb.236:
	scratch_load_b128 v[1:4], v159, off
	v_mov_b32_e32 v5, 0
	s_delay_alu instid0(VALU_DEP_1)
	v_mov_b32_e32 v6, v5
	v_mov_b32_e32 v7, v5
	;; [unrolled: 1-line block ×3, first 2 shown]
	scratch_store_b128 off, v[5:8], off offset:848
	s_waitcnt vmcnt(0)
	ds_store_b128 v211, v[1:4]
.LBB54_237:
	s_or_b32 exec_lo, exec_lo, s2
	s_waitcnt lgkmcnt(0)
	s_waitcnt_vscnt null, 0x0
	s_barrier
	buffer_gl0_inv
	s_clause 0x1
	scratch_load_b128 v[2:5], off, off offset:864
	scratch_load_b128 v[6:9], off, off offset:848
	v_mov_b32_e32 v1, 0
	s_mov_b32 s2, exec_lo
	ds_load_b128 v[10:13], v1 offset:1744
	s_waitcnt vmcnt(1) lgkmcnt(0)
	v_mul_f64 v[14:15], v[12:13], v[4:5]
	v_mul_f64 v[4:5], v[10:11], v[4:5]
	s_delay_alu instid0(VALU_DEP_2) | instskip(NEXT) | instid1(VALU_DEP_2)
	v_fma_f64 v[10:11], v[10:11], v[2:3], -v[14:15]
	v_fma_f64 v[2:3], v[12:13], v[2:3], v[4:5]
	s_delay_alu instid0(VALU_DEP_2) | instskip(NEXT) | instid1(VALU_DEP_2)
	v_add_f64 v[4:5], v[10:11], 0
	v_add_f64 v[10:11], v[2:3], 0
	s_waitcnt vmcnt(0)
	s_delay_alu instid0(VALU_DEP_2) | instskip(NEXT) | instid1(VALU_DEP_2)
	v_add_f64 v[2:3], v[6:7], -v[4:5]
	v_add_f64 v[4:5], v[8:9], -v[10:11]
	scratch_store_b128 off, v[2:5], off offset:848
	v_cmpx_lt_u32_e32 52, v156
	s_cbranch_execz .LBB54_239
; %bb.238:
	scratch_load_b128 v[5:8], v162, off
	v_mov_b32_e32 v2, v1
	v_mov_b32_e32 v3, v1
	;; [unrolled: 1-line block ×3, first 2 shown]
	scratch_store_b128 off, v[1:4], off offset:832
	s_waitcnt vmcnt(0)
	ds_store_b128 v211, v[5:8]
.LBB54_239:
	s_or_b32 exec_lo, exec_lo, s2
	s_waitcnt lgkmcnt(0)
	s_waitcnt_vscnt null, 0x0
	s_barrier
	buffer_gl0_inv
	s_clause 0x2
	scratch_load_b128 v[2:5], off, off offset:848
	scratch_load_b128 v[6:9], off, off offset:864
	;; [unrolled: 1-line block ×3, first 2 shown]
	ds_load_b128 v[14:17], v1 offset:1728
	ds_load_b128 v[18:21], v1 offset:1744
	s_mov_b32 s2, exec_lo
	s_waitcnt vmcnt(2) lgkmcnt(1)
	v_mul_f64 v[22:23], v[16:17], v[4:5]
	v_mul_f64 v[4:5], v[14:15], v[4:5]
	s_waitcnt vmcnt(1) lgkmcnt(0)
	v_mul_f64 v[24:25], v[18:19], v[8:9]
	v_mul_f64 v[8:9], v[20:21], v[8:9]
	s_delay_alu instid0(VALU_DEP_4) | instskip(NEXT) | instid1(VALU_DEP_4)
	v_fma_f64 v[14:15], v[14:15], v[2:3], -v[22:23]
	v_fma_f64 v[1:2], v[16:17], v[2:3], v[4:5]
	s_delay_alu instid0(VALU_DEP_4) | instskip(NEXT) | instid1(VALU_DEP_4)
	v_fma_f64 v[3:4], v[20:21], v[6:7], v[24:25]
	v_fma_f64 v[5:6], v[18:19], v[6:7], -v[8:9]
	s_delay_alu instid0(VALU_DEP_4) | instskip(NEXT) | instid1(VALU_DEP_4)
	v_add_f64 v[7:8], v[14:15], 0
	v_add_f64 v[1:2], v[1:2], 0
	s_delay_alu instid0(VALU_DEP_2) | instskip(NEXT) | instid1(VALU_DEP_2)
	v_add_f64 v[5:6], v[7:8], v[5:6]
	v_add_f64 v[3:4], v[1:2], v[3:4]
	s_waitcnt vmcnt(0)
	s_delay_alu instid0(VALU_DEP_2) | instskip(NEXT) | instid1(VALU_DEP_2)
	v_add_f64 v[1:2], v[10:11], -v[5:6]
	v_add_f64 v[3:4], v[12:13], -v[3:4]
	scratch_store_b128 off, v[1:4], off offset:832
	v_cmpx_lt_u32_e32 51, v156
	s_cbranch_execz .LBB54_241
; %bb.240:
	scratch_load_b128 v[1:4], v164, off
	v_mov_b32_e32 v5, 0
	s_delay_alu instid0(VALU_DEP_1)
	v_mov_b32_e32 v6, v5
	v_mov_b32_e32 v7, v5
	;; [unrolled: 1-line block ×3, first 2 shown]
	scratch_store_b128 off, v[5:8], off offset:816
	s_waitcnt vmcnt(0)
	ds_store_b128 v211, v[1:4]
.LBB54_241:
	s_or_b32 exec_lo, exec_lo, s2
	s_waitcnt lgkmcnt(0)
	s_waitcnt_vscnt null, 0x0
	s_barrier
	buffer_gl0_inv
	s_clause 0x3
	scratch_load_b128 v[2:5], off, off offset:832
	scratch_load_b128 v[6:9], off, off offset:848
	;; [unrolled: 1-line block ×4, first 2 shown]
	v_mov_b32_e32 v1, 0
	ds_load_b128 v[18:21], v1 offset:1712
	ds_load_b128 v[22:25], v1 offset:1728
	s_mov_b32 s2, exec_lo
	s_waitcnt vmcnt(3) lgkmcnt(1)
	v_mul_f64 v[26:27], v[20:21], v[4:5]
	v_mul_f64 v[4:5], v[18:19], v[4:5]
	s_waitcnt vmcnt(2) lgkmcnt(0)
	v_mul_f64 v[28:29], v[22:23], v[8:9]
	v_mul_f64 v[8:9], v[24:25], v[8:9]
	s_delay_alu instid0(VALU_DEP_4) | instskip(NEXT) | instid1(VALU_DEP_4)
	v_fma_f64 v[18:19], v[18:19], v[2:3], -v[26:27]
	v_fma_f64 v[20:21], v[20:21], v[2:3], v[4:5]
	ds_load_b128 v[2:5], v1 offset:1744
	v_fma_f64 v[24:25], v[24:25], v[6:7], v[28:29]
	v_fma_f64 v[6:7], v[22:23], v[6:7], -v[8:9]
	s_waitcnt vmcnt(1) lgkmcnt(0)
	v_mul_f64 v[26:27], v[2:3], v[12:13]
	v_mul_f64 v[12:13], v[4:5], v[12:13]
	v_add_f64 v[8:9], v[18:19], 0
	v_add_f64 v[18:19], v[20:21], 0
	s_delay_alu instid0(VALU_DEP_4) | instskip(NEXT) | instid1(VALU_DEP_4)
	v_fma_f64 v[4:5], v[4:5], v[10:11], v[26:27]
	v_fma_f64 v[2:3], v[2:3], v[10:11], -v[12:13]
	s_delay_alu instid0(VALU_DEP_4) | instskip(NEXT) | instid1(VALU_DEP_4)
	v_add_f64 v[6:7], v[8:9], v[6:7]
	v_add_f64 v[8:9], v[18:19], v[24:25]
	s_delay_alu instid0(VALU_DEP_2) | instskip(NEXT) | instid1(VALU_DEP_2)
	v_add_f64 v[2:3], v[6:7], v[2:3]
	v_add_f64 v[4:5], v[8:9], v[4:5]
	s_waitcnt vmcnt(0)
	s_delay_alu instid0(VALU_DEP_2) | instskip(NEXT) | instid1(VALU_DEP_2)
	v_add_f64 v[2:3], v[14:15], -v[2:3]
	v_add_f64 v[4:5], v[16:17], -v[4:5]
	scratch_store_b128 off, v[2:5], off offset:816
	v_cmpx_lt_u32_e32 50, v156
	s_cbranch_execz .LBB54_243
; %bb.242:
	scratch_load_b128 v[5:8], v166, off
	v_mov_b32_e32 v2, v1
	v_mov_b32_e32 v3, v1
	;; [unrolled: 1-line block ×3, first 2 shown]
	scratch_store_b128 off, v[1:4], off offset:800
	s_waitcnt vmcnt(0)
	ds_store_b128 v211, v[5:8]
.LBB54_243:
	s_or_b32 exec_lo, exec_lo, s2
	s_waitcnt lgkmcnt(0)
	s_waitcnt_vscnt null, 0x0
	s_barrier
	buffer_gl0_inv
	s_clause 0x4
	scratch_load_b128 v[2:5], off, off offset:816
	scratch_load_b128 v[6:9], off, off offset:832
	;; [unrolled: 1-line block ×5, first 2 shown]
	ds_load_b128 v[22:25], v1 offset:1696
	ds_load_b128 v[26:29], v1 offset:1712
	s_mov_b32 s2, exec_lo
	s_waitcnt vmcnt(4) lgkmcnt(1)
	v_mul_f64 v[30:31], v[24:25], v[4:5]
	v_mul_f64 v[4:5], v[22:23], v[4:5]
	s_waitcnt vmcnt(3) lgkmcnt(0)
	v_mul_f64 v[32:33], v[26:27], v[8:9]
	v_mul_f64 v[8:9], v[28:29], v[8:9]
	s_delay_alu instid0(VALU_DEP_4) | instskip(NEXT) | instid1(VALU_DEP_4)
	v_fma_f64 v[30:31], v[22:23], v[2:3], -v[30:31]
	v_fma_f64 v[34:35], v[24:25], v[2:3], v[4:5]
	ds_load_b128 v[2:5], v1 offset:1728
	ds_load_b128 v[22:25], v1 offset:1744
	v_fma_f64 v[28:29], v[28:29], v[6:7], v[32:33]
	v_fma_f64 v[6:7], v[26:27], v[6:7], -v[8:9]
	s_waitcnt vmcnt(2) lgkmcnt(1)
	v_mul_f64 v[36:37], v[2:3], v[12:13]
	v_mul_f64 v[12:13], v[4:5], v[12:13]
	v_add_f64 v[8:9], v[30:31], 0
	v_add_f64 v[26:27], v[34:35], 0
	s_waitcnt vmcnt(1) lgkmcnt(0)
	v_mul_f64 v[30:31], v[22:23], v[16:17]
	v_mul_f64 v[16:17], v[24:25], v[16:17]
	v_fma_f64 v[4:5], v[4:5], v[10:11], v[36:37]
	v_fma_f64 v[1:2], v[2:3], v[10:11], -v[12:13]
	v_add_f64 v[6:7], v[8:9], v[6:7]
	v_add_f64 v[8:9], v[26:27], v[28:29]
	v_fma_f64 v[10:11], v[24:25], v[14:15], v[30:31]
	v_fma_f64 v[12:13], v[22:23], v[14:15], -v[16:17]
	s_delay_alu instid0(VALU_DEP_4) | instskip(NEXT) | instid1(VALU_DEP_4)
	v_add_f64 v[1:2], v[6:7], v[1:2]
	v_add_f64 v[3:4], v[8:9], v[4:5]
	s_delay_alu instid0(VALU_DEP_2) | instskip(NEXT) | instid1(VALU_DEP_2)
	v_add_f64 v[1:2], v[1:2], v[12:13]
	v_add_f64 v[3:4], v[3:4], v[10:11]
	s_waitcnt vmcnt(0)
	s_delay_alu instid0(VALU_DEP_2) | instskip(NEXT) | instid1(VALU_DEP_2)
	v_add_f64 v[1:2], v[18:19], -v[1:2]
	v_add_f64 v[3:4], v[20:21], -v[3:4]
	scratch_store_b128 off, v[1:4], off offset:800
	v_cmpx_lt_u32_e32 49, v156
	s_cbranch_execz .LBB54_245
; %bb.244:
	scratch_load_b128 v[1:4], v168, off
	v_mov_b32_e32 v5, 0
	s_delay_alu instid0(VALU_DEP_1)
	v_mov_b32_e32 v6, v5
	v_mov_b32_e32 v7, v5
	v_mov_b32_e32 v8, v5
	scratch_store_b128 off, v[5:8], off offset:784
	s_waitcnt vmcnt(0)
	ds_store_b128 v211, v[1:4]
.LBB54_245:
	s_or_b32 exec_lo, exec_lo, s2
	s_waitcnt lgkmcnt(0)
	s_waitcnt_vscnt null, 0x0
	s_barrier
	buffer_gl0_inv
	s_clause 0x5
	scratch_load_b128 v[2:5], off, off offset:800
	scratch_load_b128 v[6:9], off, off offset:816
	scratch_load_b128 v[10:13], off, off offset:832
	scratch_load_b128 v[14:17], off, off offset:848
	scratch_load_b128 v[18:21], off, off offset:864
	scratch_load_b128 v[22:25], off, off offset:784
	v_mov_b32_e32 v1, 0
	ds_load_b128 v[26:29], v1 offset:1680
	ds_load_b128 v[30:33], v1 offset:1696
	s_mov_b32 s2, exec_lo
	s_waitcnt vmcnt(5) lgkmcnt(1)
	v_mul_f64 v[34:35], v[28:29], v[4:5]
	v_mul_f64 v[4:5], v[26:27], v[4:5]
	s_waitcnt vmcnt(4) lgkmcnt(0)
	v_mul_f64 v[36:37], v[30:31], v[8:9]
	v_mul_f64 v[8:9], v[32:33], v[8:9]
	s_delay_alu instid0(VALU_DEP_4) | instskip(NEXT) | instid1(VALU_DEP_4)
	v_fma_f64 v[34:35], v[26:27], v[2:3], -v[34:35]
	v_fma_f64 v[38:39], v[28:29], v[2:3], v[4:5]
	ds_load_b128 v[2:5], v1 offset:1712
	ds_load_b128 v[26:29], v1 offset:1728
	v_fma_f64 v[32:33], v[32:33], v[6:7], v[36:37]
	v_fma_f64 v[6:7], v[30:31], v[6:7], -v[8:9]
	s_waitcnt vmcnt(3) lgkmcnt(1)
	v_mul_f64 v[40:41], v[2:3], v[12:13]
	v_mul_f64 v[12:13], v[4:5], v[12:13]
	v_add_f64 v[8:9], v[34:35], 0
	v_add_f64 v[30:31], v[38:39], 0
	s_waitcnt vmcnt(2) lgkmcnt(0)
	v_mul_f64 v[34:35], v[26:27], v[16:17]
	v_mul_f64 v[16:17], v[28:29], v[16:17]
	v_fma_f64 v[36:37], v[4:5], v[10:11], v[40:41]
	v_fma_f64 v[10:11], v[2:3], v[10:11], -v[12:13]
	ds_load_b128 v[2:5], v1 offset:1744
	v_add_f64 v[6:7], v[8:9], v[6:7]
	v_add_f64 v[8:9], v[30:31], v[32:33]
	v_fma_f64 v[28:29], v[28:29], v[14:15], v[34:35]
	v_fma_f64 v[14:15], v[26:27], v[14:15], -v[16:17]
	s_waitcnt vmcnt(1) lgkmcnt(0)
	v_mul_f64 v[12:13], v[2:3], v[20:21]
	v_mul_f64 v[20:21], v[4:5], v[20:21]
	v_add_f64 v[6:7], v[6:7], v[10:11]
	v_add_f64 v[8:9], v[8:9], v[36:37]
	s_delay_alu instid0(VALU_DEP_4) | instskip(NEXT) | instid1(VALU_DEP_4)
	v_fma_f64 v[4:5], v[4:5], v[18:19], v[12:13]
	v_fma_f64 v[2:3], v[2:3], v[18:19], -v[20:21]
	s_delay_alu instid0(VALU_DEP_4) | instskip(NEXT) | instid1(VALU_DEP_4)
	v_add_f64 v[6:7], v[6:7], v[14:15]
	v_add_f64 v[8:9], v[8:9], v[28:29]
	s_delay_alu instid0(VALU_DEP_2) | instskip(NEXT) | instid1(VALU_DEP_2)
	v_add_f64 v[2:3], v[6:7], v[2:3]
	v_add_f64 v[4:5], v[8:9], v[4:5]
	s_waitcnt vmcnt(0)
	s_delay_alu instid0(VALU_DEP_2) | instskip(NEXT) | instid1(VALU_DEP_2)
	v_add_f64 v[2:3], v[22:23], -v[2:3]
	v_add_f64 v[4:5], v[24:25], -v[4:5]
	scratch_store_b128 off, v[2:5], off offset:784
	v_cmpx_lt_u32_e32 48, v156
	s_cbranch_execz .LBB54_247
; %bb.246:
	scratch_load_b128 v[5:8], v171, off
	v_mov_b32_e32 v2, v1
	v_mov_b32_e32 v3, v1
	;; [unrolled: 1-line block ×3, first 2 shown]
	scratch_store_b128 off, v[1:4], off offset:768
	s_waitcnt vmcnt(0)
	ds_store_b128 v211, v[5:8]
.LBB54_247:
	s_or_b32 exec_lo, exec_lo, s2
	s_waitcnt lgkmcnt(0)
	s_waitcnt_vscnt null, 0x0
	s_barrier
	buffer_gl0_inv
	s_clause 0x5
	scratch_load_b128 v[2:5], off, off offset:784
	scratch_load_b128 v[6:9], off, off offset:800
	;; [unrolled: 1-line block ×6, first 2 shown]
	ds_load_b128 v[26:29], v1 offset:1664
	ds_load_b128 v[34:37], v1 offset:1680
	scratch_load_b128 v[30:33], off, off offset:768
	s_mov_b32 s2, exec_lo
	s_waitcnt vmcnt(6) lgkmcnt(1)
	v_mul_f64 v[38:39], v[28:29], v[4:5]
	v_mul_f64 v[4:5], v[26:27], v[4:5]
	s_waitcnt vmcnt(5) lgkmcnt(0)
	v_mul_f64 v[40:41], v[34:35], v[8:9]
	v_mul_f64 v[8:9], v[36:37], v[8:9]
	s_delay_alu instid0(VALU_DEP_4) | instskip(NEXT) | instid1(VALU_DEP_4)
	v_fma_f64 v[38:39], v[26:27], v[2:3], -v[38:39]
	v_fma_f64 v[42:43], v[28:29], v[2:3], v[4:5]
	ds_load_b128 v[2:5], v1 offset:1696
	ds_load_b128 v[26:29], v1 offset:1712
	v_fma_f64 v[36:37], v[36:37], v[6:7], v[40:41]
	v_fma_f64 v[6:7], v[34:35], v[6:7], -v[8:9]
	s_waitcnt vmcnt(4) lgkmcnt(1)
	v_mul_f64 v[44:45], v[2:3], v[12:13]
	v_mul_f64 v[12:13], v[4:5], v[12:13]
	v_add_f64 v[8:9], v[38:39], 0
	v_add_f64 v[34:35], v[42:43], 0
	s_waitcnt vmcnt(3) lgkmcnt(0)
	v_mul_f64 v[38:39], v[26:27], v[16:17]
	v_mul_f64 v[16:17], v[28:29], v[16:17]
	v_fma_f64 v[40:41], v[4:5], v[10:11], v[44:45]
	v_fma_f64 v[10:11], v[2:3], v[10:11], -v[12:13]
	v_add_f64 v[12:13], v[8:9], v[6:7]
	v_add_f64 v[34:35], v[34:35], v[36:37]
	ds_load_b128 v[2:5], v1 offset:1728
	ds_load_b128 v[6:9], v1 offset:1744
	v_fma_f64 v[28:29], v[28:29], v[14:15], v[38:39]
	v_fma_f64 v[14:15], v[26:27], v[14:15], -v[16:17]
	s_waitcnt vmcnt(2) lgkmcnt(1)
	v_mul_f64 v[36:37], v[2:3], v[20:21]
	v_mul_f64 v[20:21], v[4:5], v[20:21]
	s_waitcnt vmcnt(1) lgkmcnt(0)
	v_mul_f64 v[16:17], v[6:7], v[24:25]
	v_mul_f64 v[24:25], v[8:9], v[24:25]
	v_add_f64 v[10:11], v[12:13], v[10:11]
	v_add_f64 v[12:13], v[34:35], v[40:41]
	v_fma_f64 v[4:5], v[4:5], v[18:19], v[36:37]
	v_fma_f64 v[1:2], v[2:3], v[18:19], -v[20:21]
	v_fma_f64 v[8:9], v[8:9], v[22:23], v[16:17]
	v_fma_f64 v[6:7], v[6:7], v[22:23], -v[24:25]
	v_add_f64 v[10:11], v[10:11], v[14:15]
	v_add_f64 v[12:13], v[12:13], v[28:29]
	s_delay_alu instid0(VALU_DEP_2) | instskip(NEXT) | instid1(VALU_DEP_2)
	v_add_f64 v[1:2], v[10:11], v[1:2]
	v_add_f64 v[3:4], v[12:13], v[4:5]
	s_delay_alu instid0(VALU_DEP_2) | instskip(NEXT) | instid1(VALU_DEP_2)
	v_add_f64 v[1:2], v[1:2], v[6:7]
	v_add_f64 v[3:4], v[3:4], v[8:9]
	s_waitcnt vmcnt(0)
	s_delay_alu instid0(VALU_DEP_2) | instskip(NEXT) | instid1(VALU_DEP_2)
	v_add_f64 v[1:2], v[30:31], -v[1:2]
	v_add_f64 v[3:4], v[32:33], -v[3:4]
	scratch_store_b128 off, v[1:4], off offset:768
	v_cmpx_lt_u32_e32 47, v156
	s_cbranch_execz .LBB54_249
; %bb.248:
	scratch_load_b128 v[1:4], v157, off
	v_mov_b32_e32 v5, 0
	s_delay_alu instid0(VALU_DEP_1)
	v_mov_b32_e32 v6, v5
	v_mov_b32_e32 v7, v5
	;; [unrolled: 1-line block ×3, first 2 shown]
	scratch_store_b128 off, v[5:8], off offset:752
	s_waitcnt vmcnt(0)
	ds_store_b128 v211, v[1:4]
.LBB54_249:
	s_or_b32 exec_lo, exec_lo, s2
	s_waitcnt lgkmcnt(0)
	s_waitcnt_vscnt null, 0x0
	s_barrier
	buffer_gl0_inv
	s_clause 0x6
	scratch_load_b128 v[2:5], off, off offset:768
	scratch_load_b128 v[6:9], off, off offset:784
	;; [unrolled: 1-line block ×7, first 2 shown]
	v_mov_b32_e32 v1, 0
	scratch_load_b128 v[38:41], off, off offset:752
	s_mov_b32 s2, exec_lo
	ds_load_b128 v[30:33], v1 offset:1648
	ds_load_b128 v[34:37], v1 offset:1664
	s_waitcnt vmcnt(7) lgkmcnt(1)
	v_mul_f64 v[42:43], v[32:33], v[4:5]
	v_mul_f64 v[4:5], v[30:31], v[4:5]
	s_waitcnt vmcnt(6) lgkmcnt(0)
	v_mul_f64 v[44:45], v[34:35], v[8:9]
	v_mul_f64 v[8:9], v[36:37], v[8:9]
	s_delay_alu instid0(VALU_DEP_4) | instskip(NEXT) | instid1(VALU_DEP_4)
	v_fma_f64 v[30:31], v[30:31], v[2:3], -v[42:43]
	v_fma_f64 v[32:33], v[32:33], v[2:3], v[4:5]
	ds_load_b128 v[2:5], v1 offset:1680
	v_fma_f64 v[36:37], v[36:37], v[6:7], v[44:45]
	v_fma_f64 v[34:35], v[34:35], v[6:7], -v[8:9]
	ds_load_b128 v[6:9], v1 offset:1696
	s_waitcnt vmcnt(5) lgkmcnt(1)
	v_mul_f64 v[42:43], v[2:3], v[12:13]
	v_mul_f64 v[12:13], v[4:5], v[12:13]
	s_waitcnt vmcnt(4) lgkmcnt(0)
	v_mul_f64 v[44:45], v[6:7], v[16:17]
	v_mul_f64 v[16:17], v[8:9], v[16:17]
	v_add_f64 v[30:31], v[30:31], 0
	v_add_f64 v[32:33], v[32:33], 0
	v_fma_f64 v[42:43], v[4:5], v[10:11], v[42:43]
	v_fma_f64 v[10:11], v[2:3], v[10:11], -v[12:13]
	ds_load_b128 v[2:5], v1 offset:1712
	v_add_f64 v[12:13], v[30:31], v[34:35]
	v_add_f64 v[30:31], v[32:33], v[36:37]
	v_fma_f64 v[34:35], v[8:9], v[14:15], v[44:45]
	v_fma_f64 v[14:15], v[6:7], v[14:15], -v[16:17]
	ds_load_b128 v[6:9], v1 offset:1728
	s_waitcnt vmcnt(3) lgkmcnt(1)
	v_mul_f64 v[32:33], v[2:3], v[20:21]
	v_mul_f64 v[20:21], v[4:5], v[20:21]
	s_waitcnt vmcnt(2) lgkmcnt(0)
	v_mul_f64 v[16:17], v[6:7], v[24:25]
	v_mul_f64 v[24:25], v[8:9], v[24:25]
	v_add_f64 v[10:11], v[12:13], v[10:11]
	v_add_f64 v[12:13], v[30:31], v[42:43]
	v_fma_f64 v[30:31], v[4:5], v[18:19], v[32:33]
	v_fma_f64 v[18:19], v[2:3], v[18:19], -v[20:21]
	ds_load_b128 v[2:5], v1 offset:1744
	v_fma_f64 v[8:9], v[8:9], v[22:23], v[16:17]
	v_fma_f64 v[6:7], v[6:7], v[22:23], -v[24:25]
	s_waitcnt vmcnt(1) lgkmcnt(0)
	v_mul_f64 v[20:21], v[4:5], v[28:29]
	v_add_f64 v[10:11], v[10:11], v[14:15]
	v_add_f64 v[12:13], v[12:13], v[34:35]
	v_mul_f64 v[14:15], v[2:3], v[28:29]
	s_delay_alu instid0(VALU_DEP_4) | instskip(NEXT) | instid1(VALU_DEP_4)
	v_fma_f64 v[2:3], v[2:3], v[26:27], -v[20:21]
	v_add_f64 v[10:11], v[10:11], v[18:19]
	s_delay_alu instid0(VALU_DEP_4) | instskip(NEXT) | instid1(VALU_DEP_4)
	v_add_f64 v[12:13], v[12:13], v[30:31]
	v_fma_f64 v[4:5], v[4:5], v[26:27], v[14:15]
	s_delay_alu instid0(VALU_DEP_3) | instskip(NEXT) | instid1(VALU_DEP_3)
	v_add_f64 v[6:7], v[10:11], v[6:7]
	v_add_f64 v[8:9], v[12:13], v[8:9]
	s_delay_alu instid0(VALU_DEP_2) | instskip(NEXT) | instid1(VALU_DEP_2)
	v_add_f64 v[2:3], v[6:7], v[2:3]
	v_add_f64 v[4:5], v[8:9], v[4:5]
	s_waitcnt vmcnt(0)
	s_delay_alu instid0(VALU_DEP_2) | instskip(NEXT) | instid1(VALU_DEP_2)
	v_add_f64 v[2:3], v[38:39], -v[2:3]
	v_add_f64 v[4:5], v[40:41], -v[4:5]
	scratch_store_b128 off, v[2:5], off offset:752
	v_cmpx_lt_u32_e32 46, v156
	s_cbranch_execz .LBB54_251
; %bb.250:
	scratch_load_b128 v[5:8], v160, off
	v_mov_b32_e32 v2, v1
	v_mov_b32_e32 v3, v1
	;; [unrolled: 1-line block ×3, first 2 shown]
	scratch_store_b128 off, v[1:4], off offset:736
	s_waitcnt vmcnt(0)
	ds_store_b128 v211, v[5:8]
.LBB54_251:
	s_or_b32 exec_lo, exec_lo, s2
	s_waitcnt lgkmcnt(0)
	s_waitcnt_vscnt null, 0x0
	s_barrier
	buffer_gl0_inv
	s_clause 0x7
	scratch_load_b128 v[2:5], off, off offset:752
	scratch_load_b128 v[6:9], off, off offset:768
	scratch_load_b128 v[10:13], off, off offset:784
	scratch_load_b128 v[14:17], off, off offset:800
	scratch_load_b128 v[18:21], off, off offset:816
	scratch_load_b128 v[22:25], off, off offset:832
	scratch_load_b128 v[26:29], off, off offset:848
	scratch_load_b128 v[30:33], off, off offset:864
	ds_load_b128 v[34:37], v1 offset:1632
	ds_load_b128 v[38:41], v1 offset:1648
	s_mov_b32 s2, exec_lo
	s_waitcnt vmcnt(7) lgkmcnt(1)
	v_mul_f64 v[42:43], v[36:37], v[4:5]
	v_mul_f64 v[4:5], v[34:35], v[4:5]
	s_waitcnt vmcnt(6) lgkmcnt(0)
	v_mul_f64 v[44:45], v[38:39], v[8:9]
	v_mul_f64 v[8:9], v[40:41], v[8:9]
	s_delay_alu instid0(VALU_DEP_4) | instskip(NEXT) | instid1(VALU_DEP_4)
	v_fma_f64 v[42:43], v[34:35], v[2:3], -v[42:43]
	v_fma_f64 v[169:170], v[36:37], v[2:3], v[4:5]
	ds_load_b128 v[2:5], v1 offset:1664
	scratch_load_b128 v[34:37], off, off offset:736
	v_fma_f64 v[40:41], v[40:41], v[6:7], v[44:45]
	v_fma_f64 v[38:39], v[38:39], v[6:7], -v[8:9]
	ds_load_b128 v[6:9], v1 offset:1680
	s_waitcnt vmcnt(6) lgkmcnt(1)
	v_mul_f64 v[172:173], v[2:3], v[12:13]
	v_mul_f64 v[12:13], v[4:5], v[12:13]
	v_add_f64 v[42:43], v[42:43], 0
	v_add_f64 v[44:45], v[169:170], 0
	s_waitcnt vmcnt(5) lgkmcnt(0)
	v_mul_f64 v[169:170], v[6:7], v[16:17]
	v_mul_f64 v[16:17], v[8:9], v[16:17]
	v_fma_f64 v[172:173], v[4:5], v[10:11], v[172:173]
	v_fma_f64 v[10:11], v[2:3], v[10:11], -v[12:13]
	ds_load_b128 v[2:5], v1 offset:1696
	v_add_f64 v[12:13], v[42:43], v[38:39]
	v_add_f64 v[38:39], v[44:45], v[40:41]
	v_fma_f64 v[42:43], v[8:9], v[14:15], v[169:170]
	v_fma_f64 v[14:15], v[6:7], v[14:15], -v[16:17]
	ds_load_b128 v[6:9], v1 offset:1712
	s_waitcnt vmcnt(4) lgkmcnt(1)
	v_mul_f64 v[40:41], v[2:3], v[20:21]
	v_mul_f64 v[20:21], v[4:5], v[20:21]
	s_waitcnt vmcnt(3) lgkmcnt(0)
	v_mul_f64 v[16:17], v[6:7], v[24:25]
	v_mul_f64 v[24:25], v[8:9], v[24:25]
	v_add_f64 v[10:11], v[12:13], v[10:11]
	v_add_f64 v[12:13], v[38:39], v[172:173]
	v_fma_f64 v[38:39], v[4:5], v[18:19], v[40:41]
	v_fma_f64 v[18:19], v[2:3], v[18:19], -v[20:21]
	ds_load_b128 v[2:5], v1 offset:1728
	v_fma_f64 v[16:17], v[8:9], v[22:23], v[16:17]
	v_fma_f64 v[22:23], v[6:7], v[22:23], -v[24:25]
	ds_load_b128 v[6:9], v1 offset:1744
	s_waitcnt vmcnt(2) lgkmcnt(1)
	v_mul_f64 v[20:21], v[4:5], v[28:29]
	v_add_f64 v[10:11], v[10:11], v[14:15]
	v_add_f64 v[12:13], v[12:13], v[42:43]
	v_mul_f64 v[14:15], v[2:3], v[28:29]
	s_waitcnt vmcnt(1) lgkmcnt(0)
	v_mul_f64 v[24:25], v[8:9], v[32:33]
	v_fma_f64 v[1:2], v[2:3], v[26:27], -v[20:21]
	v_add_f64 v[10:11], v[10:11], v[18:19]
	v_add_f64 v[12:13], v[12:13], v[38:39]
	v_mul_f64 v[18:19], v[6:7], v[32:33]
	v_fma_f64 v[4:5], v[4:5], v[26:27], v[14:15]
	v_fma_f64 v[6:7], v[6:7], v[30:31], -v[24:25]
	v_add_f64 v[10:11], v[10:11], v[22:23]
	v_add_f64 v[12:13], v[12:13], v[16:17]
	v_fma_f64 v[8:9], v[8:9], v[30:31], v[18:19]
	s_delay_alu instid0(VALU_DEP_3) | instskip(NEXT) | instid1(VALU_DEP_3)
	v_add_f64 v[1:2], v[10:11], v[1:2]
	v_add_f64 v[3:4], v[12:13], v[4:5]
	s_delay_alu instid0(VALU_DEP_2) | instskip(NEXT) | instid1(VALU_DEP_2)
	v_add_f64 v[1:2], v[1:2], v[6:7]
	v_add_f64 v[3:4], v[3:4], v[8:9]
	s_waitcnt vmcnt(0)
	s_delay_alu instid0(VALU_DEP_2) | instskip(NEXT) | instid1(VALU_DEP_2)
	v_add_f64 v[1:2], v[34:35], -v[1:2]
	v_add_f64 v[3:4], v[36:37], -v[3:4]
	scratch_store_b128 off, v[1:4], off offset:736
	v_cmpx_lt_u32_e32 45, v156
	s_cbranch_execz .LBB54_253
; %bb.252:
	scratch_load_b128 v[1:4], v161, off
	v_mov_b32_e32 v5, 0
	s_delay_alu instid0(VALU_DEP_1)
	v_mov_b32_e32 v6, v5
	v_mov_b32_e32 v7, v5
	;; [unrolled: 1-line block ×3, first 2 shown]
	scratch_store_b128 off, v[5:8], off offset:720
	s_waitcnt vmcnt(0)
	ds_store_b128 v211, v[1:4]
.LBB54_253:
	s_or_b32 exec_lo, exec_lo, s2
	s_waitcnt lgkmcnt(0)
	s_waitcnt_vscnt null, 0x0
	s_barrier
	buffer_gl0_inv
	s_clause 0x7
	scratch_load_b128 v[2:5], off, off offset:736
	scratch_load_b128 v[6:9], off, off offset:752
	;; [unrolled: 1-line block ×8, first 2 shown]
	v_mov_b32_e32 v1, 0
	s_mov_b32 s2, exec_lo
	ds_load_b128 v[34:37], v1 offset:1616
	s_clause 0x1
	scratch_load_b128 v[38:41], off, off offset:864
	scratch_load_b128 v[42:45], off, off offset:720
	ds_load_b128 v[172:175], v1 offset:1632
	s_waitcnt vmcnt(9) lgkmcnt(1)
	v_mul_f64 v[169:170], v[36:37], v[4:5]
	v_mul_f64 v[4:5], v[34:35], v[4:5]
	s_waitcnt vmcnt(8) lgkmcnt(0)
	v_mul_f64 v[176:177], v[172:173], v[8:9]
	v_mul_f64 v[8:9], v[174:175], v[8:9]
	s_delay_alu instid0(VALU_DEP_4) | instskip(NEXT) | instid1(VALU_DEP_4)
	v_fma_f64 v[169:170], v[34:35], v[2:3], -v[169:170]
	v_fma_f64 v[178:179], v[36:37], v[2:3], v[4:5]
	ds_load_b128 v[2:5], v1 offset:1648
	ds_load_b128 v[34:37], v1 offset:1664
	v_fma_f64 v[174:175], v[174:175], v[6:7], v[176:177]
	v_fma_f64 v[6:7], v[172:173], v[6:7], -v[8:9]
	s_waitcnt vmcnt(7) lgkmcnt(1)
	v_mul_f64 v[180:181], v[2:3], v[12:13]
	v_mul_f64 v[12:13], v[4:5], v[12:13]
	s_waitcnt vmcnt(6) lgkmcnt(0)
	v_mul_f64 v[172:173], v[34:35], v[16:17]
	v_mul_f64 v[16:17], v[36:37], v[16:17]
	v_add_f64 v[8:9], v[169:170], 0
	v_add_f64 v[169:170], v[178:179], 0
	v_fma_f64 v[176:177], v[4:5], v[10:11], v[180:181]
	v_fma_f64 v[10:11], v[2:3], v[10:11], -v[12:13]
	v_fma_f64 v[36:37], v[36:37], v[14:15], v[172:173]
	v_fma_f64 v[14:15], v[34:35], v[14:15], -v[16:17]
	v_add_f64 v[12:13], v[8:9], v[6:7]
	v_add_f64 v[169:170], v[169:170], v[174:175]
	ds_load_b128 v[2:5], v1 offset:1680
	ds_load_b128 v[6:9], v1 offset:1696
	s_waitcnt vmcnt(5) lgkmcnt(1)
	v_mul_f64 v[174:175], v[2:3], v[20:21]
	v_mul_f64 v[20:21], v[4:5], v[20:21]
	s_waitcnt vmcnt(4) lgkmcnt(0)
	v_mul_f64 v[16:17], v[6:7], v[24:25]
	v_mul_f64 v[24:25], v[8:9], v[24:25]
	v_add_f64 v[10:11], v[12:13], v[10:11]
	v_add_f64 v[12:13], v[169:170], v[176:177]
	v_fma_f64 v[34:35], v[4:5], v[18:19], v[174:175]
	v_fma_f64 v[18:19], v[2:3], v[18:19], -v[20:21]
	v_fma_f64 v[8:9], v[8:9], v[22:23], v[16:17]
	v_fma_f64 v[6:7], v[6:7], v[22:23], -v[24:25]
	v_add_f64 v[14:15], v[10:11], v[14:15]
	v_add_f64 v[20:21], v[12:13], v[36:37]
	ds_load_b128 v[2:5], v1 offset:1712
	ds_load_b128 v[10:13], v1 offset:1728
	s_waitcnt vmcnt(3) lgkmcnt(1)
	v_mul_f64 v[36:37], v[2:3], v[28:29]
	v_mul_f64 v[28:29], v[4:5], v[28:29]
	v_add_f64 v[14:15], v[14:15], v[18:19]
	v_add_f64 v[16:17], v[20:21], v[34:35]
	s_waitcnt vmcnt(2) lgkmcnt(0)
	v_mul_f64 v[18:19], v[10:11], v[32:33]
	v_mul_f64 v[20:21], v[12:13], v[32:33]
	v_fma_f64 v[22:23], v[4:5], v[26:27], v[36:37]
	v_fma_f64 v[24:25], v[2:3], v[26:27], -v[28:29]
	ds_load_b128 v[2:5], v1 offset:1744
	v_add_f64 v[6:7], v[14:15], v[6:7]
	v_add_f64 v[8:9], v[16:17], v[8:9]
	v_fma_f64 v[12:13], v[12:13], v[30:31], v[18:19]
	v_fma_f64 v[10:11], v[10:11], v[30:31], -v[20:21]
	s_waitcnt vmcnt(1) lgkmcnt(0)
	v_mul_f64 v[14:15], v[2:3], v[40:41]
	v_mul_f64 v[16:17], v[4:5], v[40:41]
	v_add_f64 v[6:7], v[6:7], v[24:25]
	v_add_f64 v[8:9], v[8:9], v[22:23]
	s_delay_alu instid0(VALU_DEP_4) | instskip(NEXT) | instid1(VALU_DEP_4)
	v_fma_f64 v[4:5], v[4:5], v[38:39], v[14:15]
	v_fma_f64 v[2:3], v[2:3], v[38:39], -v[16:17]
	s_delay_alu instid0(VALU_DEP_4) | instskip(NEXT) | instid1(VALU_DEP_4)
	v_add_f64 v[6:7], v[6:7], v[10:11]
	v_add_f64 v[8:9], v[8:9], v[12:13]
	s_delay_alu instid0(VALU_DEP_2) | instskip(NEXT) | instid1(VALU_DEP_2)
	v_add_f64 v[2:3], v[6:7], v[2:3]
	v_add_f64 v[4:5], v[8:9], v[4:5]
	s_waitcnt vmcnt(0)
	s_delay_alu instid0(VALU_DEP_2) | instskip(NEXT) | instid1(VALU_DEP_2)
	v_add_f64 v[2:3], v[42:43], -v[2:3]
	v_add_f64 v[4:5], v[44:45], -v[4:5]
	scratch_store_b128 off, v[2:5], off offset:720
	v_cmpx_lt_u32_e32 44, v156
	s_cbranch_execz .LBB54_255
; %bb.254:
	scratch_load_b128 v[5:8], v163, off
	v_mov_b32_e32 v2, v1
	v_mov_b32_e32 v3, v1
	;; [unrolled: 1-line block ×3, first 2 shown]
	scratch_store_b128 off, v[1:4], off offset:704
	s_waitcnt vmcnt(0)
	ds_store_b128 v211, v[5:8]
.LBB54_255:
	s_or_b32 exec_lo, exec_lo, s2
	s_waitcnt lgkmcnt(0)
	s_waitcnt_vscnt null, 0x0
	s_barrier
	buffer_gl0_inv
	s_clause 0x8
	scratch_load_b128 v[2:5], off, off offset:720
	scratch_load_b128 v[6:9], off, off offset:736
	;; [unrolled: 1-line block ×9, first 2 shown]
	ds_load_b128 v[38:41], v1 offset:1600
	ds_load_b128 v[42:45], v1 offset:1616
	s_clause 0x1
	scratch_load_b128 v[172:175], off, off offset:704
	scratch_load_b128 v[176:179], off, off offset:864
	s_mov_b32 s2, exec_lo
	s_waitcnt vmcnt(10) lgkmcnt(1)
	v_mul_f64 v[169:170], v[40:41], v[4:5]
	v_mul_f64 v[4:5], v[38:39], v[4:5]
	s_waitcnt vmcnt(9) lgkmcnt(0)
	v_mul_f64 v[180:181], v[42:43], v[8:9]
	v_mul_f64 v[8:9], v[44:45], v[8:9]
	s_delay_alu instid0(VALU_DEP_4) | instskip(NEXT) | instid1(VALU_DEP_4)
	v_fma_f64 v[169:170], v[38:39], v[2:3], -v[169:170]
	v_fma_f64 v[182:183], v[40:41], v[2:3], v[4:5]
	ds_load_b128 v[2:5], v1 offset:1632
	ds_load_b128 v[38:41], v1 offset:1648
	v_fma_f64 v[44:45], v[44:45], v[6:7], v[180:181]
	v_fma_f64 v[6:7], v[42:43], v[6:7], -v[8:9]
	s_waitcnt vmcnt(8) lgkmcnt(1)
	v_mul_f64 v[229:230], v[2:3], v[12:13]
	v_mul_f64 v[12:13], v[4:5], v[12:13]
	v_add_f64 v[8:9], v[169:170], 0
	v_add_f64 v[42:43], v[182:183], 0
	s_waitcnt vmcnt(7) lgkmcnt(0)
	v_mul_f64 v[169:170], v[38:39], v[16:17]
	v_mul_f64 v[16:17], v[40:41], v[16:17]
	v_fma_f64 v[180:181], v[4:5], v[10:11], v[229:230]
	v_fma_f64 v[10:11], v[2:3], v[10:11], -v[12:13]
	v_add_f64 v[12:13], v[8:9], v[6:7]
	v_add_f64 v[42:43], v[42:43], v[44:45]
	ds_load_b128 v[2:5], v1 offset:1664
	ds_load_b128 v[6:9], v1 offset:1680
	v_fma_f64 v[40:41], v[40:41], v[14:15], v[169:170]
	v_fma_f64 v[14:15], v[38:39], v[14:15], -v[16:17]
	s_waitcnt vmcnt(6) lgkmcnt(1)
	v_mul_f64 v[44:45], v[2:3], v[20:21]
	v_mul_f64 v[20:21], v[4:5], v[20:21]
	s_waitcnt vmcnt(5) lgkmcnt(0)
	v_mul_f64 v[16:17], v[6:7], v[24:25]
	v_mul_f64 v[24:25], v[8:9], v[24:25]
	v_add_f64 v[10:11], v[12:13], v[10:11]
	v_add_f64 v[12:13], v[42:43], v[180:181]
	v_fma_f64 v[38:39], v[4:5], v[18:19], v[44:45]
	v_fma_f64 v[18:19], v[2:3], v[18:19], -v[20:21]
	v_fma_f64 v[8:9], v[8:9], v[22:23], v[16:17]
	v_fma_f64 v[6:7], v[6:7], v[22:23], -v[24:25]
	v_add_f64 v[14:15], v[10:11], v[14:15]
	v_add_f64 v[20:21], v[12:13], v[40:41]
	ds_load_b128 v[2:5], v1 offset:1696
	ds_load_b128 v[10:13], v1 offset:1712
	s_waitcnt vmcnt(4) lgkmcnt(1)
	v_mul_f64 v[40:41], v[2:3], v[28:29]
	v_mul_f64 v[28:29], v[4:5], v[28:29]
	v_add_f64 v[14:15], v[14:15], v[18:19]
	v_add_f64 v[16:17], v[20:21], v[38:39]
	s_waitcnt vmcnt(3) lgkmcnt(0)
	v_mul_f64 v[18:19], v[10:11], v[32:33]
	v_mul_f64 v[20:21], v[12:13], v[32:33]
	v_fma_f64 v[22:23], v[4:5], v[26:27], v[40:41]
	v_fma_f64 v[24:25], v[2:3], v[26:27], -v[28:29]
	v_add_f64 v[14:15], v[14:15], v[6:7]
	v_add_f64 v[16:17], v[16:17], v[8:9]
	ds_load_b128 v[2:5], v1 offset:1728
	ds_load_b128 v[6:9], v1 offset:1744
	v_fma_f64 v[12:13], v[12:13], v[30:31], v[18:19]
	v_fma_f64 v[10:11], v[10:11], v[30:31], -v[20:21]
	s_waitcnt vmcnt(2) lgkmcnt(1)
	v_mul_f64 v[26:27], v[2:3], v[36:37]
	v_mul_f64 v[28:29], v[4:5], v[36:37]
	s_waitcnt vmcnt(0) lgkmcnt(0)
	v_mul_f64 v[18:19], v[6:7], v[178:179]
	v_mul_f64 v[20:21], v[8:9], v[178:179]
	v_add_f64 v[14:15], v[14:15], v[24:25]
	v_add_f64 v[16:17], v[16:17], v[22:23]
	v_fma_f64 v[4:5], v[4:5], v[34:35], v[26:27]
	v_fma_f64 v[1:2], v[2:3], v[34:35], -v[28:29]
	v_fma_f64 v[8:9], v[8:9], v[176:177], v[18:19]
	v_fma_f64 v[6:7], v[6:7], v[176:177], -v[20:21]
	v_add_f64 v[10:11], v[14:15], v[10:11]
	v_add_f64 v[12:13], v[16:17], v[12:13]
	s_delay_alu instid0(VALU_DEP_2) | instskip(NEXT) | instid1(VALU_DEP_2)
	v_add_f64 v[1:2], v[10:11], v[1:2]
	v_add_f64 v[3:4], v[12:13], v[4:5]
	s_delay_alu instid0(VALU_DEP_2) | instskip(NEXT) | instid1(VALU_DEP_2)
	;; [unrolled: 3-line block ×3, first 2 shown]
	v_add_f64 v[1:2], v[172:173], -v[1:2]
	v_add_f64 v[3:4], v[174:175], -v[3:4]
	scratch_store_b128 off, v[1:4], off offset:704
	v_cmpx_lt_u32_e32 43, v156
	s_cbranch_execz .LBB54_257
; %bb.256:
	scratch_load_b128 v[1:4], v212, off
	v_mov_b32_e32 v5, 0
	s_delay_alu instid0(VALU_DEP_1)
	v_mov_b32_e32 v6, v5
	v_mov_b32_e32 v7, v5
	;; [unrolled: 1-line block ×3, first 2 shown]
	scratch_store_b128 off, v[5:8], off offset:688
	s_waitcnt vmcnt(0)
	ds_store_b128 v211, v[1:4]
.LBB54_257:
	s_or_b32 exec_lo, exec_lo, s2
	s_waitcnt lgkmcnt(0)
	s_waitcnt_vscnt null, 0x0
	s_barrier
	buffer_gl0_inv
	s_clause 0x7
	scratch_load_b128 v[2:5], off, off offset:704
	scratch_load_b128 v[6:9], off, off offset:720
	;; [unrolled: 1-line block ×8, first 2 shown]
	v_mov_b32_e32 v1, 0
	s_mov_b32 s2, exec_lo
	ds_load_b128 v[34:37], v1 offset:1584
	s_clause 0x1
	scratch_load_b128 v[38:41], off, off offset:832
	scratch_load_b128 v[42:45], off, off offset:688
	ds_load_b128 v[172:175], v1 offset:1600
	scratch_load_b128 v[176:179], off, off offset:848
	ds_load_b128 v[180:183], v1 offset:1632
	s_waitcnt vmcnt(10) lgkmcnt(2)
	v_mul_f64 v[169:170], v[36:37], v[4:5]
	v_mul_f64 v[4:5], v[34:35], v[4:5]
	s_delay_alu instid0(VALU_DEP_2) | instskip(NEXT) | instid1(VALU_DEP_2)
	v_fma_f64 v[169:170], v[34:35], v[2:3], -v[169:170]
	v_fma_f64 v[231:232], v[36:37], v[2:3], v[4:5]
	scratch_load_b128 v[34:37], off, off offset:864
	ds_load_b128 v[2:5], v1 offset:1616
	s_waitcnt vmcnt(10) lgkmcnt(2)
	v_mul_f64 v[229:230], v[172:173], v[8:9]
	v_mul_f64 v[8:9], v[174:175], v[8:9]
	s_waitcnt vmcnt(9) lgkmcnt(0)
	v_mul_f64 v[233:234], v[2:3], v[12:13]
	v_mul_f64 v[12:13], v[4:5], v[12:13]
	s_delay_alu instid0(VALU_DEP_4) | instskip(NEXT) | instid1(VALU_DEP_4)
	v_fma_f64 v[174:175], v[174:175], v[6:7], v[229:230]
	v_fma_f64 v[6:7], v[172:173], v[6:7], -v[8:9]
	v_add_f64 v[8:9], v[169:170], 0
	v_add_f64 v[169:170], v[231:232], 0
	s_waitcnt vmcnt(8)
	v_mul_f64 v[172:173], v[180:181], v[16:17]
	v_mul_f64 v[16:17], v[182:183], v[16:17]
	v_fma_f64 v[229:230], v[4:5], v[10:11], v[233:234]
	v_fma_f64 v[10:11], v[2:3], v[10:11], -v[12:13]
	v_add_f64 v[12:13], v[8:9], v[6:7]
	v_add_f64 v[169:170], v[169:170], v[174:175]
	ds_load_b128 v[2:5], v1 offset:1648
	ds_load_b128 v[6:9], v1 offset:1664
	v_fma_f64 v[172:173], v[182:183], v[14:15], v[172:173]
	v_fma_f64 v[14:15], v[180:181], v[14:15], -v[16:17]
	s_waitcnt vmcnt(7) lgkmcnt(1)
	v_mul_f64 v[174:175], v[2:3], v[20:21]
	v_mul_f64 v[20:21], v[4:5], v[20:21]
	s_waitcnt vmcnt(6) lgkmcnt(0)
	v_mul_f64 v[16:17], v[6:7], v[24:25]
	v_mul_f64 v[24:25], v[8:9], v[24:25]
	v_add_f64 v[10:11], v[12:13], v[10:11]
	v_add_f64 v[12:13], v[169:170], v[229:230]
	v_fma_f64 v[169:170], v[4:5], v[18:19], v[174:175]
	v_fma_f64 v[18:19], v[2:3], v[18:19], -v[20:21]
	v_fma_f64 v[8:9], v[8:9], v[22:23], v[16:17]
	v_fma_f64 v[6:7], v[6:7], v[22:23], -v[24:25]
	v_add_f64 v[14:15], v[10:11], v[14:15]
	v_add_f64 v[20:21], v[12:13], v[172:173]
	ds_load_b128 v[2:5], v1 offset:1680
	ds_load_b128 v[10:13], v1 offset:1696
	s_waitcnt vmcnt(5) lgkmcnt(1)
	v_mul_f64 v[172:173], v[2:3], v[28:29]
	v_mul_f64 v[28:29], v[4:5], v[28:29]
	v_add_f64 v[14:15], v[14:15], v[18:19]
	v_add_f64 v[16:17], v[20:21], v[169:170]
	s_waitcnt vmcnt(4) lgkmcnt(0)
	v_mul_f64 v[18:19], v[10:11], v[32:33]
	v_mul_f64 v[20:21], v[12:13], v[32:33]
	v_fma_f64 v[22:23], v[4:5], v[26:27], v[172:173]
	v_fma_f64 v[24:25], v[2:3], v[26:27], -v[28:29]
	v_add_f64 v[14:15], v[14:15], v[6:7]
	v_add_f64 v[16:17], v[16:17], v[8:9]
	ds_load_b128 v[2:5], v1 offset:1712
	ds_load_b128 v[6:9], v1 offset:1728
	v_fma_f64 v[12:13], v[12:13], v[30:31], v[18:19]
	v_fma_f64 v[10:11], v[10:11], v[30:31], -v[20:21]
	s_waitcnt vmcnt(3) lgkmcnt(1)
	v_mul_f64 v[26:27], v[2:3], v[40:41]
	v_mul_f64 v[28:29], v[4:5], v[40:41]
	s_waitcnt vmcnt(1) lgkmcnt(0)
	v_mul_f64 v[18:19], v[6:7], v[178:179]
	v_mul_f64 v[20:21], v[8:9], v[178:179]
	v_add_f64 v[14:15], v[14:15], v[24:25]
	v_add_f64 v[16:17], v[16:17], v[22:23]
	v_fma_f64 v[22:23], v[4:5], v[38:39], v[26:27]
	v_fma_f64 v[24:25], v[2:3], v[38:39], -v[28:29]
	ds_load_b128 v[2:5], v1 offset:1744
	v_fma_f64 v[8:9], v[8:9], v[176:177], v[18:19]
	v_fma_f64 v[6:7], v[6:7], v[176:177], -v[20:21]
	v_add_f64 v[10:11], v[14:15], v[10:11]
	v_add_f64 v[12:13], v[16:17], v[12:13]
	s_waitcnt vmcnt(0) lgkmcnt(0)
	v_mul_f64 v[14:15], v[2:3], v[36:37]
	v_mul_f64 v[16:17], v[4:5], v[36:37]
	s_delay_alu instid0(VALU_DEP_4) | instskip(NEXT) | instid1(VALU_DEP_4)
	v_add_f64 v[10:11], v[10:11], v[24:25]
	v_add_f64 v[12:13], v[12:13], v[22:23]
	s_delay_alu instid0(VALU_DEP_4) | instskip(NEXT) | instid1(VALU_DEP_4)
	v_fma_f64 v[4:5], v[4:5], v[34:35], v[14:15]
	v_fma_f64 v[2:3], v[2:3], v[34:35], -v[16:17]
	s_delay_alu instid0(VALU_DEP_4) | instskip(NEXT) | instid1(VALU_DEP_4)
	v_add_f64 v[6:7], v[10:11], v[6:7]
	v_add_f64 v[8:9], v[12:13], v[8:9]
	s_delay_alu instid0(VALU_DEP_2) | instskip(NEXT) | instid1(VALU_DEP_2)
	v_add_f64 v[2:3], v[6:7], v[2:3]
	v_add_f64 v[4:5], v[8:9], v[4:5]
	s_delay_alu instid0(VALU_DEP_2) | instskip(NEXT) | instid1(VALU_DEP_2)
	v_add_f64 v[2:3], v[42:43], -v[2:3]
	v_add_f64 v[4:5], v[44:45], -v[4:5]
	scratch_store_b128 off, v[2:5], off offset:688
	v_cmpx_lt_u32_e32 42, v156
	s_cbranch_execz .LBB54_259
; %bb.258:
	scratch_load_b128 v[5:8], v213, off
	v_mov_b32_e32 v2, v1
	v_mov_b32_e32 v3, v1
	;; [unrolled: 1-line block ×3, first 2 shown]
	scratch_store_b128 off, v[1:4], off offset:672
	s_waitcnt vmcnt(0)
	ds_store_b128 v211, v[5:8]
.LBB54_259:
	s_or_b32 exec_lo, exec_lo, s2
	s_waitcnt lgkmcnt(0)
	s_waitcnt_vscnt null, 0x0
	s_barrier
	buffer_gl0_inv
	s_clause 0x8
	scratch_load_b128 v[2:5], off, off offset:688
	scratch_load_b128 v[6:9], off, off offset:704
	;; [unrolled: 1-line block ×9, first 2 shown]
	ds_load_b128 v[38:41], v1 offset:1568
	ds_load_b128 v[42:45], v1 offset:1584
	s_clause 0x1
	scratch_load_b128 v[172:175], off, off offset:672
	scratch_load_b128 v[176:179], off, off offset:832
	s_mov_b32 s2, exec_lo
	ds_load_b128 v[180:183], v1 offset:1616
	s_waitcnt vmcnt(10) lgkmcnt(2)
	v_mul_f64 v[169:170], v[40:41], v[4:5]
	v_mul_f64 v[4:5], v[38:39], v[4:5]
	s_waitcnt vmcnt(9) lgkmcnt(1)
	v_mul_f64 v[229:230], v[42:43], v[8:9]
	v_mul_f64 v[8:9], v[44:45], v[8:9]
	s_delay_alu instid0(VALU_DEP_4) | instskip(NEXT) | instid1(VALU_DEP_4)
	v_fma_f64 v[169:170], v[38:39], v[2:3], -v[169:170]
	v_fma_f64 v[231:232], v[40:41], v[2:3], v[4:5]
	ds_load_b128 v[2:5], v1 offset:1600
	scratch_load_b128 v[38:41], off, off offset:848
	v_fma_f64 v[44:45], v[44:45], v[6:7], v[229:230]
	v_fma_f64 v[42:43], v[42:43], v[6:7], -v[8:9]
	scratch_load_b128 v[6:9], off, off offset:864
	s_waitcnt vmcnt(10) lgkmcnt(0)
	v_mul_f64 v[233:234], v[2:3], v[12:13]
	v_mul_f64 v[12:13], v[4:5], v[12:13]
	v_add_f64 v[169:170], v[169:170], 0
	v_add_f64 v[229:230], v[231:232], 0
	s_waitcnt vmcnt(9)
	v_mul_f64 v[231:232], v[180:181], v[16:17]
	v_mul_f64 v[16:17], v[182:183], v[16:17]
	v_fma_f64 v[233:234], v[4:5], v[10:11], v[233:234]
	v_fma_f64 v[235:236], v[2:3], v[10:11], -v[12:13]
	ds_load_b128 v[2:5], v1 offset:1632
	ds_load_b128 v[10:13], v1 offset:1648
	v_add_f64 v[42:43], v[169:170], v[42:43]
	v_add_f64 v[44:45], v[229:230], v[44:45]
	v_fma_f64 v[182:183], v[182:183], v[14:15], v[231:232]
	v_fma_f64 v[14:15], v[180:181], v[14:15], -v[16:17]
	s_waitcnt vmcnt(8) lgkmcnt(1)
	v_mul_f64 v[169:170], v[2:3], v[20:21]
	v_mul_f64 v[20:21], v[4:5], v[20:21]
	v_add_f64 v[16:17], v[42:43], v[235:236]
	v_add_f64 v[42:43], v[44:45], v[233:234]
	s_waitcnt vmcnt(7) lgkmcnt(0)
	v_mul_f64 v[44:45], v[10:11], v[24:25]
	v_mul_f64 v[24:25], v[12:13], v[24:25]
	v_fma_f64 v[169:170], v[4:5], v[18:19], v[169:170]
	v_fma_f64 v[18:19], v[2:3], v[18:19], -v[20:21]
	v_add_f64 v[20:21], v[16:17], v[14:15]
	v_add_f64 v[42:43], v[42:43], v[182:183]
	ds_load_b128 v[2:5], v1 offset:1664
	ds_load_b128 v[14:17], v1 offset:1680
	v_fma_f64 v[12:13], v[12:13], v[22:23], v[44:45]
	v_fma_f64 v[10:11], v[10:11], v[22:23], -v[24:25]
	s_waitcnt vmcnt(6) lgkmcnt(1)
	v_mul_f64 v[180:181], v[2:3], v[28:29]
	v_mul_f64 v[28:29], v[4:5], v[28:29]
	s_waitcnt vmcnt(5) lgkmcnt(0)
	v_mul_f64 v[22:23], v[14:15], v[32:33]
	v_mul_f64 v[24:25], v[16:17], v[32:33]
	v_add_f64 v[18:19], v[20:21], v[18:19]
	v_add_f64 v[20:21], v[42:43], v[169:170]
	v_fma_f64 v[32:33], v[4:5], v[26:27], v[180:181]
	v_fma_f64 v[26:27], v[2:3], v[26:27], -v[28:29]
	v_fma_f64 v[16:17], v[16:17], v[30:31], v[22:23]
	v_fma_f64 v[14:15], v[14:15], v[30:31], -v[24:25]
	v_add_f64 v[18:19], v[18:19], v[10:11]
	v_add_f64 v[20:21], v[20:21], v[12:13]
	ds_load_b128 v[2:5], v1 offset:1696
	ds_load_b128 v[10:13], v1 offset:1712
	s_waitcnt vmcnt(4) lgkmcnt(1)
	v_mul_f64 v[28:29], v[2:3], v[36:37]
	v_mul_f64 v[36:37], v[4:5], v[36:37]
	s_waitcnt vmcnt(2) lgkmcnt(0)
	v_mul_f64 v[22:23], v[10:11], v[178:179]
	v_mul_f64 v[24:25], v[12:13], v[178:179]
	v_add_f64 v[18:19], v[18:19], v[26:27]
	v_add_f64 v[20:21], v[20:21], v[32:33]
	v_fma_f64 v[26:27], v[4:5], v[34:35], v[28:29]
	v_fma_f64 v[28:29], v[2:3], v[34:35], -v[36:37]
	v_fma_f64 v[12:13], v[12:13], v[176:177], v[22:23]
	v_fma_f64 v[10:11], v[10:11], v[176:177], -v[24:25]
	v_add_f64 v[18:19], v[18:19], v[14:15]
	v_add_f64 v[20:21], v[20:21], v[16:17]
	ds_load_b128 v[2:5], v1 offset:1728
	ds_load_b128 v[14:17], v1 offset:1744
	s_waitcnt vmcnt(1) lgkmcnt(1)
	v_mul_f64 v[30:31], v[2:3], v[40:41]
	v_mul_f64 v[32:33], v[4:5], v[40:41]
	s_waitcnt vmcnt(0) lgkmcnt(0)
	v_mul_f64 v[22:23], v[14:15], v[8:9]
	v_mul_f64 v[8:9], v[16:17], v[8:9]
	v_add_f64 v[18:19], v[18:19], v[28:29]
	v_add_f64 v[20:21], v[20:21], v[26:27]
	v_fma_f64 v[4:5], v[4:5], v[38:39], v[30:31]
	v_fma_f64 v[1:2], v[2:3], v[38:39], -v[32:33]
	v_fma_f64 v[16:17], v[16:17], v[6:7], v[22:23]
	v_fma_f64 v[6:7], v[14:15], v[6:7], -v[8:9]
	v_add_f64 v[10:11], v[18:19], v[10:11]
	v_add_f64 v[12:13], v[20:21], v[12:13]
	s_delay_alu instid0(VALU_DEP_2) | instskip(NEXT) | instid1(VALU_DEP_2)
	v_add_f64 v[1:2], v[10:11], v[1:2]
	v_add_f64 v[3:4], v[12:13], v[4:5]
	s_delay_alu instid0(VALU_DEP_2) | instskip(NEXT) | instid1(VALU_DEP_2)
	;; [unrolled: 3-line block ×3, first 2 shown]
	v_add_f64 v[1:2], v[172:173], -v[1:2]
	v_add_f64 v[3:4], v[174:175], -v[3:4]
	scratch_store_b128 off, v[1:4], off offset:672
	v_cmpx_lt_u32_e32 41, v156
	s_cbranch_execz .LBB54_261
; %bb.260:
	scratch_load_b128 v[1:4], v214, off
	v_mov_b32_e32 v5, 0
	s_delay_alu instid0(VALU_DEP_1)
	v_mov_b32_e32 v6, v5
	v_mov_b32_e32 v7, v5
	;; [unrolled: 1-line block ×3, first 2 shown]
	scratch_store_b128 off, v[5:8], off offset:656
	s_waitcnt vmcnt(0)
	ds_store_b128 v211, v[1:4]
.LBB54_261:
	s_or_b32 exec_lo, exec_lo, s2
	s_waitcnt lgkmcnt(0)
	s_waitcnt_vscnt null, 0x0
	s_barrier
	buffer_gl0_inv
	s_clause 0x7
	scratch_load_b128 v[2:5], off, off offset:672
	scratch_load_b128 v[6:9], off, off offset:688
	;; [unrolled: 1-line block ×8, first 2 shown]
	v_mov_b32_e32 v1, 0
	s_mov_b32 s2, exec_lo
	ds_load_b128 v[34:37], v1 offset:1552
	s_clause 0x1
	scratch_load_b128 v[38:41], off, off offset:800
	scratch_load_b128 v[42:45], off, off offset:656
	ds_load_b128 v[172:175], v1 offset:1568
	scratch_load_b128 v[176:179], off, off offset:816
	ds_load_b128 v[180:183], v1 offset:1600
	s_waitcnt vmcnt(10) lgkmcnt(2)
	v_mul_f64 v[169:170], v[36:37], v[4:5]
	v_mul_f64 v[4:5], v[34:35], v[4:5]
	s_delay_alu instid0(VALU_DEP_2) | instskip(NEXT) | instid1(VALU_DEP_2)
	v_fma_f64 v[169:170], v[34:35], v[2:3], -v[169:170]
	v_fma_f64 v[231:232], v[36:37], v[2:3], v[4:5]
	ds_load_b128 v[2:5], v1 offset:1584
	s_waitcnt vmcnt(9) lgkmcnt(2)
	v_mul_f64 v[229:230], v[172:173], v[8:9]
	v_mul_f64 v[8:9], v[174:175], v[8:9]
	scratch_load_b128 v[34:37], off, off offset:832
	s_waitcnt vmcnt(9) lgkmcnt(0)
	v_mul_f64 v[233:234], v[2:3], v[12:13]
	v_mul_f64 v[12:13], v[4:5], v[12:13]
	v_add_f64 v[169:170], v[169:170], 0
	v_fma_f64 v[174:175], v[174:175], v[6:7], v[229:230]
	v_fma_f64 v[172:173], v[172:173], v[6:7], -v[8:9]
	v_add_f64 v[229:230], v[231:232], 0
	scratch_load_b128 v[6:9], off, off offset:848
	v_fma_f64 v[233:234], v[4:5], v[10:11], v[233:234]
	v_fma_f64 v[235:236], v[2:3], v[10:11], -v[12:13]
	scratch_load_b128 v[10:13], off, off offset:864
	ds_load_b128 v[2:5], v1 offset:1616
	s_waitcnt vmcnt(10)
	v_mul_f64 v[231:232], v[180:181], v[16:17]
	v_mul_f64 v[16:17], v[182:183], v[16:17]
	v_add_f64 v[169:170], v[169:170], v[172:173]
	v_add_f64 v[229:230], v[229:230], v[174:175]
	ds_load_b128 v[172:175], v1 offset:1632
	s_waitcnt vmcnt(9) lgkmcnt(1)
	v_mul_f64 v[237:238], v[2:3], v[20:21]
	v_mul_f64 v[20:21], v[4:5], v[20:21]
	v_fma_f64 v[182:183], v[182:183], v[14:15], v[231:232]
	v_fma_f64 v[14:15], v[180:181], v[14:15], -v[16:17]
	s_waitcnt vmcnt(8) lgkmcnt(0)
	v_mul_f64 v[180:181], v[172:173], v[24:25]
	v_mul_f64 v[24:25], v[174:175], v[24:25]
	v_add_f64 v[16:17], v[169:170], v[235:236]
	v_add_f64 v[169:170], v[229:230], v[233:234]
	v_fma_f64 v[229:230], v[4:5], v[18:19], v[237:238]
	v_fma_f64 v[18:19], v[2:3], v[18:19], -v[20:21]
	v_fma_f64 v[174:175], v[174:175], v[22:23], v[180:181]
	v_fma_f64 v[22:23], v[172:173], v[22:23], -v[24:25]
	v_add_f64 v[20:21], v[16:17], v[14:15]
	v_add_f64 v[169:170], v[169:170], v[182:183]
	ds_load_b128 v[2:5], v1 offset:1648
	ds_load_b128 v[14:17], v1 offset:1664
	s_waitcnt vmcnt(7) lgkmcnt(1)
	v_mul_f64 v[182:183], v[2:3], v[28:29]
	v_mul_f64 v[28:29], v[4:5], v[28:29]
	s_waitcnt vmcnt(6) lgkmcnt(0)
	v_mul_f64 v[24:25], v[14:15], v[32:33]
	v_mul_f64 v[32:33], v[16:17], v[32:33]
	v_add_f64 v[18:19], v[20:21], v[18:19]
	v_add_f64 v[20:21], v[169:170], v[229:230]
	v_fma_f64 v[169:170], v[4:5], v[26:27], v[182:183]
	v_fma_f64 v[26:27], v[2:3], v[26:27], -v[28:29]
	v_fma_f64 v[16:17], v[16:17], v[30:31], v[24:25]
	v_fma_f64 v[14:15], v[14:15], v[30:31], -v[32:33]
	v_add_f64 v[22:23], v[18:19], v[22:23]
	v_add_f64 v[28:29], v[20:21], v[174:175]
	ds_load_b128 v[2:5], v1 offset:1680
	ds_load_b128 v[18:21], v1 offset:1696
	s_waitcnt vmcnt(5) lgkmcnt(1)
	v_mul_f64 v[172:173], v[2:3], v[40:41]
	v_mul_f64 v[40:41], v[4:5], v[40:41]
	v_add_f64 v[22:23], v[22:23], v[26:27]
	v_add_f64 v[24:25], v[28:29], v[169:170]
	s_waitcnt vmcnt(3) lgkmcnt(0)
	v_mul_f64 v[26:27], v[18:19], v[178:179]
	v_mul_f64 v[28:29], v[20:21], v[178:179]
	v_fma_f64 v[30:31], v[4:5], v[38:39], v[172:173]
	v_fma_f64 v[32:33], v[2:3], v[38:39], -v[40:41]
	v_add_f64 v[22:23], v[22:23], v[14:15]
	v_add_f64 v[24:25], v[24:25], v[16:17]
	ds_load_b128 v[2:5], v1 offset:1712
	ds_load_b128 v[14:17], v1 offset:1728
	v_fma_f64 v[20:21], v[20:21], v[176:177], v[26:27]
	v_fma_f64 v[18:19], v[18:19], v[176:177], -v[28:29]
	s_waitcnt vmcnt(2) lgkmcnt(1)
	v_mul_f64 v[38:39], v[2:3], v[36:37]
	v_mul_f64 v[36:37], v[4:5], v[36:37]
	v_add_f64 v[22:23], v[22:23], v[32:33]
	v_add_f64 v[24:25], v[24:25], v[30:31]
	s_waitcnt vmcnt(1) lgkmcnt(0)
	v_mul_f64 v[26:27], v[14:15], v[8:9]
	v_mul_f64 v[8:9], v[16:17], v[8:9]
	v_fma_f64 v[28:29], v[4:5], v[34:35], v[38:39]
	v_fma_f64 v[30:31], v[2:3], v[34:35], -v[36:37]
	ds_load_b128 v[2:5], v1 offset:1744
	v_add_f64 v[18:19], v[22:23], v[18:19]
	v_add_f64 v[20:21], v[24:25], v[20:21]
	s_waitcnt vmcnt(0) lgkmcnt(0)
	v_mul_f64 v[22:23], v[2:3], v[12:13]
	v_mul_f64 v[12:13], v[4:5], v[12:13]
	v_fma_f64 v[16:17], v[16:17], v[6:7], v[26:27]
	v_fma_f64 v[6:7], v[14:15], v[6:7], -v[8:9]
	v_add_f64 v[8:9], v[18:19], v[30:31]
	v_add_f64 v[14:15], v[20:21], v[28:29]
	v_fma_f64 v[4:5], v[4:5], v[10:11], v[22:23]
	v_fma_f64 v[2:3], v[2:3], v[10:11], -v[12:13]
	s_delay_alu instid0(VALU_DEP_4) | instskip(NEXT) | instid1(VALU_DEP_4)
	v_add_f64 v[6:7], v[8:9], v[6:7]
	v_add_f64 v[8:9], v[14:15], v[16:17]
	s_delay_alu instid0(VALU_DEP_2) | instskip(NEXT) | instid1(VALU_DEP_2)
	v_add_f64 v[2:3], v[6:7], v[2:3]
	v_add_f64 v[4:5], v[8:9], v[4:5]
	s_delay_alu instid0(VALU_DEP_2) | instskip(NEXT) | instid1(VALU_DEP_2)
	v_add_f64 v[2:3], v[42:43], -v[2:3]
	v_add_f64 v[4:5], v[44:45], -v[4:5]
	scratch_store_b128 off, v[2:5], off offset:656
	v_cmpx_lt_u32_e32 40, v156
	s_cbranch_execz .LBB54_263
; %bb.262:
	scratch_load_b128 v[5:8], v215, off
	v_mov_b32_e32 v2, v1
	v_mov_b32_e32 v3, v1
	;; [unrolled: 1-line block ×3, first 2 shown]
	scratch_store_b128 off, v[1:4], off offset:640
	s_waitcnt vmcnt(0)
	ds_store_b128 v211, v[5:8]
.LBB54_263:
	s_or_b32 exec_lo, exec_lo, s2
	s_waitcnt lgkmcnt(0)
	s_waitcnt_vscnt null, 0x0
	s_barrier
	buffer_gl0_inv
	s_clause 0x8
	scratch_load_b128 v[2:5], off, off offset:656
	scratch_load_b128 v[6:9], off, off offset:672
	;; [unrolled: 1-line block ×9, first 2 shown]
	ds_load_b128 v[38:41], v1 offset:1536
	ds_load_b128 v[42:45], v1 offset:1552
	s_clause 0x1
	scratch_load_b128 v[172:175], off, off offset:640
	scratch_load_b128 v[176:179], off, off offset:800
	s_mov_b32 s2, exec_lo
	ds_load_b128 v[180:183], v1 offset:1584
	s_waitcnt vmcnt(10) lgkmcnt(2)
	v_mul_f64 v[169:170], v[40:41], v[4:5]
	v_mul_f64 v[4:5], v[38:39], v[4:5]
	s_waitcnt vmcnt(9) lgkmcnt(1)
	v_mul_f64 v[229:230], v[42:43], v[8:9]
	v_mul_f64 v[8:9], v[44:45], v[8:9]
	s_delay_alu instid0(VALU_DEP_4) | instskip(NEXT) | instid1(VALU_DEP_4)
	v_fma_f64 v[169:170], v[38:39], v[2:3], -v[169:170]
	v_fma_f64 v[231:232], v[40:41], v[2:3], v[4:5]
	ds_load_b128 v[2:5], v1 offset:1568
	scratch_load_b128 v[38:41], off, off offset:816
	v_fma_f64 v[44:45], v[44:45], v[6:7], v[229:230]
	v_fma_f64 v[42:43], v[42:43], v[6:7], -v[8:9]
	scratch_load_b128 v[6:9], off, off offset:832
	s_waitcnt vmcnt(10) lgkmcnt(0)
	v_mul_f64 v[233:234], v[2:3], v[12:13]
	v_mul_f64 v[12:13], v[4:5], v[12:13]
	v_add_f64 v[169:170], v[169:170], 0
	v_add_f64 v[229:230], v[231:232], 0
	s_waitcnt vmcnt(9)
	v_mul_f64 v[231:232], v[180:181], v[16:17]
	v_mul_f64 v[16:17], v[182:183], v[16:17]
	v_fma_f64 v[233:234], v[4:5], v[10:11], v[233:234]
	v_fma_f64 v[235:236], v[2:3], v[10:11], -v[12:13]
	ds_load_b128 v[2:5], v1 offset:1600
	scratch_load_b128 v[10:13], off, off offset:848
	v_add_f64 v[169:170], v[169:170], v[42:43]
	v_add_f64 v[229:230], v[229:230], v[44:45]
	ds_load_b128 v[42:45], v1 offset:1616
	v_fma_f64 v[182:183], v[182:183], v[14:15], v[231:232]
	v_fma_f64 v[180:181], v[180:181], v[14:15], -v[16:17]
	scratch_load_b128 v[14:17], off, off offset:864
	s_waitcnt vmcnt(10) lgkmcnt(1)
	v_mul_f64 v[237:238], v[2:3], v[20:21]
	v_mul_f64 v[20:21], v[4:5], v[20:21]
	s_waitcnt vmcnt(9) lgkmcnt(0)
	v_mul_f64 v[231:232], v[42:43], v[24:25]
	v_mul_f64 v[24:25], v[44:45], v[24:25]
	v_add_f64 v[169:170], v[169:170], v[235:236]
	v_add_f64 v[229:230], v[229:230], v[233:234]
	v_fma_f64 v[233:234], v[4:5], v[18:19], v[237:238]
	v_fma_f64 v[235:236], v[2:3], v[18:19], -v[20:21]
	ds_load_b128 v[2:5], v1 offset:1632
	ds_load_b128 v[18:21], v1 offset:1648
	v_fma_f64 v[44:45], v[44:45], v[22:23], v[231:232]
	v_fma_f64 v[22:23], v[42:43], v[22:23], -v[24:25]
	v_add_f64 v[169:170], v[169:170], v[180:181]
	v_add_f64 v[180:181], v[229:230], v[182:183]
	s_waitcnt vmcnt(8) lgkmcnt(1)
	v_mul_f64 v[182:183], v[2:3], v[28:29]
	v_mul_f64 v[28:29], v[4:5], v[28:29]
	s_delay_alu instid0(VALU_DEP_4) | instskip(NEXT) | instid1(VALU_DEP_4)
	v_add_f64 v[24:25], v[169:170], v[235:236]
	v_add_f64 v[42:43], v[180:181], v[233:234]
	s_waitcnt vmcnt(7) lgkmcnt(0)
	v_mul_f64 v[169:170], v[18:19], v[32:33]
	v_mul_f64 v[32:33], v[20:21], v[32:33]
	v_fma_f64 v[180:181], v[4:5], v[26:27], v[182:183]
	v_fma_f64 v[26:27], v[2:3], v[26:27], -v[28:29]
	v_add_f64 v[28:29], v[24:25], v[22:23]
	v_add_f64 v[42:43], v[42:43], v[44:45]
	ds_load_b128 v[2:5], v1 offset:1664
	ds_load_b128 v[22:25], v1 offset:1680
	v_fma_f64 v[20:21], v[20:21], v[30:31], v[169:170]
	v_fma_f64 v[18:19], v[18:19], v[30:31], -v[32:33]
	s_waitcnt vmcnt(6) lgkmcnt(1)
	v_mul_f64 v[44:45], v[2:3], v[36:37]
	v_mul_f64 v[36:37], v[4:5], v[36:37]
	s_waitcnt vmcnt(4) lgkmcnt(0)
	v_mul_f64 v[30:31], v[22:23], v[178:179]
	v_mul_f64 v[32:33], v[24:25], v[178:179]
	v_add_f64 v[26:27], v[28:29], v[26:27]
	v_add_f64 v[28:29], v[42:43], v[180:181]
	v_fma_f64 v[42:43], v[4:5], v[34:35], v[44:45]
	v_fma_f64 v[34:35], v[2:3], v[34:35], -v[36:37]
	v_fma_f64 v[24:25], v[24:25], v[176:177], v[30:31]
	v_fma_f64 v[22:23], v[22:23], v[176:177], -v[32:33]
	v_add_f64 v[26:27], v[26:27], v[18:19]
	v_add_f64 v[28:29], v[28:29], v[20:21]
	ds_load_b128 v[2:5], v1 offset:1696
	ds_load_b128 v[18:21], v1 offset:1712
	s_waitcnt vmcnt(3) lgkmcnt(1)
	v_mul_f64 v[36:37], v[2:3], v[40:41]
	v_mul_f64 v[40:41], v[4:5], v[40:41]
	s_waitcnt vmcnt(2) lgkmcnt(0)
	v_mul_f64 v[30:31], v[18:19], v[8:9]
	v_mul_f64 v[8:9], v[20:21], v[8:9]
	v_add_f64 v[26:27], v[26:27], v[34:35]
	v_add_f64 v[28:29], v[28:29], v[42:43]
	v_fma_f64 v[32:33], v[4:5], v[38:39], v[36:37]
	v_fma_f64 v[34:35], v[2:3], v[38:39], -v[40:41]
	v_fma_f64 v[20:21], v[20:21], v[6:7], v[30:31]
	v_fma_f64 v[6:7], v[18:19], v[6:7], -v[8:9]
	v_add_f64 v[26:27], v[26:27], v[22:23]
	v_add_f64 v[28:29], v[28:29], v[24:25]
	ds_load_b128 v[2:5], v1 offset:1728
	ds_load_b128 v[22:25], v1 offset:1744
	s_waitcnt vmcnt(1) lgkmcnt(1)
	v_mul_f64 v[36:37], v[2:3], v[12:13]
	v_mul_f64 v[12:13], v[4:5], v[12:13]
	v_add_f64 v[8:9], v[26:27], v[34:35]
	v_add_f64 v[18:19], v[28:29], v[32:33]
	s_waitcnt vmcnt(0) lgkmcnt(0)
	v_mul_f64 v[26:27], v[22:23], v[16:17]
	v_mul_f64 v[16:17], v[24:25], v[16:17]
	v_fma_f64 v[4:5], v[4:5], v[10:11], v[36:37]
	v_fma_f64 v[1:2], v[2:3], v[10:11], -v[12:13]
	v_add_f64 v[6:7], v[8:9], v[6:7]
	v_add_f64 v[8:9], v[18:19], v[20:21]
	v_fma_f64 v[10:11], v[24:25], v[14:15], v[26:27]
	v_fma_f64 v[12:13], v[22:23], v[14:15], -v[16:17]
	s_delay_alu instid0(VALU_DEP_4) | instskip(NEXT) | instid1(VALU_DEP_4)
	v_add_f64 v[1:2], v[6:7], v[1:2]
	v_add_f64 v[3:4], v[8:9], v[4:5]
	s_delay_alu instid0(VALU_DEP_2) | instskip(NEXT) | instid1(VALU_DEP_2)
	v_add_f64 v[1:2], v[1:2], v[12:13]
	v_add_f64 v[3:4], v[3:4], v[10:11]
	s_delay_alu instid0(VALU_DEP_2) | instskip(NEXT) | instid1(VALU_DEP_2)
	v_add_f64 v[1:2], v[172:173], -v[1:2]
	v_add_f64 v[3:4], v[174:175], -v[3:4]
	scratch_store_b128 off, v[1:4], off offset:640
	v_cmpx_lt_u32_e32 39, v156
	s_cbranch_execz .LBB54_265
; %bb.264:
	scratch_load_b128 v[1:4], v216, off
	v_mov_b32_e32 v5, 0
	s_delay_alu instid0(VALU_DEP_1)
	v_mov_b32_e32 v6, v5
	v_mov_b32_e32 v7, v5
	;; [unrolled: 1-line block ×3, first 2 shown]
	scratch_store_b128 off, v[5:8], off offset:624
	s_waitcnt vmcnt(0)
	ds_store_b128 v211, v[1:4]
.LBB54_265:
	s_or_b32 exec_lo, exec_lo, s2
	s_waitcnt lgkmcnt(0)
	s_waitcnt_vscnt null, 0x0
	s_barrier
	buffer_gl0_inv
	s_clause 0x7
	scratch_load_b128 v[2:5], off, off offset:640
	scratch_load_b128 v[6:9], off, off offset:656
	;; [unrolled: 1-line block ×8, first 2 shown]
	v_mov_b32_e32 v1, 0
	s_mov_b32 s2, exec_lo
	ds_load_b128 v[34:37], v1 offset:1520
	s_clause 0x1
	scratch_load_b128 v[38:41], off, off offset:768
	scratch_load_b128 v[42:45], off, off offset:624
	ds_load_b128 v[172:175], v1 offset:1536
	scratch_load_b128 v[176:179], off, off offset:784
	ds_load_b128 v[180:183], v1 offset:1568
	s_waitcnt vmcnt(10) lgkmcnt(2)
	v_mul_f64 v[169:170], v[36:37], v[4:5]
	v_mul_f64 v[4:5], v[34:35], v[4:5]
	s_delay_alu instid0(VALU_DEP_2) | instskip(NEXT) | instid1(VALU_DEP_2)
	v_fma_f64 v[169:170], v[34:35], v[2:3], -v[169:170]
	v_fma_f64 v[231:232], v[36:37], v[2:3], v[4:5]
	ds_load_b128 v[2:5], v1 offset:1552
	s_waitcnt vmcnt(9) lgkmcnt(2)
	v_mul_f64 v[229:230], v[172:173], v[8:9]
	v_mul_f64 v[8:9], v[174:175], v[8:9]
	scratch_load_b128 v[34:37], off, off offset:800
	s_waitcnt vmcnt(9) lgkmcnt(0)
	v_mul_f64 v[233:234], v[2:3], v[12:13]
	v_mul_f64 v[12:13], v[4:5], v[12:13]
	v_add_f64 v[169:170], v[169:170], 0
	v_fma_f64 v[174:175], v[174:175], v[6:7], v[229:230]
	v_fma_f64 v[172:173], v[172:173], v[6:7], -v[8:9]
	v_add_f64 v[229:230], v[231:232], 0
	scratch_load_b128 v[6:9], off, off offset:816
	v_fma_f64 v[233:234], v[4:5], v[10:11], v[233:234]
	v_fma_f64 v[235:236], v[2:3], v[10:11], -v[12:13]
	scratch_load_b128 v[10:13], off, off offset:832
	ds_load_b128 v[2:5], v1 offset:1584
	s_waitcnt vmcnt(10)
	v_mul_f64 v[231:232], v[180:181], v[16:17]
	v_mul_f64 v[16:17], v[182:183], v[16:17]
	v_add_f64 v[169:170], v[169:170], v[172:173]
	v_add_f64 v[229:230], v[229:230], v[174:175]
	ds_load_b128 v[172:175], v1 offset:1600
	s_waitcnt vmcnt(9) lgkmcnt(1)
	v_mul_f64 v[237:238], v[2:3], v[20:21]
	v_mul_f64 v[20:21], v[4:5], v[20:21]
	v_fma_f64 v[182:183], v[182:183], v[14:15], v[231:232]
	v_fma_f64 v[180:181], v[180:181], v[14:15], -v[16:17]
	scratch_load_b128 v[14:17], off, off offset:848
	v_add_f64 v[169:170], v[169:170], v[235:236]
	v_add_f64 v[229:230], v[229:230], v[233:234]
	v_fma_f64 v[233:234], v[4:5], v[18:19], v[237:238]
	v_fma_f64 v[235:236], v[2:3], v[18:19], -v[20:21]
	scratch_load_b128 v[18:21], off, off offset:864
	ds_load_b128 v[2:5], v1 offset:1616
	s_waitcnt vmcnt(10) lgkmcnt(1)
	v_mul_f64 v[231:232], v[172:173], v[24:25]
	v_mul_f64 v[24:25], v[174:175], v[24:25]
	s_waitcnt vmcnt(9) lgkmcnt(0)
	v_mul_f64 v[237:238], v[2:3], v[28:29]
	v_mul_f64 v[28:29], v[4:5], v[28:29]
	v_add_f64 v[169:170], v[169:170], v[180:181]
	v_add_f64 v[229:230], v[229:230], v[182:183]
	ds_load_b128 v[180:183], v1 offset:1632
	v_fma_f64 v[174:175], v[174:175], v[22:23], v[231:232]
	v_fma_f64 v[22:23], v[172:173], v[22:23], -v[24:25]
	s_waitcnt vmcnt(8) lgkmcnt(0)
	v_mul_f64 v[172:173], v[180:181], v[32:33]
	v_mul_f64 v[32:33], v[182:183], v[32:33]
	v_add_f64 v[24:25], v[169:170], v[235:236]
	v_add_f64 v[169:170], v[229:230], v[233:234]
	v_fma_f64 v[229:230], v[4:5], v[26:27], v[237:238]
	v_fma_f64 v[26:27], v[2:3], v[26:27], -v[28:29]
	v_fma_f64 v[172:173], v[182:183], v[30:31], v[172:173]
	v_fma_f64 v[30:31], v[180:181], v[30:31], -v[32:33]
	v_add_f64 v[28:29], v[24:25], v[22:23]
	v_add_f64 v[169:170], v[169:170], v[174:175]
	ds_load_b128 v[2:5], v1 offset:1648
	ds_load_b128 v[22:25], v1 offset:1664
	s_waitcnt vmcnt(7) lgkmcnt(1)
	v_mul_f64 v[174:175], v[2:3], v[40:41]
	v_mul_f64 v[40:41], v[4:5], v[40:41]
	s_waitcnt vmcnt(5) lgkmcnt(0)
	v_mul_f64 v[32:33], v[22:23], v[178:179]
	v_add_f64 v[26:27], v[28:29], v[26:27]
	v_add_f64 v[28:29], v[169:170], v[229:230]
	v_mul_f64 v[169:170], v[24:25], v[178:179]
	v_fma_f64 v[174:175], v[4:5], v[38:39], v[174:175]
	v_fma_f64 v[38:39], v[2:3], v[38:39], -v[40:41]
	v_fma_f64 v[24:25], v[24:25], v[176:177], v[32:33]
	v_add_f64 v[30:31], v[26:27], v[30:31]
	v_add_f64 v[40:41], v[28:29], v[172:173]
	ds_load_b128 v[2:5], v1 offset:1680
	ds_load_b128 v[26:29], v1 offset:1696
	v_fma_f64 v[22:23], v[22:23], v[176:177], -v[169:170]
	s_waitcnt vmcnt(4) lgkmcnt(1)
	v_mul_f64 v[172:173], v[2:3], v[36:37]
	v_mul_f64 v[36:37], v[4:5], v[36:37]
	v_add_f64 v[30:31], v[30:31], v[38:39]
	v_add_f64 v[32:33], v[40:41], v[174:175]
	s_waitcnt vmcnt(3) lgkmcnt(0)
	v_mul_f64 v[38:39], v[26:27], v[8:9]
	v_mul_f64 v[8:9], v[28:29], v[8:9]
	v_fma_f64 v[40:41], v[4:5], v[34:35], v[172:173]
	v_fma_f64 v[34:35], v[2:3], v[34:35], -v[36:37]
	v_add_f64 v[30:31], v[30:31], v[22:23]
	v_add_f64 v[32:33], v[32:33], v[24:25]
	ds_load_b128 v[2:5], v1 offset:1712
	ds_load_b128 v[22:25], v1 offset:1728
	v_fma_f64 v[28:29], v[28:29], v[6:7], v[38:39]
	v_fma_f64 v[6:7], v[26:27], v[6:7], -v[8:9]
	s_waitcnt vmcnt(2) lgkmcnt(1)
	v_mul_f64 v[36:37], v[2:3], v[12:13]
	v_mul_f64 v[12:13], v[4:5], v[12:13]
	v_add_f64 v[8:9], v[30:31], v[34:35]
	v_add_f64 v[26:27], v[32:33], v[40:41]
	s_waitcnt vmcnt(1) lgkmcnt(0)
	v_mul_f64 v[30:31], v[22:23], v[16:17]
	v_mul_f64 v[16:17], v[24:25], v[16:17]
	v_fma_f64 v[32:33], v[4:5], v[10:11], v[36:37]
	v_fma_f64 v[10:11], v[2:3], v[10:11], -v[12:13]
	ds_load_b128 v[2:5], v1 offset:1744
	v_add_f64 v[6:7], v[8:9], v[6:7]
	v_add_f64 v[8:9], v[26:27], v[28:29]
	v_fma_f64 v[24:25], v[24:25], v[14:15], v[30:31]
	v_fma_f64 v[14:15], v[22:23], v[14:15], -v[16:17]
	s_waitcnt vmcnt(0) lgkmcnt(0)
	v_mul_f64 v[12:13], v[2:3], v[20:21]
	v_mul_f64 v[20:21], v[4:5], v[20:21]
	v_add_f64 v[6:7], v[6:7], v[10:11]
	v_add_f64 v[8:9], v[8:9], v[32:33]
	s_delay_alu instid0(VALU_DEP_4) | instskip(NEXT) | instid1(VALU_DEP_4)
	v_fma_f64 v[4:5], v[4:5], v[18:19], v[12:13]
	v_fma_f64 v[2:3], v[2:3], v[18:19], -v[20:21]
	s_delay_alu instid0(VALU_DEP_4) | instskip(NEXT) | instid1(VALU_DEP_4)
	v_add_f64 v[6:7], v[6:7], v[14:15]
	v_add_f64 v[8:9], v[8:9], v[24:25]
	s_delay_alu instid0(VALU_DEP_2) | instskip(NEXT) | instid1(VALU_DEP_2)
	v_add_f64 v[2:3], v[6:7], v[2:3]
	v_add_f64 v[4:5], v[8:9], v[4:5]
	s_delay_alu instid0(VALU_DEP_2) | instskip(NEXT) | instid1(VALU_DEP_2)
	v_add_f64 v[2:3], v[42:43], -v[2:3]
	v_add_f64 v[4:5], v[44:45], -v[4:5]
	scratch_store_b128 off, v[2:5], off offset:624
	v_cmpx_lt_u32_e32 38, v156
	s_cbranch_execz .LBB54_267
; %bb.266:
	scratch_load_b128 v[5:8], v217, off
	v_mov_b32_e32 v2, v1
	v_mov_b32_e32 v3, v1
	;; [unrolled: 1-line block ×3, first 2 shown]
	scratch_store_b128 off, v[1:4], off offset:608
	s_waitcnt vmcnt(0)
	ds_store_b128 v211, v[5:8]
.LBB54_267:
	s_or_b32 exec_lo, exec_lo, s2
	s_waitcnt lgkmcnt(0)
	s_waitcnt_vscnt null, 0x0
	s_barrier
	buffer_gl0_inv
	s_clause 0x8
	scratch_load_b128 v[2:5], off, off offset:624
	scratch_load_b128 v[6:9], off, off offset:640
	;; [unrolled: 1-line block ×9, first 2 shown]
	ds_load_b128 v[38:41], v1 offset:1504
	ds_load_b128 v[42:45], v1 offset:1520
	s_clause 0x1
	scratch_load_b128 v[172:175], off, off offset:608
	scratch_load_b128 v[176:179], off, off offset:768
	s_mov_b32 s2, exec_lo
	ds_load_b128 v[180:183], v1 offset:1552
	s_waitcnt vmcnt(10) lgkmcnt(2)
	v_mul_f64 v[169:170], v[40:41], v[4:5]
	v_mul_f64 v[4:5], v[38:39], v[4:5]
	s_waitcnt vmcnt(9) lgkmcnt(1)
	v_mul_f64 v[229:230], v[42:43], v[8:9]
	v_mul_f64 v[8:9], v[44:45], v[8:9]
	s_delay_alu instid0(VALU_DEP_4) | instskip(NEXT) | instid1(VALU_DEP_4)
	v_fma_f64 v[169:170], v[38:39], v[2:3], -v[169:170]
	v_fma_f64 v[231:232], v[40:41], v[2:3], v[4:5]
	ds_load_b128 v[2:5], v1 offset:1536
	scratch_load_b128 v[38:41], off, off offset:784
	v_fma_f64 v[44:45], v[44:45], v[6:7], v[229:230]
	v_fma_f64 v[42:43], v[42:43], v[6:7], -v[8:9]
	scratch_load_b128 v[6:9], off, off offset:800
	s_waitcnt vmcnt(10) lgkmcnt(0)
	v_mul_f64 v[233:234], v[2:3], v[12:13]
	v_mul_f64 v[12:13], v[4:5], v[12:13]
	v_add_f64 v[169:170], v[169:170], 0
	v_add_f64 v[229:230], v[231:232], 0
	s_waitcnt vmcnt(9)
	v_mul_f64 v[231:232], v[180:181], v[16:17]
	v_mul_f64 v[16:17], v[182:183], v[16:17]
	v_fma_f64 v[233:234], v[4:5], v[10:11], v[233:234]
	v_fma_f64 v[235:236], v[2:3], v[10:11], -v[12:13]
	ds_load_b128 v[2:5], v1 offset:1568
	scratch_load_b128 v[10:13], off, off offset:816
	v_add_f64 v[169:170], v[169:170], v[42:43]
	v_add_f64 v[229:230], v[229:230], v[44:45]
	ds_load_b128 v[42:45], v1 offset:1584
	v_fma_f64 v[182:183], v[182:183], v[14:15], v[231:232]
	v_fma_f64 v[180:181], v[180:181], v[14:15], -v[16:17]
	scratch_load_b128 v[14:17], off, off offset:832
	s_waitcnt vmcnt(10) lgkmcnt(1)
	v_mul_f64 v[237:238], v[2:3], v[20:21]
	v_mul_f64 v[20:21], v[4:5], v[20:21]
	s_waitcnt vmcnt(9) lgkmcnt(0)
	v_mul_f64 v[231:232], v[42:43], v[24:25]
	v_mul_f64 v[24:25], v[44:45], v[24:25]
	v_add_f64 v[169:170], v[169:170], v[235:236]
	v_add_f64 v[229:230], v[229:230], v[233:234]
	v_fma_f64 v[233:234], v[4:5], v[18:19], v[237:238]
	v_fma_f64 v[235:236], v[2:3], v[18:19], -v[20:21]
	ds_load_b128 v[2:5], v1 offset:1600
	scratch_load_b128 v[18:21], off, off offset:848
	v_fma_f64 v[44:45], v[44:45], v[22:23], v[231:232]
	v_fma_f64 v[42:43], v[42:43], v[22:23], -v[24:25]
	scratch_load_b128 v[22:25], off, off offset:864
	v_add_f64 v[169:170], v[169:170], v[180:181]
	v_add_f64 v[229:230], v[229:230], v[182:183]
	ds_load_b128 v[180:183], v1 offset:1616
	s_waitcnt vmcnt(10) lgkmcnt(1)
	v_mul_f64 v[237:238], v[2:3], v[28:29]
	v_mul_f64 v[28:29], v[4:5], v[28:29]
	s_waitcnt vmcnt(9) lgkmcnt(0)
	v_mul_f64 v[231:232], v[180:181], v[32:33]
	v_mul_f64 v[32:33], v[182:183], v[32:33]
	v_add_f64 v[169:170], v[169:170], v[235:236]
	v_add_f64 v[229:230], v[229:230], v[233:234]
	v_fma_f64 v[233:234], v[4:5], v[26:27], v[237:238]
	v_fma_f64 v[235:236], v[2:3], v[26:27], -v[28:29]
	ds_load_b128 v[2:5], v1 offset:1632
	ds_load_b128 v[26:29], v1 offset:1648
	v_fma_f64 v[182:183], v[182:183], v[30:31], v[231:232]
	v_fma_f64 v[30:31], v[180:181], v[30:31], -v[32:33]
	v_add_f64 v[42:43], v[169:170], v[42:43]
	v_add_f64 v[44:45], v[229:230], v[44:45]
	s_waitcnt vmcnt(8) lgkmcnt(1)
	v_mul_f64 v[169:170], v[2:3], v[36:37]
	v_mul_f64 v[36:37], v[4:5], v[36:37]
	s_delay_alu instid0(VALU_DEP_4) | instskip(NEXT) | instid1(VALU_DEP_4)
	v_add_f64 v[32:33], v[42:43], v[235:236]
	v_add_f64 v[42:43], v[44:45], v[233:234]
	s_waitcnt vmcnt(6) lgkmcnt(0)
	v_mul_f64 v[44:45], v[26:27], v[178:179]
	v_mul_f64 v[178:179], v[28:29], v[178:179]
	v_fma_f64 v[169:170], v[4:5], v[34:35], v[169:170]
	v_fma_f64 v[34:35], v[2:3], v[34:35], -v[36:37]
	v_add_f64 v[36:37], v[32:33], v[30:31]
	v_add_f64 v[42:43], v[42:43], v[182:183]
	ds_load_b128 v[2:5], v1 offset:1664
	ds_load_b128 v[30:33], v1 offset:1680
	v_fma_f64 v[28:29], v[28:29], v[176:177], v[44:45]
	v_fma_f64 v[26:27], v[26:27], v[176:177], -v[178:179]
	s_waitcnt vmcnt(5) lgkmcnt(1)
	v_mul_f64 v[180:181], v[2:3], v[40:41]
	v_mul_f64 v[40:41], v[4:5], v[40:41]
	v_add_f64 v[34:35], v[36:37], v[34:35]
	v_add_f64 v[36:37], v[42:43], v[169:170]
	s_waitcnt vmcnt(4) lgkmcnt(0)
	v_mul_f64 v[42:43], v[30:31], v[8:9]
	v_mul_f64 v[8:9], v[32:33], v[8:9]
	v_fma_f64 v[44:45], v[4:5], v[38:39], v[180:181]
	v_fma_f64 v[38:39], v[2:3], v[38:39], -v[40:41]
	v_add_f64 v[34:35], v[34:35], v[26:27]
	v_add_f64 v[36:37], v[36:37], v[28:29]
	ds_load_b128 v[2:5], v1 offset:1696
	ds_load_b128 v[26:29], v1 offset:1712
	v_fma_f64 v[32:33], v[32:33], v[6:7], v[42:43]
	v_fma_f64 v[6:7], v[30:31], v[6:7], -v[8:9]
	s_waitcnt vmcnt(3) lgkmcnt(1)
	v_mul_f64 v[40:41], v[2:3], v[12:13]
	v_mul_f64 v[12:13], v[4:5], v[12:13]
	;; [unrolled: 16-line block ×3, first 2 shown]
	s_waitcnt vmcnt(0) lgkmcnt(0)
	v_mul_f64 v[16:17], v[6:7], v[24:25]
	v_mul_f64 v[24:25], v[8:9], v[24:25]
	v_add_f64 v[10:11], v[12:13], v[10:11]
	v_add_f64 v[12:13], v[30:31], v[36:37]
	v_fma_f64 v[4:5], v[4:5], v[18:19], v[32:33]
	v_fma_f64 v[1:2], v[2:3], v[18:19], -v[20:21]
	v_fma_f64 v[8:9], v[8:9], v[22:23], v[16:17]
	v_fma_f64 v[6:7], v[6:7], v[22:23], -v[24:25]
	v_add_f64 v[10:11], v[10:11], v[14:15]
	v_add_f64 v[12:13], v[12:13], v[28:29]
	s_delay_alu instid0(VALU_DEP_2) | instskip(NEXT) | instid1(VALU_DEP_2)
	v_add_f64 v[1:2], v[10:11], v[1:2]
	v_add_f64 v[3:4], v[12:13], v[4:5]
	s_delay_alu instid0(VALU_DEP_2) | instskip(NEXT) | instid1(VALU_DEP_2)
	v_add_f64 v[1:2], v[1:2], v[6:7]
	v_add_f64 v[3:4], v[3:4], v[8:9]
	s_delay_alu instid0(VALU_DEP_2) | instskip(NEXT) | instid1(VALU_DEP_2)
	v_add_f64 v[1:2], v[172:173], -v[1:2]
	v_add_f64 v[3:4], v[174:175], -v[3:4]
	scratch_store_b128 off, v[1:4], off offset:608
	v_cmpx_lt_u32_e32 37, v156
	s_cbranch_execz .LBB54_269
; %bb.268:
	scratch_load_b128 v[1:4], v218, off
	v_mov_b32_e32 v5, 0
	s_delay_alu instid0(VALU_DEP_1)
	v_mov_b32_e32 v6, v5
	v_mov_b32_e32 v7, v5
	;; [unrolled: 1-line block ×3, first 2 shown]
	scratch_store_b128 off, v[5:8], off offset:592
	s_waitcnt vmcnt(0)
	ds_store_b128 v211, v[1:4]
.LBB54_269:
	s_or_b32 exec_lo, exec_lo, s2
	s_waitcnt lgkmcnt(0)
	s_waitcnt_vscnt null, 0x0
	s_barrier
	buffer_gl0_inv
	s_clause 0x7
	scratch_load_b128 v[2:5], off, off offset:608
	scratch_load_b128 v[6:9], off, off offset:624
	;; [unrolled: 1-line block ×8, first 2 shown]
	v_mov_b32_e32 v1, 0
	s_mov_b32 s2, exec_lo
	ds_load_b128 v[34:37], v1 offset:1488
	s_clause 0x1
	scratch_load_b128 v[38:41], off, off offset:736
	scratch_load_b128 v[42:45], off, off offset:592
	ds_load_b128 v[172:175], v1 offset:1504
	scratch_load_b128 v[176:179], off, off offset:752
	ds_load_b128 v[180:183], v1 offset:1536
	s_waitcnt vmcnt(10) lgkmcnt(2)
	v_mul_f64 v[169:170], v[36:37], v[4:5]
	v_mul_f64 v[4:5], v[34:35], v[4:5]
	s_delay_alu instid0(VALU_DEP_2) | instskip(NEXT) | instid1(VALU_DEP_2)
	v_fma_f64 v[169:170], v[34:35], v[2:3], -v[169:170]
	v_fma_f64 v[231:232], v[36:37], v[2:3], v[4:5]
	ds_load_b128 v[2:5], v1 offset:1520
	s_waitcnt vmcnt(9) lgkmcnt(2)
	v_mul_f64 v[229:230], v[172:173], v[8:9]
	v_mul_f64 v[8:9], v[174:175], v[8:9]
	scratch_load_b128 v[34:37], off, off offset:768
	s_waitcnt vmcnt(9) lgkmcnt(0)
	v_mul_f64 v[233:234], v[2:3], v[12:13]
	v_mul_f64 v[12:13], v[4:5], v[12:13]
	v_add_f64 v[169:170], v[169:170], 0
	v_fma_f64 v[174:175], v[174:175], v[6:7], v[229:230]
	v_fma_f64 v[172:173], v[172:173], v[6:7], -v[8:9]
	v_add_f64 v[229:230], v[231:232], 0
	scratch_load_b128 v[6:9], off, off offset:784
	v_fma_f64 v[233:234], v[4:5], v[10:11], v[233:234]
	v_fma_f64 v[235:236], v[2:3], v[10:11], -v[12:13]
	scratch_load_b128 v[10:13], off, off offset:800
	ds_load_b128 v[2:5], v1 offset:1552
	s_waitcnt vmcnt(10)
	v_mul_f64 v[231:232], v[180:181], v[16:17]
	v_mul_f64 v[16:17], v[182:183], v[16:17]
	v_add_f64 v[169:170], v[169:170], v[172:173]
	v_add_f64 v[229:230], v[229:230], v[174:175]
	ds_load_b128 v[172:175], v1 offset:1568
	s_waitcnt vmcnt(9) lgkmcnt(1)
	v_mul_f64 v[237:238], v[2:3], v[20:21]
	v_mul_f64 v[20:21], v[4:5], v[20:21]
	v_fma_f64 v[182:183], v[182:183], v[14:15], v[231:232]
	v_fma_f64 v[180:181], v[180:181], v[14:15], -v[16:17]
	scratch_load_b128 v[14:17], off, off offset:816
	v_add_f64 v[169:170], v[169:170], v[235:236]
	v_add_f64 v[229:230], v[229:230], v[233:234]
	v_fma_f64 v[233:234], v[4:5], v[18:19], v[237:238]
	v_fma_f64 v[235:236], v[2:3], v[18:19], -v[20:21]
	scratch_load_b128 v[18:21], off, off offset:832
	ds_load_b128 v[2:5], v1 offset:1584
	s_waitcnt vmcnt(10) lgkmcnt(1)
	v_mul_f64 v[231:232], v[172:173], v[24:25]
	v_mul_f64 v[24:25], v[174:175], v[24:25]
	s_waitcnt vmcnt(9) lgkmcnt(0)
	v_mul_f64 v[237:238], v[2:3], v[28:29]
	v_mul_f64 v[28:29], v[4:5], v[28:29]
	v_add_f64 v[169:170], v[169:170], v[180:181]
	v_add_f64 v[229:230], v[229:230], v[182:183]
	ds_load_b128 v[180:183], v1 offset:1600
	v_fma_f64 v[174:175], v[174:175], v[22:23], v[231:232]
	v_fma_f64 v[172:173], v[172:173], v[22:23], -v[24:25]
	scratch_load_b128 v[22:25], off, off offset:848
	v_add_f64 v[169:170], v[169:170], v[235:236]
	v_add_f64 v[229:230], v[229:230], v[233:234]
	v_fma_f64 v[233:234], v[4:5], v[26:27], v[237:238]
	v_fma_f64 v[235:236], v[2:3], v[26:27], -v[28:29]
	scratch_load_b128 v[26:29], off, off offset:864
	ds_load_b128 v[2:5], v1 offset:1616
	s_waitcnt vmcnt(10) lgkmcnt(1)
	v_mul_f64 v[231:232], v[180:181], v[32:33]
	v_mul_f64 v[32:33], v[182:183], v[32:33]
	s_waitcnt vmcnt(9) lgkmcnt(0)
	v_mul_f64 v[237:238], v[2:3], v[40:41]
	v_mul_f64 v[40:41], v[4:5], v[40:41]
	v_add_f64 v[169:170], v[169:170], v[172:173]
	v_add_f64 v[229:230], v[229:230], v[174:175]
	ds_load_b128 v[172:175], v1 offset:1632
	v_fma_f64 v[182:183], v[182:183], v[30:31], v[231:232]
	v_fma_f64 v[30:31], v[180:181], v[30:31], -v[32:33]
	s_waitcnt vmcnt(7) lgkmcnt(0)
	v_mul_f64 v[180:181], v[172:173], v[178:179]
	v_mul_f64 v[178:179], v[174:175], v[178:179]
	v_add_f64 v[32:33], v[169:170], v[235:236]
	v_add_f64 v[169:170], v[229:230], v[233:234]
	v_fma_f64 v[229:230], v[4:5], v[38:39], v[237:238]
	v_fma_f64 v[38:39], v[2:3], v[38:39], -v[40:41]
	v_fma_f64 v[174:175], v[174:175], v[176:177], v[180:181]
	v_fma_f64 v[172:173], v[172:173], v[176:177], -v[178:179]
	v_add_f64 v[40:41], v[32:33], v[30:31]
	v_add_f64 v[169:170], v[169:170], v[182:183]
	ds_load_b128 v[2:5], v1 offset:1648
	ds_load_b128 v[30:33], v1 offset:1664
	s_waitcnt vmcnt(6) lgkmcnt(1)
	v_mul_f64 v[182:183], v[2:3], v[36:37]
	v_mul_f64 v[36:37], v[4:5], v[36:37]
	v_add_f64 v[38:39], v[40:41], v[38:39]
	v_add_f64 v[40:41], v[169:170], v[229:230]
	s_waitcnt vmcnt(5) lgkmcnt(0)
	v_mul_f64 v[169:170], v[30:31], v[8:9]
	v_mul_f64 v[8:9], v[32:33], v[8:9]
	v_fma_f64 v[176:177], v[4:5], v[34:35], v[182:183]
	v_fma_f64 v[178:179], v[2:3], v[34:35], -v[36:37]
	ds_load_b128 v[2:5], v1 offset:1680
	ds_load_b128 v[34:37], v1 offset:1696
	v_add_f64 v[38:39], v[38:39], v[172:173]
	v_add_f64 v[40:41], v[40:41], v[174:175]
	s_waitcnt vmcnt(4) lgkmcnt(1)
	v_mul_f64 v[172:173], v[2:3], v[12:13]
	v_mul_f64 v[12:13], v[4:5], v[12:13]
	v_fma_f64 v[32:33], v[32:33], v[6:7], v[169:170]
	v_fma_f64 v[6:7], v[30:31], v[6:7], -v[8:9]
	v_add_f64 v[8:9], v[38:39], v[178:179]
	v_add_f64 v[30:31], v[40:41], v[176:177]
	s_waitcnt vmcnt(3) lgkmcnt(0)
	v_mul_f64 v[38:39], v[34:35], v[16:17]
	v_mul_f64 v[16:17], v[36:37], v[16:17]
	v_fma_f64 v[40:41], v[4:5], v[10:11], v[172:173]
	v_fma_f64 v[10:11], v[2:3], v[10:11], -v[12:13]
	v_add_f64 v[12:13], v[8:9], v[6:7]
	v_add_f64 v[30:31], v[30:31], v[32:33]
	ds_load_b128 v[2:5], v1 offset:1712
	ds_load_b128 v[6:9], v1 offset:1728
	v_fma_f64 v[36:37], v[36:37], v[14:15], v[38:39]
	v_fma_f64 v[14:15], v[34:35], v[14:15], -v[16:17]
	s_waitcnt vmcnt(2) lgkmcnt(1)
	v_mul_f64 v[32:33], v[2:3], v[20:21]
	v_mul_f64 v[20:21], v[4:5], v[20:21]
	s_waitcnt vmcnt(1) lgkmcnt(0)
	v_mul_f64 v[16:17], v[6:7], v[24:25]
	v_mul_f64 v[24:25], v[8:9], v[24:25]
	v_add_f64 v[10:11], v[12:13], v[10:11]
	v_add_f64 v[12:13], v[30:31], v[40:41]
	v_fma_f64 v[30:31], v[4:5], v[18:19], v[32:33]
	v_fma_f64 v[18:19], v[2:3], v[18:19], -v[20:21]
	ds_load_b128 v[2:5], v1 offset:1744
	v_fma_f64 v[8:9], v[8:9], v[22:23], v[16:17]
	v_fma_f64 v[6:7], v[6:7], v[22:23], -v[24:25]
	v_add_f64 v[10:11], v[10:11], v[14:15]
	v_add_f64 v[12:13], v[12:13], v[36:37]
	s_waitcnt vmcnt(0) lgkmcnt(0)
	v_mul_f64 v[14:15], v[2:3], v[28:29]
	v_mul_f64 v[20:21], v[4:5], v[28:29]
	s_delay_alu instid0(VALU_DEP_4) | instskip(NEXT) | instid1(VALU_DEP_4)
	v_add_f64 v[10:11], v[10:11], v[18:19]
	v_add_f64 v[12:13], v[12:13], v[30:31]
	s_delay_alu instid0(VALU_DEP_4) | instskip(NEXT) | instid1(VALU_DEP_4)
	v_fma_f64 v[4:5], v[4:5], v[26:27], v[14:15]
	v_fma_f64 v[2:3], v[2:3], v[26:27], -v[20:21]
	s_delay_alu instid0(VALU_DEP_4) | instskip(NEXT) | instid1(VALU_DEP_4)
	v_add_f64 v[6:7], v[10:11], v[6:7]
	v_add_f64 v[8:9], v[12:13], v[8:9]
	s_delay_alu instid0(VALU_DEP_2) | instskip(NEXT) | instid1(VALU_DEP_2)
	v_add_f64 v[2:3], v[6:7], v[2:3]
	v_add_f64 v[4:5], v[8:9], v[4:5]
	s_delay_alu instid0(VALU_DEP_2) | instskip(NEXT) | instid1(VALU_DEP_2)
	v_add_f64 v[2:3], v[42:43], -v[2:3]
	v_add_f64 v[4:5], v[44:45], -v[4:5]
	scratch_store_b128 off, v[2:5], off offset:592
	v_cmpx_lt_u32_e32 36, v156
	s_cbranch_execz .LBB54_271
; %bb.270:
	scratch_load_b128 v[5:8], v219, off
	v_mov_b32_e32 v2, v1
	v_mov_b32_e32 v3, v1
	;; [unrolled: 1-line block ×3, first 2 shown]
	scratch_store_b128 off, v[1:4], off offset:576
	s_waitcnt vmcnt(0)
	ds_store_b128 v211, v[5:8]
.LBB54_271:
	s_or_b32 exec_lo, exec_lo, s2
	s_waitcnt lgkmcnt(0)
	s_waitcnt_vscnt null, 0x0
	s_barrier
	buffer_gl0_inv
	s_clause 0x8
	scratch_load_b128 v[2:5], off, off offset:592
	scratch_load_b128 v[6:9], off, off offset:608
	;; [unrolled: 1-line block ×9, first 2 shown]
	ds_load_b128 v[38:41], v1 offset:1472
	ds_load_b128 v[42:45], v1 offset:1488
	s_clause 0x1
	scratch_load_b128 v[172:175], off, off offset:576
	scratch_load_b128 v[176:179], off, off offset:736
	s_mov_b32 s2, exec_lo
	ds_load_b128 v[180:183], v1 offset:1520
	s_waitcnt vmcnt(10) lgkmcnt(2)
	v_mul_f64 v[169:170], v[40:41], v[4:5]
	v_mul_f64 v[4:5], v[38:39], v[4:5]
	s_waitcnt vmcnt(9) lgkmcnt(1)
	v_mul_f64 v[229:230], v[42:43], v[8:9]
	v_mul_f64 v[8:9], v[44:45], v[8:9]
	s_delay_alu instid0(VALU_DEP_4) | instskip(NEXT) | instid1(VALU_DEP_4)
	v_fma_f64 v[169:170], v[38:39], v[2:3], -v[169:170]
	v_fma_f64 v[231:232], v[40:41], v[2:3], v[4:5]
	ds_load_b128 v[2:5], v1 offset:1504
	scratch_load_b128 v[38:41], off, off offset:752
	v_fma_f64 v[44:45], v[44:45], v[6:7], v[229:230]
	v_fma_f64 v[42:43], v[42:43], v[6:7], -v[8:9]
	scratch_load_b128 v[6:9], off, off offset:768
	s_waitcnt vmcnt(10) lgkmcnt(0)
	v_mul_f64 v[233:234], v[2:3], v[12:13]
	v_mul_f64 v[12:13], v[4:5], v[12:13]
	v_add_f64 v[169:170], v[169:170], 0
	v_add_f64 v[229:230], v[231:232], 0
	s_waitcnt vmcnt(9)
	v_mul_f64 v[231:232], v[180:181], v[16:17]
	v_mul_f64 v[16:17], v[182:183], v[16:17]
	v_fma_f64 v[233:234], v[4:5], v[10:11], v[233:234]
	v_fma_f64 v[235:236], v[2:3], v[10:11], -v[12:13]
	ds_load_b128 v[2:5], v1 offset:1536
	scratch_load_b128 v[10:13], off, off offset:784
	v_add_f64 v[169:170], v[169:170], v[42:43]
	v_add_f64 v[229:230], v[229:230], v[44:45]
	ds_load_b128 v[42:45], v1 offset:1552
	v_fma_f64 v[182:183], v[182:183], v[14:15], v[231:232]
	v_fma_f64 v[180:181], v[180:181], v[14:15], -v[16:17]
	scratch_load_b128 v[14:17], off, off offset:800
	s_waitcnt vmcnt(10) lgkmcnt(1)
	v_mul_f64 v[237:238], v[2:3], v[20:21]
	v_mul_f64 v[20:21], v[4:5], v[20:21]
	s_waitcnt vmcnt(9) lgkmcnt(0)
	v_mul_f64 v[231:232], v[42:43], v[24:25]
	v_mul_f64 v[24:25], v[44:45], v[24:25]
	v_add_f64 v[169:170], v[169:170], v[235:236]
	v_add_f64 v[229:230], v[229:230], v[233:234]
	v_fma_f64 v[233:234], v[4:5], v[18:19], v[237:238]
	v_fma_f64 v[235:236], v[2:3], v[18:19], -v[20:21]
	ds_load_b128 v[2:5], v1 offset:1568
	scratch_load_b128 v[18:21], off, off offset:816
	v_fma_f64 v[44:45], v[44:45], v[22:23], v[231:232]
	v_fma_f64 v[42:43], v[42:43], v[22:23], -v[24:25]
	scratch_load_b128 v[22:25], off, off offset:832
	v_add_f64 v[169:170], v[169:170], v[180:181]
	v_add_f64 v[229:230], v[229:230], v[182:183]
	ds_load_b128 v[180:183], v1 offset:1584
	s_waitcnt vmcnt(10) lgkmcnt(1)
	v_mul_f64 v[237:238], v[2:3], v[28:29]
	v_mul_f64 v[28:29], v[4:5], v[28:29]
	s_waitcnt vmcnt(9) lgkmcnt(0)
	v_mul_f64 v[231:232], v[180:181], v[32:33]
	v_mul_f64 v[32:33], v[182:183], v[32:33]
	v_add_f64 v[169:170], v[169:170], v[235:236]
	v_add_f64 v[229:230], v[229:230], v[233:234]
	v_fma_f64 v[233:234], v[4:5], v[26:27], v[237:238]
	v_fma_f64 v[235:236], v[2:3], v[26:27], -v[28:29]
	ds_load_b128 v[2:5], v1 offset:1600
	scratch_load_b128 v[26:29], off, off offset:848
	v_fma_f64 v[182:183], v[182:183], v[30:31], v[231:232]
	v_fma_f64 v[180:181], v[180:181], v[30:31], -v[32:33]
	scratch_load_b128 v[30:33], off, off offset:864
	v_add_f64 v[169:170], v[169:170], v[42:43]
	v_add_f64 v[229:230], v[229:230], v[44:45]
	ds_load_b128 v[42:45], v1 offset:1616
	s_waitcnt vmcnt(10) lgkmcnt(1)
	v_mul_f64 v[237:238], v[2:3], v[36:37]
	v_mul_f64 v[36:37], v[4:5], v[36:37]
	s_waitcnt vmcnt(8) lgkmcnt(0)
	v_mul_f64 v[231:232], v[42:43], v[178:179]
	v_mul_f64 v[178:179], v[44:45], v[178:179]
	v_add_f64 v[169:170], v[169:170], v[235:236]
	v_add_f64 v[229:230], v[229:230], v[233:234]
	v_fma_f64 v[233:234], v[4:5], v[34:35], v[237:238]
	v_fma_f64 v[235:236], v[2:3], v[34:35], -v[36:37]
	ds_load_b128 v[2:5], v1 offset:1632
	ds_load_b128 v[34:37], v1 offset:1648
	v_fma_f64 v[44:45], v[44:45], v[176:177], v[231:232]
	v_fma_f64 v[42:43], v[42:43], v[176:177], -v[178:179]
	v_add_f64 v[169:170], v[169:170], v[180:181]
	v_add_f64 v[180:181], v[229:230], v[182:183]
	s_waitcnt vmcnt(7) lgkmcnt(1)
	v_mul_f64 v[182:183], v[2:3], v[40:41]
	v_mul_f64 v[40:41], v[4:5], v[40:41]
	s_waitcnt vmcnt(6) lgkmcnt(0)
	v_mul_f64 v[178:179], v[34:35], v[8:9]
	v_mul_f64 v[8:9], v[36:37], v[8:9]
	v_add_f64 v[169:170], v[169:170], v[235:236]
	v_add_f64 v[176:177], v[180:181], v[233:234]
	v_fma_f64 v[180:181], v[4:5], v[38:39], v[182:183]
	v_fma_f64 v[182:183], v[2:3], v[38:39], -v[40:41]
	ds_load_b128 v[2:5], v1 offset:1664
	ds_load_b128 v[38:41], v1 offset:1680
	v_fma_f64 v[36:37], v[36:37], v[6:7], v[178:179]
	v_fma_f64 v[6:7], v[34:35], v[6:7], -v[8:9]
	v_add_f64 v[42:43], v[169:170], v[42:43]
	v_add_f64 v[44:45], v[176:177], v[44:45]
	s_waitcnt vmcnt(5) lgkmcnt(1)
	v_mul_f64 v[169:170], v[2:3], v[12:13]
	v_mul_f64 v[12:13], v[4:5], v[12:13]
	s_delay_alu instid0(VALU_DEP_4) | instskip(NEXT) | instid1(VALU_DEP_4)
	v_add_f64 v[8:9], v[42:43], v[182:183]
	v_add_f64 v[34:35], v[44:45], v[180:181]
	s_waitcnt vmcnt(4) lgkmcnt(0)
	v_mul_f64 v[42:43], v[38:39], v[16:17]
	v_mul_f64 v[16:17], v[40:41], v[16:17]
	v_fma_f64 v[44:45], v[4:5], v[10:11], v[169:170]
	v_fma_f64 v[10:11], v[2:3], v[10:11], -v[12:13]
	v_add_f64 v[12:13], v[8:9], v[6:7]
	v_add_f64 v[34:35], v[34:35], v[36:37]
	ds_load_b128 v[2:5], v1 offset:1696
	ds_load_b128 v[6:9], v1 offset:1712
	v_fma_f64 v[40:41], v[40:41], v[14:15], v[42:43]
	v_fma_f64 v[14:15], v[38:39], v[14:15], -v[16:17]
	s_waitcnt vmcnt(3) lgkmcnt(1)
	v_mul_f64 v[36:37], v[2:3], v[20:21]
	v_mul_f64 v[20:21], v[4:5], v[20:21]
	s_waitcnt vmcnt(2) lgkmcnt(0)
	v_mul_f64 v[16:17], v[6:7], v[24:25]
	v_mul_f64 v[24:25], v[8:9], v[24:25]
	v_add_f64 v[10:11], v[12:13], v[10:11]
	v_add_f64 v[12:13], v[34:35], v[44:45]
	v_fma_f64 v[34:35], v[4:5], v[18:19], v[36:37]
	v_fma_f64 v[18:19], v[2:3], v[18:19], -v[20:21]
	v_fma_f64 v[8:9], v[8:9], v[22:23], v[16:17]
	v_fma_f64 v[6:7], v[6:7], v[22:23], -v[24:25]
	v_add_f64 v[14:15], v[10:11], v[14:15]
	v_add_f64 v[20:21], v[12:13], v[40:41]
	ds_load_b128 v[2:5], v1 offset:1728
	ds_load_b128 v[10:13], v1 offset:1744
	s_waitcnt vmcnt(1) lgkmcnt(1)
	v_mul_f64 v[36:37], v[2:3], v[28:29]
	v_mul_f64 v[28:29], v[4:5], v[28:29]
	v_add_f64 v[14:15], v[14:15], v[18:19]
	v_add_f64 v[16:17], v[20:21], v[34:35]
	s_waitcnt vmcnt(0) lgkmcnt(0)
	v_mul_f64 v[18:19], v[10:11], v[32:33]
	v_mul_f64 v[20:21], v[12:13], v[32:33]
	v_fma_f64 v[4:5], v[4:5], v[26:27], v[36:37]
	v_fma_f64 v[1:2], v[2:3], v[26:27], -v[28:29]
	v_add_f64 v[6:7], v[14:15], v[6:7]
	v_add_f64 v[8:9], v[16:17], v[8:9]
	v_fma_f64 v[12:13], v[12:13], v[30:31], v[18:19]
	v_fma_f64 v[10:11], v[10:11], v[30:31], -v[20:21]
	s_delay_alu instid0(VALU_DEP_4) | instskip(NEXT) | instid1(VALU_DEP_4)
	v_add_f64 v[1:2], v[6:7], v[1:2]
	v_add_f64 v[3:4], v[8:9], v[4:5]
	s_delay_alu instid0(VALU_DEP_2) | instskip(NEXT) | instid1(VALU_DEP_2)
	v_add_f64 v[1:2], v[1:2], v[10:11]
	v_add_f64 v[3:4], v[3:4], v[12:13]
	s_delay_alu instid0(VALU_DEP_2) | instskip(NEXT) | instid1(VALU_DEP_2)
	v_add_f64 v[1:2], v[172:173], -v[1:2]
	v_add_f64 v[3:4], v[174:175], -v[3:4]
	scratch_store_b128 off, v[1:4], off offset:576
	v_cmpx_lt_u32_e32 35, v156
	s_cbranch_execz .LBB54_273
; %bb.272:
	scratch_load_b128 v[1:4], v220, off
	v_mov_b32_e32 v5, 0
	s_delay_alu instid0(VALU_DEP_1)
	v_mov_b32_e32 v6, v5
	v_mov_b32_e32 v7, v5
	;; [unrolled: 1-line block ×3, first 2 shown]
	scratch_store_b128 off, v[5:8], off offset:560
	s_waitcnt vmcnt(0)
	ds_store_b128 v211, v[1:4]
.LBB54_273:
	s_or_b32 exec_lo, exec_lo, s2
	s_waitcnt lgkmcnt(0)
	s_waitcnt_vscnt null, 0x0
	s_barrier
	buffer_gl0_inv
	s_clause 0x7
	scratch_load_b128 v[2:5], off, off offset:576
	scratch_load_b128 v[6:9], off, off offset:592
	;; [unrolled: 1-line block ×8, first 2 shown]
	v_mov_b32_e32 v1, 0
	s_mov_b32 s2, exec_lo
	ds_load_b128 v[34:37], v1 offset:1456
	s_clause 0x1
	scratch_load_b128 v[38:41], off, off offset:704
	scratch_load_b128 v[42:45], off, off offset:560
	ds_load_b128 v[172:175], v1 offset:1472
	scratch_load_b128 v[176:179], off, off offset:720
	ds_load_b128 v[180:183], v1 offset:1504
	s_waitcnt vmcnt(10) lgkmcnt(2)
	v_mul_f64 v[169:170], v[36:37], v[4:5]
	v_mul_f64 v[4:5], v[34:35], v[4:5]
	s_delay_alu instid0(VALU_DEP_2) | instskip(NEXT) | instid1(VALU_DEP_2)
	v_fma_f64 v[169:170], v[34:35], v[2:3], -v[169:170]
	v_fma_f64 v[231:232], v[36:37], v[2:3], v[4:5]
	ds_load_b128 v[2:5], v1 offset:1488
	s_waitcnt vmcnt(9) lgkmcnt(2)
	v_mul_f64 v[229:230], v[172:173], v[8:9]
	v_mul_f64 v[8:9], v[174:175], v[8:9]
	scratch_load_b128 v[34:37], off, off offset:736
	s_waitcnt vmcnt(9) lgkmcnt(0)
	v_mul_f64 v[233:234], v[2:3], v[12:13]
	v_mul_f64 v[12:13], v[4:5], v[12:13]
	v_add_f64 v[169:170], v[169:170], 0
	v_fma_f64 v[174:175], v[174:175], v[6:7], v[229:230]
	v_fma_f64 v[172:173], v[172:173], v[6:7], -v[8:9]
	v_add_f64 v[229:230], v[231:232], 0
	scratch_load_b128 v[6:9], off, off offset:752
	v_fma_f64 v[233:234], v[4:5], v[10:11], v[233:234]
	v_fma_f64 v[235:236], v[2:3], v[10:11], -v[12:13]
	scratch_load_b128 v[10:13], off, off offset:768
	ds_load_b128 v[2:5], v1 offset:1520
	s_waitcnt vmcnt(10)
	v_mul_f64 v[231:232], v[180:181], v[16:17]
	v_mul_f64 v[16:17], v[182:183], v[16:17]
	v_add_f64 v[169:170], v[169:170], v[172:173]
	v_add_f64 v[229:230], v[229:230], v[174:175]
	ds_load_b128 v[172:175], v1 offset:1536
	s_waitcnt vmcnt(9) lgkmcnt(1)
	v_mul_f64 v[237:238], v[2:3], v[20:21]
	v_mul_f64 v[20:21], v[4:5], v[20:21]
	v_fma_f64 v[182:183], v[182:183], v[14:15], v[231:232]
	v_fma_f64 v[180:181], v[180:181], v[14:15], -v[16:17]
	scratch_load_b128 v[14:17], off, off offset:784
	v_add_f64 v[169:170], v[169:170], v[235:236]
	v_add_f64 v[229:230], v[229:230], v[233:234]
	v_fma_f64 v[233:234], v[4:5], v[18:19], v[237:238]
	v_fma_f64 v[235:236], v[2:3], v[18:19], -v[20:21]
	scratch_load_b128 v[18:21], off, off offset:800
	ds_load_b128 v[2:5], v1 offset:1552
	s_waitcnt vmcnt(10) lgkmcnt(1)
	v_mul_f64 v[231:232], v[172:173], v[24:25]
	v_mul_f64 v[24:25], v[174:175], v[24:25]
	s_waitcnt vmcnt(9) lgkmcnt(0)
	v_mul_f64 v[237:238], v[2:3], v[28:29]
	v_mul_f64 v[28:29], v[4:5], v[28:29]
	v_add_f64 v[169:170], v[169:170], v[180:181]
	v_add_f64 v[229:230], v[229:230], v[182:183]
	ds_load_b128 v[180:183], v1 offset:1568
	v_fma_f64 v[174:175], v[174:175], v[22:23], v[231:232]
	v_fma_f64 v[172:173], v[172:173], v[22:23], -v[24:25]
	scratch_load_b128 v[22:25], off, off offset:816
	v_add_f64 v[169:170], v[169:170], v[235:236]
	v_add_f64 v[229:230], v[229:230], v[233:234]
	v_fma_f64 v[233:234], v[4:5], v[26:27], v[237:238]
	v_fma_f64 v[235:236], v[2:3], v[26:27], -v[28:29]
	scratch_load_b128 v[26:29], off, off offset:832
	ds_load_b128 v[2:5], v1 offset:1584
	s_waitcnt vmcnt(10) lgkmcnt(1)
	v_mul_f64 v[231:232], v[180:181], v[32:33]
	v_mul_f64 v[32:33], v[182:183], v[32:33]
	s_waitcnt vmcnt(9) lgkmcnt(0)
	v_mul_f64 v[237:238], v[2:3], v[40:41]
	v_mul_f64 v[40:41], v[4:5], v[40:41]
	v_add_f64 v[169:170], v[169:170], v[172:173]
	v_add_f64 v[229:230], v[229:230], v[174:175]
	ds_load_b128 v[172:175], v1 offset:1600
	v_fma_f64 v[182:183], v[182:183], v[30:31], v[231:232]
	v_fma_f64 v[180:181], v[180:181], v[30:31], -v[32:33]
	scratch_load_b128 v[30:33], off, off offset:848
	v_add_f64 v[169:170], v[169:170], v[235:236]
	v_add_f64 v[229:230], v[229:230], v[233:234]
	v_fma_f64 v[235:236], v[4:5], v[38:39], v[237:238]
	v_fma_f64 v[237:238], v[2:3], v[38:39], -v[40:41]
	scratch_load_b128 v[38:41], off, off offset:864
	ds_load_b128 v[2:5], v1 offset:1616
	s_waitcnt vmcnt(9) lgkmcnt(1)
	v_mul_f64 v[231:232], v[172:173], v[178:179]
	v_mul_f64 v[233:234], v[174:175], v[178:179]
	v_add_f64 v[169:170], v[169:170], v[180:181]
	v_add_f64 v[182:183], v[229:230], v[182:183]
	ds_load_b128 v[178:181], v1 offset:1632
	v_fma_f64 v[174:175], v[174:175], v[176:177], v[231:232]
	v_fma_f64 v[172:173], v[172:173], v[176:177], -v[233:234]
	s_waitcnt vmcnt(8) lgkmcnt(1)
	v_mul_f64 v[229:230], v[2:3], v[36:37]
	v_mul_f64 v[36:37], v[4:5], v[36:37]
	v_add_f64 v[169:170], v[169:170], v[237:238]
	v_add_f64 v[176:177], v[182:183], v[235:236]
	s_delay_alu instid0(VALU_DEP_4)
	v_fma_f64 v[229:230], v[4:5], v[34:35], v[229:230]
	s_waitcnt vmcnt(7) lgkmcnt(0)
	v_mul_f64 v[182:183], v[178:179], v[8:9]
	v_mul_f64 v[8:9], v[180:181], v[8:9]
	v_fma_f64 v[231:232], v[2:3], v[34:35], -v[36:37]
	ds_load_b128 v[2:5], v1 offset:1648
	ds_load_b128 v[34:37], v1 offset:1664
	v_add_f64 v[169:170], v[169:170], v[172:173]
	v_add_f64 v[172:173], v[176:177], v[174:175]
	s_waitcnt vmcnt(6) lgkmcnt(1)
	v_mul_f64 v[174:175], v[2:3], v[12:13]
	v_mul_f64 v[12:13], v[4:5], v[12:13]
	v_fma_f64 v[176:177], v[180:181], v[6:7], v[182:183]
	v_fma_f64 v[6:7], v[178:179], v[6:7], -v[8:9]
	v_add_f64 v[8:9], v[169:170], v[231:232]
	v_add_f64 v[169:170], v[172:173], v[229:230]
	s_waitcnt vmcnt(5) lgkmcnt(0)
	v_mul_f64 v[172:173], v[34:35], v[16:17]
	v_mul_f64 v[16:17], v[36:37], v[16:17]
	v_fma_f64 v[174:175], v[4:5], v[10:11], v[174:175]
	v_fma_f64 v[10:11], v[2:3], v[10:11], -v[12:13]
	v_add_f64 v[12:13], v[8:9], v[6:7]
	v_add_f64 v[169:170], v[169:170], v[176:177]
	ds_load_b128 v[2:5], v1 offset:1680
	ds_load_b128 v[6:9], v1 offset:1696
	v_fma_f64 v[36:37], v[36:37], v[14:15], v[172:173]
	v_fma_f64 v[14:15], v[34:35], v[14:15], -v[16:17]
	s_waitcnt vmcnt(4) lgkmcnt(1)
	v_mul_f64 v[176:177], v[2:3], v[20:21]
	v_mul_f64 v[20:21], v[4:5], v[20:21]
	s_waitcnt vmcnt(3) lgkmcnt(0)
	v_mul_f64 v[16:17], v[6:7], v[24:25]
	v_mul_f64 v[24:25], v[8:9], v[24:25]
	v_add_f64 v[10:11], v[12:13], v[10:11]
	v_add_f64 v[12:13], v[169:170], v[174:175]
	v_fma_f64 v[34:35], v[4:5], v[18:19], v[176:177]
	v_fma_f64 v[18:19], v[2:3], v[18:19], -v[20:21]
	v_fma_f64 v[8:9], v[8:9], v[22:23], v[16:17]
	v_fma_f64 v[6:7], v[6:7], v[22:23], -v[24:25]
	v_add_f64 v[14:15], v[10:11], v[14:15]
	v_add_f64 v[20:21], v[12:13], v[36:37]
	ds_load_b128 v[2:5], v1 offset:1712
	ds_load_b128 v[10:13], v1 offset:1728
	s_waitcnt vmcnt(2) lgkmcnt(1)
	v_mul_f64 v[36:37], v[2:3], v[28:29]
	v_mul_f64 v[28:29], v[4:5], v[28:29]
	v_add_f64 v[14:15], v[14:15], v[18:19]
	v_add_f64 v[16:17], v[20:21], v[34:35]
	s_waitcnt vmcnt(1) lgkmcnt(0)
	v_mul_f64 v[18:19], v[10:11], v[32:33]
	v_mul_f64 v[20:21], v[12:13], v[32:33]
	v_fma_f64 v[22:23], v[4:5], v[26:27], v[36:37]
	v_fma_f64 v[24:25], v[2:3], v[26:27], -v[28:29]
	ds_load_b128 v[2:5], v1 offset:1744
	v_add_f64 v[6:7], v[14:15], v[6:7]
	v_add_f64 v[8:9], v[16:17], v[8:9]
	v_fma_f64 v[12:13], v[12:13], v[30:31], v[18:19]
	v_fma_f64 v[10:11], v[10:11], v[30:31], -v[20:21]
	s_waitcnt vmcnt(0) lgkmcnt(0)
	v_mul_f64 v[14:15], v[2:3], v[40:41]
	v_mul_f64 v[16:17], v[4:5], v[40:41]
	v_add_f64 v[6:7], v[6:7], v[24:25]
	v_add_f64 v[8:9], v[8:9], v[22:23]
	s_delay_alu instid0(VALU_DEP_4) | instskip(NEXT) | instid1(VALU_DEP_4)
	v_fma_f64 v[4:5], v[4:5], v[38:39], v[14:15]
	v_fma_f64 v[2:3], v[2:3], v[38:39], -v[16:17]
	s_delay_alu instid0(VALU_DEP_4) | instskip(NEXT) | instid1(VALU_DEP_4)
	v_add_f64 v[6:7], v[6:7], v[10:11]
	v_add_f64 v[8:9], v[8:9], v[12:13]
	s_delay_alu instid0(VALU_DEP_2) | instskip(NEXT) | instid1(VALU_DEP_2)
	v_add_f64 v[2:3], v[6:7], v[2:3]
	v_add_f64 v[4:5], v[8:9], v[4:5]
	s_delay_alu instid0(VALU_DEP_2) | instskip(NEXT) | instid1(VALU_DEP_2)
	v_add_f64 v[2:3], v[42:43], -v[2:3]
	v_add_f64 v[4:5], v[44:45], -v[4:5]
	scratch_store_b128 off, v[2:5], off offset:560
	v_cmpx_lt_u32_e32 34, v156
	s_cbranch_execz .LBB54_275
; %bb.274:
	scratch_load_b128 v[5:8], v221, off
	v_mov_b32_e32 v2, v1
	v_mov_b32_e32 v3, v1
	;; [unrolled: 1-line block ×3, first 2 shown]
	scratch_store_b128 off, v[1:4], off offset:544
	s_waitcnt vmcnt(0)
	ds_store_b128 v211, v[5:8]
.LBB54_275:
	s_or_b32 exec_lo, exec_lo, s2
	s_waitcnt lgkmcnt(0)
	s_waitcnt_vscnt null, 0x0
	s_barrier
	buffer_gl0_inv
	s_clause 0x8
	scratch_load_b128 v[2:5], off, off offset:560
	scratch_load_b128 v[6:9], off, off offset:576
	;; [unrolled: 1-line block ×9, first 2 shown]
	ds_load_b128 v[38:41], v1 offset:1440
	ds_load_b128 v[42:45], v1 offset:1456
	s_clause 0x1
	scratch_load_b128 v[172:175], off, off offset:544
	scratch_load_b128 v[176:179], off, off offset:704
	s_mov_b32 s2, exec_lo
	ds_load_b128 v[180:183], v1 offset:1488
	s_waitcnt vmcnt(10) lgkmcnt(2)
	v_mul_f64 v[169:170], v[40:41], v[4:5]
	v_mul_f64 v[4:5], v[38:39], v[4:5]
	s_waitcnt vmcnt(9) lgkmcnt(1)
	v_mul_f64 v[229:230], v[42:43], v[8:9]
	v_mul_f64 v[8:9], v[44:45], v[8:9]
	s_delay_alu instid0(VALU_DEP_4) | instskip(NEXT) | instid1(VALU_DEP_4)
	v_fma_f64 v[169:170], v[38:39], v[2:3], -v[169:170]
	v_fma_f64 v[231:232], v[40:41], v[2:3], v[4:5]
	ds_load_b128 v[2:5], v1 offset:1472
	scratch_load_b128 v[38:41], off, off offset:720
	v_fma_f64 v[44:45], v[44:45], v[6:7], v[229:230]
	v_fma_f64 v[42:43], v[42:43], v[6:7], -v[8:9]
	scratch_load_b128 v[6:9], off, off offset:736
	s_waitcnt vmcnt(10) lgkmcnt(0)
	v_mul_f64 v[233:234], v[2:3], v[12:13]
	v_mul_f64 v[12:13], v[4:5], v[12:13]
	v_add_f64 v[169:170], v[169:170], 0
	v_add_f64 v[229:230], v[231:232], 0
	s_waitcnt vmcnt(9)
	v_mul_f64 v[231:232], v[180:181], v[16:17]
	v_mul_f64 v[16:17], v[182:183], v[16:17]
	v_fma_f64 v[233:234], v[4:5], v[10:11], v[233:234]
	v_fma_f64 v[235:236], v[2:3], v[10:11], -v[12:13]
	ds_load_b128 v[2:5], v1 offset:1504
	scratch_load_b128 v[10:13], off, off offset:752
	v_add_f64 v[169:170], v[169:170], v[42:43]
	v_add_f64 v[229:230], v[229:230], v[44:45]
	ds_load_b128 v[42:45], v1 offset:1520
	v_fma_f64 v[182:183], v[182:183], v[14:15], v[231:232]
	v_fma_f64 v[180:181], v[180:181], v[14:15], -v[16:17]
	scratch_load_b128 v[14:17], off, off offset:768
	s_waitcnt vmcnt(10) lgkmcnt(1)
	v_mul_f64 v[237:238], v[2:3], v[20:21]
	v_mul_f64 v[20:21], v[4:5], v[20:21]
	s_waitcnt vmcnt(9) lgkmcnt(0)
	v_mul_f64 v[231:232], v[42:43], v[24:25]
	v_mul_f64 v[24:25], v[44:45], v[24:25]
	v_add_f64 v[169:170], v[169:170], v[235:236]
	v_add_f64 v[229:230], v[229:230], v[233:234]
	v_fma_f64 v[233:234], v[4:5], v[18:19], v[237:238]
	v_fma_f64 v[235:236], v[2:3], v[18:19], -v[20:21]
	ds_load_b128 v[2:5], v1 offset:1536
	scratch_load_b128 v[18:21], off, off offset:784
	v_fma_f64 v[44:45], v[44:45], v[22:23], v[231:232]
	v_fma_f64 v[42:43], v[42:43], v[22:23], -v[24:25]
	scratch_load_b128 v[22:25], off, off offset:800
	v_add_f64 v[169:170], v[169:170], v[180:181]
	v_add_f64 v[229:230], v[229:230], v[182:183]
	ds_load_b128 v[180:183], v1 offset:1552
	s_waitcnt vmcnt(10) lgkmcnt(1)
	v_mul_f64 v[237:238], v[2:3], v[28:29]
	v_mul_f64 v[28:29], v[4:5], v[28:29]
	s_waitcnt vmcnt(9) lgkmcnt(0)
	v_mul_f64 v[231:232], v[180:181], v[32:33]
	v_mul_f64 v[32:33], v[182:183], v[32:33]
	v_add_f64 v[169:170], v[169:170], v[235:236]
	v_add_f64 v[229:230], v[229:230], v[233:234]
	v_fma_f64 v[233:234], v[4:5], v[26:27], v[237:238]
	v_fma_f64 v[235:236], v[2:3], v[26:27], -v[28:29]
	ds_load_b128 v[2:5], v1 offset:1568
	scratch_load_b128 v[26:29], off, off offset:816
	v_fma_f64 v[182:183], v[182:183], v[30:31], v[231:232]
	v_fma_f64 v[180:181], v[180:181], v[30:31], -v[32:33]
	scratch_load_b128 v[30:33], off, off offset:832
	v_add_f64 v[169:170], v[169:170], v[42:43]
	v_add_f64 v[229:230], v[229:230], v[44:45]
	ds_load_b128 v[42:45], v1 offset:1584
	s_waitcnt vmcnt(10) lgkmcnt(1)
	v_mul_f64 v[237:238], v[2:3], v[36:37]
	v_mul_f64 v[36:37], v[4:5], v[36:37]
	s_waitcnt vmcnt(8) lgkmcnt(0)
	v_mul_f64 v[231:232], v[42:43], v[178:179]
	v_add_f64 v[169:170], v[169:170], v[235:236]
	v_add_f64 v[229:230], v[229:230], v[233:234]
	v_mul_f64 v[233:234], v[44:45], v[178:179]
	v_fma_f64 v[235:236], v[4:5], v[34:35], v[237:238]
	v_fma_f64 v[237:238], v[2:3], v[34:35], -v[36:37]
	ds_load_b128 v[2:5], v1 offset:1600
	scratch_load_b128 v[34:37], off, off offset:848
	v_fma_f64 v[44:45], v[44:45], v[176:177], v[231:232]
	v_add_f64 v[169:170], v[169:170], v[180:181]
	v_add_f64 v[182:183], v[229:230], v[182:183]
	ds_load_b128 v[178:181], v1 offset:1616
	v_fma_f64 v[176:177], v[42:43], v[176:177], -v[233:234]
	s_waitcnt vmcnt(8) lgkmcnt(1)
	v_mul_f64 v[229:230], v[2:3], v[40:41]
	v_mul_f64 v[239:240], v[4:5], v[40:41]
	scratch_load_b128 v[40:43], off, off offset:864
	s_waitcnt vmcnt(8) lgkmcnt(0)
	v_mul_f64 v[233:234], v[178:179], v[8:9]
	v_mul_f64 v[8:9], v[180:181], v[8:9]
	v_add_f64 v[169:170], v[169:170], v[237:238]
	v_add_f64 v[182:183], v[182:183], v[235:236]
	v_fma_f64 v[235:236], v[4:5], v[38:39], v[229:230]
	v_fma_f64 v[38:39], v[2:3], v[38:39], -v[239:240]
	ds_load_b128 v[2:5], v1 offset:1632
	ds_load_b128 v[229:232], v1 offset:1648
	v_fma_f64 v[180:181], v[180:181], v[6:7], v[233:234]
	v_fma_f64 v[6:7], v[178:179], v[6:7], -v[8:9]
	v_add_f64 v[169:170], v[169:170], v[176:177]
	v_add_f64 v[44:45], v[182:183], v[44:45]
	s_waitcnt vmcnt(7) lgkmcnt(1)
	v_mul_f64 v[176:177], v[2:3], v[12:13]
	v_mul_f64 v[12:13], v[4:5], v[12:13]
	s_delay_alu instid0(VALU_DEP_4) | instskip(NEXT) | instid1(VALU_DEP_4)
	v_add_f64 v[8:9], v[169:170], v[38:39]
	v_add_f64 v[38:39], v[44:45], v[235:236]
	s_waitcnt vmcnt(6) lgkmcnt(0)
	v_mul_f64 v[44:45], v[229:230], v[16:17]
	v_mul_f64 v[16:17], v[231:232], v[16:17]
	v_fma_f64 v[169:170], v[4:5], v[10:11], v[176:177]
	v_fma_f64 v[10:11], v[2:3], v[10:11], -v[12:13]
	v_add_f64 v[12:13], v[8:9], v[6:7]
	v_add_f64 v[38:39], v[38:39], v[180:181]
	ds_load_b128 v[2:5], v1 offset:1664
	ds_load_b128 v[6:9], v1 offset:1680
	v_fma_f64 v[44:45], v[231:232], v[14:15], v[44:45]
	v_fma_f64 v[14:15], v[229:230], v[14:15], -v[16:17]
	s_waitcnt vmcnt(5) lgkmcnt(1)
	v_mul_f64 v[176:177], v[2:3], v[20:21]
	v_mul_f64 v[20:21], v[4:5], v[20:21]
	s_waitcnt vmcnt(4) lgkmcnt(0)
	v_mul_f64 v[16:17], v[6:7], v[24:25]
	v_mul_f64 v[24:25], v[8:9], v[24:25]
	v_add_f64 v[10:11], v[12:13], v[10:11]
	v_add_f64 v[12:13], v[38:39], v[169:170]
	v_fma_f64 v[38:39], v[4:5], v[18:19], v[176:177]
	v_fma_f64 v[18:19], v[2:3], v[18:19], -v[20:21]
	v_fma_f64 v[8:9], v[8:9], v[22:23], v[16:17]
	v_fma_f64 v[6:7], v[6:7], v[22:23], -v[24:25]
	v_add_f64 v[14:15], v[10:11], v[14:15]
	v_add_f64 v[20:21], v[12:13], v[44:45]
	ds_load_b128 v[2:5], v1 offset:1696
	ds_load_b128 v[10:13], v1 offset:1712
	s_waitcnt vmcnt(3) lgkmcnt(1)
	v_mul_f64 v[44:45], v[2:3], v[28:29]
	v_mul_f64 v[28:29], v[4:5], v[28:29]
	v_add_f64 v[14:15], v[14:15], v[18:19]
	v_add_f64 v[16:17], v[20:21], v[38:39]
	s_waitcnt vmcnt(2) lgkmcnt(0)
	v_mul_f64 v[18:19], v[10:11], v[32:33]
	v_mul_f64 v[20:21], v[12:13], v[32:33]
	v_fma_f64 v[22:23], v[4:5], v[26:27], v[44:45]
	v_fma_f64 v[24:25], v[2:3], v[26:27], -v[28:29]
	v_add_f64 v[14:15], v[14:15], v[6:7]
	v_add_f64 v[16:17], v[16:17], v[8:9]
	ds_load_b128 v[2:5], v1 offset:1728
	ds_load_b128 v[6:9], v1 offset:1744
	v_fma_f64 v[12:13], v[12:13], v[30:31], v[18:19]
	v_fma_f64 v[10:11], v[10:11], v[30:31], -v[20:21]
	s_waitcnt vmcnt(1) lgkmcnt(1)
	v_mul_f64 v[26:27], v[2:3], v[36:37]
	v_mul_f64 v[28:29], v[4:5], v[36:37]
	s_waitcnt vmcnt(0) lgkmcnt(0)
	v_mul_f64 v[18:19], v[6:7], v[42:43]
	v_add_f64 v[14:15], v[14:15], v[24:25]
	v_add_f64 v[16:17], v[16:17], v[22:23]
	v_mul_f64 v[20:21], v[8:9], v[42:43]
	v_fma_f64 v[4:5], v[4:5], v[34:35], v[26:27]
	v_fma_f64 v[1:2], v[2:3], v[34:35], -v[28:29]
	v_fma_f64 v[8:9], v[8:9], v[40:41], v[18:19]
	v_add_f64 v[10:11], v[14:15], v[10:11]
	v_add_f64 v[12:13], v[16:17], v[12:13]
	v_fma_f64 v[6:7], v[6:7], v[40:41], -v[20:21]
	s_delay_alu instid0(VALU_DEP_3) | instskip(NEXT) | instid1(VALU_DEP_3)
	v_add_f64 v[1:2], v[10:11], v[1:2]
	v_add_f64 v[3:4], v[12:13], v[4:5]
	s_delay_alu instid0(VALU_DEP_2) | instskip(NEXT) | instid1(VALU_DEP_2)
	v_add_f64 v[1:2], v[1:2], v[6:7]
	v_add_f64 v[3:4], v[3:4], v[8:9]
	s_delay_alu instid0(VALU_DEP_2) | instskip(NEXT) | instid1(VALU_DEP_2)
	v_add_f64 v[1:2], v[172:173], -v[1:2]
	v_add_f64 v[3:4], v[174:175], -v[3:4]
	scratch_store_b128 off, v[1:4], off offset:544
	v_cmpx_lt_u32_e32 33, v156
	s_cbranch_execz .LBB54_277
; %bb.276:
	scratch_load_b128 v[1:4], v222, off
	v_mov_b32_e32 v5, 0
	s_delay_alu instid0(VALU_DEP_1)
	v_mov_b32_e32 v6, v5
	v_mov_b32_e32 v7, v5
	;; [unrolled: 1-line block ×3, first 2 shown]
	scratch_store_b128 off, v[5:8], off offset:528
	s_waitcnt vmcnt(0)
	ds_store_b128 v211, v[1:4]
.LBB54_277:
	s_or_b32 exec_lo, exec_lo, s2
	s_waitcnt lgkmcnt(0)
	s_waitcnt_vscnt null, 0x0
	s_barrier
	buffer_gl0_inv
	s_clause 0x7
	scratch_load_b128 v[2:5], off, off offset:544
	scratch_load_b128 v[6:9], off, off offset:560
	;; [unrolled: 1-line block ×8, first 2 shown]
	v_mov_b32_e32 v1, 0
	s_mov_b32 s2, exec_lo
	ds_load_b128 v[34:37], v1 offset:1424
	s_clause 0x1
	scratch_load_b128 v[38:41], off, off offset:672
	scratch_load_b128 v[42:45], off, off offset:528
	ds_load_b128 v[172:175], v1 offset:1440
	scratch_load_b128 v[176:179], off, off offset:688
	ds_load_b128 v[180:183], v1 offset:1472
	s_waitcnt vmcnt(10) lgkmcnt(2)
	v_mul_f64 v[169:170], v[36:37], v[4:5]
	v_mul_f64 v[4:5], v[34:35], v[4:5]
	s_delay_alu instid0(VALU_DEP_2) | instskip(NEXT) | instid1(VALU_DEP_2)
	v_fma_f64 v[169:170], v[34:35], v[2:3], -v[169:170]
	v_fma_f64 v[231:232], v[36:37], v[2:3], v[4:5]
	ds_load_b128 v[2:5], v1 offset:1456
	s_waitcnt vmcnt(9) lgkmcnt(2)
	v_mul_f64 v[229:230], v[172:173], v[8:9]
	v_mul_f64 v[8:9], v[174:175], v[8:9]
	scratch_load_b128 v[34:37], off, off offset:704
	s_waitcnt vmcnt(9) lgkmcnt(0)
	v_mul_f64 v[233:234], v[2:3], v[12:13]
	v_mul_f64 v[12:13], v[4:5], v[12:13]
	v_add_f64 v[169:170], v[169:170], 0
	v_fma_f64 v[174:175], v[174:175], v[6:7], v[229:230]
	v_fma_f64 v[172:173], v[172:173], v[6:7], -v[8:9]
	v_add_f64 v[229:230], v[231:232], 0
	scratch_load_b128 v[6:9], off, off offset:720
	v_fma_f64 v[233:234], v[4:5], v[10:11], v[233:234]
	v_fma_f64 v[235:236], v[2:3], v[10:11], -v[12:13]
	scratch_load_b128 v[10:13], off, off offset:736
	ds_load_b128 v[2:5], v1 offset:1488
	s_waitcnt vmcnt(10)
	v_mul_f64 v[231:232], v[180:181], v[16:17]
	v_mul_f64 v[16:17], v[182:183], v[16:17]
	v_add_f64 v[169:170], v[169:170], v[172:173]
	v_add_f64 v[229:230], v[229:230], v[174:175]
	ds_load_b128 v[172:175], v1 offset:1504
	s_waitcnt vmcnt(9) lgkmcnt(1)
	v_mul_f64 v[237:238], v[2:3], v[20:21]
	v_mul_f64 v[20:21], v[4:5], v[20:21]
	v_fma_f64 v[182:183], v[182:183], v[14:15], v[231:232]
	v_fma_f64 v[180:181], v[180:181], v[14:15], -v[16:17]
	scratch_load_b128 v[14:17], off, off offset:752
	v_add_f64 v[169:170], v[169:170], v[235:236]
	v_add_f64 v[229:230], v[229:230], v[233:234]
	v_fma_f64 v[233:234], v[4:5], v[18:19], v[237:238]
	v_fma_f64 v[235:236], v[2:3], v[18:19], -v[20:21]
	scratch_load_b128 v[18:21], off, off offset:768
	ds_load_b128 v[2:5], v1 offset:1520
	s_waitcnt vmcnt(10) lgkmcnt(1)
	v_mul_f64 v[231:232], v[172:173], v[24:25]
	v_mul_f64 v[24:25], v[174:175], v[24:25]
	s_waitcnt vmcnt(9) lgkmcnt(0)
	v_mul_f64 v[237:238], v[2:3], v[28:29]
	v_mul_f64 v[28:29], v[4:5], v[28:29]
	v_add_f64 v[169:170], v[169:170], v[180:181]
	v_add_f64 v[229:230], v[229:230], v[182:183]
	ds_load_b128 v[180:183], v1 offset:1536
	v_fma_f64 v[174:175], v[174:175], v[22:23], v[231:232]
	v_fma_f64 v[172:173], v[172:173], v[22:23], -v[24:25]
	scratch_load_b128 v[22:25], off, off offset:784
	v_add_f64 v[169:170], v[169:170], v[235:236]
	v_add_f64 v[229:230], v[229:230], v[233:234]
	v_fma_f64 v[233:234], v[4:5], v[26:27], v[237:238]
	v_fma_f64 v[235:236], v[2:3], v[26:27], -v[28:29]
	scratch_load_b128 v[26:29], off, off offset:800
	ds_load_b128 v[2:5], v1 offset:1552
	s_waitcnt vmcnt(10) lgkmcnt(1)
	v_mul_f64 v[231:232], v[180:181], v[32:33]
	v_mul_f64 v[32:33], v[182:183], v[32:33]
	s_waitcnt vmcnt(9) lgkmcnt(0)
	v_mul_f64 v[237:238], v[2:3], v[40:41]
	v_mul_f64 v[40:41], v[4:5], v[40:41]
	v_add_f64 v[169:170], v[169:170], v[172:173]
	v_add_f64 v[229:230], v[229:230], v[174:175]
	ds_load_b128 v[172:175], v1 offset:1568
	v_fma_f64 v[182:183], v[182:183], v[30:31], v[231:232]
	v_fma_f64 v[180:181], v[180:181], v[30:31], -v[32:33]
	scratch_load_b128 v[30:33], off, off offset:816
	v_add_f64 v[169:170], v[169:170], v[235:236]
	v_add_f64 v[229:230], v[229:230], v[233:234]
	v_fma_f64 v[235:236], v[4:5], v[38:39], v[237:238]
	v_fma_f64 v[237:238], v[2:3], v[38:39], -v[40:41]
	scratch_load_b128 v[38:41], off, off offset:832
	ds_load_b128 v[2:5], v1 offset:1584
	s_waitcnt vmcnt(9) lgkmcnt(1)
	v_mul_f64 v[231:232], v[172:173], v[178:179]
	v_mul_f64 v[233:234], v[174:175], v[178:179]
	v_add_f64 v[169:170], v[169:170], v[180:181]
	v_add_f64 v[182:183], v[229:230], v[182:183]
	ds_load_b128 v[178:181], v1 offset:1600
	v_fma_f64 v[231:232], v[174:175], v[176:177], v[231:232]
	v_fma_f64 v[176:177], v[172:173], v[176:177], -v[233:234]
	scratch_load_b128 v[172:175], off, off offset:848
	s_waitcnt vmcnt(9) lgkmcnt(1)
	v_mul_f64 v[229:230], v[2:3], v[36:37]
	v_mul_f64 v[36:37], v[4:5], v[36:37]
	v_add_f64 v[169:170], v[169:170], v[237:238]
	v_add_f64 v[182:183], v[182:183], v[235:236]
	s_delay_alu instid0(VALU_DEP_4) | instskip(NEXT) | instid1(VALU_DEP_4)
	v_fma_f64 v[235:236], v[4:5], v[34:35], v[229:230]
	v_fma_f64 v[237:238], v[2:3], v[34:35], -v[36:37]
	scratch_load_b128 v[34:37], off, off offset:864
	ds_load_b128 v[2:5], v1 offset:1616
	s_waitcnt vmcnt(9) lgkmcnt(1)
	v_mul_f64 v[233:234], v[178:179], v[8:9]
	v_mul_f64 v[8:9], v[180:181], v[8:9]
	v_add_f64 v[169:170], v[169:170], v[176:177]
	v_add_f64 v[176:177], v[182:183], v[231:232]
	s_waitcnt vmcnt(8) lgkmcnt(0)
	v_mul_f64 v[182:183], v[2:3], v[12:13]
	v_mul_f64 v[12:13], v[4:5], v[12:13]
	ds_load_b128 v[229:232], v1 offset:1632
	v_fma_f64 v[180:181], v[180:181], v[6:7], v[233:234]
	v_fma_f64 v[6:7], v[178:179], v[6:7], -v[8:9]
	v_add_f64 v[8:9], v[169:170], v[237:238]
	v_add_f64 v[169:170], v[176:177], v[235:236]
	s_waitcnt vmcnt(7) lgkmcnt(0)
	v_mul_f64 v[176:177], v[229:230], v[16:17]
	v_mul_f64 v[16:17], v[231:232], v[16:17]
	v_fma_f64 v[178:179], v[4:5], v[10:11], v[182:183]
	v_fma_f64 v[10:11], v[2:3], v[10:11], -v[12:13]
	v_add_f64 v[12:13], v[8:9], v[6:7]
	v_add_f64 v[169:170], v[169:170], v[180:181]
	ds_load_b128 v[2:5], v1 offset:1648
	ds_load_b128 v[6:9], v1 offset:1664
	v_fma_f64 v[176:177], v[231:232], v[14:15], v[176:177]
	v_fma_f64 v[14:15], v[229:230], v[14:15], -v[16:17]
	s_waitcnt vmcnt(6) lgkmcnt(1)
	v_mul_f64 v[180:181], v[2:3], v[20:21]
	v_mul_f64 v[20:21], v[4:5], v[20:21]
	s_waitcnt vmcnt(5) lgkmcnt(0)
	v_mul_f64 v[16:17], v[6:7], v[24:25]
	v_mul_f64 v[24:25], v[8:9], v[24:25]
	v_add_f64 v[10:11], v[12:13], v[10:11]
	v_add_f64 v[12:13], v[169:170], v[178:179]
	v_fma_f64 v[169:170], v[4:5], v[18:19], v[180:181]
	v_fma_f64 v[18:19], v[2:3], v[18:19], -v[20:21]
	v_fma_f64 v[8:9], v[8:9], v[22:23], v[16:17]
	v_fma_f64 v[6:7], v[6:7], v[22:23], -v[24:25]
	v_add_f64 v[14:15], v[10:11], v[14:15]
	v_add_f64 v[20:21], v[12:13], v[176:177]
	ds_load_b128 v[2:5], v1 offset:1680
	ds_load_b128 v[10:13], v1 offset:1696
	s_waitcnt vmcnt(4) lgkmcnt(1)
	v_mul_f64 v[176:177], v[2:3], v[28:29]
	v_mul_f64 v[28:29], v[4:5], v[28:29]
	v_add_f64 v[14:15], v[14:15], v[18:19]
	v_add_f64 v[16:17], v[20:21], v[169:170]
	s_waitcnt vmcnt(3) lgkmcnt(0)
	v_mul_f64 v[18:19], v[10:11], v[32:33]
	v_mul_f64 v[20:21], v[12:13], v[32:33]
	v_fma_f64 v[22:23], v[4:5], v[26:27], v[176:177]
	v_fma_f64 v[24:25], v[2:3], v[26:27], -v[28:29]
	v_add_f64 v[14:15], v[14:15], v[6:7]
	v_add_f64 v[16:17], v[16:17], v[8:9]
	ds_load_b128 v[2:5], v1 offset:1712
	ds_load_b128 v[6:9], v1 offset:1728
	v_fma_f64 v[12:13], v[12:13], v[30:31], v[18:19]
	v_fma_f64 v[10:11], v[10:11], v[30:31], -v[20:21]
	s_waitcnt vmcnt(2) lgkmcnt(1)
	v_mul_f64 v[26:27], v[2:3], v[40:41]
	v_mul_f64 v[28:29], v[4:5], v[40:41]
	s_waitcnt vmcnt(1) lgkmcnt(0)
	v_mul_f64 v[18:19], v[6:7], v[174:175]
	v_mul_f64 v[20:21], v[8:9], v[174:175]
	v_add_f64 v[14:15], v[14:15], v[24:25]
	v_add_f64 v[16:17], v[16:17], v[22:23]
	v_fma_f64 v[22:23], v[4:5], v[38:39], v[26:27]
	v_fma_f64 v[24:25], v[2:3], v[38:39], -v[28:29]
	ds_load_b128 v[2:5], v1 offset:1744
	v_fma_f64 v[8:9], v[8:9], v[172:173], v[18:19]
	v_fma_f64 v[6:7], v[6:7], v[172:173], -v[20:21]
	v_add_f64 v[10:11], v[14:15], v[10:11]
	v_add_f64 v[12:13], v[16:17], v[12:13]
	s_waitcnt vmcnt(0) lgkmcnt(0)
	v_mul_f64 v[14:15], v[2:3], v[36:37]
	v_mul_f64 v[16:17], v[4:5], v[36:37]
	s_delay_alu instid0(VALU_DEP_4) | instskip(NEXT) | instid1(VALU_DEP_4)
	v_add_f64 v[10:11], v[10:11], v[24:25]
	v_add_f64 v[12:13], v[12:13], v[22:23]
	s_delay_alu instid0(VALU_DEP_4) | instskip(NEXT) | instid1(VALU_DEP_4)
	v_fma_f64 v[4:5], v[4:5], v[34:35], v[14:15]
	v_fma_f64 v[2:3], v[2:3], v[34:35], -v[16:17]
	s_delay_alu instid0(VALU_DEP_4) | instskip(NEXT) | instid1(VALU_DEP_4)
	v_add_f64 v[6:7], v[10:11], v[6:7]
	v_add_f64 v[8:9], v[12:13], v[8:9]
	s_delay_alu instid0(VALU_DEP_2) | instskip(NEXT) | instid1(VALU_DEP_2)
	v_add_f64 v[2:3], v[6:7], v[2:3]
	v_add_f64 v[4:5], v[8:9], v[4:5]
	s_delay_alu instid0(VALU_DEP_2) | instskip(NEXT) | instid1(VALU_DEP_2)
	v_add_f64 v[2:3], v[42:43], -v[2:3]
	v_add_f64 v[4:5], v[44:45], -v[4:5]
	scratch_store_b128 off, v[2:5], off offset:528
	v_cmpx_lt_u32_e32 32, v156
	s_cbranch_execz .LBB54_279
; %bb.278:
	scratch_load_b128 v[5:8], v223, off
	v_mov_b32_e32 v2, v1
	v_mov_b32_e32 v3, v1
	;; [unrolled: 1-line block ×3, first 2 shown]
	scratch_store_b128 off, v[1:4], off offset:512
	s_waitcnt vmcnt(0)
	ds_store_b128 v211, v[5:8]
.LBB54_279:
	s_or_b32 exec_lo, exec_lo, s2
	s_waitcnt lgkmcnt(0)
	s_waitcnt_vscnt null, 0x0
	s_barrier
	buffer_gl0_inv
	s_clause 0x8
	scratch_load_b128 v[2:5], off, off offset:528
	scratch_load_b128 v[6:9], off, off offset:544
	;; [unrolled: 1-line block ×9, first 2 shown]
	ds_load_b128 v[38:41], v1 offset:1408
	ds_load_b128 v[42:45], v1 offset:1424
	s_clause 0x1
	scratch_load_b128 v[172:175], off, off offset:512
	scratch_load_b128 v[176:179], off, off offset:672
	s_mov_b32 s2, exec_lo
	ds_load_b128 v[180:183], v1 offset:1456
	s_waitcnt vmcnt(10) lgkmcnt(2)
	v_mul_f64 v[169:170], v[40:41], v[4:5]
	v_mul_f64 v[4:5], v[38:39], v[4:5]
	s_waitcnt vmcnt(9) lgkmcnt(1)
	v_mul_f64 v[229:230], v[42:43], v[8:9]
	v_mul_f64 v[8:9], v[44:45], v[8:9]
	s_delay_alu instid0(VALU_DEP_4) | instskip(NEXT) | instid1(VALU_DEP_4)
	v_fma_f64 v[169:170], v[38:39], v[2:3], -v[169:170]
	v_fma_f64 v[231:232], v[40:41], v[2:3], v[4:5]
	ds_load_b128 v[2:5], v1 offset:1440
	scratch_load_b128 v[38:41], off, off offset:688
	v_fma_f64 v[44:45], v[44:45], v[6:7], v[229:230]
	v_fma_f64 v[42:43], v[42:43], v[6:7], -v[8:9]
	scratch_load_b128 v[6:9], off, off offset:704
	s_waitcnt vmcnt(10) lgkmcnt(0)
	v_mul_f64 v[233:234], v[2:3], v[12:13]
	v_mul_f64 v[12:13], v[4:5], v[12:13]
	v_add_f64 v[169:170], v[169:170], 0
	v_add_f64 v[229:230], v[231:232], 0
	s_waitcnt vmcnt(9)
	v_mul_f64 v[231:232], v[180:181], v[16:17]
	v_mul_f64 v[16:17], v[182:183], v[16:17]
	v_fma_f64 v[233:234], v[4:5], v[10:11], v[233:234]
	v_fma_f64 v[235:236], v[2:3], v[10:11], -v[12:13]
	ds_load_b128 v[2:5], v1 offset:1472
	scratch_load_b128 v[10:13], off, off offset:720
	v_add_f64 v[169:170], v[169:170], v[42:43]
	v_add_f64 v[229:230], v[229:230], v[44:45]
	ds_load_b128 v[42:45], v1 offset:1488
	v_fma_f64 v[182:183], v[182:183], v[14:15], v[231:232]
	v_fma_f64 v[180:181], v[180:181], v[14:15], -v[16:17]
	scratch_load_b128 v[14:17], off, off offset:736
	s_waitcnt vmcnt(10) lgkmcnt(1)
	v_mul_f64 v[237:238], v[2:3], v[20:21]
	v_mul_f64 v[20:21], v[4:5], v[20:21]
	s_waitcnt vmcnt(9) lgkmcnt(0)
	v_mul_f64 v[231:232], v[42:43], v[24:25]
	v_mul_f64 v[24:25], v[44:45], v[24:25]
	v_add_f64 v[169:170], v[169:170], v[235:236]
	v_add_f64 v[229:230], v[229:230], v[233:234]
	v_fma_f64 v[233:234], v[4:5], v[18:19], v[237:238]
	v_fma_f64 v[235:236], v[2:3], v[18:19], -v[20:21]
	ds_load_b128 v[2:5], v1 offset:1504
	scratch_load_b128 v[18:21], off, off offset:752
	v_fma_f64 v[44:45], v[44:45], v[22:23], v[231:232]
	v_fma_f64 v[42:43], v[42:43], v[22:23], -v[24:25]
	scratch_load_b128 v[22:25], off, off offset:768
	v_add_f64 v[169:170], v[169:170], v[180:181]
	v_add_f64 v[229:230], v[229:230], v[182:183]
	ds_load_b128 v[180:183], v1 offset:1520
	s_waitcnt vmcnt(10) lgkmcnt(1)
	v_mul_f64 v[237:238], v[2:3], v[28:29]
	v_mul_f64 v[28:29], v[4:5], v[28:29]
	s_waitcnt vmcnt(9) lgkmcnt(0)
	v_mul_f64 v[231:232], v[180:181], v[32:33]
	v_mul_f64 v[32:33], v[182:183], v[32:33]
	v_add_f64 v[169:170], v[169:170], v[235:236]
	v_add_f64 v[229:230], v[229:230], v[233:234]
	v_fma_f64 v[233:234], v[4:5], v[26:27], v[237:238]
	v_fma_f64 v[235:236], v[2:3], v[26:27], -v[28:29]
	ds_load_b128 v[2:5], v1 offset:1536
	scratch_load_b128 v[26:29], off, off offset:784
	v_fma_f64 v[182:183], v[182:183], v[30:31], v[231:232]
	v_fma_f64 v[180:181], v[180:181], v[30:31], -v[32:33]
	scratch_load_b128 v[30:33], off, off offset:800
	v_add_f64 v[169:170], v[169:170], v[42:43]
	v_add_f64 v[229:230], v[229:230], v[44:45]
	ds_load_b128 v[42:45], v1 offset:1552
	s_waitcnt vmcnt(10) lgkmcnt(1)
	v_mul_f64 v[237:238], v[2:3], v[36:37]
	v_mul_f64 v[36:37], v[4:5], v[36:37]
	s_waitcnt vmcnt(8) lgkmcnt(0)
	v_mul_f64 v[231:232], v[42:43], v[178:179]
	v_add_f64 v[169:170], v[169:170], v[235:236]
	v_add_f64 v[229:230], v[229:230], v[233:234]
	v_mul_f64 v[233:234], v[44:45], v[178:179]
	v_fma_f64 v[235:236], v[4:5], v[34:35], v[237:238]
	v_fma_f64 v[237:238], v[2:3], v[34:35], -v[36:37]
	ds_load_b128 v[2:5], v1 offset:1568
	scratch_load_b128 v[34:37], off, off offset:816
	v_fma_f64 v[44:45], v[44:45], v[176:177], v[231:232]
	v_add_f64 v[169:170], v[169:170], v[180:181]
	v_add_f64 v[182:183], v[229:230], v[182:183]
	ds_load_b128 v[178:181], v1 offset:1584
	v_fma_f64 v[176:177], v[42:43], v[176:177], -v[233:234]
	s_waitcnt vmcnt(8) lgkmcnt(1)
	v_mul_f64 v[229:230], v[2:3], v[40:41]
	v_mul_f64 v[239:240], v[4:5], v[40:41]
	scratch_load_b128 v[40:43], off, off offset:832
	v_add_f64 v[169:170], v[169:170], v[237:238]
	v_add_f64 v[182:183], v[182:183], v[235:236]
	s_waitcnt vmcnt(8) lgkmcnt(0)
	v_mul_f64 v[237:238], v[178:179], v[8:9]
	v_mul_f64 v[8:9], v[180:181], v[8:9]
	ds_load_b128 v[233:236], v1 offset:1616
	v_fma_f64 v[241:242], v[4:5], v[38:39], v[229:230]
	v_fma_f64 v[38:39], v[2:3], v[38:39], -v[239:240]
	ds_load_b128 v[2:5], v1 offset:1600
	scratch_load_b128 v[229:232], off, off offset:848
	v_add_f64 v[169:170], v[169:170], v[176:177]
	v_add_f64 v[44:45], v[182:183], v[44:45]
	v_fma_f64 v[180:181], v[180:181], v[6:7], v[237:238]
	s_waitcnt vmcnt(8) lgkmcnt(0)
	v_mul_f64 v[176:177], v[2:3], v[12:13]
	v_mul_f64 v[12:13], v[4:5], v[12:13]
	v_fma_f64 v[178:179], v[178:179], v[6:7], -v[8:9]
	scratch_load_b128 v[6:9], off, off offset:864
	v_add_f64 v[38:39], v[169:170], v[38:39]
	v_add_f64 v[44:45], v[44:45], v[241:242]
	s_waitcnt vmcnt(8)
	v_mul_f64 v[169:170], v[233:234], v[16:17]
	v_mul_f64 v[16:17], v[235:236], v[16:17]
	v_fma_f64 v[176:177], v[4:5], v[10:11], v[176:177]
	v_fma_f64 v[182:183], v[2:3], v[10:11], -v[12:13]
	ds_load_b128 v[2:5], v1 offset:1632
	ds_load_b128 v[10:13], v1 offset:1648
	v_add_f64 v[38:39], v[38:39], v[178:179]
	v_add_f64 v[44:45], v[44:45], v[180:181]
	s_waitcnt vmcnt(7) lgkmcnt(1)
	v_mul_f64 v[178:179], v[2:3], v[20:21]
	v_mul_f64 v[20:21], v[4:5], v[20:21]
	v_fma_f64 v[169:170], v[235:236], v[14:15], v[169:170]
	v_fma_f64 v[14:15], v[233:234], v[14:15], -v[16:17]
	v_add_f64 v[16:17], v[38:39], v[182:183]
	v_add_f64 v[38:39], v[44:45], v[176:177]
	s_waitcnt vmcnt(6) lgkmcnt(0)
	v_mul_f64 v[44:45], v[10:11], v[24:25]
	v_mul_f64 v[24:25], v[12:13], v[24:25]
	v_fma_f64 v[176:177], v[4:5], v[18:19], v[178:179]
	v_fma_f64 v[18:19], v[2:3], v[18:19], -v[20:21]
	v_add_f64 v[20:21], v[16:17], v[14:15]
	v_add_f64 v[38:39], v[38:39], v[169:170]
	ds_load_b128 v[2:5], v1 offset:1664
	ds_load_b128 v[14:17], v1 offset:1680
	v_fma_f64 v[12:13], v[12:13], v[22:23], v[44:45]
	v_fma_f64 v[10:11], v[10:11], v[22:23], -v[24:25]
	s_waitcnt vmcnt(5) lgkmcnt(1)
	v_mul_f64 v[169:170], v[2:3], v[28:29]
	v_mul_f64 v[28:29], v[4:5], v[28:29]
	s_waitcnt vmcnt(4) lgkmcnt(0)
	v_mul_f64 v[22:23], v[14:15], v[32:33]
	v_mul_f64 v[24:25], v[16:17], v[32:33]
	v_add_f64 v[18:19], v[20:21], v[18:19]
	v_add_f64 v[20:21], v[38:39], v[176:177]
	v_fma_f64 v[32:33], v[4:5], v[26:27], v[169:170]
	v_fma_f64 v[26:27], v[2:3], v[26:27], -v[28:29]
	v_fma_f64 v[16:17], v[16:17], v[30:31], v[22:23]
	v_fma_f64 v[14:15], v[14:15], v[30:31], -v[24:25]
	v_add_f64 v[18:19], v[18:19], v[10:11]
	v_add_f64 v[20:21], v[20:21], v[12:13]
	ds_load_b128 v[2:5], v1 offset:1696
	ds_load_b128 v[10:13], v1 offset:1712
	s_waitcnt vmcnt(3) lgkmcnt(1)
	v_mul_f64 v[28:29], v[2:3], v[36:37]
	v_mul_f64 v[36:37], v[4:5], v[36:37]
	s_waitcnt vmcnt(2) lgkmcnt(0)
	v_mul_f64 v[22:23], v[10:11], v[42:43]
	v_add_f64 v[18:19], v[18:19], v[26:27]
	v_add_f64 v[20:21], v[20:21], v[32:33]
	v_mul_f64 v[24:25], v[12:13], v[42:43]
	v_fma_f64 v[26:27], v[4:5], v[34:35], v[28:29]
	v_fma_f64 v[28:29], v[2:3], v[34:35], -v[36:37]
	v_fma_f64 v[12:13], v[12:13], v[40:41], v[22:23]
	v_add_f64 v[18:19], v[18:19], v[14:15]
	v_add_f64 v[20:21], v[20:21], v[16:17]
	ds_load_b128 v[2:5], v1 offset:1728
	ds_load_b128 v[14:17], v1 offset:1744
	v_fma_f64 v[10:11], v[10:11], v[40:41], -v[24:25]
	s_waitcnt vmcnt(1) lgkmcnt(1)
	v_mul_f64 v[30:31], v[2:3], v[231:232]
	v_mul_f64 v[32:33], v[4:5], v[231:232]
	s_waitcnt vmcnt(0) lgkmcnt(0)
	v_mul_f64 v[22:23], v[14:15], v[8:9]
	v_mul_f64 v[8:9], v[16:17], v[8:9]
	v_add_f64 v[18:19], v[18:19], v[28:29]
	v_add_f64 v[20:21], v[20:21], v[26:27]
	v_fma_f64 v[4:5], v[4:5], v[229:230], v[30:31]
	v_fma_f64 v[1:2], v[2:3], v[229:230], -v[32:33]
	v_fma_f64 v[16:17], v[16:17], v[6:7], v[22:23]
	v_fma_f64 v[6:7], v[14:15], v[6:7], -v[8:9]
	v_add_f64 v[10:11], v[18:19], v[10:11]
	v_add_f64 v[12:13], v[20:21], v[12:13]
	s_delay_alu instid0(VALU_DEP_2) | instskip(NEXT) | instid1(VALU_DEP_2)
	v_add_f64 v[1:2], v[10:11], v[1:2]
	v_add_f64 v[3:4], v[12:13], v[4:5]
	s_delay_alu instid0(VALU_DEP_2) | instskip(NEXT) | instid1(VALU_DEP_2)
	;; [unrolled: 3-line block ×3, first 2 shown]
	v_add_f64 v[1:2], v[172:173], -v[1:2]
	v_add_f64 v[3:4], v[174:175], -v[3:4]
	scratch_store_b128 off, v[1:4], off offset:512
	v_cmpx_lt_u32_e32 31, v156
	s_cbranch_execz .LBB54_281
; %bb.280:
	scratch_load_b128 v[1:4], v224, off
	v_mov_b32_e32 v5, 0
	s_delay_alu instid0(VALU_DEP_1)
	v_mov_b32_e32 v6, v5
	v_mov_b32_e32 v7, v5
	;; [unrolled: 1-line block ×3, first 2 shown]
	scratch_store_b128 off, v[5:8], off offset:496
	s_waitcnt vmcnt(0)
	ds_store_b128 v211, v[1:4]
.LBB54_281:
	s_or_b32 exec_lo, exec_lo, s2
	s_waitcnt lgkmcnt(0)
	s_waitcnt_vscnt null, 0x0
	s_barrier
	buffer_gl0_inv
	s_clause 0x7
	scratch_load_b128 v[2:5], off, off offset:512
	scratch_load_b128 v[6:9], off, off offset:528
	;; [unrolled: 1-line block ×8, first 2 shown]
	v_mov_b32_e32 v1, 0
	s_mov_b32 s2, exec_lo
	ds_load_b128 v[34:37], v1 offset:1392
	s_clause 0x1
	scratch_load_b128 v[38:41], off, off offset:640
	scratch_load_b128 v[42:45], off, off offset:496
	ds_load_b128 v[172:175], v1 offset:1408
	scratch_load_b128 v[176:179], off, off offset:656
	ds_load_b128 v[180:183], v1 offset:1440
	s_waitcnt vmcnt(10) lgkmcnt(2)
	v_mul_f64 v[169:170], v[36:37], v[4:5]
	v_mul_f64 v[4:5], v[34:35], v[4:5]
	s_delay_alu instid0(VALU_DEP_2) | instskip(NEXT) | instid1(VALU_DEP_2)
	v_fma_f64 v[169:170], v[34:35], v[2:3], -v[169:170]
	v_fma_f64 v[231:232], v[36:37], v[2:3], v[4:5]
	ds_load_b128 v[2:5], v1 offset:1424
	s_waitcnt vmcnt(9) lgkmcnt(2)
	v_mul_f64 v[229:230], v[172:173], v[8:9]
	v_mul_f64 v[8:9], v[174:175], v[8:9]
	scratch_load_b128 v[34:37], off, off offset:672
	s_waitcnt vmcnt(9) lgkmcnt(0)
	v_mul_f64 v[233:234], v[2:3], v[12:13]
	v_mul_f64 v[12:13], v[4:5], v[12:13]
	v_add_f64 v[169:170], v[169:170], 0
	v_fma_f64 v[174:175], v[174:175], v[6:7], v[229:230]
	v_fma_f64 v[172:173], v[172:173], v[6:7], -v[8:9]
	v_add_f64 v[229:230], v[231:232], 0
	scratch_load_b128 v[6:9], off, off offset:688
	v_fma_f64 v[233:234], v[4:5], v[10:11], v[233:234]
	v_fma_f64 v[235:236], v[2:3], v[10:11], -v[12:13]
	scratch_load_b128 v[10:13], off, off offset:704
	ds_load_b128 v[2:5], v1 offset:1456
	s_waitcnt vmcnt(10)
	v_mul_f64 v[231:232], v[180:181], v[16:17]
	v_mul_f64 v[16:17], v[182:183], v[16:17]
	v_add_f64 v[169:170], v[169:170], v[172:173]
	v_add_f64 v[229:230], v[229:230], v[174:175]
	ds_load_b128 v[172:175], v1 offset:1472
	s_waitcnt vmcnt(9) lgkmcnt(1)
	v_mul_f64 v[237:238], v[2:3], v[20:21]
	v_mul_f64 v[20:21], v[4:5], v[20:21]
	v_fma_f64 v[182:183], v[182:183], v[14:15], v[231:232]
	v_fma_f64 v[180:181], v[180:181], v[14:15], -v[16:17]
	scratch_load_b128 v[14:17], off, off offset:720
	v_add_f64 v[169:170], v[169:170], v[235:236]
	v_add_f64 v[229:230], v[229:230], v[233:234]
	v_fma_f64 v[233:234], v[4:5], v[18:19], v[237:238]
	v_fma_f64 v[235:236], v[2:3], v[18:19], -v[20:21]
	scratch_load_b128 v[18:21], off, off offset:736
	ds_load_b128 v[2:5], v1 offset:1488
	s_waitcnt vmcnt(10) lgkmcnt(1)
	v_mul_f64 v[231:232], v[172:173], v[24:25]
	v_mul_f64 v[24:25], v[174:175], v[24:25]
	s_waitcnt vmcnt(9) lgkmcnt(0)
	v_mul_f64 v[237:238], v[2:3], v[28:29]
	v_mul_f64 v[28:29], v[4:5], v[28:29]
	v_add_f64 v[169:170], v[169:170], v[180:181]
	v_add_f64 v[229:230], v[229:230], v[182:183]
	ds_load_b128 v[180:183], v1 offset:1504
	v_fma_f64 v[174:175], v[174:175], v[22:23], v[231:232]
	v_fma_f64 v[172:173], v[172:173], v[22:23], -v[24:25]
	scratch_load_b128 v[22:25], off, off offset:752
	v_add_f64 v[169:170], v[169:170], v[235:236]
	v_add_f64 v[229:230], v[229:230], v[233:234]
	v_fma_f64 v[233:234], v[4:5], v[26:27], v[237:238]
	v_fma_f64 v[235:236], v[2:3], v[26:27], -v[28:29]
	scratch_load_b128 v[26:29], off, off offset:768
	ds_load_b128 v[2:5], v1 offset:1520
	s_waitcnt vmcnt(10) lgkmcnt(1)
	v_mul_f64 v[231:232], v[180:181], v[32:33]
	v_mul_f64 v[32:33], v[182:183], v[32:33]
	s_waitcnt vmcnt(9) lgkmcnt(0)
	v_mul_f64 v[237:238], v[2:3], v[40:41]
	v_mul_f64 v[40:41], v[4:5], v[40:41]
	v_add_f64 v[169:170], v[169:170], v[172:173]
	v_add_f64 v[229:230], v[229:230], v[174:175]
	ds_load_b128 v[172:175], v1 offset:1536
	v_fma_f64 v[182:183], v[182:183], v[30:31], v[231:232]
	v_fma_f64 v[180:181], v[180:181], v[30:31], -v[32:33]
	scratch_load_b128 v[30:33], off, off offset:784
	v_add_f64 v[169:170], v[169:170], v[235:236]
	v_add_f64 v[229:230], v[229:230], v[233:234]
	v_fma_f64 v[235:236], v[4:5], v[38:39], v[237:238]
	v_fma_f64 v[237:238], v[2:3], v[38:39], -v[40:41]
	scratch_load_b128 v[38:41], off, off offset:800
	ds_load_b128 v[2:5], v1 offset:1552
	s_waitcnt vmcnt(9) lgkmcnt(1)
	v_mul_f64 v[231:232], v[172:173], v[178:179]
	v_mul_f64 v[233:234], v[174:175], v[178:179]
	v_add_f64 v[169:170], v[169:170], v[180:181]
	v_add_f64 v[182:183], v[229:230], v[182:183]
	ds_load_b128 v[178:181], v1 offset:1568
	v_fma_f64 v[231:232], v[174:175], v[176:177], v[231:232]
	v_fma_f64 v[176:177], v[172:173], v[176:177], -v[233:234]
	scratch_load_b128 v[172:175], off, off offset:816
	s_waitcnt vmcnt(9) lgkmcnt(1)
	v_mul_f64 v[229:230], v[2:3], v[36:37]
	v_mul_f64 v[36:37], v[4:5], v[36:37]
	v_add_f64 v[169:170], v[169:170], v[237:238]
	v_add_f64 v[182:183], v[182:183], v[235:236]
	s_delay_alu instid0(VALU_DEP_4) | instskip(NEXT) | instid1(VALU_DEP_4)
	v_fma_f64 v[235:236], v[4:5], v[34:35], v[229:230]
	v_fma_f64 v[237:238], v[2:3], v[34:35], -v[36:37]
	scratch_load_b128 v[34:37], off, off offset:832
	ds_load_b128 v[2:5], v1 offset:1584
	s_waitcnt vmcnt(9) lgkmcnt(1)
	v_mul_f64 v[233:234], v[178:179], v[8:9]
	v_mul_f64 v[8:9], v[180:181], v[8:9]
	v_add_f64 v[169:170], v[169:170], v[176:177]
	v_add_f64 v[176:177], v[182:183], v[231:232]
	s_waitcnt vmcnt(8) lgkmcnt(0)
	v_mul_f64 v[182:183], v[2:3], v[12:13]
	v_mul_f64 v[12:13], v[4:5], v[12:13]
	ds_load_b128 v[229:232], v1 offset:1600
	v_fma_f64 v[180:181], v[180:181], v[6:7], v[233:234]
	v_fma_f64 v[178:179], v[178:179], v[6:7], -v[8:9]
	scratch_load_b128 v[6:9], off, off offset:848
	v_add_f64 v[169:170], v[169:170], v[237:238]
	v_add_f64 v[176:177], v[176:177], v[235:236]
	v_fma_f64 v[182:183], v[4:5], v[10:11], v[182:183]
	v_fma_f64 v[235:236], v[2:3], v[10:11], -v[12:13]
	scratch_load_b128 v[10:13], off, off offset:864
	ds_load_b128 v[2:5], v1 offset:1616
	s_waitcnt vmcnt(9) lgkmcnt(1)
	v_mul_f64 v[233:234], v[229:230], v[16:17]
	v_mul_f64 v[16:17], v[231:232], v[16:17]
	s_waitcnt vmcnt(8) lgkmcnt(0)
	v_mul_f64 v[237:238], v[2:3], v[20:21]
	v_mul_f64 v[20:21], v[4:5], v[20:21]
	v_add_f64 v[169:170], v[169:170], v[178:179]
	v_add_f64 v[180:181], v[176:177], v[180:181]
	ds_load_b128 v[176:179], v1 offset:1632
	v_fma_f64 v[231:232], v[231:232], v[14:15], v[233:234]
	v_fma_f64 v[14:15], v[229:230], v[14:15], -v[16:17]
	v_add_f64 v[16:17], v[169:170], v[235:236]
	v_add_f64 v[169:170], v[180:181], v[182:183]
	s_waitcnt vmcnt(7) lgkmcnt(0)
	v_mul_f64 v[180:181], v[176:177], v[24:25]
	v_mul_f64 v[24:25], v[178:179], v[24:25]
	v_fma_f64 v[182:183], v[4:5], v[18:19], v[237:238]
	v_fma_f64 v[18:19], v[2:3], v[18:19], -v[20:21]
	v_add_f64 v[20:21], v[16:17], v[14:15]
	v_add_f64 v[169:170], v[169:170], v[231:232]
	ds_load_b128 v[2:5], v1 offset:1648
	ds_load_b128 v[14:17], v1 offset:1664
	v_fma_f64 v[178:179], v[178:179], v[22:23], v[180:181]
	v_fma_f64 v[22:23], v[176:177], v[22:23], -v[24:25]
	s_waitcnt vmcnt(6) lgkmcnt(1)
	v_mul_f64 v[229:230], v[2:3], v[28:29]
	v_mul_f64 v[28:29], v[4:5], v[28:29]
	s_waitcnt vmcnt(5) lgkmcnt(0)
	v_mul_f64 v[24:25], v[14:15], v[32:33]
	v_mul_f64 v[32:33], v[16:17], v[32:33]
	v_add_f64 v[18:19], v[20:21], v[18:19]
	v_add_f64 v[20:21], v[169:170], v[182:183]
	v_fma_f64 v[169:170], v[4:5], v[26:27], v[229:230]
	v_fma_f64 v[26:27], v[2:3], v[26:27], -v[28:29]
	v_fma_f64 v[16:17], v[16:17], v[30:31], v[24:25]
	v_fma_f64 v[14:15], v[14:15], v[30:31], -v[32:33]
	v_add_f64 v[22:23], v[18:19], v[22:23]
	v_add_f64 v[28:29], v[20:21], v[178:179]
	ds_load_b128 v[2:5], v1 offset:1680
	ds_load_b128 v[18:21], v1 offset:1696
	s_waitcnt vmcnt(4) lgkmcnt(1)
	v_mul_f64 v[176:177], v[2:3], v[40:41]
	v_mul_f64 v[40:41], v[4:5], v[40:41]
	v_add_f64 v[22:23], v[22:23], v[26:27]
	v_add_f64 v[24:25], v[28:29], v[169:170]
	s_waitcnt vmcnt(3) lgkmcnt(0)
	v_mul_f64 v[26:27], v[18:19], v[174:175]
	v_mul_f64 v[28:29], v[20:21], v[174:175]
	v_fma_f64 v[30:31], v[4:5], v[38:39], v[176:177]
	v_fma_f64 v[32:33], v[2:3], v[38:39], -v[40:41]
	v_add_f64 v[22:23], v[22:23], v[14:15]
	v_add_f64 v[24:25], v[24:25], v[16:17]
	ds_load_b128 v[2:5], v1 offset:1712
	ds_load_b128 v[14:17], v1 offset:1728
	v_fma_f64 v[20:21], v[20:21], v[172:173], v[26:27]
	v_fma_f64 v[18:19], v[18:19], v[172:173], -v[28:29]
	s_waitcnt vmcnt(2) lgkmcnt(1)
	v_mul_f64 v[38:39], v[2:3], v[36:37]
	v_mul_f64 v[36:37], v[4:5], v[36:37]
	v_add_f64 v[22:23], v[22:23], v[32:33]
	v_add_f64 v[24:25], v[24:25], v[30:31]
	s_waitcnt vmcnt(1) lgkmcnt(0)
	v_mul_f64 v[26:27], v[14:15], v[8:9]
	v_mul_f64 v[8:9], v[16:17], v[8:9]
	v_fma_f64 v[28:29], v[4:5], v[34:35], v[38:39]
	v_fma_f64 v[30:31], v[2:3], v[34:35], -v[36:37]
	ds_load_b128 v[2:5], v1 offset:1744
	v_add_f64 v[18:19], v[22:23], v[18:19]
	v_add_f64 v[20:21], v[24:25], v[20:21]
	v_fma_f64 v[16:17], v[16:17], v[6:7], v[26:27]
	v_fma_f64 v[6:7], v[14:15], v[6:7], -v[8:9]
	s_waitcnt vmcnt(0) lgkmcnt(0)
	v_mul_f64 v[22:23], v[2:3], v[12:13]
	v_mul_f64 v[12:13], v[4:5], v[12:13]
	v_add_f64 v[8:9], v[18:19], v[30:31]
	v_add_f64 v[14:15], v[20:21], v[28:29]
	s_delay_alu instid0(VALU_DEP_4) | instskip(NEXT) | instid1(VALU_DEP_4)
	v_fma_f64 v[4:5], v[4:5], v[10:11], v[22:23]
	v_fma_f64 v[2:3], v[2:3], v[10:11], -v[12:13]
	s_delay_alu instid0(VALU_DEP_4) | instskip(NEXT) | instid1(VALU_DEP_4)
	v_add_f64 v[6:7], v[8:9], v[6:7]
	v_add_f64 v[8:9], v[14:15], v[16:17]
	s_delay_alu instid0(VALU_DEP_2) | instskip(NEXT) | instid1(VALU_DEP_2)
	v_add_f64 v[2:3], v[6:7], v[2:3]
	v_add_f64 v[4:5], v[8:9], v[4:5]
	s_delay_alu instid0(VALU_DEP_2) | instskip(NEXT) | instid1(VALU_DEP_2)
	v_add_f64 v[2:3], v[42:43], -v[2:3]
	v_add_f64 v[4:5], v[44:45], -v[4:5]
	scratch_store_b128 off, v[2:5], off offset:496
	v_cmpx_lt_u32_e32 30, v156
	s_cbranch_execz .LBB54_283
; %bb.282:
	scratch_load_b128 v[5:8], v225, off
	v_mov_b32_e32 v2, v1
	v_mov_b32_e32 v3, v1
	;; [unrolled: 1-line block ×3, first 2 shown]
	scratch_store_b128 off, v[1:4], off offset:480
	s_waitcnt vmcnt(0)
	ds_store_b128 v211, v[5:8]
.LBB54_283:
	s_or_b32 exec_lo, exec_lo, s2
	s_waitcnt lgkmcnt(0)
	s_waitcnt_vscnt null, 0x0
	s_barrier
	buffer_gl0_inv
	s_clause 0x8
	scratch_load_b128 v[2:5], off, off offset:496
	scratch_load_b128 v[6:9], off, off offset:512
	;; [unrolled: 1-line block ×9, first 2 shown]
	ds_load_b128 v[38:41], v1 offset:1376
	ds_load_b128 v[42:45], v1 offset:1392
	s_clause 0x1
	scratch_load_b128 v[172:175], off, off offset:480
	scratch_load_b128 v[176:179], off, off offset:640
	s_mov_b32 s2, exec_lo
	ds_load_b128 v[180:183], v1 offset:1424
	s_waitcnt vmcnt(10) lgkmcnt(2)
	v_mul_f64 v[169:170], v[40:41], v[4:5]
	v_mul_f64 v[4:5], v[38:39], v[4:5]
	s_waitcnt vmcnt(9) lgkmcnt(1)
	v_mul_f64 v[229:230], v[42:43], v[8:9]
	v_mul_f64 v[8:9], v[44:45], v[8:9]
	s_delay_alu instid0(VALU_DEP_4) | instskip(NEXT) | instid1(VALU_DEP_4)
	v_fma_f64 v[169:170], v[38:39], v[2:3], -v[169:170]
	v_fma_f64 v[231:232], v[40:41], v[2:3], v[4:5]
	ds_load_b128 v[2:5], v1 offset:1408
	scratch_load_b128 v[38:41], off, off offset:656
	v_fma_f64 v[44:45], v[44:45], v[6:7], v[229:230]
	v_fma_f64 v[42:43], v[42:43], v[6:7], -v[8:9]
	scratch_load_b128 v[6:9], off, off offset:672
	s_waitcnt vmcnt(10) lgkmcnt(0)
	v_mul_f64 v[233:234], v[2:3], v[12:13]
	v_mul_f64 v[12:13], v[4:5], v[12:13]
	v_add_f64 v[169:170], v[169:170], 0
	v_add_f64 v[229:230], v[231:232], 0
	s_waitcnt vmcnt(9)
	v_mul_f64 v[231:232], v[180:181], v[16:17]
	v_mul_f64 v[16:17], v[182:183], v[16:17]
	v_fma_f64 v[233:234], v[4:5], v[10:11], v[233:234]
	v_fma_f64 v[235:236], v[2:3], v[10:11], -v[12:13]
	ds_load_b128 v[2:5], v1 offset:1440
	scratch_load_b128 v[10:13], off, off offset:688
	v_add_f64 v[169:170], v[169:170], v[42:43]
	v_add_f64 v[229:230], v[229:230], v[44:45]
	ds_load_b128 v[42:45], v1 offset:1456
	v_fma_f64 v[182:183], v[182:183], v[14:15], v[231:232]
	v_fma_f64 v[180:181], v[180:181], v[14:15], -v[16:17]
	scratch_load_b128 v[14:17], off, off offset:704
	s_waitcnt vmcnt(10) lgkmcnt(1)
	v_mul_f64 v[237:238], v[2:3], v[20:21]
	v_mul_f64 v[20:21], v[4:5], v[20:21]
	s_waitcnt vmcnt(9) lgkmcnt(0)
	v_mul_f64 v[231:232], v[42:43], v[24:25]
	v_mul_f64 v[24:25], v[44:45], v[24:25]
	v_add_f64 v[169:170], v[169:170], v[235:236]
	v_add_f64 v[229:230], v[229:230], v[233:234]
	v_fma_f64 v[233:234], v[4:5], v[18:19], v[237:238]
	v_fma_f64 v[235:236], v[2:3], v[18:19], -v[20:21]
	ds_load_b128 v[2:5], v1 offset:1472
	scratch_load_b128 v[18:21], off, off offset:720
	v_fma_f64 v[44:45], v[44:45], v[22:23], v[231:232]
	v_fma_f64 v[42:43], v[42:43], v[22:23], -v[24:25]
	scratch_load_b128 v[22:25], off, off offset:736
	v_add_f64 v[169:170], v[169:170], v[180:181]
	v_add_f64 v[229:230], v[229:230], v[182:183]
	ds_load_b128 v[180:183], v1 offset:1488
	s_waitcnt vmcnt(10) lgkmcnt(1)
	v_mul_f64 v[237:238], v[2:3], v[28:29]
	v_mul_f64 v[28:29], v[4:5], v[28:29]
	s_waitcnt vmcnt(9) lgkmcnt(0)
	v_mul_f64 v[231:232], v[180:181], v[32:33]
	v_mul_f64 v[32:33], v[182:183], v[32:33]
	v_add_f64 v[169:170], v[169:170], v[235:236]
	v_add_f64 v[229:230], v[229:230], v[233:234]
	v_fma_f64 v[233:234], v[4:5], v[26:27], v[237:238]
	v_fma_f64 v[235:236], v[2:3], v[26:27], -v[28:29]
	ds_load_b128 v[2:5], v1 offset:1504
	scratch_load_b128 v[26:29], off, off offset:752
	v_fma_f64 v[182:183], v[182:183], v[30:31], v[231:232]
	v_fma_f64 v[180:181], v[180:181], v[30:31], -v[32:33]
	scratch_load_b128 v[30:33], off, off offset:768
	v_add_f64 v[169:170], v[169:170], v[42:43]
	v_add_f64 v[229:230], v[229:230], v[44:45]
	ds_load_b128 v[42:45], v1 offset:1520
	s_waitcnt vmcnt(10) lgkmcnt(1)
	v_mul_f64 v[237:238], v[2:3], v[36:37]
	v_mul_f64 v[36:37], v[4:5], v[36:37]
	s_waitcnt vmcnt(8) lgkmcnt(0)
	v_mul_f64 v[231:232], v[42:43], v[178:179]
	v_add_f64 v[169:170], v[169:170], v[235:236]
	v_add_f64 v[229:230], v[229:230], v[233:234]
	v_mul_f64 v[233:234], v[44:45], v[178:179]
	v_fma_f64 v[235:236], v[4:5], v[34:35], v[237:238]
	v_fma_f64 v[237:238], v[2:3], v[34:35], -v[36:37]
	ds_load_b128 v[2:5], v1 offset:1536
	scratch_load_b128 v[34:37], off, off offset:784
	v_fma_f64 v[44:45], v[44:45], v[176:177], v[231:232]
	v_add_f64 v[169:170], v[169:170], v[180:181]
	v_add_f64 v[182:183], v[229:230], v[182:183]
	ds_load_b128 v[178:181], v1 offset:1552
	v_fma_f64 v[176:177], v[42:43], v[176:177], -v[233:234]
	s_waitcnt vmcnt(8) lgkmcnt(1)
	v_mul_f64 v[229:230], v[2:3], v[40:41]
	v_mul_f64 v[239:240], v[4:5], v[40:41]
	scratch_load_b128 v[40:43], off, off offset:800
	v_add_f64 v[169:170], v[169:170], v[237:238]
	v_add_f64 v[182:183], v[182:183], v[235:236]
	s_waitcnt vmcnt(8) lgkmcnt(0)
	v_mul_f64 v[237:238], v[178:179], v[8:9]
	v_mul_f64 v[8:9], v[180:181], v[8:9]
	ds_load_b128 v[233:236], v1 offset:1584
	v_fma_f64 v[241:242], v[4:5], v[38:39], v[229:230]
	v_fma_f64 v[38:39], v[2:3], v[38:39], -v[239:240]
	ds_load_b128 v[2:5], v1 offset:1568
	scratch_load_b128 v[229:232], off, off offset:816
	v_add_f64 v[169:170], v[169:170], v[176:177]
	v_add_f64 v[44:45], v[182:183], v[44:45]
	v_fma_f64 v[180:181], v[180:181], v[6:7], v[237:238]
	s_waitcnt vmcnt(8) lgkmcnt(0)
	v_mul_f64 v[176:177], v[2:3], v[12:13]
	v_mul_f64 v[12:13], v[4:5], v[12:13]
	v_fma_f64 v[178:179], v[178:179], v[6:7], -v[8:9]
	scratch_load_b128 v[6:9], off, off offset:832
	v_add_f64 v[38:39], v[169:170], v[38:39]
	v_add_f64 v[44:45], v[44:45], v[241:242]
	s_waitcnt vmcnt(8)
	v_mul_f64 v[169:170], v[233:234], v[16:17]
	v_mul_f64 v[16:17], v[235:236], v[16:17]
	v_fma_f64 v[182:183], v[4:5], v[10:11], v[176:177]
	v_fma_f64 v[237:238], v[2:3], v[10:11], -v[12:13]
	ds_load_b128 v[2:5], v1 offset:1600
	scratch_load_b128 v[10:13], off, off offset:848
	v_add_f64 v[38:39], v[38:39], v[178:179]
	v_add_f64 v[44:45], v[44:45], v[180:181]
	ds_load_b128 v[176:179], v1 offset:1616
	s_waitcnt vmcnt(8) lgkmcnt(1)
	v_mul_f64 v[180:181], v[2:3], v[20:21]
	v_mul_f64 v[20:21], v[4:5], v[20:21]
	v_fma_f64 v[169:170], v[235:236], v[14:15], v[169:170]
	v_fma_f64 v[233:234], v[233:234], v[14:15], -v[16:17]
	scratch_load_b128 v[14:17], off, off offset:864
	v_add_f64 v[38:39], v[38:39], v[237:238]
	v_add_f64 v[44:45], v[44:45], v[182:183]
	s_waitcnt vmcnt(8) lgkmcnt(0)
	v_mul_f64 v[182:183], v[176:177], v[24:25]
	v_mul_f64 v[24:25], v[178:179], v[24:25]
	v_fma_f64 v[180:181], v[4:5], v[18:19], v[180:181]
	v_fma_f64 v[235:236], v[2:3], v[18:19], -v[20:21]
	ds_load_b128 v[2:5], v1 offset:1632
	ds_load_b128 v[18:21], v1 offset:1648
	v_add_f64 v[38:39], v[38:39], v[233:234]
	v_add_f64 v[44:45], v[44:45], v[169:170]
	s_waitcnt vmcnt(7) lgkmcnt(1)
	v_mul_f64 v[169:170], v[2:3], v[28:29]
	v_mul_f64 v[28:29], v[4:5], v[28:29]
	v_fma_f64 v[178:179], v[178:179], v[22:23], v[182:183]
	v_fma_f64 v[22:23], v[176:177], v[22:23], -v[24:25]
	v_add_f64 v[24:25], v[38:39], v[235:236]
	v_add_f64 v[38:39], v[44:45], v[180:181]
	s_waitcnt vmcnt(6) lgkmcnt(0)
	v_mul_f64 v[44:45], v[18:19], v[32:33]
	v_mul_f64 v[32:33], v[20:21], v[32:33]
	v_fma_f64 v[169:170], v[4:5], v[26:27], v[169:170]
	v_fma_f64 v[26:27], v[2:3], v[26:27], -v[28:29]
	v_add_f64 v[28:29], v[24:25], v[22:23]
	v_add_f64 v[38:39], v[38:39], v[178:179]
	ds_load_b128 v[2:5], v1 offset:1664
	ds_load_b128 v[22:25], v1 offset:1680
	v_fma_f64 v[20:21], v[20:21], v[30:31], v[44:45]
	v_fma_f64 v[18:19], v[18:19], v[30:31], -v[32:33]
	s_waitcnt vmcnt(5) lgkmcnt(1)
	v_mul_f64 v[176:177], v[2:3], v[36:37]
	v_mul_f64 v[36:37], v[4:5], v[36:37]
	s_waitcnt vmcnt(4) lgkmcnt(0)
	v_mul_f64 v[30:31], v[22:23], v[42:43]
	v_add_f64 v[26:27], v[28:29], v[26:27]
	v_add_f64 v[28:29], v[38:39], v[169:170]
	v_mul_f64 v[32:33], v[24:25], v[42:43]
	v_fma_f64 v[38:39], v[4:5], v[34:35], v[176:177]
	v_fma_f64 v[34:35], v[2:3], v[34:35], -v[36:37]
	v_fma_f64 v[24:25], v[24:25], v[40:41], v[30:31]
	v_add_f64 v[26:27], v[26:27], v[18:19]
	v_add_f64 v[28:29], v[28:29], v[20:21]
	ds_load_b128 v[2:5], v1 offset:1696
	ds_load_b128 v[18:21], v1 offset:1712
	v_fma_f64 v[22:23], v[22:23], v[40:41], -v[32:33]
	s_waitcnt vmcnt(3) lgkmcnt(1)
	v_mul_f64 v[36:37], v[2:3], v[231:232]
	v_mul_f64 v[42:43], v[4:5], v[231:232]
	s_waitcnt vmcnt(2) lgkmcnt(0)
	v_mul_f64 v[30:31], v[18:19], v[8:9]
	v_mul_f64 v[8:9], v[20:21], v[8:9]
	v_add_f64 v[26:27], v[26:27], v[34:35]
	v_add_f64 v[28:29], v[28:29], v[38:39]
	v_fma_f64 v[32:33], v[4:5], v[229:230], v[36:37]
	v_fma_f64 v[34:35], v[2:3], v[229:230], -v[42:43]
	v_fma_f64 v[20:21], v[20:21], v[6:7], v[30:31]
	v_fma_f64 v[6:7], v[18:19], v[6:7], -v[8:9]
	v_add_f64 v[26:27], v[26:27], v[22:23]
	v_add_f64 v[28:29], v[28:29], v[24:25]
	ds_load_b128 v[2:5], v1 offset:1728
	ds_load_b128 v[22:25], v1 offset:1744
	s_waitcnt vmcnt(1) lgkmcnt(1)
	v_mul_f64 v[36:37], v[2:3], v[12:13]
	v_mul_f64 v[12:13], v[4:5], v[12:13]
	v_add_f64 v[8:9], v[26:27], v[34:35]
	v_add_f64 v[18:19], v[28:29], v[32:33]
	s_waitcnt vmcnt(0) lgkmcnt(0)
	v_mul_f64 v[26:27], v[22:23], v[16:17]
	v_mul_f64 v[16:17], v[24:25], v[16:17]
	v_fma_f64 v[4:5], v[4:5], v[10:11], v[36:37]
	v_fma_f64 v[1:2], v[2:3], v[10:11], -v[12:13]
	v_add_f64 v[6:7], v[8:9], v[6:7]
	v_add_f64 v[8:9], v[18:19], v[20:21]
	v_fma_f64 v[10:11], v[24:25], v[14:15], v[26:27]
	v_fma_f64 v[12:13], v[22:23], v[14:15], -v[16:17]
	s_delay_alu instid0(VALU_DEP_4) | instskip(NEXT) | instid1(VALU_DEP_4)
	v_add_f64 v[1:2], v[6:7], v[1:2]
	v_add_f64 v[3:4], v[8:9], v[4:5]
	s_delay_alu instid0(VALU_DEP_2) | instskip(NEXT) | instid1(VALU_DEP_2)
	v_add_f64 v[1:2], v[1:2], v[12:13]
	v_add_f64 v[3:4], v[3:4], v[10:11]
	s_delay_alu instid0(VALU_DEP_2) | instskip(NEXT) | instid1(VALU_DEP_2)
	v_add_f64 v[1:2], v[172:173], -v[1:2]
	v_add_f64 v[3:4], v[174:175], -v[3:4]
	scratch_store_b128 off, v[1:4], off offset:480
	v_cmpx_lt_u32_e32 29, v156
	s_cbranch_execz .LBB54_285
; %bb.284:
	scratch_load_b128 v[1:4], v226, off
	v_mov_b32_e32 v5, 0
	s_delay_alu instid0(VALU_DEP_1)
	v_mov_b32_e32 v6, v5
	v_mov_b32_e32 v7, v5
	;; [unrolled: 1-line block ×3, first 2 shown]
	scratch_store_b128 off, v[5:8], off offset:464
	s_waitcnt vmcnt(0)
	ds_store_b128 v211, v[1:4]
.LBB54_285:
	s_or_b32 exec_lo, exec_lo, s2
	s_waitcnt lgkmcnt(0)
	s_waitcnt_vscnt null, 0x0
	s_barrier
	buffer_gl0_inv
	s_clause 0x7
	scratch_load_b128 v[2:5], off, off offset:480
	scratch_load_b128 v[6:9], off, off offset:496
	;; [unrolled: 1-line block ×8, first 2 shown]
	v_mov_b32_e32 v1, 0
	s_mov_b32 s2, exec_lo
	ds_load_b128 v[34:37], v1 offset:1360
	s_clause 0x1
	scratch_load_b128 v[38:41], off, off offset:608
	scratch_load_b128 v[42:45], off, off offset:464
	ds_load_b128 v[172:175], v1 offset:1376
	scratch_load_b128 v[176:179], off, off offset:624
	ds_load_b128 v[180:183], v1 offset:1408
	s_waitcnt vmcnt(10) lgkmcnt(2)
	v_mul_f64 v[169:170], v[36:37], v[4:5]
	v_mul_f64 v[4:5], v[34:35], v[4:5]
	s_delay_alu instid0(VALU_DEP_2) | instskip(NEXT) | instid1(VALU_DEP_2)
	v_fma_f64 v[169:170], v[34:35], v[2:3], -v[169:170]
	v_fma_f64 v[231:232], v[36:37], v[2:3], v[4:5]
	ds_load_b128 v[2:5], v1 offset:1392
	s_waitcnt vmcnt(9) lgkmcnt(2)
	v_mul_f64 v[229:230], v[172:173], v[8:9]
	v_mul_f64 v[8:9], v[174:175], v[8:9]
	scratch_load_b128 v[34:37], off, off offset:640
	s_waitcnt vmcnt(9) lgkmcnt(0)
	v_mul_f64 v[233:234], v[2:3], v[12:13]
	v_mul_f64 v[12:13], v[4:5], v[12:13]
	v_add_f64 v[169:170], v[169:170], 0
	v_fma_f64 v[174:175], v[174:175], v[6:7], v[229:230]
	v_fma_f64 v[172:173], v[172:173], v[6:7], -v[8:9]
	v_add_f64 v[229:230], v[231:232], 0
	scratch_load_b128 v[6:9], off, off offset:656
	v_fma_f64 v[233:234], v[4:5], v[10:11], v[233:234]
	v_fma_f64 v[235:236], v[2:3], v[10:11], -v[12:13]
	scratch_load_b128 v[10:13], off, off offset:672
	ds_load_b128 v[2:5], v1 offset:1424
	s_waitcnt vmcnt(10)
	v_mul_f64 v[231:232], v[180:181], v[16:17]
	v_mul_f64 v[16:17], v[182:183], v[16:17]
	v_add_f64 v[169:170], v[169:170], v[172:173]
	v_add_f64 v[229:230], v[229:230], v[174:175]
	ds_load_b128 v[172:175], v1 offset:1440
	s_waitcnt vmcnt(9) lgkmcnt(1)
	v_mul_f64 v[237:238], v[2:3], v[20:21]
	v_mul_f64 v[20:21], v[4:5], v[20:21]
	v_fma_f64 v[182:183], v[182:183], v[14:15], v[231:232]
	v_fma_f64 v[180:181], v[180:181], v[14:15], -v[16:17]
	scratch_load_b128 v[14:17], off, off offset:688
	v_add_f64 v[169:170], v[169:170], v[235:236]
	v_add_f64 v[229:230], v[229:230], v[233:234]
	v_fma_f64 v[233:234], v[4:5], v[18:19], v[237:238]
	v_fma_f64 v[235:236], v[2:3], v[18:19], -v[20:21]
	scratch_load_b128 v[18:21], off, off offset:704
	ds_load_b128 v[2:5], v1 offset:1456
	s_waitcnt vmcnt(10) lgkmcnt(1)
	v_mul_f64 v[231:232], v[172:173], v[24:25]
	v_mul_f64 v[24:25], v[174:175], v[24:25]
	s_waitcnt vmcnt(9) lgkmcnt(0)
	v_mul_f64 v[237:238], v[2:3], v[28:29]
	v_mul_f64 v[28:29], v[4:5], v[28:29]
	v_add_f64 v[169:170], v[169:170], v[180:181]
	v_add_f64 v[229:230], v[229:230], v[182:183]
	ds_load_b128 v[180:183], v1 offset:1472
	v_fma_f64 v[174:175], v[174:175], v[22:23], v[231:232]
	v_fma_f64 v[172:173], v[172:173], v[22:23], -v[24:25]
	scratch_load_b128 v[22:25], off, off offset:720
	v_add_f64 v[169:170], v[169:170], v[235:236]
	v_add_f64 v[229:230], v[229:230], v[233:234]
	v_fma_f64 v[233:234], v[4:5], v[26:27], v[237:238]
	v_fma_f64 v[235:236], v[2:3], v[26:27], -v[28:29]
	scratch_load_b128 v[26:29], off, off offset:736
	ds_load_b128 v[2:5], v1 offset:1488
	s_waitcnt vmcnt(10) lgkmcnt(1)
	v_mul_f64 v[231:232], v[180:181], v[32:33]
	v_mul_f64 v[32:33], v[182:183], v[32:33]
	s_waitcnt vmcnt(9) lgkmcnt(0)
	v_mul_f64 v[237:238], v[2:3], v[40:41]
	v_mul_f64 v[40:41], v[4:5], v[40:41]
	v_add_f64 v[169:170], v[169:170], v[172:173]
	v_add_f64 v[229:230], v[229:230], v[174:175]
	ds_load_b128 v[172:175], v1 offset:1504
	v_fma_f64 v[182:183], v[182:183], v[30:31], v[231:232]
	v_fma_f64 v[180:181], v[180:181], v[30:31], -v[32:33]
	scratch_load_b128 v[30:33], off, off offset:752
	v_add_f64 v[169:170], v[169:170], v[235:236]
	v_add_f64 v[229:230], v[229:230], v[233:234]
	v_fma_f64 v[235:236], v[4:5], v[38:39], v[237:238]
	v_fma_f64 v[237:238], v[2:3], v[38:39], -v[40:41]
	scratch_load_b128 v[38:41], off, off offset:768
	ds_load_b128 v[2:5], v1 offset:1520
	s_waitcnt vmcnt(9) lgkmcnt(1)
	v_mul_f64 v[231:232], v[172:173], v[178:179]
	v_mul_f64 v[233:234], v[174:175], v[178:179]
	v_add_f64 v[169:170], v[169:170], v[180:181]
	v_add_f64 v[182:183], v[229:230], v[182:183]
	ds_load_b128 v[178:181], v1 offset:1536
	v_fma_f64 v[231:232], v[174:175], v[176:177], v[231:232]
	v_fma_f64 v[176:177], v[172:173], v[176:177], -v[233:234]
	scratch_load_b128 v[172:175], off, off offset:784
	s_waitcnt vmcnt(9) lgkmcnt(1)
	v_mul_f64 v[229:230], v[2:3], v[36:37]
	v_mul_f64 v[36:37], v[4:5], v[36:37]
	v_add_f64 v[169:170], v[169:170], v[237:238]
	v_add_f64 v[182:183], v[182:183], v[235:236]
	s_delay_alu instid0(VALU_DEP_4) | instskip(NEXT) | instid1(VALU_DEP_4)
	v_fma_f64 v[235:236], v[4:5], v[34:35], v[229:230]
	v_fma_f64 v[237:238], v[2:3], v[34:35], -v[36:37]
	scratch_load_b128 v[34:37], off, off offset:800
	ds_load_b128 v[2:5], v1 offset:1552
	s_waitcnt vmcnt(9) lgkmcnt(1)
	v_mul_f64 v[233:234], v[178:179], v[8:9]
	v_mul_f64 v[8:9], v[180:181], v[8:9]
	v_add_f64 v[169:170], v[169:170], v[176:177]
	v_add_f64 v[176:177], v[182:183], v[231:232]
	s_waitcnt vmcnt(8) lgkmcnt(0)
	v_mul_f64 v[182:183], v[2:3], v[12:13]
	v_mul_f64 v[12:13], v[4:5], v[12:13]
	ds_load_b128 v[229:232], v1 offset:1568
	v_fma_f64 v[180:181], v[180:181], v[6:7], v[233:234]
	v_fma_f64 v[178:179], v[178:179], v[6:7], -v[8:9]
	scratch_load_b128 v[6:9], off, off offset:816
	v_add_f64 v[169:170], v[169:170], v[237:238]
	v_add_f64 v[176:177], v[176:177], v[235:236]
	v_fma_f64 v[182:183], v[4:5], v[10:11], v[182:183]
	v_fma_f64 v[235:236], v[2:3], v[10:11], -v[12:13]
	scratch_load_b128 v[10:13], off, off offset:832
	ds_load_b128 v[2:5], v1 offset:1584
	s_waitcnt vmcnt(9) lgkmcnt(1)
	v_mul_f64 v[233:234], v[229:230], v[16:17]
	v_mul_f64 v[16:17], v[231:232], v[16:17]
	s_waitcnt vmcnt(8) lgkmcnt(0)
	v_mul_f64 v[237:238], v[2:3], v[20:21]
	v_mul_f64 v[20:21], v[4:5], v[20:21]
	v_add_f64 v[169:170], v[169:170], v[178:179]
	v_add_f64 v[180:181], v[176:177], v[180:181]
	ds_load_b128 v[176:179], v1 offset:1600
	v_fma_f64 v[231:232], v[231:232], v[14:15], v[233:234]
	v_fma_f64 v[229:230], v[229:230], v[14:15], -v[16:17]
	scratch_load_b128 v[14:17], off, off offset:848
	v_add_f64 v[169:170], v[169:170], v[235:236]
	v_add_f64 v[180:181], v[180:181], v[182:183]
	v_fma_f64 v[235:236], v[4:5], v[18:19], v[237:238]
	v_fma_f64 v[237:238], v[2:3], v[18:19], -v[20:21]
	scratch_load_b128 v[18:21], off, off offset:864
	ds_load_b128 v[2:5], v1 offset:1616
	s_waitcnt vmcnt(9) lgkmcnt(1)
	v_mul_f64 v[233:234], v[176:177], v[24:25]
	v_mul_f64 v[24:25], v[178:179], v[24:25]
	v_add_f64 v[169:170], v[169:170], v[229:230]
	v_add_f64 v[229:230], v[180:181], v[231:232]
	s_waitcnt vmcnt(8) lgkmcnt(0)
	v_mul_f64 v[231:232], v[2:3], v[28:29]
	v_mul_f64 v[28:29], v[4:5], v[28:29]
	ds_load_b128 v[180:183], v1 offset:1632
	v_fma_f64 v[178:179], v[178:179], v[22:23], v[233:234]
	v_fma_f64 v[22:23], v[176:177], v[22:23], -v[24:25]
	s_waitcnt vmcnt(7) lgkmcnt(0)
	v_mul_f64 v[176:177], v[180:181], v[32:33]
	v_mul_f64 v[32:33], v[182:183], v[32:33]
	v_add_f64 v[24:25], v[169:170], v[237:238]
	v_add_f64 v[169:170], v[229:230], v[235:236]
	v_fma_f64 v[229:230], v[4:5], v[26:27], v[231:232]
	v_fma_f64 v[26:27], v[2:3], v[26:27], -v[28:29]
	v_fma_f64 v[176:177], v[182:183], v[30:31], v[176:177]
	v_fma_f64 v[30:31], v[180:181], v[30:31], -v[32:33]
	v_add_f64 v[28:29], v[24:25], v[22:23]
	v_add_f64 v[169:170], v[169:170], v[178:179]
	ds_load_b128 v[2:5], v1 offset:1648
	ds_load_b128 v[22:25], v1 offset:1664
	s_waitcnt vmcnt(6) lgkmcnt(1)
	v_mul_f64 v[178:179], v[2:3], v[40:41]
	v_mul_f64 v[40:41], v[4:5], v[40:41]
	s_waitcnt vmcnt(5) lgkmcnt(0)
	v_mul_f64 v[32:33], v[22:23], v[174:175]
	v_add_f64 v[26:27], v[28:29], v[26:27]
	v_add_f64 v[28:29], v[169:170], v[229:230]
	v_mul_f64 v[169:170], v[24:25], v[174:175]
	v_fma_f64 v[174:175], v[4:5], v[38:39], v[178:179]
	v_fma_f64 v[38:39], v[2:3], v[38:39], -v[40:41]
	v_fma_f64 v[24:25], v[24:25], v[172:173], v[32:33]
	v_add_f64 v[30:31], v[26:27], v[30:31]
	v_add_f64 v[40:41], v[28:29], v[176:177]
	ds_load_b128 v[2:5], v1 offset:1680
	ds_load_b128 v[26:29], v1 offset:1696
	v_fma_f64 v[22:23], v[22:23], v[172:173], -v[169:170]
	s_waitcnt vmcnt(4) lgkmcnt(1)
	v_mul_f64 v[176:177], v[2:3], v[36:37]
	v_mul_f64 v[36:37], v[4:5], v[36:37]
	v_add_f64 v[30:31], v[30:31], v[38:39]
	v_add_f64 v[32:33], v[40:41], v[174:175]
	s_waitcnt vmcnt(3) lgkmcnt(0)
	v_mul_f64 v[38:39], v[26:27], v[8:9]
	v_mul_f64 v[8:9], v[28:29], v[8:9]
	v_fma_f64 v[40:41], v[4:5], v[34:35], v[176:177]
	v_fma_f64 v[34:35], v[2:3], v[34:35], -v[36:37]
	v_add_f64 v[30:31], v[30:31], v[22:23]
	v_add_f64 v[32:33], v[32:33], v[24:25]
	ds_load_b128 v[2:5], v1 offset:1712
	ds_load_b128 v[22:25], v1 offset:1728
	v_fma_f64 v[28:29], v[28:29], v[6:7], v[38:39]
	v_fma_f64 v[6:7], v[26:27], v[6:7], -v[8:9]
	s_waitcnt vmcnt(2) lgkmcnt(1)
	v_mul_f64 v[36:37], v[2:3], v[12:13]
	v_mul_f64 v[12:13], v[4:5], v[12:13]
	v_add_f64 v[8:9], v[30:31], v[34:35]
	v_add_f64 v[26:27], v[32:33], v[40:41]
	s_waitcnt vmcnt(1) lgkmcnt(0)
	v_mul_f64 v[30:31], v[22:23], v[16:17]
	v_mul_f64 v[16:17], v[24:25], v[16:17]
	v_fma_f64 v[32:33], v[4:5], v[10:11], v[36:37]
	v_fma_f64 v[10:11], v[2:3], v[10:11], -v[12:13]
	ds_load_b128 v[2:5], v1 offset:1744
	v_add_f64 v[6:7], v[8:9], v[6:7]
	v_add_f64 v[8:9], v[26:27], v[28:29]
	v_fma_f64 v[24:25], v[24:25], v[14:15], v[30:31]
	v_fma_f64 v[14:15], v[22:23], v[14:15], -v[16:17]
	s_waitcnt vmcnt(0) lgkmcnt(0)
	v_mul_f64 v[12:13], v[2:3], v[20:21]
	v_mul_f64 v[20:21], v[4:5], v[20:21]
	v_add_f64 v[6:7], v[6:7], v[10:11]
	v_add_f64 v[8:9], v[8:9], v[32:33]
	s_delay_alu instid0(VALU_DEP_4) | instskip(NEXT) | instid1(VALU_DEP_4)
	v_fma_f64 v[4:5], v[4:5], v[18:19], v[12:13]
	v_fma_f64 v[2:3], v[2:3], v[18:19], -v[20:21]
	s_delay_alu instid0(VALU_DEP_4) | instskip(NEXT) | instid1(VALU_DEP_4)
	v_add_f64 v[6:7], v[6:7], v[14:15]
	v_add_f64 v[8:9], v[8:9], v[24:25]
	s_delay_alu instid0(VALU_DEP_2) | instskip(NEXT) | instid1(VALU_DEP_2)
	v_add_f64 v[2:3], v[6:7], v[2:3]
	v_add_f64 v[4:5], v[8:9], v[4:5]
	s_delay_alu instid0(VALU_DEP_2) | instskip(NEXT) | instid1(VALU_DEP_2)
	v_add_f64 v[2:3], v[42:43], -v[2:3]
	v_add_f64 v[4:5], v[44:45], -v[4:5]
	scratch_store_b128 off, v[2:5], off offset:464
	v_cmpx_lt_u32_e32 28, v156
	s_cbranch_execz .LBB54_287
; %bb.286:
	scratch_load_b128 v[5:8], v227, off
	v_mov_b32_e32 v2, v1
	v_mov_b32_e32 v3, v1
	;; [unrolled: 1-line block ×3, first 2 shown]
	scratch_store_b128 off, v[1:4], off offset:448
	s_waitcnt vmcnt(0)
	ds_store_b128 v211, v[5:8]
.LBB54_287:
	s_or_b32 exec_lo, exec_lo, s2
	s_waitcnt lgkmcnt(0)
	s_waitcnt_vscnt null, 0x0
	s_barrier
	buffer_gl0_inv
	s_clause 0x8
	scratch_load_b128 v[2:5], off, off offset:464
	scratch_load_b128 v[6:9], off, off offset:480
	;; [unrolled: 1-line block ×9, first 2 shown]
	ds_load_b128 v[38:41], v1 offset:1344
	ds_load_b128 v[42:45], v1 offset:1360
	s_clause 0x1
	scratch_load_b128 v[172:175], off, off offset:448
	scratch_load_b128 v[176:179], off, off offset:608
	s_mov_b32 s2, exec_lo
	ds_load_b128 v[180:183], v1 offset:1392
	s_waitcnt vmcnt(10) lgkmcnt(2)
	v_mul_f64 v[169:170], v[40:41], v[4:5]
	v_mul_f64 v[4:5], v[38:39], v[4:5]
	s_waitcnt vmcnt(9) lgkmcnt(1)
	v_mul_f64 v[229:230], v[42:43], v[8:9]
	v_mul_f64 v[8:9], v[44:45], v[8:9]
	s_delay_alu instid0(VALU_DEP_4) | instskip(NEXT) | instid1(VALU_DEP_4)
	v_fma_f64 v[169:170], v[38:39], v[2:3], -v[169:170]
	v_fma_f64 v[231:232], v[40:41], v[2:3], v[4:5]
	ds_load_b128 v[2:5], v1 offset:1376
	scratch_load_b128 v[38:41], off, off offset:624
	v_fma_f64 v[44:45], v[44:45], v[6:7], v[229:230]
	v_fma_f64 v[42:43], v[42:43], v[6:7], -v[8:9]
	scratch_load_b128 v[6:9], off, off offset:640
	s_waitcnt vmcnt(10) lgkmcnt(0)
	v_mul_f64 v[233:234], v[2:3], v[12:13]
	v_mul_f64 v[12:13], v[4:5], v[12:13]
	v_add_f64 v[169:170], v[169:170], 0
	v_add_f64 v[229:230], v[231:232], 0
	s_waitcnt vmcnt(9)
	v_mul_f64 v[231:232], v[180:181], v[16:17]
	v_mul_f64 v[16:17], v[182:183], v[16:17]
	v_fma_f64 v[233:234], v[4:5], v[10:11], v[233:234]
	v_fma_f64 v[235:236], v[2:3], v[10:11], -v[12:13]
	ds_load_b128 v[2:5], v1 offset:1408
	scratch_load_b128 v[10:13], off, off offset:656
	v_add_f64 v[169:170], v[169:170], v[42:43]
	v_add_f64 v[229:230], v[229:230], v[44:45]
	ds_load_b128 v[42:45], v1 offset:1424
	v_fma_f64 v[182:183], v[182:183], v[14:15], v[231:232]
	v_fma_f64 v[180:181], v[180:181], v[14:15], -v[16:17]
	scratch_load_b128 v[14:17], off, off offset:672
	s_waitcnt vmcnt(10) lgkmcnt(1)
	v_mul_f64 v[237:238], v[2:3], v[20:21]
	v_mul_f64 v[20:21], v[4:5], v[20:21]
	s_waitcnt vmcnt(9) lgkmcnt(0)
	v_mul_f64 v[231:232], v[42:43], v[24:25]
	v_mul_f64 v[24:25], v[44:45], v[24:25]
	v_add_f64 v[169:170], v[169:170], v[235:236]
	v_add_f64 v[229:230], v[229:230], v[233:234]
	v_fma_f64 v[233:234], v[4:5], v[18:19], v[237:238]
	v_fma_f64 v[235:236], v[2:3], v[18:19], -v[20:21]
	ds_load_b128 v[2:5], v1 offset:1440
	scratch_load_b128 v[18:21], off, off offset:688
	v_fma_f64 v[44:45], v[44:45], v[22:23], v[231:232]
	v_fma_f64 v[42:43], v[42:43], v[22:23], -v[24:25]
	scratch_load_b128 v[22:25], off, off offset:704
	v_add_f64 v[169:170], v[169:170], v[180:181]
	v_add_f64 v[229:230], v[229:230], v[182:183]
	ds_load_b128 v[180:183], v1 offset:1456
	s_waitcnt vmcnt(10) lgkmcnt(1)
	v_mul_f64 v[237:238], v[2:3], v[28:29]
	v_mul_f64 v[28:29], v[4:5], v[28:29]
	s_waitcnt vmcnt(9) lgkmcnt(0)
	v_mul_f64 v[231:232], v[180:181], v[32:33]
	v_mul_f64 v[32:33], v[182:183], v[32:33]
	v_add_f64 v[169:170], v[169:170], v[235:236]
	v_add_f64 v[229:230], v[229:230], v[233:234]
	v_fma_f64 v[233:234], v[4:5], v[26:27], v[237:238]
	v_fma_f64 v[235:236], v[2:3], v[26:27], -v[28:29]
	ds_load_b128 v[2:5], v1 offset:1472
	scratch_load_b128 v[26:29], off, off offset:720
	v_fma_f64 v[182:183], v[182:183], v[30:31], v[231:232]
	v_fma_f64 v[180:181], v[180:181], v[30:31], -v[32:33]
	scratch_load_b128 v[30:33], off, off offset:736
	v_add_f64 v[169:170], v[169:170], v[42:43]
	v_add_f64 v[229:230], v[229:230], v[44:45]
	ds_load_b128 v[42:45], v1 offset:1488
	s_waitcnt vmcnt(10) lgkmcnt(1)
	v_mul_f64 v[237:238], v[2:3], v[36:37]
	v_mul_f64 v[36:37], v[4:5], v[36:37]
	s_waitcnt vmcnt(8) lgkmcnt(0)
	v_mul_f64 v[231:232], v[42:43], v[178:179]
	v_add_f64 v[169:170], v[169:170], v[235:236]
	v_add_f64 v[229:230], v[229:230], v[233:234]
	v_mul_f64 v[233:234], v[44:45], v[178:179]
	v_fma_f64 v[235:236], v[4:5], v[34:35], v[237:238]
	v_fma_f64 v[237:238], v[2:3], v[34:35], -v[36:37]
	ds_load_b128 v[2:5], v1 offset:1504
	scratch_load_b128 v[34:37], off, off offset:752
	v_fma_f64 v[44:45], v[44:45], v[176:177], v[231:232]
	v_add_f64 v[169:170], v[169:170], v[180:181]
	v_add_f64 v[182:183], v[229:230], v[182:183]
	ds_load_b128 v[178:181], v1 offset:1520
	v_fma_f64 v[176:177], v[42:43], v[176:177], -v[233:234]
	s_waitcnt vmcnt(8) lgkmcnt(1)
	v_mul_f64 v[229:230], v[2:3], v[40:41]
	v_mul_f64 v[239:240], v[4:5], v[40:41]
	scratch_load_b128 v[40:43], off, off offset:768
	v_add_f64 v[169:170], v[169:170], v[237:238]
	v_add_f64 v[182:183], v[182:183], v[235:236]
	s_waitcnt vmcnt(8) lgkmcnt(0)
	v_mul_f64 v[237:238], v[178:179], v[8:9]
	v_mul_f64 v[8:9], v[180:181], v[8:9]
	ds_load_b128 v[233:236], v1 offset:1552
	v_fma_f64 v[241:242], v[4:5], v[38:39], v[229:230]
	v_fma_f64 v[38:39], v[2:3], v[38:39], -v[239:240]
	ds_load_b128 v[2:5], v1 offset:1536
	scratch_load_b128 v[229:232], off, off offset:784
	v_add_f64 v[169:170], v[169:170], v[176:177]
	v_add_f64 v[44:45], v[182:183], v[44:45]
	v_fma_f64 v[180:181], v[180:181], v[6:7], v[237:238]
	s_waitcnt vmcnt(8) lgkmcnt(0)
	v_mul_f64 v[176:177], v[2:3], v[12:13]
	v_mul_f64 v[12:13], v[4:5], v[12:13]
	v_fma_f64 v[178:179], v[178:179], v[6:7], -v[8:9]
	scratch_load_b128 v[6:9], off, off offset:800
	v_add_f64 v[38:39], v[169:170], v[38:39]
	v_add_f64 v[44:45], v[44:45], v[241:242]
	s_waitcnt vmcnt(8)
	v_mul_f64 v[169:170], v[233:234], v[16:17]
	v_mul_f64 v[16:17], v[235:236], v[16:17]
	v_fma_f64 v[182:183], v[4:5], v[10:11], v[176:177]
	v_fma_f64 v[237:238], v[2:3], v[10:11], -v[12:13]
	ds_load_b128 v[2:5], v1 offset:1568
	scratch_load_b128 v[10:13], off, off offset:816
	v_add_f64 v[38:39], v[38:39], v[178:179]
	v_add_f64 v[44:45], v[44:45], v[180:181]
	ds_load_b128 v[176:179], v1 offset:1584
	s_waitcnt vmcnt(8) lgkmcnt(1)
	v_mul_f64 v[180:181], v[2:3], v[20:21]
	v_mul_f64 v[20:21], v[4:5], v[20:21]
	v_fma_f64 v[169:170], v[235:236], v[14:15], v[169:170]
	v_fma_f64 v[233:234], v[233:234], v[14:15], -v[16:17]
	scratch_load_b128 v[14:17], off, off offset:832
	s_waitcnt vmcnt(8) lgkmcnt(0)
	v_mul_f64 v[235:236], v[176:177], v[24:25]
	v_mul_f64 v[24:25], v[178:179], v[24:25]
	v_add_f64 v[38:39], v[38:39], v[237:238]
	v_add_f64 v[44:45], v[44:45], v[182:183]
	v_fma_f64 v[237:238], v[4:5], v[18:19], v[180:181]
	v_fma_f64 v[239:240], v[2:3], v[18:19], -v[20:21]
	ds_load_b128 v[2:5], v1 offset:1600
	ds_load_b128 v[180:183], v1 offset:1616
	scratch_load_b128 v[18:21], off, off offset:848
	v_fma_f64 v[178:179], v[178:179], v[22:23], v[235:236]
	v_fma_f64 v[176:177], v[176:177], v[22:23], -v[24:25]
	scratch_load_b128 v[22:25], off, off offset:864
	v_add_f64 v[38:39], v[38:39], v[233:234]
	v_add_f64 v[44:45], v[44:45], v[169:170]
	s_waitcnt vmcnt(9) lgkmcnt(1)
	v_mul_f64 v[169:170], v[2:3], v[28:29]
	v_mul_f64 v[28:29], v[4:5], v[28:29]
	s_waitcnt vmcnt(8) lgkmcnt(0)
	v_mul_f64 v[233:234], v[180:181], v[32:33]
	v_mul_f64 v[32:33], v[182:183], v[32:33]
	v_add_f64 v[38:39], v[38:39], v[239:240]
	v_add_f64 v[44:45], v[44:45], v[237:238]
	v_fma_f64 v[169:170], v[4:5], v[26:27], v[169:170]
	v_fma_f64 v[235:236], v[2:3], v[26:27], -v[28:29]
	ds_load_b128 v[2:5], v1 offset:1632
	ds_load_b128 v[26:29], v1 offset:1648
	v_add_f64 v[38:39], v[38:39], v[176:177]
	v_add_f64 v[44:45], v[44:45], v[178:179]
	s_waitcnt vmcnt(7) lgkmcnt(1)
	v_mul_f64 v[176:177], v[2:3], v[36:37]
	v_mul_f64 v[36:37], v[4:5], v[36:37]
	v_fma_f64 v[178:179], v[182:183], v[30:31], v[233:234]
	v_fma_f64 v[30:31], v[180:181], v[30:31], -v[32:33]
	v_add_f64 v[32:33], v[38:39], v[235:236]
	v_add_f64 v[38:39], v[44:45], v[169:170]
	s_waitcnt vmcnt(6) lgkmcnt(0)
	v_mul_f64 v[44:45], v[26:27], v[42:43]
	v_mul_f64 v[42:43], v[28:29], v[42:43]
	v_fma_f64 v[169:170], v[4:5], v[34:35], v[176:177]
	v_fma_f64 v[34:35], v[2:3], v[34:35], -v[36:37]
	v_add_f64 v[36:37], v[32:33], v[30:31]
	v_add_f64 v[38:39], v[38:39], v[178:179]
	ds_load_b128 v[2:5], v1 offset:1664
	ds_load_b128 v[30:33], v1 offset:1680
	v_fma_f64 v[28:29], v[28:29], v[40:41], v[44:45]
	v_fma_f64 v[26:27], v[26:27], v[40:41], -v[42:43]
	s_waitcnt vmcnt(5) lgkmcnt(1)
	v_mul_f64 v[176:177], v[2:3], v[231:232]
	v_mul_f64 v[178:179], v[4:5], v[231:232]
	v_add_f64 v[34:35], v[36:37], v[34:35]
	v_add_f64 v[36:37], v[38:39], v[169:170]
	s_waitcnt vmcnt(4) lgkmcnt(0)
	v_mul_f64 v[38:39], v[30:31], v[8:9]
	v_mul_f64 v[8:9], v[32:33], v[8:9]
	v_fma_f64 v[40:41], v[4:5], v[229:230], v[176:177]
	v_fma_f64 v[42:43], v[2:3], v[229:230], -v[178:179]
	v_add_f64 v[34:35], v[34:35], v[26:27]
	v_add_f64 v[36:37], v[36:37], v[28:29]
	ds_load_b128 v[2:5], v1 offset:1696
	ds_load_b128 v[26:29], v1 offset:1712
	v_fma_f64 v[32:33], v[32:33], v[6:7], v[38:39]
	v_fma_f64 v[6:7], v[30:31], v[6:7], -v[8:9]
	s_waitcnt vmcnt(3) lgkmcnt(1)
	v_mul_f64 v[44:45], v[2:3], v[12:13]
	v_mul_f64 v[12:13], v[4:5], v[12:13]
	;; [unrolled: 16-line block ×3, first 2 shown]
	s_waitcnt vmcnt(0) lgkmcnt(0)
	v_mul_f64 v[16:17], v[6:7], v[24:25]
	v_mul_f64 v[24:25], v[8:9], v[24:25]
	v_add_f64 v[10:11], v[12:13], v[10:11]
	v_add_f64 v[12:13], v[30:31], v[36:37]
	v_fma_f64 v[4:5], v[4:5], v[18:19], v[32:33]
	v_fma_f64 v[1:2], v[2:3], v[18:19], -v[20:21]
	v_fma_f64 v[8:9], v[8:9], v[22:23], v[16:17]
	v_fma_f64 v[6:7], v[6:7], v[22:23], -v[24:25]
	v_add_f64 v[10:11], v[10:11], v[14:15]
	v_add_f64 v[12:13], v[12:13], v[28:29]
	s_delay_alu instid0(VALU_DEP_2) | instskip(NEXT) | instid1(VALU_DEP_2)
	v_add_f64 v[1:2], v[10:11], v[1:2]
	v_add_f64 v[3:4], v[12:13], v[4:5]
	s_delay_alu instid0(VALU_DEP_2) | instskip(NEXT) | instid1(VALU_DEP_2)
	;; [unrolled: 3-line block ×3, first 2 shown]
	v_add_f64 v[1:2], v[172:173], -v[1:2]
	v_add_f64 v[3:4], v[174:175], -v[3:4]
	scratch_store_b128 off, v[1:4], off offset:448
	v_cmpx_lt_u32_e32 27, v156
	s_cbranch_execz .LBB54_289
; %bb.288:
	scratch_load_b128 v[1:4], v228, off
	v_mov_b32_e32 v5, 0
	s_delay_alu instid0(VALU_DEP_1)
	v_mov_b32_e32 v6, v5
	v_mov_b32_e32 v7, v5
	;; [unrolled: 1-line block ×3, first 2 shown]
	scratch_store_b128 off, v[5:8], off offset:432
	s_waitcnt vmcnt(0)
	ds_store_b128 v211, v[1:4]
.LBB54_289:
	s_or_b32 exec_lo, exec_lo, s2
	s_waitcnt lgkmcnt(0)
	s_waitcnt_vscnt null, 0x0
	s_barrier
	buffer_gl0_inv
	s_clause 0x7
	scratch_load_b128 v[2:5], off, off offset:448
	scratch_load_b128 v[6:9], off, off offset:464
	scratch_load_b128 v[10:13], off, off offset:480
	scratch_load_b128 v[14:17], off, off offset:496
	scratch_load_b128 v[18:21], off, off offset:512
	scratch_load_b128 v[22:25], off, off offset:528
	scratch_load_b128 v[26:29], off, off offset:544
	scratch_load_b128 v[30:33], off, off offset:560
	v_mov_b32_e32 v1, 0
	s_mov_b32 s2, exec_lo
	ds_load_b128 v[38:41], v1 offset:1328
	s_clause 0x1
	scratch_load_b128 v[34:37], off, off offset:576
	scratch_load_b128 v[42:45], off, off offset:432
	ds_load_b128 v[172:175], v1 offset:1344
	scratch_load_b128 v[176:179], off, off offset:592
	ds_load_b128 v[180:183], v1 offset:1376
	s_waitcnt vmcnt(10) lgkmcnt(2)
	v_mul_f64 v[169:170], v[40:41], v[4:5]
	v_mul_f64 v[4:5], v[38:39], v[4:5]
	s_delay_alu instid0(VALU_DEP_2) | instskip(NEXT) | instid1(VALU_DEP_2)
	v_fma_f64 v[169:170], v[38:39], v[2:3], -v[169:170]
	v_fma_f64 v[231:232], v[40:41], v[2:3], v[4:5]
	ds_load_b128 v[2:5], v1 offset:1360
	s_waitcnt vmcnt(9) lgkmcnt(2)
	v_mul_f64 v[229:230], v[172:173], v[8:9]
	v_mul_f64 v[8:9], v[174:175], v[8:9]
	scratch_load_b128 v[38:41], off, off offset:608
	s_waitcnt vmcnt(9) lgkmcnt(0)
	v_mul_f64 v[233:234], v[2:3], v[12:13]
	v_mul_f64 v[12:13], v[4:5], v[12:13]
	v_add_f64 v[169:170], v[169:170], 0
	v_fma_f64 v[174:175], v[174:175], v[6:7], v[229:230]
	v_fma_f64 v[172:173], v[172:173], v[6:7], -v[8:9]
	v_add_f64 v[229:230], v[231:232], 0
	scratch_load_b128 v[6:9], off, off offset:624
	v_fma_f64 v[233:234], v[4:5], v[10:11], v[233:234]
	v_fma_f64 v[235:236], v[2:3], v[10:11], -v[12:13]
	scratch_load_b128 v[10:13], off, off offset:640
	ds_load_b128 v[2:5], v1 offset:1392
	s_waitcnt vmcnt(10)
	v_mul_f64 v[231:232], v[180:181], v[16:17]
	v_mul_f64 v[16:17], v[182:183], v[16:17]
	v_add_f64 v[169:170], v[169:170], v[172:173]
	v_add_f64 v[229:230], v[229:230], v[174:175]
	ds_load_b128 v[172:175], v1 offset:1408
	s_waitcnt vmcnt(9) lgkmcnt(1)
	v_mul_f64 v[237:238], v[2:3], v[20:21]
	v_mul_f64 v[20:21], v[4:5], v[20:21]
	v_fma_f64 v[182:183], v[182:183], v[14:15], v[231:232]
	v_fma_f64 v[180:181], v[180:181], v[14:15], -v[16:17]
	scratch_load_b128 v[14:17], off, off offset:656
	v_add_f64 v[169:170], v[169:170], v[235:236]
	v_add_f64 v[229:230], v[229:230], v[233:234]
	v_fma_f64 v[233:234], v[4:5], v[18:19], v[237:238]
	v_fma_f64 v[235:236], v[2:3], v[18:19], -v[20:21]
	scratch_load_b128 v[18:21], off, off offset:672
	ds_load_b128 v[2:5], v1 offset:1424
	s_waitcnt vmcnt(10) lgkmcnt(1)
	v_mul_f64 v[231:232], v[172:173], v[24:25]
	v_mul_f64 v[24:25], v[174:175], v[24:25]
	s_waitcnt vmcnt(9) lgkmcnt(0)
	v_mul_f64 v[237:238], v[2:3], v[28:29]
	v_mul_f64 v[28:29], v[4:5], v[28:29]
	v_add_f64 v[169:170], v[169:170], v[180:181]
	v_add_f64 v[229:230], v[229:230], v[182:183]
	ds_load_b128 v[180:183], v1 offset:1440
	v_fma_f64 v[174:175], v[174:175], v[22:23], v[231:232]
	v_fma_f64 v[172:173], v[172:173], v[22:23], -v[24:25]
	scratch_load_b128 v[22:25], off, off offset:688
	v_add_f64 v[169:170], v[169:170], v[235:236]
	v_add_f64 v[229:230], v[229:230], v[233:234]
	v_fma_f64 v[233:234], v[4:5], v[26:27], v[237:238]
	v_fma_f64 v[235:236], v[2:3], v[26:27], -v[28:29]
	scratch_load_b128 v[26:29], off, off offset:704
	ds_load_b128 v[2:5], v1 offset:1456
	s_waitcnt vmcnt(10) lgkmcnt(1)
	v_mul_f64 v[231:232], v[180:181], v[32:33]
	v_mul_f64 v[32:33], v[182:183], v[32:33]
	s_waitcnt vmcnt(9) lgkmcnt(0)
	v_mul_f64 v[237:238], v[2:3], v[36:37]
	v_mul_f64 v[36:37], v[4:5], v[36:37]
	v_add_f64 v[169:170], v[169:170], v[172:173]
	v_add_f64 v[229:230], v[229:230], v[174:175]
	ds_load_b128 v[172:175], v1 offset:1472
	v_fma_f64 v[182:183], v[182:183], v[30:31], v[231:232]
	v_fma_f64 v[180:181], v[180:181], v[30:31], -v[32:33]
	scratch_load_b128 v[30:33], off, off offset:720
	v_add_f64 v[169:170], v[169:170], v[235:236]
	v_add_f64 v[229:230], v[229:230], v[233:234]
	v_fma_f64 v[235:236], v[4:5], v[34:35], v[237:238]
	v_fma_f64 v[237:238], v[2:3], v[34:35], -v[36:37]
	scratch_load_b128 v[34:37], off, off offset:736
	ds_load_b128 v[2:5], v1 offset:1488
	s_waitcnt vmcnt(9) lgkmcnt(1)
	v_mul_f64 v[231:232], v[172:173], v[178:179]
	v_mul_f64 v[233:234], v[174:175], v[178:179]
	v_add_f64 v[169:170], v[169:170], v[180:181]
	v_add_f64 v[182:183], v[229:230], v[182:183]
	ds_load_b128 v[178:181], v1 offset:1504
	v_fma_f64 v[231:232], v[174:175], v[176:177], v[231:232]
	v_fma_f64 v[176:177], v[172:173], v[176:177], -v[233:234]
	scratch_load_b128 v[172:175], off, off offset:752
	s_waitcnt vmcnt(9) lgkmcnt(1)
	v_mul_f64 v[229:230], v[2:3], v[40:41]
	v_mul_f64 v[40:41], v[4:5], v[40:41]
	v_add_f64 v[169:170], v[169:170], v[237:238]
	v_add_f64 v[182:183], v[182:183], v[235:236]
	s_delay_alu instid0(VALU_DEP_4) | instskip(NEXT) | instid1(VALU_DEP_4)
	v_fma_f64 v[235:236], v[4:5], v[38:39], v[229:230]
	v_fma_f64 v[237:238], v[2:3], v[38:39], -v[40:41]
	scratch_load_b128 v[38:41], off, off offset:768
	ds_load_b128 v[2:5], v1 offset:1520
	s_waitcnt vmcnt(9) lgkmcnt(1)
	v_mul_f64 v[233:234], v[178:179], v[8:9]
	v_mul_f64 v[8:9], v[180:181], v[8:9]
	v_add_f64 v[169:170], v[169:170], v[176:177]
	v_add_f64 v[176:177], v[182:183], v[231:232]
	s_waitcnt vmcnt(8) lgkmcnt(0)
	v_mul_f64 v[182:183], v[2:3], v[12:13]
	v_mul_f64 v[12:13], v[4:5], v[12:13]
	ds_load_b128 v[229:232], v1 offset:1536
	v_fma_f64 v[180:181], v[180:181], v[6:7], v[233:234]
	v_fma_f64 v[178:179], v[178:179], v[6:7], -v[8:9]
	scratch_load_b128 v[6:9], off, off offset:784
	v_add_f64 v[169:170], v[169:170], v[237:238]
	v_add_f64 v[176:177], v[176:177], v[235:236]
	v_fma_f64 v[182:183], v[4:5], v[10:11], v[182:183]
	v_fma_f64 v[235:236], v[2:3], v[10:11], -v[12:13]
	scratch_load_b128 v[10:13], off, off offset:800
	ds_load_b128 v[2:5], v1 offset:1552
	s_waitcnt vmcnt(9) lgkmcnt(1)
	v_mul_f64 v[233:234], v[229:230], v[16:17]
	v_mul_f64 v[16:17], v[231:232], v[16:17]
	s_waitcnt vmcnt(8) lgkmcnt(0)
	v_mul_f64 v[237:238], v[2:3], v[20:21]
	v_mul_f64 v[20:21], v[4:5], v[20:21]
	v_add_f64 v[169:170], v[169:170], v[178:179]
	v_add_f64 v[180:181], v[176:177], v[180:181]
	ds_load_b128 v[176:179], v1 offset:1568
	v_fma_f64 v[231:232], v[231:232], v[14:15], v[233:234]
	v_fma_f64 v[229:230], v[229:230], v[14:15], -v[16:17]
	scratch_load_b128 v[14:17], off, off offset:816
	v_add_f64 v[169:170], v[169:170], v[235:236]
	v_add_f64 v[180:181], v[180:181], v[182:183]
	v_fma_f64 v[235:236], v[4:5], v[18:19], v[237:238]
	v_fma_f64 v[237:238], v[2:3], v[18:19], -v[20:21]
	scratch_load_b128 v[18:21], off, off offset:832
	ds_load_b128 v[2:5], v1 offset:1584
	s_waitcnt vmcnt(9) lgkmcnt(1)
	v_mul_f64 v[233:234], v[176:177], v[24:25]
	v_mul_f64 v[24:25], v[178:179], v[24:25]
	v_add_f64 v[169:170], v[169:170], v[229:230]
	v_add_f64 v[229:230], v[180:181], v[231:232]
	s_waitcnt vmcnt(8) lgkmcnt(0)
	v_mul_f64 v[231:232], v[2:3], v[28:29]
	v_mul_f64 v[28:29], v[4:5], v[28:29]
	ds_load_b128 v[180:183], v1 offset:1600
	v_fma_f64 v[178:179], v[178:179], v[22:23], v[233:234]
	v_fma_f64 v[176:177], v[176:177], v[22:23], -v[24:25]
	scratch_load_b128 v[22:25], off, off offset:848
	v_add_f64 v[169:170], v[169:170], v[237:238]
	v_add_f64 v[229:230], v[229:230], v[235:236]
	v_fma_f64 v[231:232], v[4:5], v[26:27], v[231:232]
	v_fma_f64 v[235:236], v[2:3], v[26:27], -v[28:29]
	scratch_load_b128 v[26:29], off, off offset:864
	ds_load_b128 v[2:5], v1 offset:1616
	s_waitcnt vmcnt(9) lgkmcnt(1)
	v_mul_f64 v[233:234], v[180:181], v[32:33]
	v_mul_f64 v[32:33], v[182:183], v[32:33]
	s_waitcnt vmcnt(8) lgkmcnt(0)
	v_mul_f64 v[237:238], v[2:3], v[36:37]
	v_mul_f64 v[36:37], v[4:5], v[36:37]
	v_add_f64 v[169:170], v[169:170], v[176:177]
	v_add_f64 v[229:230], v[229:230], v[178:179]
	ds_load_b128 v[176:179], v1 offset:1632
	v_fma_f64 v[182:183], v[182:183], v[30:31], v[233:234]
	v_fma_f64 v[30:31], v[180:181], v[30:31], -v[32:33]
	s_waitcnt vmcnt(7) lgkmcnt(0)
	v_mul_f64 v[180:181], v[176:177], v[174:175]
	v_mul_f64 v[174:175], v[178:179], v[174:175]
	v_add_f64 v[32:33], v[169:170], v[235:236]
	v_add_f64 v[169:170], v[229:230], v[231:232]
	v_fma_f64 v[229:230], v[4:5], v[34:35], v[237:238]
	v_fma_f64 v[34:35], v[2:3], v[34:35], -v[36:37]
	v_fma_f64 v[178:179], v[178:179], v[172:173], v[180:181]
	v_fma_f64 v[172:173], v[176:177], v[172:173], -v[174:175]
	v_add_f64 v[36:37], v[32:33], v[30:31]
	v_add_f64 v[169:170], v[169:170], v[182:183]
	ds_load_b128 v[2:5], v1 offset:1648
	ds_load_b128 v[30:33], v1 offset:1664
	s_waitcnt vmcnt(6) lgkmcnt(1)
	v_mul_f64 v[182:183], v[2:3], v[40:41]
	v_mul_f64 v[40:41], v[4:5], v[40:41]
	v_add_f64 v[34:35], v[36:37], v[34:35]
	v_add_f64 v[36:37], v[169:170], v[229:230]
	s_waitcnt vmcnt(5) lgkmcnt(0)
	v_mul_f64 v[169:170], v[30:31], v[8:9]
	v_mul_f64 v[8:9], v[32:33], v[8:9]
	v_fma_f64 v[174:175], v[4:5], v[38:39], v[182:183]
	v_fma_f64 v[38:39], v[2:3], v[38:39], -v[40:41]
	v_add_f64 v[40:41], v[34:35], v[172:173]
	v_add_f64 v[172:173], v[36:37], v[178:179]
	ds_load_b128 v[2:5], v1 offset:1680
	ds_load_b128 v[34:37], v1 offset:1696
	v_fma_f64 v[32:33], v[32:33], v[6:7], v[169:170]
	v_fma_f64 v[6:7], v[30:31], v[6:7], -v[8:9]
	s_waitcnt vmcnt(4) lgkmcnt(1)
	v_mul_f64 v[176:177], v[2:3], v[12:13]
	v_mul_f64 v[12:13], v[4:5], v[12:13]
	v_add_f64 v[8:9], v[40:41], v[38:39]
	v_add_f64 v[30:31], v[172:173], v[174:175]
	s_waitcnt vmcnt(3) lgkmcnt(0)
	v_mul_f64 v[38:39], v[34:35], v[16:17]
	v_mul_f64 v[16:17], v[36:37], v[16:17]
	v_fma_f64 v[40:41], v[4:5], v[10:11], v[176:177]
	v_fma_f64 v[10:11], v[2:3], v[10:11], -v[12:13]
	v_add_f64 v[12:13], v[8:9], v[6:7]
	v_add_f64 v[30:31], v[30:31], v[32:33]
	ds_load_b128 v[2:5], v1 offset:1712
	ds_load_b128 v[6:9], v1 offset:1728
	v_fma_f64 v[36:37], v[36:37], v[14:15], v[38:39]
	v_fma_f64 v[14:15], v[34:35], v[14:15], -v[16:17]
	s_waitcnt vmcnt(2) lgkmcnt(1)
	v_mul_f64 v[32:33], v[2:3], v[20:21]
	v_mul_f64 v[20:21], v[4:5], v[20:21]
	s_waitcnt vmcnt(1) lgkmcnt(0)
	v_mul_f64 v[16:17], v[6:7], v[24:25]
	v_mul_f64 v[24:25], v[8:9], v[24:25]
	v_add_f64 v[10:11], v[12:13], v[10:11]
	v_add_f64 v[12:13], v[30:31], v[40:41]
	v_fma_f64 v[30:31], v[4:5], v[18:19], v[32:33]
	v_fma_f64 v[18:19], v[2:3], v[18:19], -v[20:21]
	ds_load_b128 v[2:5], v1 offset:1744
	v_fma_f64 v[8:9], v[8:9], v[22:23], v[16:17]
	v_fma_f64 v[6:7], v[6:7], v[22:23], -v[24:25]
	v_add_f64 v[10:11], v[10:11], v[14:15]
	v_add_f64 v[12:13], v[12:13], v[36:37]
	s_waitcnt vmcnt(0) lgkmcnt(0)
	v_mul_f64 v[14:15], v[2:3], v[28:29]
	v_mul_f64 v[20:21], v[4:5], v[28:29]
	s_delay_alu instid0(VALU_DEP_4) | instskip(NEXT) | instid1(VALU_DEP_4)
	v_add_f64 v[10:11], v[10:11], v[18:19]
	v_add_f64 v[12:13], v[12:13], v[30:31]
	s_delay_alu instid0(VALU_DEP_4) | instskip(NEXT) | instid1(VALU_DEP_4)
	v_fma_f64 v[4:5], v[4:5], v[26:27], v[14:15]
	v_fma_f64 v[2:3], v[2:3], v[26:27], -v[20:21]
	s_delay_alu instid0(VALU_DEP_4) | instskip(NEXT) | instid1(VALU_DEP_4)
	v_add_f64 v[6:7], v[10:11], v[6:7]
	v_add_f64 v[8:9], v[12:13], v[8:9]
	s_delay_alu instid0(VALU_DEP_2) | instskip(NEXT) | instid1(VALU_DEP_2)
	v_add_f64 v[2:3], v[6:7], v[2:3]
	v_add_f64 v[4:5], v[8:9], v[4:5]
	s_delay_alu instid0(VALU_DEP_2) | instskip(NEXT) | instid1(VALU_DEP_2)
	v_add_f64 v[2:3], v[42:43], -v[2:3]
	v_add_f64 v[4:5], v[44:45], -v[4:5]
	scratch_store_b128 off, v[2:5], off offset:432
	v_cmpx_lt_u32_e32 26, v156
	s_cbranch_execz .LBB54_291
; %bb.290:
	scratch_load_b128 v[5:8], v185, off
	v_mov_b32_e32 v2, v1
	v_mov_b32_e32 v3, v1
	;; [unrolled: 1-line block ×3, first 2 shown]
	scratch_store_b128 off, v[1:4], off offset:416
	s_waitcnt vmcnt(0)
	ds_store_b128 v211, v[5:8]
.LBB54_291:
	s_or_b32 exec_lo, exec_lo, s2
	s_waitcnt lgkmcnt(0)
	s_waitcnt_vscnt null, 0x0
	s_barrier
	buffer_gl0_inv
	s_clause 0x8
	scratch_load_b128 v[2:5], off, off offset:432
	scratch_load_b128 v[6:9], off, off offset:448
	;; [unrolled: 1-line block ×9, first 2 shown]
	ds_load_b128 v[42:45], v1 offset:1312
	ds_load_b128 v[38:41], v1 offset:1328
	s_clause 0x1
	scratch_load_b128 v[172:175], off, off offset:416
	scratch_load_b128 v[176:179], off, off offset:576
	s_mov_b32 s2, exec_lo
	ds_load_b128 v[180:183], v1 offset:1360
	s_waitcnt vmcnt(10) lgkmcnt(2)
	v_mul_f64 v[169:170], v[44:45], v[4:5]
	v_mul_f64 v[4:5], v[42:43], v[4:5]
	s_waitcnt vmcnt(9) lgkmcnt(1)
	v_mul_f64 v[229:230], v[38:39], v[8:9]
	v_mul_f64 v[8:9], v[40:41], v[8:9]
	s_delay_alu instid0(VALU_DEP_4) | instskip(NEXT) | instid1(VALU_DEP_4)
	v_fma_f64 v[169:170], v[42:43], v[2:3], -v[169:170]
	v_fma_f64 v[231:232], v[44:45], v[2:3], v[4:5]
	ds_load_b128 v[2:5], v1 offset:1344
	scratch_load_b128 v[42:45], off, off offset:592
	v_fma_f64 v[40:41], v[40:41], v[6:7], v[229:230]
	v_fma_f64 v[38:39], v[38:39], v[6:7], -v[8:9]
	scratch_load_b128 v[6:9], off, off offset:608
	s_waitcnt vmcnt(10) lgkmcnt(0)
	v_mul_f64 v[233:234], v[2:3], v[12:13]
	v_mul_f64 v[12:13], v[4:5], v[12:13]
	v_add_f64 v[169:170], v[169:170], 0
	v_add_f64 v[229:230], v[231:232], 0
	s_waitcnt vmcnt(9)
	v_mul_f64 v[231:232], v[180:181], v[16:17]
	v_mul_f64 v[16:17], v[182:183], v[16:17]
	v_fma_f64 v[233:234], v[4:5], v[10:11], v[233:234]
	v_fma_f64 v[235:236], v[2:3], v[10:11], -v[12:13]
	ds_load_b128 v[2:5], v1 offset:1376
	scratch_load_b128 v[10:13], off, off offset:624
	v_add_f64 v[169:170], v[169:170], v[38:39]
	v_add_f64 v[229:230], v[229:230], v[40:41]
	ds_load_b128 v[38:41], v1 offset:1392
	v_fma_f64 v[182:183], v[182:183], v[14:15], v[231:232]
	v_fma_f64 v[180:181], v[180:181], v[14:15], -v[16:17]
	scratch_load_b128 v[14:17], off, off offset:640
	s_waitcnt vmcnt(10) lgkmcnt(1)
	v_mul_f64 v[237:238], v[2:3], v[20:21]
	v_mul_f64 v[20:21], v[4:5], v[20:21]
	s_waitcnt vmcnt(9) lgkmcnt(0)
	v_mul_f64 v[231:232], v[38:39], v[24:25]
	v_mul_f64 v[24:25], v[40:41], v[24:25]
	v_add_f64 v[169:170], v[169:170], v[235:236]
	v_add_f64 v[229:230], v[229:230], v[233:234]
	v_fma_f64 v[233:234], v[4:5], v[18:19], v[237:238]
	v_fma_f64 v[235:236], v[2:3], v[18:19], -v[20:21]
	ds_load_b128 v[2:5], v1 offset:1408
	scratch_load_b128 v[18:21], off, off offset:656
	v_fma_f64 v[40:41], v[40:41], v[22:23], v[231:232]
	v_fma_f64 v[38:39], v[38:39], v[22:23], -v[24:25]
	scratch_load_b128 v[22:25], off, off offset:672
	v_add_f64 v[169:170], v[169:170], v[180:181]
	v_add_f64 v[229:230], v[229:230], v[182:183]
	ds_load_b128 v[180:183], v1 offset:1424
	s_waitcnt vmcnt(10) lgkmcnt(1)
	v_mul_f64 v[237:238], v[2:3], v[28:29]
	v_mul_f64 v[28:29], v[4:5], v[28:29]
	s_waitcnt vmcnt(9) lgkmcnt(0)
	v_mul_f64 v[231:232], v[180:181], v[32:33]
	v_mul_f64 v[32:33], v[182:183], v[32:33]
	v_add_f64 v[169:170], v[169:170], v[235:236]
	v_add_f64 v[229:230], v[229:230], v[233:234]
	v_fma_f64 v[233:234], v[4:5], v[26:27], v[237:238]
	v_fma_f64 v[235:236], v[2:3], v[26:27], -v[28:29]
	ds_load_b128 v[2:5], v1 offset:1440
	scratch_load_b128 v[26:29], off, off offset:688
	v_fma_f64 v[182:183], v[182:183], v[30:31], v[231:232]
	v_fma_f64 v[180:181], v[180:181], v[30:31], -v[32:33]
	scratch_load_b128 v[30:33], off, off offset:704
	v_add_f64 v[169:170], v[169:170], v[38:39]
	v_add_f64 v[229:230], v[229:230], v[40:41]
	ds_load_b128 v[38:41], v1 offset:1456
	s_waitcnt vmcnt(10) lgkmcnt(1)
	v_mul_f64 v[237:238], v[2:3], v[36:37]
	v_mul_f64 v[36:37], v[4:5], v[36:37]
	s_waitcnt vmcnt(8) lgkmcnt(0)
	v_mul_f64 v[231:232], v[38:39], v[178:179]
	v_add_f64 v[169:170], v[169:170], v[235:236]
	v_add_f64 v[229:230], v[229:230], v[233:234]
	v_mul_f64 v[233:234], v[40:41], v[178:179]
	v_fma_f64 v[235:236], v[4:5], v[34:35], v[237:238]
	v_fma_f64 v[237:238], v[2:3], v[34:35], -v[36:37]
	ds_load_b128 v[2:5], v1 offset:1472
	scratch_load_b128 v[34:37], off, off offset:720
	v_fma_f64 v[231:232], v[40:41], v[176:177], v[231:232]
	v_add_f64 v[169:170], v[169:170], v[180:181]
	v_add_f64 v[182:183], v[229:230], v[182:183]
	ds_load_b128 v[178:181], v1 offset:1488
	v_fma_f64 v[176:177], v[38:39], v[176:177], -v[233:234]
	scratch_load_b128 v[38:41], off, off offset:736
	s_waitcnt vmcnt(9) lgkmcnt(1)
	v_mul_f64 v[229:230], v[2:3], v[44:45]
	v_mul_f64 v[44:45], v[4:5], v[44:45]
	s_waitcnt vmcnt(8) lgkmcnt(0)
	v_mul_f64 v[233:234], v[178:179], v[8:9]
	v_mul_f64 v[8:9], v[180:181], v[8:9]
	v_add_f64 v[169:170], v[169:170], v[237:238]
	v_add_f64 v[182:183], v[182:183], v[235:236]
	v_fma_f64 v[235:236], v[4:5], v[42:43], v[229:230]
	v_fma_f64 v[237:238], v[2:3], v[42:43], -v[44:45]
	ds_load_b128 v[2:5], v1 offset:1504
	scratch_load_b128 v[42:45], off, off offset:752
	v_fma_f64 v[180:181], v[180:181], v[6:7], v[233:234]
	v_fma_f64 v[178:179], v[178:179], v[6:7], -v[8:9]
	scratch_load_b128 v[6:9], off, off offset:768
	v_add_f64 v[169:170], v[169:170], v[176:177]
	v_add_f64 v[176:177], v[182:183], v[231:232]
	ds_load_b128 v[229:232], v1 offset:1520
	s_waitcnt vmcnt(9) lgkmcnt(1)
	v_mul_f64 v[182:183], v[2:3], v[12:13]
	v_mul_f64 v[12:13], v[4:5], v[12:13]
	s_waitcnt vmcnt(8) lgkmcnt(0)
	v_mul_f64 v[233:234], v[229:230], v[16:17]
	v_mul_f64 v[16:17], v[231:232], v[16:17]
	v_add_f64 v[169:170], v[169:170], v[237:238]
	v_add_f64 v[176:177], v[176:177], v[235:236]
	v_fma_f64 v[182:183], v[4:5], v[10:11], v[182:183]
	v_fma_f64 v[235:236], v[2:3], v[10:11], -v[12:13]
	ds_load_b128 v[2:5], v1 offset:1536
	scratch_load_b128 v[10:13], off, off offset:784
	v_fma_f64 v[231:232], v[231:232], v[14:15], v[233:234]
	v_fma_f64 v[229:230], v[229:230], v[14:15], -v[16:17]
	scratch_load_b128 v[14:17], off, off offset:800
	v_add_f64 v[169:170], v[169:170], v[178:179]
	v_add_f64 v[180:181], v[176:177], v[180:181]
	ds_load_b128 v[176:179], v1 offset:1552
	;; [unrolled: 18-line block ×4, first 2 shown]
	s_waitcnt vmcnt(9) lgkmcnt(1)
	v_mul_f64 v[237:238], v[2:3], v[36:37]
	v_mul_f64 v[36:37], v[4:5], v[36:37]
	v_add_f64 v[169:170], v[169:170], v[235:236]
	v_add_f64 v[229:230], v[229:230], v[231:232]
	s_waitcnt vmcnt(8) lgkmcnt(0)
	v_mul_f64 v[231:232], v[176:177], v[40:41]
	v_mul_f64 v[40:41], v[178:179], v[40:41]
	v_fma_f64 v[233:234], v[4:5], v[34:35], v[237:238]
	v_fma_f64 v[235:236], v[2:3], v[34:35], -v[36:37]
	ds_load_b128 v[2:5], v1 offset:1632
	ds_load_b128 v[34:37], v1 offset:1648
	v_add_f64 v[169:170], v[169:170], v[180:181]
	v_add_f64 v[180:181], v[229:230], v[182:183]
	s_waitcnt vmcnt(7) lgkmcnt(1)
	v_mul_f64 v[182:183], v[2:3], v[44:45]
	v_mul_f64 v[44:45], v[4:5], v[44:45]
	v_fma_f64 v[178:179], v[178:179], v[38:39], v[231:232]
	v_fma_f64 v[38:39], v[176:177], v[38:39], -v[40:41]
	s_waitcnt vmcnt(6) lgkmcnt(0)
	v_mul_f64 v[176:177], v[34:35], v[8:9]
	v_mul_f64 v[8:9], v[36:37], v[8:9]
	v_add_f64 v[40:41], v[169:170], v[235:236]
	v_add_f64 v[169:170], v[180:181], v[233:234]
	v_fma_f64 v[180:181], v[4:5], v[42:43], v[182:183]
	v_fma_f64 v[42:43], v[2:3], v[42:43], -v[44:45]
	v_fma_f64 v[36:37], v[36:37], v[6:7], v[176:177]
	v_fma_f64 v[6:7], v[34:35], v[6:7], -v[8:9]
	v_add_f64 v[44:45], v[40:41], v[38:39]
	v_add_f64 v[169:170], v[169:170], v[178:179]
	ds_load_b128 v[2:5], v1 offset:1664
	ds_load_b128 v[38:41], v1 offset:1680
	s_waitcnt vmcnt(5) lgkmcnt(1)
	v_mul_f64 v[178:179], v[2:3], v[12:13]
	v_mul_f64 v[12:13], v[4:5], v[12:13]
	v_add_f64 v[8:9], v[44:45], v[42:43]
	v_add_f64 v[34:35], v[169:170], v[180:181]
	s_waitcnt vmcnt(4) lgkmcnt(0)
	v_mul_f64 v[42:43], v[38:39], v[16:17]
	v_mul_f64 v[16:17], v[40:41], v[16:17]
	v_fma_f64 v[44:45], v[4:5], v[10:11], v[178:179]
	v_fma_f64 v[10:11], v[2:3], v[10:11], -v[12:13]
	v_add_f64 v[12:13], v[8:9], v[6:7]
	v_add_f64 v[34:35], v[34:35], v[36:37]
	ds_load_b128 v[2:5], v1 offset:1696
	ds_load_b128 v[6:9], v1 offset:1712
	v_fma_f64 v[40:41], v[40:41], v[14:15], v[42:43]
	v_fma_f64 v[14:15], v[38:39], v[14:15], -v[16:17]
	s_waitcnt vmcnt(3) lgkmcnt(1)
	v_mul_f64 v[36:37], v[2:3], v[20:21]
	v_mul_f64 v[20:21], v[4:5], v[20:21]
	s_waitcnt vmcnt(2) lgkmcnt(0)
	v_mul_f64 v[16:17], v[6:7], v[24:25]
	v_mul_f64 v[24:25], v[8:9], v[24:25]
	v_add_f64 v[10:11], v[12:13], v[10:11]
	v_add_f64 v[12:13], v[34:35], v[44:45]
	v_fma_f64 v[34:35], v[4:5], v[18:19], v[36:37]
	v_fma_f64 v[18:19], v[2:3], v[18:19], -v[20:21]
	v_fma_f64 v[8:9], v[8:9], v[22:23], v[16:17]
	v_fma_f64 v[6:7], v[6:7], v[22:23], -v[24:25]
	v_add_f64 v[14:15], v[10:11], v[14:15]
	v_add_f64 v[20:21], v[12:13], v[40:41]
	ds_load_b128 v[2:5], v1 offset:1728
	ds_load_b128 v[10:13], v1 offset:1744
	s_waitcnt vmcnt(1) lgkmcnt(1)
	v_mul_f64 v[36:37], v[2:3], v[28:29]
	v_mul_f64 v[28:29], v[4:5], v[28:29]
	v_add_f64 v[14:15], v[14:15], v[18:19]
	v_add_f64 v[16:17], v[20:21], v[34:35]
	s_waitcnt vmcnt(0) lgkmcnt(0)
	v_mul_f64 v[18:19], v[10:11], v[32:33]
	v_mul_f64 v[20:21], v[12:13], v[32:33]
	v_fma_f64 v[4:5], v[4:5], v[26:27], v[36:37]
	v_fma_f64 v[1:2], v[2:3], v[26:27], -v[28:29]
	v_add_f64 v[6:7], v[14:15], v[6:7]
	v_add_f64 v[8:9], v[16:17], v[8:9]
	v_fma_f64 v[12:13], v[12:13], v[30:31], v[18:19]
	v_fma_f64 v[10:11], v[10:11], v[30:31], -v[20:21]
	s_delay_alu instid0(VALU_DEP_4) | instskip(NEXT) | instid1(VALU_DEP_4)
	v_add_f64 v[1:2], v[6:7], v[1:2]
	v_add_f64 v[3:4], v[8:9], v[4:5]
	s_delay_alu instid0(VALU_DEP_2) | instskip(NEXT) | instid1(VALU_DEP_2)
	v_add_f64 v[1:2], v[1:2], v[10:11]
	v_add_f64 v[3:4], v[3:4], v[12:13]
	s_delay_alu instid0(VALU_DEP_2) | instskip(NEXT) | instid1(VALU_DEP_2)
	v_add_f64 v[1:2], v[172:173], -v[1:2]
	v_add_f64 v[3:4], v[174:175], -v[3:4]
	scratch_store_b128 off, v[1:4], off offset:416
	v_cmpx_lt_u32_e32 25, v156
	s_cbranch_execz .LBB54_293
; %bb.292:
	scratch_load_b128 v[1:4], v186, off
	v_mov_b32_e32 v5, 0
	s_delay_alu instid0(VALU_DEP_1)
	v_mov_b32_e32 v6, v5
	v_mov_b32_e32 v7, v5
	;; [unrolled: 1-line block ×3, first 2 shown]
	scratch_store_b128 off, v[5:8], off offset:400
	s_waitcnt vmcnt(0)
	ds_store_b128 v211, v[1:4]
.LBB54_293:
	s_or_b32 exec_lo, exec_lo, s2
	s_waitcnt lgkmcnt(0)
	s_waitcnt_vscnt null, 0x0
	s_barrier
	buffer_gl0_inv
	s_clause 0x7
	scratch_load_b128 v[2:5], off, off offset:416
	scratch_load_b128 v[6:9], off, off offset:432
	;; [unrolled: 1-line block ×8, first 2 shown]
	v_mov_b32_e32 v1, 0
	s_mov_b32 s2, exec_lo
	ds_load_b128 v[38:41], v1 offset:1296
	s_clause 0x1
	scratch_load_b128 v[34:37], off, off offset:544
	scratch_load_b128 v[42:45], off, off offset:400
	ds_load_b128 v[172:175], v1 offset:1312
	scratch_load_b128 v[176:179], off, off offset:560
	ds_load_b128 v[180:183], v1 offset:1344
	s_waitcnt vmcnt(10) lgkmcnt(2)
	v_mul_f64 v[169:170], v[40:41], v[4:5]
	v_mul_f64 v[4:5], v[38:39], v[4:5]
	s_delay_alu instid0(VALU_DEP_2) | instskip(NEXT) | instid1(VALU_DEP_2)
	v_fma_f64 v[169:170], v[38:39], v[2:3], -v[169:170]
	v_fma_f64 v[231:232], v[40:41], v[2:3], v[4:5]
	ds_load_b128 v[2:5], v1 offset:1328
	s_waitcnt vmcnt(9) lgkmcnt(2)
	v_mul_f64 v[229:230], v[172:173], v[8:9]
	v_mul_f64 v[8:9], v[174:175], v[8:9]
	scratch_load_b128 v[38:41], off, off offset:576
	s_waitcnt vmcnt(9) lgkmcnt(0)
	v_mul_f64 v[233:234], v[2:3], v[12:13]
	v_mul_f64 v[12:13], v[4:5], v[12:13]
	v_add_f64 v[169:170], v[169:170], 0
	v_fma_f64 v[174:175], v[174:175], v[6:7], v[229:230]
	v_fma_f64 v[172:173], v[172:173], v[6:7], -v[8:9]
	v_add_f64 v[229:230], v[231:232], 0
	scratch_load_b128 v[6:9], off, off offset:592
	v_fma_f64 v[233:234], v[4:5], v[10:11], v[233:234]
	v_fma_f64 v[235:236], v[2:3], v[10:11], -v[12:13]
	scratch_load_b128 v[10:13], off, off offset:608
	ds_load_b128 v[2:5], v1 offset:1360
	s_waitcnt vmcnt(10)
	v_mul_f64 v[231:232], v[180:181], v[16:17]
	v_mul_f64 v[16:17], v[182:183], v[16:17]
	v_add_f64 v[169:170], v[169:170], v[172:173]
	v_add_f64 v[229:230], v[229:230], v[174:175]
	ds_load_b128 v[172:175], v1 offset:1376
	s_waitcnt vmcnt(9) lgkmcnt(1)
	v_mul_f64 v[237:238], v[2:3], v[20:21]
	v_mul_f64 v[20:21], v[4:5], v[20:21]
	v_fma_f64 v[182:183], v[182:183], v[14:15], v[231:232]
	v_fma_f64 v[180:181], v[180:181], v[14:15], -v[16:17]
	scratch_load_b128 v[14:17], off, off offset:624
	v_add_f64 v[169:170], v[169:170], v[235:236]
	v_add_f64 v[229:230], v[229:230], v[233:234]
	v_fma_f64 v[233:234], v[4:5], v[18:19], v[237:238]
	v_fma_f64 v[235:236], v[2:3], v[18:19], -v[20:21]
	scratch_load_b128 v[18:21], off, off offset:640
	ds_load_b128 v[2:5], v1 offset:1392
	s_waitcnt vmcnt(10) lgkmcnt(1)
	v_mul_f64 v[231:232], v[172:173], v[24:25]
	v_mul_f64 v[24:25], v[174:175], v[24:25]
	s_waitcnt vmcnt(9) lgkmcnt(0)
	v_mul_f64 v[237:238], v[2:3], v[28:29]
	v_mul_f64 v[28:29], v[4:5], v[28:29]
	v_add_f64 v[169:170], v[169:170], v[180:181]
	v_add_f64 v[229:230], v[229:230], v[182:183]
	ds_load_b128 v[180:183], v1 offset:1408
	v_fma_f64 v[174:175], v[174:175], v[22:23], v[231:232]
	v_fma_f64 v[172:173], v[172:173], v[22:23], -v[24:25]
	scratch_load_b128 v[22:25], off, off offset:656
	v_add_f64 v[169:170], v[169:170], v[235:236]
	v_add_f64 v[229:230], v[229:230], v[233:234]
	v_fma_f64 v[233:234], v[4:5], v[26:27], v[237:238]
	v_fma_f64 v[235:236], v[2:3], v[26:27], -v[28:29]
	scratch_load_b128 v[26:29], off, off offset:672
	ds_load_b128 v[2:5], v1 offset:1424
	s_waitcnt vmcnt(10) lgkmcnt(1)
	v_mul_f64 v[231:232], v[180:181], v[32:33]
	v_mul_f64 v[32:33], v[182:183], v[32:33]
	s_waitcnt vmcnt(9) lgkmcnt(0)
	v_mul_f64 v[237:238], v[2:3], v[36:37]
	v_mul_f64 v[36:37], v[4:5], v[36:37]
	v_add_f64 v[169:170], v[169:170], v[172:173]
	v_add_f64 v[229:230], v[229:230], v[174:175]
	ds_load_b128 v[172:175], v1 offset:1440
	v_fma_f64 v[182:183], v[182:183], v[30:31], v[231:232]
	v_fma_f64 v[180:181], v[180:181], v[30:31], -v[32:33]
	scratch_load_b128 v[30:33], off, off offset:688
	v_add_f64 v[169:170], v[169:170], v[235:236]
	v_add_f64 v[229:230], v[229:230], v[233:234]
	v_fma_f64 v[235:236], v[4:5], v[34:35], v[237:238]
	v_fma_f64 v[237:238], v[2:3], v[34:35], -v[36:37]
	scratch_load_b128 v[34:37], off, off offset:704
	ds_load_b128 v[2:5], v1 offset:1456
	s_waitcnt vmcnt(9) lgkmcnt(1)
	v_mul_f64 v[231:232], v[172:173], v[178:179]
	v_mul_f64 v[233:234], v[174:175], v[178:179]
	v_add_f64 v[169:170], v[169:170], v[180:181]
	v_add_f64 v[182:183], v[229:230], v[182:183]
	ds_load_b128 v[178:181], v1 offset:1472
	v_fma_f64 v[231:232], v[174:175], v[176:177], v[231:232]
	v_fma_f64 v[176:177], v[172:173], v[176:177], -v[233:234]
	scratch_load_b128 v[172:175], off, off offset:720
	s_waitcnt vmcnt(9) lgkmcnt(1)
	v_mul_f64 v[229:230], v[2:3], v[40:41]
	v_mul_f64 v[40:41], v[4:5], v[40:41]
	v_add_f64 v[169:170], v[169:170], v[237:238]
	v_add_f64 v[182:183], v[182:183], v[235:236]
	s_delay_alu instid0(VALU_DEP_4) | instskip(NEXT) | instid1(VALU_DEP_4)
	v_fma_f64 v[235:236], v[4:5], v[38:39], v[229:230]
	v_fma_f64 v[237:238], v[2:3], v[38:39], -v[40:41]
	scratch_load_b128 v[38:41], off, off offset:736
	ds_load_b128 v[2:5], v1 offset:1488
	s_waitcnt vmcnt(9) lgkmcnt(1)
	v_mul_f64 v[233:234], v[178:179], v[8:9]
	v_mul_f64 v[8:9], v[180:181], v[8:9]
	v_add_f64 v[169:170], v[169:170], v[176:177]
	v_add_f64 v[176:177], v[182:183], v[231:232]
	s_waitcnt vmcnt(8) lgkmcnt(0)
	v_mul_f64 v[182:183], v[2:3], v[12:13]
	v_mul_f64 v[12:13], v[4:5], v[12:13]
	ds_load_b128 v[229:232], v1 offset:1504
	v_fma_f64 v[180:181], v[180:181], v[6:7], v[233:234]
	v_fma_f64 v[178:179], v[178:179], v[6:7], -v[8:9]
	scratch_load_b128 v[6:9], off, off offset:752
	v_add_f64 v[169:170], v[169:170], v[237:238]
	v_add_f64 v[176:177], v[176:177], v[235:236]
	v_fma_f64 v[182:183], v[4:5], v[10:11], v[182:183]
	v_fma_f64 v[235:236], v[2:3], v[10:11], -v[12:13]
	scratch_load_b128 v[10:13], off, off offset:768
	ds_load_b128 v[2:5], v1 offset:1520
	s_waitcnt vmcnt(9) lgkmcnt(1)
	v_mul_f64 v[233:234], v[229:230], v[16:17]
	v_mul_f64 v[16:17], v[231:232], v[16:17]
	s_waitcnt vmcnt(8) lgkmcnt(0)
	v_mul_f64 v[237:238], v[2:3], v[20:21]
	v_mul_f64 v[20:21], v[4:5], v[20:21]
	v_add_f64 v[169:170], v[169:170], v[178:179]
	v_add_f64 v[180:181], v[176:177], v[180:181]
	ds_load_b128 v[176:179], v1 offset:1536
	v_fma_f64 v[231:232], v[231:232], v[14:15], v[233:234]
	v_fma_f64 v[229:230], v[229:230], v[14:15], -v[16:17]
	scratch_load_b128 v[14:17], off, off offset:784
	v_add_f64 v[169:170], v[169:170], v[235:236]
	v_add_f64 v[180:181], v[180:181], v[182:183]
	v_fma_f64 v[235:236], v[4:5], v[18:19], v[237:238]
	v_fma_f64 v[237:238], v[2:3], v[18:19], -v[20:21]
	scratch_load_b128 v[18:21], off, off offset:800
	ds_load_b128 v[2:5], v1 offset:1552
	s_waitcnt vmcnt(9) lgkmcnt(1)
	v_mul_f64 v[233:234], v[176:177], v[24:25]
	v_mul_f64 v[24:25], v[178:179], v[24:25]
	v_add_f64 v[169:170], v[169:170], v[229:230]
	v_add_f64 v[229:230], v[180:181], v[231:232]
	s_waitcnt vmcnt(8) lgkmcnt(0)
	v_mul_f64 v[231:232], v[2:3], v[28:29]
	v_mul_f64 v[28:29], v[4:5], v[28:29]
	ds_load_b128 v[180:183], v1 offset:1568
	v_fma_f64 v[178:179], v[178:179], v[22:23], v[233:234]
	v_fma_f64 v[176:177], v[176:177], v[22:23], -v[24:25]
	scratch_load_b128 v[22:25], off, off offset:816
	v_add_f64 v[169:170], v[169:170], v[237:238]
	v_add_f64 v[229:230], v[229:230], v[235:236]
	v_fma_f64 v[231:232], v[4:5], v[26:27], v[231:232]
	v_fma_f64 v[235:236], v[2:3], v[26:27], -v[28:29]
	scratch_load_b128 v[26:29], off, off offset:832
	ds_load_b128 v[2:5], v1 offset:1584
	s_waitcnt vmcnt(9) lgkmcnt(1)
	v_mul_f64 v[233:234], v[180:181], v[32:33]
	v_mul_f64 v[32:33], v[182:183], v[32:33]
	s_waitcnt vmcnt(8) lgkmcnt(0)
	v_mul_f64 v[237:238], v[2:3], v[36:37]
	v_mul_f64 v[36:37], v[4:5], v[36:37]
	v_add_f64 v[169:170], v[169:170], v[176:177]
	v_add_f64 v[229:230], v[229:230], v[178:179]
	ds_load_b128 v[176:179], v1 offset:1600
	v_fma_f64 v[182:183], v[182:183], v[30:31], v[233:234]
	v_fma_f64 v[180:181], v[180:181], v[30:31], -v[32:33]
	scratch_load_b128 v[30:33], off, off offset:848
	v_fma_f64 v[233:234], v[4:5], v[34:35], v[237:238]
	v_add_f64 v[169:170], v[169:170], v[235:236]
	v_add_f64 v[229:230], v[229:230], v[231:232]
	v_fma_f64 v[235:236], v[2:3], v[34:35], -v[36:37]
	scratch_load_b128 v[34:37], off, off offset:864
	ds_load_b128 v[2:5], v1 offset:1616
	s_waitcnt vmcnt(9) lgkmcnt(1)
	v_mul_f64 v[231:232], v[176:177], v[174:175]
	v_mul_f64 v[174:175], v[178:179], v[174:175]
	s_waitcnt vmcnt(8) lgkmcnt(0)
	v_mul_f64 v[237:238], v[2:3], v[40:41]
	v_mul_f64 v[40:41], v[4:5], v[40:41]
	v_add_f64 v[169:170], v[169:170], v[180:181]
	v_add_f64 v[229:230], v[229:230], v[182:183]
	ds_load_b128 v[180:183], v1 offset:1632
	v_fma_f64 v[178:179], v[178:179], v[172:173], v[231:232]
	v_fma_f64 v[172:173], v[176:177], v[172:173], -v[174:175]
	v_fma_f64 v[231:232], v[2:3], v[38:39], -v[40:41]
	v_add_f64 v[169:170], v[169:170], v[235:236]
	v_add_f64 v[174:175], v[229:230], v[233:234]
	s_waitcnt vmcnt(7) lgkmcnt(0)
	v_mul_f64 v[176:177], v[180:181], v[8:9]
	v_mul_f64 v[8:9], v[182:183], v[8:9]
	v_fma_f64 v[229:230], v[4:5], v[38:39], v[237:238]
	ds_load_b128 v[2:5], v1 offset:1648
	ds_load_b128 v[38:41], v1 offset:1664
	v_add_f64 v[169:170], v[169:170], v[172:173]
	v_add_f64 v[172:173], v[174:175], v[178:179]
	s_waitcnt vmcnt(6) lgkmcnt(1)
	v_mul_f64 v[174:175], v[2:3], v[12:13]
	v_mul_f64 v[12:13], v[4:5], v[12:13]
	v_fma_f64 v[176:177], v[182:183], v[6:7], v[176:177]
	v_fma_f64 v[6:7], v[180:181], v[6:7], -v[8:9]
	v_add_f64 v[8:9], v[169:170], v[231:232]
	v_add_f64 v[169:170], v[172:173], v[229:230]
	s_waitcnt vmcnt(5) lgkmcnt(0)
	v_mul_f64 v[172:173], v[38:39], v[16:17]
	v_mul_f64 v[16:17], v[40:41], v[16:17]
	v_fma_f64 v[174:175], v[4:5], v[10:11], v[174:175]
	v_fma_f64 v[10:11], v[2:3], v[10:11], -v[12:13]
	v_add_f64 v[12:13], v[8:9], v[6:7]
	v_add_f64 v[169:170], v[169:170], v[176:177]
	ds_load_b128 v[2:5], v1 offset:1680
	ds_load_b128 v[6:9], v1 offset:1696
	v_fma_f64 v[40:41], v[40:41], v[14:15], v[172:173]
	v_fma_f64 v[14:15], v[38:39], v[14:15], -v[16:17]
	s_waitcnt vmcnt(4) lgkmcnt(1)
	v_mul_f64 v[176:177], v[2:3], v[20:21]
	v_mul_f64 v[20:21], v[4:5], v[20:21]
	s_waitcnt vmcnt(3) lgkmcnt(0)
	v_mul_f64 v[16:17], v[6:7], v[24:25]
	v_mul_f64 v[24:25], v[8:9], v[24:25]
	v_add_f64 v[10:11], v[12:13], v[10:11]
	v_add_f64 v[12:13], v[169:170], v[174:175]
	v_fma_f64 v[38:39], v[4:5], v[18:19], v[176:177]
	v_fma_f64 v[18:19], v[2:3], v[18:19], -v[20:21]
	v_fma_f64 v[8:9], v[8:9], v[22:23], v[16:17]
	v_fma_f64 v[6:7], v[6:7], v[22:23], -v[24:25]
	v_add_f64 v[14:15], v[10:11], v[14:15]
	v_add_f64 v[20:21], v[12:13], v[40:41]
	ds_load_b128 v[2:5], v1 offset:1712
	ds_load_b128 v[10:13], v1 offset:1728
	s_waitcnt vmcnt(2) lgkmcnt(1)
	v_mul_f64 v[40:41], v[2:3], v[28:29]
	v_mul_f64 v[28:29], v[4:5], v[28:29]
	v_add_f64 v[14:15], v[14:15], v[18:19]
	v_add_f64 v[16:17], v[20:21], v[38:39]
	s_waitcnt vmcnt(1) lgkmcnt(0)
	v_mul_f64 v[18:19], v[10:11], v[32:33]
	v_mul_f64 v[20:21], v[12:13], v[32:33]
	v_fma_f64 v[22:23], v[4:5], v[26:27], v[40:41]
	v_fma_f64 v[24:25], v[2:3], v[26:27], -v[28:29]
	ds_load_b128 v[2:5], v1 offset:1744
	v_add_f64 v[6:7], v[14:15], v[6:7]
	v_add_f64 v[8:9], v[16:17], v[8:9]
	v_fma_f64 v[12:13], v[12:13], v[30:31], v[18:19]
	v_fma_f64 v[10:11], v[10:11], v[30:31], -v[20:21]
	s_waitcnt vmcnt(0) lgkmcnt(0)
	v_mul_f64 v[14:15], v[2:3], v[36:37]
	v_mul_f64 v[16:17], v[4:5], v[36:37]
	v_add_f64 v[6:7], v[6:7], v[24:25]
	v_add_f64 v[8:9], v[8:9], v[22:23]
	s_delay_alu instid0(VALU_DEP_4) | instskip(NEXT) | instid1(VALU_DEP_4)
	v_fma_f64 v[4:5], v[4:5], v[34:35], v[14:15]
	v_fma_f64 v[2:3], v[2:3], v[34:35], -v[16:17]
	s_delay_alu instid0(VALU_DEP_4) | instskip(NEXT) | instid1(VALU_DEP_4)
	v_add_f64 v[6:7], v[6:7], v[10:11]
	v_add_f64 v[8:9], v[8:9], v[12:13]
	s_delay_alu instid0(VALU_DEP_2) | instskip(NEXT) | instid1(VALU_DEP_2)
	v_add_f64 v[2:3], v[6:7], v[2:3]
	v_add_f64 v[4:5], v[8:9], v[4:5]
	s_delay_alu instid0(VALU_DEP_2) | instskip(NEXT) | instid1(VALU_DEP_2)
	v_add_f64 v[2:3], v[42:43], -v[2:3]
	v_add_f64 v[4:5], v[44:45], -v[4:5]
	scratch_store_b128 off, v[2:5], off offset:400
	v_cmpx_lt_u32_e32 24, v156
	s_cbranch_execz .LBB54_295
; %bb.294:
	scratch_load_b128 v[5:8], v187, off
	v_mov_b32_e32 v2, v1
	v_mov_b32_e32 v3, v1
	;; [unrolled: 1-line block ×3, first 2 shown]
	scratch_store_b128 off, v[1:4], off offset:384
	s_waitcnt vmcnt(0)
	ds_store_b128 v211, v[5:8]
.LBB54_295:
	s_or_b32 exec_lo, exec_lo, s2
	s_waitcnt lgkmcnt(0)
	s_waitcnt_vscnt null, 0x0
	s_barrier
	buffer_gl0_inv
	s_clause 0x8
	scratch_load_b128 v[2:5], off, off offset:400
	scratch_load_b128 v[6:9], off, off offset:416
	;; [unrolled: 1-line block ×9, first 2 shown]
	ds_load_b128 v[42:45], v1 offset:1280
	ds_load_b128 v[38:41], v1 offset:1296
	s_clause 0x1
	scratch_load_b128 v[172:175], off, off offset:384
	scratch_load_b128 v[176:179], off, off offset:544
	s_mov_b32 s2, exec_lo
	ds_load_b128 v[180:183], v1 offset:1328
	s_waitcnt vmcnt(10) lgkmcnt(2)
	v_mul_f64 v[169:170], v[44:45], v[4:5]
	v_mul_f64 v[4:5], v[42:43], v[4:5]
	s_waitcnt vmcnt(9) lgkmcnt(1)
	v_mul_f64 v[229:230], v[38:39], v[8:9]
	v_mul_f64 v[8:9], v[40:41], v[8:9]
	s_delay_alu instid0(VALU_DEP_4) | instskip(NEXT) | instid1(VALU_DEP_4)
	v_fma_f64 v[169:170], v[42:43], v[2:3], -v[169:170]
	v_fma_f64 v[231:232], v[44:45], v[2:3], v[4:5]
	ds_load_b128 v[2:5], v1 offset:1312
	scratch_load_b128 v[42:45], off, off offset:560
	v_fma_f64 v[40:41], v[40:41], v[6:7], v[229:230]
	v_fma_f64 v[38:39], v[38:39], v[6:7], -v[8:9]
	scratch_load_b128 v[6:9], off, off offset:576
	s_waitcnt vmcnt(10) lgkmcnt(0)
	v_mul_f64 v[233:234], v[2:3], v[12:13]
	v_mul_f64 v[12:13], v[4:5], v[12:13]
	v_add_f64 v[169:170], v[169:170], 0
	v_add_f64 v[229:230], v[231:232], 0
	s_waitcnt vmcnt(9)
	v_mul_f64 v[231:232], v[180:181], v[16:17]
	v_mul_f64 v[16:17], v[182:183], v[16:17]
	v_fma_f64 v[233:234], v[4:5], v[10:11], v[233:234]
	v_fma_f64 v[235:236], v[2:3], v[10:11], -v[12:13]
	ds_load_b128 v[2:5], v1 offset:1344
	scratch_load_b128 v[10:13], off, off offset:592
	v_add_f64 v[169:170], v[169:170], v[38:39]
	v_add_f64 v[229:230], v[229:230], v[40:41]
	ds_load_b128 v[38:41], v1 offset:1360
	v_fma_f64 v[182:183], v[182:183], v[14:15], v[231:232]
	v_fma_f64 v[180:181], v[180:181], v[14:15], -v[16:17]
	scratch_load_b128 v[14:17], off, off offset:608
	s_waitcnt vmcnt(10) lgkmcnt(1)
	v_mul_f64 v[237:238], v[2:3], v[20:21]
	v_mul_f64 v[20:21], v[4:5], v[20:21]
	s_waitcnt vmcnt(9) lgkmcnt(0)
	v_mul_f64 v[231:232], v[38:39], v[24:25]
	v_mul_f64 v[24:25], v[40:41], v[24:25]
	v_add_f64 v[169:170], v[169:170], v[235:236]
	v_add_f64 v[229:230], v[229:230], v[233:234]
	v_fma_f64 v[233:234], v[4:5], v[18:19], v[237:238]
	v_fma_f64 v[235:236], v[2:3], v[18:19], -v[20:21]
	ds_load_b128 v[2:5], v1 offset:1376
	scratch_load_b128 v[18:21], off, off offset:624
	v_fma_f64 v[40:41], v[40:41], v[22:23], v[231:232]
	v_fma_f64 v[38:39], v[38:39], v[22:23], -v[24:25]
	scratch_load_b128 v[22:25], off, off offset:640
	v_add_f64 v[169:170], v[169:170], v[180:181]
	v_add_f64 v[229:230], v[229:230], v[182:183]
	ds_load_b128 v[180:183], v1 offset:1392
	s_waitcnt vmcnt(10) lgkmcnt(1)
	v_mul_f64 v[237:238], v[2:3], v[28:29]
	v_mul_f64 v[28:29], v[4:5], v[28:29]
	s_waitcnt vmcnt(9) lgkmcnt(0)
	v_mul_f64 v[231:232], v[180:181], v[32:33]
	v_mul_f64 v[32:33], v[182:183], v[32:33]
	v_add_f64 v[169:170], v[169:170], v[235:236]
	v_add_f64 v[229:230], v[229:230], v[233:234]
	v_fma_f64 v[233:234], v[4:5], v[26:27], v[237:238]
	v_fma_f64 v[235:236], v[2:3], v[26:27], -v[28:29]
	ds_load_b128 v[2:5], v1 offset:1408
	scratch_load_b128 v[26:29], off, off offset:656
	v_fma_f64 v[182:183], v[182:183], v[30:31], v[231:232]
	v_fma_f64 v[180:181], v[180:181], v[30:31], -v[32:33]
	scratch_load_b128 v[30:33], off, off offset:672
	v_add_f64 v[169:170], v[169:170], v[38:39]
	v_add_f64 v[229:230], v[229:230], v[40:41]
	ds_load_b128 v[38:41], v1 offset:1424
	s_waitcnt vmcnt(10) lgkmcnt(1)
	v_mul_f64 v[237:238], v[2:3], v[36:37]
	v_mul_f64 v[36:37], v[4:5], v[36:37]
	s_waitcnt vmcnt(8) lgkmcnt(0)
	v_mul_f64 v[231:232], v[38:39], v[178:179]
	v_add_f64 v[169:170], v[169:170], v[235:236]
	v_add_f64 v[229:230], v[229:230], v[233:234]
	v_mul_f64 v[233:234], v[40:41], v[178:179]
	v_fma_f64 v[235:236], v[4:5], v[34:35], v[237:238]
	v_fma_f64 v[237:238], v[2:3], v[34:35], -v[36:37]
	ds_load_b128 v[2:5], v1 offset:1440
	scratch_load_b128 v[34:37], off, off offset:688
	v_fma_f64 v[231:232], v[40:41], v[176:177], v[231:232]
	v_add_f64 v[169:170], v[169:170], v[180:181]
	v_add_f64 v[182:183], v[229:230], v[182:183]
	ds_load_b128 v[178:181], v1 offset:1456
	v_fma_f64 v[176:177], v[38:39], v[176:177], -v[233:234]
	scratch_load_b128 v[38:41], off, off offset:704
	s_waitcnt vmcnt(9) lgkmcnt(1)
	v_mul_f64 v[229:230], v[2:3], v[44:45]
	v_mul_f64 v[44:45], v[4:5], v[44:45]
	s_waitcnt vmcnt(8) lgkmcnt(0)
	v_mul_f64 v[233:234], v[178:179], v[8:9]
	v_mul_f64 v[8:9], v[180:181], v[8:9]
	v_add_f64 v[169:170], v[169:170], v[237:238]
	v_add_f64 v[182:183], v[182:183], v[235:236]
	v_fma_f64 v[235:236], v[4:5], v[42:43], v[229:230]
	v_fma_f64 v[237:238], v[2:3], v[42:43], -v[44:45]
	ds_load_b128 v[2:5], v1 offset:1472
	scratch_load_b128 v[42:45], off, off offset:720
	v_fma_f64 v[180:181], v[180:181], v[6:7], v[233:234]
	v_fma_f64 v[178:179], v[178:179], v[6:7], -v[8:9]
	scratch_load_b128 v[6:9], off, off offset:736
	v_add_f64 v[169:170], v[169:170], v[176:177]
	v_add_f64 v[176:177], v[182:183], v[231:232]
	ds_load_b128 v[229:232], v1 offset:1488
	s_waitcnt vmcnt(9) lgkmcnt(1)
	v_mul_f64 v[182:183], v[2:3], v[12:13]
	v_mul_f64 v[12:13], v[4:5], v[12:13]
	s_waitcnt vmcnt(8) lgkmcnt(0)
	v_mul_f64 v[233:234], v[229:230], v[16:17]
	v_mul_f64 v[16:17], v[231:232], v[16:17]
	v_add_f64 v[169:170], v[169:170], v[237:238]
	v_add_f64 v[176:177], v[176:177], v[235:236]
	v_fma_f64 v[182:183], v[4:5], v[10:11], v[182:183]
	v_fma_f64 v[235:236], v[2:3], v[10:11], -v[12:13]
	ds_load_b128 v[2:5], v1 offset:1504
	scratch_load_b128 v[10:13], off, off offset:752
	v_fma_f64 v[231:232], v[231:232], v[14:15], v[233:234]
	v_fma_f64 v[229:230], v[229:230], v[14:15], -v[16:17]
	scratch_load_b128 v[14:17], off, off offset:768
	v_add_f64 v[169:170], v[169:170], v[178:179]
	v_add_f64 v[180:181], v[176:177], v[180:181]
	ds_load_b128 v[176:179], v1 offset:1520
	;; [unrolled: 18-line block ×4, first 2 shown]
	s_waitcnt vmcnt(9) lgkmcnt(1)
	v_mul_f64 v[237:238], v[2:3], v[36:37]
	v_mul_f64 v[36:37], v[4:5], v[36:37]
	v_add_f64 v[169:170], v[169:170], v[235:236]
	v_add_f64 v[229:230], v[229:230], v[231:232]
	s_waitcnt vmcnt(8) lgkmcnt(0)
	v_mul_f64 v[231:232], v[176:177], v[40:41]
	v_mul_f64 v[40:41], v[178:179], v[40:41]
	v_fma_f64 v[233:234], v[4:5], v[34:35], v[237:238]
	v_fma_f64 v[235:236], v[2:3], v[34:35], -v[36:37]
	ds_load_b128 v[2:5], v1 offset:1600
	scratch_load_b128 v[34:37], off, off offset:848
	v_add_f64 v[169:170], v[169:170], v[180:181]
	v_add_f64 v[229:230], v[229:230], v[182:183]
	ds_load_b128 v[180:183], v1 offset:1616
	s_waitcnt vmcnt(8) lgkmcnt(1)
	v_mul_f64 v[237:238], v[2:3], v[44:45]
	v_mul_f64 v[44:45], v[4:5], v[44:45]
	v_fma_f64 v[178:179], v[178:179], v[38:39], v[231:232]
	v_fma_f64 v[176:177], v[176:177], v[38:39], -v[40:41]
	scratch_load_b128 v[38:41], off, off offset:864
	s_waitcnt vmcnt(8) lgkmcnt(0)
	v_mul_f64 v[231:232], v[180:181], v[8:9]
	v_mul_f64 v[8:9], v[182:183], v[8:9]
	v_add_f64 v[169:170], v[169:170], v[235:236]
	v_add_f64 v[229:230], v[229:230], v[233:234]
	v_fma_f64 v[233:234], v[4:5], v[42:43], v[237:238]
	v_fma_f64 v[235:236], v[2:3], v[42:43], -v[44:45]
	ds_load_b128 v[2:5], v1 offset:1632
	ds_load_b128 v[42:45], v1 offset:1648
	v_fma_f64 v[182:183], v[182:183], v[6:7], v[231:232]
	v_fma_f64 v[6:7], v[180:181], v[6:7], -v[8:9]
	v_add_f64 v[169:170], v[169:170], v[176:177]
	v_add_f64 v[176:177], v[229:230], v[178:179]
	s_waitcnt vmcnt(7) lgkmcnt(1)
	v_mul_f64 v[178:179], v[2:3], v[12:13]
	v_mul_f64 v[12:13], v[4:5], v[12:13]
	s_delay_alu instid0(VALU_DEP_4) | instskip(NEXT) | instid1(VALU_DEP_4)
	v_add_f64 v[8:9], v[169:170], v[235:236]
	v_add_f64 v[169:170], v[176:177], v[233:234]
	s_waitcnt vmcnt(6) lgkmcnt(0)
	v_mul_f64 v[176:177], v[42:43], v[16:17]
	v_mul_f64 v[16:17], v[44:45], v[16:17]
	v_fma_f64 v[178:179], v[4:5], v[10:11], v[178:179]
	v_fma_f64 v[10:11], v[2:3], v[10:11], -v[12:13]
	v_add_f64 v[12:13], v[8:9], v[6:7]
	v_add_f64 v[169:170], v[169:170], v[182:183]
	ds_load_b128 v[2:5], v1 offset:1664
	ds_load_b128 v[6:9], v1 offset:1680
	v_fma_f64 v[44:45], v[44:45], v[14:15], v[176:177]
	v_fma_f64 v[14:15], v[42:43], v[14:15], -v[16:17]
	s_waitcnt vmcnt(5) lgkmcnt(1)
	v_mul_f64 v[180:181], v[2:3], v[20:21]
	v_mul_f64 v[20:21], v[4:5], v[20:21]
	s_waitcnt vmcnt(4) lgkmcnt(0)
	v_mul_f64 v[16:17], v[6:7], v[24:25]
	v_mul_f64 v[24:25], v[8:9], v[24:25]
	v_add_f64 v[10:11], v[12:13], v[10:11]
	v_add_f64 v[12:13], v[169:170], v[178:179]
	v_fma_f64 v[42:43], v[4:5], v[18:19], v[180:181]
	v_fma_f64 v[18:19], v[2:3], v[18:19], -v[20:21]
	v_fma_f64 v[8:9], v[8:9], v[22:23], v[16:17]
	v_fma_f64 v[6:7], v[6:7], v[22:23], -v[24:25]
	v_add_f64 v[14:15], v[10:11], v[14:15]
	v_add_f64 v[20:21], v[12:13], v[44:45]
	ds_load_b128 v[2:5], v1 offset:1696
	ds_load_b128 v[10:13], v1 offset:1712
	s_waitcnt vmcnt(3) lgkmcnt(1)
	v_mul_f64 v[44:45], v[2:3], v[28:29]
	v_mul_f64 v[28:29], v[4:5], v[28:29]
	v_add_f64 v[14:15], v[14:15], v[18:19]
	v_add_f64 v[16:17], v[20:21], v[42:43]
	s_waitcnt vmcnt(2) lgkmcnt(0)
	v_mul_f64 v[18:19], v[10:11], v[32:33]
	v_mul_f64 v[20:21], v[12:13], v[32:33]
	v_fma_f64 v[22:23], v[4:5], v[26:27], v[44:45]
	v_fma_f64 v[24:25], v[2:3], v[26:27], -v[28:29]
	v_add_f64 v[14:15], v[14:15], v[6:7]
	v_add_f64 v[16:17], v[16:17], v[8:9]
	ds_load_b128 v[2:5], v1 offset:1728
	ds_load_b128 v[6:9], v1 offset:1744
	v_fma_f64 v[12:13], v[12:13], v[30:31], v[18:19]
	v_fma_f64 v[10:11], v[10:11], v[30:31], -v[20:21]
	s_waitcnt vmcnt(1) lgkmcnt(1)
	v_mul_f64 v[26:27], v[2:3], v[36:37]
	v_mul_f64 v[28:29], v[4:5], v[36:37]
	s_waitcnt vmcnt(0) lgkmcnt(0)
	v_mul_f64 v[18:19], v[6:7], v[40:41]
	v_mul_f64 v[20:21], v[8:9], v[40:41]
	v_add_f64 v[14:15], v[14:15], v[24:25]
	v_add_f64 v[16:17], v[16:17], v[22:23]
	v_fma_f64 v[4:5], v[4:5], v[34:35], v[26:27]
	v_fma_f64 v[1:2], v[2:3], v[34:35], -v[28:29]
	v_fma_f64 v[8:9], v[8:9], v[38:39], v[18:19]
	v_fma_f64 v[6:7], v[6:7], v[38:39], -v[20:21]
	v_add_f64 v[10:11], v[14:15], v[10:11]
	v_add_f64 v[12:13], v[16:17], v[12:13]
	s_delay_alu instid0(VALU_DEP_2) | instskip(NEXT) | instid1(VALU_DEP_2)
	v_add_f64 v[1:2], v[10:11], v[1:2]
	v_add_f64 v[3:4], v[12:13], v[4:5]
	s_delay_alu instid0(VALU_DEP_2) | instskip(NEXT) | instid1(VALU_DEP_2)
	v_add_f64 v[1:2], v[1:2], v[6:7]
	v_add_f64 v[3:4], v[3:4], v[8:9]
	s_delay_alu instid0(VALU_DEP_2) | instskip(NEXT) | instid1(VALU_DEP_2)
	v_add_f64 v[1:2], v[172:173], -v[1:2]
	v_add_f64 v[3:4], v[174:175], -v[3:4]
	scratch_store_b128 off, v[1:4], off offset:384
	v_cmpx_lt_u32_e32 23, v156
	s_cbranch_execz .LBB54_297
; %bb.296:
	scratch_load_b128 v[1:4], v188, off
	v_mov_b32_e32 v5, 0
	s_delay_alu instid0(VALU_DEP_1)
	v_mov_b32_e32 v6, v5
	v_mov_b32_e32 v7, v5
	;; [unrolled: 1-line block ×3, first 2 shown]
	scratch_store_b128 off, v[5:8], off offset:368
	s_waitcnt vmcnt(0)
	ds_store_b128 v211, v[1:4]
.LBB54_297:
	s_or_b32 exec_lo, exec_lo, s2
	s_waitcnt lgkmcnt(0)
	s_waitcnt_vscnt null, 0x0
	s_barrier
	buffer_gl0_inv
	s_clause 0x7
	scratch_load_b128 v[2:5], off, off offset:384
	scratch_load_b128 v[6:9], off, off offset:400
	;; [unrolled: 1-line block ×8, first 2 shown]
	v_mov_b32_e32 v1, 0
	s_mov_b32 s2, exec_lo
	ds_load_b128 v[38:41], v1 offset:1264
	s_clause 0x1
	scratch_load_b128 v[34:37], off, off offset:512
	scratch_load_b128 v[42:45], off, off offset:368
	ds_load_b128 v[172:175], v1 offset:1280
	scratch_load_b128 v[176:179], off, off offset:528
	ds_load_b128 v[180:183], v1 offset:1312
	s_waitcnt vmcnt(10) lgkmcnt(2)
	v_mul_f64 v[169:170], v[40:41], v[4:5]
	v_mul_f64 v[4:5], v[38:39], v[4:5]
	s_delay_alu instid0(VALU_DEP_2) | instskip(NEXT) | instid1(VALU_DEP_2)
	v_fma_f64 v[169:170], v[38:39], v[2:3], -v[169:170]
	v_fma_f64 v[231:232], v[40:41], v[2:3], v[4:5]
	ds_load_b128 v[2:5], v1 offset:1296
	s_waitcnt vmcnt(9) lgkmcnt(2)
	v_mul_f64 v[229:230], v[172:173], v[8:9]
	v_mul_f64 v[8:9], v[174:175], v[8:9]
	scratch_load_b128 v[38:41], off, off offset:544
	s_waitcnt vmcnt(9) lgkmcnt(0)
	v_mul_f64 v[233:234], v[2:3], v[12:13]
	v_mul_f64 v[12:13], v[4:5], v[12:13]
	v_add_f64 v[169:170], v[169:170], 0
	v_fma_f64 v[174:175], v[174:175], v[6:7], v[229:230]
	v_fma_f64 v[172:173], v[172:173], v[6:7], -v[8:9]
	v_add_f64 v[229:230], v[231:232], 0
	scratch_load_b128 v[6:9], off, off offset:560
	v_fma_f64 v[233:234], v[4:5], v[10:11], v[233:234]
	v_fma_f64 v[235:236], v[2:3], v[10:11], -v[12:13]
	scratch_load_b128 v[10:13], off, off offset:576
	ds_load_b128 v[2:5], v1 offset:1328
	s_waitcnt vmcnt(10)
	v_mul_f64 v[231:232], v[180:181], v[16:17]
	v_mul_f64 v[16:17], v[182:183], v[16:17]
	v_add_f64 v[169:170], v[169:170], v[172:173]
	v_add_f64 v[229:230], v[229:230], v[174:175]
	ds_load_b128 v[172:175], v1 offset:1344
	s_waitcnt vmcnt(9) lgkmcnt(1)
	v_mul_f64 v[237:238], v[2:3], v[20:21]
	v_mul_f64 v[20:21], v[4:5], v[20:21]
	v_fma_f64 v[182:183], v[182:183], v[14:15], v[231:232]
	v_fma_f64 v[180:181], v[180:181], v[14:15], -v[16:17]
	scratch_load_b128 v[14:17], off, off offset:592
	v_add_f64 v[169:170], v[169:170], v[235:236]
	v_add_f64 v[229:230], v[229:230], v[233:234]
	v_fma_f64 v[233:234], v[4:5], v[18:19], v[237:238]
	v_fma_f64 v[235:236], v[2:3], v[18:19], -v[20:21]
	scratch_load_b128 v[18:21], off, off offset:608
	ds_load_b128 v[2:5], v1 offset:1360
	s_waitcnt vmcnt(10) lgkmcnt(1)
	v_mul_f64 v[231:232], v[172:173], v[24:25]
	v_mul_f64 v[24:25], v[174:175], v[24:25]
	s_waitcnt vmcnt(9) lgkmcnt(0)
	v_mul_f64 v[237:238], v[2:3], v[28:29]
	v_mul_f64 v[28:29], v[4:5], v[28:29]
	v_add_f64 v[169:170], v[169:170], v[180:181]
	v_add_f64 v[229:230], v[229:230], v[182:183]
	ds_load_b128 v[180:183], v1 offset:1376
	v_fma_f64 v[174:175], v[174:175], v[22:23], v[231:232]
	v_fma_f64 v[172:173], v[172:173], v[22:23], -v[24:25]
	scratch_load_b128 v[22:25], off, off offset:624
	v_add_f64 v[169:170], v[169:170], v[235:236]
	v_add_f64 v[229:230], v[229:230], v[233:234]
	v_fma_f64 v[233:234], v[4:5], v[26:27], v[237:238]
	v_fma_f64 v[235:236], v[2:3], v[26:27], -v[28:29]
	scratch_load_b128 v[26:29], off, off offset:640
	ds_load_b128 v[2:5], v1 offset:1392
	s_waitcnt vmcnt(10) lgkmcnt(1)
	v_mul_f64 v[231:232], v[180:181], v[32:33]
	v_mul_f64 v[32:33], v[182:183], v[32:33]
	s_waitcnt vmcnt(9) lgkmcnt(0)
	v_mul_f64 v[237:238], v[2:3], v[36:37]
	v_mul_f64 v[36:37], v[4:5], v[36:37]
	v_add_f64 v[169:170], v[169:170], v[172:173]
	v_add_f64 v[229:230], v[229:230], v[174:175]
	ds_load_b128 v[172:175], v1 offset:1408
	v_fma_f64 v[182:183], v[182:183], v[30:31], v[231:232]
	v_fma_f64 v[180:181], v[180:181], v[30:31], -v[32:33]
	scratch_load_b128 v[30:33], off, off offset:656
	v_add_f64 v[169:170], v[169:170], v[235:236]
	v_add_f64 v[229:230], v[229:230], v[233:234]
	v_fma_f64 v[235:236], v[4:5], v[34:35], v[237:238]
	v_fma_f64 v[237:238], v[2:3], v[34:35], -v[36:37]
	scratch_load_b128 v[34:37], off, off offset:672
	ds_load_b128 v[2:5], v1 offset:1424
	s_waitcnt vmcnt(9) lgkmcnt(1)
	v_mul_f64 v[231:232], v[172:173], v[178:179]
	v_mul_f64 v[233:234], v[174:175], v[178:179]
	v_add_f64 v[169:170], v[169:170], v[180:181]
	v_add_f64 v[182:183], v[229:230], v[182:183]
	ds_load_b128 v[178:181], v1 offset:1440
	v_fma_f64 v[231:232], v[174:175], v[176:177], v[231:232]
	v_fma_f64 v[176:177], v[172:173], v[176:177], -v[233:234]
	scratch_load_b128 v[172:175], off, off offset:688
	s_waitcnt vmcnt(9) lgkmcnt(1)
	v_mul_f64 v[229:230], v[2:3], v[40:41]
	v_mul_f64 v[40:41], v[4:5], v[40:41]
	v_add_f64 v[169:170], v[169:170], v[237:238]
	v_add_f64 v[182:183], v[182:183], v[235:236]
	s_delay_alu instid0(VALU_DEP_4) | instskip(NEXT) | instid1(VALU_DEP_4)
	v_fma_f64 v[235:236], v[4:5], v[38:39], v[229:230]
	v_fma_f64 v[237:238], v[2:3], v[38:39], -v[40:41]
	scratch_load_b128 v[38:41], off, off offset:704
	ds_load_b128 v[2:5], v1 offset:1456
	s_waitcnt vmcnt(9) lgkmcnt(1)
	v_mul_f64 v[233:234], v[178:179], v[8:9]
	v_mul_f64 v[8:9], v[180:181], v[8:9]
	v_add_f64 v[169:170], v[169:170], v[176:177]
	v_add_f64 v[176:177], v[182:183], v[231:232]
	s_waitcnt vmcnt(8) lgkmcnt(0)
	v_mul_f64 v[182:183], v[2:3], v[12:13]
	v_mul_f64 v[12:13], v[4:5], v[12:13]
	ds_load_b128 v[229:232], v1 offset:1472
	v_fma_f64 v[180:181], v[180:181], v[6:7], v[233:234]
	v_fma_f64 v[178:179], v[178:179], v[6:7], -v[8:9]
	scratch_load_b128 v[6:9], off, off offset:720
	v_add_f64 v[169:170], v[169:170], v[237:238]
	v_add_f64 v[176:177], v[176:177], v[235:236]
	v_fma_f64 v[182:183], v[4:5], v[10:11], v[182:183]
	v_fma_f64 v[235:236], v[2:3], v[10:11], -v[12:13]
	scratch_load_b128 v[10:13], off, off offset:736
	ds_load_b128 v[2:5], v1 offset:1488
	s_waitcnt vmcnt(9) lgkmcnt(1)
	v_mul_f64 v[233:234], v[229:230], v[16:17]
	v_mul_f64 v[16:17], v[231:232], v[16:17]
	s_waitcnt vmcnt(8) lgkmcnt(0)
	v_mul_f64 v[237:238], v[2:3], v[20:21]
	v_mul_f64 v[20:21], v[4:5], v[20:21]
	v_add_f64 v[169:170], v[169:170], v[178:179]
	v_add_f64 v[180:181], v[176:177], v[180:181]
	ds_load_b128 v[176:179], v1 offset:1504
	v_fma_f64 v[231:232], v[231:232], v[14:15], v[233:234]
	v_fma_f64 v[229:230], v[229:230], v[14:15], -v[16:17]
	scratch_load_b128 v[14:17], off, off offset:752
	v_add_f64 v[169:170], v[169:170], v[235:236]
	v_add_f64 v[180:181], v[180:181], v[182:183]
	v_fma_f64 v[235:236], v[4:5], v[18:19], v[237:238]
	v_fma_f64 v[237:238], v[2:3], v[18:19], -v[20:21]
	scratch_load_b128 v[18:21], off, off offset:768
	ds_load_b128 v[2:5], v1 offset:1520
	s_waitcnt vmcnt(9) lgkmcnt(1)
	v_mul_f64 v[233:234], v[176:177], v[24:25]
	v_mul_f64 v[24:25], v[178:179], v[24:25]
	v_add_f64 v[169:170], v[169:170], v[229:230]
	v_add_f64 v[229:230], v[180:181], v[231:232]
	s_waitcnt vmcnt(8) lgkmcnt(0)
	v_mul_f64 v[231:232], v[2:3], v[28:29]
	v_mul_f64 v[28:29], v[4:5], v[28:29]
	ds_load_b128 v[180:183], v1 offset:1536
	v_fma_f64 v[178:179], v[178:179], v[22:23], v[233:234]
	v_fma_f64 v[176:177], v[176:177], v[22:23], -v[24:25]
	scratch_load_b128 v[22:25], off, off offset:784
	v_add_f64 v[169:170], v[169:170], v[237:238]
	v_add_f64 v[229:230], v[229:230], v[235:236]
	v_fma_f64 v[231:232], v[4:5], v[26:27], v[231:232]
	v_fma_f64 v[235:236], v[2:3], v[26:27], -v[28:29]
	scratch_load_b128 v[26:29], off, off offset:800
	ds_load_b128 v[2:5], v1 offset:1552
	s_waitcnt vmcnt(9) lgkmcnt(1)
	v_mul_f64 v[233:234], v[180:181], v[32:33]
	v_mul_f64 v[32:33], v[182:183], v[32:33]
	s_waitcnt vmcnt(8) lgkmcnt(0)
	v_mul_f64 v[237:238], v[2:3], v[36:37]
	v_mul_f64 v[36:37], v[4:5], v[36:37]
	v_add_f64 v[169:170], v[169:170], v[176:177]
	v_add_f64 v[229:230], v[229:230], v[178:179]
	ds_load_b128 v[176:179], v1 offset:1568
	v_fma_f64 v[182:183], v[182:183], v[30:31], v[233:234]
	v_fma_f64 v[180:181], v[180:181], v[30:31], -v[32:33]
	scratch_load_b128 v[30:33], off, off offset:816
	v_fma_f64 v[233:234], v[4:5], v[34:35], v[237:238]
	v_add_f64 v[169:170], v[169:170], v[235:236]
	v_add_f64 v[229:230], v[229:230], v[231:232]
	v_fma_f64 v[235:236], v[2:3], v[34:35], -v[36:37]
	scratch_load_b128 v[34:37], off, off offset:832
	ds_load_b128 v[2:5], v1 offset:1584
	s_waitcnt vmcnt(9) lgkmcnt(1)
	v_mul_f64 v[231:232], v[176:177], v[174:175]
	v_mul_f64 v[174:175], v[178:179], v[174:175]
	s_waitcnt vmcnt(8) lgkmcnt(0)
	v_mul_f64 v[237:238], v[2:3], v[40:41]
	v_mul_f64 v[40:41], v[4:5], v[40:41]
	v_add_f64 v[169:170], v[169:170], v[180:181]
	v_add_f64 v[229:230], v[229:230], v[182:183]
	ds_load_b128 v[180:183], v1 offset:1600
	v_fma_f64 v[178:179], v[178:179], v[172:173], v[231:232]
	v_fma_f64 v[176:177], v[176:177], v[172:173], -v[174:175]
	scratch_load_b128 v[172:175], off, off offset:848
	v_add_f64 v[169:170], v[169:170], v[235:236]
	v_add_f64 v[229:230], v[229:230], v[233:234]
	v_fma_f64 v[233:234], v[4:5], v[38:39], v[237:238]
	v_fma_f64 v[235:236], v[2:3], v[38:39], -v[40:41]
	scratch_load_b128 v[38:41], off, off offset:864
	ds_load_b128 v[2:5], v1 offset:1616
	s_waitcnt vmcnt(9) lgkmcnt(1)
	v_mul_f64 v[231:232], v[180:181], v[8:9]
	v_mul_f64 v[8:9], v[182:183], v[8:9]
	s_waitcnt vmcnt(8) lgkmcnt(0)
	v_mul_f64 v[237:238], v[2:3], v[12:13]
	v_mul_f64 v[12:13], v[4:5], v[12:13]
	v_add_f64 v[169:170], v[169:170], v[176:177]
	v_add_f64 v[229:230], v[229:230], v[178:179]
	ds_load_b128 v[176:179], v1 offset:1632
	v_fma_f64 v[182:183], v[182:183], v[6:7], v[231:232]
	v_fma_f64 v[6:7], v[180:181], v[6:7], -v[8:9]
	s_waitcnt vmcnt(7) lgkmcnt(0)
	v_mul_f64 v[180:181], v[176:177], v[16:17]
	v_mul_f64 v[16:17], v[178:179], v[16:17]
	v_add_f64 v[8:9], v[169:170], v[235:236]
	v_add_f64 v[169:170], v[229:230], v[233:234]
	v_fma_f64 v[229:230], v[4:5], v[10:11], v[237:238]
	v_fma_f64 v[10:11], v[2:3], v[10:11], -v[12:13]
	v_fma_f64 v[178:179], v[178:179], v[14:15], v[180:181]
	v_fma_f64 v[14:15], v[176:177], v[14:15], -v[16:17]
	v_add_f64 v[12:13], v[8:9], v[6:7]
	v_add_f64 v[169:170], v[169:170], v[182:183]
	ds_load_b128 v[2:5], v1 offset:1648
	ds_load_b128 v[6:9], v1 offset:1664
	s_waitcnt vmcnt(6) lgkmcnt(1)
	v_mul_f64 v[182:183], v[2:3], v[20:21]
	v_mul_f64 v[20:21], v[4:5], v[20:21]
	s_waitcnt vmcnt(5) lgkmcnt(0)
	v_mul_f64 v[16:17], v[6:7], v[24:25]
	v_mul_f64 v[24:25], v[8:9], v[24:25]
	v_add_f64 v[10:11], v[12:13], v[10:11]
	v_add_f64 v[12:13], v[169:170], v[229:230]
	v_fma_f64 v[169:170], v[4:5], v[18:19], v[182:183]
	v_fma_f64 v[18:19], v[2:3], v[18:19], -v[20:21]
	v_fma_f64 v[8:9], v[8:9], v[22:23], v[16:17]
	v_fma_f64 v[6:7], v[6:7], v[22:23], -v[24:25]
	v_add_f64 v[14:15], v[10:11], v[14:15]
	v_add_f64 v[20:21], v[12:13], v[178:179]
	ds_load_b128 v[2:5], v1 offset:1680
	ds_load_b128 v[10:13], v1 offset:1696
	s_waitcnt vmcnt(4) lgkmcnt(1)
	v_mul_f64 v[176:177], v[2:3], v[28:29]
	v_mul_f64 v[28:29], v[4:5], v[28:29]
	v_add_f64 v[14:15], v[14:15], v[18:19]
	v_add_f64 v[16:17], v[20:21], v[169:170]
	s_waitcnt vmcnt(3) lgkmcnt(0)
	v_mul_f64 v[18:19], v[10:11], v[32:33]
	v_mul_f64 v[20:21], v[12:13], v[32:33]
	v_fma_f64 v[22:23], v[4:5], v[26:27], v[176:177]
	v_fma_f64 v[24:25], v[2:3], v[26:27], -v[28:29]
	v_add_f64 v[14:15], v[14:15], v[6:7]
	v_add_f64 v[16:17], v[16:17], v[8:9]
	ds_load_b128 v[2:5], v1 offset:1712
	ds_load_b128 v[6:9], v1 offset:1728
	v_fma_f64 v[12:13], v[12:13], v[30:31], v[18:19]
	v_fma_f64 v[10:11], v[10:11], v[30:31], -v[20:21]
	s_waitcnt vmcnt(2) lgkmcnt(1)
	v_mul_f64 v[26:27], v[2:3], v[36:37]
	v_mul_f64 v[28:29], v[4:5], v[36:37]
	s_waitcnt vmcnt(1) lgkmcnt(0)
	v_mul_f64 v[18:19], v[6:7], v[174:175]
	v_mul_f64 v[20:21], v[8:9], v[174:175]
	v_add_f64 v[14:15], v[14:15], v[24:25]
	v_add_f64 v[16:17], v[16:17], v[22:23]
	v_fma_f64 v[22:23], v[4:5], v[34:35], v[26:27]
	v_fma_f64 v[24:25], v[2:3], v[34:35], -v[28:29]
	ds_load_b128 v[2:5], v1 offset:1744
	v_fma_f64 v[8:9], v[8:9], v[172:173], v[18:19]
	v_fma_f64 v[6:7], v[6:7], v[172:173], -v[20:21]
	v_add_f64 v[10:11], v[14:15], v[10:11]
	v_add_f64 v[12:13], v[16:17], v[12:13]
	s_waitcnt vmcnt(0) lgkmcnt(0)
	v_mul_f64 v[14:15], v[2:3], v[40:41]
	v_mul_f64 v[16:17], v[4:5], v[40:41]
	s_delay_alu instid0(VALU_DEP_4) | instskip(NEXT) | instid1(VALU_DEP_4)
	v_add_f64 v[10:11], v[10:11], v[24:25]
	v_add_f64 v[12:13], v[12:13], v[22:23]
	s_delay_alu instid0(VALU_DEP_4) | instskip(NEXT) | instid1(VALU_DEP_4)
	v_fma_f64 v[4:5], v[4:5], v[38:39], v[14:15]
	v_fma_f64 v[2:3], v[2:3], v[38:39], -v[16:17]
	s_delay_alu instid0(VALU_DEP_4) | instskip(NEXT) | instid1(VALU_DEP_4)
	v_add_f64 v[6:7], v[10:11], v[6:7]
	v_add_f64 v[8:9], v[12:13], v[8:9]
	s_delay_alu instid0(VALU_DEP_2) | instskip(NEXT) | instid1(VALU_DEP_2)
	v_add_f64 v[2:3], v[6:7], v[2:3]
	v_add_f64 v[4:5], v[8:9], v[4:5]
	s_delay_alu instid0(VALU_DEP_2) | instskip(NEXT) | instid1(VALU_DEP_2)
	v_add_f64 v[2:3], v[42:43], -v[2:3]
	v_add_f64 v[4:5], v[44:45], -v[4:5]
	scratch_store_b128 off, v[2:5], off offset:368
	v_cmpx_lt_u32_e32 22, v156
	s_cbranch_execz .LBB54_299
; %bb.298:
	scratch_load_b128 v[5:8], v189, off
	v_mov_b32_e32 v2, v1
	v_mov_b32_e32 v3, v1
	v_mov_b32_e32 v4, v1
	scratch_store_b128 off, v[1:4], off offset:352
	s_waitcnt vmcnt(0)
	ds_store_b128 v211, v[5:8]
.LBB54_299:
	s_or_b32 exec_lo, exec_lo, s2
	s_waitcnt lgkmcnt(0)
	s_waitcnt_vscnt null, 0x0
	s_barrier
	buffer_gl0_inv
	s_clause 0x8
	scratch_load_b128 v[2:5], off, off offset:368
	scratch_load_b128 v[6:9], off, off offset:384
	;; [unrolled: 1-line block ×9, first 2 shown]
	ds_load_b128 v[42:45], v1 offset:1248
	ds_load_b128 v[38:41], v1 offset:1264
	s_clause 0x1
	scratch_load_b128 v[172:175], off, off offset:352
	scratch_load_b128 v[176:179], off, off offset:512
	s_mov_b32 s2, exec_lo
	ds_load_b128 v[180:183], v1 offset:1296
	s_waitcnt vmcnt(10) lgkmcnt(2)
	v_mul_f64 v[169:170], v[44:45], v[4:5]
	v_mul_f64 v[4:5], v[42:43], v[4:5]
	s_waitcnt vmcnt(9) lgkmcnt(1)
	v_mul_f64 v[229:230], v[38:39], v[8:9]
	v_mul_f64 v[8:9], v[40:41], v[8:9]
	s_delay_alu instid0(VALU_DEP_4) | instskip(NEXT) | instid1(VALU_DEP_4)
	v_fma_f64 v[169:170], v[42:43], v[2:3], -v[169:170]
	v_fma_f64 v[231:232], v[44:45], v[2:3], v[4:5]
	ds_load_b128 v[2:5], v1 offset:1280
	scratch_load_b128 v[42:45], off, off offset:528
	v_fma_f64 v[40:41], v[40:41], v[6:7], v[229:230]
	v_fma_f64 v[38:39], v[38:39], v[6:7], -v[8:9]
	scratch_load_b128 v[6:9], off, off offset:544
	s_waitcnt vmcnt(10) lgkmcnt(0)
	v_mul_f64 v[233:234], v[2:3], v[12:13]
	v_mul_f64 v[12:13], v[4:5], v[12:13]
	v_add_f64 v[169:170], v[169:170], 0
	v_add_f64 v[229:230], v[231:232], 0
	s_waitcnt vmcnt(9)
	v_mul_f64 v[231:232], v[180:181], v[16:17]
	v_mul_f64 v[16:17], v[182:183], v[16:17]
	v_fma_f64 v[233:234], v[4:5], v[10:11], v[233:234]
	v_fma_f64 v[235:236], v[2:3], v[10:11], -v[12:13]
	ds_load_b128 v[2:5], v1 offset:1312
	scratch_load_b128 v[10:13], off, off offset:560
	v_add_f64 v[169:170], v[169:170], v[38:39]
	v_add_f64 v[229:230], v[229:230], v[40:41]
	ds_load_b128 v[38:41], v1 offset:1328
	v_fma_f64 v[182:183], v[182:183], v[14:15], v[231:232]
	v_fma_f64 v[180:181], v[180:181], v[14:15], -v[16:17]
	scratch_load_b128 v[14:17], off, off offset:576
	s_waitcnt vmcnt(10) lgkmcnt(1)
	v_mul_f64 v[237:238], v[2:3], v[20:21]
	v_mul_f64 v[20:21], v[4:5], v[20:21]
	s_waitcnt vmcnt(9) lgkmcnt(0)
	v_mul_f64 v[231:232], v[38:39], v[24:25]
	v_mul_f64 v[24:25], v[40:41], v[24:25]
	v_add_f64 v[169:170], v[169:170], v[235:236]
	v_add_f64 v[229:230], v[229:230], v[233:234]
	v_fma_f64 v[233:234], v[4:5], v[18:19], v[237:238]
	v_fma_f64 v[235:236], v[2:3], v[18:19], -v[20:21]
	ds_load_b128 v[2:5], v1 offset:1344
	scratch_load_b128 v[18:21], off, off offset:592
	v_fma_f64 v[40:41], v[40:41], v[22:23], v[231:232]
	v_fma_f64 v[38:39], v[38:39], v[22:23], -v[24:25]
	scratch_load_b128 v[22:25], off, off offset:608
	v_add_f64 v[169:170], v[169:170], v[180:181]
	v_add_f64 v[229:230], v[229:230], v[182:183]
	ds_load_b128 v[180:183], v1 offset:1360
	s_waitcnt vmcnt(10) lgkmcnt(1)
	v_mul_f64 v[237:238], v[2:3], v[28:29]
	v_mul_f64 v[28:29], v[4:5], v[28:29]
	s_waitcnt vmcnt(9) lgkmcnt(0)
	v_mul_f64 v[231:232], v[180:181], v[32:33]
	v_mul_f64 v[32:33], v[182:183], v[32:33]
	v_add_f64 v[169:170], v[169:170], v[235:236]
	v_add_f64 v[229:230], v[229:230], v[233:234]
	v_fma_f64 v[233:234], v[4:5], v[26:27], v[237:238]
	v_fma_f64 v[235:236], v[2:3], v[26:27], -v[28:29]
	ds_load_b128 v[2:5], v1 offset:1376
	scratch_load_b128 v[26:29], off, off offset:624
	v_fma_f64 v[182:183], v[182:183], v[30:31], v[231:232]
	v_fma_f64 v[180:181], v[180:181], v[30:31], -v[32:33]
	scratch_load_b128 v[30:33], off, off offset:640
	v_add_f64 v[169:170], v[169:170], v[38:39]
	v_add_f64 v[229:230], v[229:230], v[40:41]
	ds_load_b128 v[38:41], v1 offset:1392
	s_waitcnt vmcnt(10) lgkmcnt(1)
	v_mul_f64 v[237:238], v[2:3], v[36:37]
	v_mul_f64 v[36:37], v[4:5], v[36:37]
	s_waitcnt vmcnt(8) lgkmcnt(0)
	v_mul_f64 v[231:232], v[38:39], v[178:179]
	v_add_f64 v[169:170], v[169:170], v[235:236]
	v_add_f64 v[229:230], v[229:230], v[233:234]
	v_mul_f64 v[233:234], v[40:41], v[178:179]
	v_fma_f64 v[235:236], v[4:5], v[34:35], v[237:238]
	v_fma_f64 v[237:238], v[2:3], v[34:35], -v[36:37]
	ds_load_b128 v[2:5], v1 offset:1408
	scratch_load_b128 v[34:37], off, off offset:656
	v_fma_f64 v[231:232], v[40:41], v[176:177], v[231:232]
	v_add_f64 v[169:170], v[169:170], v[180:181]
	v_add_f64 v[182:183], v[229:230], v[182:183]
	ds_load_b128 v[178:181], v1 offset:1424
	v_fma_f64 v[176:177], v[38:39], v[176:177], -v[233:234]
	scratch_load_b128 v[38:41], off, off offset:672
	s_waitcnt vmcnt(9) lgkmcnt(1)
	v_mul_f64 v[229:230], v[2:3], v[44:45]
	v_mul_f64 v[44:45], v[4:5], v[44:45]
	s_waitcnt vmcnt(8) lgkmcnt(0)
	v_mul_f64 v[233:234], v[178:179], v[8:9]
	v_mul_f64 v[8:9], v[180:181], v[8:9]
	v_add_f64 v[169:170], v[169:170], v[237:238]
	v_add_f64 v[182:183], v[182:183], v[235:236]
	v_fma_f64 v[235:236], v[4:5], v[42:43], v[229:230]
	v_fma_f64 v[237:238], v[2:3], v[42:43], -v[44:45]
	ds_load_b128 v[2:5], v1 offset:1440
	scratch_load_b128 v[42:45], off, off offset:688
	v_fma_f64 v[180:181], v[180:181], v[6:7], v[233:234]
	v_fma_f64 v[178:179], v[178:179], v[6:7], -v[8:9]
	scratch_load_b128 v[6:9], off, off offset:704
	v_add_f64 v[169:170], v[169:170], v[176:177]
	v_add_f64 v[176:177], v[182:183], v[231:232]
	ds_load_b128 v[229:232], v1 offset:1456
	s_waitcnt vmcnt(9) lgkmcnt(1)
	v_mul_f64 v[182:183], v[2:3], v[12:13]
	v_mul_f64 v[12:13], v[4:5], v[12:13]
	s_waitcnt vmcnt(8) lgkmcnt(0)
	v_mul_f64 v[233:234], v[229:230], v[16:17]
	v_mul_f64 v[16:17], v[231:232], v[16:17]
	v_add_f64 v[169:170], v[169:170], v[237:238]
	v_add_f64 v[176:177], v[176:177], v[235:236]
	v_fma_f64 v[182:183], v[4:5], v[10:11], v[182:183]
	v_fma_f64 v[235:236], v[2:3], v[10:11], -v[12:13]
	ds_load_b128 v[2:5], v1 offset:1472
	scratch_load_b128 v[10:13], off, off offset:720
	v_fma_f64 v[231:232], v[231:232], v[14:15], v[233:234]
	v_fma_f64 v[229:230], v[229:230], v[14:15], -v[16:17]
	scratch_load_b128 v[14:17], off, off offset:736
	v_add_f64 v[169:170], v[169:170], v[178:179]
	v_add_f64 v[180:181], v[176:177], v[180:181]
	ds_load_b128 v[176:179], v1 offset:1488
	;; [unrolled: 18-line block ×4, first 2 shown]
	s_waitcnt vmcnt(9) lgkmcnt(1)
	v_mul_f64 v[237:238], v[2:3], v[36:37]
	v_mul_f64 v[36:37], v[4:5], v[36:37]
	v_add_f64 v[169:170], v[169:170], v[235:236]
	v_add_f64 v[229:230], v[229:230], v[231:232]
	s_waitcnt vmcnt(8) lgkmcnt(0)
	v_mul_f64 v[231:232], v[176:177], v[40:41]
	v_mul_f64 v[40:41], v[178:179], v[40:41]
	v_fma_f64 v[233:234], v[4:5], v[34:35], v[237:238]
	v_fma_f64 v[235:236], v[2:3], v[34:35], -v[36:37]
	ds_load_b128 v[2:5], v1 offset:1568
	scratch_load_b128 v[34:37], off, off offset:816
	v_add_f64 v[169:170], v[169:170], v[180:181]
	v_add_f64 v[229:230], v[229:230], v[182:183]
	ds_load_b128 v[180:183], v1 offset:1584
	s_waitcnt vmcnt(8) lgkmcnt(1)
	v_mul_f64 v[237:238], v[2:3], v[44:45]
	v_mul_f64 v[44:45], v[4:5], v[44:45]
	v_fma_f64 v[178:179], v[178:179], v[38:39], v[231:232]
	v_fma_f64 v[176:177], v[176:177], v[38:39], -v[40:41]
	scratch_load_b128 v[38:41], off, off offset:832
	s_waitcnt vmcnt(8) lgkmcnt(0)
	v_mul_f64 v[231:232], v[180:181], v[8:9]
	v_mul_f64 v[8:9], v[182:183], v[8:9]
	v_add_f64 v[169:170], v[169:170], v[235:236]
	v_add_f64 v[229:230], v[229:230], v[233:234]
	v_fma_f64 v[233:234], v[4:5], v[42:43], v[237:238]
	v_fma_f64 v[235:236], v[2:3], v[42:43], -v[44:45]
	ds_load_b128 v[2:5], v1 offset:1600
	scratch_load_b128 v[42:45], off, off offset:848
	v_fma_f64 v[182:183], v[182:183], v[6:7], v[231:232]
	v_fma_f64 v[180:181], v[180:181], v[6:7], -v[8:9]
	scratch_load_b128 v[6:9], off, off offset:864
	v_add_f64 v[169:170], v[169:170], v[176:177]
	v_add_f64 v[229:230], v[229:230], v[178:179]
	ds_load_b128 v[176:179], v1 offset:1616
	s_waitcnt vmcnt(9) lgkmcnt(1)
	v_mul_f64 v[237:238], v[2:3], v[12:13]
	v_mul_f64 v[12:13], v[4:5], v[12:13]
	s_waitcnt vmcnt(8) lgkmcnt(0)
	v_mul_f64 v[231:232], v[176:177], v[16:17]
	v_mul_f64 v[16:17], v[178:179], v[16:17]
	v_add_f64 v[169:170], v[169:170], v[235:236]
	v_add_f64 v[229:230], v[229:230], v[233:234]
	v_fma_f64 v[233:234], v[4:5], v[10:11], v[237:238]
	v_fma_f64 v[235:236], v[2:3], v[10:11], -v[12:13]
	ds_load_b128 v[2:5], v1 offset:1632
	ds_load_b128 v[10:13], v1 offset:1648
	v_fma_f64 v[178:179], v[178:179], v[14:15], v[231:232]
	v_fma_f64 v[14:15], v[176:177], v[14:15], -v[16:17]
	v_add_f64 v[169:170], v[169:170], v[180:181]
	v_add_f64 v[180:181], v[229:230], v[182:183]
	s_waitcnt vmcnt(7) lgkmcnt(1)
	v_mul_f64 v[182:183], v[2:3], v[20:21]
	v_mul_f64 v[20:21], v[4:5], v[20:21]
	s_waitcnt vmcnt(6) lgkmcnt(0)
	v_mul_f64 v[176:177], v[10:11], v[24:25]
	v_mul_f64 v[24:25], v[12:13], v[24:25]
	v_add_f64 v[16:17], v[169:170], v[235:236]
	v_add_f64 v[169:170], v[180:181], v[233:234]
	v_fma_f64 v[180:181], v[4:5], v[18:19], v[182:183]
	v_fma_f64 v[18:19], v[2:3], v[18:19], -v[20:21]
	v_fma_f64 v[12:13], v[12:13], v[22:23], v[176:177]
	v_fma_f64 v[10:11], v[10:11], v[22:23], -v[24:25]
	v_add_f64 v[20:21], v[16:17], v[14:15]
	v_add_f64 v[169:170], v[169:170], v[178:179]
	ds_load_b128 v[2:5], v1 offset:1664
	ds_load_b128 v[14:17], v1 offset:1680
	s_waitcnt vmcnt(5) lgkmcnt(1)
	v_mul_f64 v[178:179], v[2:3], v[28:29]
	v_mul_f64 v[28:29], v[4:5], v[28:29]
	s_waitcnt vmcnt(4) lgkmcnt(0)
	v_mul_f64 v[22:23], v[14:15], v[32:33]
	v_mul_f64 v[24:25], v[16:17], v[32:33]
	v_add_f64 v[18:19], v[20:21], v[18:19]
	v_add_f64 v[20:21], v[169:170], v[180:181]
	v_fma_f64 v[32:33], v[4:5], v[26:27], v[178:179]
	v_fma_f64 v[26:27], v[2:3], v[26:27], -v[28:29]
	v_fma_f64 v[16:17], v[16:17], v[30:31], v[22:23]
	v_fma_f64 v[14:15], v[14:15], v[30:31], -v[24:25]
	v_add_f64 v[18:19], v[18:19], v[10:11]
	v_add_f64 v[20:21], v[20:21], v[12:13]
	ds_load_b128 v[2:5], v1 offset:1696
	ds_load_b128 v[10:13], v1 offset:1712
	;; [unrolled: 16-line block ×3, first 2 shown]
	s_waitcnt vmcnt(1) lgkmcnt(1)
	v_mul_f64 v[30:31], v[2:3], v[44:45]
	v_mul_f64 v[32:33], v[4:5], v[44:45]
	s_waitcnt vmcnt(0) lgkmcnt(0)
	v_mul_f64 v[22:23], v[14:15], v[8:9]
	v_mul_f64 v[8:9], v[16:17], v[8:9]
	v_add_f64 v[18:19], v[18:19], v[28:29]
	v_add_f64 v[20:21], v[20:21], v[26:27]
	v_fma_f64 v[4:5], v[4:5], v[42:43], v[30:31]
	v_fma_f64 v[1:2], v[2:3], v[42:43], -v[32:33]
	v_fma_f64 v[16:17], v[16:17], v[6:7], v[22:23]
	v_fma_f64 v[6:7], v[14:15], v[6:7], -v[8:9]
	v_add_f64 v[10:11], v[18:19], v[10:11]
	v_add_f64 v[12:13], v[20:21], v[12:13]
	s_delay_alu instid0(VALU_DEP_2) | instskip(NEXT) | instid1(VALU_DEP_2)
	v_add_f64 v[1:2], v[10:11], v[1:2]
	v_add_f64 v[3:4], v[12:13], v[4:5]
	s_delay_alu instid0(VALU_DEP_2) | instskip(NEXT) | instid1(VALU_DEP_2)
	;; [unrolled: 3-line block ×3, first 2 shown]
	v_add_f64 v[1:2], v[172:173], -v[1:2]
	v_add_f64 v[3:4], v[174:175], -v[3:4]
	scratch_store_b128 off, v[1:4], off offset:352
	v_cmpx_lt_u32_e32 21, v156
	s_cbranch_execz .LBB54_301
; %bb.300:
	scratch_load_b128 v[1:4], v190, off
	v_mov_b32_e32 v5, 0
	s_delay_alu instid0(VALU_DEP_1)
	v_mov_b32_e32 v6, v5
	v_mov_b32_e32 v7, v5
	;; [unrolled: 1-line block ×3, first 2 shown]
	scratch_store_b128 off, v[5:8], off offset:336
	s_waitcnt vmcnt(0)
	ds_store_b128 v211, v[1:4]
.LBB54_301:
	s_or_b32 exec_lo, exec_lo, s2
	s_waitcnt lgkmcnt(0)
	s_waitcnt_vscnt null, 0x0
	s_barrier
	buffer_gl0_inv
	s_clause 0x7
	scratch_load_b128 v[2:5], off, off offset:352
	scratch_load_b128 v[6:9], off, off offset:368
	;; [unrolled: 1-line block ×8, first 2 shown]
	v_mov_b32_e32 v1, 0
	s_mov_b32 s2, exec_lo
	ds_load_b128 v[38:41], v1 offset:1232
	s_clause 0x1
	scratch_load_b128 v[34:37], off, off offset:480
	scratch_load_b128 v[42:45], off, off offset:336
	ds_load_b128 v[172:175], v1 offset:1248
	scratch_load_b128 v[176:179], off, off offset:496
	ds_load_b128 v[180:183], v1 offset:1280
	s_waitcnt vmcnt(10) lgkmcnt(2)
	v_mul_f64 v[169:170], v[40:41], v[4:5]
	v_mul_f64 v[4:5], v[38:39], v[4:5]
	s_delay_alu instid0(VALU_DEP_2) | instskip(NEXT) | instid1(VALU_DEP_2)
	v_fma_f64 v[169:170], v[38:39], v[2:3], -v[169:170]
	v_fma_f64 v[231:232], v[40:41], v[2:3], v[4:5]
	ds_load_b128 v[2:5], v1 offset:1264
	s_waitcnt vmcnt(9) lgkmcnt(2)
	v_mul_f64 v[229:230], v[172:173], v[8:9]
	v_mul_f64 v[8:9], v[174:175], v[8:9]
	scratch_load_b128 v[38:41], off, off offset:512
	s_waitcnt vmcnt(9) lgkmcnt(0)
	v_mul_f64 v[233:234], v[2:3], v[12:13]
	v_mul_f64 v[12:13], v[4:5], v[12:13]
	v_add_f64 v[169:170], v[169:170], 0
	v_fma_f64 v[174:175], v[174:175], v[6:7], v[229:230]
	v_fma_f64 v[172:173], v[172:173], v[6:7], -v[8:9]
	v_add_f64 v[229:230], v[231:232], 0
	scratch_load_b128 v[6:9], off, off offset:528
	v_fma_f64 v[233:234], v[4:5], v[10:11], v[233:234]
	v_fma_f64 v[235:236], v[2:3], v[10:11], -v[12:13]
	scratch_load_b128 v[10:13], off, off offset:544
	ds_load_b128 v[2:5], v1 offset:1296
	s_waitcnt vmcnt(10)
	v_mul_f64 v[231:232], v[180:181], v[16:17]
	v_mul_f64 v[16:17], v[182:183], v[16:17]
	v_add_f64 v[169:170], v[169:170], v[172:173]
	v_add_f64 v[229:230], v[229:230], v[174:175]
	ds_load_b128 v[172:175], v1 offset:1312
	s_waitcnt vmcnt(9) lgkmcnt(1)
	v_mul_f64 v[237:238], v[2:3], v[20:21]
	v_mul_f64 v[20:21], v[4:5], v[20:21]
	v_fma_f64 v[182:183], v[182:183], v[14:15], v[231:232]
	v_fma_f64 v[180:181], v[180:181], v[14:15], -v[16:17]
	scratch_load_b128 v[14:17], off, off offset:560
	v_add_f64 v[169:170], v[169:170], v[235:236]
	v_add_f64 v[229:230], v[229:230], v[233:234]
	v_fma_f64 v[233:234], v[4:5], v[18:19], v[237:238]
	v_fma_f64 v[235:236], v[2:3], v[18:19], -v[20:21]
	scratch_load_b128 v[18:21], off, off offset:576
	ds_load_b128 v[2:5], v1 offset:1328
	s_waitcnt vmcnt(10) lgkmcnt(1)
	v_mul_f64 v[231:232], v[172:173], v[24:25]
	v_mul_f64 v[24:25], v[174:175], v[24:25]
	s_waitcnt vmcnt(9) lgkmcnt(0)
	v_mul_f64 v[237:238], v[2:3], v[28:29]
	v_mul_f64 v[28:29], v[4:5], v[28:29]
	v_add_f64 v[169:170], v[169:170], v[180:181]
	v_add_f64 v[229:230], v[229:230], v[182:183]
	ds_load_b128 v[180:183], v1 offset:1344
	v_fma_f64 v[174:175], v[174:175], v[22:23], v[231:232]
	v_fma_f64 v[172:173], v[172:173], v[22:23], -v[24:25]
	scratch_load_b128 v[22:25], off, off offset:592
	v_add_f64 v[169:170], v[169:170], v[235:236]
	v_add_f64 v[229:230], v[229:230], v[233:234]
	v_fma_f64 v[233:234], v[4:5], v[26:27], v[237:238]
	v_fma_f64 v[235:236], v[2:3], v[26:27], -v[28:29]
	scratch_load_b128 v[26:29], off, off offset:608
	ds_load_b128 v[2:5], v1 offset:1360
	s_waitcnt vmcnt(10) lgkmcnt(1)
	v_mul_f64 v[231:232], v[180:181], v[32:33]
	v_mul_f64 v[32:33], v[182:183], v[32:33]
	s_waitcnt vmcnt(9) lgkmcnt(0)
	v_mul_f64 v[237:238], v[2:3], v[36:37]
	v_mul_f64 v[36:37], v[4:5], v[36:37]
	v_add_f64 v[169:170], v[169:170], v[172:173]
	v_add_f64 v[229:230], v[229:230], v[174:175]
	ds_load_b128 v[172:175], v1 offset:1376
	v_fma_f64 v[182:183], v[182:183], v[30:31], v[231:232]
	v_fma_f64 v[180:181], v[180:181], v[30:31], -v[32:33]
	scratch_load_b128 v[30:33], off, off offset:624
	v_add_f64 v[169:170], v[169:170], v[235:236]
	v_add_f64 v[229:230], v[229:230], v[233:234]
	v_fma_f64 v[235:236], v[4:5], v[34:35], v[237:238]
	v_fma_f64 v[237:238], v[2:3], v[34:35], -v[36:37]
	scratch_load_b128 v[34:37], off, off offset:640
	ds_load_b128 v[2:5], v1 offset:1392
	s_waitcnt vmcnt(9) lgkmcnt(1)
	v_mul_f64 v[231:232], v[172:173], v[178:179]
	v_mul_f64 v[233:234], v[174:175], v[178:179]
	v_add_f64 v[169:170], v[169:170], v[180:181]
	v_add_f64 v[182:183], v[229:230], v[182:183]
	ds_load_b128 v[178:181], v1 offset:1408
	v_fma_f64 v[231:232], v[174:175], v[176:177], v[231:232]
	v_fma_f64 v[176:177], v[172:173], v[176:177], -v[233:234]
	scratch_load_b128 v[172:175], off, off offset:656
	s_waitcnt vmcnt(9) lgkmcnt(1)
	v_mul_f64 v[229:230], v[2:3], v[40:41]
	v_mul_f64 v[40:41], v[4:5], v[40:41]
	v_add_f64 v[169:170], v[169:170], v[237:238]
	v_add_f64 v[182:183], v[182:183], v[235:236]
	s_delay_alu instid0(VALU_DEP_4) | instskip(NEXT) | instid1(VALU_DEP_4)
	v_fma_f64 v[235:236], v[4:5], v[38:39], v[229:230]
	v_fma_f64 v[237:238], v[2:3], v[38:39], -v[40:41]
	scratch_load_b128 v[38:41], off, off offset:672
	ds_load_b128 v[2:5], v1 offset:1424
	s_waitcnt vmcnt(9) lgkmcnt(1)
	v_mul_f64 v[233:234], v[178:179], v[8:9]
	v_mul_f64 v[8:9], v[180:181], v[8:9]
	v_add_f64 v[169:170], v[169:170], v[176:177]
	v_add_f64 v[176:177], v[182:183], v[231:232]
	s_waitcnt vmcnt(8) lgkmcnt(0)
	v_mul_f64 v[182:183], v[2:3], v[12:13]
	v_mul_f64 v[12:13], v[4:5], v[12:13]
	ds_load_b128 v[229:232], v1 offset:1440
	v_fma_f64 v[180:181], v[180:181], v[6:7], v[233:234]
	v_fma_f64 v[178:179], v[178:179], v[6:7], -v[8:9]
	scratch_load_b128 v[6:9], off, off offset:688
	v_add_f64 v[169:170], v[169:170], v[237:238]
	v_add_f64 v[176:177], v[176:177], v[235:236]
	v_fma_f64 v[182:183], v[4:5], v[10:11], v[182:183]
	v_fma_f64 v[235:236], v[2:3], v[10:11], -v[12:13]
	scratch_load_b128 v[10:13], off, off offset:704
	ds_load_b128 v[2:5], v1 offset:1456
	s_waitcnt vmcnt(9) lgkmcnt(1)
	v_mul_f64 v[233:234], v[229:230], v[16:17]
	v_mul_f64 v[16:17], v[231:232], v[16:17]
	s_waitcnt vmcnt(8) lgkmcnt(0)
	v_mul_f64 v[237:238], v[2:3], v[20:21]
	v_mul_f64 v[20:21], v[4:5], v[20:21]
	v_add_f64 v[169:170], v[169:170], v[178:179]
	v_add_f64 v[180:181], v[176:177], v[180:181]
	ds_load_b128 v[176:179], v1 offset:1472
	v_fma_f64 v[231:232], v[231:232], v[14:15], v[233:234]
	v_fma_f64 v[229:230], v[229:230], v[14:15], -v[16:17]
	scratch_load_b128 v[14:17], off, off offset:720
	v_add_f64 v[169:170], v[169:170], v[235:236]
	v_add_f64 v[180:181], v[180:181], v[182:183]
	v_fma_f64 v[235:236], v[4:5], v[18:19], v[237:238]
	v_fma_f64 v[237:238], v[2:3], v[18:19], -v[20:21]
	scratch_load_b128 v[18:21], off, off offset:736
	ds_load_b128 v[2:5], v1 offset:1488
	s_waitcnt vmcnt(9) lgkmcnt(1)
	v_mul_f64 v[233:234], v[176:177], v[24:25]
	v_mul_f64 v[24:25], v[178:179], v[24:25]
	v_add_f64 v[169:170], v[169:170], v[229:230]
	v_add_f64 v[229:230], v[180:181], v[231:232]
	s_waitcnt vmcnt(8) lgkmcnt(0)
	v_mul_f64 v[231:232], v[2:3], v[28:29]
	v_mul_f64 v[28:29], v[4:5], v[28:29]
	ds_load_b128 v[180:183], v1 offset:1504
	v_fma_f64 v[178:179], v[178:179], v[22:23], v[233:234]
	v_fma_f64 v[176:177], v[176:177], v[22:23], -v[24:25]
	scratch_load_b128 v[22:25], off, off offset:752
	v_add_f64 v[169:170], v[169:170], v[237:238]
	v_add_f64 v[229:230], v[229:230], v[235:236]
	v_fma_f64 v[231:232], v[4:5], v[26:27], v[231:232]
	v_fma_f64 v[235:236], v[2:3], v[26:27], -v[28:29]
	scratch_load_b128 v[26:29], off, off offset:768
	ds_load_b128 v[2:5], v1 offset:1520
	s_waitcnt vmcnt(9) lgkmcnt(1)
	v_mul_f64 v[233:234], v[180:181], v[32:33]
	v_mul_f64 v[32:33], v[182:183], v[32:33]
	s_waitcnt vmcnt(8) lgkmcnt(0)
	v_mul_f64 v[237:238], v[2:3], v[36:37]
	v_mul_f64 v[36:37], v[4:5], v[36:37]
	v_add_f64 v[169:170], v[169:170], v[176:177]
	v_add_f64 v[229:230], v[229:230], v[178:179]
	ds_load_b128 v[176:179], v1 offset:1536
	v_fma_f64 v[182:183], v[182:183], v[30:31], v[233:234]
	v_fma_f64 v[180:181], v[180:181], v[30:31], -v[32:33]
	scratch_load_b128 v[30:33], off, off offset:784
	v_fma_f64 v[233:234], v[4:5], v[34:35], v[237:238]
	v_add_f64 v[169:170], v[169:170], v[235:236]
	v_add_f64 v[229:230], v[229:230], v[231:232]
	v_fma_f64 v[235:236], v[2:3], v[34:35], -v[36:37]
	scratch_load_b128 v[34:37], off, off offset:800
	ds_load_b128 v[2:5], v1 offset:1552
	s_waitcnt vmcnt(9) lgkmcnt(1)
	v_mul_f64 v[231:232], v[176:177], v[174:175]
	v_mul_f64 v[174:175], v[178:179], v[174:175]
	s_waitcnt vmcnt(8) lgkmcnt(0)
	v_mul_f64 v[237:238], v[2:3], v[40:41]
	v_mul_f64 v[40:41], v[4:5], v[40:41]
	v_add_f64 v[169:170], v[169:170], v[180:181]
	v_add_f64 v[229:230], v[229:230], v[182:183]
	ds_load_b128 v[180:183], v1 offset:1568
	v_fma_f64 v[178:179], v[178:179], v[172:173], v[231:232]
	v_fma_f64 v[176:177], v[176:177], v[172:173], -v[174:175]
	scratch_load_b128 v[172:175], off, off offset:816
	v_add_f64 v[169:170], v[169:170], v[235:236]
	v_add_f64 v[229:230], v[229:230], v[233:234]
	v_fma_f64 v[233:234], v[4:5], v[38:39], v[237:238]
	v_fma_f64 v[235:236], v[2:3], v[38:39], -v[40:41]
	scratch_load_b128 v[38:41], off, off offset:832
	ds_load_b128 v[2:5], v1 offset:1584
	s_waitcnt vmcnt(9) lgkmcnt(1)
	v_mul_f64 v[231:232], v[180:181], v[8:9]
	v_mul_f64 v[8:9], v[182:183], v[8:9]
	s_waitcnt vmcnt(8) lgkmcnt(0)
	v_mul_f64 v[237:238], v[2:3], v[12:13]
	v_mul_f64 v[12:13], v[4:5], v[12:13]
	v_add_f64 v[169:170], v[169:170], v[176:177]
	v_add_f64 v[229:230], v[229:230], v[178:179]
	ds_load_b128 v[176:179], v1 offset:1600
	v_fma_f64 v[182:183], v[182:183], v[6:7], v[231:232]
	v_fma_f64 v[180:181], v[180:181], v[6:7], -v[8:9]
	scratch_load_b128 v[6:9], off, off offset:848
	v_add_f64 v[169:170], v[169:170], v[235:236]
	v_add_f64 v[229:230], v[229:230], v[233:234]
	v_fma_f64 v[233:234], v[4:5], v[10:11], v[237:238]
	v_fma_f64 v[235:236], v[2:3], v[10:11], -v[12:13]
	scratch_load_b128 v[10:13], off, off offset:864
	ds_load_b128 v[2:5], v1 offset:1616
	s_waitcnt vmcnt(9) lgkmcnt(1)
	v_mul_f64 v[231:232], v[176:177], v[16:17]
	v_mul_f64 v[16:17], v[178:179], v[16:17]
	s_waitcnt vmcnt(8) lgkmcnt(0)
	v_mul_f64 v[237:238], v[2:3], v[20:21]
	v_mul_f64 v[20:21], v[4:5], v[20:21]
	v_add_f64 v[169:170], v[169:170], v[180:181]
	v_add_f64 v[229:230], v[229:230], v[182:183]
	ds_load_b128 v[180:183], v1 offset:1632
	v_fma_f64 v[178:179], v[178:179], v[14:15], v[231:232]
	v_fma_f64 v[14:15], v[176:177], v[14:15], -v[16:17]
	s_waitcnt vmcnt(7) lgkmcnt(0)
	v_mul_f64 v[176:177], v[180:181], v[24:25]
	v_mul_f64 v[24:25], v[182:183], v[24:25]
	v_add_f64 v[16:17], v[169:170], v[235:236]
	v_add_f64 v[169:170], v[229:230], v[233:234]
	v_fma_f64 v[229:230], v[4:5], v[18:19], v[237:238]
	v_fma_f64 v[18:19], v[2:3], v[18:19], -v[20:21]
	v_fma_f64 v[176:177], v[182:183], v[22:23], v[176:177]
	v_fma_f64 v[22:23], v[180:181], v[22:23], -v[24:25]
	v_add_f64 v[20:21], v[16:17], v[14:15]
	v_add_f64 v[169:170], v[169:170], v[178:179]
	ds_load_b128 v[2:5], v1 offset:1648
	ds_load_b128 v[14:17], v1 offset:1664
	s_waitcnt vmcnt(6) lgkmcnt(1)
	v_mul_f64 v[178:179], v[2:3], v[28:29]
	v_mul_f64 v[28:29], v[4:5], v[28:29]
	s_waitcnt vmcnt(5) lgkmcnt(0)
	v_mul_f64 v[24:25], v[14:15], v[32:33]
	v_mul_f64 v[32:33], v[16:17], v[32:33]
	v_add_f64 v[18:19], v[20:21], v[18:19]
	v_add_f64 v[20:21], v[169:170], v[229:230]
	v_fma_f64 v[169:170], v[4:5], v[26:27], v[178:179]
	v_fma_f64 v[26:27], v[2:3], v[26:27], -v[28:29]
	v_fma_f64 v[16:17], v[16:17], v[30:31], v[24:25]
	v_fma_f64 v[14:15], v[14:15], v[30:31], -v[32:33]
	v_add_f64 v[22:23], v[18:19], v[22:23]
	v_add_f64 v[28:29], v[20:21], v[176:177]
	ds_load_b128 v[2:5], v1 offset:1680
	ds_load_b128 v[18:21], v1 offset:1696
	s_waitcnt vmcnt(4) lgkmcnt(1)
	v_mul_f64 v[176:177], v[2:3], v[36:37]
	v_mul_f64 v[36:37], v[4:5], v[36:37]
	v_add_f64 v[22:23], v[22:23], v[26:27]
	v_add_f64 v[24:25], v[28:29], v[169:170]
	s_waitcnt vmcnt(3) lgkmcnt(0)
	v_mul_f64 v[26:27], v[18:19], v[174:175]
	v_mul_f64 v[28:29], v[20:21], v[174:175]
	v_fma_f64 v[30:31], v[4:5], v[34:35], v[176:177]
	v_fma_f64 v[32:33], v[2:3], v[34:35], -v[36:37]
	v_add_f64 v[22:23], v[22:23], v[14:15]
	v_add_f64 v[24:25], v[24:25], v[16:17]
	ds_load_b128 v[2:5], v1 offset:1712
	ds_load_b128 v[14:17], v1 offset:1728
	v_fma_f64 v[20:21], v[20:21], v[172:173], v[26:27]
	v_fma_f64 v[18:19], v[18:19], v[172:173], -v[28:29]
	s_waitcnt vmcnt(2) lgkmcnt(1)
	v_mul_f64 v[34:35], v[2:3], v[40:41]
	v_mul_f64 v[36:37], v[4:5], v[40:41]
	s_waitcnt vmcnt(1) lgkmcnt(0)
	v_mul_f64 v[26:27], v[14:15], v[8:9]
	v_mul_f64 v[8:9], v[16:17], v[8:9]
	v_add_f64 v[22:23], v[22:23], v[32:33]
	v_add_f64 v[24:25], v[24:25], v[30:31]
	v_fma_f64 v[28:29], v[4:5], v[38:39], v[34:35]
	v_fma_f64 v[30:31], v[2:3], v[38:39], -v[36:37]
	ds_load_b128 v[2:5], v1 offset:1744
	v_fma_f64 v[16:17], v[16:17], v[6:7], v[26:27]
	v_fma_f64 v[6:7], v[14:15], v[6:7], -v[8:9]
	v_add_f64 v[18:19], v[22:23], v[18:19]
	v_add_f64 v[20:21], v[24:25], v[20:21]
	s_waitcnt vmcnt(0) lgkmcnt(0)
	v_mul_f64 v[22:23], v[2:3], v[12:13]
	v_mul_f64 v[12:13], v[4:5], v[12:13]
	s_delay_alu instid0(VALU_DEP_4) | instskip(NEXT) | instid1(VALU_DEP_4)
	v_add_f64 v[8:9], v[18:19], v[30:31]
	v_add_f64 v[14:15], v[20:21], v[28:29]
	s_delay_alu instid0(VALU_DEP_4) | instskip(NEXT) | instid1(VALU_DEP_4)
	v_fma_f64 v[4:5], v[4:5], v[10:11], v[22:23]
	v_fma_f64 v[2:3], v[2:3], v[10:11], -v[12:13]
	s_delay_alu instid0(VALU_DEP_4) | instskip(NEXT) | instid1(VALU_DEP_4)
	v_add_f64 v[6:7], v[8:9], v[6:7]
	v_add_f64 v[8:9], v[14:15], v[16:17]
	s_delay_alu instid0(VALU_DEP_2) | instskip(NEXT) | instid1(VALU_DEP_2)
	v_add_f64 v[2:3], v[6:7], v[2:3]
	v_add_f64 v[4:5], v[8:9], v[4:5]
	s_delay_alu instid0(VALU_DEP_2) | instskip(NEXT) | instid1(VALU_DEP_2)
	v_add_f64 v[2:3], v[42:43], -v[2:3]
	v_add_f64 v[4:5], v[44:45], -v[4:5]
	scratch_store_b128 off, v[2:5], off offset:336
	v_cmpx_lt_u32_e32 20, v156
	s_cbranch_execz .LBB54_303
; %bb.302:
	scratch_load_b128 v[5:8], v191, off
	v_mov_b32_e32 v2, v1
	v_mov_b32_e32 v3, v1
	v_mov_b32_e32 v4, v1
	scratch_store_b128 off, v[1:4], off offset:320
	s_waitcnt vmcnt(0)
	ds_store_b128 v211, v[5:8]
.LBB54_303:
	s_or_b32 exec_lo, exec_lo, s2
	s_waitcnt lgkmcnt(0)
	s_waitcnt_vscnt null, 0x0
	s_barrier
	buffer_gl0_inv
	s_clause 0x8
	scratch_load_b128 v[2:5], off, off offset:336
	scratch_load_b128 v[6:9], off, off offset:352
	;; [unrolled: 1-line block ×9, first 2 shown]
	ds_load_b128 v[42:45], v1 offset:1216
	ds_load_b128 v[38:41], v1 offset:1232
	s_clause 0x1
	scratch_load_b128 v[172:175], off, off offset:320
	scratch_load_b128 v[176:179], off, off offset:480
	s_mov_b32 s2, exec_lo
	ds_load_b128 v[180:183], v1 offset:1264
	s_waitcnt vmcnt(10) lgkmcnt(2)
	v_mul_f64 v[169:170], v[44:45], v[4:5]
	v_mul_f64 v[4:5], v[42:43], v[4:5]
	s_waitcnt vmcnt(9) lgkmcnt(1)
	v_mul_f64 v[229:230], v[38:39], v[8:9]
	v_mul_f64 v[8:9], v[40:41], v[8:9]
	s_delay_alu instid0(VALU_DEP_4) | instskip(NEXT) | instid1(VALU_DEP_4)
	v_fma_f64 v[169:170], v[42:43], v[2:3], -v[169:170]
	v_fma_f64 v[231:232], v[44:45], v[2:3], v[4:5]
	ds_load_b128 v[2:5], v1 offset:1248
	scratch_load_b128 v[42:45], off, off offset:496
	v_fma_f64 v[40:41], v[40:41], v[6:7], v[229:230]
	v_fma_f64 v[38:39], v[38:39], v[6:7], -v[8:9]
	scratch_load_b128 v[6:9], off, off offset:512
	s_waitcnt vmcnt(10) lgkmcnt(0)
	v_mul_f64 v[233:234], v[2:3], v[12:13]
	v_mul_f64 v[12:13], v[4:5], v[12:13]
	v_add_f64 v[169:170], v[169:170], 0
	v_add_f64 v[229:230], v[231:232], 0
	s_waitcnt vmcnt(9)
	v_mul_f64 v[231:232], v[180:181], v[16:17]
	v_mul_f64 v[16:17], v[182:183], v[16:17]
	v_fma_f64 v[233:234], v[4:5], v[10:11], v[233:234]
	v_fma_f64 v[235:236], v[2:3], v[10:11], -v[12:13]
	ds_load_b128 v[2:5], v1 offset:1280
	scratch_load_b128 v[10:13], off, off offset:528
	v_add_f64 v[169:170], v[169:170], v[38:39]
	v_add_f64 v[229:230], v[229:230], v[40:41]
	ds_load_b128 v[38:41], v1 offset:1296
	v_fma_f64 v[182:183], v[182:183], v[14:15], v[231:232]
	v_fma_f64 v[180:181], v[180:181], v[14:15], -v[16:17]
	scratch_load_b128 v[14:17], off, off offset:544
	s_waitcnt vmcnt(10) lgkmcnt(1)
	v_mul_f64 v[237:238], v[2:3], v[20:21]
	v_mul_f64 v[20:21], v[4:5], v[20:21]
	s_waitcnt vmcnt(9) lgkmcnt(0)
	v_mul_f64 v[231:232], v[38:39], v[24:25]
	v_mul_f64 v[24:25], v[40:41], v[24:25]
	v_add_f64 v[169:170], v[169:170], v[235:236]
	v_add_f64 v[229:230], v[229:230], v[233:234]
	v_fma_f64 v[233:234], v[4:5], v[18:19], v[237:238]
	v_fma_f64 v[235:236], v[2:3], v[18:19], -v[20:21]
	ds_load_b128 v[2:5], v1 offset:1312
	scratch_load_b128 v[18:21], off, off offset:560
	v_fma_f64 v[40:41], v[40:41], v[22:23], v[231:232]
	v_fma_f64 v[38:39], v[38:39], v[22:23], -v[24:25]
	scratch_load_b128 v[22:25], off, off offset:576
	v_add_f64 v[169:170], v[169:170], v[180:181]
	v_add_f64 v[229:230], v[229:230], v[182:183]
	ds_load_b128 v[180:183], v1 offset:1328
	s_waitcnt vmcnt(10) lgkmcnt(1)
	v_mul_f64 v[237:238], v[2:3], v[28:29]
	v_mul_f64 v[28:29], v[4:5], v[28:29]
	s_waitcnt vmcnt(9) lgkmcnt(0)
	v_mul_f64 v[231:232], v[180:181], v[32:33]
	v_mul_f64 v[32:33], v[182:183], v[32:33]
	v_add_f64 v[169:170], v[169:170], v[235:236]
	v_add_f64 v[229:230], v[229:230], v[233:234]
	v_fma_f64 v[233:234], v[4:5], v[26:27], v[237:238]
	v_fma_f64 v[235:236], v[2:3], v[26:27], -v[28:29]
	ds_load_b128 v[2:5], v1 offset:1344
	scratch_load_b128 v[26:29], off, off offset:592
	v_fma_f64 v[182:183], v[182:183], v[30:31], v[231:232]
	v_fma_f64 v[180:181], v[180:181], v[30:31], -v[32:33]
	scratch_load_b128 v[30:33], off, off offset:608
	v_add_f64 v[169:170], v[169:170], v[38:39]
	v_add_f64 v[229:230], v[229:230], v[40:41]
	ds_load_b128 v[38:41], v1 offset:1360
	s_waitcnt vmcnt(10) lgkmcnt(1)
	v_mul_f64 v[237:238], v[2:3], v[36:37]
	v_mul_f64 v[36:37], v[4:5], v[36:37]
	s_waitcnt vmcnt(8) lgkmcnt(0)
	v_mul_f64 v[231:232], v[38:39], v[178:179]
	v_add_f64 v[169:170], v[169:170], v[235:236]
	v_add_f64 v[229:230], v[229:230], v[233:234]
	v_mul_f64 v[233:234], v[40:41], v[178:179]
	v_fma_f64 v[235:236], v[4:5], v[34:35], v[237:238]
	v_fma_f64 v[237:238], v[2:3], v[34:35], -v[36:37]
	ds_load_b128 v[2:5], v1 offset:1376
	scratch_load_b128 v[34:37], off, off offset:624
	v_fma_f64 v[231:232], v[40:41], v[176:177], v[231:232]
	v_add_f64 v[169:170], v[169:170], v[180:181]
	v_add_f64 v[182:183], v[229:230], v[182:183]
	ds_load_b128 v[178:181], v1 offset:1392
	v_fma_f64 v[176:177], v[38:39], v[176:177], -v[233:234]
	scratch_load_b128 v[38:41], off, off offset:640
	s_waitcnt vmcnt(9) lgkmcnt(1)
	v_mul_f64 v[229:230], v[2:3], v[44:45]
	v_mul_f64 v[44:45], v[4:5], v[44:45]
	s_waitcnt vmcnt(8) lgkmcnt(0)
	v_mul_f64 v[233:234], v[178:179], v[8:9]
	v_mul_f64 v[8:9], v[180:181], v[8:9]
	v_add_f64 v[169:170], v[169:170], v[237:238]
	v_add_f64 v[182:183], v[182:183], v[235:236]
	v_fma_f64 v[235:236], v[4:5], v[42:43], v[229:230]
	v_fma_f64 v[237:238], v[2:3], v[42:43], -v[44:45]
	ds_load_b128 v[2:5], v1 offset:1408
	scratch_load_b128 v[42:45], off, off offset:656
	v_fma_f64 v[180:181], v[180:181], v[6:7], v[233:234]
	v_fma_f64 v[178:179], v[178:179], v[6:7], -v[8:9]
	scratch_load_b128 v[6:9], off, off offset:672
	v_add_f64 v[169:170], v[169:170], v[176:177]
	v_add_f64 v[176:177], v[182:183], v[231:232]
	ds_load_b128 v[229:232], v1 offset:1424
	s_waitcnt vmcnt(9) lgkmcnt(1)
	v_mul_f64 v[182:183], v[2:3], v[12:13]
	v_mul_f64 v[12:13], v[4:5], v[12:13]
	s_waitcnt vmcnt(8) lgkmcnt(0)
	v_mul_f64 v[233:234], v[229:230], v[16:17]
	v_mul_f64 v[16:17], v[231:232], v[16:17]
	v_add_f64 v[169:170], v[169:170], v[237:238]
	v_add_f64 v[176:177], v[176:177], v[235:236]
	v_fma_f64 v[182:183], v[4:5], v[10:11], v[182:183]
	v_fma_f64 v[235:236], v[2:3], v[10:11], -v[12:13]
	ds_load_b128 v[2:5], v1 offset:1440
	scratch_load_b128 v[10:13], off, off offset:688
	v_fma_f64 v[231:232], v[231:232], v[14:15], v[233:234]
	v_fma_f64 v[229:230], v[229:230], v[14:15], -v[16:17]
	scratch_load_b128 v[14:17], off, off offset:704
	v_add_f64 v[169:170], v[169:170], v[178:179]
	v_add_f64 v[180:181], v[176:177], v[180:181]
	ds_load_b128 v[176:179], v1 offset:1456
	;; [unrolled: 18-line block ×4, first 2 shown]
	s_waitcnt vmcnt(9) lgkmcnt(1)
	v_mul_f64 v[237:238], v[2:3], v[36:37]
	v_mul_f64 v[36:37], v[4:5], v[36:37]
	v_add_f64 v[169:170], v[169:170], v[235:236]
	v_add_f64 v[229:230], v[229:230], v[231:232]
	s_waitcnt vmcnt(8) lgkmcnt(0)
	v_mul_f64 v[231:232], v[176:177], v[40:41]
	v_mul_f64 v[40:41], v[178:179], v[40:41]
	v_fma_f64 v[233:234], v[4:5], v[34:35], v[237:238]
	v_fma_f64 v[235:236], v[2:3], v[34:35], -v[36:37]
	ds_load_b128 v[2:5], v1 offset:1536
	scratch_load_b128 v[34:37], off, off offset:784
	v_add_f64 v[169:170], v[169:170], v[180:181]
	v_add_f64 v[229:230], v[229:230], v[182:183]
	ds_load_b128 v[180:183], v1 offset:1552
	s_waitcnt vmcnt(8) lgkmcnt(1)
	v_mul_f64 v[237:238], v[2:3], v[44:45]
	v_mul_f64 v[44:45], v[4:5], v[44:45]
	v_fma_f64 v[178:179], v[178:179], v[38:39], v[231:232]
	v_fma_f64 v[176:177], v[176:177], v[38:39], -v[40:41]
	scratch_load_b128 v[38:41], off, off offset:800
	s_waitcnt vmcnt(8) lgkmcnt(0)
	v_mul_f64 v[231:232], v[180:181], v[8:9]
	v_mul_f64 v[8:9], v[182:183], v[8:9]
	v_add_f64 v[169:170], v[169:170], v[235:236]
	v_add_f64 v[229:230], v[229:230], v[233:234]
	v_fma_f64 v[233:234], v[4:5], v[42:43], v[237:238]
	v_fma_f64 v[235:236], v[2:3], v[42:43], -v[44:45]
	ds_load_b128 v[2:5], v1 offset:1568
	scratch_load_b128 v[42:45], off, off offset:816
	v_fma_f64 v[182:183], v[182:183], v[6:7], v[231:232]
	v_fma_f64 v[180:181], v[180:181], v[6:7], -v[8:9]
	scratch_load_b128 v[6:9], off, off offset:832
	v_add_f64 v[169:170], v[169:170], v[176:177]
	v_add_f64 v[229:230], v[229:230], v[178:179]
	ds_load_b128 v[176:179], v1 offset:1584
	s_waitcnt vmcnt(9) lgkmcnt(1)
	v_mul_f64 v[237:238], v[2:3], v[12:13]
	v_mul_f64 v[12:13], v[4:5], v[12:13]
	s_waitcnt vmcnt(8) lgkmcnt(0)
	v_mul_f64 v[231:232], v[176:177], v[16:17]
	v_mul_f64 v[16:17], v[178:179], v[16:17]
	v_add_f64 v[169:170], v[169:170], v[235:236]
	v_add_f64 v[229:230], v[229:230], v[233:234]
	v_fma_f64 v[233:234], v[4:5], v[10:11], v[237:238]
	v_fma_f64 v[235:236], v[2:3], v[10:11], -v[12:13]
	ds_load_b128 v[2:5], v1 offset:1600
	scratch_load_b128 v[10:13], off, off offset:848
	v_fma_f64 v[178:179], v[178:179], v[14:15], v[231:232]
	v_fma_f64 v[176:177], v[176:177], v[14:15], -v[16:17]
	scratch_load_b128 v[14:17], off, off offset:864
	v_add_f64 v[169:170], v[169:170], v[180:181]
	v_add_f64 v[229:230], v[229:230], v[182:183]
	ds_load_b128 v[180:183], v1 offset:1616
	s_waitcnt vmcnt(9) lgkmcnt(1)
	v_mul_f64 v[237:238], v[2:3], v[20:21]
	v_mul_f64 v[20:21], v[4:5], v[20:21]
	s_waitcnt vmcnt(8) lgkmcnt(0)
	v_mul_f64 v[231:232], v[180:181], v[24:25]
	v_mul_f64 v[24:25], v[182:183], v[24:25]
	v_add_f64 v[169:170], v[169:170], v[235:236]
	v_add_f64 v[229:230], v[229:230], v[233:234]
	v_fma_f64 v[233:234], v[4:5], v[18:19], v[237:238]
	v_fma_f64 v[235:236], v[2:3], v[18:19], -v[20:21]
	ds_load_b128 v[2:5], v1 offset:1632
	ds_load_b128 v[18:21], v1 offset:1648
	v_fma_f64 v[182:183], v[182:183], v[22:23], v[231:232]
	v_fma_f64 v[22:23], v[180:181], v[22:23], -v[24:25]
	v_add_f64 v[169:170], v[169:170], v[176:177]
	v_add_f64 v[176:177], v[229:230], v[178:179]
	s_waitcnt vmcnt(7) lgkmcnt(1)
	v_mul_f64 v[178:179], v[2:3], v[28:29]
	v_mul_f64 v[28:29], v[4:5], v[28:29]
	s_delay_alu instid0(VALU_DEP_4) | instskip(NEXT) | instid1(VALU_DEP_4)
	v_add_f64 v[24:25], v[169:170], v[235:236]
	v_add_f64 v[169:170], v[176:177], v[233:234]
	s_waitcnt vmcnt(6) lgkmcnt(0)
	v_mul_f64 v[176:177], v[18:19], v[32:33]
	v_mul_f64 v[32:33], v[20:21], v[32:33]
	v_fma_f64 v[178:179], v[4:5], v[26:27], v[178:179]
	v_fma_f64 v[26:27], v[2:3], v[26:27], -v[28:29]
	v_add_f64 v[28:29], v[24:25], v[22:23]
	v_add_f64 v[169:170], v[169:170], v[182:183]
	ds_load_b128 v[2:5], v1 offset:1664
	ds_load_b128 v[22:25], v1 offset:1680
	v_fma_f64 v[20:21], v[20:21], v[30:31], v[176:177]
	v_fma_f64 v[18:19], v[18:19], v[30:31], -v[32:33]
	s_waitcnt vmcnt(5) lgkmcnt(1)
	v_mul_f64 v[180:181], v[2:3], v[36:37]
	v_mul_f64 v[36:37], v[4:5], v[36:37]
	s_waitcnt vmcnt(4) lgkmcnt(0)
	v_mul_f64 v[30:31], v[22:23], v[40:41]
	v_mul_f64 v[32:33], v[24:25], v[40:41]
	v_add_f64 v[26:27], v[28:29], v[26:27]
	v_add_f64 v[28:29], v[169:170], v[178:179]
	v_fma_f64 v[40:41], v[4:5], v[34:35], v[180:181]
	v_fma_f64 v[34:35], v[2:3], v[34:35], -v[36:37]
	v_fma_f64 v[24:25], v[24:25], v[38:39], v[30:31]
	v_fma_f64 v[22:23], v[22:23], v[38:39], -v[32:33]
	v_add_f64 v[26:27], v[26:27], v[18:19]
	v_add_f64 v[28:29], v[28:29], v[20:21]
	ds_load_b128 v[2:5], v1 offset:1696
	ds_load_b128 v[18:21], v1 offset:1712
	s_waitcnt vmcnt(3) lgkmcnt(1)
	v_mul_f64 v[36:37], v[2:3], v[44:45]
	v_mul_f64 v[44:45], v[4:5], v[44:45]
	s_waitcnt vmcnt(2) lgkmcnt(0)
	v_mul_f64 v[30:31], v[18:19], v[8:9]
	v_mul_f64 v[8:9], v[20:21], v[8:9]
	v_add_f64 v[26:27], v[26:27], v[34:35]
	v_add_f64 v[28:29], v[28:29], v[40:41]
	v_fma_f64 v[32:33], v[4:5], v[42:43], v[36:37]
	v_fma_f64 v[34:35], v[2:3], v[42:43], -v[44:45]
	v_fma_f64 v[20:21], v[20:21], v[6:7], v[30:31]
	v_fma_f64 v[6:7], v[18:19], v[6:7], -v[8:9]
	v_add_f64 v[26:27], v[26:27], v[22:23]
	v_add_f64 v[28:29], v[28:29], v[24:25]
	ds_load_b128 v[2:5], v1 offset:1728
	ds_load_b128 v[22:25], v1 offset:1744
	s_waitcnt vmcnt(1) lgkmcnt(1)
	v_mul_f64 v[36:37], v[2:3], v[12:13]
	v_mul_f64 v[12:13], v[4:5], v[12:13]
	v_add_f64 v[8:9], v[26:27], v[34:35]
	v_add_f64 v[18:19], v[28:29], v[32:33]
	s_waitcnt vmcnt(0) lgkmcnt(0)
	v_mul_f64 v[26:27], v[22:23], v[16:17]
	v_mul_f64 v[16:17], v[24:25], v[16:17]
	v_fma_f64 v[4:5], v[4:5], v[10:11], v[36:37]
	v_fma_f64 v[1:2], v[2:3], v[10:11], -v[12:13]
	v_add_f64 v[6:7], v[8:9], v[6:7]
	v_add_f64 v[8:9], v[18:19], v[20:21]
	v_fma_f64 v[10:11], v[24:25], v[14:15], v[26:27]
	v_fma_f64 v[12:13], v[22:23], v[14:15], -v[16:17]
	s_delay_alu instid0(VALU_DEP_4) | instskip(NEXT) | instid1(VALU_DEP_4)
	v_add_f64 v[1:2], v[6:7], v[1:2]
	v_add_f64 v[3:4], v[8:9], v[4:5]
	s_delay_alu instid0(VALU_DEP_2) | instskip(NEXT) | instid1(VALU_DEP_2)
	v_add_f64 v[1:2], v[1:2], v[12:13]
	v_add_f64 v[3:4], v[3:4], v[10:11]
	s_delay_alu instid0(VALU_DEP_2) | instskip(NEXT) | instid1(VALU_DEP_2)
	v_add_f64 v[1:2], v[172:173], -v[1:2]
	v_add_f64 v[3:4], v[174:175], -v[3:4]
	scratch_store_b128 off, v[1:4], off offset:320
	v_cmpx_lt_u32_e32 19, v156
	s_cbranch_execz .LBB54_305
; %bb.304:
	scratch_load_b128 v[1:4], v192, off
	v_mov_b32_e32 v5, 0
	s_delay_alu instid0(VALU_DEP_1)
	v_mov_b32_e32 v6, v5
	v_mov_b32_e32 v7, v5
	;; [unrolled: 1-line block ×3, first 2 shown]
	scratch_store_b128 off, v[5:8], off offset:304
	s_waitcnt vmcnt(0)
	ds_store_b128 v211, v[1:4]
.LBB54_305:
	s_or_b32 exec_lo, exec_lo, s2
	s_waitcnt lgkmcnt(0)
	s_waitcnt_vscnt null, 0x0
	s_barrier
	buffer_gl0_inv
	s_clause 0x7
	scratch_load_b128 v[2:5], off, off offset:320
	scratch_load_b128 v[6:9], off, off offset:336
	;; [unrolled: 1-line block ×8, first 2 shown]
	v_mov_b32_e32 v1, 0
	s_mov_b32 s2, exec_lo
	ds_load_b128 v[38:41], v1 offset:1200
	s_clause 0x1
	scratch_load_b128 v[34:37], off, off offset:448
	scratch_load_b128 v[42:45], off, off offset:304
	ds_load_b128 v[172:175], v1 offset:1216
	scratch_load_b128 v[176:179], off, off offset:464
	ds_load_b128 v[180:183], v1 offset:1248
	s_waitcnt vmcnt(10) lgkmcnt(2)
	v_mul_f64 v[169:170], v[40:41], v[4:5]
	v_mul_f64 v[4:5], v[38:39], v[4:5]
	s_delay_alu instid0(VALU_DEP_2) | instskip(NEXT) | instid1(VALU_DEP_2)
	v_fma_f64 v[169:170], v[38:39], v[2:3], -v[169:170]
	v_fma_f64 v[231:232], v[40:41], v[2:3], v[4:5]
	ds_load_b128 v[2:5], v1 offset:1232
	s_waitcnt vmcnt(9) lgkmcnt(2)
	v_mul_f64 v[229:230], v[172:173], v[8:9]
	v_mul_f64 v[8:9], v[174:175], v[8:9]
	scratch_load_b128 v[38:41], off, off offset:480
	s_waitcnt vmcnt(9) lgkmcnt(0)
	v_mul_f64 v[233:234], v[2:3], v[12:13]
	v_mul_f64 v[12:13], v[4:5], v[12:13]
	v_add_f64 v[169:170], v[169:170], 0
	v_fma_f64 v[174:175], v[174:175], v[6:7], v[229:230]
	v_fma_f64 v[172:173], v[172:173], v[6:7], -v[8:9]
	v_add_f64 v[229:230], v[231:232], 0
	scratch_load_b128 v[6:9], off, off offset:496
	v_fma_f64 v[233:234], v[4:5], v[10:11], v[233:234]
	v_fma_f64 v[235:236], v[2:3], v[10:11], -v[12:13]
	scratch_load_b128 v[10:13], off, off offset:512
	ds_load_b128 v[2:5], v1 offset:1264
	s_waitcnt vmcnt(10)
	v_mul_f64 v[231:232], v[180:181], v[16:17]
	v_mul_f64 v[16:17], v[182:183], v[16:17]
	v_add_f64 v[169:170], v[169:170], v[172:173]
	v_add_f64 v[229:230], v[229:230], v[174:175]
	ds_load_b128 v[172:175], v1 offset:1280
	s_waitcnt vmcnt(9) lgkmcnt(1)
	v_mul_f64 v[237:238], v[2:3], v[20:21]
	v_mul_f64 v[20:21], v[4:5], v[20:21]
	v_fma_f64 v[182:183], v[182:183], v[14:15], v[231:232]
	v_fma_f64 v[180:181], v[180:181], v[14:15], -v[16:17]
	scratch_load_b128 v[14:17], off, off offset:528
	v_add_f64 v[169:170], v[169:170], v[235:236]
	v_add_f64 v[229:230], v[229:230], v[233:234]
	v_fma_f64 v[233:234], v[4:5], v[18:19], v[237:238]
	v_fma_f64 v[235:236], v[2:3], v[18:19], -v[20:21]
	scratch_load_b128 v[18:21], off, off offset:544
	ds_load_b128 v[2:5], v1 offset:1296
	s_waitcnt vmcnt(10) lgkmcnt(1)
	v_mul_f64 v[231:232], v[172:173], v[24:25]
	v_mul_f64 v[24:25], v[174:175], v[24:25]
	s_waitcnt vmcnt(9) lgkmcnt(0)
	v_mul_f64 v[237:238], v[2:3], v[28:29]
	v_mul_f64 v[28:29], v[4:5], v[28:29]
	v_add_f64 v[169:170], v[169:170], v[180:181]
	v_add_f64 v[229:230], v[229:230], v[182:183]
	ds_load_b128 v[180:183], v1 offset:1312
	v_fma_f64 v[174:175], v[174:175], v[22:23], v[231:232]
	v_fma_f64 v[172:173], v[172:173], v[22:23], -v[24:25]
	scratch_load_b128 v[22:25], off, off offset:560
	v_add_f64 v[169:170], v[169:170], v[235:236]
	v_add_f64 v[229:230], v[229:230], v[233:234]
	v_fma_f64 v[233:234], v[4:5], v[26:27], v[237:238]
	v_fma_f64 v[235:236], v[2:3], v[26:27], -v[28:29]
	scratch_load_b128 v[26:29], off, off offset:576
	ds_load_b128 v[2:5], v1 offset:1328
	s_waitcnt vmcnt(10) lgkmcnt(1)
	v_mul_f64 v[231:232], v[180:181], v[32:33]
	v_mul_f64 v[32:33], v[182:183], v[32:33]
	s_waitcnt vmcnt(9) lgkmcnt(0)
	v_mul_f64 v[237:238], v[2:3], v[36:37]
	v_mul_f64 v[36:37], v[4:5], v[36:37]
	v_add_f64 v[169:170], v[169:170], v[172:173]
	v_add_f64 v[229:230], v[229:230], v[174:175]
	ds_load_b128 v[172:175], v1 offset:1344
	v_fma_f64 v[182:183], v[182:183], v[30:31], v[231:232]
	v_fma_f64 v[180:181], v[180:181], v[30:31], -v[32:33]
	scratch_load_b128 v[30:33], off, off offset:592
	v_add_f64 v[169:170], v[169:170], v[235:236]
	v_add_f64 v[229:230], v[229:230], v[233:234]
	v_fma_f64 v[235:236], v[4:5], v[34:35], v[237:238]
	v_fma_f64 v[237:238], v[2:3], v[34:35], -v[36:37]
	scratch_load_b128 v[34:37], off, off offset:608
	ds_load_b128 v[2:5], v1 offset:1360
	s_waitcnt vmcnt(9) lgkmcnt(1)
	v_mul_f64 v[231:232], v[172:173], v[178:179]
	v_mul_f64 v[233:234], v[174:175], v[178:179]
	v_add_f64 v[169:170], v[169:170], v[180:181]
	v_add_f64 v[182:183], v[229:230], v[182:183]
	ds_load_b128 v[178:181], v1 offset:1376
	v_fma_f64 v[231:232], v[174:175], v[176:177], v[231:232]
	v_fma_f64 v[176:177], v[172:173], v[176:177], -v[233:234]
	scratch_load_b128 v[172:175], off, off offset:624
	s_waitcnt vmcnt(9) lgkmcnt(1)
	v_mul_f64 v[229:230], v[2:3], v[40:41]
	v_mul_f64 v[40:41], v[4:5], v[40:41]
	v_add_f64 v[169:170], v[169:170], v[237:238]
	v_add_f64 v[182:183], v[182:183], v[235:236]
	s_delay_alu instid0(VALU_DEP_4) | instskip(NEXT) | instid1(VALU_DEP_4)
	v_fma_f64 v[235:236], v[4:5], v[38:39], v[229:230]
	v_fma_f64 v[237:238], v[2:3], v[38:39], -v[40:41]
	scratch_load_b128 v[38:41], off, off offset:640
	ds_load_b128 v[2:5], v1 offset:1392
	s_waitcnt vmcnt(9) lgkmcnt(1)
	v_mul_f64 v[233:234], v[178:179], v[8:9]
	v_mul_f64 v[8:9], v[180:181], v[8:9]
	v_add_f64 v[169:170], v[169:170], v[176:177]
	v_add_f64 v[176:177], v[182:183], v[231:232]
	s_waitcnt vmcnt(8) lgkmcnt(0)
	v_mul_f64 v[182:183], v[2:3], v[12:13]
	v_mul_f64 v[12:13], v[4:5], v[12:13]
	ds_load_b128 v[229:232], v1 offset:1408
	v_fma_f64 v[180:181], v[180:181], v[6:7], v[233:234]
	v_fma_f64 v[178:179], v[178:179], v[6:7], -v[8:9]
	scratch_load_b128 v[6:9], off, off offset:656
	v_add_f64 v[169:170], v[169:170], v[237:238]
	v_add_f64 v[176:177], v[176:177], v[235:236]
	v_fma_f64 v[182:183], v[4:5], v[10:11], v[182:183]
	v_fma_f64 v[235:236], v[2:3], v[10:11], -v[12:13]
	scratch_load_b128 v[10:13], off, off offset:672
	ds_load_b128 v[2:5], v1 offset:1424
	s_waitcnt vmcnt(9) lgkmcnt(1)
	v_mul_f64 v[233:234], v[229:230], v[16:17]
	v_mul_f64 v[16:17], v[231:232], v[16:17]
	s_waitcnt vmcnt(8) lgkmcnt(0)
	v_mul_f64 v[237:238], v[2:3], v[20:21]
	v_mul_f64 v[20:21], v[4:5], v[20:21]
	v_add_f64 v[169:170], v[169:170], v[178:179]
	v_add_f64 v[180:181], v[176:177], v[180:181]
	ds_load_b128 v[176:179], v1 offset:1440
	v_fma_f64 v[231:232], v[231:232], v[14:15], v[233:234]
	v_fma_f64 v[229:230], v[229:230], v[14:15], -v[16:17]
	scratch_load_b128 v[14:17], off, off offset:688
	v_add_f64 v[169:170], v[169:170], v[235:236]
	v_add_f64 v[180:181], v[180:181], v[182:183]
	v_fma_f64 v[235:236], v[4:5], v[18:19], v[237:238]
	v_fma_f64 v[237:238], v[2:3], v[18:19], -v[20:21]
	scratch_load_b128 v[18:21], off, off offset:704
	ds_load_b128 v[2:5], v1 offset:1456
	s_waitcnt vmcnt(9) lgkmcnt(1)
	v_mul_f64 v[233:234], v[176:177], v[24:25]
	v_mul_f64 v[24:25], v[178:179], v[24:25]
	v_add_f64 v[169:170], v[169:170], v[229:230]
	v_add_f64 v[229:230], v[180:181], v[231:232]
	s_waitcnt vmcnt(8) lgkmcnt(0)
	v_mul_f64 v[231:232], v[2:3], v[28:29]
	v_mul_f64 v[28:29], v[4:5], v[28:29]
	ds_load_b128 v[180:183], v1 offset:1472
	v_fma_f64 v[178:179], v[178:179], v[22:23], v[233:234]
	v_fma_f64 v[176:177], v[176:177], v[22:23], -v[24:25]
	scratch_load_b128 v[22:25], off, off offset:720
	v_add_f64 v[169:170], v[169:170], v[237:238]
	v_add_f64 v[229:230], v[229:230], v[235:236]
	v_fma_f64 v[231:232], v[4:5], v[26:27], v[231:232]
	v_fma_f64 v[235:236], v[2:3], v[26:27], -v[28:29]
	scratch_load_b128 v[26:29], off, off offset:736
	ds_load_b128 v[2:5], v1 offset:1488
	s_waitcnt vmcnt(9) lgkmcnt(1)
	v_mul_f64 v[233:234], v[180:181], v[32:33]
	v_mul_f64 v[32:33], v[182:183], v[32:33]
	s_waitcnt vmcnt(8) lgkmcnt(0)
	v_mul_f64 v[237:238], v[2:3], v[36:37]
	v_mul_f64 v[36:37], v[4:5], v[36:37]
	v_add_f64 v[169:170], v[169:170], v[176:177]
	v_add_f64 v[229:230], v[229:230], v[178:179]
	ds_load_b128 v[176:179], v1 offset:1504
	v_fma_f64 v[182:183], v[182:183], v[30:31], v[233:234]
	v_fma_f64 v[180:181], v[180:181], v[30:31], -v[32:33]
	scratch_load_b128 v[30:33], off, off offset:752
	v_fma_f64 v[233:234], v[4:5], v[34:35], v[237:238]
	v_add_f64 v[169:170], v[169:170], v[235:236]
	v_add_f64 v[229:230], v[229:230], v[231:232]
	v_fma_f64 v[235:236], v[2:3], v[34:35], -v[36:37]
	scratch_load_b128 v[34:37], off, off offset:768
	ds_load_b128 v[2:5], v1 offset:1520
	s_waitcnt vmcnt(9) lgkmcnt(1)
	v_mul_f64 v[231:232], v[176:177], v[174:175]
	v_mul_f64 v[174:175], v[178:179], v[174:175]
	s_waitcnt vmcnt(8) lgkmcnt(0)
	v_mul_f64 v[237:238], v[2:3], v[40:41]
	v_mul_f64 v[40:41], v[4:5], v[40:41]
	v_add_f64 v[169:170], v[169:170], v[180:181]
	v_add_f64 v[229:230], v[229:230], v[182:183]
	ds_load_b128 v[180:183], v1 offset:1536
	v_fma_f64 v[178:179], v[178:179], v[172:173], v[231:232]
	v_fma_f64 v[176:177], v[176:177], v[172:173], -v[174:175]
	scratch_load_b128 v[172:175], off, off offset:784
	v_add_f64 v[169:170], v[169:170], v[235:236]
	v_add_f64 v[229:230], v[229:230], v[233:234]
	v_fma_f64 v[233:234], v[4:5], v[38:39], v[237:238]
	v_fma_f64 v[235:236], v[2:3], v[38:39], -v[40:41]
	scratch_load_b128 v[38:41], off, off offset:800
	ds_load_b128 v[2:5], v1 offset:1552
	s_waitcnt vmcnt(9) lgkmcnt(1)
	v_mul_f64 v[231:232], v[180:181], v[8:9]
	v_mul_f64 v[8:9], v[182:183], v[8:9]
	s_waitcnt vmcnt(8) lgkmcnt(0)
	v_mul_f64 v[237:238], v[2:3], v[12:13]
	v_mul_f64 v[12:13], v[4:5], v[12:13]
	v_add_f64 v[169:170], v[169:170], v[176:177]
	v_add_f64 v[229:230], v[229:230], v[178:179]
	ds_load_b128 v[176:179], v1 offset:1568
	v_fma_f64 v[182:183], v[182:183], v[6:7], v[231:232]
	v_fma_f64 v[180:181], v[180:181], v[6:7], -v[8:9]
	scratch_load_b128 v[6:9], off, off offset:816
	v_add_f64 v[169:170], v[169:170], v[235:236]
	v_add_f64 v[229:230], v[229:230], v[233:234]
	v_fma_f64 v[233:234], v[4:5], v[10:11], v[237:238]
	;; [unrolled: 18-line block ×3, first 2 shown]
	v_fma_f64 v[235:236], v[2:3], v[18:19], -v[20:21]
	scratch_load_b128 v[18:21], off, off offset:864
	ds_load_b128 v[2:5], v1 offset:1616
	s_waitcnt vmcnt(9) lgkmcnt(1)
	v_mul_f64 v[231:232], v[180:181], v[24:25]
	v_mul_f64 v[24:25], v[182:183], v[24:25]
	s_waitcnt vmcnt(8) lgkmcnt(0)
	v_mul_f64 v[237:238], v[2:3], v[28:29]
	v_mul_f64 v[28:29], v[4:5], v[28:29]
	v_add_f64 v[169:170], v[169:170], v[176:177]
	v_add_f64 v[229:230], v[229:230], v[178:179]
	ds_load_b128 v[176:179], v1 offset:1632
	v_fma_f64 v[182:183], v[182:183], v[22:23], v[231:232]
	v_fma_f64 v[22:23], v[180:181], v[22:23], -v[24:25]
	s_waitcnt vmcnt(7) lgkmcnt(0)
	v_mul_f64 v[180:181], v[176:177], v[32:33]
	v_mul_f64 v[32:33], v[178:179], v[32:33]
	v_add_f64 v[24:25], v[169:170], v[235:236]
	v_add_f64 v[169:170], v[229:230], v[233:234]
	v_fma_f64 v[229:230], v[4:5], v[26:27], v[237:238]
	v_fma_f64 v[26:27], v[2:3], v[26:27], -v[28:29]
	v_fma_f64 v[178:179], v[178:179], v[30:31], v[180:181]
	v_fma_f64 v[30:31], v[176:177], v[30:31], -v[32:33]
	v_add_f64 v[28:29], v[24:25], v[22:23]
	v_add_f64 v[169:170], v[169:170], v[182:183]
	ds_load_b128 v[2:5], v1 offset:1648
	ds_load_b128 v[22:25], v1 offset:1664
	s_waitcnt vmcnt(6) lgkmcnt(1)
	v_mul_f64 v[182:183], v[2:3], v[36:37]
	v_mul_f64 v[36:37], v[4:5], v[36:37]
	s_waitcnt vmcnt(5) lgkmcnt(0)
	v_mul_f64 v[32:33], v[22:23], v[174:175]
	v_add_f64 v[26:27], v[28:29], v[26:27]
	v_add_f64 v[28:29], v[169:170], v[229:230]
	v_mul_f64 v[169:170], v[24:25], v[174:175]
	v_fma_f64 v[174:175], v[4:5], v[34:35], v[182:183]
	v_fma_f64 v[34:35], v[2:3], v[34:35], -v[36:37]
	v_fma_f64 v[24:25], v[24:25], v[172:173], v[32:33]
	v_add_f64 v[30:31], v[26:27], v[30:31]
	v_add_f64 v[36:37], v[28:29], v[178:179]
	ds_load_b128 v[2:5], v1 offset:1680
	ds_load_b128 v[26:29], v1 offset:1696
	v_fma_f64 v[22:23], v[22:23], v[172:173], -v[169:170]
	s_waitcnt vmcnt(4) lgkmcnt(1)
	v_mul_f64 v[176:177], v[2:3], v[40:41]
	v_mul_f64 v[40:41], v[4:5], v[40:41]
	v_add_f64 v[30:31], v[30:31], v[34:35]
	v_add_f64 v[32:33], v[36:37], v[174:175]
	s_waitcnt vmcnt(3) lgkmcnt(0)
	v_mul_f64 v[34:35], v[26:27], v[8:9]
	v_mul_f64 v[8:9], v[28:29], v[8:9]
	v_fma_f64 v[36:37], v[4:5], v[38:39], v[176:177]
	v_fma_f64 v[38:39], v[2:3], v[38:39], -v[40:41]
	v_add_f64 v[30:31], v[30:31], v[22:23]
	v_add_f64 v[32:33], v[32:33], v[24:25]
	ds_load_b128 v[2:5], v1 offset:1712
	ds_load_b128 v[22:25], v1 offset:1728
	v_fma_f64 v[28:29], v[28:29], v[6:7], v[34:35]
	v_fma_f64 v[6:7], v[26:27], v[6:7], -v[8:9]
	s_waitcnt vmcnt(2) lgkmcnt(1)
	v_mul_f64 v[40:41], v[2:3], v[12:13]
	v_mul_f64 v[12:13], v[4:5], v[12:13]
	v_add_f64 v[8:9], v[30:31], v[38:39]
	v_add_f64 v[26:27], v[32:33], v[36:37]
	s_waitcnt vmcnt(1) lgkmcnt(0)
	v_mul_f64 v[30:31], v[22:23], v[16:17]
	v_mul_f64 v[16:17], v[24:25], v[16:17]
	v_fma_f64 v[32:33], v[4:5], v[10:11], v[40:41]
	v_fma_f64 v[10:11], v[2:3], v[10:11], -v[12:13]
	ds_load_b128 v[2:5], v1 offset:1744
	v_add_f64 v[6:7], v[8:9], v[6:7]
	v_add_f64 v[8:9], v[26:27], v[28:29]
	v_fma_f64 v[24:25], v[24:25], v[14:15], v[30:31]
	v_fma_f64 v[14:15], v[22:23], v[14:15], -v[16:17]
	s_waitcnt vmcnt(0) lgkmcnt(0)
	v_mul_f64 v[12:13], v[2:3], v[20:21]
	v_mul_f64 v[20:21], v[4:5], v[20:21]
	v_add_f64 v[6:7], v[6:7], v[10:11]
	v_add_f64 v[8:9], v[8:9], v[32:33]
	s_delay_alu instid0(VALU_DEP_4) | instskip(NEXT) | instid1(VALU_DEP_4)
	v_fma_f64 v[4:5], v[4:5], v[18:19], v[12:13]
	v_fma_f64 v[2:3], v[2:3], v[18:19], -v[20:21]
	s_delay_alu instid0(VALU_DEP_4) | instskip(NEXT) | instid1(VALU_DEP_4)
	v_add_f64 v[6:7], v[6:7], v[14:15]
	v_add_f64 v[8:9], v[8:9], v[24:25]
	s_delay_alu instid0(VALU_DEP_2) | instskip(NEXT) | instid1(VALU_DEP_2)
	v_add_f64 v[2:3], v[6:7], v[2:3]
	v_add_f64 v[4:5], v[8:9], v[4:5]
	s_delay_alu instid0(VALU_DEP_2) | instskip(NEXT) | instid1(VALU_DEP_2)
	v_add_f64 v[2:3], v[42:43], -v[2:3]
	v_add_f64 v[4:5], v[44:45], -v[4:5]
	scratch_store_b128 off, v[2:5], off offset:304
	v_cmpx_lt_u32_e32 18, v156
	s_cbranch_execz .LBB54_307
; %bb.306:
	scratch_load_b128 v[5:8], v193, off
	v_mov_b32_e32 v2, v1
	v_mov_b32_e32 v3, v1
	v_mov_b32_e32 v4, v1
	scratch_store_b128 off, v[1:4], off offset:288
	s_waitcnt vmcnt(0)
	ds_store_b128 v211, v[5:8]
.LBB54_307:
	s_or_b32 exec_lo, exec_lo, s2
	s_waitcnt lgkmcnt(0)
	s_waitcnt_vscnt null, 0x0
	s_barrier
	buffer_gl0_inv
	s_clause 0x8
	scratch_load_b128 v[2:5], off, off offset:304
	scratch_load_b128 v[6:9], off, off offset:320
	scratch_load_b128 v[10:13], off, off offset:336
	scratch_load_b128 v[14:17], off, off offset:352
	scratch_load_b128 v[18:21], off, off offset:368
	scratch_load_b128 v[22:25], off, off offset:384
	scratch_load_b128 v[26:29], off, off offset:400
	scratch_load_b128 v[30:33], off, off offset:416
	scratch_load_b128 v[34:37], off, off offset:432
	ds_load_b128 v[42:45], v1 offset:1184
	ds_load_b128 v[38:41], v1 offset:1200
	s_clause 0x1
	scratch_load_b128 v[172:175], off, off offset:288
	scratch_load_b128 v[176:179], off, off offset:448
	s_mov_b32 s2, exec_lo
	ds_load_b128 v[180:183], v1 offset:1232
	s_waitcnt vmcnt(10) lgkmcnt(2)
	v_mul_f64 v[169:170], v[44:45], v[4:5]
	v_mul_f64 v[4:5], v[42:43], v[4:5]
	s_waitcnt vmcnt(9) lgkmcnt(1)
	v_mul_f64 v[229:230], v[38:39], v[8:9]
	v_mul_f64 v[8:9], v[40:41], v[8:9]
	s_delay_alu instid0(VALU_DEP_4) | instskip(NEXT) | instid1(VALU_DEP_4)
	v_fma_f64 v[169:170], v[42:43], v[2:3], -v[169:170]
	v_fma_f64 v[231:232], v[44:45], v[2:3], v[4:5]
	ds_load_b128 v[2:5], v1 offset:1216
	scratch_load_b128 v[42:45], off, off offset:464
	v_fma_f64 v[40:41], v[40:41], v[6:7], v[229:230]
	v_fma_f64 v[38:39], v[38:39], v[6:7], -v[8:9]
	scratch_load_b128 v[6:9], off, off offset:480
	s_waitcnt vmcnt(10) lgkmcnt(0)
	v_mul_f64 v[233:234], v[2:3], v[12:13]
	v_mul_f64 v[12:13], v[4:5], v[12:13]
	v_add_f64 v[169:170], v[169:170], 0
	v_add_f64 v[229:230], v[231:232], 0
	s_waitcnt vmcnt(9)
	v_mul_f64 v[231:232], v[180:181], v[16:17]
	v_mul_f64 v[16:17], v[182:183], v[16:17]
	v_fma_f64 v[233:234], v[4:5], v[10:11], v[233:234]
	v_fma_f64 v[235:236], v[2:3], v[10:11], -v[12:13]
	ds_load_b128 v[2:5], v1 offset:1248
	scratch_load_b128 v[10:13], off, off offset:496
	v_add_f64 v[169:170], v[169:170], v[38:39]
	v_add_f64 v[229:230], v[229:230], v[40:41]
	ds_load_b128 v[38:41], v1 offset:1264
	v_fma_f64 v[182:183], v[182:183], v[14:15], v[231:232]
	v_fma_f64 v[180:181], v[180:181], v[14:15], -v[16:17]
	scratch_load_b128 v[14:17], off, off offset:512
	s_waitcnt vmcnt(10) lgkmcnt(1)
	v_mul_f64 v[237:238], v[2:3], v[20:21]
	v_mul_f64 v[20:21], v[4:5], v[20:21]
	s_waitcnt vmcnt(9) lgkmcnt(0)
	v_mul_f64 v[231:232], v[38:39], v[24:25]
	v_mul_f64 v[24:25], v[40:41], v[24:25]
	v_add_f64 v[169:170], v[169:170], v[235:236]
	v_add_f64 v[229:230], v[229:230], v[233:234]
	v_fma_f64 v[233:234], v[4:5], v[18:19], v[237:238]
	v_fma_f64 v[235:236], v[2:3], v[18:19], -v[20:21]
	ds_load_b128 v[2:5], v1 offset:1280
	scratch_load_b128 v[18:21], off, off offset:528
	v_fma_f64 v[40:41], v[40:41], v[22:23], v[231:232]
	v_fma_f64 v[38:39], v[38:39], v[22:23], -v[24:25]
	scratch_load_b128 v[22:25], off, off offset:544
	v_add_f64 v[169:170], v[169:170], v[180:181]
	v_add_f64 v[229:230], v[229:230], v[182:183]
	ds_load_b128 v[180:183], v1 offset:1296
	s_waitcnt vmcnt(10) lgkmcnt(1)
	v_mul_f64 v[237:238], v[2:3], v[28:29]
	v_mul_f64 v[28:29], v[4:5], v[28:29]
	s_waitcnt vmcnt(9) lgkmcnt(0)
	v_mul_f64 v[231:232], v[180:181], v[32:33]
	v_mul_f64 v[32:33], v[182:183], v[32:33]
	v_add_f64 v[169:170], v[169:170], v[235:236]
	v_add_f64 v[229:230], v[229:230], v[233:234]
	v_fma_f64 v[233:234], v[4:5], v[26:27], v[237:238]
	v_fma_f64 v[235:236], v[2:3], v[26:27], -v[28:29]
	ds_load_b128 v[2:5], v1 offset:1312
	scratch_load_b128 v[26:29], off, off offset:560
	v_fma_f64 v[182:183], v[182:183], v[30:31], v[231:232]
	v_fma_f64 v[180:181], v[180:181], v[30:31], -v[32:33]
	scratch_load_b128 v[30:33], off, off offset:576
	v_add_f64 v[169:170], v[169:170], v[38:39]
	v_add_f64 v[229:230], v[229:230], v[40:41]
	ds_load_b128 v[38:41], v1 offset:1328
	s_waitcnt vmcnt(10) lgkmcnt(1)
	v_mul_f64 v[237:238], v[2:3], v[36:37]
	v_mul_f64 v[36:37], v[4:5], v[36:37]
	s_waitcnt vmcnt(8) lgkmcnt(0)
	v_mul_f64 v[231:232], v[38:39], v[178:179]
	v_add_f64 v[169:170], v[169:170], v[235:236]
	v_add_f64 v[229:230], v[229:230], v[233:234]
	v_mul_f64 v[233:234], v[40:41], v[178:179]
	v_fma_f64 v[235:236], v[4:5], v[34:35], v[237:238]
	v_fma_f64 v[237:238], v[2:3], v[34:35], -v[36:37]
	ds_load_b128 v[2:5], v1 offset:1344
	scratch_load_b128 v[34:37], off, off offset:592
	v_fma_f64 v[231:232], v[40:41], v[176:177], v[231:232]
	v_add_f64 v[169:170], v[169:170], v[180:181]
	v_add_f64 v[182:183], v[229:230], v[182:183]
	ds_load_b128 v[178:181], v1 offset:1360
	v_fma_f64 v[176:177], v[38:39], v[176:177], -v[233:234]
	scratch_load_b128 v[38:41], off, off offset:608
	s_waitcnt vmcnt(9) lgkmcnt(1)
	v_mul_f64 v[229:230], v[2:3], v[44:45]
	v_mul_f64 v[44:45], v[4:5], v[44:45]
	s_waitcnt vmcnt(8) lgkmcnt(0)
	v_mul_f64 v[233:234], v[178:179], v[8:9]
	v_mul_f64 v[8:9], v[180:181], v[8:9]
	v_add_f64 v[169:170], v[169:170], v[237:238]
	v_add_f64 v[182:183], v[182:183], v[235:236]
	v_fma_f64 v[235:236], v[4:5], v[42:43], v[229:230]
	v_fma_f64 v[237:238], v[2:3], v[42:43], -v[44:45]
	ds_load_b128 v[2:5], v1 offset:1376
	scratch_load_b128 v[42:45], off, off offset:624
	v_fma_f64 v[180:181], v[180:181], v[6:7], v[233:234]
	v_fma_f64 v[178:179], v[178:179], v[6:7], -v[8:9]
	scratch_load_b128 v[6:9], off, off offset:640
	v_add_f64 v[169:170], v[169:170], v[176:177]
	v_add_f64 v[176:177], v[182:183], v[231:232]
	ds_load_b128 v[229:232], v1 offset:1392
	s_waitcnt vmcnt(9) lgkmcnt(1)
	v_mul_f64 v[182:183], v[2:3], v[12:13]
	v_mul_f64 v[12:13], v[4:5], v[12:13]
	s_waitcnt vmcnt(8) lgkmcnt(0)
	v_mul_f64 v[233:234], v[229:230], v[16:17]
	v_mul_f64 v[16:17], v[231:232], v[16:17]
	v_add_f64 v[169:170], v[169:170], v[237:238]
	v_add_f64 v[176:177], v[176:177], v[235:236]
	v_fma_f64 v[182:183], v[4:5], v[10:11], v[182:183]
	v_fma_f64 v[235:236], v[2:3], v[10:11], -v[12:13]
	ds_load_b128 v[2:5], v1 offset:1408
	scratch_load_b128 v[10:13], off, off offset:656
	v_fma_f64 v[231:232], v[231:232], v[14:15], v[233:234]
	v_fma_f64 v[229:230], v[229:230], v[14:15], -v[16:17]
	scratch_load_b128 v[14:17], off, off offset:672
	v_add_f64 v[169:170], v[169:170], v[178:179]
	v_add_f64 v[180:181], v[176:177], v[180:181]
	ds_load_b128 v[176:179], v1 offset:1424
	;; [unrolled: 18-line block ×4, first 2 shown]
	s_waitcnt vmcnt(9) lgkmcnt(1)
	v_mul_f64 v[237:238], v[2:3], v[36:37]
	v_mul_f64 v[36:37], v[4:5], v[36:37]
	v_add_f64 v[169:170], v[169:170], v[235:236]
	v_add_f64 v[229:230], v[229:230], v[231:232]
	s_waitcnt vmcnt(8) lgkmcnt(0)
	v_mul_f64 v[231:232], v[176:177], v[40:41]
	v_mul_f64 v[40:41], v[178:179], v[40:41]
	v_fma_f64 v[233:234], v[4:5], v[34:35], v[237:238]
	v_fma_f64 v[235:236], v[2:3], v[34:35], -v[36:37]
	ds_load_b128 v[2:5], v1 offset:1504
	scratch_load_b128 v[34:37], off, off offset:752
	v_add_f64 v[169:170], v[169:170], v[180:181]
	v_add_f64 v[229:230], v[229:230], v[182:183]
	ds_load_b128 v[180:183], v1 offset:1520
	s_waitcnt vmcnt(8) lgkmcnt(1)
	v_mul_f64 v[237:238], v[2:3], v[44:45]
	v_mul_f64 v[44:45], v[4:5], v[44:45]
	v_fma_f64 v[178:179], v[178:179], v[38:39], v[231:232]
	v_fma_f64 v[176:177], v[176:177], v[38:39], -v[40:41]
	scratch_load_b128 v[38:41], off, off offset:768
	s_waitcnt vmcnt(8) lgkmcnt(0)
	v_mul_f64 v[231:232], v[180:181], v[8:9]
	v_mul_f64 v[8:9], v[182:183], v[8:9]
	v_add_f64 v[169:170], v[169:170], v[235:236]
	v_add_f64 v[229:230], v[229:230], v[233:234]
	v_fma_f64 v[233:234], v[4:5], v[42:43], v[237:238]
	v_fma_f64 v[235:236], v[2:3], v[42:43], -v[44:45]
	ds_load_b128 v[2:5], v1 offset:1536
	scratch_load_b128 v[42:45], off, off offset:784
	v_fma_f64 v[182:183], v[182:183], v[6:7], v[231:232]
	v_fma_f64 v[180:181], v[180:181], v[6:7], -v[8:9]
	scratch_load_b128 v[6:9], off, off offset:800
	v_add_f64 v[169:170], v[169:170], v[176:177]
	v_add_f64 v[229:230], v[229:230], v[178:179]
	ds_load_b128 v[176:179], v1 offset:1552
	s_waitcnt vmcnt(9) lgkmcnt(1)
	v_mul_f64 v[237:238], v[2:3], v[12:13]
	v_mul_f64 v[12:13], v[4:5], v[12:13]
	s_waitcnt vmcnt(8) lgkmcnt(0)
	v_mul_f64 v[231:232], v[176:177], v[16:17]
	v_mul_f64 v[16:17], v[178:179], v[16:17]
	v_add_f64 v[169:170], v[169:170], v[235:236]
	v_add_f64 v[229:230], v[229:230], v[233:234]
	v_fma_f64 v[233:234], v[4:5], v[10:11], v[237:238]
	v_fma_f64 v[235:236], v[2:3], v[10:11], -v[12:13]
	ds_load_b128 v[2:5], v1 offset:1568
	scratch_load_b128 v[10:13], off, off offset:816
	v_fma_f64 v[178:179], v[178:179], v[14:15], v[231:232]
	v_fma_f64 v[176:177], v[176:177], v[14:15], -v[16:17]
	scratch_load_b128 v[14:17], off, off offset:832
	v_add_f64 v[169:170], v[169:170], v[180:181]
	v_add_f64 v[229:230], v[229:230], v[182:183]
	ds_load_b128 v[180:183], v1 offset:1584
	s_waitcnt vmcnt(9) lgkmcnt(1)
	v_mul_f64 v[237:238], v[2:3], v[20:21]
	v_mul_f64 v[20:21], v[4:5], v[20:21]
	;; [unrolled: 18-line block ×3, first 2 shown]
	s_waitcnt vmcnt(8) lgkmcnt(0)
	v_mul_f64 v[231:232], v[176:177], v[32:33]
	v_mul_f64 v[32:33], v[178:179], v[32:33]
	v_add_f64 v[169:170], v[169:170], v[235:236]
	v_add_f64 v[229:230], v[229:230], v[233:234]
	v_fma_f64 v[233:234], v[4:5], v[26:27], v[237:238]
	v_fma_f64 v[235:236], v[2:3], v[26:27], -v[28:29]
	ds_load_b128 v[2:5], v1 offset:1632
	ds_load_b128 v[26:29], v1 offset:1648
	v_fma_f64 v[178:179], v[178:179], v[30:31], v[231:232]
	v_fma_f64 v[30:31], v[176:177], v[30:31], -v[32:33]
	v_add_f64 v[169:170], v[169:170], v[180:181]
	v_add_f64 v[180:181], v[229:230], v[182:183]
	s_waitcnt vmcnt(7) lgkmcnt(1)
	v_mul_f64 v[182:183], v[2:3], v[36:37]
	v_mul_f64 v[36:37], v[4:5], v[36:37]
	s_waitcnt vmcnt(6) lgkmcnt(0)
	v_mul_f64 v[176:177], v[26:27], v[40:41]
	v_mul_f64 v[40:41], v[28:29], v[40:41]
	v_add_f64 v[32:33], v[169:170], v[235:236]
	v_add_f64 v[169:170], v[180:181], v[233:234]
	v_fma_f64 v[180:181], v[4:5], v[34:35], v[182:183]
	v_fma_f64 v[34:35], v[2:3], v[34:35], -v[36:37]
	v_fma_f64 v[28:29], v[28:29], v[38:39], v[176:177]
	v_fma_f64 v[26:27], v[26:27], v[38:39], -v[40:41]
	v_add_f64 v[36:37], v[32:33], v[30:31]
	v_add_f64 v[169:170], v[169:170], v[178:179]
	ds_load_b128 v[2:5], v1 offset:1664
	ds_load_b128 v[30:33], v1 offset:1680
	s_waitcnt vmcnt(5) lgkmcnt(1)
	v_mul_f64 v[178:179], v[2:3], v[44:45]
	v_mul_f64 v[44:45], v[4:5], v[44:45]
	s_waitcnt vmcnt(4) lgkmcnt(0)
	v_mul_f64 v[38:39], v[30:31], v[8:9]
	v_mul_f64 v[8:9], v[32:33], v[8:9]
	v_add_f64 v[34:35], v[36:37], v[34:35]
	v_add_f64 v[36:37], v[169:170], v[180:181]
	v_fma_f64 v[40:41], v[4:5], v[42:43], v[178:179]
	v_fma_f64 v[42:43], v[2:3], v[42:43], -v[44:45]
	v_fma_f64 v[32:33], v[32:33], v[6:7], v[38:39]
	v_fma_f64 v[6:7], v[30:31], v[6:7], -v[8:9]
	v_add_f64 v[34:35], v[34:35], v[26:27]
	v_add_f64 v[36:37], v[36:37], v[28:29]
	ds_load_b128 v[2:5], v1 offset:1696
	ds_load_b128 v[26:29], v1 offset:1712
	s_waitcnt vmcnt(3) lgkmcnt(1)
	v_mul_f64 v[44:45], v[2:3], v[12:13]
	v_mul_f64 v[12:13], v[4:5], v[12:13]
	v_add_f64 v[8:9], v[34:35], v[42:43]
	v_add_f64 v[30:31], v[36:37], v[40:41]
	s_waitcnt vmcnt(2) lgkmcnt(0)
	v_mul_f64 v[34:35], v[26:27], v[16:17]
	v_mul_f64 v[16:17], v[28:29], v[16:17]
	v_fma_f64 v[36:37], v[4:5], v[10:11], v[44:45]
	v_fma_f64 v[10:11], v[2:3], v[10:11], -v[12:13]
	v_add_f64 v[12:13], v[8:9], v[6:7]
	v_add_f64 v[30:31], v[30:31], v[32:33]
	ds_load_b128 v[2:5], v1 offset:1728
	ds_load_b128 v[6:9], v1 offset:1744
	v_fma_f64 v[28:29], v[28:29], v[14:15], v[34:35]
	v_fma_f64 v[14:15], v[26:27], v[14:15], -v[16:17]
	s_waitcnt vmcnt(1) lgkmcnt(1)
	v_mul_f64 v[32:33], v[2:3], v[20:21]
	v_mul_f64 v[20:21], v[4:5], v[20:21]
	s_waitcnt vmcnt(0) lgkmcnt(0)
	v_mul_f64 v[16:17], v[6:7], v[24:25]
	v_mul_f64 v[24:25], v[8:9], v[24:25]
	v_add_f64 v[10:11], v[12:13], v[10:11]
	v_add_f64 v[12:13], v[30:31], v[36:37]
	v_fma_f64 v[4:5], v[4:5], v[18:19], v[32:33]
	v_fma_f64 v[1:2], v[2:3], v[18:19], -v[20:21]
	v_fma_f64 v[8:9], v[8:9], v[22:23], v[16:17]
	v_fma_f64 v[6:7], v[6:7], v[22:23], -v[24:25]
	v_add_f64 v[10:11], v[10:11], v[14:15]
	v_add_f64 v[12:13], v[12:13], v[28:29]
	s_delay_alu instid0(VALU_DEP_2) | instskip(NEXT) | instid1(VALU_DEP_2)
	v_add_f64 v[1:2], v[10:11], v[1:2]
	v_add_f64 v[3:4], v[12:13], v[4:5]
	s_delay_alu instid0(VALU_DEP_2) | instskip(NEXT) | instid1(VALU_DEP_2)
	;; [unrolled: 3-line block ×3, first 2 shown]
	v_add_f64 v[1:2], v[172:173], -v[1:2]
	v_add_f64 v[3:4], v[174:175], -v[3:4]
	scratch_store_b128 off, v[1:4], off offset:288
	v_cmpx_lt_u32_e32 17, v156
	s_cbranch_execz .LBB54_309
; %bb.308:
	scratch_load_b128 v[1:4], v194, off
	v_mov_b32_e32 v5, 0
	s_delay_alu instid0(VALU_DEP_1)
	v_mov_b32_e32 v6, v5
	v_mov_b32_e32 v7, v5
	;; [unrolled: 1-line block ×3, first 2 shown]
	scratch_store_b128 off, v[5:8], off offset:272
	s_waitcnt vmcnt(0)
	ds_store_b128 v211, v[1:4]
.LBB54_309:
	s_or_b32 exec_lo, exec_lo, s2
	s_waitcnt lgkmcnt(0)
	s_waitcnt_vscnt null, 0x0
	s_barrier
	buffer_gl0_inv
	s_clause 0x7
	scratch_load_b128 v[2:5], off, off offset:288
	scratch_load_b128 v[6:9], off, off offset:304
	;; [unrolled: 1-line block ×8, first 2 shown]
	v_mov_b32_e32 v1, 0
	s_mov_b32 s2, exec_lo
	ds_load_b128 v[38:41], v1 offset:1168
	s_clause 0x1
	scratch_load_b128 v[34:37], off, off offset:416
	scratch_load_b128 v[42:45], off, off offset:272
	ds_load_b128 v[172:175], v1 offset:1184
	scratch_load_b128 v[176:179], off, off offset:432
	ds_load_b128 v[180:183], v1 offset:1216
	s_waitcnt vmcnt(10) lgkmcnt(2)
	v_mul_f64 v[169:170], v[40:41], v[4:5]
	v_mul_f64 v[4:5], v[38:39], v[4:5]
	s_delay_alu instid0(VALU_DEP_2) | instskip(NEXT) | instid1(VALU_DEP_2)
	v_fma_f64 v[169:170], v[38:39], v[2:3], -v[169:170]
	v_fma_f64 v[231:232], v[40:41], v[2:3], v[4:5]
	ds_load_b128 v[2:5], v1 offset:1200
	s_waitcnt vmcnt(9) lgkmcnt(2)
	v_mul_f64 v[229:230], v[172:173], v[8:9]
	v_mul_f64 v[8:9], v[174:175], v[8:9]
	scratch_load_b128 v[38:41], off, off offset:448
	s_waitcnt vmcnt(9) lgkmcnt(0)
	v_mul_f64 v[233:234], v[2:3], v[12:13]
	v_mul_f64 v[12:13], v[4:5], v[12:13]
	v_add_f64 v[169:170], v[169:170], 0
	v_fma_f64 v[174:175], v[174:175], v[6:7], v[229:230]
	v_fma_f64 v[172:173], v[172:173], v[6:7], -v[8:9]
	v_add_f64 v[229:230], v[231:232], 0
	scratch_load_b128 v[6:9], off, off offset:464
	v_fma_f64 v[233:234], v[4:5], v[10:11], v[233:234]
	v_fma_f64 v[235:236], v[2:3], v[10:11], -v[12:13]
	scratch_load_b128 v[10:13], off, off offset:480
	ds_load_b128 v[2:5], v1 offset:1232
	s_waitcnt vmcnt(10)
	v_mul_f64 v[231:232], v[180:181], v[16:17]
	v_mul_f64 v[16:17], v[182:183], v[16:17]
	v_add_f64 v[169:170], v[169:170], v[172:173]
	v_add_f64 v[229:230], v[229:230], v[174:175]
	ds_load_b128 v[172:175], v1 offset:1248
	s_waitcnt vmcnt(9) lgkmcnt(1)
	v_mul_f64 v[237:238], v[2:3], v[20:21]
	v_mul_f64 v[20:21], v[4:5], v[20:21]
	v_fma_f64 v[182:183], v[182:183], v[14:15], v[231:232]
	v_fma_f64 v[180:181], v[180:181], v[14:15], -v[16:17]
	scratch_load_b128 v[14:17], off, off offset:496
	v_add_f64 v[169:170], v[169:170], v[235:236]
	v_add_f64 v[229:230], v[229:230], v[233:234]
	v_fma_f64 v[233:234], v[4:5], v[18:19], v[237:238]
	v_fma_f64 v[235:236], v[2:3], v[18:19], -v[20:21]
	scratch_load_b128 v[18:21], off, off offset:512
	ds_load_b128 v[2:5], v1 offset:1264
	s_waitcnt vmcnt(10) lgkmcnt(1)
	v_mul_f64 v[231:232], v[172:173], v[24:25]
	v_mul_f64 v[24:25], v[174:175], v[24:25]
	s_waitcnt vmcnt(9) lgkmcnt(0)
	v_mul_f64 v[237:238], v[2:3], v[28:29]
	v_mul_f64 v[28:29], v[4:5], v[28:29]
	v_add_f64 v[169:170], v[169:170], v[180:181]
	v_add_f64 v[229:230], v[229:230], v[182:183]
	ds_load_b128 v[180:183], v1 offset:1280
	v_fma_f64 v[174:175], v[174:175], v[22:23], v[231:232]
	v_fma_f64 v[172:173], v[172:173], v[22:23], -v[24:25]
	scratch_load_b128 v[22:25], off, off offset:528
	v_add_f64 v[169:170], v[169:170], v[235:236]
	v_add_f64 v[229:230], v[229:230], v[233:234]
	v_fma_f64 v[233:234], v[4:5], v[26:27], v[237:238]
	v_fma_f64 v[235:236], v[2:3], v[26:27], -v[28:29]
	scratch_load_b128 v[26:29], off, off offset:544
	ds_load_b128 v[2:5], v1 offset:1296
	s_waitcnt vmcnt(10) lgkmcnt(1)
	v_mul_f64 v[231:232], v[180:181], v[32:33]
	v_mul_f64 v[32:33], v[182:183], v[32:33]
	s_waitcnt vmcnt(9) lgkmcnt(0)
	v_mul_f64 v[237:238], v[2:3], v[36:37]
	v_mul_f64 v[36:37], v[4:5], v[36:37]
	v_add_f64 v[169:170], v[169:170], v[172:173]
	v_add_f64 v[229:230], v[229:230], v[174:175]
	ds_load_b128 v[172:175], v1 offset:1312
	v_fma_f64 v[182:183], v[182:183], v[30:31], v[231:232]
	v_fma_f64 v[180:181], v[180:181], v[30:31], -v[32:33]
	scratch_load_b128 v[30:33], off, off offset:560
	v_add_f64 v[169:170], v[169:170], v[235:236]
	v_add_f64 v[229:230], v[229:230], v[233:234]
	v_fma_f64 v[235:236], v[4:5], v[34:35], v[237:238]
	v_fma_f64 v[237:238], v[2:3], v[34:35], -v[36:37]
	scratch_load_b128 v[34:37], off, off offset:576
	ds_load_b128 v[2:5], v1 offset:1328
	s_waitcnt vmcnt(9) lgkmcnt(1)
	v_mul_f64 v[231:232], v[172:173], v[178:179]
	v_mul_f64 v[233:234], v[174:175], v[178:179]
	v_add_f64 v[169:170], v[169:170], v[180:181]
	v_add_f64 v[182:183], v[229:230], v[182:183]
	ds_load_b128 v[178:181], v1 offset:1344
	v_fma_f64 v[231:232], v[174:175], v[176:177], v[231:232]
	v_fma_f64 v[176:177], v[172:173], v[176:177], -v[233:234]
	scratch_load_b128 v[172:175], off, off offset:592
	s_waitcnt vmcnt(9) lgkmcnt(1)
	v_mul_f64 v[229:230], v[2:3], v[40:41]
	v_mul_f64 v[40:41], v[4:5], v[40:41]
	v_add_f64 v[169:170], v[169:170], v[237:238]
	v_add_f64 v[182:183], v[182:183], v[235:236]
	s_delay_alu instid0(VALU_DEP_4) | instskip(NEXT) | instid1(VALU_DEP_4)
	v_fma_f64 v[235:236], v[4:5], v[38:39], v[229:230]
	v_fma_f64 v[237:238], v[2:3], v[38:39], -v[40:41]
	scratch_load_b128 v[38:41], off, off offset:608
	ds_load_b128 v[2:5], v1 offset:1360
	s_waitcnt vmcnt(9) lgkmcnt(1)
	v_mul_f64 v[233:234], v[178:179], v[8:9]
	v_mul_f64 v[8:9], v[180:181], v[8:9]
	v_add_f64 v[169:170], v[169:170], v[176:177]
	v_add_f64 v[176:177], v[182:183], v[231:232]
	s_waitcnt vmcnt(8) lgkmcnt(0)
	v_mul_f64 v[182:183], v[2:3], v[12:13]
	v_mul_f64 v[12:13], v[4:5], v[12:13]
	ds_load_b128 v[229:232], v1 offset:1376
	v_fma_f64 v[180:181], v[180:181], v[6:7], v[233:234]
	v_fma_f64 v[178:179], v[178:179], v[6:7], -v[8:9]
	scratch_load_b128 v[6:9], off, off offset:624
	v_add_f64 v[169:170], v[169:170], v[237:238]
	v_add_f64 v[176:177], v[176:177], v[235:236]
	v_fma_f64 v[182:183], v[4:5], v[10:11], v[182:183]
	v_fma_f64 v[235:236], v[2:3], v[10:11], -v[12:13]
	scratch_load_b128 v[10:13], off, off offset:640
	ds_load_b128 v[2:5], v1 offset:1392
	s_waitcnt vmcnt(9) lgkmcnt(1)
	v_mul_f64 v[233:234], v[229:230], v[16:17]
	v_mul_f64 v[16:17], v[231:232], v[16:17]
	s_waitcnt vmcnt(8) lgkmcnt(0)
	v_mul_f64 v[237:238], v[2:3], v[20:21]
	v_mul_f64 v[20:21], v[4:5], v[20:21]
	v_add_f64 v[169:170], v[169:170], v[178:179]
	v_add_f64 v[180:181], v[176:177], v[180:181]
	ds_load_b128 v[176:179], v1 offset:1408
	v_fma_f64 v[231:232], v[231:232], v[14:15], v[233:234]
	v_fma_f64 v[229:230], v[229:230], v[14:15], -v[16:17]
	scratch_load_b128 v[14:17], off, off offset:656
	v_add_f64 v[169:170], v[169:170], v[235:236]
	v_add_f64 v[180:181], v[180:181], v[182:183]
	v_fma_f64 v[235:236], v[4:5], v[18:19], v[237:238]
	v_fma_f64 v[237:238], v[2:3], v[18:19], -v[20:21]
	scratch_load_b128 v[18:21], off, off offset:672
	ds_load_b128 v[2:5], v1 offset:1424
	s_waitcnt vmcnt(9) lgkmcnt(1)
	v_mul_f64 v[233:234], v[176:177], v[24:25]
	v_mul_f64 v[24:25], v[178:179], v[24:25]
	v_add_f64 v[169:170], v[169:170], v[229:230]
	v_add_f64 v[229:230], v[180:181], v[231:232]
	s_waitcnt vmcnt(8) lgkmcnt(0)
	v_mul_f64 v[231:232], v[2:3], v[28:29]
	v_mul_f64 v[28:29], v[4:5], v[28:29]
	ds_load_b128 v[180:183], v1 offset:1440
	v_fma_f64 v[178:179], v[178:179], v[22:23], v[233:234]
	v_fma_f64 v[176:177], v[176:177], v[22:23], -v[24:25]
	scratch_load_b128 v[22:25], off, off offset:688
	v_add_f64 v[169:170], v[169:170], v[237:238]
	v_add_f64 v[229:230], v[229:230], v[235:236]
	v_fma_f64 v[231:232], v[4:5], v[26:27], v[231:232]
	v_fma_f64 v[235:236], v[2:3], v[26:27], -v[28:29]
	scratch_load_b128 v[26:29], off, off offset:704
	ds_load_b128 v[2:5], v1 offset:1456
	s_waitcnt vmcnt(9) lgkmcnt(1)
	v_mul_f64 v[233:234], v[180:181], v[32:33]
	v_mul_f64 v[32:33], v[182:183], v[32:33]
	s_waitcnt vmcnt(8) lgkmcnt(0)
	v_mul_f64 v[237:238], v[2:3], v[36:37]
	v_mul_f64 v[36:37], v[4:5], v[36:37]
	v_add_f64 v[169:170], v[169:170], v[176:177]
	v_add_f64 v[229:230], v[229:230], v[178:179]
	ds_load_b128 v[176:179], v1 offset:1472
	v_fma_f64 v[182:183], v[182:183], v[30:31], v[233:234]
	v_fma_f64 v[180:181], v[180:181], v[30:31], -v[32:33]
	scratch_load_b128 v[30:33], off, off offset:720
	v_fma_f64 v[233:234], v[4:5], v[34:35], v[237:238]
	v_add_f64 v[169:170], v[169:170], v[235:236]
	v_add_f64 v[229:230], v[229:230], v[231:232]
	v_fma_f64 v[235:236], v[2:3], v[34:35], -v[36:37]
	scratch_load_b128 v[34:37], off, off offset:736
	ds_load_b128 v[2:5], v1 offset:1488
	s_waitcnt vmcnt(9) lgkmcnt(1)
	v_mul_f64 v[231:232], v[176:177], v[174:175]
	v_mul_f64 v[174:175], v[178:179], v[174:175]
	s_waitcnt vmcnt(8) lgkmcnt(0)
	v_mul_f64 v[237:238], v[2:3], v[40:41]
	v_mul_f64 v[40:41], v[4:5], v[40:41]
	v_add_f64 v[169:170], v[169:170], v[180:181]
	v_add_f64 v[229:230], v[229:230], v[182:183]
	ds_load_b128 v[180:183], v1 offset:1504
	v_fma_f64 v[178:179], v[178:179], v[172:173], v[231:232]
	v_fma_f64 v[176:177], v[176:177], v[172:173], -v[174:175]
	scratch_load_b128 v[172:175], off, off offset:752
	v_add_f64 v[169:170], v[169:170], v[235:236]
	v_add_f64 v[229:230], v[229:230], v[233:234]
	v_fma_f64 v[233:234], v[4:5], v[38:39], v[237:238]
	v_fma_f64 v[235:236], v[2:3], v[38:39], -v[40:41]
	scratch_load_b128 v[38:41], off, off offset:768
	ds_load_b128 v[2:5], v1 offset:1520
	s_waitcnt vmcnt(9) lgkmcnt(1)
	v_mul_f64 v[231:232], v[180:181], v[8:9]
	v_mul_f64 v[8:9], v[182:183], v[8:9]
	s_waitcnt vmcnt(8) lgkmcnt(0)
	v_mul_f64 v[237:238], v[2:3], v[12:13]
	v_mul_f64 v[12:13], v[4:5], v[12:13]
	v_add_f64 v[169:170], v[169:170], v[176:177]
	v_add_f64 v[229:230], v[229:230], v[178:179]
	ds_load_b128 v[176:179], v1 offset:1536
	v_fma_f64 v[182:183], v[182:183], v[6:7], v[231:232]
	v_fma_f64 v[180:181], v[180:181], v[6:7], -v[8:9]
	scratch_load_b128 v[6:9], off, off offset:784
	v_add_f64 v[169:170], v[169:170], v[235:236]
	v_add_f64 v[229:230], v[229:230], v[233:234]
	v_fma_f64 v[233:234], v[4:5], v[10:11], v[237:238]
	;; [unrolled: 18-line block ×4, first 2 shown]
	v_fma_f64 v[235:236], v[2:3], v[26:27], -v[28:29]
	scratch_load_b128 v[26:29], off, off offset:864
	ds_load_b128 v[2:5], v1 offset:1616
	s_waitcnt vmcnt(9) lgkmcnt(1)
	v_mul_f64 v[231:232], v[176:177], v[32:33]
	v_mul_f64 v[32:33], v[178:179], v[32:33]
	s_waitcnt vmcnt(8) lgkmcnt(0)
	v_mul_f64 v[237:238], v[2:3], v[36:37]
	v_mul_f64 v[36:37], v[4:5], v[36:37]
	v_add_f64 v[169:170], v[169:170], v[180:181]
	v_add_f64 v[229:230], v[229:230], v[182:183]
	ds_load_b128 v[180:183], v1 offset:1632
	v_fma_f64 v[178:179], v[178:179], v[30:31], v[231:232]
	v_fma_f64 v[30:31], v[176:177], v[30:31], -v[32:33]
	s_waitcnt vmcnt(7) lgkmcnt(0)
	v_mul_f64 v[176:177], v[180:181], v[174:175]
	v_mul_f64 v[174:175], v[182:183], v[174:175]
	v_add_f64 v[32:33], v[169:170], v[235:236]
	v_add_f64 v[169:170], v[229:230], v[233:234]
	v_fma_f64 v[229:230], v[4:5], v[34:35], v[237:238]
	v_fma_f64 v[34:35], v[2:3], v[34:35], -v[36:37]
	v_fma_f64 v[176:177], v[182:183], v[172:173], v[176:177]
	v_fma_f64 v[172:173], v[180:181], v[172:173], -v[174:175]
	v_add_f64 v[36:37], v[32:33], v[30:31]
	v_add_f64 v[169:170], v[169:170], v[178:179]
	ds_load_b128 v[2:5], v1 offset:1648
	ds_load_b128 v[30:33], v1 offset:1664
	s_waitcnt vmcnt(6) lgkmcnt(1)
	v_mul_f64 v[178:179], v[2:3], v[40:41]
	v_mul_f64 v[40:41], v[4:5], v[40:41]
	v_add_f64 v[34:35], v[36:37], v[34:35]
	v_add_f64 v[36:37], v[169:170], v[229:230]
	s_waitcnt vmcnt(5) lgkmcnt(0)
	v_mul_f64 v[169:170], v[30:31], v[8:9]
	v_mul_f64 v[8:9], v[32:33], v[8:9]
	v_fma_f64 v[174:175], v[4:5], v[38:39], v[178:179]
	v_fma_f64 v[38:39], v[2:3], v[38:39], -v[40:41]
	v_add_f64 v[40:41], v[34:35], v[172:173]
	v_add_f64 v[172:173], v[36:37], v[176:177]
	ds_load_b128 v[2:5], v1 offset:1680
	ds_load_b128 v[34:37], v1 offset:1696
	v_fma_f64 v[32:33], v[32:33], v[6:7], v[169:170]
	v_fma_f64 v[6:7], v[30:31], v[6:7], -v[8:9]
	s_waitcnt vmcnt(4) lgkmcnt(1)
	v_mul_f64 v[176:177], v[2:3], v[12:13]
	v_mul_f64 v[12:13], v[4:5], v[12:13]
	v_add_f64 v[8:9], v[40:41], v[38:39]
	v_add_f64 v[30:31], v[172:173], v[174:175]
	s_waitcnt vmcnt(3) lgkmcnt(0)
	v_mul_f64 v[38:39], v[34:35], v[16:17]
	v_mul_f64 v[16:17], v[36:37], v[16:17]
	v_fma_f64 v[40:41], v[4:5], v[10:11], v[176:177]
	v_fma_f64 v[10:11], v[2:3], v[10:11], -v[12:13]
	v_add_f64 v[12:13], v[8:9], v[6:7]
	v_add_f64 v[30:31], v[30:31], v[32:33]
	ds_load_b128 v[2:5], v1 offset:1712
	ds_load_b128 v[6:9], v1 offset:1728
	v_fma_f64 v[36:37], v[36:37], v[14:15], v[38:39]
	v_fma_f64 v[14:15], v[34:35], v[14:15], -v[16:17]
	s_waitcnt vmcnt(2) lgkmcnt(1)
	v_mul_f64 v[32:33], v[2:3], v[20:21]
	v_mul_f64 v[20:21], v[4:5], v[20:21]
	s_waitcnt vmcnt(1) lgkmcnt(0)
	v_mul_f64 v[16:17], v[6:7], v[24:25]
	v_mul_f64 v[24:25], v[8:9], v[24:25]
	v_add_f64 v[10:11], v[12:13], v[10:11]
	v_add_f64 v[12:13], v[30:31], v[40:41]
	v_fma_f64 v[30:31], v[4:5], v[18:19], v[32:33]
	v_fma_f64 v[18:19], v[2:3], v[18:19], -v[20:21]
	ds_load_b128 v[2:5], v1 offset:1744
	v_fma_f64 v[8:9], v[8:9], v[22:23], v[16:17]
	v_fma_f64 v[6:7], v[6:7], v[22:23], -v[24:25]
	v_add_f64 v[10:11], v[10:11], v[14:15]
	v_add_f64 v[12:13], v[12:13], v[36:37]
	s_waitcnt vmcnt(0) lgkmcnt(0)
	v_mul_f64 v[14:15], v[2:3], v[28:29]
	v_mul_f64 v[20:21], v[4:5], v[28:29]
	s_delay_alu instid0(VALU_DEP_4) | instskip(NEXT) | instid1(VALU_DEP_4)
	v_add_f64 v[10:11], v[10:11], v[18:19]
	v_add_f64 v[12:13], v[12:13], v[30:31]
	s_delay_alu instid0(VALU_DEP_4) | instskip(NEXT) | instid1(VALU_DEP_4)
	v_fma_f64 v[4:5], v[4:5], v[26:27], v[14:15]
	v_fma_f64 v[2:3], v[2:3], v[26:27], -v[20:21]
	s_delay_alu instid0(VALU_DEP_4) | instskip(NEXT) | instid1(VALU_DEP_4)
	v_add_f64 v[6:7], v[10:11], v[6:7]
	v_add_f64 v[8:9], v[12:13], v[8:9]
	s_delay_alu instid0(VALU_DEP_2) | instskip(NEXT) | instid1(VALU_DEP_2)
	v_add_f64 v[2:3], v[6:7], v[2:3]
	v_add_f64 v[4:5], v[8:9], v[4:5]
	s_delay_alu instid0(VALU_DEP_2) | instskip(NEXT) | instid1(VALU_DEP_2)
	v_add_f64 v[2:3], v[42:43], -v[2:3]
	v_add_f64 v[4:5], v[44:45], -v[4:5]
	scratch_store_b128 off, v[2:5], off offset:272
	v_cmpx_lt_u32_e32 16, v156
	s_cbranch_execz .LBB54_311
; %bb.310:
	scratch_load_b128 v[5:8], v195, off
	v_mov_b32_e32 v2, v1
	v_mov_b32_e32 v3, v1
	;; [unrolled: 1-line block ×3, first 2 shown]
	scratch_store_b128 off, v[1:4], off offset:256
	s_waitcnt vmcnt(0)
	ds_store_b128 v211, v[5:8]
.LBB54_311:
	s_or_b32 exec_lo, exec_lo, s2
	s_waitcnt lgkmcnt(0)
	s_waitcnt_vscnt null, 0x0
	s_barrier
	buffer_gl0_inv
	s_clause 0x8
	scratch_load_b128 v[2:5], off, off offset:272
	scratch_load_b128 v[6:9], off, off offset:288
	;; [unrolled: 1-line block ×9, first 2 shown]
	ds_load_b128 v[42:45], v1 offset:1152
	ds_load_b128 v[38:41], v1 offset:1168
	s_clause 0x1
	scratch_load_b128 v[172:175], off, off offset:256
	scratch_load_b128 v[176:179], off, off offset:416
	s_mov_b32 s2, exec_lo
	ds_load_b128 v[180:183], v1 offset:1200
	s_waitcnt vmcnt(10) lgkmcnt(2)
	v_mul_f64 v[169:170], v[44:45], v[4:5]
	v_mul_f64 v[4:5], v[42:43], v[4:5]
	s_waitcnt vmcnt(9) lgkmcnt(1)
	v_mul_f64 v[229:230], v[38:39], v[8:9]
	v_mul_f64 v[8:9], v[40:41], v[8:9]
	s_delay_alu instid0(VALU_DEP_4) | instskip(NEXT) | instid1(VALU_DEP_4)
	v_fma_f64 v[169:170], v[42:43], v[2:3], -v[169:170]
	v_fma_f64 v[231:232], v[44:45], v[2:3], v[4:5]
	ds_load_b128 v[2:5], v1 offset:1184
	scratch_load_b128 v[42:45], off, off offset:432
	v_fma_f64 v[40:41], v[40:41], v[6:7], v[229:230]
	v_fma_f64 v[38:39], v[38:39], v[6:7], -v[8:9]
	scratch_load_b128 v[6:9], off, off offset:448
	s_waitcnt vmcnt(10) lgkmcnt(0)
	v_mul_f64 v[233:234], v[2:3], v[12:13]
	v_mul_f64 v[12:13], v[4:5], v[12:13]
	v_add_f64 v[169:170], v[169:170], 0
	v_add_f64 v[229:230], v[231:232], 0
	s_waitcnt vmcnt(9)
	v_mul_f64 v[231:232], v[180:181], v[16:17]
	v_mul_f64 v[16:17], v[182:183], v[16:17]
	v_fma_f64 v[233:234], v[4:5], v[10:11], v[233:234]
	v_fma_f64 v[235:236], v[2:3], v[10:11], -v[12:13]
	ds_load_b128 v[2:5], v1 offset:1216
	scratch_load_b128 v[10:13], off, off offset:464
	v_add_f64 v[169:170], v[169:170], v[38:39]
	v_add_f64 v[229:230], v[229:230], v[40:41]
	ds_load_b128 v[38:41], v1 offset:1232
	v_fma_f64 v[182:183], v[182:183], v[14:15], v[231:232]
	v_fma_f64 v[180:181], v[180:181], v[14:15], -v[16:17]
	scratch_load_b128 v[14:17], off, off offset:480
	s_waitcnt vmcnt(10) lgkmcnt(1)
	v_mul_f64 v[237:238], v[2:3], v[20:21]
	v_mul_f64 v[20:21], v[4:5], v[20:21]
	s_waitcnt vmcnt(9) lgkmcnt(0)
	v_mul_f64 v[231:232], v[38:39], v[24:25]
	v_mul_f64 v[24:25], v[40:41], v[24:25]
	v_add_f64 v[169:170], v[169:170], v[235:236]
	v_add_f64 v[229:230], v[229:230], v[233:234]
	v_fma_f64 v[233:234], v[4:5], v[18:19], v[237:238]
	v_fma_f64 v[235:236], v[2:3], v[18:19], -v[20:21]
	ds_load_b128 v[2:5], v1 offset:1248
	scratch_load_b128 v[18:21], off, off offset:496
	v_fma_f64 v[40:41], v[40:41], v[22:23], v[231:232]
	v_fma_f64 v[38:39], v[38:39], v[22:23], -v[24:25]
	scratch_load_b128 v[22:25], off, off offset:512
	v_add_f64 v[169:170], v[169:170], v[180:181]
	v_add_f64 v[229:230], v[229:230], v[182:183]
	ds_load_b128 v[180:183], v1 offset:1264
	s_waitcnt vmcnt(10) lgkmcnt(1)
	v_mul_f64 v[237:238], v[2:3], v[28:29]
	v_mul_f64 v[28:29], v[4:5], v[28:29]
	s_waitcnt vmcnt(9) lgkmcnt(0)
	v_mul_f64 v[231:232], v[180:181], v[32:33]
	v_mul_f64 v[32:33], v[182:183], v[32:33]
	v_add_f64 v[169:170], v[169:170], v[235:236]
	v_add_f64 v[229:230], v[229:230], v[233:234]
	v_fma_f64 v[233:234], v[4:5], v[26:27], v[237:238]
	v_fma_f64 v[235:236], v[2:3], v[26:27], -v[28:29]
	ds_load_b128 v[2:5], v1 offset:1280
	scratch_load_b128 v[26:29], off, off offset:528
	v_fma_f64 v[182:183], v[182:183], v[30:31], v[231:232]
	v_fma_f64 v[180:181], v[180:181], v[30:31], -v[32:33]
	scratch_load_b128 v[30:33], off, off offset:544
	v_add_f64 v[169:170], v[169:170], v[38:39]
	v_add_f64 v[229:230], v[229:230], v[40:41]
	ds_load_b128 v[38:41], v1 offset:1296
	s_waitcnt vmcnt(10) lgkmcnt(1)
	v_mul_f64 v[237:238], v[2:3], v[36:37]
	v_mul_f64 v[36:37], v[4:5], v[36:37]
	s_waitcnt vmcnt(8) lgkmcnt(0)
	v_mul_f64 v[231:232], v[38:39], v[178:179]
	v_add_f64 v[169:170], v[169:170], v[235:236]
	v_add_f64 v[229:230], v[229:230], v[233:234]
	v_mul_f64 v[233:234], v[40:41], v[178:179]
	v_fma_f64 v[235:236], v[4:5], v[34:35], v[237:238]
	v_fma_f64 v[237:238], v[2:3], v[34:35], -v[36:37]
	ds_load_b128 v[2:5], v1 offset:1312
	scratch_load_b128 v[34:37], off, off offset:560
	v_fma_f64 v[231:232], v[40:41], v[176:177], v[231:232]
	v_add_f64 v[169:170], v[169:170], v[180:181]
	v_add_f64 v[182:183], v[229:230], v[182:183]
	ds_load_b128 v[178:181], v1 offset:1328
	v_fma_f64 v[176:177], v[38:39], v[176:177], -v[233:234]
	scratch_load_b128 v[38:41], off, off offset:576
	s_waitcnt vmcnt(9) lgkmcnt(1)
	v_mul_f64 v[229:230], v[2:3], v[44:45]
	v_mul_f64 v[44:45], v[4:5], v[44:45]
	s_waitcnt vmcnt(8) lgkmcnt(0)
	v_mul_f64 v[233:234], v[178:179], v[8:9]
	v_mul_f64 v[8:9], v[180:181], v[8:9]
	v_add_f64 v[169:170], v[169:170], v[237:238]
	v_add_f64 v[182:183], v[182:183], v[235:236]
	v_fma_f64 v[235:236], v[4:5], v[42:43], v[229:230]
	v_fma_f64 v[237:238], v[2:3], v[42:43], -v[44:45]
	ds_load_b128 v[2:5], v1 offset:1344
	scratch_load_b128 v[42:45], off, off offset:592
	v_fma_f64 v[180:181], v[180:181], v[6:7], v[233:234]
	v_fma_f64 v[178:179], v[178:179], v[6:7], -v[8:9]
	scratch_load_b128 v[6:9], off, off offset:608
	v_add_f64 v[169:170], v[169:170], v[176:177]
	v_add_f64 v[176:177], v[182:183], v[231:232]
	ds_load_b128 v[229:232], v1 offset:1360
	s_waitcnt vmcnt(9) lgkmcnt(1)
	v_mul_f64 v[182:183], v[2:3], v[12:13]
	v_mul_f64 v[12:13], v[4:5], v[12:13]
	s_waitcnt vmcnt(8) lgkmcnt(0)
	v_mul_f64 v[233:234], v[229:230], v[16:17]
	v_mul_f64 v[16:17], v[231:232], v[16:17]
	v_add_f64 v[169:170], v[169:170], v[237:238]
	v_add_f64 v[176:177], v[176:177], v[235:236]
	v_fma_f64 v[182:183], v[4:5], v[10:11], v[182:183]
	v_fma_f64 v[235:236], v[2:3], v[10:11], -v[12:13]
	ds_load_b128 v[2:5], v1 offset:1376
	scratch_load_b128 v[10:13], off, off offset:624
	v_fma_f64 v[231:232], v[231:232], v[14:15], v[233:234]
	v_fma_f64 v[229:230], v[229:230], v[14:15], -v[16:17]
	scratch_load_b128 v[14:17], off, off offset:640
	v_add_f64 v[169:170], v[169:170], v[178:179]
	v_add_f64 v[180:181], v[176:177], v[180:181]
	ds_load_b128 v[176:179], v1 offset:1392
	;; [unrolled: 18-line block ×4, first 2 shown]
	s_waitcnt vmcnt(9) lgkmcnt(1)
	v_mul_f64 v[237:238], v[2:3], v[36:37]
	v_mul_f64 v[36:37], v[4:5], v[36:37]
	v_add_f64 v[169:170], v[169:170], v[235:236]
	v_add_f64 v[229:230], v[229:230], v[231:232]
	s_waitcnt vmcnt(8) lgkmcnt(0)
	v_mul_f64 v[231:232], v[176:177], v[40:41]
	v_mul_f64 v[40:41], v[178:179], v[40:41]
	v_fma_f64 v[233:234], v[4:5], v[34:35], v[237:238]
	v_fma_f64 v[235:236], v[2:3], v[34:35], -v[36:37]
	ds_load_b128 v[2:5], v1 offset:1472
	scratch_load_b128 v[34:37], off, off offset:720
	v_add_f64 v[169:170], v[169:170], v[180:181]
	v_add_f64 v[229:230], v[229:230], v[182:183]
	ds_load_b128 v[180:183], v1 offset:1488
	s_waitcnt vmcnt(8) lgkmcnt(1)
	v_mul_f64 v[237:238], v[2:3], v[44:45]
	v_mul_f64 v[44:45], v[4:5], v[44:45]
	v_fma_f64 v[178:179], v[178:179], v[38:39], v[231:232]
	v_fma_f64 v[176:177], v[176:177], v[38:39], -v[40:41]
	scratch_load_b128 v[38:41], off, off offset:736
	s_waitcnt vmcnt(8) lgkmcnt(0)
	v_mul_f64 v[231:232], v[180:181], v[8:9]
	v_mul_f64 v[8:9], v[182:183], v[8:9]
	v_add_f64 v[169:170], v[169:170], v[235:236]
	v_add_f64 v[229:230], v[229:230], v[233:234]
	v_fma_f64 v[233:234], v[4:5], v[42:43], v[237:238]
	v_fma_f64 v[235:236], v[2:3], v[42:43], -v[44:45]
	ds_load_b128 v[2:5], v1 offset:1504
	scratch_load_b128 v[42:45], off, off offset:752
	v_fma_f64 v[182:183], v[182:183], v[6:7], v[231:232]
	v_fma_f64 v[180:181], v[180:181], v[6:7], -v[8:9]
	scratch_load_b128 v[6:9], off, off offset:768
	v_add_f64 v[169:170], v[169:170], v[176:177]
	v_add_f64 v[229:230], v[229:230], v[178:179]
	ds_load_b128 v[176:179], v1 offset:1520
	s_waitcnt vmcnt(9) lgkmcnt(1)
	v_mul_f64 v[237:238], v[2:3], v[12:13]
	v_mul_f64 v[12:13], v[4:5], v[12:13]
	s_waitcnt vmcnt(8) lgkmcnt(0)
	v_mul_f64 v[231:232], v[176:177], v[16:17]
	v_mul_f64 v[16:17], v[178:179], v[16:17]
	v_add_f64 v[169:170], v[169:170], v[235:236]
	v_add_f64 v[229:230], v[229:230], v[233:234]
	v_fma_f64 v[233:234], v[4:5], v[10:11], v[237:238]
	v_fma_f64 v[235:236], v[2:3], v[10:11], -v[12:13]
	ds_load_b128 v[2:5], v1 offset:1536
	scratch_load_b128 v[10:13], off, off offset:784
	v_fma_f64 v[178:179], v[178:179], v[14:15], v[231:232]
	v_fma_f64 v[176:177], v[176:177], v[14:15], -v[16:17]
	scratch_load_b128 v[14:17], off, off offset:800
	v_add_f64 v[169:170], v[169:170], v[180:181]
	v_add_f64 v[229:230], v[229:230], v[182:183]
	ds_load_b128 v[180:183], v1 offset:1552
	s_waitcnt vmcnt(9) lgkmcnt(1)
	v_mul_f64 v[237:238], v[2:3], v[20:21]
	v_mul_f64 v[20:21], v[4:5], v[20:21]
	;; [unrolled: 18-line block ×4, first 2 shown]
	s_waitcnt vmcnt(8) lgkmcnt(0)
	v_mul_f64 v[231:232], v[180:181], v[40:41]
	v_mul_f64 v[40:41], v[182:183], v[40:41]
	v_add_f64 v[169:170], v[169:170], v[235:236]
	v_add_f64 v[229:230], v[229:230], v[233:234]
	v_fma_f64 v[233:234], v[4:5], v[34:35], v[237:238]
	v_fma_f64 v[235:236], v[2:3], v[34:35], -v[36:37]
	ds_load_b128 v[2:5], v1 offset:1632
	ds_load_b128 v[34:37], v1 offset:1648
	v_fma_f64 v[182:183], v[182:183], v[38:39], v[231:232]
	v_fma_f64 v[38:39], v[180:181], v[38:39], -v[40:41]
	v_add_f64 v[169:170], v[169:170], v[176:177]
	v_add_f64 v[176:177], v[229:230], v[178:179]
	s_waitcnt vmcnt(7) lgkmcnt(1)
	v_mul_f64 v[178:179], v[2:3], v[44:45]
	v_mul_f64 v[44:45], v[4:5], v[44:45]
	s_delay_alu instid0(VALU_DEP_4) | instskip(NEXT) | instid1(VALU_DEP_4)
	v_add_f64 v[40:41], v[169:170], v[235:236]
	v_add_f64 v[169:170], v[176:177], v[233:234]
	s_waitcnt vmcnt(6) lgkmcnt(0)
	v_mul_f64 v[176:177], v[34:35], v[8:9]
	v_mul_f64 v[8:9], v[36:37], v[8:9]
	v_fma_f64 v[178:179], v[4:5], v[42:43], v[178:179]
	v_fma_f64 v[42:43], v[2:3], v[42:43], -v[44:45]
	v_add_f64 v[44:45], v[40:41], v[38:39]
	v_add_f64 v[169:170], v[169:170], v[182:183]
	ds_load_b128 v[2:5], v1 offset:1664
	ds_load_b128 v[38:41], v1 offset:1680
	v_fma_f64 v[36:37], v[36:37], v[6:7], v[176:177]
	v_fma_f64 v[6:7], v[34:35], v[6:7], -v[8:9]
	s_waitcnt vmcnt(5) lgkmcnt(1)
	v_mul_f64 v[180:181], v[2:3], v[12:13]
	v_mul_f64 v[12:13], v[4:5], v[12:13]
	v_add_f64 v[8:9], v[44:45], v[42:43]
	v_add_f64 v[34:35], v[169:170], v[178:179]
	s_waitcnt vmcnt(4) lgkmcnt(0)
	v_mul_f64 v[42:43], v[38:39], v[16:17]
	v_mul_f64 v[16:17], v[40:41], v[16:17]
	v_fma_f64 v[44:45], v[4:5], v[10:11], v[180:181]
	v_fma_f64 v[10:11], v[2:3], v[10:11], -v[12:13]
	v_add_f64 v[12:13], v[8:9], v[6:7]
	v_add_f64 v[34:35], v[34:35], v[36:37]
	ds_load_b128 v[2:5], v1 offset:1696
	ds_load_b128 v[6:9], v1 offset:1712
	v_fma_f64 v[40:41], v[40:41], v[14:15], v[42:43]
	v_fma_f64 v[14:15], v[38:39], v[14:15], -v[16:17]
	s_waitcnt vmcnt(3) lgkmcnt(1)
	v_mul_f64 v[36:37], v[2:3], v[20:21]
	v_mul_f64 v[20:21], v[4:5], v[20:21]
	s_waitcnt vmcnt(2) lgkmcnt(0)
	v_mul_f64 v[16:17], v[6:7], v[24:25]
	v_mul_f64 v[24:25], v[8:9], v[24:25]
	v_add_f64 v[10:11], v[12:13], v[10:11]
	v_add_f64 v[12:13], v[34:35], v[44:45]
	v_fma_f64 v[34:35], v[4:5], v[18:19], v[36:37]
	v_fma_f64 v[18:19], v[2:3], v[18:19], -v[20:21]
	v_fma_f64 v[8:9], v[8:9], v[22:23], v[16:17]
	v_fma_f64 v[6:7], v[6:7], v[22:23], -v[24:25]
	v_add_f64 v[14:15], v[10:11], v[14:15]
	v_add_f64 v[20:21], v[12:13], v[40:41]
	ds_load_b128 v[2:5], v1 offset:1728
	ds_load_b128 v[10:13], v1 offset:1744
	s_waitcnt vmcnt(1) lgkmcnt(1)
	v_mul_f64 v[36:37], v[2:3], v[28:29]
	v_mul_f64 v[28:29], v[4:5], v[28:29]
	v_add_f64 v[14:15], v[14:15], v[18:19]
	v_add_f64 v[16:17], v[20:21], v[34:35]
	s_waitcnt vmcnt(0) lgkmcnt(0)
	v_mul_f64 v[18:19], v[10:11], v[32:33]
	v_mul_f64 v[20:21], v[12:13], v[32:33]
	v_fma_f64 v[4:5], v[4:5], v[26:27], v[36:37]
	v_fma_f64 v[1:2], v[2:3], v[26:27], -v[28:29]
	v_add_f64 v[6:7], v[14:15], v[6:7]
	v_add_f64 v[8:9], v[16:17], v[8:9]
	v_fma_f64 v[12:13], v[12:13], v[30:31], v[18:19]
	v_fma_f64 v[10:11], v[10:11], v[30:31], -v[20:21]
	s_delay_alu instid0(VALU_DEP_4) | instskip(NEXT) | instid1(VALU_DEP_4)
	v_add_f64 v[1:2], v[6:7], v[1:2]
	v_add_f64 v[3:4], v[8:9], v[4:5]
	s_delay_alu instid0(VALU_DEP_2) | instskip(NEXT) | instid1(VALU_DEP_2)
	v_add_f64 v[1:2], v[1:2], v[10:11]
	v_add_f64 v[3:4], v[3:4], v[12:13]
	s_delay_alu instid0(VALU_DEP_2) | instskip(NEXT) | instid1(VALU_DEP_2)
	v_add_f64 v[1:2], v[172:173], -v[1:2]
	v_add_f64 v[3:4], v[174:175], -v[3:4]
	scratch_store_b128 off, v[1:4], off offset:256
	v_cmpx_lt_u32_e32 15, v156
	s_cbranch_execz .LBB54_313
; %bb.312:
	scratch_load_b128 v[1:4], v196, off
	v_mov_b32_e32 v5, 0
	s_delay_alu instid0(VALU_DEP_1)
	v_mov_b32_e32 v6, v5
	v_mov_b32_e32 v7, v5
	v_mov_b32_e32 v8, v5
	scratch_store_b128 off, v[5:8], off offset:240
	s_waitcnt vmcnt(0)
	ds_store_b128 v211, v[1:4]
.LBB54_313:
	s_or_b32 exec_lo, exec_lo, s2
	s_waitcnt lgkmcnt(0)
	s_waitcnt_vscnt null, 0x0
	s_barrier
	buffer_gl0_inv
	s_clause 0x7
	scratch_load_b128 v[2:5], off, off offset:256
	scratch_load_b128 v[6:9], off, off offset:272
	;; [unrolled: 1-line block ×8, first 2 shown]
	v_mov_b32_e32 v1, 0
	s_mov_b32 s2, exec_lo
	ds_load_b128 v[38:41], v1 offset:1136
	s_clause 0x1
	scratch_load_b128 v[34:37], off, off offset:384
	scratch_load_b128 v[42:45], off, off offset:240
	ds_load_b128 v[172:175], v1 offset:1152
	scratch_load_b128 v[176:179], off, off offset:400
	ds_load_b128 v[180:183], v1 offset:1184
	s_waitcnt vmcnt(10) lgkmcnt(2)
	v_mul_f64 v[169:170], v[40:41], v[4:5]
	v_mul_f64 v[4:5], v[38:39], v[4:5]
	s_delay_alu instid0(VALU_DEP_2) | instskip(NEXT) | instid1(VALU_DEP_2)
	v_fma_f64 v[169:170], v[38:39], v[2:3], -v[169:170]
	v_fma_f64 v[231:232], v[40:41], v[2:3], v[4:5]
	ds_load_b128 v[2:5], v1 offset:1168
	s_waitcnt vmcnt(9) lgkmcnt(2)
	v_mul_f64 v[229:230], v[172:173], v[8:9]
	v_mul_f64 v[8:9], v[174:175], v[8:9]
	scratch_load_b128 v[38:41], off, off offset:416
	s_waitcnt vmcnt(9) lgkmcnt(0)
	v_mul_f64 v[233:234], v[2:3], v[12:13]
	v_mul_f64 v[12:13], v[4:5], v[12:13]
	v_add_f64 v[169:170], v[169:170], 0
	v_fma_f64 v[174:175], v[174:175], v[6:7], v[229:230]
	v_fma_f64 v[172:173], v[172:173], v[6:7], -v[8:9]
	v_add_f64 v[229:230], v[231:232], 0
	scratch_load_b128 v[6:9], off, off offset:432
	v_fma_f64 v[233:234], v[4:5], v[10:11], v[233:234]
	v_fma_f64 v[235:236], v[2:3], v[10:11], -v[12:13]
	scratch_load_b128 v[10:13], off, off offset:448
	ds_load_b128 v[2:5], v1 offset:1200
	s_waitcnt vmcnt(10)
	v_mul_f64 v[231:232], v[180:181], v[16:17]
	v_mul_f64 v[16:17], v[182:183], v[16:17]
	v_add_f64 v[169:170], v[169:170], v[172:173]
	v_add_f64 v[229:230], v[229:230], v[174:175]
	ds_load_b128 v[172:175], v1 offset:1216
	s_waitcnt vmcnt(9) lgkmcnt(1)
	v_mul_f64 v[237:238], v[2:3], v[20:21]
	v_mul_f64 v[20:21], v[4:5], v[20:21]
	v_fma_f64 v[182:183], v[182:183], v[14:15], v[231:232]
	v_fma_f64 v[180:181], v[180:181], v[14:15], -v[16:17]
	scratch_load_b128 v[14:17], off, off offset:464
	v_add_f64 v[169:170], v[169:170], v[235:236]
	v_add_f64 v[229:230], v[229:230], v[233:234]
	v_fma_f64 v[233:234], v[4:5], v[18:19], v[237:238]
	v_fma_f64 v[235:236], v[2:3], v[18:19], -v[20:21]
	scratch_load_b128 v[18:21], off, off offset:480
	ds_load_b128 v[2:5], v1 offset:1232
	s_waitcnt vmcnt(10) lgkmcnt(1)
	v_mul_f64 v[231:232], v[172:173], v[24:25]
	v_mul_f64 v[24:25], v[174:175], v[24:25]
	s_waitcnt vmcnt(9) lgkmcnt(0)
	v_mul_f64 v[237:238], v[2:3], v[28:29]
	v_mul_f64 v[28:29], v[4:5], v[28:29]
	v_add_f64 v[169:170], v[169:170], v[180:181]
	v_add_f64 v[229:230], v[229:230], v[182:183]
	ds_load_b128 v[180:183], v1 offset:1248
	v_fma_f64 v[174:175], v[174:175], v[22:23], v[231:232]
	v_fma_f64 v[172:173], v[172:173], v[22:23], -v[24:25]
	scratch_load_b128 v[22:25], off, off offset:496
	v_add_f64 v[169:170], v[169:170], v[235:236]
	v_add_f64 v[229:230], v[229:230], v[233:234]
	v_fma_f64 v[233:234], v[4:5], v[26:27], v[237:238]
	v_fma_f64 v[235:236], v[2:3], v[26:27], -v[28:29]
	scratch_load_b128 v[26:29], off, off offset:512
	ds_load_b128 v[2:5], v1 offset:1264
	s_waitcnt vmcnt(10) lgkmcnt(1)
	v_mul_f64 v[231:232], v[180:181], v[32:33]
	v_mul_f64 v[32:33], v[182:183], v[32:33]
	s_waitcnt vmcnt(9) lgkmcnt(0)
	v_mul_f64 v[237:238], v[2:3], v[36:37]
	v_mul_f64 v[36:37], v[4:5], v[36:37]
	v_add_f64 v[169:170], v[169:170], v[172:173]
	v_add_f64 v[229:230], v[229:230], v[174:175]
	ds_load_b128 v[172:175], v1 offset:1280
	v_fma_f64 v[182:183], v[182:183], v[30:31], v[231:232]
	v_fma_f64 v[180:181], v[180:181], v[30:31], -v[32:33]
	scratch_load_b128 v[30:33], off, off offset:528
	v_add_f64 v[169:170], v[169:170], v[235:236]
	v_add_f64 v[229:230], v[229:230], v[233:234]
	v_fma_f64 v[235:236], v[4:5], v[34:35], v[237:238]
	v_fma_f64 v[237:238], v[2:3], v[34:35], -v[36:37]
	scratch_load_b128 v[34:37], off, off offset:544
	ds_load_b128 v[2:5], v1 offset:1296
	s_waitcnt vmcnt(9) lgkmcnt(1)
	v_mul_f64 v[231:232], v[172:173], v[178:179]
	v_mul_f64 v[233:234], v[174:175], v[178:179]
	v_add_f64 v[169:170], v[169:170], v[180:181]
	v_add_f64 v[182:183], v[229:230], v[182:183]
	ds_load_b128 v[178:181], v1 offset:1312
	v_fma_f64 v[231:232], v[174:175], v[176:177], v[231:232]
	v_fma_f64 v[176:177], v[172:173], v[176:177], -v[233:234]
	scratch_load_b128 v[172:175], off, off offset:560
	s_waitcnt vmcnt(9) lgkmcnt(1)
	v_mul_f64 v[229:230], v[2:3], v[40:41]
	v_mul_f64 v[40:41], v[4:5], v[40:41]
	v_add_f64 v[169:170], v[169:170], v[237:238]
	v_add_f64 v[182:183], v[182:183], v[235:236]
	s_delay_alu instid0(VALU_DEP_4) | instskip(NEXT) | instid1(VALU_DEP_4)
	v_fma_f64 v[235:236], v[4:5], v[38:39], v[229:230]
	v_fma_f64 v[237:238], v[2:3], v[38:39], -v[40:41]
	scratch_load_b128 v[38:41], off, off offset:576
	ds_load_b128 v[2:5], v1 offset:1328
	s_waitcnt vmcnt(9) lgkmcnt(1)
	v_mul_f64 v[233:234], v[178:179], v[8:9]
	v_mul_f64 v[8:9], v[180:181], v[8:9]
	v_add_f64 v[169:170], v[169:170], v[176:177]
	v_add_f64 v[176:177], v[182:183], v[231:232]
	s_waitcnt vmcnt(8) lgkmcnt(0)
	v_mul_f64 v[182:183], v[2:3], v[12:13]
	v_mul_f64 v[12:13], v[4:5], v[12:13]
	ds_load_b128 v[229:232], v1 offset:1344
	v_fma_f64 v[180:181], v[180:181], v[6:7], v[233:234]
	v_fma_f64 v[178:179], v[178:179], v[6:7], -v[8:9]
	scratch_load_b128 v[6:9], off, off offset:592
	v_add_f64 v[169:170], v[169:170], v[237:238]
	v_add_f64 v[176:177], v[176:177], v[235:236]
	v_fma_f64 v[182:183], v[4:5], v[10:11], v[182:183]
	v_fma_f64 v[235:236], v[2:3], v[10:11], -v[12:13]
	scratch_load_b128 v[10:13], off, off offset:608
	ds_load_b128 v[2:5], v1 offset:1360
	s_waitcnt vmcnt(9) lgkmcnt(1)
	v_mul_f64 v[233:234], v[229:230], v[16:17]
	v_mul_f64 v[16:17], v[231:232], v[16:17]
	s_waitcnt vmcnt(8) lgkmcnt(0)
	v_mul_f64 v[237:238], v[2:3], v[20:21]
	v_mul_f64 v[20:21], v[4:5], v[20:21]
	v_add_f64 v[169:170], v[169:170], v[178:179]
	v_add_f64 v[180:181], v[176:177], v[180:181]
	ds_load_b128 v[176:179], v1 offset:1376
	v_fma_f64 v[231:232], v[231:232], v[14:15], v[233:234]
	v_fma_f64 v[229:230], v[229:230], v[14:15], -v[16:17]
	scratch_load_b128 v[14:17], off, off offset:624
	v_add_f64 v[169:170], v[169:170], v[235:236]
	v_add_f64 v[180:181], v[180:181], v[182:183]
	v_fma_f64 v[235:236], v[4:5], v[18:19], v[237:238]
	v_fma_f64 v[237:238], v[2:3], v[18:19], -v[20:21]
	scratch_load_b128 v[18:21], off, off offset:640
	ds_load_b128 v[2:5], v1 offset:1392
	s_waitcnt vmcnt(9) lgkmcnt(1)
	v_mul_f64 v[233:234], v[176:177], v[24:25]
	v_mul_f64 v[24:25], v[178:179], v[24:25]
	v_add_f64 v[169:170], v[169:170], v[229:230]
	v_add_f64 v[229:230], v[180:181], v[231:232]
	s_waitcnt vmcnt(8) lgkmcnt(0)
	v_mul_f64 v[231:232], v[2:3], v[28:29]
	v_mul_f64 v[28:29], v[4:5], v[28:29]
	ds_load_b128 v[180:183], v1 offset:1408
	v_fma_f64 v[178:179], v[178:179], v[22:23], v[233:234]
	v_fma_f64 v[176:177], v[176:177], v[22:23], -v[24:25]
	scratch_load_b128 v[22:25], off, off offset:656
	v_add_f64 v[169:170], v[169:170], v[237:238]
	v_add_f64 v[229:230], v[229:230], v[235:236]
	v_fma_f64 v[231:232], v[4:5], v[26:27], v[231:232]
	v_fma_f64 v[235:236], v[2:3], v[26:27], -v[28:29]
	scratch_load_b128 v[26:29], off, off offset:672
	ds_load_b128 v[2:5], v1 offset:1424
	s_waitcnt vmcnt(9) lgkmcnt(1)
	v_mul_f64 v[233:234], v[180:181], v[32:33]
	v_mul_f64 v[32:33], v[182:183], v[32:33]
	s_waitcnt vmcnt(8) lgkmcnt(0)
	v_mul_f64 v[237:238], v[2:3], v[36:37]
	v_mul_f64 v[36:37], v[4:5], v[36:37]
	v_add_f64 v[169:170], v[169:170], v[176:177]
	v_add_f64 v[229:230], v[229:230], v[178:179]
	ds_load_b128 v[176:179], v1 offset:1440
	v_fma_f64 v[182:183], v[182:183], v[30:31], v[233:234]
	v_fma_f64 v[180:181], v[180:181], v[30:31], -v[32:33]
	scratch_load_b128 v[30:33], off, off offset:688
	v_fma_f64 v[233:234], v[4:5], v[34:35], v[237:238]
	v_add_f64 v[169:170], v[169:170], v[235:236]
	v_add_f64 v[229:230], v[229:230], v[231:232]
	v_fma_f64 v[235:236], v[2:3], v[34:35], -v[36:37]
	scratch_load_b128 v[34:37], off, off offset:704
	ds_load_b128 v[2:5], v1 offset:1456
	s_waitcnt vmcnt(9) lgkmcnt(1)
	v_mul_f64 v[231:232], v[176:177], v[174:175]
	v_mul_f64 v[174:175], v[178:179], v[174:175]
	s_waitcnt vmcnt(8) lgkmcnt(0)
	v_mul_f64 v[237:238], v[2:3], v[40:41]
	v_mul_f64 v[40:41], v[4:5], v[40:41]
	v_add_f64 v[169:170], v[169:170], v[180:181]
	v_add_f64 v[229:230], v[229:230], v[182:183]
	ds_load_b128 v[180:183], v1 offset:1472
	v_fma_f64 v[178:179], v[178:179], v[172:173], v[231:232]
	v_fma_f64 v[176:177], v[176:177], v[172:173], -v[174:175]
	scratch_load_b128 v[172:175], off, off offset:720
	v_add_f64 v[169:170], v[169:170], v[235:236]
	v_add_f64 v[229:230], v[229:230], v[233:234]
	v_fma_f64 v[233:234], v[4:5], v[38:39], v[237:238]
	v_fma_f64 v[235:236], v[2:3], v[38:39], -v[40:41]
	scratch_load_b128 v[38:41], off, off offset:736
	ds_load_b128 v[2:5], v1 offset:1488
	s_waitcnt vmcnt(9) lgkmcnt(1)
	v_mul_f64 v[231:232], v[180:181], v[8:9]
	v_mul_f64 v[8:9], v[182:183], v[8:9]
	s_waitcnt vmcnt(8) lgkmcnt(0)
	v_mul_f64 v[237:238], v[2:3], v[12:13]
	v_mul_f64 v[12:13], v[4:5], v[12:13]
	v_add_f64 v[169:170], v[169:170], v[176:177]
	v_add_f64 v[229:230], v[229:230], v[178:179]
	ds_load_b128 v[176:179], v1 offset:1504
	v_fma_f64 v[182:183], v[182:183], v[6:7], v[231:232]
	v_fma_f64 v[180:181], v[180:181], v[6:7], -v[8:9]
	scratch_load_b128 v[6:9], off, off offset:752
	v_add_f64 v[169:170], v[169:170], v[235:236]
	v_add_f64 v[229:230], v[229:230], v[233:234]
	v_fma_f64 v[233:234], v[4:5], v[10:11], v[237:238]
	;; [unrolled: 18-line block ×5, first 2 shown]
	v_fma_f64 v[237:238], v[2:3], v[34:35], -v[36:37]
	scratch_load_b128 v[34:37], off, off offset:864
	ds_load_b128 v[2:5], v1 offset:1616
	s_waitcnt vmcnt(9) lgkmcnt(1)
	v_mul_f64 v[231:232], v[180:181], v[174:175]
	v_mul_f64 v[233:234], v[182:183], v[174:175]
	v_add_f64 v[169:170], v[169:170], v[176:177]
	v_add_f64 v[178:179], v[229:230], v[178:179]
	s_waitcnt vmcnt(8) lgkmcnt(0)
	v_mul_f64 v[229:230], v[2:3], v[40:41]
	v_mul_f64 v[40:41], v[4:5], v[40:41]
	ds_load_b128 v[174:177], v1 offset:1632
	v_fma_f64 v[182:183], v[182:183], v[172:173], v[231:232]
	v_fma_f64 v[172:173], v[180:181], v[172:173], -v[233:234]
	s_waitcnt vmcnt(7) lgkmcnt(0)
	v_mul_f64 v[180:181], v[174:175], v[8:9]
	v_mul_f64 v[8:9], v[176:177], v[8:9]
	v_add_f64 v[169:170], v[169:170], v[237:238]
	v_add_f64 v[178:179], v[178:179], v[235:236]
	v_fma_f64 v[229:230], v[4:5], v[38:39], v[229:230]
	v_fma_f64 v[231:232], v[2:3], v[38:39], -v[40:41]
	ds_load_b128 v[2:5], v1 offset:1648
	ds_load_b128 v[38:41], v1 offset:1664
	v_fma_f64 v[176:177], v[176:177], v[6:7], v[180:181]
	v_fma_f64 v[6:7], v[174:175], v[6:7], -v[8:9]
	v_add_f64 v[169:170], v[169:170], v[172:173]
	v_add_f64 v[172:173], v[178:179], v[182:183]
	s_waitcnt vmcnt(6) lgkmcnt(1)
	v_mul_f64 v[178:179], v[2:3], v[12:13]
	v_mul_f64 v[12:13], v[4:5], v[12:13]
	s_delay_alu instid0(VALU_DEP_4) | instskip(NEXT) | instid1(VALU_DEP_4)
	v_add_f64 v[8:9], v[169:170], v[231:232]
	v_add_f64 v[169:170], v[172:173], v[229:230]
	s_waitcnt vmcnt(5) lgkmcnt(0)
	v_mul_f64 v[172:173], v[38:39], v[16:17]
	v_mul_f64 v[16:17], v[40:41], v[16:17]
	v_fma_f64 v[174:175], v[4:5], v[10:11], v[178:179]
	v_fma_f64 v[10:11], v[2:3], v[10:11], -v[12:13]
	v_add_f64 v[12:13], v[8:9], v[6:7]
	v_add_f64 v[169:170], v[169:170], v[176:177]
	ds_load_b128 v[2:5], v1 offset:1680
	ds_load_b128 v[6:9], v1 offset:1696
	v_fma_f64 v[40:41], v[40:41], v[14:15], v[172:173]
	v_fma_f64 v[14:15], v[38:39], v[14:15], -v[16:17]
	s_waitcnt vmcnt(4) lgkmcnt(1)
	v_mul_f64 v[176:177], v[2:3], v[20:21]
	v_mul_f64 v[20:21], v[4:5], v[20:21]
	s_waitcnt vmcnt(3) lgkmcnt(0)
	v_mul_f64 v[16:17], v[6:7], v[24:25]
	v_mul_f64 v[24:25], v[8:9], v[24:25]
	v_add_f64 v[10:11], v[12:13], v[10:11]
	v_add_f64 v[12:13], v[169:170], v[174:175]
	v_fma_f64 v[38:39], v[4:5], v[18:19], v[176:177]
	v_fma_f64 v[18:19], v[2:3], v[18:19], -v[20:21]
	v_fma_f64 v[8:9], v[8:9], v[22:23], v[16:17]
	v_fma_f64 v[6:7], v[6:7], v[22:23], -v[24:25]
	v_add_f64 v[14:15], v[10:11], v[14:15]
	v_add_f64 v[20:21], v[12:13], v[40:41]
	ds_load_b128 v[2:5], v1 offset:1712
	ds_load_b128 v[10:13], v1 offset:1728
	s_waitcnt vmcnt(2) lgkmcnt(1)
	v_mul_f64 v[40:41], v[2:3], v[28:29]
	v_mul_f64 v[28:29], v[4:5], v[28:29]
	v_add_f64 v[14:15], v[14:15], v[18:19]
	v_add_f64 v[16:17], v[20:21], v[38:39]
	s_waitcnt vmcnt(1) lgkmcnt(0)
	v_mul_f64 v[18:19], v[10:11], v[32:33]
	v_mul_f64 v[20:21], v[12:13], v[32:33]
	v_fma_f64 v[22:23], v[4:5], v[26:27], v[40:41]
	v_fma_f64 v[24:25], v[2:3], v[26:27], -v[28:29]
	ds_load_b128 v[2:5], v1 offset:1744
	v_add_f64 v[6:7], v[14:15], v[6:7]
	v_add_f64 v[8:9], v[16:17], v[8:9]
	v_fma_f64 v[12:13], v[12:13], v[30:31], v[18:19]
	v_fma_f64 v[10:11], v[10:11], v[30:31], -v[20:21]
	s_waitcnt vmcnt(0) lgkmcnt(0)
	v_mul_f64 v[14:15], v[2:3], v[36:37]
	v_mul_f64 v[16:17], v[4:5], v[36:37]
	v_add_f64 v[6:7], v[6:7], v[24:25]
	v_add_f64 v[8:9], v[8:9], v[22:23]
	s_delay_alu instid0(VALU_DEP_4) | instskip(NEXT) | instid1(VALU_DEP_4)
	v_fma_f64 v[4:5], v[4:5], v[34:35], v[14:15]
	v_fma_f64 v[2:3], v[2:3], v[34:35], -v[16:17]
	s_delay_alu instid0(VALU_DEP_4) | instskip(NEXT) | instid1(VALU_DEP_4)
	v_add_f64 v[6:7], v[6:7], v[10:11]
	v_add_f64 v[8:9], v[8:9], v[12:13]
	s_delay_alu instid0(VALU_DEP_2) | instskip(NEXT) | instid1(VALU_DEP_2)
	v_add_f64 v[2:3], v[6:7], v[2:3]
	v_add_f64 v[4:5], v[8:9], v[4:5]
	s_delay_alu instid0(VALU_DEP_2) | instskip(NEXT) | instid1(VALU_DEP_2)
	v_add_f64 v[2:3], v[42:43], -v[2:3]
	v_add_f64 v[4:5], v[44:45], -v[4:5]
	scratch_store_b128 off, v[2:5], off offset:240
	v_cmpx_lt_u32_e32 14, v156
	s_cbranch_execz .LBB54_315
; %bb.314:
	scratch_load_b128 v[5:8], v197, off
	v_mov_b32_e32 v2, v1
	v_mov_b32_e32 v3, v1
	;; [unrolled: 1-line block ×3, first 2 shown]
	scratch_store_b128 off, v[1:4], off offset:224
	s_waitcnt vmcnt(0)
	ds_store_b128 v211, v[5:8]
.LBB54_315:
	s_or_b32 exec_lo, exec_lo, s2
	s_waitcnt lgkmcnt(0)
	s_waitcnt_vscnt null, 0x0
	s_barrier
	buffer_gl0_inv
	s_clause 0x8
	scratch_load_b128 v[2:5], off, off offset:240
	scratch_load_b128 v[6:9], off, off offset:256
	;; [unrolled: 1-line block ×9, first 2 shown]
	ds_load_b128 v[42:45], v1 offset:1120
	ds_load_b128 v[38:41], v1 offset:1136
	s_clause 0x1
	scratch_load_b128 v[172:175], off, off offset:224
	scratch_load_b128 v[176:179], off, off offset:384
	s_mov_b32 s2, exec_lo
	ds_load_b128 v[180:183], v1 offset:1168
	s_waitcnt vmcnt(10) lgkmcnt(2)
	v_mul_f64 v[169:170], v[44:45], v[4:5]
	v_mul_f64 v[4:5], v[42:43], v[4:5]
	s_waitcnt vmcnt(9) lgkmcnt(1)
	v_mul_f64 v[229:230], v[38:39], v[8:9]
	v_mul_f64 v[8:9], v[40:41], v[8:9]
	s_delay_alu instid0(VALU_DEP_4) | instskip(NEXT) | instid1(VALU_DEP_4)
	v_fma_f64 v[169:170], v[42:43], v[2:3], -v[169:170]
	v_fma_f64 v[231:232], v[44:45], v[2:3], v[4:5]
	ds_load_b128 v[2:5], v1 offset:1152
	scratch_load_b128 v[42:45], off, off offset:400
	v_fma_f64 v[40:41], v[40:41], v[6:7], v[229:230]
	v_fma_f64 v[38:39], v[38:39], v[6:7], -v[8:9]
	scratch_load_b128 v[6:9], off, off offset:416
	s_waitcnt vmcnt(10) lgkmcnt(0)
	v_mul_f64 v[233:234], v[2:3], v[12:13]
	v_mul_f64 v[12:13], v[4:5], v[12:13]
	v_add_f64 v[169:170], v[169:170], 0
	v_add_f64 v[229:230], v[231:232], 0
	s_waitcnt vmcnt(9)
	v_mul_f64 v[231:232], v[180:181], v[16:17]
	v_mul_f64 v[16:17], v[182:183], v[16:17]
	v_fma_f64 v[233:234], v[4:5], v[10:11], v[233:234]
	v_fma_f64 v[235:236], v[2:3], v[10:11], -v[12:13]
	ds_load_b128 v[2:5], v1 offset:1184
	scratch_load_b128 v[10:13], off, off offset:432
	v_add_f64 v[169:170], v[169:170], v[38:39]
	v_add_f64 v[229:230], v[229:230], v[40:41]
	ds_load_b128 v[38:41], v1 offset:1200
	v_fma_f64 v[182:183], v[182:183], v[14:15], v[231:232]
	v_fma_f64 v[180:181], v[180:181], v[14:15], -v[16:17]
	scratch_load_b128 v[14:17], off, off offset:448
	s_waitcnt vmcnt(10) lgkmcnt(1)
	v_mul_f64 v[237:238], v[2:3], v[20:21]
	v_mul_f64 v[20:21], v[4:5], v[20:21]
	s_waitcnt vmcnt(9) lgkmcnt(0)
	v_mul_f64 v[231:232], v[38:39], v[24:25]
	v_mul_f64 v[24:25], v[40:41], v[24:25]
	v_add_f64 v[169:170], v[169:170], v[235:236]
	v_add_f64 v[229:230], v[229:230], v[233:234]
	v_fma_f64 v[233:234], v[4:5], v[18:19], v[237:238]
	v_fma_f64 v[235:236], v[2:3], v[18:19], -v[20:21]
	ds_load_b128 v[2:5], v1 offset:1216
	scratch_load_b128 v[18:21], off, off offset:464
	v_fma_f64 v[40:41], v[40:41], v[22:23], v[231:232]
	v_fma_f64 v[38:39], v[38:39], v[22:23], -v[24:25]
	scratch_load_b128 v[22:25], off, off offset:480
	v_add_f64 v[169:170], v[169:170], v[180:181]
	v_add_f64 v[229:230], v[229:230], v[182:183]
	ds_load_b128 v[180:183], v1 offset:1232
	s_waitcnt vmcnt(10) lgkmcnt(1)
	v_mul_f64 v[237:238], v[2:3], v[28:29]
	v_mul_f64 v[28:29], v[4:5], v[28:29]
	s_waitcnt vmcnt(9) lgkmcnt(0)
	v_mul_f64 v[231:232], v[180:181], v[32:33]
	v_mul_f64 v[32:33], v[182:183], v[32:33]
	v_add_f64 v[169:170], v[169:170], v[235:236]
	v_add_f64 v[229:230], v[229:230], v[233:234]
	v_fma_f64 v[233:234], v[4:5], v[26:27], v[237:238]
	v_fma_f64 v[235:236], v[2:3], v[26:27], -v[28:29]
	ds_load_b128 v[2:5], v1 offset:1248
	scratch_load_b128 v[26:29], off, off offset:496
	v_fma_f64 v[182:183], v[182:183], v[30:31], v[231:232]
	v_fma_f64 v[180:181], v[180:181], v[30:31], -v[32:33]
	scratch_load_b128 v[30:33], off, off offset:512
	v_add_f64 v[169:170], v[169:170], v[38:39]
	v_add_f64 v[229:230], v[229:230], v[40:41]
	ds_load_b128 v[38:41], v1 offset:1264
	s_waitcnt vmcnt(10) lgkmcnt(1)
	v_mul_f64 v[237:238], v[2:3], v[36:37]
	v_mul_f64 v[36:37], v[4:5], v[36:37]
	s_waitcnt vmcnt(8) lgkmcnt(0)
	v_mul_f64 v[231:232], v[38:39], v[178:179]
	v_add_f64 v[169:170], v[169:170], v[235:236]
	v_add_f64 v[229:230], v[229:230], v[233:234]
	v_mul_f64 v[233:234], v[40:41], v[178:179]
	v_fma_f64 v[235:236], v[4:5], v[34:35], v[237:238]
	v_fma_f64 v[237:238], v[2:3], v[34:35], -v[36:37]
	ds_load_b128 v[2:5], v1 offset:1280
	scratch_load_b128 v[34:37], off, off offset:528
	v_fma_f64 v[231:232], v[40:41], v[176:177], v[231:232]
	v_add_f64 v[169:170], v[169:170], v[180:181]
	v_add_f64 v[182:183], v[229:230], v[182:183]
	ds_load_b128 v[178:181], v1 offset:1296
	v_fma_f64 v[176:177], v[38:39], v[176:177], -v[233:234]
	scratch_load_b128 v[38:41], off, off offset:544
	s_waitcnt vmcnt(9) lgkmcnt(1)
	v_mul_f64 v[229:230], v[2:3], v[44:45]
	v_mul_f64 v[44:45], v[4:5], v[44:45]
	s_waitcnt vmcnt(8) lgkmcnt(0)
	v_mul_f64 v[233:234], v[178:179], v[8:9]
	v_mul_f64 v[8:9], v[180:181], v[8:9]
	v_add_f64 v[169:170], v[169:170], v[237:238]
	v_add_f64 v[182:183], v[182:183], v[235:236]
	v_fma_f64 v[235:236], v[4:5], v[42:43], v[229:230]
	v_fma_f64 v[237:238], v[2:3], v[42:43], -v[44:45]
	ds_load_b128 v[2:5], v1 offset:1312
	scratch_load_b128 v[42:45], off, off offset:560
	v_fma_f64 v[180:181], v[180:181], v[6:7], v[233:234]
	v_fma_f64 v[178:179], v[178:179], v[6:7], -v[8:9]
	scratch_load_b128 v[6:9], off, off offset:576
	v_add_f64 v[169:170], v[169:170], v[176:177]
	v_add_f64 v[176:177], v[182:183], v[231:232]
	ds_load_b128 v[229:232], v1 offset:1328
	s_waitcnt vmcnt(9) lgkmcnt(1)
	v_mul_f64 v[182:183], v[2:3], v[12:13]
	v_mul_f64 v[12:13], v[4:5], v[12:13]
	s_waitcnt vmcnt(8) lgkmcnt(0)
	v_mul_f64 v[233:234], v[229:230], v[16:17]
	v_mul_f64 v[16:17], v[231:232], v[16:17]
	v_add_f64 v[169:170], v[169:170], v[237:238]
	v_add_f64 v[176:177], v[176:177], v[235:236]
	v_fma_f64 v[182:183], v[4:5], v[10:11], v[182:183]
	v_fma_f64 v[235:236], v[2:3], v[10:11], -v[12:13]
	ds_load_b128 v[2:5], v1 offset:1344
	scratch_load_b128 v[10:13], off, off offset:592
	v_fma_f64 v[231:232], v[231:232], v[14:15], v[233:234]
	v_fma_f64 v[229:230], v[229:230], v[14:15], -v[16:17]
	scratch_load_b128 v[14:17], off, off offset:608
	v_add_f64 v[169:170], v[169:170], v[178:179]
	v_add_f64 v[180:181], v[176:177], v[180:181]
	ds_load_b128 v[176:179], v1 offset:1360
	;; [unrolled: 18-line block ×4, first 2 shown]
	s_waitcnt vmcnt(9) lgkmcnt(1)
	v_mul_f64 v[237:238], v[2:3], v[36:37]
	v_mul_f64 v[36:37], v[4:5], v[36:37]
	v_add_f64 v[169:170], v[169:170], v[235:236]
	v_add_f64 v[229:230], v[229:230], v[231:232]
	s_waitcnt vmcnt(8) lgkmcnt(0)
	v_mul_f64 v[231:232], v[176:177], v[40:41]
	v_mul_f64 v[40:41], v[178:179], v[40:41]
	v_fma_f64 v[233:234], v[4:5], v[34:35], v[237:238]
	v_fma_f64 v[235:236], v[2:3], v[34:35], -v[36:37]
	ds_load_b128 v[2:5], v1 offset:1440
	scratch_load_b128 v[34:37], off, off offset:688
	v_add_f64 v[169:170], v[169:170], v[180:181]
	v_add_f64 v[229:230], v[229:230], v[182:183]
	ds_load_b128 v[180:183], v1 offset:1456
	s_waitcnt vmcnt(8) lgkmcnt(1)
	v_mul_f64 v[237:238], v[2:3], v[44:45]
	v_mul_f64 v[44:45], v[4:5], v[44:45]
	v_fma_f64 v[178:179], v[178:179], v[38:39], v[231:232]
	v_fma_f64 v[176:177], v[176:177], v[38:39], -v[40:41]
	scratch_load_b128 v[38:41], off, off offset:704
	s_waitcnt vmcnt(8) lgkmcnt(0)
	v_mul_f64 v[231:232], v[180:181], v[8:9]
	v_mul_f64 v[8:9], v[182:183], v[8:9]
	v_add_f64 v[169:170], v[169:170], v[235:236]
	v_add_f64 v[229:230], v[229:230], v[233:234]
	v_fma_f64 v[233:234], v[4:5], v[42:43], v[237:238]
	v_fma_f64 v[235:236], v[2:3], v[42:43], -v[44:45]
	ds_load_b128 v[2:5], v1 offset:1472
	scratch_load_b128 v[42:45], off, off offset:720
	v_fma_f64 v[182:183], v[182:183], v[6:7], v[231:232]
	v_fma_f64 v[180:181], v[180:181], v[6:7], -v[8:9]
	scratch_load_b128 v[6:9], off, off offset:736
	v_add_f64 v[169:170], v[169:170], v[176:177]
	v_add_f64 v[229:230], v[229:230], v[178:179]
	ds_load_b128 v[176:179], v1 offset:1488
	s_waitcnt vmcnt(9) lgkmcnt(1)
	v_mul_f64 v[237:238], v[2:3], v[12:13]
	v_mul_f64 v[12:13], v[4:5], v[12:13]
	s_waitcnt vmcnt(8) lgkmcnt(0)
	v_mul_f64 v[231:232], v[176:177], v[16:17]
	v_mul_f64 v[16:17], v[178:179], v[16:17]
	v_add_f64 v[169:170], v[169:170], v[235:236]
	v_add_f64 v[229:230], v[229:230], v[233:234]
	v_fma_f64 v[233:234], v[4:5], v[10:11], v[237:238]
	v_fma_f64 v[235:236], v[2:3], v[10:11], -v[12:13]
	ds_load_b128 v[2:5], v1 offset:1504
	scratch_load_b128 v[10:13], off, off offset:752
	v_fma_f64 v[178:179], v[178:179], v[14:15], v[231:232]
	v_fma_f64 v[176:177], v[176:177], v[14:15], -v[16:17]
	scratch_load_b128 v[14:17], off, off offset:768
	v_add_f64 v[169:170], v[169:170], v[180:181]
	v_add_f64 v[229:230], v[229:230], v[182:183]
	ds_load_b128 v[180:183], v1 offset:1520
	s_waitcnt vmcnt(9) lgkmcnt(1)
	v_mul_f64 v[237:238], v[2:3], v[20:21]
	v_mul_f64 v[20:21], v[4:5], v[20:21]
	;; [unrolled: 18-line block ×5, first 2 shown]
	s_waitcnt vmcnt(8) lgkmcnt(0)
	v_mul_f64 v[231:232], v[176:177], v[8:9]
	v_mul_f64 v[8:9], v[178:179], v[8:9]
	v_add_f64 v[169:170], v[169:170], v[235:236]
	v_add_f64 v[229:230], v[229:230], v[233:234]
	v_fma_f64 v[233:234], v[4:5], v[42:43], v[237:238]
	v_fma_f64 v[235:236], v[2:3], v[42:43], -v[44:45]
	ds_load_b128 v[2:5], v1 offset:1632
	ds_load_b128 v[42:45], v1 offset:1648
	v_fma_f64 v[178:179], v[178:179], v[6:7], v[231:232]
	v_fma_f64 v[6:7], v[176:177], v[6:7], -v[8:9]
	v_add_f64 v[169:170], v[169:170], v[180:181]
	v_add_f64 v[180:181], v[229:230], v[182:183]
	s_waitcnt vmcnt(7) lgkmcnt(1)
	v_mul_f64 v[182:183], v[2:3], v[12:13]
	v_mul_f64 v[12:13], v[4:5], v[12:13]
	s_waitcnt vmcnt(6) lgkmcnt(0)
	v_mul_f64 v[176:177], v[42:43], v[16:17]
	v_mul_f64 v[16:17], v[44:45], v[16:17]
	v_add_f64 v[8:9], v[169:170], v[235:236]
	v_add_f64 v[169:170], v[180:181], v[233:234]
	v_fma_f64 v[180:181], v[4:5], v[10:11], v[182:183]
	v_fma_f64 v[10:11], v[2:3], v[10:11], -v[12:13]
	v_fma_f64 v[44:45], v[44:45], v[14:15], v[176:177]
	v_fma_f64 v[14:15], v[42:43], v[14:15], -v[16:17]
	v_add_f64 v[12:13], v[8:9], v[6:7]
	v_add_f64 v[169:170], v[169:170], v[178:179]
	ds_load_b128 v[2:5], v1 offset:1664
	ds_load_b128 v[6:9], v1 offset:1680
	s_waitcnt vmcnt(5) lgkmcnt(1)
	v_mul_f64 v[178:179], v[2:3], v[20:21]
	v_mul_f64 v[20:21], v[4:5], v[20:21]
	s_waitcnt vmcnt(4) lgkmcnt(0)
	v_mul_f64 v[16:17], v[6:7], v[24:25]
	v_mul_f64 v[24:25], v[8:9], v[24:25]
	v_add_f64 v[10:11], v[12:13], v[10:11]
	v_add_f64 v[12:13], v[169:170], v[180:181]
	v_fma_f64 v[42:43], v[4:5], v[18:19], v[178:179]
	v_fma_f64 v[18:19], v[2:3], v[18:19], -v[20:21]
	v_fma_f64 v[8:9], v[8:9], v[22:23], v[16:17]
	v_fma_f64 v[6:7], v[6:7], v[22:23], -v[24:25]
	v_add_f64 v[14:15], v[10:11], v[14:15]
	v_add_f64 v[20:21], v[12:13], v[44:45]
	ds_load_b128 v[2:5], v1 offset:1696
	ds_load_b128 v[10:13], v1 offset:1712
	s_waitcnt vmcnt(3) lgkmcnt(1)
	v_mul_f64 v[44:45], v[2:3], v[28:29]
	v_mul_f64 v[28:29], v[4:5], v[28:29]
	v_add_f64 v[14:15], v[14:15], v[18:19]
	v_add_f64 v[16:17], v[20:21], v[42:43]
	s_waitcnt vmcnt(2) lgkmcnt(0)
	v_mul_f64 v[18:19], v[10:11], v[32:33]
	v_mul_f64 v[20:21], v[12:13], v[32:33]
	v_fma_f64 v[22:23], v[4:5], v[26:27], v[44:45]
	v_fma_f64 v[24:25], v[2:3], v[26:27], -v[28:29]
	v_add_f64 v[14:15], v[14:15], v[6:7]
	v_add_f64 v[16:17], v[16:17], v[8:9]
	ds_load_b128 v[2:5], v1 offset:1728
	ds_load_b128 v[6:9], v1 offset:1744
	v_fma_f64 v[12:13], v[12:13], v[30:31], v[18:19]
	v_fma_f64 v[10:11], v[10:11], v[30:31], -v[20:21]
	s_waitcnt vmcnt(1) lgkmcnt(1)
	v_mul_f64 v[26:27], v[2:3], v[36:37]
	v_mul_f64 v[28:29], v[4:5], v[36:37]
	s_waitcnt vmcnt(0) lgkmcnt(0)
	v_mul_f64 v[18:19], v[6:7], v[40:41]
	v_mul_f64 v[20:21], v[8:9], v[40:41]
	v_add_f64 v[14:15], v[14:15], v[24:25]
	v_add_f64 v[16:17], v[16:17], v[22:23]
	v_fma_f64 v[4:5], v[4:5], v[34:35], v[26:27]
	v_fma_f64 v[1:2], v[2:3], v[34:35], -v[28:29]
	v_fma_f64 v[8:9], v[8:9], v[38:39], v[18:19]
	v_fma_f64 v[6:7], v[6:7], v[38:39], -v[20:21]
	v_add_f64 v[10:11], v[14:15], v[10:11]
	v_add_f64 v[12:13], v[16:17], v[12:13]
	s_delay_alu instid0(VALU_DEP_2) | instskip(NEXT) | instid1(VALU_DEP_2)
	v_add_f64 v[1:2], v[10:11], v[1:2]
	v_add_f64 v[3:4], v[12:13], v[4:5]
	s_delay_alu instid0(VALU_DEP_2) | instskip(NEXT) | instid1(VALU_DEP_2)
	;; [unrolled: 3-line block ×3, first 2 shown]
	v_add_f64 v[1:2], v[172:173], -v[1:2]
	v_add_f64 v[3:4], v[174:175], -v[3:4]
	scratch_store_b128 off, v[1:4], off offset:224
	v_cmpx_lt_u32_e32 13, v156
	s_cbranch_execz .LBB54_317
; %bb.316:
	scratch_load_b128 v[1:4], v198, off
	v_mov_b32_e32 v5, 0
	s_delay_alu instid0(VALU_DEP_1)
	v_mov_b32_e32 v6, v5
	v_mov_b32_e32 v7, v5
	;; [unrolled: 1-line block ×3, first 2 shown]
	scratch_store_b128 off, v[5:8], off offset:208
	s_waitcnt vmcnt(0)
	ds_store_b128 v211, v[1:4]
.LBB54_317:
	s_or_b32 exec_lo, exec_lo, s2
	s_waitcnt lgkmcnt(0)
	s_waitcnt_vscnt null, 0x0
	s_barrier
	buffer_gl0_inv
	s_clause 0x7
	scratch_load_b128 v[2:5], off, off offset:224
	scratch_load_b128 v[6:9], off, off offset:240
	;; [unrolled: 1-line block ×8, first 2 shown]
	v_mov_b32_e32 v1, 0
	s_mov_b32 s2, exec_lo
	ds_load_b128 v[38:41], v1 offset:1104
	s_clause 0x1
	scratch_load_b128 v[34:37], off, off offset:352
	scratch_load_b128 v[42:45], off, off offset:208
	ds_load_b128 v[172:175], v1 offset:1120
	scratch_load_b128 v[176:179], off, off offset:368
	ds_load_b128 v[180:183], v1 offset:1152
	s_waitcnt vmcnt(10) lgkmcnt(2)
	v_mul_f64 v[169:170], v[40:41], v[4:5]
	v_mul_f64 v[4:5], v[38:39], v[4:5]
	s_delay_alu instid0(VALU_DEP_2) | instskip(NEXT) | instid1(VALU_DEP_2)
	v_fma_f64 v[169:170], v[38:39], v[2:3], -v[169:170]
	v_fma_f64 v[231:232], v[40:41], v[2:3], v[4:5]
	ds_load_b128 v[2:5], v1 offset:1136
	s_waitcnt vmcnt(9) lgkmcnt(2)
	v_mul_f64 v[229:230], v[172:173], v[8:9]
	v_mul_f64 v[8:9], v[174:175], v[8:9]
	scratch_load_b128 v[38:41], off, off offset:384
	s_waitcnt vmcnt(9) lgkmcnt(0)
	v_mul_f64 v[233:234], v[2:3], v[12:13]
	v_mul_f64 v[12:13], v[4:5], v[12:13]
	v_add_f64 v[169:170], v[169:170], 0
	v_fma_f64 v[174:175], v[174:175], v[6:7], v[229:230]
	v_fma_f64 v[172:173], v[172:173], v[6:7], -v[8:9]
	v_add_f64 v[229:230], v[231:232], 0
	scratch_load_b128 v[6:9], off, off offset:400
	v_fma_f64 v[233:234], v[4:5], v[10:11], v[233:234]
	v_fma_f64 v[235:236], v[2:3], v[10:11], -v[12:13]
	scratch_load_b128 v[10:13], off, off offset:416
	ds_load_b128 v[2:5], v1 offset:1168
	s_waitcnt vmcnt(10)
	v_mul_f64 v[231:232], v[180:181], v[16:17]
	v_mul_f64 v[16:17], v[182:183], v[16:17]
	v_add_f64 v[169:170], v[169:170], v[172:173]
	v_add_f64 v[229:230], v[229:230], v[174:175]
	ds_load_b128 v[172:175], v1 offset:1184
	s_waitcnt vmcnt(9) lgkmcnt(1)
	v_mul_f64 v[237:238], v[2:3], v[20:21]
	v_mul_f64 v[20:21], v[4:5], v[20:21]
	v_fma_f64 v[182:183], v[182:183], v[14:15], v[231:232]
	v_fma_f64 v[180:181], v[180:181], v[14:15], -v[16:17]
	scratch_load_b128 v[14:17], off, off offset:432
	v_add_f64 v[169:170], v[169:170], v[235:236]
	v_add_f64 v[229:230], v[229:230], v[233:234]
	v_fma_f64 v[233:234], v[4:5], v[18:19], v[237:238]
	v_fma_f64 v[235:236], v[2:3], v[18:19], -v[20:21]
	scratch_load_b128 v[18:21], off, off offset:448
	ds_load_b128 v[2:5], v1 offset:1200
	s_waitcnt vmcnt(10) lgkmcnt(1)
	v_mul_f64 v[231:232], v[172:173], v[24:25]
	v_mul_f64 v[24:25], v[174:175], v[24:25]
	s_waitcnt vmcnt(9) lgkmcnt(0)
	v_mul_f64 v[237:238], v[2:3], v[28:29]
	v_mul_f64 v[28:29], v[4:5], v[28:29]
	v_add_f64 v[169:170], v[169:170], v[180:181]
	v_add_f64 v[229:230], v[229:230], v[182:183]
	ds_load_b128 v[180:183], v1 offset:1216
	v_fma_f64 v[174:175], v[174:175], v[22:23], v[231:232]
	v_fma_f64 v[172:173], v[172:173], v[22:23], -v[24:25]
	scratch_load_b128 v[22:25], off, off offset:464
	v_add_f64 v[169:170], v[169:170], v[235:236]
	v_add_f64 v[229:230], v[229:230], v[233:234]
	v_fma_f64 v[233:234], v[4:5], v[26:27], v[237:238]
	v_fma_f64 v[235:236], v[2:3], v[26:27], -v[28:29]
	scratch_load_b128 v[26:29], off, off offset:480
	ds_load_b128 v[2:5], v1 offset:1232
	s_waitcnt vmcnt(10) lgkmcnt(1)
	v_mul_f64 v[231:232], v[180:181], v[32:33]
	v_mul_f64 v[32:33], v[182:183], v[32:33]
	s_waitcnt vmcnt(9) lgkmcnt(0)
	v_mul_f64 v[237:238], v[2:3], v[36:37]
	v_mul_f64 v[36:37], v[4:5], v[36:37]
	v_add_f64 v[169:170], v[169:170], v[172:173]
	v_add_f64 v[229:230], v[229:230], v[174:175]
	ds_load_b128 v[172:175], v1 offset:1248
	v_fma_f64 v[182:183], v[182:183], v[30:31], v[231:232]
	v_fma_f64 v[180:181], v[180:181], v[30:31], -v[32:33]
	scratch_load_b128 v[30:33], off, off offset:496
	v_add_f64 v[169:170], v[169:170], v[235:236]
	v_add_f64 v[229:230], v[229:230], v[233:234]
	v_fma_f64 v[235:236], v[4:5], v[34:35], v[237:238]
	v_fma_f64 v[237:238], v[2:3], v[34:35], -v[36:37]
	scratch_load_b128 v[34:37], off, off offset:512
	ds_load_b128 v[2:5], v1 offset:1264
	s_waitcnt vmcnt(9) lgkmcnt(1)
	v_mul_f64 v[231:232], v[172:173], v[178:179]
	v_mul_f64 v[233:234], v[174:175], v[178:179]
	v_add_f64 v[169:170], v[169:170], v[180:181]
	v_add_f64 v[182:183], v[229:230], v[182:183]
	ds_load_b128 v[178:181], v1 offset:1280
	v_fma_f64 v[231:232], v[174:175], v[176:177], v[231:232]
	v_fma_f64 v[176:177], v[172:173], v[176:177], -v[233:234]
	scratch_load_b128 v[172:175], off, off offset:528
	s_waitcnt vmcnt(9) lgkmcnt(1)
	v_mul_f64 v[229:230], v[2:3], v[40:41]
	v_mul_f64 v[40:41], v[4:5], v[40:41]
	v_add_f64 v[169:170], v[169:170], v[237:238]
	v_add_f64 v[182:183], v[182:183], v[235:236]
	s_delay_alu instid0(VALU_DEP_4) | instskip(NEXT) | instid1(VALU_DEP_4)
	v_fma_f64 v[235:236], v[4:5], v[38:39], v[229:230]
	v_fma_f64 v[237:238], v[2:3], v[38:39], -v[40:41]
	scratch_load_b128 v[38:41], off, off offset:544
	ds_load_b128 v[2:5], v1 offset:1296
	s_waitcnt vmcnt(9) lgkmcnt(1)
	v_mul_f64 v[233:234], v[178:179], v[8:9]
	v_mul_f64 v[8:9], v[180:181], v[8:9]
	v_add_f64 v[169:170], v[169:170], v[176:177]
	v_add_f64 v[176:177], v[182:183], v[231:232]
	s_waitcnt vmcnt(8) lgkmcnt(0)
	v_mul_f64 v[182:183], v[2:3], v[12:13]
	v_mul_f64 v[12:13], v[4:5], v[12:13]
	ds_load_b128 v[229:232], v1 offset:1312
	v_fma_f64 v[180:181], v[180:181], v[6:7], v[233:234]
	v_fma_f64 v[178:179], v[178:179], v[6:7], -v[8:9]
	scratch_load_b128 v[6:9], off, off offset:560
	v_add_f64 v[169:170], v[169:170], v[237:238]
	v_add_f64 v[176:177], v[176:177], v[235:236]
	v_fma_f64 v[182:183], v[4:5], v[10:11], v[182:183]
	v_fma_f64 v[235:236], v[2:3], v[10:11], -v[12:13]
	scratch_load_b128 v[10:13], off, off offset:576
	ds_load_b128 v[2:5], v1 offset:1328
	s_waitcnt vmcnt(9) lgkmcnt(1)
	v_mul_f64 v[233:234], v[229:230], v[16:17]
	v_mul_f64 v[16:17], v[231:232], v[16:17]
	s_waitcnt vmcnt(8) lgkmcnt(0)
	v_mul_f64 v[237:238], v[2:3], v[20:21]
	v_mul_f64 v[20:21], v[4:5], v[20:21]
	v_add_f64 v[169:170], v[169:170], v[178:179]
	v_add_f64 v[180:181], v[176:177], v[180:181]
	ds_load_b128 v[176:179], v1 offset:1344
	v_fma_f64 v[231:232], v[231:232], v[14:15], v[233:234]
	v_fma_f64 v[229:230], v[229:230], v[14:15], -v[16:17]
	scratch_load_b128 v[14:17], off, off offset:592
	v_add_f64 v[169:170], v[169:170], v[235:236]
	v_add_f64 v[180:181], v[180:181], v[182:183]
	v_fma_f64 v[235:236], v[4:5], v[18:19], v[237:238]
	v_fma_f64 v[237:238], v[2:3], v[18:19], -v[20:21]
	scratch_load_b128 v[18:21], off, off offset:608
	ds_load_b128 v[2:5], v1 offset:1360
	s_waitcnt vmcnt(9) lgkmcnt(1)
	v_mul_f64 v[233:234], v[176:177], v[24:25]
	v_mul_f64 v[24:25], v[178:179], v[24:25]
	v_add_f64 v[169:170], v[169:170], v[229:230]
	v_add_f64 v[229:230], v[180:181], v[231:232]
	s_waitcnt vmcnt(8) lgkmcnt(0)
	v_mul_f64 v[231:232], v[2:3], v[28:29]
	v_mul_f64 v[28:29], v[4:5], v[28:29]
	ds_load_b128 v[180:183], v1 offset:1376
	v_fma_f64 v[178:179], v[178:179], v[22:23], v[233:234]
	v_fma_f64 v[176:177], v[176:177], v[22:23], -v[24:25]
	scratch_load_b128 v[22:25], off, off offset:624
	v_add_f64 v[169:170], v[169:170], v[237:238]
	v_add_f64 v[229:230], v[229:230], v[235:236]
	v_fma_f64 v[231:232], v[4:5], v[26:27], v[231:232]
	v_fma_f64 v[235:236], v[2:3], v[26:27], -v[28:29]
	scratch_load_b128 v[26:29], off, off offset:640
	ds_load_b128 v[2:5], v1 offset:1392
	s_waitcnt vmcnt(9) lgkmcnt(1)
	v_mul_f64 v[233:234], v[180:181], v[32:33]
	v_mul_f64 v[32:33], v[182:183], v[32:33]
	s_waitcnt vmcnt(8) lgkmcnt(0)
	v_mul_f64 v[237:238], v[2:3], v[36:37]
	v_mul_f64 v[36:37], v[4:5], v[36:37]
	v_add_f64 v[169:170], v[169:170], v[176:177]
	v_add_f64 v[229:230], v[229:230], v[178:179]
	ds_load_b128 v[176:179], v1 offset:1408
	v_fma_f64 v[182:183], v[182:183], v[30:31], v[233:234]
	v_fma_f64 v[180:181], v[180:181], v[30:31], -v[32:33]
	scratch_load_b128 v[30:33], off, off offset:656
	v_fma_f64 v[233:234], v[4:5], v[34:35], v[237:238]
	v_add_f64 v[169:170], v[169:170], v[235:236]
	v_add_f64 v[229:230], v[229:230], v[231:232]
	v_fma_f64 v[235:236], v[2:3], v[34:35], -v[36:37]
	scratch_load_b128 v[34:37], off, off offset:672
	ds_load_b128 v[2:5], v1 offset:1424
	s_waitcnt vmcnt(9) lgkmcnt(1)
	v_mul_f64 v[231:232], v[176:177], v[174:175]
	v_mul_f64 v[174:175], v[178:179], v[174:175]
	s_waitcnt vmcnt(8) lgkmcnt(0)
	v_mul_f64 v[237:238], v[2:3], v[40:41]
	v_mul_f64 v[40:41], v[4:5], v[40:41]
	v_add_f64 v[169:170], v[169:170], v[180:181]
	v_add_f64 v[229:230], v[229:230], v[182:183]
	ds_load_b128 v[180:183], v1 offset:1440
	v_fma_f64 v[178:179], v[178:179], v[172:173], v[231:232]
	v_fma_f64 v[176:177], v[176:177], v[172:173], -v[174:175]
	scratch_load_b128 v[172:175], off, off offset:688
	v_add_f64 v[169:170], v[169:170], v[235:236]
	v_add_f64 v[229:230], v[229:230], v[233:234]
	v_fma_f64 v[233:234], v[4:5], v[38:39], v[237:238]
	v_fma_f64 v[235:236], v[2:3], v[38:39], -v[40:41]
	scratch_load_b128 v[38:41], off, off offset:704
	ds_load_b128 v[2:5], v1 offset:1456
	s_waitcnt vmcnt(9) lgkmcnt(1)
	v_mul_f64 v[231:232], v[180:181], v[8:9]
	v_mul_f64 v[8:9], v[182:183], v[8:9]
	s_waitcnt vmcnt(8) lgkmcnt(0)
	v_mul_f64 v[237:238], v[2:3], v[12:13]
	v_mul_f64 v[12:13], v[4:5], v[12:13]
	v_add_f64 v[169:170], v[169:170], v[176:177]
	v_add_f64 v[229:230], v[229:230], v[178:179]
	ds_load_b128 v[176:179], v1 offset:1472
	v_fma_f64 v[182:183], v[182:183], v[6:7], v[231:232]
	v_fma_f64 v[180:181], v[180:181], v[6:7], -v[8:9]
	scratch_load_b128 v[6:9], off, off offset:720
	v_add_f64 v[169:170], v[169:170], v[235:236]
	v_add_f64 v[229:230], v[229:230], v[233:234]
	v_fma_f64 v[233:234], v[4:5], v[10:11], v[237:238]
	;; [unrolled: 18-line block ×5, first 2 shown]
	v_fma_f64 v[237:238], v[2:3], v[34:35], -v[36:37]
	scratch_load_b128 v[34:37], off, off offset:832
	ds_load_b128 v[2:5], v1 offset:1584
	s_waitcnt vmcnt(9) lgkmcnt(1)
	v_mul_f64 v[231:232], v[180:181], v[174:175]
	v_mul_f64 v[233:234], v[182:183], v[174:175]
	v_add_f64 v[169:170], v[169:170], v[176:177]
	v_add_f64 v[178:179], v[229:230], v[178:179]
	s_waitcnt vmcnt(8) lgkmcnt(0)
	v_mul_f64 v[229:230], v[2:3], v[40:41]
	v_mul_f64 v[40:41], v[4:5], v[40:41]
	ds_load_b128 v[174:177], v1 offset:1600
	v_fma_f64 v[182:183], v[182:183], v[172:173], v[231:232]
	v_fma_f64 v[172:173], v[180:181], v[172:173], -v[233:234]
	v_add_f64 v[169:170], v[169:170], v[237:238]
	v_add_f64 v[231:232], v[178:179], v[235:236]
	scratch_load_b128 v[178:181], off, off offset:848
	v_fma_f64 v[235:236], v[4:5], v[38:39], v[229:230]
	v_fma_f64 v[237:238], v[2:3], v[38:39], -v[40:41]
	scratch_load_b128 v[38:41], off, off offset:864
	ds_load_b128 v[2:5], v1 offset:1616
	s_waitcnt vmcnt(9) lgkmcnt(1)
	v_mul_f64 v[233:234], v[174:175], v[8:9]
	v_mul_f64 v[8:9], v[176:177], v[8:9]
	v_add_f64 v[169:170], v[169:170], v[172:173]
	v_add_f64 v[172:173], v[231:232], v[182:183]
	s_waitcnt vmcnt(8) lgkmcnt(0)
	v_mul_f64 v[182:183], v[2:3], v[12:13]
	v_mul_f64 v[12:13], v[4:5], v[12:13]
	ds_load_b128 v[229:232], v1 offset:1632
	v_fma_f64 v[176:177], v[176:177], v[6:7], v[233:234]
	v_fma_f64 v[6:7], v[174:175], v[6:7], -v[8:9]
	v_add_f64 v[8:9], v[169:170], v[237:238]
	v_add_f64 v[169:170], v[172:173], v[235:236]
	s_waitcnt vmcnt(7) lgkmcnt(0)
	v_mul_f64 v[172:173], v[229:230], v[16:17]
	v_mul_f64 v[16:17], v[231:232], v[16:17]
	v_fma_f64 v[174:175], v[4:5], v[10:11], v[182:183]
	v_fma_f64 v[10:11], v[2:3], v[10:11], -v[12:13]
	v_add_f64 v[12:13], v[8:9], v[6:7]
	v_add_f64 v[169:170], v[169:170], v[176:177]
	ds_load_b128 v[2:5], v1 offset:1648
	ds_load_b128 v[6:9], v1 offset:1664
	v_fma_f64 v[172:173], v[231:232], v[14:15], v[172:173]
	v_fma_f64 v[14:15], v[229:230], v[14:15], -v[16:17]
	s_waitcnt vmcnt(6) lgkmcnt(1)
	v_mul_f64 v[176:177], v[2:3], v[20:21]
	v_mul_f64 v[20:21], v[4:5], v[20:21]
	s_waitcnt vmcnt(5) lgkmcnt(0)
	v_mul_f64 v[16:17], v[6:7], v[24:25]
	v_mul_f64 v[24:25], v[8:9], v[24:25]
	v_add_f64 v[10:11], v[12:13], v[10:11]
	v_add_f64 v[12:13], v[169:170], v[174:175]
	v_fma_f64 v[169:170], v[4:5], v[18:19], v[176:177]
	v_fma_f64 v[18:19], v[2:3], v[18:19], -v[20:21]
	v_fma_f64 v[8:9], v[8:9], v[22:23], v[16:17]
	v_fma_f64 v[6:7], v[6:7], v[22:23], -v[24:25]
	v_add_f64 v[14:15], v[10:11], v[14:15]
	v_add_f64 v[20:21], v[12:13], v[172:173]
	ds_load_b128 v[2:5], v1 offset:1680
	ds_load_b128 v[10:13], v1 offset:1696
	s_waitcnt vmcnt(4) lgkmcnt(1)
	v_mul_f64 v[172:173], v[2:3], v[28:29]
	v_mul_f64 v[28:29], v[4:5], v[28:29]
	v_add_f64 v[14:15], v[14:15], v[18:19]
	v_add_f64 v[16:17], v[20:21], v[169:170]
	s_waitcnt vmcnt(3) lgkmcnt(0)
	v_mul_f64 v[18:19], v[10:11], v[32:33]
	v_mul_f64 v[20:21], v[12:13], v[32:33]
	v_fma_f64 v[22:23], v[4:5], v[26:27], v[172:173]
	v_fma_f64 v[24:25], v[2:3], v[26:27], -v[28:29]
	v_add_f64 v[14:15], v[14:15], v[6:7]
	v_add_f64 v[16:17], v[16:17], v[8:9]
	ds_load_b128 v[2:5], v1 offset:1712
	ds_load_b128 v[6:9], v1 offset:1728
	v_fma_f64 v[12:13], v[12:13], v[30:31], v[18:19]
	v_fma_f64 v[10:11], v[10:11], v[30:31], -v[20:21]
	s_waitcnt vmcnt(2) lgkmcnt(1)
	v_mul_f64 v[26:27], v[2:3], v[36:37]
	v_mul_f64 v[28:29], v[4:5], v[36:37]
	v_add_f64 v[14:15], v[14:15], v[24:25]
	v_add_f64 v[16:17], v[16:17], v[22:23]
	s_waitcnt vmcnt(1) lgkmcnt(0)
	v_mul_f64 v[18:19], v[6:7], v[180:181]
	v_mul_f64 v[20:21], v[8:9], v[180:181]
	v_fma_f64 v[22:23], v[4:5], v[34:35], v[26:27]
	v_fma_f64 v[24:25], v[2:3], v[34:35], -v[28:29]
	ds_load_b128 v[2:5], v1 offset:1744
	v_add_f64 v[10:11], v[14:15], v[10:11]
	v_add_f64 v[12:13], v[16:17], v[12:13]
	s_waitcnt vmcnt(0) lgkmcnt(0)
	v_mul_f64 v[14:15], v[2:3], v[40:41]
	v_mul_f64 v[16:17], v[4:5], v[40:41]
	v_fma_f64 v[8:9], v[8:9], v[178:179], v[18:19]
	v_fma_f64 v[6:7], v[6:7], v[178:179], -v[20:21]
	v_add_f64 v[10:11], v[10:11], v[24:25]
	v_add_f64 v[12:13], v[12:13], v[22:23]
	v_fma_f64 v[4:5], v[4:5], v[38:39], v[14:15]
	v_fma_f64 v[2:3], v[2:3], v[38:39], -v[16:17]
	s_delay_alu instid0(VALU_DEP_4) | instskip(NEXT) | instid1(VALU_DEP_4)
	v_add_f64 v[6:7], v[10:11], v[6:7]
	v_add_f64 v[8:9], v[12:13], v[8:9]
	s_delay_alu instid0(VALU_DEP_2) | instskip(NEXT) | instid1(VALU_DEP_2)
	v_add_f64 v[2:3], v[6:7], v[2:3]
	v_add_f64 v[4:5], v[8:9], v[4:5]
	s_delay_alu instid0(VALU_DEP_2) | instskip(NEXT) | instid1(VALU_DEP_2)
	v_add_f64 v[2:3], v[42:43], -v[2:3]
	v_add_f64 v[4:5], v[44:45], -v[4:5]
	scratch_store_b128 off, v[2:5], off offset:208
	v_cmpx_lt_u32_e32 12, v156
	s_cbranch_execz .LBB54_319
; %bb.318:
	scratch_load_b128 v[5:8], v199, off
	v_mov_b32_e32 v2, v1
	v_mov_b32_e32 v3, v1
	v_mov_b32_e32 v4, v1
	scratch_store_b128 off, v[1:4], off offset:192
	s_waitcnt vmcnt(0)
	ds_store_b128 v211, v[5:8]
.LBB54_319:
	s_or_b32 exec_lo, exec_lo, s2
	s_waitcnt lgkmcnt(0)
	s_waitcnt_vscnt null, 0x0
	s_barrier
	buffer_gl0_inv
	s_clause 0x8
	scratch_load_b128 v[2:5], off, off offset:208
	scratch_load_b128 v[6:9], off, off offset:224
	;; [unrolled: 1-line block ×9, first 2 shown]
	ds_load_b128 v[42:45], v1 offset:1088
	ds_load_b128 v[38:41], v1 offset:1104
	s_clause 0x1
	scratch_load_b128 v[172:175], off, off offset:192
	scratch_load_b128 v[176:179], off, off offset:352
	s_mov_b32 s2, exec_lo
	ds_load_b128 v[180:183], v1 offset:1136
	s_waitcnt vmcnt(10) lgkmcnt(2)
	v_mul_f64 v[169:170], v[44:45], v[4:5]
	v_mul_f64 v[4:5], v[42:43], v[4:5]
	s_waitcnt vmcnt(9) lgkmcnt(1)
	v_mul_f64 v[229:230], v[38:39], v[8:9]
	v_mul_f64 v[8:9], v[40:41], v[8:9]
	s_delay_alu instid0(VALU_DEP_4) | instskip(NEXT) | instid1(VALU_DEP_4)
	v_fma_f64 v[169:170], v[42:43], v[2:3], -v[169:170]
	v_fma_f64 v[231:232], v[44:45], v[2:3], v[4:5]
	ds_load_b128 v[2:5], v1 offset:1120
	scratch_load_b128 v[42:45], off, off offset:368
	v_fma_f64 v[40:41], v[40:41], v[6:7], v[229:230]
	v_fma_f64 v[38:39], v[38:39], v[6:7], -v[8:9]
	scratch_load_b128 v[6:9], off, off offset:384
	s_waitcnt vmcnt(10) lgkmcnt(0)
	v_mul_f64 v[233:234], v[2:3], v[12:13]
	v_mul_f64 v[12:13], v[4:5], v[12:13]
	v_add_f64 v[169:170], v[169:170], 0
	v_add_f64 v[229:230], v[231:232], 0
	s_waitcnt vmcnt(9)
	v_mul_f64 v[231:232], v[180:181], v[16:17]
	v_mul_f64 v[16:17], v[182:183], v[16:17]
	v_fma_f64 v[233:234], v[4:5], v[10:11], v[233:234]
	v_fma_f64 v[235:236], v[2:3], v[10:11], -v[12:13]
	ds_load_b128 v[2:5], v1 offset:1152
	scratch_load_b128 v[10:13], off, off offset:400
	v_add_f64 v[169:170], v[169:170], v[38:39]
	v_add_f64 v[229:230], v[229:230], v[40:41]
	ds_load_b128 v[38:41], v1 offset:1168
	v_fma_f64 v[182:183], v[182:183], v[14:15], v[231:232]
	v_fma_f64 v[180:181], v[180:181], v[14:15], -v[16:17]
	scratch_load_b128 v[14:17], off, off offset:416
	s_waitcnt vmcnt(10) lgkmcnt(1)
	v_mul_f64 v[237:238], v[2:3], v[20:21]
	v_mul_f64 v[20:21], v[4:5], v[20:21]
	s_waitcnt vmcnt(9) lgkmcnt(0)
	v_mul_f64 v[231:232], v[38:39], v[24:25]
	v_mul_f64 v[24:25], v[40:41], v[24:25]
	v_add_f64 v[169:170], v[169:170], v[235:236]
	v_add_f64 v[229:230], v[229:230], v[233:234]
	v_fma_f64 v[233:234], v[4:5], v[18:19], v[237:238]
	v_fma_f64 v[235:236], v[2:3], v[18:19], -v[20:21]
	ds_load_b128 v[2:5], v1 offset:1184
	scratch_load_b128 v[18:21], off, off offset:432
	v_fma_f64 v[40:41], v[40:41], v[22:23], v[231:232]
	v_fma_f64 v[38:39], v[38:39], v[22:23], -v[24:25]
	scratch_load_b128 v[22:25], off, off offset:448
	v_add_f64 v[169:170], v[169:170], v[180:181]
	v_add_f64 v[229:230], v[229:230], v[182:183]
	ds_load_b128 v[180:183], v1 offset:1200
	s_waitcnt vmcnt(10) lgkmcnt(1)
	v_mul_f64 v[237:238], v[2:3], v[28:29]
	v_mul_f64 v[28:29], v[4:5], v[28:29]
	s_waitcnt vmcnt(9) lgkmcnt(0)
	v_mul_f64 v[231:232], v[180:181], v[32:33]
	v_mul_f64 v[32:33], v[182:183], v[32:33]
	v_add_f64 v[169:170], v[169:170], v[235:236]
	v_add_f64 v[229:230], v[229:230], v[233:234]
	v_fma_f64 v[233:234], v[4:5], v[26:27], v[237:238]
	v_fma_f64 v[235:236], v[2:3], v[26:27], -v[28:29]
	ds_load_b128 v[2:5], v1 offset:1216
	scratch_load_b128 v[26:29], off, off offset:464
	v_fma_f64 v[182:183], v[182:183], v[30:31], v[231:232]
	v_fma_f64 v[180:181], v[180:181], v[30:31], -v[32:33]
	scratch_load_b128 v[30:33], off, off offset:480
	v_add_f64 v[169:170], v[169:170], v[38:39]
	v_add_f64 v[229:230], v[229:230], v[40:41]
	ds_load_b128 v[38:41], v1 offset:1232
	s_waitcnt vmcnt(10) lgkmcnt(1)
	v_mul_f64 v[237:238], v[2:3], v[36:37]
	v_mul_f64 v[36:37], v[4:5], v[36:37]
	s_waitcnt vmcnt(8) lgkmcnt(0)
	v_mul_f64 v[231:232], v[38:39], v[178:179]
	v_add_f64 v[169:170], v[169:170], v[235:236]
	v_add_f64 v[229:230], v[229:230], v[233:234]
	v_mul_f64 v[233:234], v[40:41], v[178:179]
	v_fma_f64 v[235:236], v[4:5], v[34:35], v[237:238]
	v_fma_f64 v[237:238], v[2:3], v[34:35], -v[36:37]
	ds_load_b128 v[2:5], v1 offset:1248
	scratch_load_b128 v[34:37], off, off offset:496
	v_fma_f64 v[231:232], v[40:41], v[176:177], v[231:232]
	v_add_f64 v[169:170], v[169:170], v[180:181]
	v_add_f64 v[182:183], v[229:230], v[182:183]
	ds_load_b128 v[178:181], v1 offset:1264
	v_fma_f64 v[176:177], v[38:39], v[176:177], -v[233:234]
	scratch_load_b128 v[38:41], off, off offset:512
	s_waitcnt vmcnt(9) lgkmcnt(1)
	v_mul_f64 v[229:230], v[2:3], v[44:45]
	v_mul_f64 v[44:45], v[4:5], v[44:45]
	s_waitcnt vmcnt(8) lgkmcnt(0)
	v_mul_f64 v[233:234], v[178:179], v[8:9]
	v_mul_f64 v[8:9], v[180:181], v[8:9]
	v_add_f64 v[169:170], v[169:170], v[237:238]
	v_add_f64 v[182:183], v[182:183], v[235:236]
	v_fma_f64 v[235:236], v[4:5], v[42:43], v[229:230]
	v_fma_f64 v[237:238], v[2:3], v[42:43], -v[44:45]
	ds_load_b128 v[2:5], v1 offset:1280
	scratch_load_b128 v[42:45], off, off offset:528
	v_fma_f64 v[180:181], v[180:181], v[6:7], v[233:234]
	v_fma_f64 v[178:179], v[178:179], v[6:7], -v[8:9]
	scratch_load_b128 v[6:9], off, off offset:544
	v_add_f64 v[169:170], v[169:170], v[176:177]
	v_add_f64 v[176:177], v[182:183], v[231:232]
	ds_load_b128 v[229:232], v1 offset:1296
	s_waitcnt vmcnt(9) lgkmcnt(1)
	v_mul_f64 v[182:183], v[2:3], v[12:13]
	v_mul_f64 v[12:13], v[4:5], v[12:13]
	s_waitcnt vmcnt(8) lgkmcnt(0)
	v_mul_f64 v[233:234], v[229:230], v[16:17]
	v_mul_f64 v[16:17], v[231:232], v[16:17]
	v_add_f64 v[169:170], v[169:170], v[237:238]
	v_add_f64 v[176:177], v[176:177], v[235:236]
	v_fma_f64 v[182:183], v[4:5], v[10:11], v[182:183]
	v_fma_f64 v[235:236], v[2:3], v[10:11], -v[12:13]
	ds_load_b128 v[2:5], v1 offset:1312
	scratch_load_b128 v[10:13], off, off offset:560
	v_fma_f64 v[231:232], v[231:232], v[14:15], v[233:234]
	v_fma_f64 v[229:230], v[229:230], v[14:15], -v[16:17]
	scratch_load_b128 v[14:17], off, off offset:576
	v_add_f64 v[169:170], v[169:170], v[178:179]
	v_add_f64 v[180:181], v[176:177], v[180:181]
	ds_load_b128 v[176:179], v1 offset:1328
	;; [unrolled: 18-line block ×4, first 2 shown]
	s_waitcnt vmcnt(9) lgkmcnt(1)
	v_mul_f64 v[237:238], v[2:3], v[36:37]
	v_mul_f64 v[36:37], v[4:5], v[36:37]
	v_add_f64 v[169:170], v[169:170], v[235:236]
	v_add_f64 v[229:230], v[229:230], v[231:232]
	s_waitcnt vmcnt(8) lgkmcnt(0)
	v_mul_f64 v[231:232], v[176:177], v[40:41]
	v_mul_f64 v[40:41], v[178:179], v[40:41]
	v_fma_f64 v[233:234], v[4:5], v[34:35], v[237:238]
	v_fma_f64 v[235:236], v[2:3], v[34:35], -v[36:37]
	ds_load_b128 v[2:5], v1 offset:1408
	scratch_load_b128 v[34:37], off, off offset:656
	v_add_f64 v[169:170], v[169:170], v[180:181]
	v_add_f64 v[229:230], v[229:230], v[182:183]
	ds_load_b128 v[180:183], v1 offset:1424
	s_waitcnt vmcnt(8) lgkmcnt(1)
	v_mul_f64 v[237:238], v[2:3], v[44:45]
	v_mul_f64 v[44:45], v[4:5], v[44:45]
	v_fma_f64 v[178:179], v[178:179], v[38:39], v[231:232]
	v_fma_f64 v[176:177], v[176:177], v[38:39], -v[40:41]
	scratch_load_b128 v[38:41], off, off offset:672
	s_waitcnt vmcnt(8) lgkmcnt(0)
	v_mul_f64 v[231:232], v[180:181], v[8:9]
	v_mul_f64 v[8:9], v[182:183], v[8:9]
	v_add_f64 v[169:170], v[169:170], v[235:236]
	v_add_f64 v[229:230], v[229:230], v[233:234]
	v_fma_f64 v[233:234], v[4:5], v[42:43], v[237:238]
	v_fma_f64 v[235:236], v[2:3], v[42:43], -v[44:45]
	ds_load_b128 v[2:5], v1 offset:1440
	scratch_load_b128 v[42:45], off, off offset:688
	v_fma_f64 v[182:183], v[182:183], v[6:7], v[231:232]
	v_fma_f64 v[180:181], v[180:181], v[6:7], -v[8:9]
	scratch_load_b128 v[6:9], off, off offset:704
	v_add_f64 v[169:170], v[169:170], v[176:177]
	v_add_f64 v[229:230], v[229:230], v[178:179]
	ds_load_b128 v[176:179], v1 offset:1456
	s_waitcnt vmcnt(9) lgkmcnt(1)
	v_mul_f64 v[237:238], v[2:3], v[12:13]
	v_mul_f64 v[12:13], v[4:5], v[12:13]
	s_waitcnt vmcnt(8) lgkmcnt(0)
	v_mul_f64 v[231:232], v[176:177], v[16:17]
	v_mul_f64 v[16:17], v[178:179], v[16:17]
	v_add_f64 v[169:170], v[169:170], v[235:236]
	v_add_f64 v[229:230], v[229:230], v[233:234]
	v_fma_f64 v[233:234], v[4:5], v[10:11], v[237:238]
	v_fma_f64 v[235:236], v[2:3], v[10:11], -v[12:13]
	ds_load_b128 v[2:5], v1 offset:1472
	scratch_load_b128 v[10:13], off, off offset:720
	v_fma_f64 v[178:179], v[178:179], v[14:15], v[231:232]
	v_fma_f64 v[176:177], v[176:177], v[14:15], -v[16:17]
	scratch_load_b128 v[14:17], off, off offset:736
	v_add_f64 v[169:170], v[169:170], v[180:181]
	v_add_f64 v[229:230], v[229:230], v[182:183]
	ds_load_b128 v[180:183], v1 offset:1488
	s_waitcnt vmcnt(9) lgkmcnt(1)
	v_mul_f64 v[237:238], v[2:3], v[20:21]
	v_mul_f64 v[20:21], v[4:5], v[20:21]
	s_waitcnt vmcnt(8) lgkmcnt(0)
	v_mul_f64 v[231:232], v[180:181], v[24:25]
	v_mul_f64 v[24:25], v[182:183], v[24:25]
	v_add_f64 v[169:170], v[169:170], v[235:236]
	v_add_f64 v[229:230], v[229:230], v[233:234]
	v_fma_f64 v[233:234], v[4:5], v[18:19], v[237:238]
	v_fma_f64 v[235:236], v[2:3], v[18:19], -v[20:21]
	ds_load_b128 v[2:5], v1 offset:1504
	scratch_load_b128 v[18:21], off, off offset:752
	v_fma_f64 v[182:183], v[182:183], v[22:23], v[231:232]
	v_fma_f64 v[180:181], v[180:181], v[22:23], -v[24:25]
	scratch_load_b128 v[22:25], off, off offset:768
	v_add_f64 v[169:170], v[169:170], v[176:177]
	v_add_f64 v[229:230], v[229:230], v[178:179]
	ds_load_b128 v[176:179], v1 offset:1520
	s_waitcnt vmcnt(9) lgkmcnt(1)
	v_mul_f64 v[237:238], v[2:3], v[28:29]
	v_mul_f64 v[28:29], v[4:5], v[28:29]
	s_waitcnt vmcnt(8) lgkmcnt(0)
	v_mul_f64 v[231:232], v[176:177], v[32:33]
	v_mul_f64 v[32:33], v[178:179], v[32:33]
	v_add_f64 v[169:170], v[169:170], v[235:236]
	v_add_f64 v[229:230], v[229:230], v[233:234]
	v_fma_f64 v[233:234], v[4:5], v[26:27], v[237:238]
	v_fma_f64 v[235:236], v[2:3], v[26:27], -v[28:29]
	ds_load_b128 v[2:5], v1 offset:1536
	scratch_load_b128 v[26:29], off, off offset:784
	v_fma_f64 v[178:179], v[178:179], v[30:31], v[231:232]
	v_fma_f64 v[176:177], v[176:177], v[30:31], -v[32:33]
	scratch_load_b128 v[30:33], off, off offset:800
	v_add_f64 v[169:170], v[169:170], v[180:181]
	v_add_f64 v[229:230], v[229:230], v[182:183]
	ds_load_b128 v[180:183], v1 offset:1552
	s_waitcnt vmcnt(9) lgkmcnt(1)
	v_mul_f64 v[237:238], v[2:3], v[36:37]
	v_mul_f64 v[36:37], v[4:5], v[36:37]
	s_waitcnt vmcnt(8) lgkmcnt(0)
	v_mul_f64 v[231:232], v[180:181], v[40:41]
	v_mul_f64 v[40:41], v[182:183], v[40:41]
	v_add_f64 v[169:170], v[169:170], v[235:236]
	v_add_f64 v[229:230], v[229:230], v[233:234]
	v_fma_f64 v[233:234], v[4:5], v[34:35], v[237:238]
	v_fma_f64 v[235:236], v[2:3], v[34:35], -v[36:37]
	ds_load_b128 v[2:5], v1 offset:1568
	scratch_load_b128 v[34:37], off, off offset:816
	v_fma_f64 v[182:183], v[182:183], v[38:39], v[231:232]
	v_fma_f64 v[180:181], v[180:181], v[38:39], -v[40:41]
	scratch_load_b128 v[38:41], off, off offset:832
	v_add_f64 v[169:170], v[169:170], v[176:177]
	v_add_f64 v[229:230], v[229:230], v[178:179]
	ds_load_b128 v[176:179], v1 offset:1584
	s_waitcnt vmcnt(9) lgkmcnt(1)
	v_mul_f64 v[237:238], v[2:3], v[44:45]
	v_mul_f64 v[44:45], v[4:5], v[44:45]
	s_waitcnt vmcnt(8) lgkmcnt(0)
	v_mul_f64 v[231:232], v[176:177], v[8:9]
	v_mul_f64 v[8:9], v[178:179], v[8:9]
	v_add_f64 v[169:170], v[169:170], v[235:236]
	v_add_f64 v[229:230], v[229:230], v[233:234]
	v_fma_f64 v[233:234], v[4:5], v[42:43], v[237:238]
	v_fma_f64 v[235:236], v[2:3], v[42:43], -v[44:45]
	ds_load_b128 v[2:5], v1 offset:1600
	scratch_load_b128 v[42:45], off, off offset:848
	v_fma_f64 v[178:179], v[178:179], v[6:7], v[231:232]
	v_fma_f64 v[176:177], v[176:177], v[6:7], -v[8:9]
	scratch_load_b128 v[6:9], off, off offset:864
	v_add_f64 v[169:170], v[169:170], v[180:181]
	v_add_f64 v[229:230], v[229:230], v[182:183]
	ds_load_b128 v[180:183], v1 offset:1616
	s_waitcnt vmcnt(9) lgkmcnt(1)
	v_mul_f64 v[237:238], v[2:3], v[12:13]
	v_mul_f64 v[12:13], v[4:5], v[12:13]
	s_waitcnt vmcnt(8) lgkmcnt(0)
	v_mul_f64 v[231:232], v[180:181], v[16:17]
	v_mul_f64 v[16:17], v[182:183], v[16:17]
	v_add_f64 v[169:170], v[169:170], v[235:236]
	v_add_f64 v[229:230], v[229:230], v[233:234]
	v_fma_f64 v[233:234], v[4:5], v[10:11], v[237:238]
	v_fma_f64 v[235:236], v[2:3], v[10:11], -v[12:13]
	ds_load_b128 v[2:5], v1 offset:1632
	ds_load_b128 v[10:13], v1 offset:1648
	v_fma_f64 v[182:183], v[182:183], v[14:15], v[231:232]
	v_fma_f64 v[14:15], v[180:181], v[14:15], -v[16:17]
	v_add_f64 v[169:170], v[169:170], v[176:177]
	v_add_f64 v[176:177], v[229:230], v[178:179]
	s_waitcnt vmcnt(7) lgkmcnt(1)
	v_mul_f64 v[178:179], v[2:3], v[20:21]
	v_mul_f64 v[20:21], v[4:5], v[20:21]
	s_delay_alu instid0(VALU_DEP_4) | instskip(NEXT) | instid1(VALU_DEP_4)
	v_add_f64 v[16:17], v[169:170], v[235:236]
	v_add_f64 v[169:170], v[176:177], v[233:234]
	s_waitcnt vmcnt(6) lgkmcnt(0)
	v_mul_f64 v[176:177], v[10:11], v[24:25]
	v_mul_f64 v[24:25], v[12:13], v[24:25]
	v_fma_f64 v[178:179], v[4:5], v[18:19], v[178:179]
	v_fma_f64 v[18:19], v[2:3], v[18:19], -v[20:21]
	v_add_f64 v[20:21], v[16:17], v[14:15]
	v_add_f64 v[169:170], v[169:170], v[182:183]
	ds_load_b128 v[2:5], v1 offset:1664
	ds_load_b128 v[14:17], v1 offset:1680
	v_fma_f64 v[12:13], v[12:13], v[22:23], v[176:177]
	v_fma_f64 v[10:11], v[10:11], v[22:23], -v[24:25]
	s_waitcnt vmcnt(5) lgkmcnt(1)
	v_mul_f64 v[180:181], v[2:3], v[28:29]
	v_mul_f64 v[28:29], v[4:5], v[28:29]
	s_waitcnt vmcnt(4) lgkmcnt(0)
	v_mul_f64 v[22:23], v[14:15], v[32:33]
	v_mul_f64 v[24:25], v[16:17], v[32:33]
	v_add_f64 v[18:19], v[20:21], v[18:19]
	v_add_f64 v[20:21], v[169:170], v[178:179]
	v_fma_f64 v[32:33], v[4:5], v[26:27], v[180:181]
	v_fma_f64 v[26:27], v[2:3], v[26:27], -v[28:29]
	v_fma_f64 v[16:17], v[16:17], v[30:31], v[22:23]
	v_fma_f64 v[14:15], v[14:15], v[30:31], -v[24:25]
	v_add_f64 v[18:19], v[18:19], v[10:11]
	v_add_f64 v[20:21], v[20:21], v[12:13]
	ds_load_b128 v[2:5], v1 offset:1696
	ds_load_b128 v[10:13], v1 offset:1712
	s_waitcnt vmcnt(3) lgkmcnt(1)
	v_mul_f64 v[28:29], v[2:3], v[36:37]
	v_mul_f64 v[36:37], v[4:5], v[36:37]
	s_waitcnt vmcnt(2) lgkmcnt(0)
	v_mul_f64 v[22:23], v[10:11], v[40:41]
	v_mul_f64 v[24:25], v[12:13], v[40:41]
	v_add_f64 v[18:19], v[18:19], v[26:27]
	v_add_f64 v[20:21], v[20:21], v[32:33]
	v_fma_f64 v[26:27], v[4:5], v[34:35], v[28:29]
	v_fma_f64 v[28:29], v[2:3], v[34:35], -v[36:37]
	v_fma_f64 v[12:13], v[12:13], v[38:39], v[22:23]
	v_fma_f64 v[10:11], v[10:11], v[38:39], -v[24:25]
	v_add_f64 v[18:19], v[18:19], v[14:15]
	v_add_f64 v[20:21], v[20:21], v[16:17]
	ds_load_b128 v[2:5], v1 offset:1728
	ds_load_b128 v[14:17], v1 offset:1744
	s_waitcnt vmcnt(1) lgkmcnt(1)
	v_mul_f64 v[30:31], v[2:3], v[44:45]
	v_mul_f64 v[32:33], v[4:5], v[44:45]
	s_waitcnt vmcnt(0) lgkmcnt(0)
	v_mul_f64 v[22:23], v[14:15], v[8:9]
	v_mul_f64 v[8:9], v[16:17], v[8:9]
	v_add_f64 v[18:19], v[18:19], v[28:29]
	v_add_f64 v[20:21], v[20:21], v[26:27]
	v_fma_f64 v[4:5], v[4:5], v[42:43], v[30:31]
	v_fma_f64 v[1:2], v[2:3], v[42:43], -v[32:33]
	v_fma_f64 v[16:17], v[16:17], v[6:7], v[22:23]
	v_fma_f64 v[6:7], v[14:15], v[6:7], -v[8:9]
	v_add_f64 v[10:11], v[18:19], v[10:11]
	v_add_f64 v[12:13], v[20:21], v[12:13]
	s_delay_alu instid0(VALU_DEP_2) | instskip(NEXT) | instid1(VALU_DEP_2)
	v_add_f64 v[1:2], v[10:11], v[1:2]
	v_add_f64 v[3:4], v[12:13], v[4:5]
	s_delay_alu instid0(VALU_DEP_2) | instskip(NEXT) | instid1(VALU_DEP_2)
	;; [unrolled: 3-line block ×3, first 2 shown]
	v_add_f64 v[1:2], v[172:173], -v[1:2]
	v_add_f64 v[3:4], v[174:175], -v[3:4]
	scratch_store_b128 off, v[1:4], off offset:192
	v_cmpx_lt_u32_e32 11, v156
	s_cbranch_execz .LBB54_321
; %bb.320:
	scratch_load_b128 v[1:4], v200, off
	v_mov_b32_e32 v5, 0
	s_delay_alu instid0(VALU_DEP_1)
	v_mov_b32_e32 v6, v5
	v_mov_b32_e32 v7, v5
	;; [unrolled: 1-line block ×3, first 2 shown]
	scratch_store_b128 off, v[5:8], off offset:176
	s_waitcnt vmcnt(0)
	ds_store_b128 v211, v[1:4]
.LBB54_321:
	s_or_b32 exec_lo, exec_lo, s2
	s_waitcnt lgkmcnt(0)
	s_waitcnt_vscnt null, 0x0
	s_barrier
	buffer_gl0_inv
	s_clause 0x7
	scratch_load_b128 v[2:5], off, off offset:192
	scratch_load_b128 v[6:9], off, off offset:208
	;; [unrolled: 1-line block ×8, first 2 shown]
	v_mov_b32_e32 v1, 0
	s_mov_b32 s2, exec_lo
	ds_load_b128 v[38:41], v1 offset:1072
	s_clause 0x1
	scratch_load_b128 v[34:37], off, off offset:320
	scratch_load_b128 v[42:45], off, off offset:176
	ds_load_b128 v[172:175], v1 offset:1088
	scratch_load_b128 v[176:179], off, off offset:336
	ds_load_b128 v[180:183], v1 offset:1120
	s_waitcnt vmcnt(10) lgkmcnt(2)
	v_mul_f64 v[169:170], v[40:41], v[4:5]
	v_mul_f64 v[4:5], v[38:39], v[4:5]
	s_delay_alu instid0(VALU_DEP_2) | instskip(NEXT) | instid1(VALU_DEP_2)
	v_fma_f64 v[169:170], v[38:39], v[2:3], -v[169:170]
	v_fma_f64 v[231:232], v[40:41], v[2:3], v[4:5]
	ds_load_b128 v[2:5], v1 offset:1104
	s_waitcnt vmcnt(9) lgkmcnt(2)
	v_mul_f64 v[229:230], v[172:173], v[8:9]
	v_mul_f64 v[8:9], v[174:175], v[8:9]
	scratch_load_b128 v[38:41], off, off offset:352
	s_waitcnt vmcnt(9) lgkmcnt(0)
	v_mul_f64 v[233:234], v[2:3], v[12:13]
	v_mul_f64 v[12:13], v[4:5], v[12:13]
	v_add_f64 v[169:170], v[169:170], 0
	v_fma_f64 v[174:175], v[174:175], v[6:7], v[229:230]
	v_fma_f64 v[172:173], v[172:173], v[6:7], -v[8:9]
	v_add_f64 v[229:230], v[231:232], 0
	scratch_load_b128 v[6:9], off, off offset:368
	v_fma_f64 v[233:234], v[4:5], v[10:11], v[233:234]
	v_fma_f64 v[235:236], v[2:3], v[10:11], -v[12:13]
	scratch_load_b128 v[10:13], off, off offset:384
	ds_load_b128 v[2:5], v1 offset:1136
	s_waitcnt vmcnt(10)
	v_mul_f64 v[231:232], v[180:181], v[16:17]
	v_mul_f64 v[16:17], v[182:183], v[16:17]
	v_add_f64 v[169:170], v[169:170], v[172:173]
	v_add_f64 v[229:230], v[229:230], v[174:175]
	ds_load_b128 v[172:175], v1 offset:1152
	s_waitcnt vmcnt(9) lgkmcnt(1)
	v_mul_f64 v[237:238], v[2:3], v[20:21]
	v_mul_f64 v[20:21], v[4:5], v[20:21]
	v_fma_f64 v[182:183], v[182:183], v[14:15], v[231:232]
	v_fma_f64 v[180:181], v[180:181], v[14:15], -v[16:17]
	scratch_load_b128 v[14:17], off, off offset:400
	v_add_f64 v[169:170], v[169:170], v[235:236]
	v_add_f64 v[229:230], v[229:230], v[233:234]
	v_fma_f64 v[233:234], v[4:5], v[18:19], v[237:238]
	v_fma_f64 v[235:236], v[2:3], v[18:19], -v[20:21]
	scratch_load_b128 v[18:21], off, off offset:416
	ds_load_b128 v[2:5], v1 offset:1168
	s_waitcnt vmcnt(10) lgkmcnt(1)
	v_mul_f64 v[231:232], v[172:173], v[24:25]
	v_mul_f64 v[24:25], v[174:175], v[24:25]
	s_waitcnt vmcnt(9) lgkmcnt(0)
	v_mul_f64 v[237:238], v[2:3], v[28:29]
	v_mul_f64 v[28:29], v[4:5], v[28:29]
	v_add_f64 v[169:170], v[169:170], v[180:181]
	v_add_f64 v[229:230], v[229:230], v[182:183]
	ds_load_b128 v[180:183], v1 offset:1184
	v_fma_f64 v[174:175], v[174:175], v[22:23], v[231:232]
	v_fma_f64 v[172:173], v[172:173], v[22:23], -v[24:25]
	scratch_load_b128 v[22:25], off, off offset:432
	v_add_f64 v[169:170], v[169:170], v[235:236]
	v_add_f64 v[229:230], v[229:230], v[233:234]
	v_fma_f64 v[233:234], v[4:5], v[26:27], v[237:238]
	v_fma_f64 v[235:236], v[2:3], v[26:27], -v[28:29]
	scratch_load_b128 v[26:29], off, off offset:448
	ds_load_b128 v[2:5], v1 offset:1200
	s_waitcnt vmcnt(10) lgkmcnt(1)
	v_mul_f64 v[231:232], v[180:181], v[32:33]
	v_mul_f64 v[32:33], v[182:183], v[32:33]
	s_waitcnt vmcnt(9) lgkmcnt(0)
	v_mul_f64 v[237:238], v[2:3], v[36:37]
	v_mul_f64 v[36:37], v[4:5], v[36:37]
	v_add_f64 v[169:170], v[169:170], v[172:173]
	v_add_f64 v[229:230], v[229:230], v[174:175]
	ds_load_b128 v[172:175], v1 offset:1216
	v_fma_f64 v[182:183], v[182:183], v[30:31], v[231:232]
	v_fma_f64 v[180:181], v[180:181], v[30:31], -v[32:33]
	scratch_load_b128 v[30:33], off, off offset:464
	v_add_f64 v[169:170], v[169:170], v[235:236]
	v_add_f64 v[229:230], v[229:230], v[233:234]
	v_fma_f64 v[235:236], v[4:5], v[34:35], v[237:238]
	v_fma_f64 v[237:238], v[2:3], v[34:35], -v[36:37]
	scratch_load_b128 v[34:37], off, off offset:480
	ds_load_b128 v[2:5], v1 offset:1232
	s_waitcnt vmcnt(9) lgkmcnt(1)
	v_mul_f64 v[231:232], v[172:173], v[178:179]
	v_mul_f64 v[233:234], v[174:175], v[178:179]
	v_add_f64 v[169:170], v[169:170], v[180:181]
	v_add_f64 v[182:183], v[229:230], v[182:183]
	ds_load_b128 v[178:181], v1 offset:1248
	v_fma_f64 v[231:232], v[174:175], v[176:177], v[231:232]
	v_fma_f64 v[176:177], v[172:173], v[176:177], -v[233:234]
	scratch_load_b128 v[172:175], off, off offset:496
	s_waitcnt vmcnt(9) lgkmcnt(1)
	v_mul_f64 v[229:230], v[2:3], v[40:41]
	v_mul_f64 v[40:41], v[4:5], v[40:41]
	v_add_f64 v[169:170], v[169:170], v[237:238]
	v_add_f64 v[182:183], v[182:183], v[235:236]
	s_delay_alu instid0(VALU_DEP_4) | instskip(NEXT) | instid1(VALU_DEP_4)
	v_fma_f64 v[235:236], v[4:5], v[38:39], v[229:230]
	v_fma_f64 v[237:238], v[2:3], v[38:39], -v[40:41]
	scratch_load_b128 v[38:41], off, off offset:512
	ds_load_b128 v[2:5], v1 offset:1264
	s_waitcnt vmcnt(9) lgkmcnt(1)
	v_mul_f64 v[233:234], v[178:179], v[8:9]
	v_mul_f64 v[8:9], v[180:181], v[8:9]
	v_add_f64 v[169:170], v[169:170], v[176:177]
	v_add_f64 v[176:177], v[182:183], v[231:232]
	s_waitcnt vmcnt(8) lgkmcnt(0)
	v_mul_f64 v[182:183], v[2:3], v[12:13]
	v_mul_f64 v[12:13], v[4:5], v[12:13]
	ds_load_b128 v[229:232], v1 offset:1280
	v_fma_f64 v[180:181], v[180:181], v[6:7], v[233:234]
	v_fma_f64 v[178:179], v[178:179], v[6:7], -v[8:9]
	scratch_load_b128 v[6:9], off, off offset:528
	v_add_f64 v[169:170], v[169:170], v[237:238]
	v_add_f64 v[176:177], v[176:177], v[235:236]
	v_fma_f64 v[182:183], v[4:5], v[10:11], v[182:183]
	v_fma_f64 v[235:236], v[2:3], v[10:11], -v[12:13]
	scratch_load_b128 v[10:13], off, off offset:544
	ds_load_b128 v[2:5], v1 offset:1296
	s_waitcnt vmcnt(9) lgkmcnt(1)
	v_mul_f64 v[233:234], v[229:230], v[16:17]
	v_mul_f64 v[16:17], v[231:232], v[16:17]
	s_waitcnt vmcnt(8) lgkmcnt(0)
	v_mul_f64 v[237:238], v[2:3], v[20:21]
	v_mul_f64 v[20:21], v[4:5], v[20:21]
	v_add_f64 v[169:170], v[169:170], v[178:179]
	v_add_f64 v[180:181], v[176:177], v[180:181]
	ds_load_b128 v[176:179], v1 offset:1312
	v_fma_f64 v[231:232], v[231:232], v[14:15], v[233:234]
	v_fma_f64 v[229:230], v[229:230], v[14:15], -v[16:17]
	scratch_load_b128 v[14:17], off, off offset:560
	v_add_f64 v[169:170], v[169:170], v[235:236]
	v_add_f64 v[180:181], v[180:181], v[182:183]
	v_fma_f64 v[235:236], v[4:5], v[18:19], v[237:238]
	v_fma_f64 v[237:238], v[2:3], v[18:19], -v[20:21]
	scratch_load_b128 v[18:21], off, off offset:576
	ds_load_b128 v[2:5], v1 offset:1328
	s_waitcnt vmcnt(9) lgkmcnt(1)
	v_mul_f64 v[233:234], v[176:177], v[24:25]
	v_mul_f64 v[24:25], v[178:179], v[24:25]
	v_add_f64 v[169:170], v[169:170], v[229:230]
	v_add_f64 v[229:230], v[180:181], v[231:232]
	s_waitcnt vmcnt(8) lgkmcnt(0)
	v_mul_f64 v[231:232], v[2:3], v[28:29]
	v_mul_f64 v[28:29], v[4:5], v[28:29]
	ds_load_b128 v[180:183], v1 offset:1344
	v_fma_f64 v[178:179], v[178:179], v[22:23], v[233:234]
	v_fma_f64 v[176:177], v[176:177], v[22:23], -v[24:25]
	scratch_load_b128 v[22:25], off, off offset:592
	v_add_f64 v[169:170], v[169:170], v[237:238]
	v_add_f64 v[229:230], v[229:230], v[235:236]
	v_fma_f64 v[231:232], v[4:5], v[26:27], v[231:232]
	v_fma_f64 v[235:236], v[2:3], v[26:27], -v[28:29]
	scratch_load_b128 v[26:29], off, off offset:608
	ds_load_b128 v[2:5], v1 offset:1360
	s_waitcnt vmcnt(9) lgkmcnt(1)
	v_mul_f64 v[233:234], v[180:181], v[32:33]
	v_mul_f64 v[32:33], v[182:183], v[32:33]
	s_waitcnt vmcnt(8) lgkmcnt(0)
	v_mul_f64 v[237:238], v[2:3], v[36:37]
	v_mul_f64 v[36:37], v[4:5], v[36:37]
	v_add_f64 v[169:170], v[169:170], v[176:177]
	v_add_f64 v[229:230], v[229:230], v[178:179]
	ds_load_b128 v[176:179], v1 offset:1376
	v_fma_f64 v[182:183], v[182:183], v[30:31], v[233:234]
	v_fma_f64 v[180:181], v[180:181], v[30:31], -v[32:33]
	scratch_load_b128 v[30:33], off, off offset:624
	v_fma_f64 v[233:234], v[4:5], v[34:35], v[237:238]
	v_add_f64 v[169:170], v[169:170], v[235:236]
	v_add_f64 v[229:230], v[229:230], v[231:232]
	v_fma_f64 v[235:236], v[2:3], v[34:35], -v[36:37]
	scratch_load_b128 v[34:37], off, off offset:640
	ds_load_b128 v[2:5], v1 offset:1392
	s_waitcnt vmcnt(9) lgkmcnt(1)
	v_mul_f64 v[231:232], v[176:177], v[174:175]
	v_mul_f64 v[174:175], v[178:179], v[174:175]
	s_waitcnt vmcnt(8) lgkmcnt(0)
	v_mul_f64 v[237:238], v[2:3], v[40:41]
	v_mul_f64 v[40:41], v[4:5], v[40:41]
	v_add_f64 v[169:170], v[169:170], v[180:181]
	v_add_f64 v[229:230], v[229:230], v[182:183]
	ds_load_b128 v[180:183], v1 offset:1408
	v_fma_f64 v[178:179], v[178:179], v[172:173], v[231:232]
	v_fma_f64 v[176:177], v[176:177], v[172:173], -v[174:175]
	scratch_load_b128 v[172:175], off, off offset:656
	v_add_f64 v[169:170], v[169:170], v[235:236]
	v_add_f64 v[229:230], v[229:230], v[233:234]
	v_fma_f64 v[233:234], v[4:5], v[38:39], v[237:238]
	v_fma_f64 v[235:236], v[2:3], v[38:39], -v[40:41]
	scratch_load_b128 v[38:41], off, off offset:672
	ds_load_b128 v[2:5], v1 offset:1424
	s_waitcnt vmcnt(9) lgkmcnt(1)
	v_mul_f64 v[231:232], v[180:181], v[8:9]
	v_mul_f64 v[8:9], v[182:183], v[8:9]
	s_waitcnt vmcnt(8) lgkmcnt(0)
	v_mul_f64 v[237:238], v[2:3], v[12:13]
	v_mul_f64 v[12:13], v[4:5], v[12:13]
	v_add_f64 v[169:170], v[169:170], v[176:177]
	v_add_f64 v[229:230], v[229:230], v[178:179]
	ds_load_b128 v[176:179], v1 offset:1440
	v_fma_f64 v[182:183], v[182:183], v[6:7], v[231:232]
	v_fma_f64 v[180:181], v[180:181], v[6:7], -v[8:9]
	scratch_load_b128 v[6:9], off, off offset:688
	v_add_f64 v[169:170], v[169:170], v[235:236]
	v_add_f64 v[229:230], v[229:230], v[233:234]
	v_fma_f64 v[233:234], v[4:5], v[10:11], v[237:238]
	;; [unrolled: 18-line block ×5, first 2 shown]
	v_fma_f64 v[237:238], v[2:3], v[34:35], -v[36:37]
	scratch_load_b128 v[34:37], off, off offset:800
	ds_load_b128 v[2:5], v1 offset:1552
	s_waitcnt vmcnt(9) lgkmcnt(1)
	v_mul_f64 v[231:232], v[180:181], v[174:175]
	v_mul_f64 v[233:234], v[182:183], v[174:175]
	v_add_f64 v[169:170], v[169:170], v[176:177]
	v_add_f64 v[178:179], v[229:230], v[178:179]
	s_waitcnt vmcnt(8) lgkmcnt(0)
	v_mul_f64 v[229:230], v[2:3], v[40:41]
	v_mul_f64 v[40:41], v[4:5], v[40:41]
	ds_load_b128 v[174:177], v1 offset:1568
	v_fma_f64 v[182:183], v[182:183], v[172:173], v[231:232]
	v_fma_f64 v[172:173], v[180:181], v[172:173], -v[233:234]
	v_add_f64 v[169:170], v[169:170], v[237:238]
	v_add_f64 v[231:232], v[178:179], v[235:236]
	scratch_load_b128 v[178:181], off, off offset:816
	v_fma_f64 v[235:236], v[4:5], v[38:39], v[229:230]
	v_fma_f64 v[237:238], v[2:3], v[38:39], -v[40:41]
	scratch_load_b128 v[38:41], off, off offset:832
	ds_load_b128 v[2:5], v1 offset:1584
	s_waitcnt vmcnt(9) lgkmcnt(1)
	v_mul_f64 v[233:234], v[174:175], v[8:9]
	v_mul_f64 v[8:9], v[176:177], v[8:9]
	v_add_f64 v[169:170], v[169:170], v[172:173]
	v_add_f64 v[172:173], v[231:232], v[182:183]
	s_waitcnt vmcnt(8) lgkmcnt(0)
	v_mul_f64 v[182:183], v[2:3], v[12:13]
	v_mul_f64 v[12:13], v[4:5], v[12:13]
	ds_load_b128 v[229:232], v1 offset:1600
	v_fma_f64 v[176:177], v[176:177], v[6:7], v[233:234]
	v_fma_f64 v[174:175], v[174:175], v[6:7], -v[8:9]
	scratch_load_b128 v[6:9], off, off offset:848
	v_add_f64 v[169:170], v[169:170], v[237:238]
	v_add_f64 v[172:173], v[172:173], v[235:236]
	v_fma_f64 v[182:183], v[4:5], v[10:11], v[182:183]
	v_fma_f64 v[235:236], v[2:3], v[10:11], -v[12:13]
	scratch_load_b128 v[10:13], off, off offset:864
	ds_load_b128 v[2:5], v1 offset:1616
	s_waitcnt vmcnt(9) lgkmcnt(1)
	v_mul_f64 v[233:234], v[229:230], v[16:17]
	v_mul_f64 v[16:17], v[231:232], v[16:17]
	s_waitcnt vmcnt(8) lgkmcnt(0)
	v_mul_f64 v[237:238], v[2:3], v[20:21]
	v_mul_f64 v[20:21], v[4:5], v[20:21]
	v_add_f64 v[169:170], v[169:170], v[174:175]
	v_add_f64 v[176:177], v[172:173], v[176:177]
	ds_load_b128 v[172:175], v1 offset:1632
	v_fma_f64 v[231:232], v[231:232], v[14:15], v[233:234]
	v_fma_f64 v[14:15], v[229:230], v[14:15], -v[16:17]
	v_add_f64 v[16:17], v[169:170], v[235:236]
	v_add_f64 v[169:170], v[176:177], v[182:183]
	s_waitcnt vmcnt(7) lgkmcnt(0)
	v_mul_f64 v[176:177], v[172:173], v[24:25]
	v_mul_f64 v[24:25], v[174:175], v[24:25]
	v_fma_f64 v[182:183], v[4:5], v[18:19], v[237:238]
	v_fma_f64 v[18:19], v[2:3], v[18:19], -v[20:21]
	v_add_f64 v[20:21], v[16:17], v[14:15]
	v_add_f64 v[169:170], v[169:170], v[231:232]
	ds_load_b128 v[2:5], v1 offset:1648
	ds_load_b128 v[14:17], v1 offset:1664
	v_fma_f64 v[174:175], v[174:175], v[22:23], v[176:177]
	v_fma_f64 v[22:23], v[172:173], v[22:23], -v[24:25]
	s_waitcnt vmcnt(6) lgkmcnt(1)
	v_mul_f64 v[229:230], v[2:3], v[28:29]
	v_mul_f64 v[28:29], v[4:5], v[28:29]
	s_waitcnt vmcnt(5) lgkmcnt(0)
	v_mul_f64 v[24:25], v[14:15], v[32:33]
	v_mul_f64 v[32:33], v[16:17], v[32:33]
	v_add_f64 v[18:19], v[20:21], v[18:19]
	v_add_f64 v[20:21], v[169:170], v[182:183]
	v_fma_f64 v[169:170], v[4:5], v[26:27], v[229:230]
	v_fma_f64 v[26:27], v[2:3], v[26:27], -v[28:29]
	v_fma_f64 v[16:17], v[16:17], v[30:31], v[24:25]
	v_fma_f64 v[14:15], v[14:15], v[30:31], -v[32:33]
	v_add_f64 v[22:23], v[18:19], v[22:23]
	v_add_f64 v[28:29], v[20:21], v[174:175]
	ds_load_b128 v[2:5], v1 offset:1680
	ds_load_b128 v[18:21], v1 offset:1696
	s_waitcnt vmcnt(4) lgkmcnt(1)
	v_mul_f64 v[172:173], v[2:3], v[36:37]
	v_mul_f64 v[36:37], v[4:5], v[36:37]
	v_add_f64 v[22:23], v[22:23], v[26:27]
	v_add_f64 v[24:25], v[28:29], v[169:170]
	s_waitcnt vmcnt(3) lgkmcnt(0)
	v_mul_f64 v[26:27], v[18:19], v[180:181]
	v_mul_f64 v[28:29], v[20:21], v[180:181]
	v_fma_f64 v[30:31], v[4:5], v[34:35], v[172:173]
	v_fma_f64 v[32:33], v[2:3], v[34:35], -v[36:37]
	v_add_f64 v[22:23], v[22:23], v[14:15]
	v_add_f64 v[24:25], v[24:25], v[16:17]
	ds_load_b128 v[2:5], v1 offset:1712
	ds_load_b128 v[14:17], v1 offset:1728
	v_fma_f64 v[20:21], v[20:21], v[178:179], v[26:27]
	v_fma_f64 v[18:19], v[18:19], v[178:179], -v[28:29]
	s_waitcnt vmcnt(2) lgkmcnt(1)
	v_mul_f64 v[34:35], v[2:3], v[40:41]
	v_mul_f64 v[36:37], v[4:5], v[40:41]
	s_waitcnt vmcnt(1) lgkmcnt(0)
	v_mul_f64 v[26:27], v[14:15], v[8:9]
	v_mul_f64 v[8:9], v[16:17], v[8:9]
	v_add_f64 v[22:23], v[22:23], v[32:33]
	v_add_f64 v[24:25], v[24:25], v[30:31]
	v_fma_f64 v[28:29], v[4:5], v[38:39], v[34:35]
	v_fma_f64 v[30:31], v[2:3], v[38:39], -v[36:37]
	ds_load_b128 v[2:5], v1 offset:1744
	v_fma_f64 v[16:17], v[16:17], v[6:7], v[26:27]
	v_fma_f64 v[6:7], v[14:15], v[6:7], -v[8:9]
	v_add_f64 v[18:19], v[22:23], v[18:19]
	v_add_f64 v[20:21], v[24:25], v[20:21]
	s_waitcnt vmcnt(0) lgkmcnt(0)
	v_mul_f64 v[22:23], v[2:3], v[12:13]
	v_mul_f64 v[12:13], v[4:5], v[12:13]
	s_delay_alu instid0(VALU_DEP_4) | instskip(NEXT) | instid1(VALU_DEP_4)
	v_add_f64 v[8:9], v[18:19], v[30:31]
	v_add_f64 v[14:15], v[20:21], v[28:29]
	s_delay_alu instid0(VALU_DEP_4) | instskip(NEXT) | instid1(VALU_DEP_4)
	v_fma_f64 v[4:5], v[4:5], v[10:11], v[22:23]
	v_fma_f64 v[2:3], v[2:3], v[10:11], -v[12:13]
	s_delay_alu instid0(VALU_DEP_4) | instskip(NEXT) | instid1(VALU_DEP_4)
	v_add_f64 v[6:7], v[8:9], v[6:7]
	v_add_f64 v[8:9], v[14:15], v[16:17]
	s_delay_alu instid0(VALU_DEP_2) | instskip(NEXT) | instid1(VALU_DEP_2)
	v_add_f64 v[2:3], v[6:7], v[2:3]
	v_add_f64 v[4:5], v[8:9], v[4:5]
	s_delay_alu instid0(VALU_DEP_2) | instskip(NEXT) | instid1(VALU_DEP_2)
	v_add_f64 v[2:3], v[42:43], -v[2:3]
	v_add_f64 v[4:5], v[44:45], -v[4:5]
	scratch_store_b128 off, v[2:5], off offset:176
	v_cmpx_lt_u32_e32 10, v156
	s_cbranch_execz .LBB54_323
; %bb.322:
	scratch_load_b128 v[5:8], v201, off
	v_mov_b32_e32 v2, v1
	v_mov_b32_e32 v3, v1
	;; [unrolled: 1-line block ×3, first 2 shown]
	scratch_store_b128 off, v[1:4], off offset:160
	s_waitcnt vmcnt(0)
	ds_store_b128 v211, v[5:8]
.LBB54_323:
	s_or_b32 exec_lo, exec_lo, s2
	s_waitcnt lgkmcnt(0)
	s_waitcnt_vscnt null, 0x0
	s_barrier
	buffer_gl0_inv
	s_clause 0x8
	scratch_load_b128 v[2:5], off, off offset:176
	scratch_load_b128 v[6:9], off, off offset:192
	;; [unrolled: 1-line block ×9, first 2 shown]
	ds_load_b128 v[42:45], v1 offset:1056
	ds_load_b128 v[38:41], v1 offset:1072
	s_clause 0x1
	scratch_load_b128 v[172:175], off, off offset:160
	scratch_load_b128 v[176:179], off, off offset:320
	s_mov_b32 s2, exec_lo
	ds_load_b128 v[180:183], v1 offset:1104
	s_waitcnt vmcnt(10) lgkmcnt(2)
	v_mul_f64 v[169:170], v[44:45], v[4:5]
	v_mul_f64 v[4:5], v[42:43], v[4:5]
	s_waitcnt vmcnt(9) lgkmcnt(1)
	v_mul_f64 v[229:230], v[38:39], v[8:9]
	v_mul_f64 v[8:9], v[40:41], v[8:9]
	s_delay_alu instid0(VALU_DEP_4) | instskip(NEXT) | instid1(VALU_DEP_4)
	v_fma_f64 v[169:170], v[42:43], v[2:3], -v[169:170]
	v_fma_f64 v[231:232], v[44:45], v[2:3], v[4:5]
	ds_load_b128 v[2:5], v1 offset:1088
	scratch_load_b128 v[42:45], off, off offset:336
	v_fma_f64 v[40:41], v[40:41], v[6:7], v[229:230]
	v_fma_f64 v[38:39], v[38:39], v[6:7], -v[8:9]
	scratch_load_b128 v[6:9], off, off offset:352
	s_waitcnt vmcnt(10) lgkmcnt(0)
	v_mul_f64 v[233:234], v[2:3], v[12:13]
	v_mul_f64 v[12:13], v[4:5], v[12:13]
	v_add_f64 v[169:170], v[169:170], 0
	v_add_f64 v[229:230], v[231:232], 0
	s_waitcnt vmcnt(9)
	v_mul_f64 v[231:232], v[180:181], v[16:17]
	v_mul_f64 v[16:17], v[182:183], v[16:17]
	v_fma_f64 v[233:234], v[4:5], v[10:11], v[233:234]
	v_fma_f64 v[235:236], v[2:3], v[10:11], -v[12:13]
	ds_load_b128 v[2:5], v1 offset:1120
	scratch_load_b128 v[10:13], off, off offset:368
	v_add_f64 v[169:170], v[169:170], v[38:39]
	v_add_f64 v[229:230], v[229:230], v[40:41]
	ds_load_b128 v[38:41], v1 offset:1136
	v_fma_f64 v[182:183], v[182:183], v[14:15], v[231:232]
	v_fma_f64 v[180:181], v[180:181], v[14:15], -v[16:17]
	scratch_load_b128 v[14:17], off, off offset:384
	s_waitcnt vmcnt(10) lgkmcnt(1)
	v_mul_f64 v[237:238], v[2:3], v[20:21]
	v_mul_f64 v[20:21], v[4:5], v[20:21]
	s_waitcnt vmcnt(9) lgkmcnt(0)
	v_mul_f64 v[231:232], v[38:39], v[24:25]
	v_mul_f64 v[24:25], v[40:41], v[24:25]
	v_add_f64 v[169:170], v[169:170], v[235:236]
	v_add_f64 v[229:230], v[229:230], v[233:234]
	v_fma_f64 v[233:234], v[4:5], v[18:19], v[237:238]
	v_fma_f64 v[235:236], v[2:3], v[18:19], -v[20:21]
	ds_load_b128 v[2:5], v1 offset:1152
	scratch_load_b128 v[18:21], off, off offset:400
	v_fma_f64 v[40:41], v[40:41], v[22:23], v[231:232]
	v_fma_f64 v[38:39], v[38:39], v[22:23], -v[24:25]
	scratch_load_b128 v[22:25], off, off offset:416
	v_add_f64 v[169:170], v[169:170], v[180:181]
	v_add_f64 v[229:230], v[229:230], v[182:183]
	ds_load_b128 v[180:183], v1 offset:1168
	s_waitcnt vmcnt(10) lgkmcnt(1)
	v_mul_f64 v[237:238], v[2:3], v[28:29]
	v_mul_f64 v[28:29], v[4:5], v[28:29]
	s_waitcnt vmcnt(9) lgkmcnt(0)
	v_mul_f64 v[231:232], v[180:181], v[32:33]
	v_mul_f64 v[32:33], v[182:183], v[32:33]
	v_add_f64 v[169:170], v[169:170], v[235:236]
	v_add_f64 v[229:230], v[229:230], v[233:234]
	v_fma_f64 v[233:234], v[4:5], v[26:27], v[237:238]
	v_fma_f64 v[235:236], v[2:3], v[26:27], -v[28:29]
	ds_load_b128 v[2:5], v1 offset:1184
	scratch_load_b128 v[26:29], off, off offset:432
	v_fma_f64 v[182:183], v[182:183], v[30:31], v[231:232]
	v_fma_f64 v[180:181], v[180:181], v[30:31], -v[32:33]
	scratch_load_b128 v[30:33], off, off offset:448
	v_add_f64 v[169:170], v[169:170], v[38:39]
	v_add_f64 v[229:230], v[229:230], v[40:41]
	ds_load_b128 v[38:41], v1 offset:1200
	s_waitcnt vmcnt(10) lgkmcnt(1)
	v_mul_f64 v[237:238], v[2:3], v[36:37]
	v_mul_f64 v[36:37], v[4:5], v[36:37]
	s_waitcnt vmcnt(8) lgkmcnt(0)
	v_mul_f64 v[231:232], v[38:39], v[178:179]
	v_add_f64 v[169:170], v[169:170], v[235:236]
	v_add_f64 v[229:230], v[229:230], v[233:234]
	v_mul_f64 v[233:234], v[40:41], v[178:179]
	v_fma_f64 v[235:236], v[4:5], v[34:35], v[237:238]
	v_fma_f64 v[237:238], v[2:3], v[34:35], -v[36:37]
	ds_load_b128 v[2:5], v1 offset:1216
	scratch_load_b128 v[34:37], off, off offset:464
	v_fma_f64 v[231:232], v[40:41], v[176:177], v[231:232]
	v_add_f64 v[169:170], v[169:170], v[180:181]
	v_add_f64 v[182:183], v[229:230], v[182:183]
	ds_load_b128 v[178:181], v1 offset:1232
	v_fma_f64 v[176:177], v[38:39], v[176:177], -v[233:234]
	scratch_load_b128 v[38:41], off, off offset:480
	s_waitcnt vmcnt(9) lgkmcnt(1)
	v_mul_f64 v[229:230], v[2:3], v[44:45]
	v_mul_f64 v[44:45], v[4:5], v[44:45]
	s_waitcnt vmcnt(8) lgkmcnt(0)
	v_mul_f64 v[233:234], v[178:179], v[8:9]
	v_mul_f64 v[8:9], v[180:181], v[8:9]
	v_add_f64 v[169:170], v[169:170], v[237:238]
	v_add_f64 v[182:183], v[182:183], v[235:236]
	v_fma_f64 v[235:236], v[4:5], v[42:43], v[229:230]
	v_fma_f64 v[237:238], v[2:3], v[42:43], -v[44:45]
	ds_load_b128 v[2:5], v1 offset:1248
	scratch_load_b128 v[42:45], off, off offset:496
	v_fma_f64 v[180:181], v[180:181], v[6:7], v[233:234]
	v_fma_f64 v[178:179], v[178:179], v[6:7], -v[8:9]
	scratch_load_b128 v[6:9], off, off offset:512
	v_add_f64 v[169:170], v[169:170], v[176:177]
	v_add_f64 v[176:177], v[182:183], v[231:232]
	ds_load_b128 v[229:232], v1 offset:1264
	s_waitcnt vmcnt(9) lgkmcnt(1)
	v_mul_f64 v[182:183], v[2:3], v[12:13]
	v_mul_f64 v[12:13], v[4:5], v[12:13]
	s_waitcnt vmcnt(8) lgkmcnt(0)
	v_mul_f64 v[233:234], v[229:230], v[16:17]
	v_mul_f64 v[16:17], v[231:232], v[16:17]
	v_add_f64 v[169:170], v[169:170], v[237:238]
	v_add_f64 v[176:177], v[176:177], v[235:236]
	v_fma_f64 v[182:183], v[4:5], v[10:11], v[182:183]
	v_fma_f64 v[235:236], v[2:3], v[10:11], -v[12:13]
	ds_load_b128 v[2:5], v1 offset:1280
	scratch_load_b128 v[10:13], off, off offset:528
	v_fma_f64 v[231:232], v[231:232], v[14:15], v[233:234]
	v_fma_f64 v[229:230], v[229:230], v[14:15], -v[16:17]
	scratch_load_b128 v[14:17], off, off offset:544
	v_add_f64 v[169:170], v[169:170], v[178:179]
	v_add_f64 v[180:181], v[176:177], v[180:181]
	ds_load_b128 v[176:179], v1 offset:1296
	;; [unrolled: 18-line block ×4, first 2 shown]
	s_waitcnt vmcnt(9) lgkmcnt(1)
	v_mul_f64 v[237:238], v[2:3], v[36:37]
	v_mul_f64 v[36:37], v[4:5], v[36:37]
	v_add_f64 v[169:170], v[169:170], v[235:236]
	v_add_f64 v[229:230], v[229:230], v[231:232]
	s_waitcnt vmcnt(8) lgkmcnt(0)
	v_mul_f64 v[231:232], v[176:177], v[40:41]
	v_mul_f64 v[40:41], v[178:179], v[40:41]
	v_fma_f64 v[233:234], v[4:5], v[34:35], v[237:238]
	v_fma_f64 v[235:236], v[2:3], v[34:35], -v[36:37]
	ds_load_b128 v[2:5], v1 offset:1376
	scratch_load_b128 v[34:37], off, off offset:624
	v_add_f64 v[169:170], v[169:170], v[180:181]
	v_add_f64 v[229:230], v[229:230], v[182:183]
	ds_load_b128 v[180:183], v1 offset:1392
	s_waitcnt vmcnt(8) lgkmcnt(1)
	v_mul_f64 v[237:238], v[2:3], v[44:45]
	v_mul_f64 v[44:45], v[4:5], v[44:45]
	v_fma_f64 v[178:179], v[178:179], v[38:39], v[231:232]
	v_fma_f64 v[176:177], v[176:177], v[38:39], -v[40:41]
	scratch_load_b128 v[38:41], off, off offset:640
	s_waitcnt vmcnt(8) lgkmcnt(0)
	v_mul_f64 v[231:232], v[180:181], v[8:9]
	v_mul_f64 v[8:9], v[182:183], v[8:9]
	v_add_f64 v[169:170], v[169:170], v[235:236]
	v_add_f64 v[229:230], v[229:230], v[233:234]
	v_fma_f64 v[233:234], v[4:5], v[42:43], v[237:238]
	v_fma_f64 v[235:236], v[2:3], v[42:43], -v[44:45]
	ds_load_b128 v[2:5], v1 offset:1408
	scratch_load_b128 v[42:45], off, off offset:656
	v_fma_f64 v[182:183], v[182:183], v[6:7], v[231:232]
	v_fma_f64 v[180:181], v[180:181], v[6:7], -v[8:9]
	scratch_load_b128 v[6:9], off, off offset:672
	v_add_f64 v[169:170], v[169:170], v[176:177]
	v_add_f64 v[229:230], v[229:230], v[178:179]
	ds_load_b128 v[176:179], v1 offset:1424
	s_waitcnt vmcnt(9) lgkmcnt(1)
	v_mul_f64 v[237:238], v[2:3], v[12:13]
	v_mul_f64 v[12:13], v[4:5], v[12:13]
	s_waitcnt vmcnt(8) lgkmcnt(0)
	v_mul_f64 v[231:232], v[176:177], v[16:17]
	v_mul_f64 v[16:17], v[178:179], v[16:17]
	v_add_f64 v[169:170], v[169:170], v[235:236]
	v_add_f64 v[229:230], v[229:230], v[233:234]
	v_fma_f64 v[233:234], v[4:5], v[10:11], v[237:238]
	v_fma_f64 v[235:236], v[2:3], v[10:11], -v[12:13]
	ds_load_b128 v[2:5], v1 offset:1440
	scratch_load_b128 v[10:13], off, off offset:688
	v_fma_f64 v[178:179], v[178:179], v[14:15], v[231:232]
	v_fma_f64 v[176:177], v[176:177], v[14:15], -v[16:17]
	scratch_load_b128 v[14:17], off, off offset:704
	v_add_f64 v[169:170], v[169:170], v[180:181]
	v_add_f64 v[229:230], v[229:230], v[182:183]
	ds_load_b128 v[180:183], v1 offset:1456
	s_waitcnt vmcnt(9) lgkmcnt(1)
	v_mul_f64 v[237:238], v[2:3], v[20:21]
	v_mul_f64 v[20:21], v[4:5], v[20:21]
	;; [unrolled: 18-line block ×7, first 2 shown]
	s_waitcnt vmcnt(8) lgkmcnt(0)
	v_mul_f64 v[231:232], v[176:177], v[24:25]
	v_mul_f64 v[24:25], v[178:179], v[24:25]
	v_add_f64 v[169:170], v[169:170], v[235:236]
	v_add_f64 v[229:230], v[229:230], v[233:234]
	v_fma_f64 v[233:234], v[4:5], v[18:19], v[237:238]
	v_fma_f64 v[235:236], v[2:3], v[18:19], -v[20:21]
	ds_load_b128 v[2:5], v1 offset:1632
	ds_load_b128 v[18:21], v1 offset:1648
	v_fma_f64 v[178:179], v[178:179], v[22:23], v[231:232]
	v_fma_f64 v[22:23], v[176:177], v[22:23], -v[24:25]
	v_add_f64 v[169:170], v[169:170], v[180:181]
	v_add_f64 v[180:181], v[229:230], v[182:183]
	s_waitcnt vmcnt(7) lgkmcnt(1)
	v_mul_f64 v[182:183], v[2:3], v[28:29]
	v_mul_f64 v[28:29], v[4:5], v[28:29]
	s_waitcnt vmcnt(6) lgkmcnt(0)
	v_mul_f64 v[176:177], v[18:19], v[32:33]
	v_mul_f64 v[32:33], v[20:21], v[32:33]
	v_add_f64 v[24:25], v[169:170], v[235:236]
	v_add_f64 v[169:170], v[180:181], v[233:234]
	v_fma_f64 v[180:181], v[4:5], v[26:27], v[182:183]
	v_fma_f64 v[26:27], v[2:3], v[26:27], -v[28:29]
	v_fma_f64 v[20:21], v[20:21], v[30:31], v[176:177]
	v_fma_f64 v[18:19], v[18:19], v[30:31], -v[32:33]
	v_add_f64 v[28:29], v[24:25], v[22:23]
	v_add_f64 v[169:170], v[169:170], v[178:179]
	ds_load_b128 v[2:5], v1 offset:1664
	ds_load_b128 v[22:25], v1 offset:1680
	s_waitcnt vmcnt(5) lgkmcnt(1)
	v_mul_f64 v[178:179], v[2:3], v[36:37]
	v_mul_f64 v[36:37], v[4:5], v[36:37]
	s_waitcnt vmcnt(4) lgkmcnt(0)
	v_mul_f64 v[30:31], v[22:23], v[40:41]
	v_mul_f64 v[32:33], v[24:25], v[40:41]
	v_add_f64 v[26:27], v[28:29], v[26:27]
	v_add_f64 v[28:29], v[169:170], v[180:181]
	v_fma_f64 v[40:41], v[4:5], v[34:35], v[178:179]
	v_fma_f64 v[34:35], v[2:3], v[34:35], -v[36:37]
	v_fma_f64 v[24:25], v[24:25], v[38:39], v[30:31]
	v_fma_f64 v[22:23], v[22:23], v[38:39], -v[32:33]
	v_add_f64 v[26:27], v[26:27], v[18:19]
	v_add_f64 v[28:29], v[28:29], v[20:21]
	ds_load_b128 v[2:5], v1 offset:1696
	ds_load_b128 v[18:21], v1 offset:1712
	;; [unrolled: 16-line block ×3, first 2 shown]
	s_waitcnt vmcnt(1) lgkmcnt(1)
	v_mul_f64 v[36:37], v[2:3], v[12:13]
	v_mul_f64 v[12:13], v[4:5], v[12:13]
	v_add_f64 v[8:9], v[26:27], v[34:35]
	v_add_f64 v[18:19], v[28:29], v[32:33]
	s_waitcnt vmcnt(0) lgkmcnt(0)
	v_mul_f64 v[26:27], v[22:23], v[16:17]
	v_mul_f64 v[16:17], v[24:25], v[16:17]
	v_fma_f64 v[4:5], v[4:5], v[10:11], v[36:37]
	v_fma_f64 v[1:2], v[2:3], v[10:11], -v[12:13]
	v_add_f64 v[6:7], v[8:9], v[6:7]
	v_add_f64 v[8:9], v[18:19], v[20:21]
	v_fma_f64 v[10:11], v[24:25], v[14:15], v[26:27]
	v_fma_f64 v[12:13], v[22:23], v[14:15], -v[16:17]
	s_delay_alu instid0(VALU_DEP_4) | instskip(NEXT) | instid1(VALU_DEP_4)
	v_add_f64 v[1:2], v[6:7], v[1:2]
	v_add_f64 v[3:4], v[8:9], v[4:5]
	s_delay_alu instid0(VALU_DEP_2) | instskip(NEXT) | instid1(VALU_DEP_2)
	v_add_f64 v[1:2], v[1:2], v[12:13]
	v_add_f64 v[3:4], v[3:4], v[10:11]
	s_delay_alu instid0(VALU_DEP_2) | instskip(NEXT) | instid1(VALU_DEP_2)
	v_add_f64 v[1:2], v[172:173], -v[1:2]
	v_add_f64 v[3:4], v[174:175], -v[3:4]
	scratch_store_b128 off, v[1:4], off offset:160
	v_cmpx_lt_u32_e32 9, v156
	s_cbranch_execz .LBB54_325
; %bb.324:
	scratch_load_b128 v[1:4], v202, off
	v_mov_b32_e32 v5, 0
	s_delay_alu instid0(VALU_DEP_1)
	v_mov_b32_e32 v6, v5
	v_mov_b32_e32 v7, v5
	;; [unrolled: 1-line block ×3, first 2 shown]
	scratch_store_b128 off, v[5:8], off offset:144
	s_waitcnt vmcnt(0)
	ds_store_b128 v211, v[1:4]
.LBB54_325:
	s_or_b32 exec_lo, exec_lo, s2
	s_waitcnt lgkmcnt(0)
	s_waitcnt_vscnt null, 0x0
	s_barrier
	buffer_gl0_inv
	s_clause 0x7
	scratch_load_b128 v[2:5], off, off offset:160
	scratch_load_b128 v[6:9], off, off offset:176
	;; [unrolled: 1-line block ×8, first 2 shown]
	v_mov_b32_e32 v1, 0
	s_mov_b32 s2, exec_lo
	ds_load_b128 v[38:41], v1 offset:1040
	s_clause 0x1
	scratch_load_b128 v[34:37], off, off offset:288
	scratch_load_b128 v[42:45], off, off offset:144
	ds_load_b128 v[172:175], v1 offset:1056
	scratch_load_b128 v[176:179], off, off offset:304
	ds_load_b128 v[180:183], v1 offset:1088
	s_waitcnt vmcnt(10) lgkmcnt(2)
	v_mul_f64 v[169:170], v[40:41], v[4:5]
	v_mul_f64 v[4:5], v[38:39], v[4:5]
	s_delay_alu instid0(VALU_DEP_2) | instskip(NEXT) | instid1(VALU_DEP_2)
	v_fma_f64 v[169:170], v[38:39], v[2:3], -v[169:170]
	v_fma_f64 v[231:232], v[40:41], v[2:3], v[4:5]
	ds_load_b128 v[2:5], v1 offset:1072
	s_waitcnt vmcnt(9) lgkmcnt(2)
	v_mul_f64 v[229:230], v[172:173], v[8:9]
	v_mul_f64 v[8:9], v[174:175], v[8:9]
	scratch_load_b128 v[38:41], off, off offset:320
	s_waitcnt vmcnt(9) lgkmcnt(0)
	v_mul_f64 v[233:234], v[2:3], v[12:13]
	v_mul_f64 v[12:13], v[4:5], v[12:13]
	v_add_f64 v[169:170], v[169:170], 0
	v_fma_f64 v[174:175], v[174:175], v[6:7], v[229:230]
	v_fma_f64 v[172:173], v[172:173], v[6:7], -v[8:9]
	v_add_f64 v[229:230], v[231:232], 0
	scratch_load_b128 v[6:9], off, off offset:336
	v_fma_f64 v[233:234], v[4:5], v[10:11], v[233:234]
	v_fma_f64 v[235:236], v[2:3], v[10:11], -v[12:13]
	scratch_load_b128 v[10:13], off, off offset:352
	ds_load_b128 v[2:5], v1 offset:1104
	s_waitcnt vmcnt(10)
	v_mul_f64 v[231:232], v[180:181], v[16:17]
	v_mul_f64 v[16:17], v[182:183], v[16:17]
	v_add_f64 v[169:170], v[169:170], v[172:173]
	v_add_f64 v[229:230], v[229:230], v[174:175]
	ds_load_b128 v[172:175], v1 offset:1120
	s_waitcnt vmcnt(9) lgkmcnt(1)
	v_mul_f64 v[237:238], v[2:3], v[20:21]
	v_mul_f64 v[20:21], v[4:5], v[20:21]
	v_fma_f64 v[182:183], v[182:183], v[14:15], v[231:232]
	v_fma_f64 v[180:181], v[180:181], v[14:15], -v[16:17]
	scratch_load_b128 v[14:17], off, off offset:368
	v_add_f64 v[169:170], v[169:170], v[235:236]
	v_add_f64 v[229:230], v[229:230], v[233:234]
	v_fma_f64 v[233:234], v[4:5], v[18:19], v[237:238]
	v_fma_f64 v[235:236], v[2:3], v[18:19], -v[20:21]
	scratch_load_b128 v[18:21], off, off offset:384
	ds_load_b128 v[2:5], v1 offset:1136
	s_waitcnt vmcnt(10) lgkmcnt(1)
	v_mul_f64 v[231:232], v[172:173], v[24:25]
	v_mul_f64 v[24:25], v[174:175], v[24:25]
	s_waitcnt vmcnt(9) lgkmcnt(0)
	v_mul_f64 v[237:238], v[2:3], v[28:29]
	v_mul_f64 v[28:29], v[4:5], v[28:29]
	v_add_f64 v[169:170], v[169:170], v[180:181]
	v_add_f64 v[229:230], v[229:230], v[182:183]
	ds_load_b128 v[180:183], v1 offset:1152
	v_fma_f64 v[174:175], v[174:175], v[22:23], v[231:232]
	v_fma_f64 v[172:173], v[172:173], v[22:23], -v[24:25]
	scratch_load_b128 v[22:25], off, off offset:400
	v_add_f64 v[169:170], v[169:170], v[235:236]
	v_add_f64 v[229:230], v[229:230], v[233:234]
	v_fma_f64 v[233:234], v[4:5], v[26:27], v[237:238]
	v_fma_f64 v[235:236], v[2:3], v[26:27], -v[28:29]
	scratch_load_b128 v[26:29], off, off offset:416
	ds_load_b128 v[2:5], v1 offset:1168
	s_waitcnt vmcnt(10) lgkmcnt(1)
	v_mul_f64 v[231:232], v[180:181], v[32:33]
	v_mul_f64 v[32:33], v[182:183], v[32:33]
	s_waitcnt vmcnt(9) lgkmcnt(0)
	v_mul_f64 v[237:238], v[2:3], v[36:37]
	v_mul_f64 v[36:37], v[4:5], v[36:37]
	v_add_f64 v[169:170], v[169:170], v[172:173]
	v_add_f64 v[229:230], v[229:230], v[174:175]
	ds_load_b128 v[172:175], v1 offset:1184
	v_fma_f64 v[182:183], v[182:183], v[30:31], v[231:232]
	v_fma_f64 v[180:181], v[180:181], v[30:31], -v[32:33]
	scratch_load_b128 v[30:33], off, off offset:432
	v_add_f64 v[169:170], v[169:170], v[235:236]
	v_add_f64 v[229:230], v[229:230], v[233:234]
	v_fma_f64 v[235:236], v[4:5], v[34:35], v[237:238]
	v_fma_f64 v[237:238], v[2:3], v[34:35], -v[36:37]
	scratch_load_b128 v[34:37], off, off offset:448
	ds_load_b128 v[2:5], v1 offset:1200
	s_waitcnt vmcnt(9) lgkmcnt(1)
	v_mul_f64 v[231:232], v[172:173], v[178:179]
	v_mul_f64 v[233:234], v[174:175], v[178:179]
	v_add_f64 v[169:170], v[169:170], v[180:181]
	v_add_f64 v[182:183], v[229:230], v[182:183]
	ds_load_b128 v[178:181], v1 offset:1216
	v_fma_f64 v[231:232], v[174:175], v[176:177], v[231:232]
	v_fma_f64 v[176:177], v[172:173], v[176:177], -v[233:234]
	scratch_load_b128 v[172:175], off, off offset:464
	s_waitcnt vmcnt(9) lgkmcnt(1)
	v_mul_f64 v[229:230], v[2:3], v[40:41]
	v_mul_f64 v[40:41], v[4:5], v[40:41]
	v_add_f64 v[169:170], v[169:170], v[237:238]
	v_add_f64 v[182:183], v[182:183], v[235:236]
	s_delay_alu instid0(VALU_DEP_4) | instskip(NEXT) | instid1(VALU_DEP_4)
	v_fma_f64 v[235:236], v[4:5], v[38:39], v[229:230]
	v_fma_f64 v[237:238], v[2:3], v[38:39], -v[40:41]
	scratch_load_b128 v[38:41], off, off offset:480
	ds_load_b128 v[2:5], v1 offset:1232
	s_waitcnt vmcnt(9) lgkmcnt(1)
	v_mul_f64 v[233:234], v[178:179], v[8:9]
	v_mul_f64 v[8:9], v[180:181], v[8:9]
	v_add_f64 v[169:170], v[169:170], v[176:177]
	v_add_f64 v[176:177], v[182:183], v[231:232]
	s_waitcnt vmcnt(8) lgkmcnt(0)
	v_mul_f64 v[182:183], v[2:3], v[12:13]
	v_mul_f64 v[12:13], v[4:5], v[12:13]
	ds_load_b128 v[229:232], v1 offset:1248
	v_fma_f64 v[180:181], v[180:181], v[6:7], v[233:234]
	v_fma_f64 v[178:179], v[178:179], v[6:7], -v[8:9]
	scratch_load_b128 v[6:9], off, off offset:496
	v_add_f64 v[169:170], v[169:170], v[237:238]
	v_add_f64 v[176:177], v[176:177], v[235:236]
	v_fma_f64 v[182:183], v[4:5], v[10:11], v[182:183]
	v_fma_f64 v[235:236], v[2:3], v[10:11], -v[12:13]
	scratch_load_b128 v[10:13], off, off offset:512
	ds_load_b128 v[2:5], v1 offset:1264
	s_waitcnt vmcnt(9) lgkmcnt(1)
	v_mul_f64 v[233:234], v[229:230], v[16:17]
	v_mul_f64 v[16:17], v[231:232], v[16:17]
	s_waitcnt vmcnt(8) lgkmcnt(0)
	v_mul_f64 v[237:238], v[2:3], v[20:21]
	v_mul_f64 v[20:21], v[4:5], v[20:21]
	v_add_f64 v[169:170], v[169:170], v[178:179]
	v_add_f64 v[180:181], v[176:177], v[180:181]
	ds_load_b128 v[176:179], v1 offset:1280
	v_fma_f64 v[231:232], v[231:232], v[14:15], v[233:234]
	v_fma_f64 v[229:230], v[229:230], v[14:15], -v[16:17]
	scratch_load_b128 v[14:17], off, off offset:528
	v_add_f64 v[169:170], v[169:170], v[235:236]
	v_add_f64 v[180:181], v[180:181], v[182:183]
	v_fma_f64 v[235:236], v[4:5], v[18:19], v[237:238]
	v_fma_f64 v[237:238], v[2:3], v[18:19], -v[20:21]
	scratch_load_b128 v[18:21], off, off offset:544
	ds_load_b128 v[2:5], v1 offset:1296
	s_waitcnt vmcnt(9) lgkmcnt(1)
	v_mul_f64 v[233:234], v[176:177], v[24:25]
	v_mul_f64 v[24:25], v[178:179], v[24:25]
	v_add_f64 v[169:170], v[169:170], v[229:230]
	v_add_f64 v[229:230], v[180:181], v[231:232]
	s_waitcnt vmcnt(8) lgkmcnt(0)
	v_mul_f64 v[231:232], v[2:3], v[28:29]
	v_mul_f64 v[28:29], v[4:5], v[28:29]
	ds_load_b128 v[180:183], v1 offset:1312
	v_fma_f64 v[178:179], v[178:179], v[22:23], v[233:234]
	v_fma_f64 v[176:177], v[176:177], v[22:23], -v[24:25]
	scratch_load_b128 v[22:25], off, off offset:560
	v_add_f64 v[169:170], v[169:170], v[237:238]
	v_add_f64 v[229:230], v[229:230], v[235:236]
	v_fma_f64 v[231:232], v[4:5], v[26:27], v[231:232]
	v_fma_f64 v[235:236], v[2:3], v[26:27], -v[28:29]
	scratch_load_b128 v[26:29], off, off offset:576
	ds_load_b128 v[2:5], v1 offset:1328
	s_waitcnt vmcnt(9) lgkmcnt(1)
	v_mul_f64 v[233:234], v[180:181], v[32:33]
	v_mul_f64 v[32:33], v[182:183], v[32:33]
	s_waitcnt vmcnt(8) lgkmcnt(0)
	v_mul_f64 v[237:238], v[2:3], v[36:37]
	v_mul_f64 v[36:37], v[4:5], v[36:37]
	v_add_f64 v[169:170], v[169:170], v[176:177]
	v_add_f64 v[229:230], v[229:230], v[178:179]
	ds_load_b128 v[176:179], v1 offset:1344
	v_fma_f64 v[182:183], v[182:183], v[30:31], v[233:234]
	v_fma_f64 v[180:181], v[180:181], v[30:31], -v[32:33]
	scratch_load_b128 v[30:33], off, off offset:592
	v_fma_f64 v[233:234], v[4:5], v[34:35], v[237:238]
	v_add_f64 v[169:170], v[169:170], v[235:236]
	v_add_f64 v[229:230], v[229:230], v[231:232]
	v_fma_f64 v[235:236], v[2:3], v[34:35], -v[36:37]
	scratch_load_b128 v[34:37], off, off offset:608
	ds_load_b128 v[2:5], v1 offset:1360
	s_waitcnt vmcnt(9) lgkmcnt(1)
	v_mul_f64 v[231:232], v[176:177], v[174:175]
	v_mul_f64 v[174:175], v[178:179], v[174:175]
	s_waitcnt vmcnt(8) lgkmcnt(0)
	v_mul_f64 v[237:238], v[2:3], v[40:41]
	v_mul_f64 v[40:41], v[4:5], v[40:41]
	v_add_f64 v[169:170], v[169:170], v[180:181]
	v_add_f64 v[229:230], v[229:230], v[182:183]
	ds_load_b128 v[180:183], v1 offset:1376
	v_fma_f64 v[178:179], v[178:179], v[172:173], v[231:232]
	v_fma_f64 v[176:177], v[176:177], v[172:173], -v[174:175]
	scratch_load_b128 v[172:175], off, off offset:624
	v_add_f64 v[169:170], v[169:170], v[235:236]
	v_add_f64 v[229:230], v[229:230], v[233:234]
	v_fma_f64 v[233:234], v[4:5], v[38:39], v[237:238]
	v_fma_f64 v[235:236], v[2:3], v[38:39], -v[40:41]
	scratch_load_b128 v[38:41], off, off offset:640
	ds_load_b128 v[2:5], v1 offset:1392
	s_waitcnt vmcnt(9) lgkmcnt(1)
	v_mul_f64 v[231:232], v[180:181], v[8:9]
	v_mul_f64 v[8:9], v[182:183], v[8:9]
	s_waitcnt vmcnt(8) lgkmcnt(0)
	v_mul_f64 v[237:238], v[2:3], v[12:13]
	v_mul_f64 v[12:13], v[4:5], v[12:13]
	v_add_f64 v[169:170], v[169:170], v[176:177]
	v_add_f64 v[229:230], v[229:230], v[178:179]
	ds_load_b128 v[176:179], v1 offset:1408
	v_fma_f64 v[182:183], v[182:183], v[6:7], v[231:232]
	v_fma_f64 v[180:181], v[180:181], v[6:7], -v[8:9]
	scratch_load_b128 v[6:9], off, off offset:656
	v_add_f64 v[169:170], v[169:170], v[235:236]
	v_add_f64 v[229:230], v[229:230], v[233:234]
	v_fma_f64 v[233:234], v[4:5], v[10:11], v[237:238]
	;; [unrolled: 18-line block ×5, first 2 shown]
	v_fma_f64 v[237:238], v[2:3], v[34:35], -v[36:37]
	scratch_load_b128 v[34:37], off, off offset:768
	ds_load_b128 v[2:5], v1 offset:1520
	s_waitcnt vmcnt(9) lgkmcnt(1)
	v_mul_f64 v[231:232], v[180:181], v[174:175]
	v_mul_f64 v[233:234], v[182:183], v[174:175]
	v_add_f64 v[169:170], v[169:170], v[176:177]
	v_add_f64 v[178:179], v[229:230], v[178:179]
	s_waitcnt vmcnt(8) lgkmcnt(0)
	v_mul_f64 v[229:230], v[2:3], v[40:41]
	v_mul_f64 v[40:41], v[4:5], v[40:41]
	ds_load_b128 v[174:177], v1 offset:1536
	v_fma_f64 v[182:183], v[182:183], v[172:173], v[231:232]
	v_fma_f64 v[172:173], v[180:181], v[172:173], -v[233:234]
	v_add_f64 v[169:170], v[169:170], v[237:238]
	v_add_f64 v[231:232], v[178:179], v[235:236]
	scratch_load_b128 v[178:181], off, off offset:784
	v_fma_f64 v[235:236], v[4:5], v[38:39], v[229:230]
	v_fma_f64 v[237:238], v[2:3], v[38:39], -v[40:41]
	scratch_load_b128 v[38:41], off, off offset:800
	ds_load_b128 v[2:5], v1 offset:1552
	s_waitcnt vmcnt(9) lgkmcnt(1)
	v_mul_f64 v[233:234], v[174:175], v[8:9]
	v_mul_f64 v[8:9], v[176:177], v[8:9]
	v_add_f64 v[169:170], v[169:170], v[172:173]
	v_add_f64 v[172:173], v[231:232], v[182:183]
	s_waitcnt vmcnt(8) lgkmcnt(0)
	v_mul_f64 v[182:183], v[2:3], v[12:13]
	v_mul_f64 v[12:13], v[4:5], v[12:13]
	ds_load_b128 v[229:232], v1 offset:1568
	v_fma_f64 v[176:177], v[176:177], v[6:7], v[233:234]
	v_fma_f64 v[174:175], v[174:175], v[6:7], -v[8:9]
	scratch_load_b128 v[6:9], off, off offset:816
	v_add_f64 v[169:170], v[169:170], v[237:238]
	v_add_f64 v[172:173], v[172:173], v[235:236]
	v_fma_f64 v[182:183], v[4:5], v[10:11], v[182:183]
	v_fma_f64 v[235:236], v[2:3], v[10:11], -v[12:13]
	scratch_load_b128 v[10:13], off, off offset:832
	ds_load_b128 v[2:5], v1 offset:1584
	s_waitcnt vmcnt(9) lgkmcnt(1)
	v_mul_f64 v[233:234], v[229:230], v[16:17]
	v_mul_f64 v[16:17], v[231:232], v[16:17]
	s_waitcnt vmcnt(8) lgkmcnt(0)
	v_mul_f64 v[237:238], v[2:3], v[20:21]
	v_mul_f64 v[20:21], v[4:5], v[20:21]
	v_add_f64 v[169:170], v[169:170], v[174:175]
	v_add_f64 v[176:177], v[172:173], v[176:177]
	ds_load_b128 v[172:175], v1 offset:1600
	v_fma_f64 v[231:232], v[231:232], v[14:15], v[233:234]
	v_fma_f64 v[229:230], v[229:230], v[14:15], -v[16:17]
	scratch_load_b128 v[14:17], off, off offset:848
	v_fma_f64 v[233:234], v[4:5], v[18:19], v[237:238]
	v_add_f64 v[169:170], v[169:170], v[235:236]
	v_add_f64 v[176:177], v[176:177], v[182:183]
	v_fma_f64 v[235:236], v[2:3], v[18:19], -v[20:21]
	scratch_load_b128 v[18:21], off, off offset:864
	ds_load_b128 v[2:5], v1 offset:1616
	s_waitcnt vmcnt(9) lgkmcnt(1)
	v_mul_f64 v[182:183], v[172:173], v[24:25]
	v_mul_f64 v[24:25], v[174:175], v[24:25]
	s_waitcnt vmcnt(8) lgkmcnt(0)
	v_mul_f64 v[237:238], v[2:3], v[28:29]
	v_mul_f64 v[28:29], v[4:5], v[28:29]
	v_add_f64 v[169:170], v[169:170], v[229:230]
	v_add_f64 v[176:177], v[176:177], v[231:232]
	ds_load_b128 v[229:232], v1 offset:1632
	v_fma_f64 v[174:175], v[174:175], v[22:23], v[182:183]
	v_fma_f64 v[22:23], v[172:173], v[22:23], -v[24:25]
	s_waitcnt vmcnt(7) lgkmcnt(0)
	v_mul_f64 v[172:173], v[229:230], v[32:33]
	v_mul_f64 v[32:33], v[231:232], v[32:33]
	v_add_f64 v[24:25], v[169:170], v[235:236]
	v_add_f64 v[169:170], v[176:177], v[233:234]
	v_fma_f64 v[176:177], v[4:5], v[26:27], v[237:238]
	v_fma_f64 v[26:27], v[2:3], v[26:27], -v[28:29]
	v_fma_f64 v[172:173], v[231:232], v[30:31], v[172:173]
	v_fma_f64 v[30:31], v[229:230], v[30:31], -v[32:33]
	v_add_f64 v[28:29], v[24:25], v[22:23]
	v_add_f64 v[169:170], v[169:170], v[174:175]
	ds_load_b128 v[2:5], v1 offset:1648
	ds_load_b128 v[22:25], v1 offset:1664
	s_waitcnt vmcnt(6) lgkmcnt(1)
	v_mul_f64 v[174:175], v[2:3], v[36:37]
	v_mul_f64 v[36:37], v[4:5], v[36:37]
	v_add_f64 v[26:27], v[28:29], v[26:27]
	v_add_f64 v[28:29], v[169:170], v[176:177]
	s_waitcnt vmcnt(5) lgkmcnt(0)
	v_mul_f64 v[32:33], v[22:23], v[180:181]
	v_mul_f64 v[169:170], v[24:25], v[180:181]
	v_fma_f64 v[174:175], v[4:5], v[34:35], v[174:175]
	v_fma_f64 v[34:35], v[2:3], v[34:35], -v[36:37]
	v_add_f64 v[30:31], v[26:27], v[30:31]
	v_add_f64 v[36:37], v[28:29], v[172:173]
	ds_load_b128 v[2:5], v1 offset:1680
	ds_load_b128 v[26:29], v1 offset:1696
	v_fma_f64 v[24:25], v[24:25], v[178:179], v[32:33]
	v_fma_f64 v[22:23], v[22:23], v[178:179], -v[169:170]
	s_waitcnt vmcnt(4) lgkmcnt(1)
	v_mul_f64 v[172:173], v[2:3], v[40:41]
	v_mul_f64 v[40:41], v[4:5], v[40:41]
	v_add_f64 v[30:31], v[30:31], v[34:35]
	v_add_f64 v[32:33], v[36:37], v[174:175]
	s_waitcnt vmcnt(3) lgkmcnt(0)
	v_mul_f64 v[34:35], v[26:27], v[8:9]
	v_mul_f64 v[8:9], v[28:29], v[8:9]
	v_fma_f64 v[36:37], v[4:5], v[38:39], v[172:173]
	v_fma_f64 v[38:39], v[2:3], v[38:39], -v[40:41]
	v_add_f64 v[30:31], v[30:31], v[22:23]
	v_add_f64 v[32:33], v[32:33], v[24:25]
	ds_load_b128 v[2:5], v1 offset:1712
	ds_load_b128 v[22:25], v1 offset:1728
	v_fma_f64 v[28:29], v[28:29], v[6:7], v[34:35]
	v_fma_f64 v[6:7], v[26:27], v[6:7], -v[8:9]
	s_waitcnt vmcnt(2) lgkmcnt(1)
	v_mul_f64 v[40:41], v[2:3], v[12:13]
	v_mul_f64 v[12:13], v[4:5], v[12:13]
	v_add_f64 v[8:9], v[30:31], v[38:39]
	v_add_f64 v[26:27], v[32:33], v[36:37]
	s_waitcnt vmcnt(1) lgkmcnt(0)
	v_mul_f64 v[30:31], v[22:23], v[16:17]
	v_mul_f64 v[16:17], v[24:25], v[16:17]
	v_fma_f64 v[32:33], v[4:5], v[10:11], v[40:41]
	v_fma_f64 v[10:11], v[2:3], v[10:11], -v[12:13]
	ds_load_b128 v[2:5], v1 offset:1744
	v_add_f64 v[6:7], v[8:9], v[6:7]
	v_add_f64 v[8:9], v[26:27], v[28:29]
	v_fma_f64 v[24:25], v[24:25], v[14:15], v[30:31]
	v_fma_f64 v[14:15], v[22:23], v[14:15], -v[16:17]
	s_waitcnt vmcnt(0) lgkmcnt(0)
	v_mul_f64 v[12:13], v[2:3], v[20:21]
	v_mul_f64 v[20:21], v[4:5], v[20:21]
	v_add_f64 v[6:7], v[6:7], v[10:11]
	v_add_f64 v[8:9], v[8:9], v[32:33]
	s_delay_alu instid0(VALU_DEP_4) | instskip(NEXT) | instid1(VALU_DEP_4)
	v_fma_f64 v[4:5], v[4:5], v[18:19], v[12:13]
	v_fma_f64 v[2:3], v[2:3], v[18:19], -v[20:21]
	s_delay_alu instid0(VALU_DEP_4) | instskip(NEXT) | instid1(VALU_DEP_4)
	v_add_f64 v[6:7], v[6:7], v[14:15]
	v_add_f64 v[8:9], v[8:9], v[24:25]
	s_delay_alu instid0(VALU_DEP_2) | instskip(NEXT) | instid1(VALU_DEP_2)
	v_add_f64 v[2:3], v[6:7], v[2:3]
	v_add_f64 v[4:5], v[8:9], v[4:5]
	s_delay_alu instid0(VALU_DEP_2) | instskip(NEXT) | instid1(VALU_DEP_2)
	v_add_f64 v[2:3], v[42:43], -v[2:3]
	v_add_f64 v[4:5], v[44:45], -v[4:5]
	scratch_store_b128 off, v[2:5], off offset:144
	v_cmpx_lt_u32_e32 8, v156
	s_cbranch_execz .LBB54_327
; %bb.326:
	scratch_load_b128 v[5:8], v203, off
	v_mov_b32_e32 v2, v1
	v_mov_b32_e32 v3, v1
	;; [unrolled: 1-line block ×3, first 2 shown]
	scratch_store_b128 off, v[1:4], off offset:128
	s_waitcnt vmcnt(0)
	ds_store_b128 v211, v[5:8]
.LBB54_327:
	s_or_b32 exec_lo, exec_lo, s2
	s_waitcnt lgkmcnt(0)
	s_waitcnt_vscnt null, 0x0
	s_barrier
	buffer_gl0_inv
	s_clause 0x8
	scratch_load_b128 v[2:5], off, off offset:144
	scratch_load_b128 v[6:9], off, off offset:160
	;; [unrolled: 1-line block ×9, first 2 shown]
	ds_load_b128 v[42:45], v1 offset:1024
	ds_load_b128 v[38:41], v1 offset:1040
	s_clause 0x1
	scratch_load_b128 v[172:175], off, off offset:128
	scratch_load_b128 v[176:179], off, off offset:288
	s_mov_b32 s2, exec_lo
	ds_load_b128 v[180:183], v1 offset:1072
	s_waitcnt vmcnt(10) lgkmcnt(2)
	v_mul_f64 v[169:170], v[44:45], v[4:5]
	v_mul_f64 v[4:5], v[42:43], v[4:5]
	s_waitcnt vmcnt(9) lgkmcnt(1)
	v_mul_f64 v[229:230], v[38:39], v[8:9]
	v_mul_f64 v[8:9], v[40:41], v[8:9]
	s_delay_alu instid0(VALU_DEP_4) | instskip(NEXT) | instid1(VALU_DEP_4)
	v_fma_f64 v[169:170], v[42:43], v[2:3], -v[169:170]
	v_fma_f64 v[231:232], v[44:45], v[2:3], v[4:5]
	ds_load_b128 v[2:5], v1 offset:1056
	scratch_load_b128 v[42:45], off, off offset:304
	v_fma_f64 v[40:41], v[40:41], v[6:7], v[229:230]
	v_fma_f64 v[38:39], v[38:39], v[6:7], -v[8:9]
	scratch_load_b128 v[6:9], off, off offset:320
	s_waitcnt vmcnt(10) lgkmcnt(0)
	v_mul_f64 v[233:234], v[2:3], v[12:13]
	v_mul_f64 v[12:13], v[4:5], v[12:13]
	v_add_f64 v[169:170], v[169:170], 0
	v_add_f64 v[229:230], v[231:232], 0
	s_waitcnt vmcnt(9)
	v_mul_f64 v[231:232], v[180:181], v[16:17]
	v_mul_f64 v[16:17], v[182:183], v[16:17]
	v_fma_f64 v[233:234], v[4:5], v[10:11], v[233:234]
	v_fma_f64 v[235:236], v[2:3], v[10:11], -v[12:13]
	ds_load_b128 v[2:5], v1 offset:1088
	scratch_load_b128 v[10:13], off, off offset:336
	v_add_f64 v[169:170], v[169:170], v[38:39]
	v_add_f64 v[229:230], v[229:230], v[40:41]
	ds_load_b128 v[38:41], v1 offset:1104
	v_fma_f64 v[182:183], v[182:183], v[14:15], v[231:232]
	v_fma_f64 v[180:181], v[180:181], v[14:15], -v[16:17]
	scratch_load_b128 v[14:17], off, off offset:352
	s_waitcnt vmcnt(10) lgkmcnt(1)
	v_mul_f64 v[237:238], v[2:3], v[20:21]
	v_mul_f64 v[20:21], v[4:5], v[20:21]
	s_waitcnt vmcnt(9) lgkmcnt(0)
	v_mul_f64 v[231:232], v[38:39], v[24:25]
	v_mul_f64 v[24:25], v[40:41], v[24:25]
	v_add_f64 v[169:170], v[169:170], v[235:236]
	v_add_f64 v[229:230], v[229:230], v[233:234]
	v_fma_f64 v[233:234], v[4:5], v[18:19], v[237:238]
	v_fma_f64 v[235:236], v[2:3], v[18:19], -v[20:21]
	ds_load_b128 v[2:5], v1 offset:1120
	scratch_load_b128 v[18:21], off, off offset:368
	v_fma_f64 v[40:41], v[40:41], v[22:23], v[231:232]
	v_fma_f64 v[38:39], v[38:39], v[22:23], -v[24:25]
	scratch_load_b128 v[22:25], off, off offset:384
	v_add_f64 v[169:170], v[169:170], v[180:181]
	v_add_f64 v[229:230], v[229:230], v[182:183]
	ds_load_b128 v[180:183], v1 offset:1136
	s_waitcnt vmcnt(10) lgkmcnt(1)
	v_mul_f64 v[237:238], v[2:3], v[28:29]
	v_mul_f64 v[28:29], v[4:5], v[28:29]
	s_waitcnt vmcnt(9) lgkmcnt(0)
	v_mul_f64 v[231:232], v[180:181], v[32:33]
	v_mul_f64 v[32:33], v[182:183], v[32:33]
	v_add_f64 v[169:170], v[169:170], v[235:236]
	v_add_f64 v[229:230], v[229:230], v[233:234]
	v_fma_f64 v[233:234], v[4:5], v[26:27], v[237:238]
	v_fma_f64 v[235:236], v[2:3], v[26:27], -v[28:29]
	ds_load_b128 v[2:5], v1 offset:1152
	scratch_load_b128 v[26:29], off, off offset:400
	v_fma_f64 v[182:183], v[182:183], v[30:31], v[231:232]
	v_fma_f64 v[180:181], v[180:181], v[30:31], -v[32:33]
	scratch_load_b128 v[30:33], off, off offset:416
	v_add_f64 v[169:170], v[169:170], v[38:39]
	v_add_f64 v[229:230], v[229:230], v[40:41]
	ds_load_b128 v[38:41], v1 offset:1168
	s_waitcnt vmcnt(10) lgkmcnt(1)
	v_mul_f64 v[237:238], v[2:3], v[36:37]
	v_mul_f64 v[36:37], v[4:5], v[36:37]
	s_waitcnt vmcnt(8) lgkmcnt(0)
	v_mul_f64 v[231:232], v[38:39], v[178:179]
	v_add_f64 v[169:170], v[169:170], v[235:236]
	v_add_f64 v[229:230], v[229:230], v[233:234]
	v_mul_f64 v[233:234], v[40:41], v[178:179]
	v_fma_f64 v[235:236], v[4:5], v[34:35], v[237:238]
	v_fma_f64 v[237:238], v[2:3], v[34:35], -v[36:37]
	ds_load_b128 v[2:5], v1 offset:1184
	scratch_load_b128 v[34:37], off, off offset:432
	v_fma_f64 v[231:232], v[40:41], v[176:177], v[231:232]
	v_add_f64 v[169:170], v[169:170], v[180:181]
	v_add_f64 v[182:183], v[229:230], v[182:183]
	ds_load_b128 v[178:181], v1 offset:1200
	v_fma_f64 v[176:177], v[38:39], v[176:177], -v[233:234]
	scratch_load_b128 v[38:41], off, off offset:448
	s_waitcnt vmcnt(9) lgkmcnt(1)
	v_mul_f64 v[229:230], v[2:3], v[44:45]
	v_mul_f64 v[44:45], v[4:5], v[44:45]
	s_waitcnt vmcnt(8) lgkmcnt(0)
	v_mul_f64 v[233:234], v[178:179], v[8:9]
	v_mul_f64 v[8:9], v[180:181], v[8:9]
	v_add_f64 v[169:170], v[169:170], v[237:238]
	v_add_f64 v[182:183], v[182:183], v[235:236]
	v_fma_f64 v[235:236], v[4:5], v[42:43], v[229:230]
	v_fma_f64 v[237:238], v[2:3], v[42:43], -v[44:45]
	ds_load_b128 v[2:5], v1 offset:1216
	scratch_load_b128 v[42:45], off, off offset:464
	v_fma_f64 v[180:181], v[180:181], v[6:7], v[233:234]
	v_fma_f64 v[178:179], v[178:179], v[6:7], -v[8:9]
	scratch_load_b128 v[6:9], off, off offset:480
	v_add_f64 v[169:170], v[169:170], v[176:177]
	v_add_f64 v[176:177], v[182:183], v[231:232]
	ds_load_b128 v[229:232], v1 offset:1232
	s_waitcnt vmcnt(9) lgkmcnt(1)
	v_mul_f64 v[182:183], v[2:3], v[12:13]
	v_mul_f64 v[12:13], v[4:5], v[12:13]
	s_waitcnt vmcnt(8) lgkmcnt(0)
	v_mul_f64 v[233:234], v[229:230], v[16:17]
	v_mul_f64 v[16:17], v[231:232], v[16:17]
	v_add_f64 v[169:170], v[169:170], v[237:238]
	v_add_f64 v[176:177], v[176:177], v[235:236]
	v_fma_f64 v[182:183], v[4:5], v[10:11], v[182:183]
	v_fma_f64 v[235:236], v[2:3], v[10:11], -v[12:13]
	ds_load_b128 v[2:5], v1 offset:1248
	scratch_load_b128 v[10:13], off, off offset:496
	v_fma_f64 v[231:232], v[231:232], v[14:15], v[233:234]
	v_fma_f64 v[229:230], v[229:230], v[14:15], -v[16:17]
	scratch_load_b128 v[14:17], off, off offset:512
	v_add_f64 v[169:170], v[169:170], v[178:179]
	v_add_f64 v[180:181], v[176:177], v[180:181]
	ds_load_b128 v[176:179], v1 offset:1264
	;; [unrolled: 18-line block ×4, first 2 shown]
	s_waitcnt vmcnt(9) lgkmcnt(1)
	v_mul_f64 v[237:238], v[2:3], v[36:37]
	v_mul_f64 v[36:37], v[4:5], v[36:37]
	v_add_f64 v[169:170], v[169:170], v[235:236]
	v_add_f64 v[229:230], v[229:230], v[231:232]
	s_waitcnt vmcnt(8) lgkmcnt(0)
	v_mul_f64 v[231:232], v[176:177], v[40:41]
	v_mul_f64 v[40:41], v[178:179], v[40:41]
	v_fma_f64 v[233:234], v[4:5], v[34:35], v[237:238]
	v_fma_f64 v[235:236], v[2:3], v[34:35], -v[36:37]
	ds_load_b128 v[2:5], v1 offset:1344
	scratch_load_b128 v[34:37], off, off offset:592
	v_add_f64 v[169:170], v[169:170], v[180:181]
	v_add_f64 v[229:230], v[229:230], v[182:183]
	ds_load_b128 v[180:183], v1 offset:1360
	s_waitcnt vmcnt(8) lgkmcnt(1)
	v_mul_f64 v[237:238], v[2:3], v[44:45]
	v_mul_f64 v[44:45], v[4:5], v[44:45]
	v_fma_f64 v[178:179], v[178:179], v[38:39], v[231:232]
	v_fma_f64 v[176:177], v[176:177], v[38:39], -v[40:41]
	scratch_load_b128 v[38:41], off, off offset:608
	s_waitcnt vmcnt(8) lgkmcnt(0)
	v_mul_f64 v[231:232], v[180:181], v[8:9]
	v_mul_f64 v[8:9], v[182:183], v[8:9]
	v_add_f64 v[169:170], v[169:170], v[235:236]
	v_add_f64 v[229:230], v[229:230], v[233:234]
	v_fma_f64 v[233:234], v[4:5], v[42:43], v[237:238]
	v_fma_f64 v[235:236], v[2:3], v[42:43], -v[44:45]
	ds_load_b128 v[2:5], v1 offset:1376
	scratch_load_b128 v[42:45], off, off offset:624
	v_fma_f64 v[182:183], v[182:183], v[6:7], v[231:232]
	v_fma_f64 v[180:181], v[180:181], v[6:7], -v[8:9]
	scratch_load_b128 v[6:9], off, off offset:640
	v_add_f64 v[169:170], v[169:170], v[176:177]
	v_add_f64 v[229:230], v[229:230], v[178:179]
	ds_load_b128 v[176:179], v1 offset:1392
	s_waitcnt vmcnt(9) lgkmcnt(1)
	v_mul_f64 v[237:238], v[2:3], v[12:13]
	v_mul_f64 v[12:13], v[4:5], v[12:13]
	s_waitcnt vmcnt(8) lgkmcnt(0)
	v_mul_f64 v[231:232], v[176:177], v[16:17]
	v_mul_f64 v[16:17], v[178:179], v[16:17]
	v_add_f64 v[169:170], v[169:170], v[235:236]
	v_add_f64 v[229:230], v[229:230], v[233:234]
	v_fma_f64 v[233:234], v[4:5], v[10:11], v[237:238]
	v_fma_f64 v[235:236], v[2:3], v[10:11], -v[12:13]
	ds_load_b128 v[2:5], v1 offset:1408
	scratch_load_b128 v[10:13], off, off offset:656
	v_fma_f64 v[178:179], v[178:179], v[14:15], v[231:232]
	v_fma_f64 v[176:177], v[176:177], v[14:15], -v[16:17]
	scratch_load_b128 v[14:17], off, off offset:672
	v_add_f64 v[169:170], v[169:170], v[180:181]
	v_add_f64 v[229:230], v[229:230], v[182:183]
	ds_load_b128 v[180:183], v1 offset:1424
	s_waitcnt vmcnt(9) lgkmcnt(1)
	v_mul_f64 v[237:238], v[2:3], v[20:21]
	v_mul_f64 v[20:21], v[4:5], v[20:21]
	;; [unrolled: 18-line block ×8, first 2 shown]
	s_waitcnt vmcnt(8) lgkmcnt(0)
	v_mul_f64 v[231:232], v[180:181], v[32:33]
	v_mul_f64 v[32:33], v[182:183], v[32:33]
	v_add_f64 v[169:170], v[169:170], v[235:236]
	v_add_f64 v[229:230], v[229:230], v[233:234]
	v_fma_f64 v[233:234], v[4:5], v[26:27], v[237:238]
	v_fma_f64 v[235:236], v[2:3], v[26:27], -v[28:29]
	ds_load_b128 v[2:5], v1 offset:1632
	ds_load_b128 v[26:29], v1 offset:1648
	v_fma_f64 v[182:183], v[182:183], v[30:31], v[231:232]
	v_fma_f64 v[30:31], v[180:181], v[30:31], -v[32:33]
	v_add_f64 v[169:170], v[169:170], v[176:177]
	v_add_f64 v[176:177], v[229:230], v[178:179]
	s_waitcnt vmcnt(7) lgkmcnt(1)
	v_mul_f64 v[178:179], v[2:3], v[36:37]
	v_mul_f64 v[36:37], v[4:5], v[36:37]
	s_delay_alu instid0(VALU_DEP_4) | instskip(NEXT) | instid1(VALU_DEP_4)
	v_add_f64 v[32:33], v[169:170], v[235:236]
	v_add_f64 v[169:170], v[176:177], v[233:234]
	s_waitcnt vmcnt(6) lgkmcnt(0)
	v_mul_f64 v[176:177], v[26:27], v[40:41]
	v_mul_f64 v[40:41], v[28:29], v[40:41]
	v_fma_f64 v[178:179], v[4:5], v[34:35], v[178:179]
	v_fma_f64 v[34:35], v[2:3], v[34:35], -v[36:37]
	v_add_f64 v[36:37], v[32:33], v[30:31]
	v_add_f64 v[169:170], v[169:170], v[182:183]
	ds_load_b128 v[2:5], v1 offset:1664
	ds_load_b128 v[30:33], v1 offset:1680
	v_fma_f64 v[28:29], v[28:29], v[38:39], v[176:177]
	v_fma_f64 v[26:27], v[26:27], v[38:39], -v[40:41]
	s_waitcnt vmcnt(5) lgkmcnt(1)
	v_mul_f64 v[180:181], v[2:3], v[44:45]
	v_mul_f64 v[44:45], v[4:5], v[44:45]
	s_waitcnt vmcnt(4) lgkmcnt(0)
	v_mul_f64 v[38:39], v[30:31], v[8:9]
	v_mul_f64 v[8:9], v[32:33], v[8:9]
	v_add_f64 v[34:35], v[36:37], v[34:35]
	v_add_f64 v[36:37], v[169:170], v[178:179]
	v_fma_f64 v[40:41], v[4:5], v[42:43], v[180:181]
	v_fma_f64 v[42:43], v[2:3], v[42:43], -v[44:45]
	v_fma_f64 v[32:33], v[32:33], v[6:7], v[38:39]
	v_fma_f64 v[6:7], v[30:31], v[6:7], -v[8:9]
	v_add_f64 v[34:35], v[34:35], v[26:27]
	v_add_f64 v[36:37], v[36:37], v[28:29]
	ds_load_b128 v[2:5], v1 offset:1696
	ds_load_b128 v[26:29], v1 offset:1712
	s_waitcnt vmcnt(3) lgkmcnt(1)
	v_mul_f64 v[44:45], v[2:3], v[12:13]
	v_mul_f64 v[12:13], v[4:5], v[12:13]
	v_add_f64 v[8:9], v[34:35], v[42:43]
	v_add_f64 v[30:31], v[36:37], v[40:41]
	s_waitcnt vmcnt(2) lgkmcnt(0)
	v_mul_f64 v[34:35], v[26:27], v[16:17]
	v_mul_f64 v[16:17], v[28:29], v[16:17]
	v_fma_f64 v[36:37], v[4:5], v[10:11], v[44:45]
	v_fma_f64 v[10:11], v[2:3], v[10:11], -v[12:13]
	v_add_f64 v[12:13], v[8:9], v[6:7]
	v_add_f64 v[30:31], v[30:31], v[32:33]
	ds_load_b128 v[2:5], v1 offset:1728
	ds_load_b128 v[6:9], v1 offset:1744
	v_fma_f64 v[28:29], v[28:29], v[14:15], v[34:35]
	v_fma_f64 v[14:15], v[26:27], v[14:15], -v[16:17]
	s_waitcnt vmcnt(1) lgkmcnt(1)
	v_mul_f64 v[32:33], v[2:3], v[20:21]
	v_mul_f64 v[20:21], v[4:5], v[20:21]
	s_waitcnt vmcnt(0) lgkmcnt(0)
	v_mul_f64 v[16:17], v[6:7], v[24:25]
	v_mul_f64 v[24:25], v[8:9], v[24:25]
	v_add_f64 v[10:11], v[12:13], v[10:11]
	v_add_f64 v[12:13], v[30:31], v[36:37]
	v_fma_f64 v[4:5], v[4:5], v[18:19], v[32:33]
	v_fma_f64 v[1:2], v[2:3], v[18:19], -v[20:21]
	v_fma_f64 v[8:9], v[8:9], v[22:23], v[16:17]
	v_fma_f64 v[6:7], v[6:7], v[22:23], -v[24:25]
	v_add_f64 v[10:11], v[10:11], v[14:15]
	v_add_f64 v[12:13], v[12:13], v[28:29]
	s_delay_alu instid0(VALU_DEP_2) | instskip(NEXT) | instid1(VALU_DEP_2)
	v_add_f64 v[1:2], v[10:11], v[1:2]
	v_add_f64 v[3:4], v[12:13], v[4:5]
	s_delay_alu instid0(VALU_DEP_2) | instskip(NEXT) | instid1(VALU_DEP_2)
	;; [unrolled: 3-line block ×3, first 2 shown]
	v_add_f64 v[1:2], v[172:173], -v[1:2]
	v_add_f64 v[3:4], v[174:175], -v[3:4]
	scratch_store_b128 off, v[1:4], off offset:128
	v_cmpx_lt_u32_e32 7, v156
	s_cbranch_execz .LBB54_329
; %bb.328:
	scratch_load_b128 v[1:4], v204, off
	v_mov_b32_e32 v5, 0
	s_delay_alu instid0(VALU_DEP_1)
	v_mov_b32_e32 v6, v5
	v_mov_b32_e32 v7, v5
	;; [unrolled: 1-line block ×3, first 2 shown]
	scratch_store_b128 off, v[5:8], off offset:112
	s_waitcnt vmcnt(0)
	ds_store_b128 v211, v[1:4]
.LBB54_329:
	s_or_b32 exec_lo, exec_lo, s2
	s_waitcnt lgkmcnt(0)
	s_waitcnt_vscnt null, 0x0
	s_barrier
	buffer_gl0_inv
	s_clause 0x7
	scratch_load_b128 v[2:5], off, off offset:128
	scratch_load_b128 v[6:9], off, off offset:144
	;; [unrolled: 1-line block ×8, first 2 shown]
	v_mov_b32_e32 v1, 0
	s_mov_b32 s2, exec_lo
	ds_load_b128 v[38:41], v1 offset:1008
	s_clause 0x1
	scratch_load_b128 v[34:37], off, off offset:256
	scratch_load_b128 v[42:45], off, off offset:112
	ds_load_b128 v[172:175], v1 offset:1024
	scratch_load_b128 v[176:179], off, off offset:272
	ds_load_b128 v[180:183], v1 offset:1056
	s_waitcnt vmcnt(10) lgkmcnt(2)
	v_mul_f64 v[169:170], v[40:41], v[4:5]
	v_mul_f64 v[4:5], v[38:39], v[4:5]
	s_delay_alu instid0(VALU_DEP_2) | instskip(NEXT) | instid1(VALU_DEP_2)
	v_fma_f64 v[169:170], v[38:39], v[2:3], -v[169:170]
	v_fma_f64 v[231:232], v[40:41], v[2:3], v[4:5]
	ds_load_b128 v[2:5], v1 offset:1040
	s_waitcnt vmcnt(9) lgkmcnt(2)
	v_mul_f64 v[229:230], v[172:173], v[8:9]
	v_mul_f64 v[8:9], v[174:175], v[8:9]
	scratch_load_b128 v[38:41], off, off offset:288
	s_waitcnt vmcnt(9) lgkmcnt(0)
	v_mul_f64 v[233:234], v[2:3], v[12:13]
	v_mul_f64 v[12:13], v[4:5], v[12:13]
	v_add_f64 v[169:170], v[169:170], 0
	v_fma_f64 v[174:175], v[174:175], v[6:7], v[229:230]
	v_fma_f64 v[172:173], v[172:173], v[6:7], -v[8:9]
	v_add_f64 v[229:230], v[231:232], 0
	scratch_load_b128 v[6:9], off, off offset:304
	v_fma_f64 v[233:234], v[4:5], v[10:11], v[233:234]
	v_fma_f64 v[235:236], v[2:3], v[10:11], -v[12:13]
	scratch_load_b128 v[10:13], off, off offset:320
	ds_load_b128 v[2:5], v1 offset:1072
	s_waitcnt vmcnt(10)
	v_mul_f64 v[231:232], v[180:181], v[16:17]
	v_mul_f64 v[16:17], v[182:183], v[16:17]
	v_add_f64 v[169:170], v[169:170], v[172:173]
	v_add_f64 v[229:230], v[229:230], v[174:175]
	ds_load_b128 v[172:175], v1 offset:1088
	s_waitcnt vmcnt(9) lgkmcnt(1)
	v_mul_f64 v[237:238], v[2:3], v[20:21]
	v_mul_f64 v[20:21], v[4:5], v[20:21]
	v_fma_f64 v[182:183], v[182:183], v[14:15], v[231:232]
	v_fma_f64 v[180:181], v[180:181], v[14:15], -v[16:17]
	scratch_load_b128 v[14:17], off, off offset:336
	v_add_f64 v[169:170], v[169:170], v[235:236]
	v_add_f64 v[229:230], v[229:230], v[233:234]
	v_fma_f64 v[233:234], v[4:5], v[18:19], v[237:238]
	v_fma_f64 v[235:236], v[2:3], v[18:19], -v[20:21]
	scratch_load_b128 v[18:21], off, off offset:352
	ds_load_b128 v[2:5], v1 offset:1104
	s_waitcnt vmcnt(10) lgkmcnt(1)
	v_mul_f64 v[231:232], v[172:173], v[24:25]
	v_mul_f64 v[24:25], v[174:175], v[24:25]
	s_waitcnt vmcnt(9) lgkmcnt(0)
	v_mul_f64 v[237:238], v[2:3], v[28:29]
	v_mul_f64 v[28:29], v[4:5], v[28:29]
	v_add_f64 v[169:170], v[169:170], v[180:181]
	v_add_f64 v[229:230], v[229:230], v[182:183]
	ds_load_b128 v[180:183], v1 offset:1120
	v_fma_f64 v[174:175], v[174:175], v[22:23], v[231:232]
	v_fma_f64 v[172:173], v[172:173], v[22:23], -v[24:25]
	scratch_load_b128 v[22:25], off, off offset:368
	v_add_f64 v[169:170], v[169:170], v[235:236]
	v_add_f64 v[229:230], v[229:230], v[233:234]
	v_fma_f64 v[233:234], v[4:5], v[26:27], v[237:238]
	v_fma_f64 v[235:236], v[2:3], v[26:27], -v[28:29]
	scratch_load_b128 v[26:29], off, off offset:384
	ds_load_b128 v[2:5], v1 offset:1136
	s_waitcnt vmcnt(10) lgkmcnt(1)
	v_mul_f64 v[231:232], v[180:181], v[32:33]
	v_mul_f64 v[32:33], v[182:183], v[32:33]
	s_waitcnt vmcnt(9) lgkmcnt(0)
	v_mul_f64 v[237:238], v[2:3], v[36:37]
	v_mul_f64 v[36:37], v[4:5], v[36:37]
	v_add_f64 v[169:170], v[169:170], v[172:173]
	v_add_f64 v[229:230], v[229:230], v[174:175]
	ds_load_b128 v[172:175], v1 offset:1152
	v_fma_f64 v[182:183], v[182:183], v[30:31], v[231:232]
	v_fma_f64 v[180:181], v[180:181], v[30:31], -v[32:33]
	scratch_load_b128 v[30:33], off, off offset:400
	v_add_f64 v[169:170], v[169:170], v[235:236]
	v_add_f64 v[229:230], v[229:230], v[233:234]
	v_fma_f64 v[235:236], v[4:5], v[34:35], v[237:238]
	v_fma_f64 v[237:238], v[2:3], v[34:35], -v[36:37]
	scratch_load_b128 v[34:37], off, off offset:416
	ds_load_b128 v[2:5], v1 offset:1168
	s_waitcnt vmcnt(9) lgkmcnt(1)
	v_mul_f64 v[231:232], v[172:173], v[178:179]
	v_mul_f64 v[233:234], v[174:175], v[178:179]
	v_add_f64 v[169:170], v[169:170], v[180:181]
	v_add_f64 v[182:183], v[229:230], v[182:183]
	ds_load_b128 v[178:181], v1 offset:1184
	v_fma_f64 v[231:232], v[174:175], v[176:177], v[231:232]
	v_fma_f64 v[176:177], v[172:173], v[176:177], -v[233:234]
	scratch_load_b128 v[172:175], off, off offset:432
	s_waitcnt vmcnt(9) lgkmcnt(1)
	v_mul_f64 v[229:230], v[2:3], v[40:41]
	v_mul_f64 v[40:41], v[4:5], v[40:41]
	v_add_f64 v[169:170], v[169:170], v[237:238]
	v_add_f64 v[182:183], v[182:183], v[235:236]
	s_delay_alu instid0(VALU_DEP_4) | instskip(NEXT) | instid1(VALU_DEP_4)
	v_fma_f64 v[235:236], v[4:5], v[38:39], v[229:230]
	v_fma_f64 v[237:238], v[2:3], v[38:39], -v[40:41]
	scratch_load_b128 v[38:41], off, off offset:448
	ds_load_b128 v[2:5], v1 offset:1200
	s_waitcnt vmcnt(9) lgkmcnt(1)
	v_mul_f64 v[233:234], v[178:179], v[8:9]
	v_mul_f64 v[8:9], v[180:181], v[8:9]
	v_add_f64 v[169:170], v[169:170], v[176:177]
	v_add_f64 v[176:177], v[182:183], v[231:232]
	s_waitcnt vmcnt(8) lgkmcnt(0)
	v_mul_f64 v[182:183], v[2:3], v[12:13]
	v_mul_f64 v[12:13], v[4:5], v[12:13]
	ds_load_b128 v[229:232], v1 offset:1216
	v_fma_f64 v[180:181], v[180:181], v[6:7], v[233:234]
	v_fma_f64 v[178:179], v[178:179], v[6:7], -v[8:9]
	scratch_load_b128 v[6:9], off, off offset:464
	v_add_f64 v[169:170], v[169:170], v[237:238]
	v_add_f64 v[176:177], v[176:177], v[235:236]
	v_fma_f64 v[182:183], v[4:5], v[10:11], v[182:183]
	v_fma_f64 v[235:236], v[2:3], v[10:11], -v[12:13]
	scratch_load_b128 v[10:13], off, off offset:480
	ds_load_b128 v[2:5], v1 offset:1232
	s_waitcnt vmcnt(9) lgkmcnt(1)
	v_mul_f64 v[233:234], v[229:230], v[16:17]
	v_mul_f64 v[16:17], v[231:232], v[16:17]
	s_waitcnt vmcnt(8) lgkmcnt(0)
	v_mul_f64 v[237:238], v[2:3], v[20:21]
	v_mul_f64 v[20:21], v[4:5], v[20:21]
	v_add_f64 v[169:170], v[169:170], v[178:179]
	v_add_f64 v[180:181], v[176:177], v[180:181]
	ds_load_b128 v[176:179], v1 offset:1248
	v_fma_f64 v[231:232], v[231:232], v[14:15], v[233:234]
	v_fma_f64 v[229:230], v[229:230], v[14:15], -v[16:17]
	scratch_load_b128 v[14:17], off, off offset:496
	v_add_f64 v[169:170], v[169:170], v[235:236]
	v_add_f64 v[180:181], v[180:181], v[182:183]
	v_fma_f64 v[235:236], v[4:5], v[18:19], v[237:238]
	v_fma_f64 v[237:238], v[2:3], v[18:19], -v[20:21]
	scratch_load_b128 v[18:21], off, off offset:512
	ds_load_b128 v[2:5], v1 offset:1264
	s_waitcnt vmcnt(9) lgkmcnt(1)
	v_mul_f64 v[233:234], v[176:177], v[24:25]
	v_mul_f64 v[24:25], v[178:179], v[24:25]
	v_add_f64 v[169:170], v[169:170], v[229:230]
	v_add_f64 v[229:230], v[180:181], v[231:232]
	s_waitcnt vmcnt(8) lgkmcnt(0)
	v_mul_f64 v[231:232], v[2:3], v[28:29]
	v_mul_f64 v[28:29], v[4:5], v[28:29]
	ds_load_b128 v[180:183], v1 offset:1280
	v_fma_f64 v[178:179], v[178:179], v[22:23], v[233:234]
	v_fma_f64 v[176:177], v[176:177], v[22:23], -v[24:25]
	scratch_load_b128 v[22:25], off, off offset:528
	v_add_f64 v[169:170], v[169:170], v[237:238]
	v_add_f64 v[229:230], v[229:230], v[235:236]
	v_fma_f64 v[231:232], v[4:5], v[26:27], v[231:232]
	v_fma_f64 v[235:236], v[2:3], v[26:27], -v[28:29]
	scratch_load_b128 v[26:29], off, off offset:544
	ds_load_b128 v[2:5], v1 offset:1296
	s_waitcnt vmcnt(9) lgkmcnt(1)
	v_mul_f64 v[233:234], v[180:181], v[32:33]
	v_mul_f64 v[32:33], v[182:183], v[32:33]
	s_waitcnt vmcnt(8) lgkmcnt(0)
	v_mul_f64 v[237:238], v[2:3], v[36:37]
	v_mul_f64 v[36:37], v[4:5], v[36:37]
	v_add_f64 v[169:170], v[169:170], v[176:177]
	v_add_f64 v[229:230], v[229:230], v[178:179]
	ds_load_b128 v[176:179], v1 offset:1312
	v_fma_f64 v[182:183], v[182:183], v[30:31], v[233:234]
	v_fma_f64 v[180:181], v[180:181], v[30:31], -v[32:33]
	scratch_load_b128 v[30:33], off, off offset:560
	v_fma_f64 v[233:234], v[4:5], v[34:35], v[237:238]
	v_add_f64 v[169:170], v[169:170], v[235:236]
	v_add_f64 v[229:230], v[229:230], v[231:232]
	v_fma_f64 v[235:236], v[2:3], v[34:35], -v[36:37]
	scratch_load_b128 v[34:37], off, off offset:576
	ds_load_b128 v[2:5], v1 offset:1328
	s_waitcnt vmcnt(9) lgkmcnt(1)
	v_mul_f64 v[231:232], v[176:177], v[174:175]
	v_mul_f64 v[174:175], v[178:179], v[174:175]
	s_waitcnt vmcnt(8) lgkmcnt(0)
	v_mul_f64 v[237:238], v[2:3], v[40:41]
	v_mul_f64 v[40:41], v[4:5], v[40:41]
	v_add_f64 v[169:170], v[169:170], v[180:181]
	v_add_f64 v[229:230], v[229:230], v[182:183]
	ds_load_b128 v[180:183], v1 offset:1344
	v_fma_f64 v[178:179], v[178:179], v[172:173], v[231:232]
	v_fma_f64 v[176:177], v[176:177], v[172:173], -v[174:175]
	scratch_load_b128 v[172:175], off, off offset:592
	v_add_f64 v[169:170], v[169:170], v[235:236]
	v_add_f64 v[229:230], v[229:230], v[233:234]
	v_fma_f64 v[233:234], v[4:5], v[38:39], v[237:238]
	v_fma_f64 v[235:236], v[2:3], v[38:39], -v[40:41]
	scratch_load_b128 v[38:41], off, off offset:608
	ds_load_b128 v[2:5], v1 offset:1360
	s_waitcnt vmcnt(9) lgkmcnt(1)
	v_mul_f64 v[231:232], v[180:181], v[8:9]
	v_mul_f64 v[8:9], v[182:183], v[8:9]
	s_waitcnt vmcnt(8) lgkmcnt(0)
	v_mul_f64 v[237:238], v[2:3], v[12:13]
	v_mul_f64 v[12:13], v[4:5], v[12:13]
	v_add_f64 v[169:170], v[169:170], v[176:177]
	v_add_f64 v[229:230], v[229:230], v[178:179]
	ds_load_b128 v[176:179], v1 offset:1376
	v_fma_f64 v[182:183], v[182:183], v[6:7], v[231:232]
	v_fma_f64 v[180:181], v[180:181], v[6:7], -v[8:9]
	scratch_load_b128 v[6:9], off, off offset:624
	v_add_f64 v[169:170], v[169:170], v[235:236]
	v_add_f64 v[229:230], v[229:230], v[233:234]
	v_fma_f64 v[233:234], v[4:5], v[10:11], v[237:238]
	;; [unrolled: 18-line block ×5, first 2 shown]
	v_fma_f64 v[237:238], v[2:3], v[34:35], -v[36:37]
	scratch_load_b128 v[34:37], off, off offset:736
	ds_load_b128 v[2:5], v1 offset:1488
	s_waitcnt vmcnt(9) lgkmcnt(1)
	v_mul_f64 v[231:232], v[180:181], v[174:175]
	v_mul_f64 v[233:234], v[182:183], v[174:175]
	v_add_f64 v[169:170], v[169:170], v[176:177]
	v_add_f64 v[178:179], v[229:230], v[178:179]
	s_waitcnt vmcnt(8) lgkmcnt(0)
	v_mul_f64 v[229:230], v[2:3], v[40:41]
	v_mul_f64 v[40:41], v[4:5], v[40:41]
	ds_load_b128 v[174:177], v1 offset:1504
	v_fma_f64 v[182:183], v[182:183], v[172:173], v[231:232]
	v_fma_f64 v[172:173], v[180:181], v[172:173], -v[233:234]
	v_add_f64 v[169:170], v[169:170], v[237:238]
	v_add_f64 v[231:232], v[178:179], v[235:236]
	scratch_load_b128 v[178:181], off, off offset:752
	v_fma_f64 v[235:236], v[4:5], v[38:39], v[229:230]
	v_fma_f64 v[237:238], v[2:3], v[38:39], -v[40:41]
	scratch_load_b128 v[38:41], off, off offset:768
	ds_load_b128 v[2:5], v1 offset:1520
	s_waitcnt vmcnt(9) lgkmcnt(1)
	v_mul_f64 v[233:234], v[174:175], v[8:9]
	v_mul_f64 v[8:9], v[176:177], v[8:9]
	v_add_f64 v[169:170], v[169:170], v[172:173]
	v_add_f64 v[172:173], v[231:232], v[182:183]
	s_waitcnt vmcnt(8) lgkmcnt(0)
	v_mul_f64 v[182:183], v[2:3], v[12:13]
	v_mul_f64 v[12:13], v[4:5], v[12:13]
	ds_load_b128 v[229:232], v1 offset:1536
	v_fma_f64 v[176:177], v[176:177], v[6:7], v[233:234]
	v_fma_f64 v[174:175], v[174:175], v[6:7], -v[8:9]
	scratch_load_b128 v[6:9], off, off offset:784
	v_add_f64 v[169:170], v[169:170], v[237:238]
	v_add_f64 v[172:173], v[172:173], v[235:236]
	v_fma_f64 v[182:183], v[4:5], v[10:11], v[182:183]
	v_fma_f64 v[235:236], v[2:3], v[10:11], -v[12:13]
	scratch_load_b128 v[10:13], off, off offset:800
	ds_load_b128 v[2:5], v1 offset:1552
	s_waitcnt vmcnt(9) lgkmcnt(1)
	v_mul_f64 v[233:234], v[229:230], v[16:17]
	v_mul_f64 v[16:17], v[231:232], v[16:17]
	s_waitcnt vmcnt(8) lgkmcnt(0)
	v_mul_f64 v[237:238], v[2:3], v[20:21]
	v_mul_f64 v[20:21], v[4:5], v[20:21]
	v_add_f64 v[169:170], v[169:170], v[174:175]
	v_add_f64 v[176:177], v[172:173], v[176:177]
	ds_load_b128 v[172:175], v1 offset:1568
	v_fma_f64 v[231:232], v[231:232], v[14:15], v[233:234]
	v_fma_f64 v[229:230], v[229:230], v[14:15], -v[16:17]
	scratch_load_b128 v[14:17], off, off offset:816
	v_fma_f64 v[233:234], v[4:5], v[18:19], v[237:238]
	v_add_f64 v[169:170], v[169:170], v[235:236]
	v_add_f64 v[176:177], v[176:177], v[182:183]
	v_fma_f64 v[235:236], v[2:3], v[18:19], -v[20:21]
	scratch_load_b128 v[18:21], off, off offset:832
	ds_load_b128 v[2:5], v1 offset:1584
	s_waitcnt vmcnt(9) lgkmcnt(1)
	v_mul_f64 v[182:183], v[172:173], v[24:25]
	v_mul_f64 v[24:25], v[174:175], v[24:25]
	s_waitcnt vmcnt(8) lgkmcnt(0)
	v_mul_f64 v[237:238], v[2:3], v[28:29]
	v_mul_f64 v[28:29], v[4:5], v[28:29]
	v_add_f64 v[169:170], v[169:170], v[229:230]
	v_add_f64 v[176:177], v[176:177], v[231:232]
	ds_load_b128 v[229:232], v1 offset:1600
	v_fma_f64 v[174:175], v[174:175], v[22:23], v[182:183]
	v_fma_f64 v[172:173], v[172:173], v[22:23], -v[24:25]
	scratch_load_b128 v[22:25], off, off offset:848
	v_add_f64 v[169:170], v[169:170], v[235:236]
	v_add_f64 v[176:177], v[176:177], v[233:234]
	v_fma_f64 v[233:234], v[4:5], v[26:27], v[237:238]
	v_fma_f64 v[235:236], v[2:3], v[26:27], -v[28:29]
	scratch_load_b128 v[26:29], off, off offset:864
	ds_load_b128 v[2:5], v1 offset:1616
	s_waitcnt vmcnt(9) lgkmcnt(1)
	v_mul_f64 v[182:183], v[229:230], v[32:33]
	v_mul_f64 v[32:33], v[231:232], v[32:33]
	s_waitcnt vmcnt(8) lgkmcnt(0)
	v_mul_f64 v[237:238], v[2:3], v[36:37]
	v_mul_f64 v[36:37], v[4:5], v[36:37]
	v_add_f64 v[169:170], v[169:170], v[172:173]
	v_add_f64 v[176:177], v[176:177], v[174:175]
	ds_load_b128 v[172:175], v1 offset:1632
	v_fma_f64 v[182:183], v[231:232], v[30:31], v[182:183]
	v_fma_f64 v[30:31], v[229:230], v[30:31], -v[32:33]
	v_fma_f64 v[229:230], v[4:5], v[34:35], v[237:238]
	v_fma_f64 v[34:35], v[2:3], v[34:35], -v[36:37]
	v_add_f64 v[32:33], v[169:170], v[235:236]
	v_add_f64 v[169:170], v[176:177], v[233:234]
	s_waitcnt vmcnt(7) lgkmcnt(0)
	v_mul_f64 v[176:177], v[172:173], v[180:181]
	v_mul_f64 v[180:181], v[174:175], v[180:181]
	s_delay_alu instid0(VALU_DEP_4) | instskip(NEXT) | instid1(VALU_DEP_4)
	v_add_f64 v[36:37], v[32:33], v[30:31]
	v_add_f64 v[169:170], v[169:170], v[182:183]
	ds_load_b128 v[2:5], v1 offset:1648
	ds_load_b128 v[30:33], v1 offset:1664
	v_fma_f64 v[174:175], v[174:175], v[178:179], v[176:177]
	v_fma_f64 v[172:173], v[172:173], v[178:179], -v[180:181]
	s_waitcnt vmcnt(6) lgkmcnt(1)
	v_mul_f64 v[182:183], v[2:3], v[40:41]
	v_mul_f64 v[40:41], v[4:5], v[40:41]
	v_add_f64 v[34:35], v[36:37], v[34:35]
	v_add_f64 v[36:37], v[169:170], v[229:230]
	s_waitcnt vmcnt(5) lgkmcnt(0)
	v_mul_f64 v[169:170], v[30:31], v[8:9]
	v_mul_f64 v[8:9], v[32:33], v[8:9]
	v_fma_f64 v[176:177], v[4:5], v[38:39], v[182:183]
	v_fma_f64 v[38:39], v[2:3], v[38:39], -v[40:41]
	v_add_f64 v[40:41], v[34:35], v[172:173]
	v_add_f64 v[172:173], v[36:37], v[174:175]
	ds_load_b128 v[2:5], v1 offset:1680
	ds_load_b128 v[34:37], v1 offset:1696
	v_fma_f64 v[32:33], v[32:33], v[6:7], v[169:170]
	v_fma_f64 v[6:7], v[30:31], v[6:7], -v[8:9]
	s_waitcnt vmcnt(4) lgkmcnt(1)
	v_mul_f64 v[174:175], v[2:3], v[12:13]
	v_mul_f64 v[12:13], v[4:5], v[12:13]
	v_add_f64 v[8:9], v[40:41], v[38:39]
	v_add_f64 v[30:31], v[172:173], v[176:177]
	s_waitcnt vmcnt(3) lgkmcnt(0)
	v_mul_f64 v[38:39], v[34:35], v[16:17]
	v_mul_f64 v[16:17], v[36:37], v[16:17]
	v_fma_f64 v[40:41], v[4:5], v[10:11], v[174:175]
	v_fma_f64 v[10:11], v[2:3], v[10:11], -v[12:13]
	v_add_f64 v[12:13], v[8:9], v[6:7]
	v_add_f64 v[30:31], v[30:31], v[32:33]
	ds_load_b128 v[2:5], v1 offset:1712
	ds_load_b128 v[6:9], v1 offset:1728
	v_fma_f64 v[36:37], v[36:37], v[14:15], v[38:39]
	v_fma_f64 v[14:15], v[34:35], v[14:15], -v[16:17]
	s_waitcnt vmcnt(2) lgkmcnt(1)
	v_mul_f64 v[32:33], v[2:3], v[20:21]
	v_mul_f64 v[20:21], v[4:5], v[20:21]
	s_waitcnt vmcnt(1) lgkmcnt(0)
	v_mul_f64 v[16:17], v[6:7], v[24:25]
	v_mul_f64 v[24:25], v[8:9], v[24:25]
	v_add_f64 v[10:11], v[12:13], v[10:11]
	v_add_f64 v[12:13], v[30:31], v[40:41]
	v_fma_f64 v[30:31], v[4:5], v[18:19], v[32:33]
	v_fma_f64 v[18:19], v[2:3], v[18:19], -v[20:21]
	ds_load_b128 v[2:5], v1 offset:1744
	v_fma_f64 v[8:9], v[8:9], v[22:23], v[16:17]
	v_fma_f64 v[6:7], v[6:7], v[22:23], -v[24:25]
	v_add_f64 v[10:11], v[10:11], v[14:15]
	v_add_f64 v[12:13], v[12:13], v[36:37]
	s_waitcnt vmcnt(0) lgkmcnt(0)
	v_mul_f64 v[14:15], v[2:3], v[28:29]
	v_mul_f64 v[20:21], v[4:5], v[28:29]
	s_delay_alu instid0(VALU_DEP_4) | instskip(NEXT) | instid1(VALU_DEP_4)
	v_add_f64 v[10:11], v[10:11], v[18:19]
	v_add_f64 v[12:13], v[12:13], v[30:31]
	s_delay_alu instid0(VALU_DEP_4) | instskip(NEXT) | instid1(VALU_DEP_4)
	v_fma_f64 v[4:5], v[4:5], v[26:27], v[14:15]
	v_fma_f64 v[2:3], v[2:3], v[26:27], -v[20:21]
	s_delay_alu instid0(VALU_DEP_4) | instskip(NEXT) | instid1(VALU_DEP_4)
	v_add_f64 v[6:7], v[10:11], v[6:7]
	v_add_f64 v[8:9], v[12:13], v[8:9]
	s_delay_alu instid0(VALU_DEP_2) | instskip(NEXT) | instid1(VALU_DEP_2)
	v_add_f64 v[2:3], v[6:7], v[2:3]
	v_add_f64 v[4:5], v[8:9], v[4:5]
	s_delay_alu instid0(VALU_DEP_2) | instskip(NEXT) | instid1(VALU_DEP_2)
	v_add_f64 v[2:3], v[42:43], -v[2:3]
	v_add_f64 v[4:5], v[44:45], -v[4:5]
	scratch_store_b128 off, v[2:5], off offset:112
	v_cmpx_lt_u32_e32 6, v156
	s_cbranch_execz .LBB54_331
; %bb.330:
	scratch_load_b128 v[5:8], v205, off
	v_mov_b32_e32 v2, v1
	v_mov_b32_e32 v3, v1
	;; [unrolled: 1-line block ×3, first 2 shown]
	scratch_store_b128 off, v[1:4], off offset:96
	s_waitcnt vmcnt(0)
	ds_store_b128 v211, v[5:8]
.LBB54_331:
	s_or_b32 exec_lo, exec_lo, s2
	s_waitcnt lgkmcnt(0)
	s_waitcnt_vscnt null, 0x0
	s_barrier
	buffer_gl0_inv
	s_clause 0x8
	scratch_load_b128 v[2:5], off, off offset:112
	scratch_load_b128 v[6:9], off, off offset:128
	;; [unrolled: 1-line block ×9, first 2 shown]
	ds_load_b128 v[42:45], v1 offset:992
	ds_load_b128 v[38:41], v1 offset:1008
	s_clause 0x1
	scratch_load_b128 v[172:175], off, off offset:96
	scratch_load_b128 v[176:179], off, off offset:256
	s_mov_b32 s2, exec_lo
	ds_load_b128 v[180:183], v1 offset:1040
	s_waitcnt vmcnt(10) lgkmcnt(2)
	v_mul_f64 v[169:170], v[44:45], v[4:5]
	v_mul_f64 v[4:5], v[42:43], v[4:5]
	s_waitcnt vmcnt(9) lgkmcnt(1)
	v_mul_f64 v[229:230], v[38:39], v[8:9]
	v_mul_f64 v[8:9], v[40:41], v[8:9]
	s_delay_alu instid0(VALU_DEP_4) | instskip(NEXT) | instid1(VALU_DEP_4)
	v_fma_f64 v[169:170], v[42:43], v[2:3], -v[169:170]
	v_fma_f64 v[231:232], v[44:45], v[2:3], v[4:5]
	ds_load_b128 v[2:5], v1 offset:1024
	scratch_load_b128 v[42:45], off, off offset:272
	v_fma_f64 v[40:41], v[40:41], v[6:7], v[229:230]
	v_fma_f64 v[38:39], v[38:39], v[6:7], -v[8:9]
	scratch_load_b128 v[6:9], off, off offset:288
	s_waitcnt vmcnt(10) lgkmcnt(0)
	v_mul_f64 v[233:234], v[2:3], v[12:13]
	v_mul_f64 v[12:13], v[4:5], v[12:13]
	v_add_f64 v[169:170], v[169:170], 0
	v_add_f64 v[229:230], v[231:232], 0
	s_waitcnt vmcnt(9)
	v_mul_f64 v[231:232], v[180:181], v[16:17]
	v_mul_f64 v[16:17], v[182:183], v[16:17]
	v_fma_f64 v[233:234], v[4:5], v[10:11], v[233:234]
	v_fma_f64 v[235:236], v[2:3], v[10:11], -v[12:13]
	ds_load_b128 v[2:5], v1 offset:1056
	scratch_load_b128 v[10:13], off, off offset:304
	v_add_f64 v[169:170], v[169:170], v[38:39]
	v_add_f64 v[229:230], v[229:230], v[40:41]
	ds_load_b128 v[38:41], v1 offset:1072
	v_fma_f64 v[182:183], v[182:183], v[14:15], v[231:232]
	v_fma_f64 v[180:181], v[180:181], v[14:15], -v[16:17]
	scratch_load_b128 v[14:17], off, off offset:320
	s_waitcnt vmcnt(10) lgkmcnt(1)
	v_mul_f64 v[237:238], v[2:3], v[20:21]
	v_mul_f64 v[20:21], v[4:5], v[20:21]
	s_waitcnt vmcnt(9) lgkmcnt(0)
	v_mul_f64 v[231:232], v[38:39], v[24:25]
	v_mul_f64 v[24:25], v[40:41], v[24:25]
	v_add_f64 v[169:170], v[169:170], v[235:236]
	v_add_f64 v[229:230], v[229:230], v[233:234]
	v_fma_f64 v[233:234], v[4:5], v[18:19], v[237:238]
	v_fma_f64 v[235:236], v[2:3], v[18:19], -v[20:21]
	ds_load_b128 v[2:5], v1 offset:1088
	scratch_load_b128 v[18:21], off, off offset:336
	v_fma_f64 v[40:41], v[40:41], v[22:23], v[231:232]
	v_fma_f64 v[38:39], v[38:39], v[22:23], -v[24:25]
	scratch_load_b128 v[22:25], off, off offset:352
	v_add_f64 v[169:170], v[169:170], v[180:181]
	v_add_f64 v[229:230], v[229:230], v[182:183]
	ds_load_b128 v[180:183], v1 offset:1104
	s_waitcnt vmcnt(10) lgkmcnt(1)
	v_mul_f64 v[237:238], v[2:3], v[28:29]
	v_mul_f64 v[28:29], v[4:5], v[28:29]
	s_waitcnt vmcnt(9) lgkmcnt(0)
	v_mul_f64 v[231:232], v[180:181], v[32:33]
	v_mul_f64 v[32:33], v[182:183], v[32:33]
	v_add_f64 v[169:170], v[169:170], v[235:236]
	v_add_f64 v[229:230], v[229:230], v[233:234]
	v_fma_f64 v[233:234], v[4:5], v[26:27], v[237:238]
	v_fma_f64 v[235:236], v[2:3], v[26:27], -v[28:29]
	ds_load_b128 v[2:5], v1 offset:1120
	scratch_load_b128 v[26:29], off, off offset:368
	v_fma_f64 v[182:183], v[182:183], v[30:31], v[231:232]
	v_fma_f64 v[180:181], v[180:181], v[30:31], -v[32:33]
	scratch_load_b128 v[30:33], off, off offset:384
	v_add_f64 v[169:170], v[169:170], v[38:39]
	v_add_f64 v[229:230], v[229:230], v[40:41]
	ds_load_b128 v[38:41], v1 offset:1136
	s_waitcnt vmcnt(10) lgkmcnt(1)
	v_mul_f64 v[237:238], v[2:3], v[36:37]
	v_mul_f64 v[36:37], v[4:5], v[36:37]
	s_waitcnt vmcnt(8) lgkmcnt(0)
	v_mul_f64 v[231:232], v[38:39], v[178:179]
	v_add_f64 v[169:170], v[169:170], v[235:236]
	v_add_f64 v[229:230], v[229:230], v[233:234]
	v_mul_f64 v[233:234], v[40:41], v[178:179]
	v_fma_f64 v[235:236], v[4:5], v[34:35], v[237:238]
	v_fma_f64 v[237:238], v[2:3], v[34:35], -v[36:37]
	ds_load_b128 v[2:5], v1 offset:1152
	scratch_load_b128 v[34:37], off, off offset:400
	v_fma_f64 v[231:232], v[40:41], v[176:177], v[231:232]
	v_add_f64 v[169:170], v[169:170], v[180:181]
	v_add_f64 v[182:183], v[229:230], v[182:183]
	ds_load_b128 v[178:181], v1 offset:1168
	v_fma_f64 v[176:177], v[38:39], v[176:177], -v[233:234]
	scratch_load_b128 v[38:41], off, off offset:416
	s_waitcnt vmcnt(9) lgkmcnt(1)
	v_mul_f64 v[229:230], v[2:3], v[44:45]
	v_mul_f64 v[44:45], v[4:5], v[44:45]
	s_waitcnt vmcnt(8) lgkmcnt(0)
	v_mul_f64 v[233:234], v[178:179], v[8:9]
	v_mul_f64 v[8:9], v[180:181], v[8:9]
	v_add_f64 v[169:170], v[169:170], v[237:238]
	v_add_f64 v[182:183], v[182:183], v[235:236]
	v_fma_f64 v[235:236], v[4:5], v[42:43], v[229:230]
	v_fma_f64 v[237:238], v[2:3], v[42:43], -v[44:45]
	ds_load_b128 v[2:5], v1 offset:1184
	scratch_load_b128 v[42:45], off, off offset:432
	v_fma_f64 v[180:181], v[180:181], v[6:7], v[233:234]
	v_fma_f64 v[178:179], v[178:179], v[6:7], -v[8:9]
	scratch_load_b128 v[6:9], off, off offset:448
	v_add_f64 v[169:170], v[169:170], v[176:177]
	v_add_f64 v[176:177], v[182:183], v[231:232]
	ds_load_b128 v[229:232], v1 offset:1200
	s_waitcnt vmcnt(9) lgkmcnt(1)
	v_mul_f64 v[182:183], v[2:3], v[12:13]
	v_mul_f64 v[12:13], v[4:5], v[12:13]
	s_waitcnt vmcnt(8) lgkmcnt(0)
	v_mul_f64 v[233:234], v[229:230], v[16:17]
	v_mul_f64 v[16:17], v[231:232], v[16:17]
	v_add_f64 v[169:170], v[169:170], v[237:238]
	v_add_f64 v[176:177], v[176:177], v[235:236]
	v_fma_f64 v[182:183], v[4:5], v[10:11], v[182:183]
	v_fma_f64 v[235:236], v[2:3], v[10:11], -v[12:13]
	ds_load_b128 v[2:5], v1 offset:1216
	scratch_load_b128 v[10:13], off, off offset:464
	v_fma_f64 v[231:232], v[231:232], v[14:15], v[233:234]
	v_fma_f64 v[229:230], v[229:230], v[14:15], -v[16:17]
	scratch_load_b128 v[14:17], off, off offset:480
	v_add_f64 v[169:170], v[169:170], v[178:179]
	v_add_f64 v[180:181], v[176:177], v[180:181]
	ds_load_b128 v[176:179], v1 offset:1232
	;; [unrolled: 18-line block ×4, first 2 shown]
	s_waitcnt vmcnt(9) lgkmcnt(1)
	v_mul_f64 v[237:238], v[2:3], v[36:37]
	v_mul_f64 v[36:37], v[4:5], v[36:37]
	v_add_f64 v[169:170], v[169:170], v[235:236]
	v_add_f64 v[229:230], v[229:230], v[231:232]
	s_waitcnt vmcnt(8) lgkmcnt(0)
	v_mul_f64 v[231:232], v[176:177], v[40:41]
	v_mul_f64 v[40:41], v[178:179], v[40:41]
	v_fma_f64 v[233:234], v[4:5], v[34:35], v[237:238]
	v_fma_f64 v[235:236], v[2:3], v[34:35], -v[36:37]
	ds_load_b128 v[2:5], v1 offset:1312
	scratch_load_b128 v[34:37], off, off offset:560
	v_add_f64 v[169:170], v[169:170], v[180:181]
	v_add_f64 v[229:230], v[229:230], v[182:183]
	ds_load_b128 v[180:183], v1 offset:1328
	s_waitcnt vmcnt(8) lgkmcnt(1)
	v_mul_f64 v[237:238], v[2:3], v[44:45]
	v_mul_f64 v[44:45], v[4:5], v[44:45]
	v_fma_f64 v[178:179], v[178:179], v[38:39], v[231:232]
	v_fma_f64 v[176:177], v[176:177], v[38:39], -v[40:41]
	scratch_load_b128 v[38:41], off, off offset:576
	s_waitcnt vmcnt(8) lgkmcnt(0)
	v_mul_f64 v[231:232], v[180:181], v[8:9]
	v_mul_f64 v[8:9], v[182:183], v[8:9]
	v_add_f64 v[169:170], v[169:170], v[235:236]
	v_add_f64 v[229:230], v[229:230], v[233:234]
	v_fma_f64 v[233:234], v[4:5], v[42:43], v[237:238]
	v_fma_f64 v[235:236], v[2:3], v[42:43], -v[44:45]
	ds_load_b128 v[2:5], v1 offset:1344
	scratch_load_b128 v[42:45], off, off offset:592
	v_fma_f64 v[182:183], v[182:183], v[6:7], v[231:232]
	v_fma_f64 v[180:181], v[180:181], v[6:7], -v[8:9]
	scratch_load_b128 v[6:9], off, off offset:608
	v_add_f64 v[169:170], v[169:170], v[176:177]
	v_add_f64 v[229:230], v[229:230], v[178:179]
	ds_load_b128 v[176:179], v1 offset:1360
	s_waitcnt vmcnt(9) lgkmcnt(1)
	v_mul_f64 v[237:238], v[2:3], v[12:13]
	v_mul_f64 v[12:13], v[4:5], v[12:13]
	s_waitcnt vmcnt(8) lgkmcnt(0)
	v_mul_f64 v[231:232], v[176:177], v[16:17]
	v_mul_f64 v[16:17], v[178:179], v[16:17]
	v_add_f64 v[169:170], v[169:170], v[235:236]
	v_add_f64 v[229:230], v[229:230], v[233:234]
	v_fma_f64 v[233:234], v[4:5], v[10:11], v[237:238]
	v_fma_f64 v[235:236], v[2:3], v[10:11], -v[12:13]
	ds_load_b128 v[2:5], v1 offset:1376
	scratch_load_b128 v[10:13], off, off offset:624
	v_fma_f64 v[178:179], v[178:179], v[14:15], v[231:232]
	v_fma_f64 v[176:177], v[176:177], v[14:15], -v[16:17]
	scratch_load_b128 v[14:17], off, off offset:640
	v_add_f64 v[169:170], v[169:170], v[180:181]
	v_add_f64 v[229:230], v[229:230], v[182:183]
	ds_load_b128 v[180:183], v1 offset:1392
	s_waitcnt vmcnt(9) lgkmcnt(1)
	v_mul_f64 v[237:238], v[2:3], v[20:21]
	v_mul_f64 v[20:21], v[4:5], v[20:21]
	;; [unrolled: 18-line block ×9, first 2 shown]
	s_waitcnt vmcnt(8) lgkmcnt(0)
	v_mul_f64 v[231:232], v[176:177], v[40:41]
	v_mul_f64 v[40:41], v[178:179], v[40:41]
	v_add_f64 v[169:170], v[169:170], v[235:236]
	v_add_f64 v[229:230], v[229:230], v[233:234]
	v_fma_f64 v[233:234], v[4:5], v[34:35], v[237:238]
	v_fma_f64 v[235:236], v[2:3], v[34:35], -v[36:37]
	ds_load_b128 v[2:5], v1 offset:1632
	ds_load_b128 v[34:37], v1 offset:1648
	v_fma_f64 v[178:179], v[178:179], v[38:39], v[231:232]
	v_fma_f64 v[38:39], v[176:177], v[38:39], -v[40:41]
	v_add_f64 v[169:170], v[169:170], v[180:181]
	v_add_f64 v[180:181], v[229:230], v[182:183]
	s_waitcnt vmcnt(7) lgkmcnt(1)
	v_mul_f64 v[182:183], v[2:3], v[44:45]
	v_mul_f64 v[44:45], v[4:5], v[44:45]
	s_waitcnt vmcnt(6) lgkmcnt(0)
	v_mul_f64 v[176:177], v[34:35], v[8:9]
	v_mul_f64 v[8:9], v[36:37], v[8:9]
	v_add_f64 v[40:41], v[169:170], v[235:236]
	v_add_f64 v[169:170], v[180:181], v[233:234]
	v_fma_f64 v[180:181], v[4:5], v[42:43], v[182:183]
	v_fma_f64 v[42:43], v[2:3], v[42:43], -v[44:45]
	v_fma_f64 v[36:37], v[36:37], v[6:7], v[176:177]
	v_fma_f64 v[6:7], v[34:35], v[6:7], -v[8:9]
	v_add_f64 v[44:45], v[40:41], v[38:39]
	v_add_f64 v[169:170], v[169:170], v[178:179]
	ds_load_b128 v[2:5], v1 offset:1664
	ds_load_b128 v[38:41], v1 offset:1680
	s_waitcnt vmcnt(5) lgkmcnt(1)
	v_mul_f64 v[178:179], v[2:3], v[12:13]
	v_mul_f64 v[12:13], v[4:5], v[12:13]
	v_add_f64 v[8:9], v[44:45], v[42:43]
	v_add_f64 v[34:35], v[169:170], v[180:181]
	s_waitcnt vmcnt(4) lgkmcnt(0)
	v_mul_f64 v[42:43], v[38:39], v[16:17]
	v_mul_f64 v[16:17], v[40:41], v[16:17]
	v_fma_f64 v[44:45], v[4:5], v[10:11], v[178:179]
	v_fma_f64 v[10:11], v[2:3], v[10:11], -v[12:13]
	v_add_f64 v[12:13], v[8:9], v[6:7]
	v_add_f64 v[34:35], v[34:35], v[36:37]
	ds_load_b128 v[2:5], v1 offset:1696
	ds_load_b128 v[6:9], v1 offset:1712
	v_fma_f64 v[40:41], v[40:41], v[14:15], v[42:43]
	v_fma_f64 v[14:15], v[38:39], v[14:15], -v[16:17]
	s_waitcnt vmcnt(3) lgkmcnt(1)
	v_mul_f64 v[36:37], v[2:3], v[20:21]
	v_mul_f64 v[20:21], v[4:5], v[20:21]
	s_waitcnt vmcnt(2) lgkmcnt(0)
	v_mul_f64 v[16:17], v[6:7], v[24:25]
	v_mul_f64 v[24:25], v[8:9], v[24:25]
	v_add_f64 v[10:11], v[12:13], v[10:11]
	v_add_f64 v[12:13], v[34:35], v[44:45]
	v_fma_f64 v[34:35], v[4:5], v[18:19], v[36:37]
	v_fma_f64 v[18:19], v[2:3], v[18:19], -v[20:21]
	v_fma_f64 v[8:9], v[8:9], v[22:23], v[16:17]
	v_fma_f64 v[6:7], v[6:7], v[22:23], -v[24:25]
	v_add_f64 v[14:15], v[10:11], v[14:15]
	v_add_f64 v[20:21], v[12:13], v[40:41]
	ds_load_b128 v[2:5], v1 offset:1728
	ds_load_b128 v[10:13], v1 offset:1744
	s_waitcnt vmcnt(1) lgkmcnt(1)
	v_mul_f64 v[36:37], v[2:3], v[28:29]
	v_mul_f64 v[28:29], v[4:5], v[28:29]
	v_add_f64 v[14:15], v[14:15], v[18:19]
	v_add_f64 v[16:17], v[20:21], v[34:35]
	s_waitcnt vmcnt(0) lgkmcnt(0)
	v_mul_f64 v[18:19], v[10:11], v[32:33]
	v_mul_f64 v[20:21], v[12:13], v[32:33]
	v_fma_f64 v[4:5], v[4:5], v[26:27], v[36:37]
	v_fma_f64 v[1:2], v[2:3], v[26:27], -v[28:29]
	v_add_f64 v[6:7], v[14:15], v[6:7]
	v_add_f64 v[8:9], v[16:17], v[8:9]
	v_fma_f64 v[12:13], v[12:13], v[30:31], v[18:19]
	v_fma_f64 v[10:11], v[10:11], v[30:31], -v[20:21]
	s_delay_alu instid0(VALU_DEP_4) | instskip(NEXT) | instid1(VALU_DEP_4)
	v_add_f64 v[1:2], v[6:7], v[1:2]
	v_add_f64 v[3:4], v[8:9], v[4:5]
	s_delay_alu instid0(VALU_DEP_2) | instskip(NEXT) | instid1(VALU_DEP_2)
	v_add_f64 v[1:2], v[1:2], v[10:11]
	v_add_f64 v[3:4], v[3:4], v[12:13]
	s_delay_alu instid0(VALU_DEP_2) | instskip(NEXT) | instid1(VALU_DEP_2)
	v_add_f64 v[1:2], v[172:173], -v[1:2]
	v_add_f64 v[3:4], v[174:175], -v[3:4]
	scratch_store_b128 off, v[1:4], off offset:96
	v_cmpx_lt_u32_e32 5, v156
	s_cbranch_execz .LBB54_333
; %bb.332:
	scratch_load_b128 v[1:4], v206, off
	v_mov_b32_e32 v5, 0
	s_delay_alu instid0(VALU_DEP_1)
	v_mov_b32_e32 v6, v5
	v_mov_b32_e32 v7, v5
	;; [unrolled: 1-line block ×3, first 2 shown]
	scratch_store_b128 off, v[5:8], off offset:80
	s_waitcnt vmcnt(0)
	ds_store_b128 v211, v[1:4]
.LBB54_333:
	s_or_b32 exec_lo, exec_lo, s2
	s_waitcnt lgkmcnt(0)
	s_waitcnt_vscnt null, 0x0
	s_barrier
	buffer_gl0_inv
	s_clause 0x7
	scratch_load_b128 v[2:5], off, off offset:96
	scratch_load_b128 v[6:9], off, off offset:112
	;; [unrolled: 1-line block ×8, first 2 shown]
	v_mov_b32_e32 v1, 0
	s_mov_b32 s2, exec_lo
	ds_load_b128 v[38:41], v1 offset:976
	s_clause 0x1
	scratch_load_b128 v[34:37], off, off offset:224
	scratch_load_b128 v[42:45], off, off offset:80
	ds_load_b128 v[172:175], v1 offset:992
	scratch_load_b128 v[176:179], off, off offset:240
	ds_load_b128 v[180:183], v1 offset:1024
	s_waitcnt vmcnt(10) lgkmcnt(2)
	v_mul_f64 v[169:170], v[40:41], v[4:5]
	v_mul_f64 v[4:5], v[38:39], v[4:5]
	s_delay_alu instid0(VALU_DEP_2) | instskip(NEXT) | instid1(VALU_DEP_2)
	v_fma_f64 v[169:170], v[38:39], v[2:3], -v[169:170]
	v_fma_f64 v[231:232], v[40:41], v[2:3], v[4:5]
	ds_load_b128 v[2:5], v1 offset:1008
	s_waitcnt vmcnt(9) lgkmcnt(2)
	v_mul_f64 v[229:230], v[172:173], v[8:9]
	v_mul_f64 v[8:9], v[174:175], v[8:9]
	scratch_load_b128 v[38:41], off, off offset:256
	s_waitcnt vmcnt(9) lgkmcnt(0)
	v_mul_f64 v[233:234], v[2:3], v[12:13]
	v_mul_f64 v[12:13], v[4:5], v[12:13]
	v_add_f64 v[169:170], v[169:170], 0
	v_fma_f64 v[174:175], v[174:175], v[6:7], v[229:230]
	v_fma_f64 v[172:173], v[172:173], v[6:7], -v[8:9]
	v_add_f64 v[229:230], v[231:232], 0
	scratch_load_b128 v[6:9], off, off offset:272
	v_fma_f64 v[233:234], v[4:5], v[10:11], v[233:234]
	v_fma_f64 v[235:236], v[2:3], v[10:11], -v[12:13]
	scratch_load_b128 v[10:13], off, off offset:288
	ds_load_b128 v[2:5], v1 offset:1040
	s_waitcnt vmcnt(10)
	v_mul_f64 v[231:232], v[180:181], v[16:17]
	v_mul_f64 v[16:17], v[182:183], v[16:17]
	v_add_f64 v[169:170], v[169:170], v[172:173]
	v_add_f64 v[229:230], v[229:230], v[174:175]
	ds_load_b128 v[172:175], v1 offset:1056
	s_waitcnt vmcnt(9) lgkmcnt(1)
	v_mul_f64 v[237:238], v[2:3], v[20:21]
	v_mul_f64 v[20:21], v[4:5], v[20:21]
	v_fma_f64 v[182:183], v[182:183], v[14:15], v[231:232]
	v_fma_f64 v[180:181], v[180:181], v[14:15], -v[16:17]
	scratch_load_b128 v[14:17], off, off offset:304
	v_add_f64 v[169:170], v[169:170], v[235:236]
	v_add_f64 v[229:230], v[229:230], v[233:234]
	v_fma_f64 v[233:234], v[4:5], v[18:19], v[237:238]
	v_fma_f64 v[235:236], v[2:3], v[18:19], -v[20:21]
	scratch_load_b128 v[18:21], off, off offset:320
	ds_load_b128 v[2:5], v1 offset:1072
	s_waitcnt vmcnt(10) lgkmcnt(1)
	v_mul_f64 v[231:232], v[172:173], v[24:25]
	v_mul_f64 v[24:25], v[174:175], v[24:25]
	s_waitcnt vmcnt(9) lgkmcnt(0)
	v_mul_f64 v[237:238], v[2:3], v[28:29]
	v_mul_f64 v[28:29], v[4:5], v[28:29]
	v_add_f64 v[169:170], v[169:170], v[180:181]
	v_add_f64 v[229:230], v[229:230], v[182:183]
	ds_load_b128 v[180:183], v1 offset:1088
	v_fma_f64 v[174:175], v[174:175], v[22:23], v[231:232]
	v_fma_f64 v[172:173], v[172:173], v[22:23], -v[24:25]
	scratch_load_b128 v[22:25], off, off offset:336
	v_add_f64 v[169:170], v[169:170], v[235:236]
	v_add_f64 v[229:230], v[229:230], v[233:234]
	v_fma_f64 v[233:234], v[4:5], v[26:27], v[237:238]
	v_fma_f64 v[235:236], v[2:3], v[26:27], -v[28:29]
	scratch_load_b128 v[26:29], off, off offset:352
	ds_load_b128 v[2:5], v1 offset:1104
	s_waitcnt vmcnt(10) lgkmcnt(1)
	v_mul_f64 v[231:232], v[180:181], v[32:33]
	v_mul_f64 v[32:33], v[182:183], v[32:33]
	s_waitcnt vmcnt(9) lgkmcnt(0)
	v_mul_f64 v[237:238], v[2:3], v[36:37]
	v_mul_f64 v[36:37], v[4:5], v[36:37]
	v_add_f64 v[169:170], v[169:170], v[172:173]
	v_add_f64 v[229:230], v[229:230], v[174:175]
	ds_load_b128 v[172:175], v1 offset:1120
	v_fma_f64 v[182:183], v[182:183], v[30:31], v[231:232]
	v_fma_f64 v[180:181], v[180:181], v[30:31], -v[32:33]
	scratch_load_b128 v[30:33], off, off offset:368
	v_add_f64 v[169:170], v[169:170], v[235:236]
	v_add_f64 v[229:230], v[229:230], v[233:234]
	v_fma_f64 v[235:236], v[4:5], v[34:35], v[237:238]
	v_fma_f64 v[237:238], v[2:3], v[34:35], -v[36:37]
	scratch_load_b128 v[34:37], off, off offset:384
	ds_load_b128 v[2:5], v1 offset:1136
	s_waitcnt vmcnt(9) lgkmcnt(1)
	v_mul_f64 v[231:232], v[172:173], v[178:179]
	v_mul_f64 v[233:234], v[174:175], v[178:179]
	v_add_f64 v[169:170], v[169:170], v[180:181]
	v_add_f64 v[182:183], v[229:230], v[182:183]
	ds_load_b128 v[178:181], v1 offset:1152
	v_fma_f64 v[231:232], v[174:175], v[176:177], v[231:232]
	v_fma_f64 v[176:177], v[172:173], v[176:177], -v[233:234]
	scratch_load_b128 v[172:175], off, off offset:400
	s_waitcnt vmcnt(9) lgkmcnt(1)
	v_mul_f64 v[229:230], v[2:3], v[40:41]
	v_mul_f64 v[40:41], v[4:5], v[40:41]
	v_add_f64 v[169:170], v[169:170], v[237:238]
	v_add_f64 v[182:183], v[182:183], v[235:236]
	s_delay_alu instid0(VALU_DEP_4) | instskip(NEXT) | instid1(VALU_DEP_4)
	v_fma_f64 v[235:236], v[4:5], v[38:39], v[229:230]
	v_fma_f64 v[237:238], v[2:3], v[38:39], -v[40:41]
	scratch_load_b128 v[38:41], off, off offset:416
	ds_load_b128 v[2:5], v1 offset:1168
	s_waitcnt vmcnt(9) lgkmcnt(1)
	v_mul_f64 v[233:234], v[178:179], v[8:9]
	v_mul_f64 v[8:9], v[180:181], v[8:9]
	v_add_f64 v[169:170], v[169:170], v[176:177]
	v_add_f64 v[176:177], v[182:183], v[231:232]
	s_waitcnt vmcnt(8) lgkmcnt(0)
	v_mul_f64 v[182:183], v[2:3], v[12:13]
	v_mul_f64 v[12:13], v[4:5], v[12:13]
	ds_load_b128 v[229:232], v1 offset:1184
	v_fma_f64 v[180:181], v[180:181], v[6:7], v[233:234]
	v_fma_f64 v[178:179], v[178:179], v[6:7], -v[8:9]
	scratch_load_b128 v[6:9], off, off offset:432
	v_add_f64 v[169:170], v[169:170], v[237:238]
	v_add_f64 v[176:177], v[176:177], v[235:236]
	v_fma_f64 v[182:183], v[4:5], v[10:11], v[182:183]
	v_fma_f64 v[235:236], v[2:3], v[10:11], -v[12:13]
	scratch_load_b128 v[10:13], off, off offset:448
	ds_load_b128 v[2:5], v1 offset:1200
	s_waitcnt vmcnt(9) lgkmcnt(1)
	v_mul_f64 v[233:234], v[229:230], v[16:17]
	v_mul_f64 v[16:17], v[231:232], v[16:17]
	s_waitcnt vmcnt(8) lgkmcnt(0)
	v_mul_f64 v[237:238], v[2:3], v[20:21]
	v_mul_f64 v[20:21], v[4:5], v[20:21]
	v_add_f64 v[169:170], v[169:170], v[178:179]
	v_add_f64 v[180:181], v[176:177], v[180:181]
	ds_load_b128 v[176:179], v1 offset:1216
	v_fma_f64 v[231:232], v[231:232], v[14:15], v[233:234]
	v_fma_f64 v[229:230], v[229:230], v[14:15], -v[16:17]
	scratch_load_b128 v[14:17], off, off offset:464
	v_add_f64 v[169:170], v[169:170], v[235:236]
	v_add_f64 v[180:181], v[180:181], v[182:183]
	v_fma_f64 v[235:236], v[4:5], v[18:19], v[237:238]
	v_fma_f64 v[237:238], v[2:3], v[18:19], -v[20:21]
	scratch_load_b128 v[18:21], off, off offset:480
	ds_load_b128 v[2:5], v1 offset:1232
	s_waitcnt vmcnt(9) lgkmcnt(1)
	v_mul_f64 v[233:234], v[176:177], v[24:25]
	v_mul_f64 v[24:25], v[178:179], v[24:25]
	v_add_f64 v[169:170], v[169:170], v[229:230]
	v_add_f64 v[229:230], v[180:181], v[231:232]
	s_waitcnt vmcnt(8) lgkmcnt(0)
	v_mul_f64 v[231:232], v[2:3], v[28:29]
	v_mul_f64 v[28:29], v[4:5], v[28:29]
	ds_load_b128 v[180:183], v1 offset:1248
	v_fma_f64 v[178:179], v[178:179], v[22:23], v[233:234]
	v_fma_f64 v[176:177], v[176:177], v[22:23], -v[24:25]
	scratch_load_b128 v[22:25], off, off offset:496
	v_add_f64 v[169:170], v[169:170], v[237:238]
	v_add_f64 v[229:230], v[229:230], v[235:236]
	v_fma_f64 v[231:232], v[4:5], v[26:27], v[231:232]
	v_fma_f64 v[235:236], v[2:3], v[26:27], -v[28:29]
	scratch_load_b128 v[26:29], off, off offset:512
	ds_load_b128 v[2:5], v1 offset:1264
	s_waitcnt vmcnt(9) lgkmcnt(1)
	v_mul_f64 v[233:234], v[180:181], v[32:33]
	v_mul_f64 v[32:33], v[182:183], v[32:33]
	s_waitcnt vmcnt(8) lgkmcnt(0)
	v_mul_f64 v[237:238], v[2:3], v[36:37]
	v_mul_f64 v[36:37], v[4:5], v[36:37]
	v_add_f64 v[169:170], v[169:170], v[176:177]
	v_add_f64 v[229:230], v[229:230], v[178:179]
	ds_load_b128 v[176:179], v1 offset:1280
	v_fma_f64 v[182:183], v[182:183], v[30:31], v[233:234]
	v_fma_f64 v[180:181], v[180:181], v[30:31], -v[32:33]
	scratch_load_b128 v[30:33], off, off offset:528
	v_fma_f64 v[233:234], v[4:5], v[34:35], v[237:238]
	v_add_f64 v[169:170], v[169:170], v[235:236]
	v_add_f64 v[229:230], v[229:230], v[231:232]
	v_fma_f64 v[235:236], v[2:3], v[34:35], -v[36:37]
	scratch_load_b128 v[34:37], off, off offset:544
	ds_load_b128 v[2:5], v1 offset:1296
	s_waitcnt vmcnt(9) lgkmcnt(1)
	v_mul_f64 v[231:232], v[176:177], v[174:175]
	v_mul_f64 v[174:175], v[178:179], v[174:175]
	s_waitcnt vmcnt(8) lgkmcnt(0)
	v_mul_f64 v[237:238], v[2:3], v[40:41]
	v_mul_f64 v[40:41], v[4:5], v[40:41]
	v_add_f64 v[169:170], v[169:170], v[180:181]
	v_add_f64 v[229:230], v[229:230], v[182:183]
	ds_load_b128 v[180:183], v1 offset:1312
	v_fma_f64 v[178:179], v[178:179], v[172:173], v[231:232]
	v_fma_f64 v[176:177], v[176:177], v[172:173], -v[174:175]
	scratch_load_b128 v[172:175], off, off offset:560
	v_add_f64 v[169:170], v[169:170], v[235:236]
	v_add_f64 v[229:230], v[229:230], v[233:234]
	v_fma_f64 v[233:234], v[4:5], v[38:39], v[237:238]
	v_fma_f64 v[235:236], v[2:3], v[38:39], -v[40:41]
	scratch_load_b128 v[38:41], off, off offset:576
	ds_load_b128 v[2:5], v1 offset:1328
	s_waitcnt vmcnt(9) lgkmcnt(1)
	v_mul_f64 v[231:232], v[180:181], v[8:9]
	v_mul_f64 v[8:9], v[182:183], v[8:9]
	s_waitcnt vmcnt(8) lgkmcnt(0)
	v_mul_f64 v[237:238], v[2:3], v[12:13]
	v_mul_f64 v[12:13], v[4:5], v[12:13]
	v_add_f64 v[169:170], v[169:170], v[176:177]
	v_add_f64 v[229:230], v[229:230], v[178:179]
	ds_load_b128 v[176:179], v1 offset:1344
	v_fma_f64 v[182:183], v[182:183], v[6:7], v[231:232]
	v_fma_f64 v[180:181], v[180:181], v[6:7], -v[8:9]
	scratch_load_b128 v[6:9], off, off offset:592
	v_add_f64 v[169:170], v[169:170], v[235:236]
	v_add_f64 v[229:230], v[229:230], v[233:234]
	v_fma_f64 v[233:234], v[4:5], v[10:11], v[237:238]
	;; [unrolled: 18-line block ×5, first 2 shown]
	v_fma_f64 v[237:238], v[2:3], v[34:35], -v[36:37]
	scratch_load_b128 v[34:37], off, off offset:704
	ds_load_b128 v[2:5], v1 offset:1456
	s_waitcnt vmcnt(9) lgkmcnt(1)
	v_mul_f64 v[231:232], v[180:181], v[174:175]
	v_mul_f64 v[233:234], v[182:183], v[174:175]
	v_add_f64 v[169:170], v[169:170], v[176:177]
	v_add_f64 v[178:179], v[229:230], v[178:179]
	s_waitcnt vmcnt(8) lgkmcnt(0)
	v_mul_f64 v[229:230], v[2:3], v[40:41]
	v_mul_f64 v[40:41], v[4:5], v[40:41]
	ds_load_b128 v[174:177], v1 offset:1472
	v_fma_f64 v[182:183], v[182:183], v[172:173], v[231:232]
	v_fma_f64 v[172:173], v[180:181], v[172:173], -v[233:234]
	v_add_f64 v[169:170], v[169:170], v[237:238]
	v_add_f64 v[231:232], v[178:179], v[235:236]
	scratch_load_b128 v[178:181], off, off offset:720
	v_fma_f64 v[235:236], v[4:5], v[38:39], v[229:230]
	v_fma_f64 v[237:238], v[2:3], v[38:39], -v[40:41]
	scratch_load_b128 v[38:41], off, off offset:736
	ds_load_b128 v[2:5], v1 offset:1488
	s_waitcnt vmcnt(9) lgkmcnt(1)
	v_mul_f64 v[233:234], v[174:175], v[8:9]
	v_mul_f64 v[8:9], v[176:177], v[8:9]
	v_add_f64 v[169:170], v[169:170], v[172:173]
	v_add_f64 v[172:173], v[231:232], v[182:183]
	s_waitcnt vmcnt(8) lgkmcnt(0)
	v_mul_f64 v[182:183], v[2:3], v[12:13]
	v_mul_f64 v[12:13], v[4:5], v[12:13]
	ds_load_b128 v[229:232], v1 offset:1504
	v_fma_f64 v[176:177], v[176:177], v[6:7], v[233:234]
	v_fma_f64 v[174:175], v[174:175], v[6:7], -v[8:9]
	scratch_load_b128 v[6:9], off, off offset:752
	v_add_f64 v[169:170], v[169:170], v[237:238]
	v_add_f64 v[172:173], v[172:173], v[235:236]
	v_fma_f64 v[182:183], v[4:5], v[10:11], v[182:183]
	v_fma_f64 v[235:236], v[2:3], v[10:11], -v[12:13]
	scratch_load_b128 v[10:13], off, off offset:768
	ds_load_b128 v[2:5], v1 offset:1520
	s_waitcnt vmcnt(9) lgkmcnt(1)
	v_mul_f64 v[233:234], v[229:230], v[16:17]
	v_mul_f64 v[16:17], v[231:232], v[16:17]
	s_waitcnt vmcnt(8) lgkmcnt(0)
	v_mul_f64 v[237:238], v[2:3], v[20:21]
	v_mul_f64 v[20:21], v[4:5], v[20:21]
	v_add_f64 v[169:170], v[169:170], v[174:175]
	v_add_f64 v[176:177], v[172:173], v[176:177]
	ds_load_b128 v[172:175], v1 offset:1536
	v_fma_f64 v[231:232], v[231:232], v[14:15], v[233:234]
	v_fma_f64 v[229:230], v[229:230], v[14:15], -v[16:17]
	scratch_load_b128 v[14:17], off, off offset:784
	v_fma_f64 v[233:234], v[4:5], v[18:19], v[237:238]
	v_add_f64 v[169:170], v[169:170], v[235:236]
	v_add_f64 v[176:177], v[176:177], v[182:183]
	v_fma_f64 v[235:236], v[2:3], v[18:19], -v[20:21]
	scratch_load_b128 v[18:21], off, off offset:800
	ds_load_b128 v[2:5], v1 offset:1552
	s_waitcnt vmcnt(9) lgkmcnt(1)
	v_mul_f64 v[182:183], v[172:173], v[24:25]
	v_mul_f64 v[24:25], v[174:175], v[24:25]
	s_waitcnt vmcnt(8) lgkmcnt(0)
	v_mul_f64 v[237:238], v[2:3], v[28:29]
	v_mul_f64 v[28:29], v[4:5], v[28:29]
	v_add_f64 v[169:170], v[169:170], v[229:230]
	v_add_f64 v[176:177], v[176:177], v[231:232]
	ds_load_b128 v[229:232], v1 offset:1568
	v_fma_f64 v[174:175], v[174:175], v[22:23], v[182:183]
	v_fma_f64 v[172:173], v[172:173], v[22:23], -v[24:25]
	scratch_load_b128 v[22:25], off, off offset:816
	v_add_f64 v[169:170], v[169:170], v[235:236]
	v_add_f64 v[176:177], v[176:177], v[233:234]
	v_fma_f64 v[233:234], v[4:5], v[26:27], v[237:238]
	v_fma_f64 v[235:236], v[2:3], v[26:27], -v[28:29]
	scratch_load_b128 v[26:29], off, off offset:832
	ds_load_b128 v[2:5], v1 offset:1584
	s_waitcnt vmcnt(9) lgkmcnt(1)
	v_mul_f64 v[182:183], v[229:230], v[32:33]
	v_mul_f64 v[32:33], v[231:232], v[32:33]
	s_waitcnt vmcnt(8) lgkmcnt(0)
	v_mul_f64 v[237:238], v[2:3], v[36:37]
	v_mul_f64 v[36:37], v[4:5], v[36:37]
	v_add_f64 v[169:170], v[169:170], v[172:173]
	v_add_f64 v[176:177], v[176:177], v[174:175]
	ds_load_b128 v[172:175], v1 offset:1600
	v_fma_f64 v[182:183], v[231:232], v[30:31], v[182:183]
	v_fma_f64 v[229:230], v[229:230], v[30:31], -v[32:33]
	scratch_load_b128 v[30:33], off, off offset:848
	v_add_f64 v[169:170], v[169:170], v[235:236]
	v_add_f64 v[176:177], v[176:177], v[233:234]
	v_fma_f64 v[235:236], v[4:5], v[34:35], v[237:238]
	v_fma_f64 v[237:238], v[2:3], v[34:35], -v[36:37]
	scratch_load_b128 v[34:37], off, off offset:864
	ds_load_b128 v[2:5], v1 offset:1616
	s_waitcnt vmcnt(9) lgkmcnt(1)
	v_mul_f64 v[231:232], v[172:173], v[180:181]
	v_mul_f64 v[233:234], v[174:175], v[180:181]
	v_add_f64 v[169:170], v[169:170], v[229:230]
	v_add_f64 v[176:177], v[176:177], v[182:183]
	s_waitcnt vmcnt(8) lgkmcnt(0)
	v_mul_f64 v[229:230], v[2:3], v[40:41]
	v_mul_f64 v[40:41], v[4:5], v[40:41]
	ds_load_b128 v[180:183], v1 offset:1632
	v_fma_f64 v[174:175], v[174:175], v[178:179], v[231:232]
	v_fma_f64 v[172:173], v[172:173], v[178:179], -v[233:234]
	s_waitcnt vmcnt(7) lgkmcnt(0)
	v_mul_f64 v[178:179], v[180:181], v[8:9]
	v_mul_f64 v[8:9], v[182:183], v[8:9]
	v_add_f64 v[169:170], v[169:170], v[237:238]
	v_add_f64 v[176:177], v[176:177], v[235:236]
	v_fma_f64 v[229:230], v[4:5], v[38:39], v[229:230]
	v_fma_f64 v[231:232], v[2:3], v[38:39], -v[40:41]
	ds_load_b128 v[2:5], v1 offset:1648
	ds_load_b128 v[38:41], v1 offset:1664
	v_add_f64 v[169:170], v[169:170], v[172:173]
	v_add_f64 v[172:173], v[176:177], v[174:175]
	s_waitcnt vmcnt(6) lgkmcnt(1)
	v_mul_f64 v[174:175], v[2:3], v[12:13]
	v_mul_f64 v[12:13], v[4:5], v[12:13]
	v_fma_f64 v[176:177], v[182:183], v[6:7], v[178:179]
	v_fma_f64 v[6:7], v[180:181], v[6:7], -v[8:9]
	v_add_f64 v[8:9], v[169:170], v[231:232]
	v_add_f64 v[169:170], v[172:173], v[229:230]
	s_waitcnt vmcnt(5) lgkmcnt(0)
	v_mul_f64 v[172:173], v[38:39], v[16:17]
	v_mul_f64 v[16:17], v[40:41], v[16:17]
	v_fma_f64 v[174:175], v[4:5], v[10:11], v[174:175]
	v_fma_f64 v[10:11], v[2:3], v[10:11], -v[12:13]
	v_add_f64 v[12:13], v[8:9], v[6:7]
	v_add_f64 v[169:170], v[169:170], v[176:177]
	ds_load_b128 v[2:5], v1 offset:1680
	ds_load_b128 v[6:9], v1 offset:1696
	v_fma_f64 v[40:41], v[40:41], v[14:15], v[172:173]
	v_fma_f64 v[14:15], v[38:39], v[14:15], -v[16:17]
	s_waitcnt vmcnt(4) lgkmcnt(1)
	v_mul_f64 v[176:177], v[2:3], v[20:21]
	v_mul_f64 v[20:21], v[4:5], v[20:21]
	s_waitcnt vmcnt(3) lgkmcnt(0)
	v_mul_f64 v[16:17], v[6:7], v[24:25]
	v_mul_f64 v[24:25], v[8:9], v[24:25]
	v_add_f64 v[10:11], v[12:13], v[10:11]
	v_add_f64 v[12:13], v[169:170], v[174:175]
	v_fma_f64 v[38:39], v[4:5], v[18:19], v[176:177]
	v_fma_f64 v[18:19], v[2:3], v[18:19], -v[20:21]
	v_fma_f64 v[8:9], v[8:9], v[22:23], v[16:17]
	v_fma_f64 v[6:7], v[6:7], v[22:23], -v[24:25]
	v_add_f64 v[14:15], v[10:11], v[14:15]
	v_add_f64 v[20:21], v[12:13], v[40:41]
	ds_load_b128 v[2:5], v1 offset:1712
	ds_load_b128 v[10:13], v1 offset:1728
	s_waitcnt vmcnt(2) lgkmcnt(1)
	v_mul_f64 v[40:41], v[2:3], v[28:29]
	v_mul_f64 v[28:29], v[4:5], v[28:29]
	v_add_f64 v[14:15], v[14:15], v[18:19]
	v_add_f64 v[16:17], v[20:21], v[38:39]
	s_waitcnt vmcnt(1) lgkmcnt(0)
	v_mul_f64 v[18:19], v[10:11], v[32:33]
	v_mul_f64 v[20:21], v[12:13], v[32:33]
	v_fma_f64 v[22:23], v[4:5], v[26:27], v[40:41]
	v_fma_f64 v[24:25], v[2:3], v[26:27], -v[28:29]
	ds_load_b128 v[2:5], v1 offset:1744
	v_add_f64 v[6:7], v[14:15], v[6:7]
	v_add_f64 v[8:9], v[16:17], v[8:9]
	v_fma_f64 v[12:13], v[12:13], v[30:31], v[18:19]
	v_fma_f64 v[10:11], v[10:11], v[30:31], -v[20:21]
	s_waitcnt vmcnt(0) lgkmcnt(0)
	v_mul_f64 v[14:15], v[2:3], v[36:37]
	v_mul_f64 v[16:17], v[4:5], v[36:37]
	v_add_f64 v[6:7], v[6:7], v[24:25]
	v_add_f64 v[8:9], v[8:9], v[22:23]
	s_delay_alu instid0(VALU_DEP_4) | instskip(NEXT) | instid1(VALU_DEP_4)
	v_fma_f64 v[4:5], v[4:5], v[34:35], v[14:15]
	v_fma_f64 v[2:3], v[2:3], v[34:35], -v[16:17]
	s_delay_alu instid0(VALU_DEP_4) | instskip(NEXT) | instid1(VALU_DEP_4)
	v_add_f64 v[6:7], v[6:7], v[10:11]
	v_add_f64 v[8:9], v[8:9], v[12:13]
	s_delay_alu instid0(VALU_DEP_2) | instskip(NEXT) | instid1(VALU_DEP_2)
	v_add_f64 v[2:3], v[6:7], v[2:3]
	v_add_f64 v[4:5], v[8:9], v[4:5]
	s_delay_alu instid0(VALU_DEP_2) | instskip(NEXT) | instid1(VALU_DEP_2)
	v_add_f64 v[2:3], v[42:43], -v[2:3]
	v_add_f64 v[4:5], v[44:45], -v[4:5]
	scratch_store_b128 off, v[2:5], off offset:80
	v_cmpx_lt_u32_e32 4, v156
	s_cbranch_execz .LBB54_335
; %bb.334:
	scratch_load_b128 v[5:8], v207, off
	v_mov_b32_e32 v2, v1
	v_mov_b32_e32 v3, v1
	;; [unrolled: 1-line block ×3, first 2 shown]
	scratch_store_b128 off, v[1:4], off offset:64
	s_waitcnt vmcnt(0)
	ds_store_b128 v211, v[5:8]
.LBB54_335:
	s_or_b32 exec_lo, exec_lo, s2
	s_waitcnt lgkmcnt(0)
	s_waitcnt_vscnt null, 0x0
	s_barrier
	buffer_gl0_inv
	s_clause 0x8
	scratch_load_b128 v[2:5], off, off offset:80
	scratch_load_b128 v[6:9], off, off offset:96
	;; [unrolled: 1-line block ×9, first 2 shown]
	ds_load_b128 v[42:45], v1 offset:960
	ds_load_b128 v[38:41], v1 offset:976
	s_clause 0x1
	scratch_load_b128 v[172:175], off, off offset:64
	scratch_load_b128 v[176:179], off, off offset:224
	s_mov_b32 s2, exec_lo
	ds_load_b128 v[180:183], v1 offset:1008
	s_waitcnt vmcnt(10) lgkmcnt(2)
	v_mul_f64 v[169:170], v[44:45], v[4:5]
	v_mul_f64 v[4:5], v[42:43], v[4:5]
	s_waitcnt vmcnt(9) lgkmcnt(1)
	v_mul_f64 v[229:230], v[38:39], v[8:9]
	v_mul_f64 v[8:9], v[40:41], v[8:9]
	s_delay_alu instid0(VALU_DEP_4) | instskip(NEXT) | instid1(VALU_DEP_4)
	v_fma_f64 v[169:170], v[42:43], v[2:3], -v[169:170]
	v_fma_f64 v[231:232], v[44:45], v[2:3], v[4:5]
	ds_load_b128 v[2:5], v1 offset:992
	scratch_load_b128 v[42:45], off, off offset:240
	v_fma_f64 v[40:41], v[40:41], v[6:7], v[229:230]
	v_fma_f64 v[38:39], v[38:39], v[6:7], -v[8:9]
	scratch_load_b128 v[6:9], off, off offset:256
	s_waitcnt vmcnt(10) lgkmcnt(0)
	v_mul_f64 v[233:234], v[2:3], v[12:13]
	v_mul_f64 v[12:13], v[4:5], v[12:13]
	v_add_f64 v[169:170], v[169:170], 0
	v_add_f64 v[229:230], v[231:232], 0
	s_waitcnt vmcnt(9)
	v_mul_f64 v[231:232], v[180:181], v[16:17]
	v_mul_f64 v[16:17], v[182:183], v[16:17]
	v_fma_f64 v[233:234], v[4:5], v[10:11], v[233:234]
	v_fma_f64 v[235:236], v[2:3], v[10:11], -v[12:13]
	ds_load_b128 v[2:5], v1 offset:1024
	scratch_load_b128 v[10:13], off, off offset:272
	v_add_f64 v[169:170], v[169:170], v[38:39]
	v_add_f64 v[229:230], v[229:230], v[40:41]
	ds_load_b128 v[38:41], v1 offset:1040
	v_fma_f64 v[182:183], v[182:183], v[14:15], v[231:232]
	v_fma_f64 v[180:181], v[180:181], v[14:15], -v[16:17]
	scratch_load_b128 v[14:17], off, off offset:288
	s_waitcnt vmcnt(10) lgkmcnt(1)
	v_mul_f64 v[237:238], v[2:3], v[20:21]
	v_mul_f64 v[20:21], v[4:5], v[20:21]
	s_waitcnt vmcnt(9) lgkmcnt(0)
	v_mul_f64 v[231:232], v[38:39], v[24:25]
	v_mul_f64 v[24:25], v[40:41], v[24:25]
	v_add_f64 v[169:170], v[169:170], v[235:236]
	v_add_f64 v[229:230], v[229:230], v[233:234]
	v_fma_f64 v[233:234], v[4:5], v[18:19], v[237:238]
	v_fma_f64 v[235:236], v[2:3], v[18:19], -v[20:21]
	ds_load_b128 v[2:5], v1 offset:1056
	scratch_load_b128 v[18:21], off, off offset:304
	v_fma_f64 v[40:41], v[40:41], v[22:23], v[231:232]
	v_fma_f64 v[38:39], v[38:39], v[22:23], -v[24:25]
	scratch_load_b128 v[22:25], off, off offset:320
	v_add_f64 v[169:170], v[169:170], v[180:181]
	v_add_f64 v[229:230], v[229:230], v[182:183]
	ds_load_b128 v[180:183], v1 offset:1072
	s_waitcnt vmcnt(10) lgkmcnt(1)
	v_mul_f64 v[237:238], v[2:3], v[28:29]
	v_mul_f64 v[28:29], v[4:5], v[28:29]
	s_waitcnt vmcnt(9) lgkmcnt(0)
	v_mul_f64 v[231:232], v[180:181], v[32:33]
	v_mul_f64 v[32:33], v[182:183], v[32:33]
	v_add_f64 v[169:170], v[169:170], v[235:236]
	v_add_f64 v[229:230], v[229:230], v[233:234]
	v_fma_f64 v[233:234], v[4:5], v[26:27], v[237:238]
	v_fma_f64 v[235:236], v[2:3], v[26:27], -v[28:29]
	ds_load_b128 v[2:5], v1 offset:1088
	scratch_load_b128 v[26:29], off, off offset:336
	v_fma_f64 v[182:183], v[182:183], v[30:31], v[231:232]
	v_fma_f64 v[180:181], v[180:181], v[30:31], -v[32:33]
	scratch_load_b128 v[30:33], off, off offset:352
	v_add_f64 v[169:170], v[169:170], v[38:39]
	v_add_f64 v[229:230], v[229:230], v[40:41]
	ds_load_b128 v[38:41], v1 offset:1104
	s_waitcnt vmcnt(10) lgkmcnt(1)
	v_mul_f64 v[237:238], v[2:3], v[36:37]
	v_mul_f64 v[36:37], v[4:5], v[36:37]
	s_waitcnt vmcnt(8) lgkmcnt(0)
	v_mul_f64 v[231:232], v[38:39], v[178:179]
	v_add_f64 v[169:170], v[169:170], v[235:236]
	v_add_f64 v[229:230], v[229:230], v[233:234]
	v_mul_f64 v[233:234], v[40:41], v[178:179]
	v_fma_f64 v[235:236], v[4:5], v[34:35], v[237:238]
	v_fma_f64 v[237:238], v[2:3], v[34:35], -v[36:37]
	ds_load_b128 v[2:5], v1 offset:1120
	scratch_load_b128 v[34:37], off, off offset:368
	v_fma_f64 v[231:232], v[40:41], v[176:177], v[231:232]
	v_add_f64 v[169:170], v[169:170], v[180:181]
	v_add_f64 v[182:183], v[229:230], v[182:183]
	ds_load_b128 v[178:181], v1 offset:1136
	v_fma_f64 v[176:177], v[38:39], v[176:177], -v[233:234]
	scratch_load_b128 v[38:41], off, off offset:384
	s_waitcnt vmcnt(9) lgkmcnt(1)
	v_mul_f64 v[229:230], v[2:3], v[44:45]
	v_mul_f64 v[44:45], v[4:5], v[44:45]
	s_waitcnt vmcnt(8) lgkmcnt(0)
	v_mul_f64 v[233:234], v[178:179], v[8:9]
	v_mul_f64 v[8:9], v[180:181], v[8:9]
	v_add_f64 v[169:170], v[169:170], v[237:238]
	v_add_f64 v[182:183], v[182:183], v[235:236]
	v_fma_f64 v[235:236], v[4:5], v[42:43], v[229:230]
	v_fma_f64 v[237:238], v[2:3], v[42:43], -v[44:45]
	ds_load_b128 v[2:5], v1 offset:1152
	scratch_load_b128 v[42:45], off, off offset:400
	v_fma_f64 v[180:181], v[180:181], v[6:7], v[233:234]
	v_fma_f64 v[178:179], v[178:179], v[6:7], -v[8:9]
	scratch_load_b128 v[6:9], off, off offset:416
	v_add_f64 v[169:170], v[169:170], v[176:177]
	v_add_f64 v[176:177], v[182:183], v[231:232]
	ds_load_b128 v[229:232], v1 offset:1168
	s_waitcnt vmcnt(9) lgkmcnt(1)
	v_mul_f64 v[182:183], v[2:3], v[12:13]
	v_mul_f64 v[12:13], v[4:5], v[12:13]
	s_waitcnt vmcnt(8) lgkmcnt(0)
	v_mul_f64 v[233:234], v[229:230], v[16:17]
	v_mul_f64 v[16:17], v[231:232], v[16:17]
	v_add_f64 v[169:170], v[169:170], v[237:238]
	v_add_f64 v[176:177], v[176:177], v[235:236]
	v_fma_f64 v[182:183], v[4:5], v[10:11], v[182:183]
	v_fma_f64 v[235:236], v[2:3], v[10:11], -v[12:13]
	ds_load_b128 v[2:5], v1 offset:1184
	scratch_load_b128 v[10:13], off, off offset:432
	v_fma_f64 v[231:232], v[231:232], v[14:15], v[233:234]
	v_fma_f64 v[229:230], v[229:230], v[14:15], -v[16:17]
	scratch_load_b128 v[14:17], off, off offset:448
	v_add_f64 v[169:170], v[169:170], v[178:179]
	v_add_f64 v[180:181], v[176:177], v[180:181]
	ds_load_b128 v[176:179], v1 offset:1200
	;; [unrolled: 18-line block ×4, first 2 shown]
	s_waitcnt vmcnt(9) lgkmcnt(1)
	v_mul_f64 v[237:238], v[2:3], v[36:37]
	v_mul_f64 v[36:37], v[4:5], v[36:37]
	v_add_f64 v[169:170], v[169:170], v[235:236]
	v_add_f64 v[229:230], v[229:230], v[231:232]
	s_waitcnt vmcnt(8) lgkmcnt(0)
	v_mul_f64 v[231:232], v[176:177], v[40:41]
	v_mul_f64 v[40:41], v[178:179], v[40:41]
	v_fma_f64 v[233:234], v[4:5], v[34:35], v[237:238]
	v_fma_f64 v[235:236], v[2:3], v[34:35], -v[36:37]
	ds_load_b128 v[2:5], v1 offset:1280
	scratch_load_b128 v[34:37], off, off offset:528
	v_add_f64 v[169:170], v[169:170], v[180:181]
	v_add_f64 v[229:230], v[229:230], v[182:183]
	ds_load_b128 v[180:183], v1 offset:1296
	s_waitcnt vmcnt(8) lgkmcnt(1)
	v_mul_f64 v[237:238], v[2:3], v[44:45]
	v_mul_f64 v[44:45], v[4:5], v[44:45]
	v_fma_f64 v[178:179], v[178:179], v[38:39], v[231:232]
	v_fma_f64 v[176:177], v[176:177], v[38:39], -v[40:41]
	scratch_load_b128 v[38:41], off, off offset:544
	s_waitcnt vmcnt(8) lgkmcnt(0)
	v_mul_f64 v[231:232], v[180:181], v[8:9]
	v_mul_f64 v[8:9], v[182:183], v[8:9]
	v_add_f64 v[169:170], v[169:170], v[235:236]
	v_add_f64 v[229:230], v[229:230], v[233:234]
	v_fma_f64 v[233:234], v[4:5], v[42:43], v[237:238]
	v_fma_f64 v[235:236], v[2:3], v[42:43], -v[44:45]
	ds_load_b128 v[2:5], v1 offset:1312
	scratch_load_b128 v[42:45], off, off offset:560
	v_fma_f64 v[182:183], v[182:183], v[6:7], v[231:232]
	v_fma_f64 v[180:181], v[180:181], v[6:7], -v[8:9]
	scratch_load_b128 v[6:9], off, off offset:576
	v_add_f64 v[169:170], v[169:170], v[176:177]
	v_add_f64 v[229:230], v[229:230], v[178:179]
	ds_load_b128 v[176:179], v1 offset:1328
	s_waitcnt vmcnt(9) lgkmcnt(1)
	v_mul_f64 v[237:238], v[2:3], v[12:13]
	v_mul_f64 v[12:13], v[4:5], v[12:13]
	s_waitcnt vmcnt(8) lgkmcnt(0)
	v_mul_f64 v[231:232], v[176:177], v[16:17]
	v_mul_f64 v[16:17], v[178:179], v[16:17]
	v_add_f64 v[169:170], v[169:170], v[235:236]
	v_add_f64 v[229:230], v[229:230], v[233:234]
	v_fma_f64 v[233:234], v[4:5], v[10:11], v[237:238]
	v_fma_f64 v[235:236], v[2:3], v[10:11], -v[12:13]
	ds_load_b128 v[2:5], v1 offset:1344
	scratch_load_b128 v[10:13], off, off offset:592
	v_fma_f64 v[178:179], v[178:179], v[14:15], v[231:232]
	v_fma_f64 v[176:177], v[176:177], v[14:15], -v[16:17]
	scratch_load_b128 v[14:17], off, off offset:608
	v_add_f64 v[169:170], v[169:170], v[180:181]
	v_add_f64 v[229:230], v[229:230], v[182:183]
	ds_load_b128 v[180:183], v1 offset:1360
	s_waitcnt vmcnt(9) lgkmcnt(1)
	v_mul_f64 v[237:238], v[2:3], v[20:21]
	v_mul_f64 v[20:21], v[4:5], v[20:21]
	;; [unrolled: 18-line block ×10, first 2 shown]
	s_waitcnt vmcnt(8) lgkmcnt(0)
	v_mul_f64 v[231:232], v[180:181], v[8:9]
	v_mul_f64 v[8:9], v[182:183], v[8:9]
	v_add_f64 v[169:170], v[169:170], v[235:236]
	v_add_f64 v[229:230], v[229:230], v[233:234]
	v_fma_f64 v[233:234], v[4:5], v[42:43], v[237:238]
	v_fma_f64 v[235:236], v[2:3], v[42:43], -v[44:45]
	ds_load_b128 v[2:5], v1 offset:1632
	ds_load_b128 v[42:45], v1 offset:1648
	v_fma_f64 v[182:183], v[182:183], v[6:7], v[231:232]
	v_fma_f64 v[6:7], v[180:181], v[6:7], -v[8:9]
	v_add_f64 v[169:170], v[169:170], v[176:177]
	v_add_f64 v[176:177], v[229:230], v[178:179]
	s_waitcnt vmcnt(7) lgkmcnt(1)
	v_mul_f64 v[178:179], v[2:3], v[12:13]
	v_mul_f64 v[12:13], v[4:5], v[12:13]
	s_delay_alu instid0(VALU_DEP_4) | instskip(NEXT) | instid1(VALU_DEP_4)
	v_add_f64 v[8:9], v[169:170], v[235:236]
	v_add_f64 v[169:170], v[176:177], v[233:234]
	s_waitcnt vmcnt(6) lgkmcnt(0)
	v_mul_f64 v[176:177], v[42:43], v[16:17]
	v_mul_f64 v[16:17], v[44:45], v[16:17]
	v_fma_f64 v[178:179], v[4:5], v[10:11], v[178:179]
	v_fma_f64 v[10:11], v[2:3], v[10:11], -v[12:13]
	v_add_f64 v[12:13], v[8:9], v[6:7]
	v_add_f64 v[169:170], v[169:170], v[182:183]
	ds_load_b128 v[2:5], v1 offset:1664
	ds_load_b128 v[6:9], v1 offset:1680
	v_fma_f64 v[44:45], v[44:45], v[14:15], v[176:177]
	v_fma_f64 v[14:15], v[42:43], v[14:15], -v[16:17]
	s_waitcnt vmcnt(5) lgkmcnt(1)
	v_mul_f64 v[180:181], v[2:3], v[20:21]
	v_mul_f64 v[20:21], v[4:5], v[20:21]
	s_waitcnt vmcnt(4) lgkmcnt(0)
	v_mul_f64 v[16:17], v[6:7], v[24:25]
	v_mul_f64 v[24:25], v[8:9], v[24:25]
	v_add_f64 v[10:11], v[12:13], v[10:11]
	v_add_f64 v[12:13], v[169:170], v[178:179]
	v_fma_f64 v[42:43], v[4:5], v[18:19], v[180:181]
	v_fma_f64 v[18:19], v[2:3], v[18:19], -v[20:21]
	v_fma_f64 v[8:9], v[8:9], v[22:23], v[16:17]
	v_fma_f64 v[6:7], v[6:7], v[22:23], -v[24:25]
	v_add_f64 v[14:15], v[10:11], v[14:15]
	v_add_f64 v[20:21], v[12:13], v[44:45]
	ds_load_b128 v[2:5], v1 offset:1696
	ds_load_b128 v[10:13], v1 offset:1712
	s_waitcnt vmcnt(3) lgkmcnt(1)
	v_mul_f64 v[44:45], v[2:3], v[28:29]
	v_mul_f64 v[28:29], v[4:5], v[28:29]
	v_add_f64 v[14:15], v[14:15], v[18:19]
	v_add_f64 v[16:17], v[20:21], v[42:43]
	s_waitcnt vmcnt(2) lgkmcnt(0)
	v_mul_f64 v[18:19], v[10:11], v[32:33]
	v_mul_f64 v[20:21], v[12:13], v[32:33]
	v_fma_f64 v[22:23], v[4:5], v[26:27], v[44:45]
	v_fma_f64 v[24:25], v[2:3], v[26:27], -v[28:29]
	v_add_f64 v[14:15], v[14:15], v[6:7]
	v_add_f64 v[16:17], v[16:17], v[8:9]
	ds_load_b128 v[2:5], v1 offset:1728
	ds_load_b128 v[6:9], v1 offset:1744
	v_fma_f64 v[12:13], v[12:13], v[30:31], v[18:19]
	v_fma_f64 v[10:11], v[10:11], v[30:31], -v[20:21]
	s_waitcnt vmcnt(1) lgkmcnt(1)
	v_mul_f64 v[26:27], v[2:3], v[36:37]
	v_mul_f64 v[28:29], v[4:5], v[36:37]
	s_waitcnt vmcnt(0) lgkmcnt(0)
	v_mul_f64 v[18:19], v[6:7], v[40:41]
	v_mul_f64 v[20:21], v[8:9], v[40:41]
	v_add_f64 v[14:15], v[14:15], v[24:25]
	v_add_f64 v[16:17], v[16:17], v[22:23]
	v_fma_f64 v[4:5], v[4:5], v[34:35], v[26:27]
	v_fma_f64 v[1:2], v[2:3], v[34:35], -v[28:29]
	v_fma_f64 v[8:9], v[8:9], v[38:39], v[18:19]
	v_fma_f64 v[6:7], v[6:7], v[38:39], -v[20:21]
	v_add_f64 v[10:11], v[14:15], v[10:11]
	v_add_f64 v[12:13], v[16:17], v[12:13]
	s_delay_alu instid0(VALU_DEP_2) | instskip(NEXT) | instid1(VALU_DEP_2)
	v_add_f64 v[1:2], v[10:11], v[1:2]
	v_add_f64 v[3:4], v[12:13], v[4:5]
	s_delay_alu instid0(VALU_DEP_2) | instskip(NEXT) | instid1(VALU_DEP_2)
	;; [unrolled: 3-line block ×3, first 2 shown]
	v_add_f64 v[1:2], v[172:173], -v[1:2]
	v_add_f64 v[3:4], v[174:175], -v[3:4]
	scratch_store_b128 off, v[1:4], off offset:64
	v_cmpx_lt_u32_e32 3, v156
	s_cbranch_execz .LBB54_337
; %bb.336:
	scratch_load_b128 v[1:4], v208, off
	v_mov_b32_e32 v5, 0
	s_delay_alu instid0(VALU_DEP_1)
	v_mov_b32_e32 v6, v5
	v_mov_b32_e32 v7, v5
	;; [unrolled: 1-line block ×3, first 2 shown]
	scratch_store_b128 off, v[5:8], off offset:48
	s_waitcnt vmcnt(0)
	ds_store_b128 v211, v[1:4]
.LBB54_337:
	s_or_b32 exec_lo, exec_lo, s2
	s_waitcnt lgkmcnt(0)
	s_waitcnt_vscnt null, 0x0
	s_barrier
	buffer_gl0_inv
	s_clause 0x7
	scratch_load_b128 v[2:5], off, off offset:64
	scratch_load_b128 v[6:9], off, off offset:80
	;; [unrolled: 1-line block ×8, first 2 shown]
	v_mov_b32_e32 v1, 0
	s_mov_b32 s2, exec_lo
	ds_load_b128 v[38:41], v1 offset:944
	s_clause 0x1
	scratch_load_b128 v[34:37], off, off offset:192
	scratch_load_b128 v[42:45], off, off offset:48
	ds_load_b128 v[172:175], v1 offset:960
	scratch_load_b128 v[176:179], off, off offset:208
	ds_load_b128 v[180:183], v1 offset:992
	s_waitcnt vmcnt(10) lgkmcnt(2)
	v_mul_f64 v[169:170], v[40:41], v[4:5]
	v_mul_f64 v[4:5], v[38:39], v[4:5]
	s_delay_alu instid0(VALU_DEP_2) | instskip(NEXT) | instid1(VALU_DEP_2)
	v_fma_f64 v[169:170], v[38:39], v[2:3], -v[169:170]
	v_fma_f64 v[231:232], v[40:41], v[2:3], v[4:5]
	ds_load_b128 v[2:5], v1 offset:976
	s_waitcnt vmcnt(9) lgkmcnt(2)
	v_mul_f64 v[229:230], v[172:173], v[8:9]
	v_mul_f64 v[8:9], v[174:175], v[8:9]
	scratch_load_b128 v[38:41], off, off offset:224
	s_waitcnt vmcnt(9) lgkmcnt(0)
	v_mul_f64 v[233:234], v[2:3], v[12:13]
	v_mul_f64 v[12:13], v[4:5], v[12:13]
	v_add_f64 v[169:170], v[169:170], 0
	v_fma_f64 v[174:175], v[174:175], v[6:7], v[229:230]
	v_fma_f64 v[172:173], v[172:173], v[6:7], -v[8:9]
	v_add_f64 v[229:230], v[231:232], 0
	scratch_load_b128 v[6:9], off, off offset:240
	v_fma_f64 v[233:234], v[4:5], v[10:11], v[233:234]
	v_fma_f64 v[235:236], v[2:3], v[10:11], -v[12:13]
	scratch_load_b128 v[10:13], off, off offset:256
	ds_load_b128 v[2:5], v1 offset:1008
	s_waitcnt vmcnt(10)
	v_mul_f64 v[231:232], v[180:181], v[16:17]
	v_mul_f64 v[16:17], v[182:183], v[16:17]
	v_add_f64 v[169:170], v[169:170], v[172:173]
	v_add_f64 v[229:230], v[229:230], v[174:175]
	ds_load_b128 v[172:175], v1 offset:1024
	s_waitcnt vmcnt(9) lgkmcnt(1)
	v_mul_f64 v[237:238], v[2:3], v[20:21]
	v_mul_f64 v[20:21], v[4:5], v[20:21]
	v_fma_f64 v[182:183], v[182:183], v[14:15], v[231:232]
	v_fma_f64 v[180:181], v[180:181], v[14:15], -v[16:17]
	scratch_load_b128 v[14:17], off, off offset:272
	v_add_f64 v[169:170], v[169:170], v[235:236]
	v_add_f64 v[229:230], v[229:230], v[233:234]
	v_fma_f64 v[233:234], v[4:5], v[18:19], v[237:238]
	v_fma_f64 v[235:236], v[2:3], v[18:19], -v[20:21]
	scratch_load_b128 v[18:21], off, off offset:288
	ds_load_b128 v[2:5], v1 offset:1040
	s_waitcnt vmcnt(10) lgkmcnt(1)
	v_mul_f64 v[231:232], v[172:173], v[24:25]
	v_mul_f64 v[24:25], v[174:175], v[24:25]
	s_waitcnt vmcnt(9) lgkmcnt(0)
	v_mul_f64 v[237:238], v[2:3], v[28:29]
	v_mul_f64 v[28:29], v[4:5], v[28:29]
	v_add_f64 v[169:170], v[169:170], v[180:181]
	v_add_f64 v[229:230], v[229:230], v[182:183]
	ds_load_b128 v[180:183], v1 offset:1056
	v_fma_f64 v[174:175], v[174:175], v[22:23], v[231:232]
	v_fma_f64 v[172:173], v[172:173], v[22:23], -v[24:25]
	scratch_load_b128 v[22:25], off, off offset:304
	v_add_f64 v[169:170], v[169:170], v[235:236]
	v_add_f64 v[229:230], v[229:230], v[233:234]
	v_fma_f64 v[233:234], v[4:5], v[26:27], v[237:238]
	v_fma_f64 v[235:236], v[2:3], v[26:27], -v[28:29]
	scratch_load_b128 v[26:29], off, off offset:320
	ds_load_b128 v[2:5], v1 offset:1072
	s_waitcnt vmcnt(10) lgkmcnt(1)
	v_mul_f64 v[231:232], v[180:181], v[32:33]
	v_mul_f64 v[32:33], v[182:183], v[32:33]
	s_waitcnt vmcnt(9) lgkmcnt(0)
	v_mul_f64 v[237:238], v[2:3], v[36:37]
	v_mul_f64 v[36:37], v[4:5], v[36:37]
	v_add_f64 v[169:170], v[169:170], v[172:173]
	v_add_f64 v[229:230], v[229:230], v[174:175]
	ds_load_b128 v[172:175], v1 offset:1088
	v_fma_f64 v[182:183], v[182:183], v[30:31], v[231:232]
	v_fma_f64 v[180:181], v[180:181], v[30:31], -v[32:33]
	scratch_load_b128 v[30:33], off, off offset:336
	v_add_f64 v[169:170], v[169:170], v[235:236]
	v_add_f64 v[229:230], v[229:230], v[233:234]
	v_fma_f64 v[235:236], v[4:5], v[34:35], v[237:238]
	v_fma_f64 v[237:238], v[2:3], v[34:35], -v[36:37]
	scratch_load_b128 v[34:37], off, off offset:352
	ds_load_b128 v[2:5], v1 offset:1104
	s_waitcnt vmcnt(9) lgkmcnt(1)
	v_mul_f64 v[231:232], v[172:173], v[178:179]
	v_mul_f64 v[233:234], v[174:175], v[178:179]
	v_add_f64 v[169:170], v[169:170], v[180:181]
	v_add_f64 v[182:183], v[229:230], v[182:183]
	ds_load_b128 v[178:181], v1 offset:1120
	v_fma_f64 v[231:232], v[174:175], v[176:177], v[231:232]
	v_fma_f64 v[176:177], v[172:173], v[176:177], -v[233:234]
	scratch_load_b128 v[172:175], off, off offset:368
	s_waitcnt vmcnt(9) lgkmcnt(1)
	v_mul_f64 v[229:230], v[2:3], v[40:41]
	v_mul_f64 v[40:41], v[4:5], v[40:41]
	v_add_f64 v[169:170], v[169:170], v[237:238]
	v_add_f64 v[182:183], v[182:183], v[235:236]
	s_delay_alu instid0(VALU_DEP_4) | instskip(NEXT) | instid1(VALU_DEP_4)
	v_fma_f64 v[235:236], v[4:5], v[38:39], v[229:230]
	v_fma_f64 v[237:238], v[2:3], v[38:39], -v[40:41]
	scratch_load_b128 v[38:41], off, off offset:384
	ds_load_b128 v[2:5], v1 offset:1136
	s_waitcnt vmcnt(9) lgkmcnt(1)
	v_mul_f64 v[233:234], v[178:179], v[8:9]
	v_mul_f64 v[8:9], v[180:181], v[8:9]
	v_add_f64 v[169:170], v[169:170], v[176:177]
	v_add_f64 v[176:177], v[182:183], v[231:232]
	s_waitcnt vmcnt(8) lgkmcnt(0)
	v_mul_f64 v[182:183], v[2:3], v[12:13]
	v_mul_f64 v[12:13], v[4:5], v[12:13]
	ds_load_b128 v[229:232], v1 offset:1152
	v_fma_f64 v[180:181], v[180:181], v[6:7], v[233:234]
	v_fma_f64 v[178:179], v[178:179], v[6:7], -v[8:9]
	scratch_load_b128 v[6:9], off, off offset:400
	v_add_f64 v[169:170], v[169:170], v[237:238]
	v_add_f64 v[176:177], v[176:177], v[235:236]
	v_fma_f64 v[182:183], v[4:5], v[10:11], v[182:183]
	v_fma_f64 v[235:236], v[2:3], v[10:11], -v[12:13]
	scratch_load_b128 v[10:13], off, off offset:416
	ds_load_b128 v[2:5], v1 offset:1168
	s_waitcnt vmcnt(9) lgkmcnt(1)
	v_mul_f64 v[233:234], v[229:230], v[16:17]
	v_mul_f64 v[16:17], v[231:232], v[16:17]
	s_waitcnt vmcnt(8) lgkmcnt(0)
	v_mul_f64 v[237:238], v[2:3], v[20:21]
	v_mul_f64 v[20:21], v[4:5], v[20:21]
	v_add_f64 v[169:170], v[169:170], v[178:179]
	v_add_f64 v[180:181], v[176:177], v[180:181]
	ds_load_b128 v[176:179], v1 offset:1184
	v_fma_f64 v[231:232], v[231:232], v[14:15], v[233:234]
	v_fma_f64 v[229:230], v[229:230], v[14:15], -v[16:17]
	scratch_load_b128 v[14:17], off, off offset:432
	v_add_f64 v[169:170], v[169:170], v[235:236]
	v_add_f64 v[180:181], v[180:181], v[182:183]
	v_fma_f64 v[235:236], v[4:5], v[18:19], v[237:238]
	v_fma_f64 v[237:238], v[2:3], v[18:19], -v[20:21]
	scratch_load_b128 v[18:21], off, off offset:448
	ds_load_b128 v[2:5], v1 offset:1200
	s_waitcnt vmcnt(9) lgkmcnt(1)
	v_mul_f64 v[233:234], v[176:177], v[24:25]
	v_mul_f64 v[24:25], v[178:179], v[24:25]
	v_add_f64 v[169:170], v[169:170], v[229:230]
	v_add_f64 v[229:230], v[180:181], v[231:232]
	s_waitcnt vmcnt(8) lgkmcnt(0)
	v_mul_f64 v[231:232], v[2:3], v[28:29]
	v_mul_f64 v[28:29], v[4:5], v[28:29]
	ds_load_b128 v[180:183], v1 offset:1216
	v_fma_f64 v[178:179], v[178:179], v[22:23], v[233:234]
	v_fma_f64 v[176:177], v[176:177], v[22:23], -v[24:25]
	scratch_load_b128 v[22:25], off, off offset:464
	v_add_f64 v[169:170], v[169:170], v[237:238]
	v_add_f64 v[229:230], v[229:230], v[235:236]
	v_fma_f64 v[231:232], v[4:5], v[26:27], v[231:232]
	v_fma_f64 v[235:236], v[2:3], v[26:27], -v[28:29]
	scratch_load_b128 v[26:29], off, off offset:480
	ds_load_b128 v[2:5], v1 offset:1232
	s_waitcnt vmcnt(9) lgkmcnt(1)
	v_mul_f64 v[233:234], v[180:181], v[32:33]
	v_mul_f64 v[32:33], v[182:183], v[32:33]
	s_waitcnt vmcnt(8) lgkmcnt(0)
	v_mul_f64 v[237:238], v[2:3], v[36:37]
	v_mul_f64 v[36:37], v[4:5], v[36:37]
	v_add_f64 v[169:170], v[169:170], v[176:177]
	v_add_f64 v[229:230], v[229:230], v[178:179]
	ds_load_b128 v[176:179], v1 offset:1248
	v_fma_f64 v[182:183], v[182:183], v[30:31], v[233:234]
	v_fma_f64 v[180:181], v[180:181], v[30:31], -v[32:33]
	scratch_load_b128 v[30:33], off, off offset:496
	v_fma_f64 v[233:234], v[4:5], v[34:35], v[237:238]
	v_add_f64 v[169:170], v[169:170], v[235:236]
	v_add_f64 v[229:230], v[229:230], v[231:232]
	v_fma_f64 v[235:236], v[2:3], v[34:35], -v[36:37]
	scratch_load_b128 v[34:37], off, off offset:512
	ds_load_b128 v[2:5], v1 offset:1264
	s_waitcnt vmcnt(9) lgkmcnt(1)
	v_mul_f64 v[231:232], v[176:177], v[174:175]
	v_mul_f64 v[174:175], v[178:179], v[174:175]
	s_waitcnt vmcnt(8) lgkmcnt(0)
	v_mul_f64 v[237:238], v[2:3], v[40:41]
	v_mul_f64 v[40:41], v[4:5], v[40:41]
	v_add_f64 v[169:170], v[169:170], v[180:181]
	v_add_f64 v[229:230], v[229:230], v[182:183]
	ds_load_b128 v[180:183], v1 offset:1280
	v_fma_f64 v[178:179], v[178:179], v[172:173], v[231:232]
	v_fma_f64 v[176:177], v[176:177], v[172:173], -v[174:175]
	scratch_load_b128 v[172:175], off, off offset:528
	v_add_f64 v[169:170], v[169:170], v[235:236]
	v_add_f64 v[229:230], v[229:230], v[233:234]
	v_fma_f64 v[233:234], v[4:5], v[38:39], v[237:238]
	v_fma_f64 v[235:236], v[2:3], v[38:39], -v[40:41]
	scratch_load_b128 v[38:41], off, off offset:544
	ds_load_b128 v[2:5], v1 offset:1296
	s_waitcnt vmcnt(9) lgkmcnt(1)
	v_mul_f64 v[231:232], v[180:181], v[8:9]
	v_mul_f64 v[8:9], v[182:183], v[8:9]
	s_waitcnt vmcnt(8) lgkmcnt(0)
	v_mul_f64 v[237:238], v[2:3], v[12:13]
	v_mul_f64 v[12:13], v[4:5], v[12:13]
	v_add_f64 v[169:170], v[169:170], v[176:177]
	v_add_f64 v[229:230], v[229:230], v[178:179]
	ds_load_b128 v[176:179], v1 offset:1312
	v_fma_f64 v[182:183], v[182:183], v[6:7], v[231:232]
	v_fma_f64 v[180:181], v[180:181], v[6:7], -v[8:9]
	scratch_load_b128 v[6:9], off, off offset:560
	v_add_f64 v[169:170], v[169:170], v[235:236]
	v_add_f64 v[229:230], v[229:230], v[233:234]
	v_fma_f64 v[233:234], v[4:5], v[10:11], v[237:238]
	;; [unrolled: 18-line block ×5, first 2 shown]
	v_fma_f64 v[237:238], v[2:3], v[34:35], -v[36:37]
	scratch_load_b128 v[34:37], off, off offset:672
	ds_load_b128 v[2:5], v1 offset:1424
	s_waitcnt vmcnt(9) lgkmcnt(1)
	v_mul_f64 v[231:232], v[180:181], v[174:175]
	v_mul_f64 v[233:234], v[182:183], v[174:175]
	v_add_f64 v[169:170], v[169:170], v[176:177]
	v_add_f64 v[178:179], v[229:230], v[178:179]
	s_waitcnt vmcnt(8) lgkmcnt(0)
	v_mul_f64 v[229:230], v[2:3], v[40:41]
	v_mul_f64 v[40:41], v[4:5], v[40:41]
	ds_load_b128 v[174:177], v1 offset:1440
	v_fma_f64 v[182:183], v[182:183], v[172:173], v[231:232]
	v_fma_f64 v[172:173], v[180:181], v[172:173], -v[233:234]
	v_add_f64 v[169:170], v[169:170], v[237:238]
	v_add_f64 v[231:232], v[178:179], v[235:236]
	scratch_load_b128 v[178:181], off, off offset:688
	v_fma_f64 v[235:236], v[4:5], v[38:39], v[229:230]
	v_fma_f64 v[237:238], v[2:3], v[38:39], -v[40:41]
	scratch_load_b128 v[38:41], off, off offset:704
	ds_load_b128 v[2:5], v1 offset:1456
	s_waitcnt vmcnt(9) lgkmcnt(1)
	v_mul_f64 v[233:234], v[174:175], v[8:9]
	v_mul_f64 v[8:9], v[176:177], v[8:9]
	v_add_f64 v[169:170], v[169:170], v[172:173]
	v_add_f64 v[172:173], v[231:232], v[182:183]
	s_waitcnt vmcnt(8) lgkmcnt(0)
	v_mul_f64 v[182:183], v[2:3], v[12:13]
	v_mul_f64 v[12:13], v[4:5], v[12:13]
	ds_load_b128 v[229:232], v1 offset:1472
	v_fma_f64 v[176:177], v[176:177], v[6:7], v[233:234]
	v_fma_f64 v[174:175], v[174:175], v[6:7], -v[8:9]
	scratch_load_b128 v[6:9], off, off offset:720
	v_add_f64 v[169:170], v[169:170], v[237:238]
	v_add_f64 v[172:173], v[172:173], v[235:236]
	v_fma_f64 v[182:183], v[4:5], v[10:11], v[182:183]
	v_fma_f64 v[235:236], v[2:3], v[10:11], -v[12:13]
	scratch_load_b128 v[10:13], off, off offset:736
	ds_load_b128 v[2:5], v1 offset:1488
	s_waitcnt vmcnt(9) lgkmcnt(1)
	v_mul_f64 v[233:234], v[229:230], v[16:17]
	v_mul_f64 v[16:17], v[231:232], v[16:17]
	s_waitcnt vmcnt(8) lgkmcnt(0)
	v_mul_f64 v[237:238], v[2:3], v[20:21]
	v_mul_f64 v[20:21], v[4:5], v[20:21]
	v_add_f64 v[169:170], v[169:170], v[174:175]
	v_add_f64 v[176:177], v[172:173], v[176:177]
	ds_load_b128 v[172:175], v1 offset:1504
	v_fma_f64 v[231:232], v[231:232], v[14:15], v[233:234]
	v_fma_f64 v[229:230], v[229:230], v[14:15], -v[16:17]
	scratch_load_b128 v[14:17], off, off offset:752
	v_fma_f64 v[233:234], v[4:5], v[18:19], v[237:238]
	v_add_f64 v[169:170], v[169:170], v[235:236]
	v_add_f64 v[176:177], v[176:177], v[182:183]
	v_fma_f64 v[235:236], v[2:3], v[18:19], -v[20:21]
	scratch_load_b128 v[18:21], off, off offset:768
	ds_load_b128 v[2:5], v1 offset:1520
	s_waitcnt vmcnt(9) lgkmcnt(1)
	v_mul_f64 v[182:183], v[172:173], v[24:25]
	v_mul_f64 v[24:25], v[174:175], v[24:25]
	s_waitcnt vmcnt(8) lgkmcnt(0)
	v_mul_f64 v[237:238], v[2:3], v[28:29]
	v_mul_f64 v[28:29], v[4:5], v[28:29]
	v_add_f64 v[169:170], v[169:170], v[229:230]
	v_add_f64 v[176:177], v[176:177], v[231:232]
	ds_load_b128 v[229:232], v1 offset:1536
	v_fma_f64 v[174:175], v[174:175], v[22:23], v[182:183]
	v_fma_f64 v[172:173], v[172:173], v[22:23], -v[24:25]
	scratch_load_b128 v[22:25], off, off offset:784
	v_add_f64 v[169:170], v[169:170], v[235:236]
	v_add_f64 v[176:177], v[176:177], v[233:234]
	v_fma_f64 v[233:234], v[4:5], v[26:27], v[237:238]
	v_fma_f64 v[235:236], v[2:3], v[26:27], -v[28:29]
	scratch_load_b128 v[26:29], off, off offset:800
	ds_load_b128 v[2:5], v1 offset:1552
	s_waitcnt vmcnt(9) lgkmcnt(1)
	v_mul_f64 v[182:183], v[229:230], v[32:33]
	v_mul_f64 v[32:33], v[231:232], v[32:33]
	s_waitcnt vmcnt(8) lgkmcnt(0)
	v_mul_f64 v[237:238], v[2:3], v[36:37]
	v_mul_f64 v[36:37], v[4:5], v[36:37]
	v_add_f64 v[169:170], v[169:170], v[172:173]
	v_add_f64 v[176:177], v[176:177], v[174:175]
	ds_load_b128 v[172:175], v1 offset:1568
	v_fma_f64 v[182:183], v[231:232], v[30:31], v[182:183]
	v_fma_f64 v[229:230], v[229:230], v[30:31], -v[32:33]
	scratch_load_b128 v[30:33], off, off offset:816
	v_add_f64 v[169:170], v[169:170], v[235:236]
	v_add_f64 v[176:177], v[176:177], v[233:234]
	v_fma_f64 v[235:236], v[4:5], v[34:35], v[237:238]
	v_fma_f64 v[237:238], v[2:3], v[34:35], -v[36:37]
	scratch_load_b128 v[34:37], off, off offset:832
	ds_load_b128 v[2:5], v1 offset:1584
	s_waitcnt vmcnt(9) lgkmcnt(1)
	v_mul_f64 v[231:232], v[172:173], v[180:181]
	v_mul_f64 v[233:234], v[174:175], v[180:181]
	v_add_f64 v[169:170], v[169:170], v[229:230]
	v_add_f64 v[176:177], v[176:177], v[182:183]
	s_waitcnt vmcnt(8) lgkmcnt(0)
	v_mul_f64 v[229:230], v[2:3], v[40:41]
	v_mul_f64 v[40:41], v[4:5], v[40:41]
	ds_load_b128 v[180:183], v1 offset:1600
	v_fma_f64 v[231:232], v[174:175], v[178:179], v[231:232]
	v_fma_f64 v[178:179], v[172:173], v[178:179], -v[233:234]
	scratch_load_b128 v[172:175], off, off offset:848
	v_add_f64 v[169:170], v[169:170], v[237:238]
	v_add_f64 v[176:177], v[176:177], v[235:236]
	v_fma_f64 v[229:230], v[4:5], v[38:39], v[229:230]
	v_fma_f64 v[235:236], v[2:3], v[38:39], -v[40:41]
	scratch_load_b128 v[38:41], off, off offset:864
	ds_load_b128 v[2:5], v1 offset:1616
	s_waitcnt vmcnt(9) lgkmcnt(1)
	v_mul_f64 v[233:234], v[180:181], v[8:9]
	v_mul_f64 v[8:9], v[182:183], v[8:9]
	s_waitcnt vmcnt(8) lgkmcnt(0)
	v_mul_f64 v[237:238], v[2:3], v[12:13]
	v_mul_f64 v[12:13], v[4:5], v[12:13]
	v_add_f64 v[169:170], v[169:170], v[178:179]
	v_add_f64 v[231:232], v[176:177], v[231:232]
	ds_load_b128 v[176:179], v1 offset:1632
	v_fma_f64 v[182:183], v[182:183], v[6:7], v[233:234]
	v_fma_f64 v[6:7], v[180:181], v[6:7], -v[8:9]
	s_waitcnt vmcnt(7) lgkmcnt(0)
	v_mul_f64 v[180:181], v[176:177], v[16:17]
	v_mul_f64 v[16:17], v[178:179], v[16:17]
	v_add_f64 v[8:9], v[169:170], v[235:236]
	v_add_f64 v[169:170], v[231:232], v[229:230]
	v_fma_f64 v[229:230], v[4:5], v[10:11], v[237:238]
	v_fma_f64 v[10:11], v[2:3], v[10:11], -v[12:13]
	v_fma_f64 v[178:179], v[178:179], v[14:15], v[180:181]
	v_fma_f64 v[14:15], v[176:177], v[14:15], -v[16:17]
	v_add_f64 v[12:13], v[8:9], v[6:7]
	v_add_f64 v[169:170], v[169:170], v[182:183]
	ds_load_b128 v[2:5], v1 offset:1648
	ds_load_b128 v[6:9], v1 offset:1664
	s_waitcnt vmcnt(6) lgkmcnt(1)
	v_mul_f64 v[182:183], v[2:3], v[20:21]
	v_mul_f64 v[20:21], v[4:5], v[20:21]
	s_waitcnt vmcnt(5) lgkmcnt(0)
	v_mul_f64 v[16:17], v[6:7], v[24:25]
	v_mul_f64 v[24:25], v[8:9], v[24:25]
	v_add_f64 v[10:11], v[12:13], v[10:11]
	v_add_f64 v[12:13], v[169:170], v[229:230]
	v_fma_f64 v[169:170], v[4:5], v[18:19], v[182:183]
	v_fma_f64 v[18:19], v[2:3], v[18:19], -v[20:21]
	v_fma_f64 v[8:9], v[8:9], v[22:23], v[16:17]
	v_fma_f64 v[6:7], v[6:7], v[22:23], -v[24:25]
	v_add_f64 v[14:15], v[10:11], v[14:15]
	v_add_f64 v[20:21], v[12:13], v[178:179]
	ds_load_b128 v[2:5], v1 offset:1680
	ds_load_b128 v[10:13], v1 offset:1696
	s_waitcnt vmcnt(4) lgkmcnt(1)
	v_mul_f64 v[176:177], v[2:3], v[28:29]
	v_mul_f64 v[28:29], v[4:5], v[28:29]
	v_add_f64 v[14:15], v[14:15], v[18:19]
	v_add_f64 v[16:17], v[20:21], v[169:170]
	s_waitcnt vmcnt(3) lgkmcnt(0)
	v_mul_f64 v[18:19], v[10:11], v[32:33]
	v_mul_f64 v[20:21], v[12:13], v[32:33]
	v_fma_f64 v[22:23], v[4:5], v[26:27], v[176:177]
	v_fma_f64 v[24:25], v[2:3], v[26:27], -v[28:29]
	v_add_f64 v[14:15], v[14:15], v[6:7]
	v_add_f64 v[16:17], v[16:17], v[8:9]
	ds_load_b128 v[2:5], v1 offset:1712
	ds_load_b128 v[6:9], v1 offset:1728
	v_fma_f64 v[12:13], v[12:13], v[30:31], v[18:19]
	v_fma_f64 v[10:11], v[10:11], v[30:31], -v[20:21]
	s_waitcnt vmcnt(2) lgkmcnt(1)
	v_mul_f64 v[26:27], v[2:3], v[36:37]
	v_mul_f64 v[28:29], v[4:5], v[36:37]
	s_waitcnt vmcnt(1) lgkmcnt(0)
	v_mul_f64 v[18:19], v[6:7], v[174:175]
	v_mul_f64 v[20:21], v[8:9], v[174:175]
	v_add_f64 v[14:15], v[14:15], v[24:25]
	v_add_f64 v[16:17], v[16:17], v[22:23]
	v_fma_f64 v[22:23], v[4:5], v[34:35], v[26:27]
	v_fma_f64 v[24:25], v[2:3], v[34:35], -v[28:29]
	ds_load_b128 v[2:5], v1 offset:1744
	v_fma_f64 v[8:9], v[8:9], v[172:173], v[18:19]
	v_fma_f64 v[6:7], v[6:7], v[172:173], -v[20:21]
	v_add_f64 v[10:11], v[14:15], v[10:11]
	v_add_f64 v[12:13], v[16:17], v[12:13]
	s_waitcnt vmcnt(0) lgkmcnt(0)
	v_mul_f64 v[14:15], v[2:3], v[40:41]
	v_mul_f64 v[16:17], v[4:5], v[40:41]
	s_delay_alu instid0(VALU_DEP_4) | instskip(NEXT) | instid1(VALU_DEP_4)
	v_add_f64 v[10:11], v[10:11], v[24:25]
	v_add_f64 v[12:13], v[12:13], v[22:23]
	s_delay_alu instid0(VALU_DEP_4) | instskip(NEXT) | instid1(VALU_DEP_4)
	v_fma_f64 v[4:5], v[4:5], v[38:39], v[14:15]
	v_fma_f64 v[2:3], v[2:3], v[38:39], -v[16:17]
	s_delay_alu instid0(VALU_DEP_4) | instskip(NEXT) | instid1(VALU_DEP_4)
	v_add_f64 v[6:7], v[10:11], v[6:7]
	v_add_f64 v[8:9], v[12:13], v[8:9]
	s_delay_alu instid0(VALU_DEP_2) | instskip(NEXT) | instid1(VALU_DEP_2)
	v_add_f64 v[2:3], v[6:7], v[2:3]
	v_add_f64 v[4:5], v[8:9], v[4:5]
	s_delay_alu instid0(VALU_DEP_2) | instskip(NEXT) | instid1(VALU_DEP_2)
	v_add_f64 v[2:3], v[42:43], -v[2:3]
	v_add_f64 v[4:5], v[44:45], -v[4:5]
	scratch_store_b128 off, v[2:5], off offset:48
	v_cmpx_lt_u32_e32 2, v156
	s_cbranch_execz .LBB54_339
; %bb.338:
	scratch_load_b128 v[5:8], v209, off
	v_mov_b32_e32 v2, v1
	v_mov_b32_e32 v3, v1
	;; [unrolled: 1-line block ×3, first 2 shown]
	scratch_store_b128 off, v[1:4], off offset:32
	s_waitcnt vmcnt(0)
	ds_store_b128 v211, v[5:8]
.LBB54_339:
	s_or_b32 exec_lo, exec_lo, s2
	s_waitcnt lgkmcnt(0)
	s_waitcnt_vscnt null, 0x0
	s_barrier
	buffer_gl0_inv
	s_clause 0x8
	scratch_load_b128 v[2:5], off, off offset:48
	scratch_load_b128 v[6:9], off, off offset:64
	;; [unrolled: 1-line block ×9, first 2 shown]
	ds_load_b128 v[42:45], v1 offset:928
	ds_load_b128 v[38:41], v1 offset:944
	s_clause 0x1
	scratch_load_b128 v[172:175], off, off offset:32
	scratch_load_b128 v[176:179], off, off offset:192
	s_mov_b32 s2, exec_lo
	ds_load_b128 v[180:183], v1 offset:976
	s_waitcnt vmcnt(10) lgkmcnt(2)
	v_mul_f64 v[169:170], v[44:45], v[4:5]
	v_mul_f64 v[4:5], v[42:43], v[4:5]
	s_waitcnt vmcnt(9) lgkmcnt(1)
	v_mul_f64 v[229:230], v[38:39], v[8:9]
	v_mul_f64 v[8:9], v[40:41], v[8:9]
	s_delay_alu instid0(VALU_DEP_4) | instskip(NEXT) | instid1(VALU_DEP_4)
	v_fma_f64 v[169:170], v[42:43], v[2:3], -v[169:170]
	v_fma_f64 v[231:232], v[44:45], v[2:3], v[4:5]
	ds_load_b128 v[2:5], v1 offset:960
	scratch_load_b128 v[42:45], off, off offset:208
	v_fma_f64 v[40:41], v[40:41], v[6:7], v[229:230]
	v_fma_f64 v[38:39], v[38:39], v[6:7], -v[8:9]
	scratch_load_b128 v[6:9], off, off offset:224
	s_waitcnt vmcnt(10) lgkmcnt(0)
	v_mul_f64 v[233:234], v[2:3], v[12:13]
	v_mul_f64 v[12:13], v[4:5], v[12:13]
	v_add_f64 v[169:170], v[169:170], 0
	v_add_f64 v[229:230], v[231:232], 0
	s_waitcnt vmcnt(9)
	v_mul_f64 v[231:232], v[180:181], v[16:17]
	v_mul_f64 v[16:17], v[182:183], v[16:17]
	v_fma_f64 v[233:234], v[4:5], v[10:11], v[233:234]
	v_fma_f64 v[235:236], v[2:3], v[10:11], -v[12:13]
	ds_load_b128 v[2:5], v1 offset:992
	scratch_load_b128 v[10:13], off, off offset:240
	v_add_f64 v[169:170], v[169:170], v[38:39]
	v_add_f64 v[229:230], v[229:230], v[40:41]
	ds_load_b128 v[38:41], v1 offset:1008
	v_fma_f64 v[182:183], v[182:183], v[14:15], v[231:232]
	v_fma_f64 v[180:181], v[180:181], v[14:15], -v[16:17]
	scratch_load_b128 v[14:17], off, off offset:256
	s_waitcnt vmcnt(10) lgkmcnt(1)
	v_mul_f64 v[237:238], v[2:3], v[20:21]
	v_mul_f64 v[20:21], v[4:5], v[20:21]
	s_waitcnt vmcnt(9) lgkmcnt(0)
	v_mul_f64 v[231:232], v[38:39], v[24:25]
	v_mul_f64 v[24:25], v[40:41], v[24:25]
	v_add_f64 v[169:170], v[169:170], v[235:236]
	v_add_f64 v[229:230], v[229:230], v[233:234]
	v_fma_f64 v[233:234], v[4:5], v[18:19], v[237:238]
	v_fma_f64 v[235:236], v[2:3], v[18:19], -v[20:21]
	ds_load_b128 v[2:5], v1 offset:1024
	scratch_load_b128 v[18:21], off, off offset:272
	v_fma_f64 v[40:41], v[40:41], v[22:23], v[231:232]
	v_fma_f64 v[38:39], v[38:39], v[22:23], -v[24:25]
	scratch_load_b128 v[22:25], off, off offset:288
	v_add_f64 v[169:170], v[169:170], v[180:181]
	v_add_f64 v[229:230], v[229:230], v[182:183]
	ds_load_b128 v[180:183], v1 offset:1040
	s_waitcnt vmcnt(10) lgkmcnt(1)
	v_mul_f64 v[237:238], v[2:3], v[28:29]
	v_mul_f64 v[28:29], v[4:5], v[28:29]
	s_waitcnt vmcnt(9) lgkmcnt(0)
	v_mul_f64 v[231:232], v[180:181], v[32:33]
	v_mul_f64 v[32:33], v[182:183], v[32:33]
	v_add_f64 v[169:170], v[169:170], v[235:236]
	v_add_f64 v[229:230], v[229:230], v[233:234]
	v_fma_f64 v[233:234], v[4:5], v[26:27], v[237:238]
	v_fma_f64 v[235:236], v[2:3], v[26:27], -v[28:29]
	ds_load_b128 v[2:5], v1 offset:1056
	scratch_load_b128 v[26:29], off, off offset:304
	v_fma_f64 v[182:183], v[182:183], v[30:31], v[231:232]
	v_fma_f64 v[180:181], v[180:181], v[30:31], -v[32:33]
	scratch_load_b128 v[30:33], off, off offset:320
	v_add_f64 v[169:170], v[169:170], v[38:39]
	v_add_f64 v[229:230], v[229:230], v[40:41]
	ds_load_b128 v[38:41], v1 offset:1072
	s_waitcnt vmcnt(10) lgkmcnt(1)
	v_mul_f64 v[237:238], v[2:3], v[36:37]
	v_mul_f64 v[36:37], v[4:5], v[36:37]
	s_waitcnt vmcnt(8) lgkmcnt(0)
	v_mul_f64 v[231:232], v[38:39], v[178:179]
	v_add_f64 v[169:170], v[169:170], v[235:236]
	v_add_f64 v[229:230], v[229:230], v[233:234]
	v_mul_f64 v[233:234], v[40:41], v[178:179]
	v_fma_f64 v[235:236], v[4:5], v[34:35], v[237:238]
	v_fma_f64 v[237:238], v[2:3], v[34:35], -v[36:37]
	ds_load_b128 v[2:5], v1 offset:1088
	scratch_load_b128 v[34:37], off, off offset:336
	v_fma_f64 v[231:232], v[40:41], v[176:177], v[231:232]
	v_add_f64 v[169:170], v[169:170], v[180:181]
	v_add_f64 v[182:183], v[229:230], v[182:183]
	ds_load_b128 v[178:181], v1 offset:1104
	v_fma_f64 v[176:177], v[38:39], v[176:177], -v[233:234]
	scratch_load_b128 v[38:41], off, off offset:352
	s_waitcnt vmcnt(9) lgkmcnt(1)
	v_mul_f64 v[229:230], v[2:3], v[44:45]
	v_mul_f64 v[44:45], v[4:5], v[44:45]
	s_waitcnt vmcnt(8) lgkmcnt(0)
	v_mul_f64 v[233:234], v[178:179], v[8:9]
	v_mul_f64 v[8:9], v[180:181], v[8:9]
	v_add_f64 v[169:170], v[169:170], v[237:238]
	v_add_f64 v[182:183], v[182:183], v[235:236]
	v_fma_f64 v[235:236], v[4:5], v[42:43], v[229:230]
	v_fma_f64 v[237:238], v[2:3], v[42:43], -v[44:45]
	ds_load_b128 v[2:5], v1 offset:1120
	scratch_load_b128 v[42:45], off, off offset:368
	v_fma_f64 v[180:181], v[180:181], v[6:7], v[233:234]
	v_fma_f64 v[178:179], v[178:179], v[6:7], -v[8:9]
	scratch_load_b128 v[6:9], off, off offset:384
	v_add_f64 v[169:170], v[169:170], v[176:177]
	v_add_f64 v[176:177], v[182:183], v[231:232]
	ds_load_b128 v[229:232], v1 offset:1136
	s_waitcnt vmcnt(9) lgkmcnt(1)
	v_mul_f64 v[182:183], v[2:3], v[12:13]
	v_mul_f64 v[12:13], v[4:5], v[12:13]
	s_waitcnt vmcnt(8) lgkmcnt(0)
	v_mul_f64 v[233:234], v[229:230], v[16:17]
	v_mul_f64 v[16:17], v[231:232], v[16:17]
	v_add_f64 v[169:170], v[169:170], v[237:238]
	v_add_f64 v[176:177], v[176:177], v[235:236]
	v_fma_f64 v[182:183], v[4:5], v[10:11], v[182:183]
	v_fma_f64 v[235:236], v[2:3], v[10:11], -v[12:13]
	ds_load_b128 v[2:5], v1 offset:1152
	scratch_load_b128 v[10:13], off, off offset:400
	v_fma_f64 v[231:232], v[231:232], v[14:15], v[233:234]
	v_fma_f64 v[229:230], v[229:230], v[14:15], -v[16:17]
	scratch_load_b128 v[14:17], off, off offset:416
	v_add_f64 v[169:170], v[169:170], v[178:179]
	v_add_f64 v[180:181], v[176:177], v[180:181]
	ds_load_b128 v[176:179], v1 offset:1168
	s_waitcnt vmcnt(9) lgkmcnt(1)
	v_mul_f64 v[237:238], v[2:3], v[20:21]
	v_mul_f64 v[20:21], v[4:5], v[20:21]
	s_waitcnt vmcnt(8) lgkmcnt(0)
	v_mul_f64 v[233:234], v[176:177], v[24:25]
	v_mul_f64 v[24:25], v[178:179], v[24:25]
	v_add_f64 v[169:170], v[169:170], v[235:236]
	v_add_f64 v[180:181], v[180:181], v[182:183]
	v_fma_f64 v[235:236], v[4:5], v[18:19], v[237:238]
	v_fma_f64 v[237:238], v[2:3], v[18:19], -v[20:21]
	ds_load_b128 v[2:5], v1 offset:1184
	scratch_load_b128 v[18:21], off, off offset:432
	v_fma_f64 v[178:179], v[178:179], v[22:23], v[233:234]
	v_fma_f64 v[176:177], v[176:177], v[22:23], -v[24:25]
	scratch_load_b128 v[22:25], off, off offset:448
	v_add_f64 v[169:170], v[169:170], v[229:230]
	v_add_f64 v[229:230], v[180:181], v[231:232]
	ds_load_b128 v[180:183], v1 offset:1200
	s_waitcnt vmcnt(9) lgkmcnt(1)
	v_mul_f64 v[231:232], v[2:3], v[28:29]
	v_mul_f64 v[28:29], v[4:5], v[28:29]
	s_waitcnt vmcnt(8) lgkmcnt(0)
	v_mul_f64 v[233:234], v[180:181], v[32:33]
	v_mul_f64 v[32:33], v[182:183], v[32:33]
	v_add_f64 v[169:170], v[169:170], v[237:238]
	v_add_f64 v[229:230], v[229:230], v[235:236]
	v_fma_f64 v[231:232], v[4:5], v[26:27], v[231:232]
	v_fma_f64 v[235:236], v[2:3], v[26:27], -v[28:29]
	ds_load_b128 v[2:5], v1 offset:1216
	scratch_load_b128 v[26:29], off, off offset:464
	v_fma_f64 v[182:183], v[182:183], v[30:31], v[233:234]
	v_fma_f64 v[180:181], v[180:181], v[30:31], -v[32:33]
	scratch_load_b128 v[30:33], off, off offset:480
	v_add_f64 v[169:170], v[169:170], v[176:177]
	v_add_f64 v[229:230], v[229:230], v[178:179]
	ds_load_b128 v[176:179], v1 offset:1232
	s_waitcnt vmcnt(9) lgkmcnt(1)
	v_mul_f64 v[237:238], v[2:3], v[36:37]
	v_mul_f64 v[36:37], v[4:5], v[36:37]
	v_add_f64 v[169:170], v[169:170], v[235:236]
	v_add_f64 v[229:230], v[229:230], v[231:232]
	s_waitcnt vmcnt(8) lgkmcnt(0)
	v_mul_f64 v[231:232], v[176:177], v[40:41]
	v_mul_f64 v[40:41], v[178:179], v[40:41]
	v_fma_f64 v[233:234], v[4:5], v[34:35], v[237:238]
	v_fma_f64 v[235:236], v[2:3], v[34:35], -v[36:37]
	ds_load_b128 v[2:5], v1 offset:1248
	scratch_load_b128 v[34:37], off, off offset:496
	v_add_f64 v[169:170], v[169:170], v[180:181]
	v_add_f64 v[229:230], v[229:230], v[182:183]
	ds_load_b128 v[180:183], v1 offset:1264
	s_waitcnt vmcnt(8) lgkmcnt(1)
	v_mul_f64 v[237:238], v[2:3], v[44:45]
	v_mul_f64 v[44:45], v[4:5], v[44:45]
	v_fma_f64 v[178:179], v[178:179], v[38:39], v[231:232]
	v_fma_f64 v[176:177], v[176:177], v[38:39], -v[40:41]
	scratch_load_b128 v[38:41], off, off offset:512
	s_waitcnt vmcnt(8) lgkmcnt(0)
	v_mul_f64 v[231:232], v[180:181], v[8:9]
	v_mul_f64 v[8:9], v[182:183], v[8:9]
	v_add_f64 v[169:170], v[169:170], v[235:236]
	v_add_f64 v[229:230], v[229:230], v[233:234]
	v_fma_f64 v[233:234], v[4:5], v[42:43], v[237:238]
	v_fma_f64 v[235:236], v[2:3], v[42:43], -v[44:45]
	ds_load_b128 v[2:5], v1 offset:1280
	scratch_load_b128 v[42:45], off, off offset:528
	v_fma_f64 v[182:183], v[182:183], v[6:7], v[231:232]
	v_fma_f64 v[180:181], v[180:181], v[6:7], -v[8:9]
	scratch_load_b128 v[6:9], off, off offset:544
	v_add_f64 v[169:170], v[169:170], v[176:177]
	v_add_f64 v[229:230], v[229:230], v[178:179]
	ds_load_b128 v[176:179], v1 offset:1296
	s_waitcnt vmcnt(9) lgkmcnt(1)
	v_mul_f64 v[237:238], v[2:3], v[12:13]
	v_mul_f64 v[12:13], v[4:5], v[12:13]
	s_waitcnt vmcnt(8) lgkmcnt(0)
	v_mul_f64 v[231:232], v[176:177], v[16:17]
	v_mul_f64 v[16:17], v[178:179], v[16:17]
	v_add_f64 v[169:170], v[169:170], v[235:236]
	v_add_f64 v[229:230], v[229:230], v[233:234]
	v_fma_f64 v[233:234], v[4:5], v[10:11], v[237:238]
	v_fma_f64 v[235:236], v[2:3], v[10:11], -v[12:13]
	ds_load_b128 v[2:5], v1 offset:1312
	scratch_load_b128 v[10:13], off, off offset:560
	v_fma_f64 v[178:179], v[178:179], v[14:15], v[231:232]
	v_fma_f64 v[176:177], v[176:177], v[14:15], -v[16:17]
	scratch_load_b128 v[14:17], off, off offset:576
	v_add_f64 v[169:170], v[169:170], v[180:181]
	v_add_f64 v[229:230], v[229:230], v[182:183]
	ds_load_b128 v[180:183], v1 offset:1328
	s_waitcnt vmcnt(9) lgkmcnt(1)
	v_mul_f64 v[237:238], v[2:3], v[20:21]
	v_mul_f64 v[20:21], v[4:5], v[20:21]
	;; [unrolled: 18-line block ×11, first 2 shown]
	s_waitcnt vmcnt(8) lgkmcnt(0)
	v_mul_f64 v[231:232], v[176:177], v[16:17]
	v_mul_f64 v[16:17], v[178:179], v[16:17]
	v_add_f64 v[169:170], v[169:170], v[235:236]
	v_add_f64 v[229:230], v[229:230], v[233:234]
	v_fma_f64 v[233:234], v[4:5], v[10:11], v[237:238]
	v_fma_f64 v[235:236], v[2:3], v[10:11], -v[12:13]
	ds_load_b128 v[2:5], v1 offset:1632
	ds_load_b128 v[10:13], v1 offset:1648
	v_fma_f64 v[178:179], v[178:179], v[14:15], v[231:232]
	v_fma_f64 v[14:15], v[176:177], v[14:15], -v[16:17]
	v_add_f64 v[169:170], v[169:170], v[180:181]
	v_add_f64 v[180:181], v[229:230], v[182:183]
	s_waitcnt vmcnt(7) lgkmcnt(1)
	v_mul_f64 v[182:183], v[2:3], v[20:21]
	v_mul_f64 v[20:21], v[4:5], v[20:21]
	s_waitcnt vmcnt(6) lgkmcnt(0)
	v_mul_f64 v[176:177], v[10:11], v[24:25]
	v_mul_f64 v[24:25], v[12:13], v[24:25]
	v_add_f64 v[16:17], v[169:170], v[235:236]
	v_add_f64 v[169:170], v[180:181], v[233:234]
	v_fma_f64 v[180:181], v[4:5], v[18:19], v[182:183]
	v_fma_f64 v[18:19], v[2:3], v[18:19], -v[20:21]
	v_fma_f64 v[12:13], v[12:13], v[22:23], v[176:177]
	v_fma_f64 v[10:11], v[10:11], v[22:23], -v[24:25]
	v_add_f64 v[20:21], v[16:17], v[14:15]
	v_add_f64 v[169:170], v[169:170], v[178:179]
	ds_load_b128 v[2:5], v1 offset:1664
	ds_load_b128 v[14:17], v1 offset:1680
	s_waitcnt vmcnt(5) lgkmcnt(1)
	v_mul_f64 v[178:179], v[2:3], v[28:29]
	v_mul_f64 v[28:29], v[4:5], v[28:29]
	s_waitcnt vmcnt(4) lgkmcnt(0)
	v_mul_f64 v[22:23], v[14:15], v[32:33]
	v_mul_f64 v[24:25], v[16:17], v[32:33]
	v_add_f64 v[18:19], v[20:21], v[18:19]
	v_add_f64 v[20:21], v[169:170], v[180:181]
	v_fma_f64 v[32:33], v[4:5], v[26:27], v[178:179]
	v_fma_f64 v[26:27], v[2:3], v[26:27], -v[28:29]
	v_fma_f64 v[16:17], v[16:17], v[30:31], v[22:23]
	v_fma_f64 v[14:15], v[14:15], v[30:31], -v[24:25]
	v_add_f64 v[18:19], v[18:19], v[10:11]
	v_add_f64 v[20:21], v[20:21], v[12:13]
	ds_load_b128 v[2:5], v1 offset:1696
	ds_load_b128 v[10:13], v1 offset:1712
	;; [unrolled: 16-line block ×3, first 2 shown]
	s_waitcnt vmcnt(1) lgkmcnt(1)
	v_mul_f64 v[30:31], v[2:3], v[44:45]
	v_mul_f64 v[32:33], v[4:5], v[44:45]
	s_waitcnt vmcnt(0) lgkmcnt(0)
	v_mul_f64 v[22:23], v[14:15], v[8:9]
	v_mul_f64 v[8:9], v[16:17], v[8:9]
	v_add_f64 v[18:19], v[18:19], v[28:29]
	v_add_f64 v[20:21], v[20:21], v[26:27]
	v_fma_f64 v[4:5], v[4:5], v[42:43], v[30:31]
	v_fma_f64 v[1:2], v[2:3], v[42:43], -v[32:33]
	v_fma_f64 v[16:17], v[16:17], v[6:7], v[22:23]
	v_fma_f64 v[6:7], v[14:15], v[6:7], -v[8:9]
	v_add_f64 v[10:11], v[18:19], v[10:11]
	v_add_f64 v[12:13], v[20:21], v[12:13]
	s_delay_alu instid0(VALU_DEP_2) | instskip(NEXT) | instid1(VALU_DEP_2)
	v_add_f64 v[1:2], v[10:11], v[1:2]
	v_add_f64 v[3:4], v[12:13], v[4:5]
	s_delay_alu instid0(VALU_DEP_2) | instskip(NEXT) | instid1(VALU_DEP_2)
	;; [unrolled: 3-line block ×3, first 2 shown]
	v_add_f64 v[1:2], v[172:173], -v[1:2]
	v_add_f64 v[3:4], v[174:175], -v[3:4]
	scratch_store_b128 off, v[1:4], off offset:32
	v_cmpx_lt_u32_e32 1, v156
	s_cbranch_execz .LBB54_341
; %bb.340:
	scratch_load_b128 v[1:4], v210, off
	v_mov_b32_e32 v5, 0
	s_delay_alu instid0(VALU_DEP_1)
	v_mov_b32_e32 v6, v5
	v_mov_b32_e32 v7, v5
	;; [unrolled: 1-line block ×3, first 2 shown]
	scratch_store_b128 off, v[5:8], off offset:16
	s_waitcnt vmcnt(0)
	ds_store_b128 v211, v[1:4]
.LBB54_341:
	s_or_b32 exec_lo, exec_lo, s2
	s_waitcnt lgkmcnt(0)
	s_waitcnt_vscnt null, 0x0
	s_barrier
	buffer_gl0_inv
	s_clause 0x7
	scratch_load_b128 v[2:5], off, off offset:32
	scratch_load_b128 v[6:9], off, off offset:48
	;; [unrolled: 1-line block ×8, first 2 shown]
	v_mov_b32_e32 v1, 0
	s_mov_b32 s2, exec_lo
	ds_load_b128 v[38:41], v1 offset:912
	s_clause 0x1
	scratch_load_b128 v[34:37], off, off offset:160
	scratch_load_b128 v[42:45], off, off offset:16
	ds_load_b128 v[172:175], v1 offset:928
	scratch_load_b128 v[176:179], off, off offset:176
	ds_load_b128 v[180:183], v1 offset:960
	s_waitcnt vmcnt(10) lgkmcnt(2)
	v_mul_f64 v[169:170], v[40:41], v[4:5]
	v_mul_f64 v[4:5], v[38:39], v[4:5]
	s_delay_alu instid0(VALU_DEP_2) | instskip(NEXT) | instid1(VALU_DEP_2)
	v_fma_f64 v[169:170], v[38:39], v[2:3], -v[169:170]
	v_fma_f64 v[231:232], v[40:41], v[2:3], v[4:5]
	ds_load_b128 v[2:5], v1 offset:944
	s_waitcnt vmcnt(9) lgkmcnt(2)
	v_mul_f64 v[229:230], v[172:173], v[8:9]
	v_mul_f64 v[8:9], v[174:175], v[8:9]
	scratch_load_b128 v[38:41], off, off offset:192
	s_waitcnt vmcnt(9) lgkmcnt(0)
	v_mul_f64 v[233:234], v[2:3], v[12:13]
	v_mul_f64 v[12:13], v[4:5], v[12:13]
	v_add_f64 v[169:170], v[169:170], 0
	v_fma_f64 v[174:175], v[174:175], v[6:7], v[229:230]
	v_fma_f64 v[172:173], v[172:173], v[6:7], -v[8:9]
	v_add_f64 v[229:230], v[231:232], 0
	scratch_load_b128 v[6:9], off, off offset:208
	v_fma_f64 v[233:234], v[4:5], v[10:11], v[233:234]
	v_fma_f64 v[235:236], v[2:3], v[10:11], -v[12:13]
	scratch_load_b128 v[10:13], off, off offset:224
	ds_load_b128 v[2:5], v1 offset:976
	s_waitcnt vmcnt(10)
	v_mul_f64 v[231:232], v[180:181], v[16:17]
	v_mul_f64 v[16:17], v[182:183], v[16:17]
	v_add_f64 v[169:170], v[169:170], v[172:173]
	v_add_f64 v[229:230], v[229:230], v[174:175]
	ds_load_b128 v[172:175], v1 offset:992
	s_waitcnt vmcnt(9) lgkmcnt(1)
	v_mul_f64 v[237:238], v[2:3], v[20:21]
	v_mul_f64 v[20:21], v[4:5], v[20:21]
	v_fma_f64 v[182:183], v[182:183], v[14:15], v[231:232]
	v_fma_f64 v[180:181], v[180:181], v[14:15], -v[16:17]
	scratch_load_b128 v[14:17], off, off offset:240
	v_add_f64 v[169:170], v[169:170], v[235:236]
	v_add_f64 v[229:230], v[229:230], v[233:234]
	v_fma_f64 v[233:234], v[4:5], v[18:19], v[237:238]
	v_fma_f64 v[235:236], v[2:3], v[18:19], -v[20:21]
	scratch_load_b128 v[18:21], off, off offset:256
	ds_load_b128 v[2:5], v1 offset:1008
	s_waitcnt vmcnt(10) lgkmcnt(1)
	v_mul_f64 v[231:232], v[172:173], v[24:25]
	v_mul_f64 v[24:25], v[174:175], v[24:25]
	s_waitcnt vmcnt(9) lgkmcnt(0)
	v_mul_f64 v[237:238], v[2:3], v[28:29]
	v_mul_f64 v[28:29], v[4:5], v[28:29]
	v_add_f64 v[169:170], v[169:170], v[180:181]
	v_add_f64 v[229:230], v[229:230], v[182:183]
	ds_load_b128 v[180:183], v1 offset:1024
	v_fma_f64 v[174:175], v[174:175], v[22:23], v[231:232]
	v_fma_f64 v[172:173], v[172:173], v[22:23], -v[24:25]
	scratch_load_b128 v[22:25], off, off offset:272
	v_add_f64 v[169:170], v[169:170], v[235:236]
	v_add_f64 v[229:230], v[229:230], v[233:234]
	v_fma_f64 v[233:234], v[4:5], v[26:27], v[237:238]
	v_fma_f64 v[235:236], v[2:3], v[26:27], -v[28:29]
	scratch_load_b128 v[26:29], off, off offset:288
	ds_load_b128 v[2:5], v1 offset:1040
	s_waitcnt vmcnt(10) lgkmcnt(1)
	v_mul_f64 v[231:232], v[180:181], v[32:33]
	v_mul_f64 v[32:33], v[182:183], v[32:33]
	s_waitcnt vmcnt(9) lgkmcnt(0)
	v_mul_f64 v[237:238], v[2:3], v[36:37]
	v_mul_f64 v[36:37], v[4:5], v[36:37]
	v_add_f64 v[169:170], v[169:170], v[172:173]
	v_add_f64 v[229:230], v[229:230], v[174:175]
	ds_load_b128 v[172:175], v1 offset:1056
	v_fma_f64 v[182:183], v[182:183], v[30:31], v[231:232]
	v_fma_f64 v[180:181], v[180:181], v[30:31], -v[32:33]
	scratch_load_b128 v[30:33], off, off offset:304
	v_add_f64 v[169:170], v[169:170], v[235:236]
	v_add_f64 v[229:230], v[229:230], v[233:234]
	v_fma_f64 v[235:236], v[4:5], v[34:35], v[237:238]
	v_fma_f64 v[237:238], v[2:3], v[34:35], -v[36:37]
	scratch_load_b128 v[34:37], off, off offset:320
	ds_load_b128 v[2:5], v1 offset:1072
	s_waitcnt vmcnt(9) lgkmcnt(1)
	v_mul_f64 v[231:232], v[172:173], v[178:179]
	v_mul_f64 v[233:234], v[174:175], v[178:179]
	v_add_f64 v[169:170], v[169:170], v[180:181]
	v_add_f64 v[182:183], v[229:230], v[182:183]
	ds_load_b128 v[178:181], v1 offset:1088
	v_fma_f64 v[231:232], v[174:175], v[176:177], v[231:232]
	v_fma_f64 v[176:177], v[172:173], v[176:177], -v[233:234]
	scratch_load_b128 v[172:175], off, off offset:336
	s_waitcnt vmcnt(9) lgkmcnt(1)
	v_mul_f64 v[229:230], v[2:3], v[40:41]
	v_mul_f64 v[40:41], v[4:5], v[40:41]
	v_add_f64 v[169:170], v[169:170], v[237:238]
	v_add_f64 v[182:183], v[182:183], v[235:236]
	s_delay_alu instid0(VALU_DEP_4) | instskip(NEXT) | instid1(VALU_DEP_4)
	v_fma_f64 v[235:236], v[4:5], v[38:39], v[229:230]
	v_fma_f64 v[237:238], v[2:3], v[38:39], -v[40:41]
	scratch_load_b128 v[38:41], off, off offset:352
	ds_load_b128 v[2:5], v1 offset:1104
	s_waitcnt vmcnt(9) lgkmcnt(1)
	v_mul_f64 v[233:234], v[178:179], v[8:9]
	v_mul_f64 v[8:9], v[180:181], v[8:9]
	v_add_f64 v[169:170], v[169:170], v[176:177]
	v_add_f64 v[176:177], v[182:183], v[231:232]
	s_waitcnt vmcnt(8) lgkmcnt(0)
	v_mul_f64 v[182:183], v[2:3], v[12:13]
	v_mul_f64 v[12:13], v[4:5], v[12:13]
	ds_load_b128 v[229:232], v1 offset:1120
	v_fma_f64 v[180:181], v[180:181], v[6:7], v[233:234]
	v_fma_f64 v[178:179], v[178:179], v[6:7], -v[8:9]
	scratch_load_b128 v[6:9], off, off offset:368
	v_add_f64 v[169:170], v[169:170], v[237:238]
	v_add_f64 v[176:177], v[176:177], v[235:236]
	v_fma_f64 v[182:183], v[4:5], v[10:11], v[182:183]
	v_fma_f64 v[235:236], v[2:3], v[10:11], -v[12:13]
	scratch_load_b128 v[10:13], off, off offset:384
	ds_load_b128 v[2:5], v1 offset:1136
	s_waitcnt vmcnt(9) lgkmcnt(1)
	v_mul_f64 v[233:234], v[229:230], v[16:17]
	v_mul_f64 v[16:17], v[231:232], v[16:17]
	s_waitcnt vmcnt(8) lgkmcnt(0)
	v_mul_f64 v[237:238], v[2:3], v[20:21]
	v_mul_f64 v[20:21], v[4:5], v[20:21]
	v_add_f64 v[169:170], v[169:170], v[178:179]
	v_add_f64 v[180:181], v[176:177], v[180:181]
	ds_load_b128 v[176:179], v1 offset:1152
	v_fma_f64 v[231:232], v[231:232], v[14:15], v[233:234]
	v_fma_f64 v[229:230], v[229:230], v[14:15], -v[16:17]
	scratch_load_b128 v[14:17], off, off offset:400
	v_add_f64 v[169:170], v[169:170], v[235:236]
	v_add_f64 v[180:181], v[180:181], v[182:183]
	v_fma_f64 v[235:236], v[4:5], v[18:19], v[237:238]
	v_fma_f64 v[237:238], v[2:3], v[18:19], -v[20:21]
	scratch_load_b128 v[18:21], off, off offset:416
	ds_load_b128 v[2:5], v1 offset:1168
	s_waitcnt vmcnt(9) lgkmcnt(1)
	v_mul_f64 v[233:234], v[176:177], v[24:25]
	v_mul_f64 v[24:25], v[178:179], v[24:25]
	v_add_f64 v[169:170], v[169:170], v[229:230]
	v_add_f64 v[229:230], v[180:181], v[231:232]
	s_waitcnt vmcnt(8) lgkmcnt(0)
	v_mul_f64 v[231:232], v[2:3], v[28:29]
	v_mul_f64 v[28:29], v[4:5], v[28:29]
	ds_load_b128 v[180:183], v1 offset:1184
	v_fma_f64 v[178:179], v[178:179], v[22:23], v[233:234]
	v_fma_f64 v[176:177], v[176:177], v[22:23], -v[24:25]
	scratch_load_b128 v[22:25], off, off offset:432
	v_add_f64 v[169:170], v[169:170], v[237:238]
	v_add_f64 v[229:230], v[229:230], v[235:236]
	v_fma_f64 v[231:232], v[4:5], v[26:27], v[231:232]
	v_fma_f64 v[235:236], v[2:3], v[26:27], -v[28:29]
	scratch_load_b128 v[26:29], off, off offset:448
	ds_load_b128 v[2:5], v1 offset:1200
	s_waitcnt vmcnt(9) lgkmcnt(1)
	v_mul_f64 v[233:234], v[180:181], v[32:33]
	v_mul_f64 v[32:33], v[182:183], v[32:33]
	s_waitcnt vmcnt(8) lgkmcnt(0)
	v_mul_f64 v[237:238], v[2:3], v[36:37]
	v_mul_f64 v[36:37], v[4:5], v[36:37]
	v_add_f64 v[169:170], v[169:170], v[176:177]
	v_add_f64 v[229:230], v[229:230], v[178:179]
	ds_load_b128 v[176:179], v1 offset:1216
	v_fma_f64 v[182:183], v[182:183], v[30:31], v[233:234]
	v_fma_f64 v[180:181], v[180:181], v[30:31], -v[32:33]
	scratch_load_b128 v[30:33], off, off offset:464
	v_fma_f64 v[233:234], v[4:5], v[34:35], v[237:238]
	v_add_f64 v[169:170], v[169:170], v[235:236]
	v_add_f64 v[229:230], v[229:230], v[231:232]
	v_fma_f64 v[235:236], v[2:3], v[34:35], -v[36:37]
	scratch_load_b128 v[34:37], off, off offset:480
	ds_load_b128 v[2:5], v1 offset:1232
	s_waitcnt vmcnt(9) lgkmcnt(1)
	v_mul_f64 v[231:232], v[176:177], v[174:175]
	v_mul_f64 v[174:175], v[178:179], v[174:175]
	s_waitcnt vmcnt(8) lgkmcnt(0)
	v_mul_f64 v[237:238], v[2:3], v[40:41]
	v_mul_f64 v[40:41], v[4:5], v[40:41]
	v_add_f64 v[169:170], v[169:170], v[180:181]
	v_add_f64 v[229:230], v[229:230], v[182:183]
	ds_load_b128 v[180:183], v1 offset:1248
	v_fma_f64 v[178:179], v[178:179], v[172:173], v[231:232]
	v_fma_f64 v[176:177], v[176:177], v[172:173], -v[174:175]
	scratch_load_b128 v[172:175], off, off offset:496
	v_add_f64 v[169:170], v[169:170], v[235:236]
	v_add_f64 v[229:230], v[229:230], v[233:234]
	v_fma_f64 v[233:234], v[4:5], v[38:39], v[237:238]
	v_fma_f64 v[235:236], v[2:3], v[38:39], -v[40:41]
	scratch_load_b128 v[38:41], off, off offset:512
	ds_load_b128 v[2:5], v1 offset:1264
	s_waitcnt vmcnt(9) lgkmcnt(1)
	v_mul_f64 v[231:232], v[180:181], v[8:9]
	v_mul_f64 v[8:9], v[182:183], v[8:9]
	s_waitcnt vmcnt(8) lgkmcnt(0)
	v_mul_f64 v[237:238], v[2:3], v[12:13]
	v_mul_f64 v[12:13], v[4:5], v[12:13]
	v_add_f64 v[169:170], v[169:170], v[176:177]
	v_add_f64 v[229:230], v[229:230], v[178:179]
	ds_load_b128 v[176:179], v1 offset:1280
	v_fma_f64 v[182:183], v[182:183], v[6:7], v[231:232]
	v_fma_f64 v[180:181], v[180:181], v[6:7], -v[8:9]
	scratch_load_b128 v[6:9], off, off offset:528
	v_add_f64 v[169:170], v[169:170], v[235:236]
	v_add_f64 v[229:230], v[229:230], v[233:234]
	v_fma_f64 v[233:234], v[4:5], v[10:11], v[237:238]
	;; [unrolled: 18-line block ×5, first 2 shown]
	v_fma_f64 v[237:238], v[2:3], v[34:35], -v[36:37]
	scratch_load_b128 v[34:37], off, off offset:640
	ds_load_b128 v[2:5], v1 offset:1392
	s_waitcnt vmcnt(9) lgkmcnt(1)
	v_mul_f64 v[231:232], v[180:181], v[174:175]
	v_mul_f64 v[233:234], v[182:183], v[174:175]
	v_add_f64 v[169:170], v[169:170], v[176:177]
	v_add_f64 v[178:179], v[229:230], v[178:179]
	s_waitcnt vmcnt(8) lgkmcnt(0)
	v_mul_f64 v[229:230], v[2:3], v[40:41]
	v_mul_f64 v[40:41], v[4:5], v[40:41]
	ds_load_b128 v[174:177], v1 offset:1408
	v_fma_f64 v[182:183], v[182:183], v[172:173], v[231:232]
	v_fma_f64 v[172:173], v[180:181], v[172:173], -v[233:234]
	v_add_f64 v[169:170], v[169:170], v[237:238]
	v_add_f64 v[231:232], v[178:179], v[235:236]
	scratch_load_b128 v[178:181], off, off offset:656
	v_fma_f64 v[235:236], v[4:5], v[38:39], v[229:230]
	v_fma_f64 v[237:238], v[2:3], v[38:39], -v[40:41]
	scratch_load_b128 v[38:41], off, off offset:672
	ds_load_b128 v[2:5], v1 offset:1424
	s_waitcnt vmcnt(9) lgkmcnt(1)
	v_mul_f64 v[233:234], v[174:175], v[8:9]
	v_mul_f64 v[8:9], v[176:177], v[8:9]
	v_add_f64 v[169:170], v[169:170], v[172:173]
	v_add_f64 v[172:173], v[231:232], v[182:183]
	s_waitcnt vmcnt(8) lgkmcnt(0)
	v_mul_f64 v[182:183], v[2:3], v[12:13]
	v_mul_f64 v[12:13], v[4:5], v[12:13]
	ds_load_b128 v[229:232], v1 offset:1440
	v_fma_f64 v[176:177], v[176:177], v[6:7], v[233:234]
	v_fma_f64 v[174:175], v[174:175], v[6:7], -v[8:9]
	scratch_load_b128 v[6:9], off, off offset:688
	v_add_f64 v[169:170], v[169:170], v[237:238]
	v_add_f64 v[172:173], v[172:173], v[235:236]
	v_fma_f64 v[182:183], v[4:5], v[10:11], v[182:183]
	v_fma_f64 v[235:236], v[2:3], v[10:11], -v[12:13]
	scratch_load_b128 v[10:13], off, off offset:704
	ds_load_b128 v[2:5], v1 offset:1456
	s_waitcnt vmcnt(9) lgkmcnt(1)
	v_mul_f64 v[233:234], v[229:230], v[16:17]
	v_mul_f64 v[16:17], v[231:232], v[16:17]
	s_waitcnt vmcnt(8) lgkmcnt(0)
	v_mul_f64 v[237:238], v[2:3], v[20:21]
	v_mul_f64 v[20:21], v[4:5], v[20:21]
	v_add_f64 v[169:170], v[169:170], v[174:175]
	v_add_f64 v[176:177], v[172:173], v[176:177]
	ds_load_b128 v[172:175], v1 offset:1472
	v_fma_f64 v[231:232], v[231:232], v[14:15], v[233:234]
	v_fma_f64 v[229:230], v[229:230], v[14:15], -v[16:17]
	scratch_load_b128 v[14:17], off, off offset:720
	v_fma_f64 v[233:234], v[4:5], v[18:19], v[237:238]
	v_add_f64 v[169:170], v[169:170], v[235:236]
	v_add_f64 v[176:177], v[176:177], v[182:183]
	v_fma_f64 v[235:236], v[2:3], v[18:19], -v[20:21]
	scratch_load_b128 v[18:21], off, off offset:736
	ds_load_b128 v[2:5], v1 offset:1488
	s_waitcnt vmcnt(9) lgkmcnt(1)
	v_mul_f64 v[182:183], v[172:173], v[24:25]
	v_mul_f64 v[24:25], v[174:175], v[24:25]
	s_waitcnt vmcnt(8) lgkmcnt(0)
	v_mul_f64 v[237:238], v[2:3], v[28:29]
	v_mul_f64 v[28:29], v[4:5], v[28:29]
	v_add_f64 v[169:170], v[169:170], v[229:230]
	v_add_f64 v[176:177], v[176:177], v[231:232]
	ds_load_b128 v[229:232], v1 offset:1504
	v_fma_f64 v[174:175], v[174:175], v[22:23], v[182:183]
	v_fma_f64 v[172:173], v[172:173], v[22:23], -v[24:25]
	scratch_load_b128 v[22:25], off, off offset:752
	v_add_f64 v[169:170], v[169:170], v[235:236]
	v_add_f64 v[176:177], v[176:177], v[233:234]
	v_fma_f64 v[233:234], v[4:5], v[26:27], v[237:238]
	v_fma_f64 v[235:236], v[2:3], v[26:27], -v[28:29]
	scratch_load_b128 v[26:29], off, off offset:768
	ds_load_b128 v[2:5], v1 offset:1520
	s_waitcnt vmcnt(9) lgkmcnt(1)
	v_mul_f64 v[182:183], v[229:230], v[32:33]
	v_mul_f64 v[32:33], v[231:232], v[32:33]
	s_waitcnt vmcnt(8) lgkmcnt(0)
	v_mul_f64 v[237:238], v[2:3], v[36:37]
	v_mul_f64 v[36:37], v[4:5], v[36:37]
	v_add_f64 v[169:170], v[169:170], v[172:173]
	v_add_f64 v[176:177], v[176:177], v[174:175]
	ds_load_b128 v[172:175], v1 offset:1536
	v_fma_f64 v[182:183], v[231:232], v[30:31], v[182:183]
	v_fma_f64 v[229:230], v[229:230], v[30:31], -v[32:33]
	scratch_load_b128 v[30:33], off, off offset:784
	v_add_f64 v[169:170], v[169:170], v[235:236]
	v_add_f64 v[176:177], v[176:177], v[233:234]
	v_fma_f64 v[235:236], v[4:5], v[34:35], v[237:238]
	v_fma_f64 v[237:238], v[2:3], v[34:35], -v[36:37]
	scratch_load_b128 v[34:37], off, off offset:800
	ds_load_b128 v[2:5], v1 offset:1552
	s_waitcnt vmcnt(9) lgkmcnt(1)
	v_mul_f64 v[231:232], v[172:173], v[180:181]
	v_mul_f64 v[233:234], v[174:175], v[180:181]
	v_add_f64 v[169:170], v[169:170], v[229:230]
	v_add_f64 v[176:177], v[176:177], v[182:183]
	s_waitcnt vmcnt(8) lgkmcnt(0)
	v_mul_f64 v[229:230], v[2:3], v[40:41]
	v_mul_f64 v[40:41], v[4:5], v[40:41]
	ds_load_b128 v[180:183], v1 offset:1568
	v_fma_f64 v[231:232], v[174:175], v[178:179], v[231:232]
	v_fma_f64 v[178:179], v[172:173], v[178:179], -v[233:234]
	scratch_load_b128 v[172:175], off, off offset:816
	v_add_f64 v[169:170], v[169:170], v[237:238]
	v_add_f64 v[176:177], v[176:177], v[235:236]
	v_fma_f64 v[229:230], v[4:5], v[38:39], v[229:230]
	v_fma_f64 v[235:236], v[2:3], v[38:39], -v[40:41]
	scratch_load_b128 v[38:41], off, off offset:832
	ds_load_b128 v[2:5], v1 offset:1584
	s_waitcnt vmcnt(9) lgkmcnt(1)
	v_mul_f64 v[233:234], v[180:181], v[8:9]
	v_mul_f64 v[8:9], v[182:183], v[8:9]
	s_waitcnt vmcnt(8) lgkmcnt(0)
	v_mul_f64 v[237:238], v[2:3], v[12:13]
	v_mul_f64 v[12:13], v[4:5], v[12:13]
	v_add_f64 v[169:170], v[169:170], v[178:179]
	v_add_f64 v[231:232], v[176:177], v[231:232]
	ds_load_b128 v[176:179], v1 offset:1600
	v_fma_f64 v[182:183], v[182:183], v[6:7], v[233:234]
	v_fma_f64 v[180:181], v[180:181], v[6:7], -v[8:9]
	scratch_load_b128 v[6:9], off, off offset:848
	v_fma_f64 v[233:234], v[4:5], v[10:11], v[237:238]
	v_add_f64 v[169:170], v[169:170], v[235:236]
	v_add_f64 v[229:230], v[231:232], v[229:230]
	v_fma_f64 v[235:236], v[2:3], v[10:11], -v[12:13]
	scratch_load_b128 v[10:13], off, off offset:864
	ds_load_b128 v[2:5], v1 offset:1616
	s_waitcnt vmcnt(9) lgkmcnt(1)
	v_mul_f64 v[231:232], v[176:177], v[16:17]
	v_mul_f64 v[16:17], v[178:179], v[16:17]
	s_waitcnt vmcnt(8) lgkmcnt(0)
	v_mul_f64 v[237:238], v[2:3], v[20:21]
	v_mul_f64 v[20:21], v[4:5], v[20:21]
	v_add_f64 v[169:170], v[169:170], v[180:181]
	v_add_f64 v[229:230], v[229:230], v[182:183]
	ds_load_b128 v[180:183], v1 offset:1632
	v_fma_f64 v[178:179], v[178:179], v[14:15], v[231:232]
	v_fma_f64 v[14:15], v[176:177], v[14:15], -v[16:17]
	s_waitcnt vmcnt(7) lgkmcnt(0)
	v_mul_f64 v[176:177], v[180:181], v[24:25]
	v_mul_f64 v[24:25], v[182:183], v[24:25]
	v_add_f64 v[16:17], v[169:170], v[235:236]
	v_add_f64 v[169:170], v[229:230], v[233:234]
	v_fma_f64 v[229:230], v[4:5], v[18:19], v[237:238]
	v_fma_f64 v[18:19], v[2:3], v[18:19], -v[20:21]
	v_fma_f64 v[176:177], v[182:183], v[22:23], v[176:177]
	v_fma_f64 v[22:23], v[180:181], v[22:23], -v[24:25]
	v_add_f64 v[20:21], v[16:17], v[14:15]
	v_add_f64 v[169:170], v[169:170], v[178:179]
	ds_load_b128 v[2:5], v1 offset:1648
	ds_load_b128 v[14:17], v1 offset:1664
	s_waitcnt vmcnt(6) lgkmcnt(1)
	v_mul_f64 v[178:179], v[2:3], v[28:29]
	v_mul_f64 v[28:29], v[4:5], v[28:29]
	s_waitcnt vmcnt(5) lgkmcnt(0)
	v_mul_f64 v[24:25], v[14:15], v[32:33]
	v_mul_f64 v[32:33], v[16:17], v[32:33]
	v_add_f64 v[18:19], v[20:21], v[18:19]
	v_add_f64 v[20:21], v[169:170], v[229:230]
	v_fma_f64 v[169:170], v[4:5], v[26:27], v[178:179]
	v_fma_f64 v[26:27], v[2:3], v[26:27], -v[28:29]
	v_fma_f64 v[16:17], v[16:17], v[30:31], v[24:25]
	v_fma_f64 v[14:15], v[14:15], v[30:31], -v[32:33]
	v_add_f64 v[22:23], v[18:19], v[22:23]
	v_add_f64 v[28:29], v[20:21], v[176:177]
	ds_load_b128 v[2:5], v1 offset:1680
	ds_load_b128 v[18:21], v1 offset:1696
	s_waitcnt vmcnt(4) lgkmcnt(1)
	v_mul_f64 v[176:177], v[2:3], v[36:37]
	v_mul_f64 v[36:37], v[4:5], v[36:37]
	v_add_f64 v[22:23], v[22:23], v[26:27]
	v_add_f64 v[24:25], v[28:29], v[169:170]
	s_waitcnt vmcnt(3) lgkmcnt(0)
	v_mul_f64 v[26:27], v[18:19], v[174:175]
	v_mul_f64 v[28:29], v[20:21], v[174:175]
	v_fma_f64 v[30:31], v[4:5], v[34:35], v[176:177]
	v_fma_f64 v[32:33], v[2:3], v[34:35], -v[36:37]
	v_add_f64 v[22:23], v[22:23], v[14:15]
	v_add_f64 v[24:25], v[24:25], v[16:17]
	ds_load_b128 v[2:5], v1 offset:1712
	ds_load_b128 v[14:17], v1 offset:1728
	v_fma_f64 v[20:21], v[20:21], v[172:173], v[26:27]
	v_fma_f64 v[18:19], v[18:19], v[172:173], -v[28:29]
	s_waitcnt vmcnt(2) lgkmcnt(1)
	v_mul_f64 v[34:35], v[2:3], v[40:41]
	v_mul_f64 v[36:37], v[4:5], v[40:41]
	s_waitcnt vmcnt(1) lgkmcnt(0)
	v_mul_f64 v[26:27], v[14:15], v[8:9]
	v_mul_f64 v[8:9], v[16:17], v[8:9]
	v_add_f64 v[22:23], v[22:23], v[32:33]
	v_add_f64 v[24:25], v[24:25], v[30:31]
	v_fma_f64 v[28:29], v[4:5], v[38:39], v[34:35]
	v_fma_f64 v[30:31], v[2:3], v[38:39], -v[36:37]
	ds_load_b128 v[2:5], v1 offset:1744
	v_fma_f64 v[16:17], v[16:17], v[6:7], v[26:27]
	v_fma_f64 v[6:7], v[14:15], v[6:7], -v[8:9]
	v_add_f64 v[18:19], v[22:23], v[18:19]
	v_add_f64 v[20:21], v[24:25], v[20:21]
	s_waitcnt vmcnt(0) lgkmcnt(0)
	v_mul_f64 v[22:23], v[2:3], v[12:13]
	v_mul_f64 v[12:13], v[4:5], v[12:13]
	s_delay_alu instid0(VALU_DEP_4) | instskip(NEXT) | instid1(VALU_DEP_4)
	v_add_f64 v[8:9], v[18:19], v[30:31]
	v_add_f64 v[14:15], v[20:21], v[28:29]
	s_delay_alu instid0(VALU_DEP_4) | instskip(NEXT) | instid1(VALU_DEP_4)
	v_fma_f64 v[4:5], v[4:5], v[10:11], v[22:23]
	v_fma_f64 v[2:3], v[2:3], v[10:11], -v[12:13]
	s_delay_alu instid0(VALU_DEP_4) | instskip(NEXT) | instid1(VALU_DEP_4)
	v_add_f64 v[6:7], v[8:9], v[6:7]
	v_add_f64 v[8:9], v[14:15], v[16:17]
	s_delay_alu instid0(VALU_DEP_2) | instskip(NEXT) | instid1(VALU_DEP_2)
	v_add_f64 v[2:3], v[6:7], v[2:3]
	v_add_f64 v[4:5], v[8:9], v[4:5]
	s_delay_alu instid0(VALU_DEP_2) | instskip(NEXT) | instid1(VALU_DEP_2)
	v_add_f64 v[2:3], v[42:43], -v[2:3]
	v_add_f64 v[4:5], v[44:45], -v[4:5]
	scratch_store_b128 off, v[2:5], off offset:16
	v_cmpx_ne_u32_e32 0, v156
	s_cbranch_execz .LBB54_343
; %bb.342:
	scratch_load_b128 v[5:8], off, off
	v_mov_b32_e32 v2, v1
	v_mov_b32_e32 v3, v1
	;; [unrolled: 1-line block ×3, first 2 shown]
	scratch_store_b128 off, v[1:4], off
	s_waitcnt vmcnt(0)
	ds_store_b128 v211, v[5:8]
.LBB54_343:
	s_or_b32 exec_lo, exec_lo, s2
	s_waitcnt lgkmcnt(0)
	s_waitcnt_vscnt null, 0x0
	s_barrier
	buffer_gl0_inv
	s_clause 0x8
	scratch_load_b128 v[2:5], off, off offset:16
	scratch_load_b128 v[6:9], off, off offset:32
	;; [unrolled: 1-line block ×9, first 2 shown]
	ds_load_b128 v[42:45], v1 offset:896
	ds_load_b128 v[38:41], v1 offset:912
	s_clause 0x1
	scratch_load_b128 v[172:175], off, off
	scratch_load_b128 v[176:179], off, off offset:160
	s_and_b32 vcc_lo, exec_lo, s20
	ds_load_b128 v[180:183], v1 offset:944
	s_waitcnt vmcnt(10) lgkmcnt(2)
	v_mul_f64 v[169:170], v[44:45], v[4:5]
	v_mul_f64 v[4:5], v[42:43], v[4:5]
	s_waitcnt vmcnt(9) lgkmcnt(1)
	v_mul_f64 v[229:230], v[38:39], v[8:9]
	v_mul_f64 v[8:9], v[40:41], v[8:9]
	s_delay_alu instid0(VALU_DEP_4) | instskip(NEXT) | instid1(VALU_DEP_4)
	v_fma_f64 v[169:170], v[42:43], v[2:3], -v[169:170]
	v_fma_f64 v[231:232], v[44:45], v[2:3], v[4:5]
	ds_load_b128 v[2:5], v1 offset:928
	scratch_load_b128 v[42:45], off, off offset:176
	v_fma_f64 v[40:41], v[40:41], v[6:7], v[229:230]
	v_fma_f64 v[38:39], v[38:39], v[6:7], -v[8:9]
	scratch_load_b128 v[6:9], off, off offset:192
	s_waitcnt vmcnt(10) lgkmcnt(0)
	v_mul_f64 v[233:234], v[2:3], v[12:13]
	v_mul_f64 v[12:13], v[4:5], v[12:13]
	v_add_f64 v[169:170], v[169:170], 0
	v_add_f64 v[229:230], v[231:232], 0
	s_waitcnt vmcnt(9)
	v_mul_f64 v[231:232], v[180:181], v[16:17]
	v_mul_f64 v[16:17], v[182:183], v[16:17]
	v_fma_f64 v[233:234], v[4:5], v[10:11], v[233:234]
	v_fma_f64 v[235:236], v[2:3], v[10:11], -v[12:13]
	ds_load_b128 v[2:5], v1 offset:960
	scratch_load_b128 v[10:13], off, off offset:208
	v_add_f64 v[169:170], v[169:170], v[38:39]
	v_add_f64 v[229:230], v[229:230], v[40:41]
	ds_load_b128 v[38:41], v1 offset:976
	v_fma_f64 v[182:183], v[182:183], v[14:15], v[231:232]
	v_fma_f64 v[180:181], v[180:181], v[14:15], -v[16:17]
	scratch_load_b128 v[14:17], off, off offset:224
	s_waitcnt vmcnt(10) lgkmcnt(1)
	v_mul_f64 v[237:238], v[2:3], v[20:21]
	v_mul_f64 v[20:21], v[4:5], v[20:21]
	s_waitcnt vmcnt(9) lgkmcnt(0)
	v_mul_f64 v[231:232], v[38:39], v[24:25]
	v_mul_f64 v[24:25], v[40:41], v[24:25]
	v_add_f64 v[169:170], v[169:170], v[235:236]
	v_add_f64 v[229:230], v[229:230], v[233:234]
	v_fma_f64 v[233:234], v[4:5], v[18:19], v[237:238]
	v_fma_f64 v[235:236], v[2:3], v[18:19], -v[20:21]
	ds_load_b128 v[2:5], v1 offset:992
	scratch_load_b128 v[18:21], off, off offset:240
	v_fma_f64 v[40:41], v[40:41], v[22:23], v[231:232]
	v_fma_f64 v[38:39], v[38:39], v[22:23], -v[24:25]
	scratch_load_b128 v[22:25], off, off offset:256
	v_add_f64 v[169:170], v[169:170], v[180:181]
	v_add_f64 v[229:230], v[229:230], v[182:183]
	ds_load_b128 v[180:183], v1 offset:1008
	s_waitcnt vmcnt(10) lgkmcnt(1)
	v_mul_f64 v[237:238], v[2:3], v[28:29]
	v_mul_f64 v[28:29], v[4:5], v[28:29]
	s_waitcnt vmcnt(9) lgkmcnt(0)
	v_mul_f64 v[231:232], v[180:181], v[32:33]
	v_mul_f64 v[32:33], v[182:183], v[32:33]
	v_add_f64 v[169:170], v[169:170], v[235:236]
	v_add_f64 v[229:230], v[229:230], v[233:234]
	v_fma_f64 v[233:234], v[4:5], v[26:27], v[237:238]
	v_fma_f64 v[235:236], v[2:3], v[26:27], -v[28:29]
	ds_load_b128 v[2:5], v1 offset:1024
	scratch_load_b128 v[26:29], off, off offset:272
	v_fma_f64 v[182:183], v[182:183], v[30:31], v[231:232]
	v_fma_f64 v[180:181], v[180:181], v[30:31], -v[32:33]
	scratch_load_b128 v[30:33], off, off offset:288
	v_add_f64 v[169:170], v[169:170], v[38:39]
	v_add_f64 v[229:230], v[229:230], v[40:41]
	ds_load_b128 v[38:41], v1 offset:1040
	s_waitcnt vmcnt(10) lgkmcnt(1)
	v_mul_f64 v[237:238], v[2:3], v[36:37]
	v_mul_f64 v[36:37], v[4:5], v[36:37]
	s_waitcnt vmcnt(8) lgkmcnt(0)
	v_mul_f64 v[231:232], v[38:39], v[178:179]
	v_add_f64 v[169:170], v[169:170], v[235:236]
	v_add_f64 v[229:230], v[229:230], v[233:234]
	v_mul_f64 v[233:234], v[40:41], v[178:179]
	v_fma_f64 v[235:236], v[4:5], v[34:35], v[237:238]
	v_fma_f64 v[237:238], v[2:3], v[34:35], -v[36:37]
	ds_load_b128 v[2:5], v1 offset:1056
	scratch_load_b128 v[34:37], off, off offset:304
	v_fma_f64 v[231:232], v[40:41], v[176:177], v[231:232]
	v_add_f64 v[169:170], v[169:170], v[180:181]
	v_add_f64 v[182:183], v[229:230], v[182:183]
	ds_load_b128 v[178:181], v1 offset:1072
	v_fma_f64 v[176:177], v[38:39], v[176:177], -v[233:234]
	scratch_load_b128 v[38:41], off, off offset:320
	s_waitcnt vmcnt(9) lgkmcnt(1)
	v_mul_f64 v[229:230], v[2:3], v[44:45]
	v_mul_f64 v[44:45], v[4:5], v[44:45]
	s_waitcnt vmcnt(8) lgkmcnt(0)
	v_mul_f64 v[233:234], v[178:179], v[8:9]
	v_mul_f64 v[8:9], v[180:181], v[8:9]
	v_add_f64 v[169:170], v[169:170], v[237:238]
	v_add_f64 v[182:183], v[182:183], v[235:236]
	v_fma_f64 v[235:236], v[4:5], v[42:43], v[229:230]
	v_fma_f64 v[237:238], v[2:3], v[42:43], -v[44:45]
	ds_load_b128 v[2:5], v1 offset:1088
	scratch_load_b128 v[42:45], off, off offset:336
	v_fma_f64 v[180:181], v[180:181], v[6:7], v[233:234]
	v_fma_f64 v[178:179], v[178:179], v[6:7], -v[8:9]
	scratch_load_b128 v[6:9], off, off offset:352
	v_add_f64 v[169:170], v[169:170], v[176:177]
	v_add_f64 v[176:177], v[182:183], v[231:232]
	ds_load_b128 v[229:232], v1 offset:1104
	s_waitcnt vmcnt(9) lgkmcnt(1)
	v_mul_f64 v[182:183], v[2:3], v[12:13]
	v_mul_f64 v[12:13], v[4:5], v[12:13]
	s_waitcnt vmcnt(8) lgkmcnt(0)
	v_mul_f64 v[233:234], v[229:230], v[16:17]
	v_mul_f64 v[16:17], v[231:232], v[16:17]
	v_add_f64 v[169:170], v[169:170], v[237:238]
	v_add_f64 v[176:177], v[176:177], v[235:236]
	v_fma_f64 v[182:183], v[4:5], v[10:11], v[182:183]
	v_fma_f64 v[235:236], v[2:3], v[10:11], -v[12:13]
	ds_load_b128 v[2:5], v1 offset:1120
	scratch_load_b128 v[10:13], off, off offset:368
	v_fma_f64 v[231:232], v[231:232], v[14:15], v[233:234]
	v_fma_f64 v[229:230], v[229:230], v[14:15], -v[16:17]
	scratch_load_b128 v[14:17], off, off offset:384
	v_add_f64 v[169:170], v[169:170], v[178:179]
	v_add_f64 v[180:181], v[176:177], v[180:181]
	ds_load_b128 v[176:179], v1 offset:1136
	;; [unrolled: 18-line block ×4, first 2 shown]
	s_waitcnt vmcnt(9) lgkmcnt(1)
	v_mul_f64 v[237:238], v[2:3], v[36:37]
	v_mul_f64 v[36:37], v[4:5], v[36:37]
	v_add_f64 v[169:170], v[169:170], v[235:236]
	v_add_f64 v[229:230], v[229:230], v[231:232]
	s_waitcnt vmcnt(8) lgkmcnt(0)
	v_mul_f64 v[231:232], v[176:177], v[40:41]
	v_mul_f64 v[40:41], v[178:179], v[40:41]
	v_fma_f64 v[233:234], v[4:5], v[34:35], v[237:238]
	v_fma_f64 v[235:236], v[2:3], v[34:35], -v[36:37]
	ds_load_b128 v[2:5], v1 offset:1216
	scratch_load_b128 v[34:37], off, off offset:464
	v_add_f64 v[169:170], v[169:170], v[180:181]
	v_add_f64 v[229:230], v[229:230], v[182:183]
	ds_load_b128 v[180:183], v1 offset:1232
	s_waitcnt vmcnt(8) lgkmcnt(1)
	v_mul_f64 v[237:238], v[2:3], v[44:45]
	v_mul_f64 v[44:45], v[4:5], v[44:45]
	v_fma_f64 v[178:179], v[178:179], v[38:39], v[231:232]
	v_fma_f64 v[176:177], v[176:177], v[38:39], -v[40:41]
	scratch_load_b128 v[38:41], off, off offset:480
	s_waitcnt vmcnt(8) lgkmcnt(0)
	v_mul_f64 v[231:232], v[180:181], v[8:9]
	v_mul_f64 v[8:9], v[182:183], v[8:9]
	v_add_f64 v[169:170], v[169:170], v[235:236]
	v_add_f64 v[229:230], v[229:230], v[233:234]
	v_fma_f64 v[233:234], v[4:5], v[42:43], v[237:238]
	v_fma_f64 v[235:236], v[2:3], v[42:43], -v[44:45]
	ds_load_b128 v[2:5], v1 offset:1248
	scratch_load_b128 v[42:45], off, off offset:496
	v_fma_f64 v[182:183], v[182:183], v[6:7], v[231:232]
	v_fma_f64 v[180:181], v[180:181], v[6:7], -v[8:9]
	scratch_load_b128 v[6:9], off, off offset:512
	v_add_f64 v[169:170], v[169:170], v[176:177]
	v_add_f64 v[229:230], v[229:230], v[178:179]
	ds_load_b128 v[176:179], v1 offset:1264
	s_waitcnt vmcnt(9) lgkmcnt(1)
	v_mul_f64 v[237:238], v[2:3], v[12:13]
	v_mul_f64 v[12:13], v[4:5], v[12:13]
	s_waitcnt vmcnt(8) lgkmcnt(0)
	v_mul_f64 v[231:232], v[176:177], v[16:17]
	v_mul_f64 v[16:17], v[178:179], v[16:17]
	v_add_f64 v[169:170], v[169:170], v[235:236]
	v_add_f64 v[229:230], v[229:230], v[233:234]
	v_fma_f64 v[233:234], v[4:5], v[10:11], v[237:238]
	v_fma_f64 v[235:236], v[2:3], v[10:11], -v[12:13]
	ds_load_b128 v[2:5], v1 offset:1280
	scratch_load_b128 v[10:13], off, off offset:528
	v_fma_f64 v[178:179], v[178:179], v[14:15], v[231:232]
	v_fma_f64 v[176:177], v[176:177], v[14:15], -v[16:17]
	scratch_load_b128 v[14:17], off, off offset:544
	v_add_f64 v[169:170], v[169:170], v[180:181]
	v_add_f64 v[229:230], v[229:230], v[182:183]
	ds_load_b128 v[180:183], v1 offset:1296
	s_waitcnt vmcnt(9) lgkmcnt(1)
	v_mul_f64 v[237:238], v[2:3], v[20:21]
	v_mul_f64 v[20:21], v[4:5], v[20:21]
	;; [unrolled: 18-line block ×12, first 2 shown]
	s_waitcnt vmcnt(8) lgkmcnt(0)
	v_mul_f64 v[231:232], v[180:181], v[24:25]
	v_mul_f64 v[24:25], v[182:183], v[24:25]
	v_add_f64 v[169:170], v[169:170], v[235:236]
	v_add_f64 v[229:230], v[229:230], v[233:234]
	v_fma_f64 v[233:234], v[4:5], v[18:19], v[237:238]
	v_fma_f64 v[235:236], v[2:3], v[18:19], -v[20:21]
	ds_load_b128 v[2:5], v1 offset:1632
	ds_load_b128 v[18:21], v1 offset:1648
	v_fma_f64 v[182:183], v[182:183], v[22:23], v[231:232]
	v_fma_f64 v[22:23], v[180:181], v[22:23], -v[24:25]
	v_add_f64 v[169:170], v[169:170], v[176:177]
	v_add_f64 v[176:177], v[229:230], v[178:179]
	s_waitcnt vmcnt(7) lgkmcnt(1)
	v_mul_f64 v[178:179], v[2:3], v[28:29]
	v_mul_f64 v[28:29], v[4:5], v[28:29]
	s_delay_alu instid0(VALU_DEP_4) | instskip(NEXT) | instid1(VALU_DEP_4)
	v_add_f64 v[24:25], v[169:170], v[235:236]
	v_add_f64 v[169:170], v[176:177], v[233:234]
	s_waitcnt vmcnt(6) lgkmcnt(0)
	v_mul_f64 v[176:177], v[18:19], v[32:33]
	v_mul_f64 v[32:33], v[20:21], v[32:33]
	v_fma_f64 v[178:179], v[4:5], v[26:27], v[178:179]
	v_fma_f64 v[26:27], v[2:3], v[26:27], -v[28:29]
	v_add_f64 v[28:29], v[24:25], v[22:23]
	v_add_f64 v[169:170], v[169:170], v[182:183]
	ds_load_b128 v[2:5], v1 offset:1664
	ds_load_b128 v[22:25], v1 offset:1680
	v_fma_f64 v[20:21], v[20:21], v[30:31], v[176:177]
	v_fma_f64 v[18:19], v[18:19], v[30:31], -v[32:33]
	s_waitcnt vmcnt(5) lgkmcnt(1)
	v_mul_f64 v[180:181], v[2:3], v[36:37]
	v_mul_f64 v[36:37], v[4:5], v[36:37]
	s_waitcnt vmcnt(4) lgkmcnt(0)
	v_mul_f64 v[30:31], v[22:23], v[40:41]
	v_mul_f64 v[32:33], v[24:25], v[40:41]
	v_add_f64 v[26:27], v[28:29], v[26:27]
	v_add_f64 v[28:29], v[169:170], v[178:179]
	v_fma_f64 v[40:41], v[4:5], v[34:35], v[180:181]
	v_fma_f64 v[34:35], v[2:3], v[34:35], -v[36:37]
	v_fma_f64 v[24:25], v[24:25], v[38:39], v[30:31]
	v_fma_f64 v[22:23], v[22:23], v[38:39], -v[32:33]
	v_add_f64 v[26:27], v[26:27], v[18:19]
	v_add_f64 v[28:29], v[28:29], v[20:21]
	ds_load_b128 v[2:5], v1 offset:1696
	ds_load_b128 v[18:21], v1 offset:1712
	s_waitcnt vmcnt(3) lgkmcnt(1)
	v_mul_f64 v[36:37], v[2:3], v[44:45]
	v_mul_f64 v[44:45], v[4:5], v[44:45]
	s_waitcnt vmcnt(2) lgkmcnt(0)
	v_mul_f64 v[30:31], v[18:19], v[8:9]
	v_mul_f64 v[8:9], v[20:21], v[8:9]
	v_add_f64 v[26:27], v[26:27], v[34:35]
	v_add_f64 v[28:29], v[28:29], v[40:41]
	v_fma_f64 v[32:33], v[4:5], v[42:43], v[36:37]
	v_fma_f64 v[34:35], v[2:3], v[42:43], -v[44:45]
	v_fma_f64 v[20:21], v[20:21], v[6:7], v[30:31]
	v_fma_f64 v[6:7], v[18:19], v[6:7], -v[8:9]
	v_add_f64 v[26:27], v[26:27], v[22:23]
	v_add_f64 v[28:29], v[28:29], v[24:25]
	ds_load_b128 v[2:5], v1 offset:1728
	ds_load_b128 v[22:25], v1 offset:1744
	s_waitcnt vmcnt(1) lgkmcnt(1)
	v_mul_f64 v[36:37], v[2:3], v[12:13]
	v_mul_f64 v[12:13], v[4:5], v[12:13]
	v_add_f64 v[8:9], v[26:27], v[34:35]
	v_add_f64 v[18:19], v[28:29], v[32:33]
	s_waitcnt vmcnt(0) lgkmcnt(0)
	v_mul_f64 v[26:27], v[22:23], v[16:17]
	v_mul_f64 v[16:17], v[24:25], v[16:17]
	v_fma_f64 v[4:5], v[4:5], v[10:11], v[36:37]
	v_fma_f64 v[1:2], v[2:3], v[10:11], -v[12:13]
	v_add_f64 v[6:7], v[8:9], v[6:7]
	v_add_f64 v[8:9], v[18:19], v[20:21]
	v_fma_f64 v[10:11], v[24:25], v[14:15], v[26:27]
	v_fma_f64 v[12:13], v[22:23], v[14:15], -v[16:17]
	s_delay_alu instid0(VALU_DEP_4) | instskip(NEXT) | instid1(VALU_DEP_4)
	v_add_f64 v[1:2], v[6:7], v[1:2]
	v_add_f64 v[3:4], v[8:9], v[4:5]
	s_delay_alu instid0(VALU_DEP_2) | instskip(NEXT) | instid1(VALU_DEP_2)
	v_add_f64 v[1:2], v[1:2], v[12:13]
	v_add_f64 v[3:4], v[3:4], v[10:11]
	s_delay_alu instid0(VALU_DEP_2) | instskip(NEXT) | instid1(VALU_DEP_2)
	v_add_f64 v[1:2], v[172:173], -v[1:2]
	v_add_f64 v[3:4], v[174:175], -v[3:4]
	scratch_store_b128 off, v[1:4], off
	s_cbranch_vccz .LBB54_453
; %bb.344:
	v_dual_mov_b32 v1, s16 :: v_dual_mov_b32 v2, s17
	s_load_b64 s[0:1], s[0:1], 0x4
	flat_load_b32 v1, v[1:2] offset:212
	v_bfe_u32 v2, v0, 10, 10
	v_bfe_u32 v0, v0, 20, 10
	s_waitcnt lgkmcnt(0)
	s_lshr_b32 s0, s0, 16
	s_delay_alu instid0(VALU_DEP_2) | instskip(SKIP_1) | instid1(SALU_CYCLE_1)
	v_mul_u32_u24_e32 v2, s1, v2
	s_mul_i32 s0, s0, s1
	v_mul_u32_u24_e32 v3, s0, v156
	s_mov_b32 s0, exec_lo
	s_delay_alu instid0(VALU_DEP_1) | instskip(NEXT) | instid1(VALU_DEP_1)
	v_add3_u32 v0, v3, v2, v0
	v_lshl_add_u32 v0, v0, 4, 0x6e8
	s_waitcnt vmcnt(0)
	v_cmpx_ne_u32_e32 54, v1
	s_cbranch_execz .LBB54_346
; %bb.345:
	v_lshl_add_u32 v9, v1, 4, 0
	s_clause 0x1
	scratch_load_b128 v[1:4], v159, off
	scratch_load_b128 v[5:8], v9, off offset:-16
	s_waitcnt vmcnt(1)
	ds_store_2addr_b64 v0, v[1:2], v[3:4] offset1:1
	s_waitcnt vmcnt(0)
	s_clause 0x1
	scratch_store_b128 v159, v[5:8], off
	scratch_store_b128 v9, v[1:4], off offset:-16
.LBB54_346:
	s_or_b32 exec_lo, exec_lo, s0
	v_dual_mov_b32 v1, s16 :: v_dual_mov_b32 v2, s17
	s_mov_b32 s0, exec_lo
	flat_load_b32 v1, v[1:2] offset:208
	s_waitcnt vmcnt(0) lgkmcnt(0)
	v_cmpx_ne_u32_e32 53, v1
	s_cbranch_execz .LBB54_348
; %bb.347:
	v_lshl_add_u32 v9, v1, 4, 0
	s_clause 0x1
	scratch_load_b128 v[1:4], v162, off
	scratch_load_b128 v[5:8], v9, off offset:-16
	s_waitcnt vmcnt(1)
	ds_store_2addr_b64 v0, v[1:2], v[3:4] offset1:1
	s_waitcnt vmcnt(0)
	s_clause 0x1
	scratch_store_b128 v162, v[5:8], off
	scratch_store_b128 v9, v[1:4], off offset:-16
.LBB54_348:
	s_or_b32 exec_lo, exec_lo, s0
	v_dual_mov_b32 v1, s16 :: v_dual_mov_b32 v2, s17
	s_mov_b32 s0, exec_lo
	flat_load_b32 v1, v[1:2] offset:204
	s_waitcnt vmcnt(0) lgkmcnt(0)
	;; [unrolled: 19-line block ×52, first 2 shown]
	v_cmpx_ne_u32_e32 2, v1
	s_cbranch_execz .LBB54_450
; %bb.449:
	v_lshl_add_u32 v9, v1, 4, 0
	s_clause 0x1
	scratch_load_b128 v[1:4], v210, off
	scratch_load_b128 v[5:8], v9, off offset:-16
	s_waitcnt vmcnt(1)
	ds_store_2addr_b64 v0, v[1:2], v[3:4] offset1:1
	s_waitcnt vmcnt(0)
	s_clause 0x1
	scratch_store_b128 v210, v[5:8], off
	scratch_store_b128 v9, v[1:4], off offset:-16
.LBB54_450:
	s_or_b32 exec_lo, exec_lo, s0
	v_dual_mov_b32 v1, s16 :: v_dual_mov_b32 v2, s17
	s_mov_b32 s0, exec_lo
	flat_load_b32 v1, v[1:2]
	s_waitcnt vmcnt(0) lgkmcnt(0)
	v_cmpx_ne_u32_e32 1, v1
	s_cbranch_execz .LBB54_452
; %bb.451:
	v_lshl_add_u32 v9, v1, 4, 0
	scratch_load_b128 v[1:4], off, off
	scratch_load_b128 v[5:8], v9, off offset:-16
	s_waitcnt vmcnt(1)
	ds_store_2addr_b64 v0, v[1:2], v[3:4] offset1:1
	s_waitcnt vmcnt(0)
	scratch_store_b128 off, v[5:8], off
	scratch_store_b128 v9, v[1:4], off offset:-16
.LBB54_452:
	s_or_b32 exec_lo, exec_lo, s0
.LBB54_453:
	scratch_load_b128 v[0:3], off, off
	s_clause 0x15
	scratch_load_b128 v[4:7], v210, off
	scratch_load_b128 v[8:11], v209, off
	;; [unrolled: 1-line block ×22, first 2 shown]
	s_waitcnt vmcnt(22)
	global_store_b128 v[46:47], v[0:3], off
	s_clause 0x1
	scratch_load_b128 v[0:3], v188, off
	scratch_load_b128 v[44:47], v187, off
	s_waitcnt vmcnt(23)
	global_store_b128 v[48:49], v[4:7], off
	s_clause 0x1
	scratch_load_b128 v[4:7], v186, off
	scratch_load_b128 v[184:187], v185, off
	;; [unrolled: 5-line block ×16, first 2 shown]
	s_waitcnt vmcnt(38)
	global_store_b128 v[78:79], v[205:208], off
	s_waitcnt vmcnt(37)
	global_store_b128 v[80:81], v[229:232], off
	;; [unrolled: 2-line block ×39, first 2 shown]
	s_endpgm
	.section	.rodata,"a",@progbits
	.p2align	6, 0x0
	.amdhsa_kernel _ZN9rocsolver6v33100L18getri_kernel_smallILi55E19rocblas_complex_numIdEPS3_EEvT1_iilPiilS6_bb
		.amdhsa_group_segment_fixed_size 2792
		.amdhsa_private_segment_fixed_size 896
		.amdhsa_kernarg_size 60
		.amdhsa_user_sgpr_count 15
		.amdhsa_user_sgpr_dispatch_ptr 1
		.amdhsa_user_sgpr_queue_ptr 0
		.amdhsa_user_sgpr_kernarg_segment_ptr 1
		.amdhsa_user_sgpr_dispatch_id 0
		.amdhsa_user_sgpr_private_segment_size 0
		.amdhsa_wavefront_size32 1
		.amdhsa_uses_dynamic_stack 0
		.amdhsa_enable_private_segment 1
		.amdhsa_system_sgpr_workgroup_id_x 1
		.amdhsa_system_sgpr_workgroup_id_y 0
		.amdhsa_system_sgpr_workgroup_id_z 0
		.amdhsa_system_sgpr_workgroup_info 0
		.amdhsa_system_vgpr_workitem_id 2
		.amdhsa_next_free_vgpr 255
		.amdhsa_next_free_sgpr 61
		.amdhsa_reserve_vcc 1
		.amdhsa_float_round_mode_32 0
		.amdhsa_float_round_mode_16_64 0
		.amdhsa_float_denorm_mode_32 3
		.amdhsa_float_denorm_mode_16_64 3
		.amdhsa_dx10_clamp 1
		.amdhsa_ieee_mode 1
		.amdhsa_fp16_overflow 0
		.amdhsa_workgroup_processor_mode 1
		.amdhsa_memory_ordered 1
		.amdhsa_forward_progress 0
		.amdhsa_shared_vgpr_count 0
		.amdhsa_exception_fp_ieee_invalid_op 0
		.amdhsa_exception_fp_denorm_src 0
		.amdhsa_exception_fp_ieee_div_zero 0
		.amdhsa_exception_fp_ieee_overflow 0
		.amdhsa_exception_fp_ieee_underflow 0
		.amdhsa_exception_fp_ieee_inexact 0
		.amdhsa_exception_int_div_zero 0
	.end_amdhsa_kernel
	.section	.text._ZN9rocsolver6v33100L18getri_kernel_smallILi55E19rocblas_complex_numIdEPS3_EEvT1_iilPiilS6_bb,"axG",@progbits,_ZN9rocsolver6v33100L18getri_kernel_smallILi55E19rocblas_complex_numIdEPS3_EEvT1_iilPiilS6_bb,comdat
.Lfunc_end54:
	.size	_ZN9rocsolver6v33100L18getri_kernel_smallILi55E19rocblas_complex_numIdEPS3_EEvT1_iilPiilS6_bb, .Lfunc_end54-_ZN9rocsolver6v33100L18getri_kernel_smallILi55E19rocblas_complex_numIdEPS3_EEvT1_iilPiilS6_bb
                                        ; -- End function
	.section	.AMDGPU.csdata,"",@progbits
; Kernel info:
; codeLenInByte = 135032
; NumSgprs: 63
; NumVgprs: 255
; ScratchSize: 896
; MemoryBound: 0
; FloatMode: 240
; IeeeMode: 1
; LDSByteSize: 2792 bytes/workgroup (compile time only)
; SGPRBlocks: 7
; VGPRBlocks: 31
; NumSGPRsForWavesPerEU: 63
; NumVGPRsForWavesPerEU: 255
; Occupancy: 5
; WaveLimiterHint : 1
; COMPUTE_PGM_RSRC2:SCRATCH_EN: 1
; COMPUTE_PGM_RSRC2:USER_SGPR: 15
; COMPUTE_PGM_RSRC2:TRAP_HANDLER: 0
; COMPUTE_PGM_RSRC2:TGID_X_EN: 1
; COMPUTE_PGM_RSRC2:TGID_Y_EN: 0
; COMPUTE_PGM_RSRC2:TGID_Z_EN: 0
; COMPUTE_PGM_RSRC2:TIDIG_COMP_CNT: 2
	.section	.text._ZN9rocsolver6v33100L18getri_kernel_smallILi56E19rocblas_complex_numIdEPS3_EEvT1_iilPiilS6_bb,"axG",@progbits,_ZN9rocsolver6v33100L18getri_kernel_smallILi56E19rocblas_complex_numIdEPS3_EEvT1_iilPiilS6_bb,comdat
	.globl	_ZN9rocsolver6v33100L18getri_kernel_smallILi56E19rocblas_complex_numIdEPS3_EEvT1_iilPiilS6_bb ; -- Begin function _ZN9rocsolver6v33100L18getri_kernel_smallILi56E19rocblas_complex_numIdEPS3_EEvT1_iilPiilS6_bb
	.p2align	8
	.type	_ZN9rocsolver6v33100L18getri_kernel_smallILi56E19rocblas_complex_numIdEPS3_EEvT1_iilPiilS6_bb,@function
_ZN9rocsolver6v33100L18getri_kernel_smallILi56E19rocblas_complex_numIdEPS3_EEvT1_iilPiilS6_bb: ; @_ZN9rocsolver6v33100L18getri_kernel_smallILi56E19rocblas_complex_numIdEPS3_EEvT1_iilPiilS6_bb
; %bb.0:
	v_and_b32_e32 v154, 0x3ff, v0
	s_mov_b32 s4, exec_lo
	s_delay_alu instid0(VALU_DEP_1)
	v_cmpx_gt_u32_e32 56, v154
	s_cbranch_execz .LBB55_238
; %bb.1:
	s_mov_b32 s18, s15
	s_clause 0x2
	s_load_b32 s21, s[2:3], 0x38
	s_load_b128 s[12:15], s[2:3], 0x10
	s_load_b128 s[4:7], s[2:3], 0x28
                                        ; implicit-def: $sgpr16_sgpr17
	s_waitcnt lgkmcnt(0)
	s_bitcmp1_b32 s21, 8
	s_cselect_b32 s20, -1, 0
	s_bfe_u32 s8, s21, 0x10008
	s_ashr_i32 s19, s18, 31
	s_cmp_eq_u32 s8, 0
	s_cbranch_scc1 .LBB55_3
; %bb.2:
	s_load_b32 s8, s[2:3], 0x20
	s_mul_i32 s5, s18, s5
	s_mul_hi_u32 s9, s18, s4
	s_mul_i32 s10, s19, s4
	s_add_i32 s5, s9, s5
	s_mul_i32 s4, s18, s4
	s_add_i32 s5, s5, s10
	s_delay_alu instid0(SALU_CYCLE_1)
	s_lshl_b64 s[4:5], s[4:5], 2
	s_waitcnt lgkmcnt(0)
	s_ashr_i32 s9, s8, 31
	s_add_u32 s10, s14, s4
	s_addc_u32 s11, s15, s5
	s_lshl_b64 s[4:5], s[8:9], 2
	s_delay_alu instid0(SALU_CYCLE_1)
	s_add_u32 s16, s10, s4
	s_addc_u32 s17, s11, s5
.LBB55_3:
	s_load_b128 s[8:11], s[2:3], 0x0
	s_mul_i32 s2, s18, s13
	s_mul_hi_u32 s3, s18, s12
	s_mul_i32 s4, s19, s12
	s_add_i32 s3, s3, s2
	s_mul_i32 s2, s18, s12
	s_add_i32 s3, s3, s4
	v_lshlrev_b32_e32 v13, 4, v154
	s_lshl_b64 s[2:3], s[2:3], 4
	s_movk_i32 s39, 0x210
	s_movk_i32 s41, 0x230
	;; [unrolled: 1-line block ×11, first 2 shown]
	s_waitcnt lgkmcnt(0)
	v_add3_u32 v5, s11, s11, v154
	s_ashr_i32 s5, s10, 31
	s_mov_b32 s4, s10
	s_add_u32 s8, s8, s2
	s_addc_u32 s9, s9, s3
	v_add_nc_u32_e32 v7, s11, v5
	s_lshl_b64 s[2:3], s[4:5], 4
	v_ashrrev_i32_e32 v6, 31, v5
	s_add_u32 s2, s8, s2
	s_addc_u32 s3, s9, s3
	v_add_nc_u32_e32 v9, s11, v7
	v_add_co_u32 v42, s4, s2, v13
	v_ashrrev_i32_e32 v8, 31, v7
	s_mov_b32 s12, s11
	s_delay_alu instid0(VALU_DEP_3) | instskip(SKIP_3) | instid1(VALU_DEP_3)
	v_add_nc_u32_e32 v14, s11, v9
	s_ashr_i32 s13, s11, 31
	v_add_co_ci_u32_e64 v43, null, s3, 0, s4
	v_lshlrev_b64 v[5:6], 4, v[5:6]
	v_add_nc_u32_e32 v18, s11, v14
	s_lshl_b64 s[4:5], s[12:13], 4
	v_ashrrev_i32_e32 v10, 31, v9
	v_add_co_u32 v23, vcc_lo, v42, s4
	s_delay_alu instid0(VALU_DEP_3) | instskip(SKIP_3) | instid1(VALU_DEP_4)
	v_add_nc_u32_e32 v22, s11, v18
	v_lshlrev_b64 v[16:17], 4, v[7:8]
	v_add_co_ci_u32_e32 v24, vcc_lo, s5, v43, vcc_lo
	v_add_co_u32 v11, vcc_lo, s2, v5
	v_add_nc_u32_e32 v26, s11, v22
	v_lshlrev_b64 v[20:21], 4, v[9:10]
	v_add_co_ci_u32_e32 v12, vcc_lo, s3, v6, vcc_lo
	v_add_co_u32 v50, vcc_lo, s2, v16
	s_delay_alu instid0(VALU_DEP_4) | instskip(SKIP_2) | instid1(VALU_DEP_3)
	v_add_nc_u32_e32 v30, s11, v26
	v_add_co_ci_u32_e32 v51, vcc_lo, s3, v17, vcc_lo
	v_add_co_u32 v20, vcc_lo, s2, v20
	v_add_nc_u32_e32 v34, s11, v30
	v_ashrrev_i32_e32 v15, 31, v14
	v_ashrrev_i32_e32 v19, 31, v18
	v_add_co_ci_u32_e32 v21, vcc_lo, s3, v21, vcc_lo
	s_delay_alu instid0(VALU_DEP_4)
	v_add_nc_u32_e32 v38, s11, v34
	scratch_store_b64 off, v[23:24], off offset:912 ; 8-byte Folded Spill
	global_load_b128 v[5:8], v[23:24], off
	v_lshlrev_b64 v[28:29], 4, v[18:19]
	scratch_store_b64 off, v[20:21], off offset:920 ; 8-byte Folded Spill
	global_load_b128 v[18:21], v[20:21], off
	v_add_nc_u32_e32 v64, s11, v38
	v_lshlrev_b64 v[24:25], 4, v[14:15]
	v_ashrrev_i32_e32 v23, 31, v22
	v_ashrrev_i32_e32 v27, 31, v26
	;; [unrolled: 1-line block ×3, first 2 shown]
	v_add_nc_u32_e32 v66, s11, v64
	v_ashrrev_i32_e32 v35, 31, v34
	v_add_co_u32 v54, vcc_lo, s2, v24
	v_lshlrev_b64 v[32:33], 4, v[22:23]
	s_delay_alu instid0(VALU_DEP_4) | instskip(SKIP_3) | instid1(VALU_DEP_4)
	v_add_nc_u32_e32 v68, s11, v66
	v_add_co_ci_u32_e32 v55, vcc_lo, s3, v25, vcc_lo
	v_add_co_u32 v52, vcc_lo, s2, v28
	v_lshlrev_b64 v[36:37], 4, v[26:27]
	v_add_nc_u32_e32 v70, s11, v68
	v_add_co_ci_u32_e32 v53, vcc_lo, s3, v29, vcc_lo
	v_add_co_u32 v56, vcc_lo, s2, v32
	v_lshlrev_b64 v[40:41], 4, v[30:31]
	v_ashrrev_i32_e32 v39, 31, v38
	v_add_co_ci_u32_e32 v57, vcc_lo, s3, v33, vcc_lo
	v_add_nc_u32_e32 v74, s11, v70
	v_add_co_u32 v58, vcc_lo, s2, v36
	v_lshlrev_b64 v[62:63], 4, v[34:35]
	v_add_co_ci_u32_e32 v59, vcc_lo, s3, v37, vcc_lo
	v_add_co_u32 v60, vcc_lo, s2, v40
	v_lshlrev_b64 v[71:72], 4, v[38:39]
	v_ashrrev_i32_e32 v65, 31, v64
	v_add_nc_u32_e32 v76, s11, v74
	v_add_co_ci_u32_e32 v61, vcc_lo, s3, v41, vcc_lo
	v_add_co_u32 v62, vcc_lo, s2, v62
	v_ashrrev_i32_e32 v67, 31, v66
	v_add_co_ci_u32_e32 v63, vcc_lo, s3, v63, vcc_lo
	v_lshlrev_b64 v[85:86], 4, v[64:65]
	v_add_co_u32 v64, vcc_lo, s2, v71
	v_add_nc_u32_e32 v78, s11, v76
	v_add_co_ci_u32_e32 v65, vcc_lo, s3, v72, vcc_lo
	v_lshlrev_b64 v[72:73], 4, v[66:67]
	global_load_b128 v[1:4], v13, s[2:3]
	v_ashrrev_i32_e32 v69, 31, v68
	scratch_store_b64 off, v[11:12], off offset:904 ; 8-byte Folded Spill
	s_clause 0x2
	global_load_b128 v[9:12], v[11:12], off
	global_load_b128 v[14:17], v[50:51], off
	;; [unrolled: 1-line block ×3, first 2 shown]
	v_add_co_u32 v66, vcc_lo, s2, v85
	s_clause 0x1
	global_load_b128 v[22:25], v[54:55], off
	global_load_b128 v[30:33], v[56:57], off
	v_add_nc_u32_e32 v80, s11, v78
	s_clause 0x1
	global_load_b128 v[34:37], v[58:59], off
	global_load_b128 v[38:41], v[60:61], off
	v_add_co_ci_u32_e32 v67, vcc_lo, s3, v86, vcc_lo
	s_clause 0x1
	global_load_b128 v[126:129], v[62:63], off
	global_load_b128 v[130:133], v[64:65], off
	v_lshlrev_b64 v[85:86], 4, v[68:69]
	v_add_co_u32 v68, vcc_lo, s2, v72
	v_ashrrev_i32_e32 v71, 31, v70
	v_add_co_ci_u32_e32 v69, vcc_lo, s3, v73, vcc_lo
	v_add_nc_u32_e32 v82, s11, v80
	v_ashrrev_i32_e32 v75, 31, v74
	s_clause 0x1
	global_load_b128 v[134:137], v[66:67], off
	global_load_b128 v[138:141], v[68:69], off
	v_lshlrev_b64 v[72:73], 4, v[70:71]
	v_ashrrev_i32_e32 v77, 31, v76
	v_add_nc_u32_e32 v84, s11, v82
	v_add_co_u32 v70, vcc_lo, s2, v85
	v_lshlrev_b64 v[74:75], 4, v[74:75]
	v_ashrrev_i32_e32 v79, 31, v78
	v_add_co_ci_u32_e32 v71, vcc_lo, s3, v86, vcc_lo
	v_add_co_u32 v72, vcc_lo, s2, v72
	v_lshlrev_b64 v[76:77], 4, v[76:77]
	v_add_nc_u32_e32 v87, s11, v84
	v_ashrrev_i32_e32 v81, 31, v80
	v_add_co_ci_u32_e32 v73, vcc_lo, s3, v73, vcc_lo
	v_add_co_u32 v74, vcc_lo, s2, v74
	v_lshlrev_b64 v[78:79], 4, v[78:79]
	v_ashrrev_i32_e32 v83, 31, v82
	v_add_co_ci_u32_e32 v75, vcc_lo, s3, v75, vcc_lo
	v_add_nc_u32_e32 v89, s11, v87
	s_clause 0x1
	global_load_b128 v[142:145], v[70:71], off
	global_load_b128 v[146:149], v[72:73], off
	v_add_co_u32 v76, vcc_lo, s2, v76
	v_lshlrev_b64 v[80:81], 4, v[80:81]
	v_ashrrev_i32_e32 v85, 31, v84
	v_add_co_ci_u32_e32 v77, vcc_lo, s3, v77, vcc_lo
	v_add_co_u32 v78, vcc_lo, s2, v78
	v_lshlrev_b64 v[82:83], 4, v[82:83]
	v_ashrrev_i32_e32 v88, 31, v87
	v_add_nc_u32_e32 v91, s11, v89
	v_add_co_ci_u32_e32 v79, vcc_lo, s3, v79, vcc_lo
	v_add_co_u32 v80, vcc_lo, s2, v80
	v_lshlrev_b64 v[84:85], 4, v[84:85]
	v_ashrrev_i32_e32 v90, 31, v89
	v_add_co_ci_u32_e32 v81, vcc_lo, s3, v81, vcc_lo
	v_add_co_u32 v82, vcc_lo, s2, v82
	v_lshlrev_b64 v[86:87], 4, v[87:88]
	v_ashrrev_i32_e32 v92, 31, v91
	v_add_co_ci_u32_e32 v83, vcc_lo, s3, v83, vcc_lo
	v_add_co_u32 v84, vcc_lo, s2, v84
	v_lshlrev_b64 v[88:89], 4, v[89:90]
	v_add_co_ci_u32_e32 v85, vcc_lo, s3, v85, vcc_lo
	v_add_nc_u32_e32 v93, s11, v91
	v_add_co_u32 v86, vcc_lo, s2, v86
	v_lshlrev_b64 v[90:91], 4, v[91:92]
	v_add_co_ci_u32_e32 v87, vcc_lo, s3, v87, vcc_lo
	v_add_co_u32 v88, vcc_lo, s2, v88
	s_clause 0x1
	global_load_b128 v[150:153], v[74:75], off
	global_load_b128 v[155:158], v[76:77], off
	v_add_co_ci_u32_e32 v89, vcc_lo, s3, v89, vcc_lo
	v_add_co_u32 v90, vcc_lo, s2, v90
	s_clause 0x1
	global_load_b128 v[159:162], v[78:79], off
	global_load_b128 v[163:166], v[80:81], off
	v_add_co_ci_u32_e32 v91, vcc_lo, s3, v91, vcc_lo
	s_clause 0x4
	global_load_b128 v[167:170], v[82:83], off
	global_load_b128 v[171:174], v[84:85], off
	global_load_b128 v[175:178], v[86:87], off
	global_load_b128 v[179:182], v[88:89], off
	global_load_b128 v[183:186], v[90:91], off
	v_add_nc_u32_e32 v95, s11, v93
	v_ashrrev_i32_e32 v94, 31, v93
	s_movk_i32 s4, 0x70
	s_movk_i32 s5, 0x80
	;; [unrolled: 1-line block ×3, first 2 shown]
	v_add_nc_u32_e32 v97, s11, v95
	v_ashrrev_i32_e32 v96, 31, v95
	v_lshlrev_b64 v[92:93], 4, v[93:94]
	s_movk_i32 s9, 0xa0
	s_movk_i32 s10, 0xb0
	v_add_nc_u32_e32 v99, s11, v97
	v_ashrrev_i32_e32 v98, 31, v97
	v_lshlrev_b64 v[94:95], 4, v[95:96]
	v_add_co_u32 v92, vcc_lo, s2, v92
	s_delay_alu instid0(VALU_DEP_4) | instskip(SKIP_3) | instid1(VALU_DEP_4)
	v_add_nc_u32_e32 v101, s11, v99
	v_ashrrev_i32_e32 v100, 31, v99
	v_lshlrev_b64 v[96:97], 4, v[97:98]
	v_add_co_ci_u32_e32 v93, vcc_lo, s3, v93, vcc_lo
	v_add_nc_u32_e32 v103, s11, v101
	v_add_co_u32 v94, vcc_lo, s2, v94
	v_ashrrev_i32_e32 v102, 31, v101
	v_add_co_ci_u32_e32 v95, vcc_lo, s3, v95, vcc_lo
	s_delay_alu instid0(VALU_DEP_4) | instskip(SKIP_3) | instid1(VALU_DEP_4)
	v_add_nc_u32_e32 v105, s11, v103
	v_lshlrev_b64 v[124:125], 4, v[99:100]
	v_add_co_u32 v98, vcc_lo, s2, v96
	v_add_co_ci_u32_e32 v99, vcc_lo, s3, v97, vcc_lo
	v_add_nc_u32_e32 v107, s11, v105
	v_lshlrev_b64 v[96:97], 4, v[101:102]
	v_ashrrev_i32_e32 v104, 31, v103
	v_add_co_u32 v100, vcc_lo, s2, v124
	s_delay_alu instid0(VALU_DEP_4) | instskip(SKIP_1) | instid1(VALU_DEP_4)
	v_add_nc_u32_e32 v109, s11, v107
	v_add_co_ci_u32_e32 v101, vcc_lo, s3, v125, vcc_lo
	v_lshlrev_b64 v[124:125], 4, v[103:104]
	v_ashrrev_i32_e32 v106, 31, v105
	s_delay_alu instid0(VALU_DEP_4) | instskip(SKIP_2) | instid1(VALU_DEP_3)
	v_add_nc_u32_e32 v111, s11, v109
	v_add_co_u32 v102, vcc_lo, s2, v96
	v_add_co_ci_u32_e32 v103, vcc_lo, s3, v97, vcc_lo
	v_add_nc_u32_e32 v113, s11, v111
	v_ashrrev_i32_e32 v108, 31, v107
	v_lshlrev_b64 v[218:219], 4, v[105:106]
	v_ashrrev_i32_e32 v110, 31, v109
	v_ashrrev_i32_e32 v112, 31, v111
	v_add_nc_u32_e32 v115, s11, v113
	v_ashrrev_i32_e32 v114, 31, v113
	s_clause 0x3
	global_load_b128 v[187:190], v[92:93], off
	global_load_b128 v[191:194], v[94:95], off
	;; [unrolled: 1-line block ×4, first 2 shown]
	v_add_nc_u32_e32 v117, s11, v115
	v_ashrrev_i32_e32 v116, 31, v115
	s_movk_i32 s12, 0xd0
	s_movk_i32 s13, 0xe0
	s_movk_i32 s29, 0x180
	v_add_nc_u32_e32 v119, s11, v117
	v_ashrrev_i32_e32 v118, 31, v117
	s_movk_i32 s30, 0x190
	s_movk_i32 s31, 0x1a0
	s_movk_i32 s33, 0x1b0
	v_add_nc_u32_e32 v121, s11, v119
	v_ashrrev_i32_e32 v120, 31, v119
	s_movk_i32 s34, 0x1c0
	s_movk_i32 s35, 0x1d0
	s_movk_i32 s36, 0x1e0
	v_add_nc_u32_e32 v123, s11, v121
	v_ashrrev_i32_e32 v122, 31, v121
	s_movk_i32 s37, 0x1f0
	s_movk_i32 s38, 0x200
	s_movk_i32 s40, 0x220
	v_add_nc_u32_e32 v199, s11, v123
	s_movk_i32 s42, 0x240
	s_movk_i32 s43, 0x250
	;; [unrolled: 1-line block ×4, first 2 shown]
	v_add_nc_u32_e32 v201, s11, v199
	v_ashrrev_i32_e32 v200, 31, v199
	s_movk_i32 s46, 0x280
	s_movk_i32 s47, 0x290
	;; [unrolled: 1-line block ×3, first 2 shown]
	v_add_nc_u32_e32 v203, s11, v201
	v_ashrrev_i32_e32 v202, 31, v201
	v_lshlrev_b64 v[199:200], 4, v[199:200]
	s_movk_i32 s49, 0x2b0
	s_movk_i32 s50, 0x2c0
	v_add_nc_u32_e32 v205, s11, v203
	v_ashrrev_i32_e32 v204, 31, v203
	v_lshlrev_b64 v[201:202], 4, v[201:202]
	s_movk_i32 s51, 0x2d0
	s_movk_i32 s52, 0x2e0
	v_add_nc_u32_e32 v207, s11, v205
	v_ashrrev_i32_e32 v206, 31, v205
	s_movk_i32 s53, 0x2f0
	s_movk_i32 s54, 0x300
	;; [unrolled: 1-line block ×3, first 2 shown]
	v_add_nc_u32_e32 v234, s11, v207
	s_movk_i32 s56, 0x320
	s_movk_i32 s57, 0x330
	;; [unrolled: 1-line block ×4, first 2 shown]
	v_add_nc_u32_e32 v242, s11, v234
	v_ashrrev_i32_e32 v235, 31, v234
	s_movk_i32 s60, 0x360
	s_movk_i32 s61, 0x370
	s_bitcmp0_b32 s21, 0
	v_add_nc_u32_e32 v244, s11, v242
	v_ashrrev_i32_e32 v243, 31, v242
	s_delay_alu instid0(VALU_DEP_2) | instskip(SKIP_1) | instid1(VALU_DEP_2)
	v_add_nc_u32_e32 v250, s11, v244
	v_ashrrev_i32_e32 v245, 31, v244
	v_add_nc_u32_e32 v252, s11, v250
	v_ashrrev_i32_e32 v251, 31, v250
	s_delay_alu instid0(VALU_DEP_2) | instskip(SKIP_1) | instid1(VALU_DEP_2)
	v_add_nc_u32_e32 v254, s11, v252
	v_ashrrev_i32_e32 v253, 31, v252
	;; [unrolled: 5-line block ×3, first 2 shown]
	v_add_nc_u32_e32 v48, s11, v46
	s_delay_alu instid0(VALU_DEP_2) | instskip(SKIP_1) | instid1(VALU_DEP_3)
	v_lshlrev_b64 v[44:45], 4, v[44:45]
	v_ashrrev_i32_e32 v47, 31, v46
	v_add_nc_u32_e32 v208, s11, v48
	v_ashrrev_i32_e32 v49, 31, v48
	s_delay_alu instid0(VALU_DEP_3) | instskip(SKIP_1) | instid1(VALU_DEP_3)
	v_lshlrev_b64 v[46:47], 4, v[46:47]
	s_movk_i32 s11, 0xc0
	v_ashrrev_i32_e32 v209, 31, v208
	s_delay_alu instid0(VALU_DEP_1) | instskip(NEXT) | instid1(VALU_DEP_1)
	v_lshlrev_b64 v[208:209], 4, v[208:209]
	v_add_co_u32 v96, vcc_lo, s2, v208
	s_delay_alu instid0(VALU_DEP_2)
	v_add_co_ci_u32_e32 v97, vcc_lo, s3, v209, vcc_lo
	v_add_co_u32 v104, vcc_lo, s2, v124
	v_add_co_ci_u32_e32 v105, vcc_lo, s3, v125, vcc_lo
	v_lshlrev_b64 v[124:125], 4, v[107:108]
	v_add_co_u32 v106, vcc_lo, s2, v218
	v_lshlrev_b64 v[208:209], 4, v[109:110]
	v_add_co_ci_u32_e32 v107, vcc_lo, s3, v219, vcc_lo
	s_delay_alu instid0(VALU_DEP_4)
	v_add_co_u32 v108, vcc_lo, s2, v124
	v_add_co_ci_u32_e32 v109, vcc_lo, s3, v125, vcc_lo
	v_lshlrev_b64 v[124:125], 4, v[111:112]
	v_add_co_u32 v110, vcc_lo, s2, v208
	v_add_co_ci_u32_e32 v111, vcc_lo, s3, v209, vcc_lo
	v_lshlrev_b64 v[208:209], 4, v[113:114]
	s_delay_alu instid0(VALU_DEP_4) | instskip(SKIP_2) | instid1(VALU_DEP_4)
	v_add_co_u32 v112, vcc_lo, s2, v124
	v_add_co_ci_u32_e32 v113, vcc_lo, s3, v125, vcc_lo
	v_lshlrev_b64 v[124:125], 4, v[115:116]
	v_add_co_u32 v114, vcc_lo, s2, v208
	v_add_co_ci_u32_e32 v115, vcc_lo, s3, v209, vcc_lo
	v_lshlrev_b64 v[208:209], 4, v[117:118]
	s_delay_alu instid0(VALU_DEP_4) | instskip(SKIP_2) | instid1(VALU_DEP_4)
	v_add_co_u32 v116, vcc_lo, s2, v124
	v_add_co_ci_u32_e32 v117, vcc_lo, s3, v125, vcc_lo
	v_lshlrev_b64 v[218:219], 4, v[119:120]
	v_add_co_u32 v118, vcc_lo, s2, v208
	v_ashrrev_i32_e32 v124, 31, v123
	v_add_co_ci_u32_e32 v119, vcc_lo, s3, v209, vcc_lo
	v_lshlrev_b64 v[208:209], 4, v[121:122]
	v_add_co_u32 v120, vcc_lo, s2, v218
	s_delay_alu instid0(VALU_DEP_4) | instskip(SKIP_1) | instid1(VALU_DEP_4)
	v_lshlrev_b64 v[124:125], 4, v[123:124]
	v_add_co_ci_u32_e32 v121, vcc_lo, s3, v219, vcc_lo
	v_add_co_u32 v122, vcc_lo, s2, v208
	global_load_b128 v[214:217], v[96:97], off
	s_waitcnt vmcnt(27)
	s_clause 0x1
	scratch_store_b128 off, v[1:4], off
	scratch_store_b128 off, v[5:8], off offset:16
	s_clause 0x1
	global_load_b128 v[1:4], v[102:103], off
	global_load_b128 v[5:8], v[104:105], off
	s_waitcnt vmcnt(28)
	scratch_store_b128 off, v[9:12], off offset:32
	s_waitcnt vmcnt(27)
	scratch_store_b128 off, v[14:17], off offset:48
	v_add_co_ci_u32_e32 v123, vcc_lo, s3, v209, vcc_lo
	s_clause 0x1
	global_load_b128 v[9:12], v[106:107], off
	global_load_b128 v[14:17], v[108:109], off
	scratch_store_b128 off, v[18:21], off offset:64
	s_waitcnt vmcnt(27)
	scratch_store_b128 off, v[22:25], off offset:80
	v_add_co_u32 v124, vcc_lo, s2, v124
	s_clause 0x1
	global_load_b128 v[18:21], v[110:111], off
	global_load_b128 v[22:25], v[112:113], off
	scratch_store_b128 off, v[26:29], off offset:96
	s_waitcnt vmcnt(28)
	scratch_store_b128 off, v[30:33], off offset:112
	s_clause 0x1
	global_load_b128 v[26:29], v[114:115], off
	global_load_b128 v[30:33], v[116:117], off
	s_waitcnt vmcnt(29)
	scratch_store_b128 off, v[34:37], off offset:128
	s_waitcnt vmcnt(28)
	scratch_store_b128 off, v[38:41], off offset:144
	v_add_co_ci_u32_e32 v125, vcc_lo, s3, v125, vcc_lo
	s_clause 0x1
	global_load_b128 v[34:37], v[118:119], off
	global_load_b128 v[38:41], v[120:121], off
	s_waitcnt vmcnt(29)
	scratch_store_b128 off, v[126:129], off offset:160
	s_waitcnt vmcnt(28)
	scratch_store_b128 off, v[130:133], off offset:176
	v_add_co_u32 v126, vcc_lo, s2, v199
	v_lshlrev_b64 v[130:131], 4, v[203:204]
	v_ashrrev_i32_e32 v208, 31, v207
	v_add_co_ci_u32_e32 v127, vcc_lo, s3, v200, vcc_lo
	v_add_co_u32 v128, vcc_lo, s2, v201
	v_lshlrev_b64 v[132:133], 4, v[205:206]
	v_add_co_ci_u32_e32 v129, vcc_lo, s3, v202, vcc_lo
	s_clause 0x1
	global_load_b128 v[218:221], v[122:123], off
	global_load_b128 v[222:225], v[124:125], off
	s_waitcnt vmcnt(29)
	scratch_store_b128 off, v[134:137], off offset:192
	s_waitcnt vmcnt(28)
	scratch_store_b128 off, v[138:141], off offset:208
	v_add_co_u32 v130, vcc_lo, s2, v130
	v_lshlrev_b64 v[134:135], 4, v[207:208]
	v_add_co_ci_u32_e32 v131, vcc_lo, s3, v131, vcc_lo
	v_add_co_u32 v132, vcc_lo, s2, v132
	v_lshlrev_b64 v[136:137], 4, v[234:235]
	v_add_co_ci_u32_e32 v133, vcc_lo, s3, v133, vcc_lo
	;; [unrolled: 3-line block ×4, first 2 shown]
	s_clause 0x1
	global_load_b128 v[226:229], v[126:127], off
	global_load_b128 v[230:233], v[128:129], off
	s_waitcnt vmcnt(29)
	scratch_store_b128 off, v[142:145], off offset:224
	s_waitcnt vmcnt(28)
	scratch_store_b128 off, v[146:149], off offset:240
	v_add_co_u32 v138, vcc_lo, s2, v138
	v_lshlrev_b64 v[142:143], 4, v[250:251]
	v_add_co_ci_u32_e32 v139, vcc_lo, s3, v139, vcc_lo
	v_add_co_u32 v140, vcc_lo, s2, v140
	v_lshlrev_b64 v[144:145], 4, v[252:253]
	v_add_co_ci_u32_e32 v141, vcc_lo, s3, v141, vcc_lo
	;; [unrolled: 3-line block ×3, first 2 shown]
	v_add_co_u32 v144, vcc_lo, s2, v144
	v_add_co_ci_u32_e32 v145, vcc_lo, s3, v145, vcc_lo
	s_delay_alu instid0(VALU_DEP_4)
	v_add_co_u32 v146, vcc_lo, s2, v146
	v_add_co_ci_u32_e32 v147, vcc_lo, s3, v147, vcc_lo
	v_add_co_u32 v148, vcc_lo, s2, v44
	v_add_co_ci_u32_e32 v149, vcc_lo, s3, v45, vcc_lo
	v_lshlrev_b64 v[44:45], 4, v[48:49]
	s_clause 0x1
	global_load_b128 v[234:237], v[130:131], off
	global_load_b128 v[238:241], v[132:133], off
	s_waitcnt vmcnt(29)
	scratch_store_b128 off, v[150:153], off offset:256
	s_waitcnt vmcnt(28)
	scratch_store_b128 off, v[155:158], off offset:272
	v_add_co_u32 v150, vcc_lo, s2, v46
	v_add_co_ci_u32_e32 v151, vcc_lo, s3, v47, vcc_lo
	s_clause 0x1
	global_load_b128 v[242:245], v[134:135], off
	global_load_b128 v[246:249], v[136:137], off
	s_waitcnt vmcnt(29)
	scratch_store_b128 off, v[159:162], off offset:288
	s_waitcnt vmcnt(28)
	scratch_store_b128 off, v[163:166], off offset:304
	v_add_co_u32 v152, vcc_lo, s2, v44
	s_clause 0x1
	global_load_b128 v[162:165], v[138:139], off
	global_load_b128 v[250:253], v[140:141], off
	s_waitcnt vmcnt(29)
	scratch_store_b128 off, v[167:170], off offset:320
	s_waitcnt vmcnt(28)
	scratch_store_b128 off, v[171:174], off offset:336
	;; [unrolled: 2-line block ×5, first 2 shown]
	s_clause 0x4
	global_load_b128 v[155:158], v[142:143], off
	global_load_b128 v[166:169], v[144:145], off
	global_load_b128 v[170:173], v[146:147], off
	global_load_b128 v[174:177], v[148:149], off
	global_load_b128 v[178:181], v[150:151], off
	v_add_co_ci_u32_e32 v153, vcc_lo, s3, v45, vcc_lo
	s_movk_i32 s2, 0x50
	s_movk_i32 s3, 0x60
	v_add_nc_u32_e64 v209, 0, 16
	global_load_b128 v[182:185], v[152:153], off
	v_add_nc_u32_e64 v208, 0, 32
	v_add_nc_u32_e64 v207, 0, 48
	;; [unrolled: 1-line block ×22, first 2 shown]
	s_mov_b32 s3, -1
	s_waitcnt vmcnt(30)
	scratch_store_b128 off, v[187:190], off offset:400
	s_waitcnt vmcnt(29)
	scratch_store_b128 off, v[191:194], off offset:416
	;; [unrolled: 2-line block ×4, first 2 shown]
	v_add_nc_u32_e64 v198, s11, 0
	v_add_nc_u32_e64 v197, s12, 0
	;; [unrolled: 1-line block ×16, first 2 shown]
	s_waitcnt vmcnt(25)
	scratch_store_b128 off, v[1:4], off offset:464
	s_waitcnt vmcnt(24)
	scratch_store_b128 off, v[5:8], off offset:480
	v_add_nc_u32_e64 v1, s39, 0
	s_waitcnt vmcnt(23)
	scratch_store_b128 off, v[9:12], off offset:496
	s_waitcnt vmcnt(22)
	s_clause 0x1
	scratch_store_b128 off, v[14:17], off offset:512
	scratch_store_b32 off, v1, off offset:900
	v_add_nc_u32_e64 v1, s41, 0
	s_waitcnt vmcnt(21)
	scratch_store_b128 off, v[18:21], off offset:528
	s_waitcnt vmcnt(20)
	scratch_store_b128 off, v[22:25], off offset:544
	s_waitcnt vmcnt(19)
	scratch_store_b128 off, v[26:29], off offset:560
	s_waitcnt vmcnt(18)
	s_clause 0x1
	scratch_store_b128 off, v[30:33], off offset:576
	scratch_store_b32 off, v1, off offset:896
	v_add_nc_u32_e64 v28, s48, 0
	s_waitcnt vmcnt(17)
	scratch_store_b128 off, v[34:37], off offset:592
	v_add_nc_u32_e64 v29, s49, 0
	v_add_nc_u32_e64 v27, s50, 0
	v_add_nc_u32_e64 v26, s51, 0
	v_add_nc_u32_e64 v24, s52, 0
	v_add_nc_u32_e64 v25, s53, 0
	v_add_nc_u32_e64 v23, s54, 0
	s_waitcnt vmcnt(16)
	scratch_store_b128 off, v[38:41], off offset:608
	s_waitcnt vmcnt(15)
	scratch_store_b128 off, v[218:221], off offset:624
	;; [unrolled: 2-line block ×16, first 2 shown]
	v_add_nc_u32_e64 v166, s55, 0
	v_add_nc_u32_e64 v165, s56, 0
	;; [unrolled: 1-line block ×7, first 2 shown]
	s_waitcnt vmcnt(0)
	s_clause 0x1
	scratch_store_b128 off, v[182:185], off offset:864
	scratch_store_b128 off, v[214:217], off offset:880
	s_cbranch_scc1 .LBB55_236
; %bb.4:
	v_cmp_eq_u32_e64 s2, 0, v154
	s_delay_alu instid0(VALU_DEP_1)
	s_and_saveexec_b32 s3, s2
	s_cbranch_execz .LBB55_6
; %bb.5:
	v_mov_b32_e32 v1, 0
	ds_store_b32 v1, v1 offset:1792
.LBB55_6:
	s_or_b32 exec_lo, exec_lo, s3
	s_waitcnt lgkmcnt(0)
	s_waitcnt_vscnt null, 0x0
	s_barrier
	buffer_gl0_inv
	scratch_load_b128 v[1:4], v13, off
	s_waitcnt vmcnt(0)
	v_cmp_eq_f64_e32 vcc_lo, 0, v[1:2]
	v_cmp_eq_f64_e64 s3, 0, v[3:4]
	s_delay_alu instid0(VALU_DEP_1) | instskip(NEXT) | instid1(SALU_CYCLE_1)
	s_and_b32 s3, vcc_lo, s3
	s_and_saveexec_b32 s4, s3
	s_cbranch_execz .LBB55_10
; %bb.7:
	v_mov_b32_e32 v1, 0
	s_mov_b32 s5, 0
	ds_load_b32 v2, v1 offset:1792
	s_waitcnt lgkmcnt(0)
	v_readfirstlane_b32 s3, v2
	v_add_nc_u32_e32 v2, 1, v154
	s_delay_alu instid0(VALU_DEP_2) | instskip(NEXT) | instid1(VALU_DEP_1)
	s_cmp_eq_u32 s3, 0
	v_cmp_gt_i32_e32 vcc_lo, s3, v2
	s_cselect_b32 s8, -1, 0
	s_delay_alu instid0(SALU_CYCLE_1) | instskip(NEXT) | instid1(SALU_CYCLE_1)
	s_or_b32 s8, s8, vcc_lo
	s_and_b32 exec_lo, exec_lo, s8
	s_cbranch_execz .LBB55_10
; %bb.8:
	v_mov_b32_e32 v3, s3
.LBB55_9:                               ; =>This Inner Loop Header: Depth=1
	ds_cmpstore_rtn_b32 v3, v1, v2, v3 offset:1792
	s_waitcnt lgkmcnt(0)
	v_cmp_ne_u32_e32 vcc_lo, 0, v3
	v_cmp_le_i32_e64 s3, v3, v2
	s_delay_alu instid0(VALU_DEP_1) | instskip(NEXT) | instid1(SALU_CYCLE_1)
	s_and_b32 s3, vcc_lo, s3
	s_and_b32 s3, exec_lo, s3
	s_delay_alu instid0(SALU_CYCLE_1) | instskip(NEXT) | instid1(SALU_CYCLE_1)
	s_or_b32 s5, s3, s5
	s_and_not1_b32 exec_lo, exec_lo, s5
	s_cbranch_execnz .LBB55_9
.LBB55_10:
	s_or_b32 exec_lo, exec_lo, s4
	v_mov_b32_e32 v1, 0
	s_barrier
	buffer_gl0_inv
	ds_load_b32 v2, v1 offset:1792
	s_and_saveexec_b32 s3, s2
	s_cbranch_execz .LBB55_12
; %bb.11:
	s_lshl_b64 s[4:5], s[18:19], 2
	s_delay_alu instid0(SALU_CYCLE_1)
	s_add_u32 s4, s6, s4
	s_addc_u32 s5, s7, s5
	s_waitcnt lgkmcnt(0)
	global_store_b32 v1, v2, s[4:5]
.LBB55_12:
	s_or_b32 exec_lo, exec_lo, s3
	s_waitcnt lgkmcnt(0)
	v_cmp_ne_u32_e32 vcc_lo, 0, v2
	s_mov_b32 s3, 0
	s_cbranch_vccnz .LBB55_236
; %bb.13:
	v_add_nc_u32_e32 v14, 0, v13
                                        ; implicit-def: $vgpr9_vgpr10
	scratch_load_b128 v[1:4], v14, off
	s_waitcnt vmcnt(0)
	v_mov_b32_e32 v5, v1
	v_cmp_gt_f64_e32 vcc_lo, 0, v[1:2]
	v_xor_b32_e32 v6, 0x80000000, v2
	v_xor_b32_e32 v7, 0x80000000, v4
	s_delay_alu instid0(VALU_DEP_2) | instskip(SKIP_1) | instid1(VALU_DEP_3)
	v_cndmask_b32_e32 v6, v2, v6, vcc_lo
	v_cmp_gt_f64_e32 vcc_lo, 0, v[3:4]
	v_dual_cndmask_b32 v8, v4, v7 :: v_dual_mov_b32 v7, v3
	s_delay_alu instid0(VALU_DEP_1) | instskip(SKIP_1) | instid1(SALU_CYCLE_1)
	v_cmp_ngt_f64_e32 vcc_lo, v[5:6], v[7:8]
                                        ; implicit-def: $vgpr5_vgpr6
	s_and_saveexec_b32 s3, vcc_lo
	s_xor_b32 s3, exec_lo, s3
	s_cbranch_execz .LBB55_15
; %bb.14:
	v_div_scale_f64 v[5:6], null, v[3:4], v[3:4], v[1:2]
	v_div_scale_f64 v[11:12], vcc_lo, v[1:2], v[3:4], v[1:2]
	s_delay_alu instid0(VALU_DEP_2) | instskip(SKIP_2) | instid1(VALU_DEP_1)
	v_rcp_f64_e32 v[7:8], v[5:6]
	s_waitcnt_depctr 0xfff
	v_fma_f64 v[9:10], -v[5:6], v[7:8], 1.0
	v_fma_f64 v[7:8], v[7:8], v[9:10], v[7:8]
	s_delay_alu instid0(VALU_DEP_1) | instskip(NEXT) | instid1(VALU_DEP_1)
	v_fma_f64 v[9:10], -v[5:6], v[7:8], 1.0
	v_fma_f64 v[7:8], v[7:8], v[9:10], v[7:8]
	s_delay_alu instid0(VALU_DEP_1) | instskip(NEXT) | instid1(VALU_DEP_1)
	v_mul_f64 v[9:10], v[11:12], v[7:8]
	v_fma_f64 v[5:6], -v[5:6], v[9:10], v[11:12]
	s_delay_alu instid0(VALU_DEP_1) | instskip(NEXT) | instid1(VALU_DEP_1)
	v_div_fmas_f64 v[5:6], v[5:6], v[7:8], v[9:10]
	v_div_fixup_f64 v[5:6], v[5:6], v[3:4], v[1:2]
	s_delay_alu instid0(VALU_DEP_1) | instskip(NEXT) | instid1(VALU_DEP_1)
	v_fma_f64 v[1:2], v[1:2], v[5:6], v[3:4]
	v_div_scale_f64 v[3:4], null, v[1:2], v[1:2], 1.0
	v_div_scale_f64 v[11:12], vcc_lo, 1.0, v[1:2], 1.0
	s_delay_alu instid0(VALU_DEP_2) | instskip(SKIP_2) | instid1(VALU_DEP_1)
	v_rcp_f64_e32 v[7:8], v[3:4]
	s_waitcnt_depctr 0xfff
	v_fma_f64 v[9:10], -v[3:4], v[7:8], 1.0
	v_fma_f64 v[7:8], v[7:8], v[9:10], v[7:8]
	s_delay_alu instid0(VALU_DEP_1) | instskip(NEXT) | instid1(VALU_DEP_1)
	v_fma_f64 v[9:10], -v[3:4], v[7:8], 1.0
	v_fma_f64 v[7:8], v[7:8], v[9:10], v[7:8]
	s_delay_alu instid0(VALU_DEP_1) | instskip(NEXT) | instid1(VALU_DEP_1)
	v_mul_f64 v[9:10], v[11:12], v[7:8]
	v_fma_f64 v[3:4], -v[3:4], v[9:10], v[11:12]
	s_delay_alu instid0(VALU_DEP_1) | instskip(NEXT) | instid1(VALU_DEP_1)
	v_div_fmas_f64 v[3:4], v[3:4], v[7:8], v[9:10]
	v_div_fixup_f64 v[7:8], v[3:4], v[1:2], 1.0
                                        ; implicit-def: $vgpr1_vgpr2
	s_delay_alu instid0(VALU_DEP_1) | instskip(SKIP_1) | instid1(VALU_DEP_2)
	v_mul_f64 v[5:6], v[5:6], v[7:8]
	v_xor_b32_e32 v8, 0x80000000, v8
	v_xor_b32_e32 v10, 0x80000000, v6
	s_delay_alu instid0(VALU_DEP_3)
	v_mov_b32_e32 v9, v5
.LBB55_15:
	s_and_not1_saveexec_b32 s3, s3
	s_cbranch_execz .LBB55_17
; %bb.16:
	v_div_scale_f64 v[5:6], null, v[1:2], v[1:2], v[3:4]
	v_div_scale_f64 v[11:12], vcc_lo, v[3:4], v[1:2], v[3:4]
	s_delay_alu instid0(VALU_DEP_2) | instskip(SKIP_2) | instid1(VALU_DEP_1)
	v_rcp_f64_e32 v[7:8], v[5:6]
	s_waitcnt_depctr 0xfff
	v_fma_f64 v[9:10], -v[5:6], v[7:8], 1.0
	v_fma_f64 v[7:8], v[7:8], v[9:10], v[7:8]
	s_delay_alu instid0(VALU_DEP_1) | instskip(NEXT) | instid1(VALU_DEP_1)
	v_fma_f64 v[9:10], -v[5:6], v[7:8], 1.0
	v_fma_f64 v[7:8], v[7:8], v[9:10], v[7:8]
	s_delay_alu instid0(VALU_DEP_1) | instskip(NEXT) | instid1(VALU_DEP_1)
	v_mul_f64 v[9:10], v[11:12], v[7:8]
	v_fma_f64 v[5:6], -v[5:6], v[9:10], v[11:12]
	s_delay_alu instid0(VALU_DEP_1) | instskip(NEXT) | instid1(VALU_DEP_1)
	v_div_fmas_f64 v[5:6], v[5:6], v[7:8], v[9:10]
	v_div_fixup_f64 v[7:8], v[5:6], v[1:2], v[3:4]
	s_delay_alu instid0(VALU_DEP_1) | instskip(NEXT) | instid1(VALU_DEP_1)
	v_fma_f64 v[1:2], v[3:4], v[7:8], v[1:2]
	v_div_scale_f64 v[3:4], null, v[1:2], v[1:2], 1.0
	s_delay_alu instid0(VALU_DEP_1) | instskip(SKIP_2) | instid1(VALU_DEP_1)
	v_rcp_f64_e32 v[5:6], v[3:4]
	s_waitcnt_depctr 0xfff
	v_fma_f64 v[9:10], -v[3:4], v[5:6], 1.0
	v_fma_f64 v[5:6], v[5:6], v[9:10], v[5:6]
	s_delay_alu instid0(VALU_DEP_1) | instskip(NEXT) | instid1(VALU_DEP_1)
	v_fma_f64 v[9:10], -v[3:4], v[5:6], 1.0
	v_fma_f64 v[5:6], v[5:6], v[9:10], v[5:6]
	v_div_scale_f64 v[9:10], vcc_lo, 1.0, v[1:2], 1.0
	s_delay_alu instid0(VALU_DEP_1) | instskip(NEXT) | instid1(VALU_DEP_1)
	v_mul_f64 v[11:12], v[9:10], v[5:6]
	v_fma_f64 v[3:4], -v[3:4], v[11:12], v[9:10]
	s_delay_alu instid0(VALU_DEP_1) | instskip(NEXT) | instid1(VALU_DEP_1)
	v_div_fmas_f64 v[3:4], v[3:4], v[5:6], v[11:12]
	v_div_fixup_f64 v[5:6], v[3:4], v[1:2], 1.0
	s_delay_alu instid0(VALU_DEP_1)
	v_mul_f64 v[7:8], v[7:8], -v[5:6]
	v_xor_b32_e32 v10, 0x80000000, v6
	v_mov_b32_e32 v9, v5
.LBB55_17:
	s_or_b32 exec_lo, exec_lo, s3
	scratch_store_b128 v14, v[5:8], off
	scratch_load_b128 v[1:4], v209, off
	v_xor_b32_e32 v12, 0x80000000, v8
	v_mov_b32_e32 v11, v7
	v_add_nc_u32_e32 v5, 0x380, v13
	ds_store_b128 v13, v[9:12]
	s_waitcnt vmcnt(0)
	ds_store_b128 v13, v[1:4] offset:896
	s_waitcnt lgkmcnt(0)
	s_waitcnt_vscnt null, 0x0
	s_barrier
	buffer_gl0_inv
	s_and_saveexec_b32 s3, s2
	s_cbranch_execz .LBB55_19
; %bb.18:
	scratch_load_b128 v[1:4], v14, off
	ds_load_b128 v[6:9], v5
	v_mov_b32_e32 v10, 0
	ds_load_b128 v[15:18], v10 offset:16
	s_waitcnt vmcnt(0) lgkmcnt(1)
	v_mul_f64 v[10:11], v[6:7], v[3:4]
	v_mul_f64 v[3:4], v[8:9], v[3:4]
	s_delay_alu instid0(VALU_DEP_2) | instskip(NEXT) | instid1(VALU_DEP_2)
	v_fma_f64 v[8:9], v[8:9], v[1:2], v[10:11]
	v_fma_f64 v[1:2], v[6:7], v[1:2], -v[3:4]
	s_delay_alu instid0(VALU_DEP_2) | instskip(NEXT) | instid1(VALU_DEP_2)
	v_add_f64 v[3:4], v[8:9], 0
	v_add_f64 v[1:2], v[1:2], 0
	s_waitcnt lgkmcnt(0)
	s_delay_alu instid0(VALU_DEP_2) | instskip(NEXT) | instid1(VALU_DEP_2)
	v_mul_f64 v[6:7], v[3:4], v[17:18]
	v_mul_f64 v[8:9], v[1:2], v[17:18]
	s_delay_alu instid0(VALU_DEP_2) | instskip(NEXT) | instid1(VALU_DEP_2)
	v_fma_f64 v[1:2], v[1:2], v[15:16], -v[6:7]
	v_fma_f64 v[3:4], v[3:4], v[15:16], v[8:9]
	scratch_store_b128 off, v[1:4], off offset:16
.LBB55_19:
	s_or_b32 exec_lo, exec_lo, s3
	s_waitcnt_vscnt null, 0x0
	s_barrier
	buffer_gl0_inv
	scratch_load_b128 v[1:4], v208, off
	s_mov_b32 s3, exec_lo
	s_waitcnt vmcnt(0)
	ds_store_b128 v5, v[1:4]
	s_waitcnt lgkmcnt(0)
	s_barrier
	buffer_gl0_inv
	v_cmpx_gt_u32_e32 2, v154
	s_cbranch_execz .LBB55_23
; %bb.20:
	scratch_load_b128 v[1:4], v14, off
	ds_load_b128 v[6:9], v5
	s_waitcnt vmcnt(0) lgkmcnt(0)
	v_mul_f64 v[10:11], v[8:9], v[3:4]
	v_mul_f64 v[3:4], v[6:7], v[3:4]
	s_delay_alu instid0(VALU_DEP_2) | instskip(NEXT) | instid1(VALU_DEP_2)
	v_fma_f64 v[6:7], v[6:7], v[1:2], -v[10:11]
	v_fma_f64 v[3:4], v[8:9], v[1:2], v[3:4]
	s_delay_alu instid0(VALU_DEP_2) | instskip(NEXT) | instid1(VALU_DEP_2)
	v_add_f64 v[1:2], v[6:7], 0
	v_add_f64 v[3:4], v[3:4], 0
	s_and_saveexec_b32 s4, s2
	s_cbranch_execz .LBB55_22
; %bb.21:
	scratch_load_b128 v[6:9], off, off offset:16
	v_mov_b32_e32 v10, 0
	ds_load_b128 v[15:18], v10 offset:912
	s_waitcnt vmcnt(0) lgkmcnt(0)
	v_mul_f64 v[10:11], v[15:16], v[8:9]
	v_mul_f64 v[8:9], v[17:18], v[8:9]
	s_delay_alu instid0(VALU_DEP_2) | instskip(NEXT) | instid1(VALU_DEP_2)
	v_fma_f64 v[10:11], v[17:18], v[6:7], v[10:11]
	v_fma_f64 v[6:7], v[15:16], v[6:7], -v[8:9]
	s_delay_alu instid0(VALU_DEP_2) | instskip(NEXT) | instid1(VALU_DEP_2)
	v_add_f64 v[3:4], v[3:4], v[10:11]
	v_add_f64 v[1:2], v[1:2], v[6:7]
.LBB55_22:
	s_or_b32 exec_lo, exec_lo, s4
	v_mov_b32_e32 v6, 0
	ds_load_b128 v[6:9], v6 offset:32
	s_waitcnt lgkmcnt(0)
	v_mul_f64 v[10:11], v[3:4], v[8:9]
	v_mul_f64 v[8:9], v[1:2], v[8:9]
	s_delay_alu instid0(VALU_DEP_2) | instskip(NEXT) | instid1(VALU_DEP_2)
	v_fma_f64 v[1:2], v[1:2], v[6:7], -v[10:11]
	v_fma_f64 v[3:4], v[3:4], v[6:7], v[8:9]
	scratch_store_b128 off, v[1:4], off offset:32
.LBB55_23:
	s_or_b32 exec_lo, exec_lo, s3
	s_waitcnt_vscnt null, 0x0
	s_barrier
	buffer_gl0_inv
	scratch_load_b128 v[1:4], v207, off
	v_add_nc_u32_e32 v6, -1, v154
	s_mov_b32 s2, exec_lo
	s_waitcnt vmcnt(0)
	ds_store_b128 v5, v[1:4]
	s_waitcnt lgkmcnt(0)
	s_barrier
	buffer_gl0_inv
	v_cmpx_gt_u32_e32 3, v154
	s_cbranch_execz .LBB55_27
; %bb.24:
	v_dual_mov_b32 v1, 0 :: v_dual_add_nc_u32 v8, 0x380, v13
	v_dual_mov_b32 v2, 0 :: v_dual_add_nc_u32 v7, -1, v154
	v_or_b32_e32 v9, 8, v14
	s_mov_b32 s3, 0
	s_delay_alu instid0(VALU_DEP_2)
	v_dual_mov_b32 v4, v2 :: v_dual_mov_b32 v3, v1
	.p2align	6
.LBB55_25:                              ; =>This Inner Loop Header: Depth=1
	scratch_load_b128 v[15:18], v9, off offset:-8
	ds_load_b128 v[19:22], v8
	v_add_nc_u32_e32 v7, 1, v7
	v_add_nc_u32_e32 v8, 16, v8
	;; [unrolled: 1-line block ×3, first 2 shown]
	s_delay_alu instid0(VALU_DEP_3) | instskip(SKIP_4) | instid1(VALU_DEP_2)
	v_cmp_lt_u32_e32 vcc_lo, 1, v7
	s_or_b32 s3, vcc_lo, s3
	s_waitcnt vmcnt(0) lgkmcnt(0)
	v_mul_f64 v[10:11], v[21:22], v[17:18]
	v_mul_f64 v[17:18], v[19:20], v[17:18]
	v_fma_f64 v[10:11], v[19:20], v[15:16], -v[10:11]
	s_delay_alu instid0(VALU_DEP_2) | instskip(NEXT) | instid1(VALU_DEP_2)
	v_fma_f64 v[15:16], v[21:22], v[15:16], v[17:18]
	v_add_f64 v[3:4], v[3:4], v[10:11]
	s_delay_alu instid0(VALU_DEP_2)
	v_add_f64 v[1:2], v[1:2], v[15:16]
	s_and_not1_b32 exec_lo, exec_lo, s3
	s_cbranch_execnz .LBB55_25
; %bb.26:
	s_or_b32 exec_lo, exec_lo, s3
	v_mov_b32_e32 v7, 0
	ds_load_b128 v[7:10], v7 offset:48
	s_waitcnt lgkmcnt(0)
	v_mul_f64 v[11:12], v[1:2], v[9:10]
	v_mul_f64 v[15:16], v[3:4], v[9:10]
	s_delay_alu instid0(VALU_DEP_2) | instskip(NEXT) | instid1(VALU_DEP_2)
	v_fma_f64 v[9:10], v[3:4], v[7:8], -v[11:12]
	v_fma_f64 v[11:12], v[1:2], v[7:8], v[15:16]
	scratch_store_b128 off, v[9:12], off offset:48
.LBB55_27:
	s_or_b32 exec_lo, exec_lo, s2
	s_waitcnt_vscnt null, 0x0
	s_barrier
	buffer_gl0_inv
	scratch_load_b128 v[1:4], v206, off
	s_mov_b32 s2, exec_lo
	s_waitcnt vmcnt(0)
	ds_store_b128 v5, v[1:4]
	s_waitcnt lgkmcnt(0)
	s_barrier
	buffer_gl0_inv
	v_cmpx_gt_u32_e32 4, v154
	s_cbranch_execz .LBB55_31
; %bb.28:
	v_dual_mov_b32 v1, 0 :: v_dual_add_nc_u32 v8, 0x380, v13
	v_dual_mov_b32 v2, 0 :: v_dual_add_nc_u32 v7, -1, v154
	v_or_b32_e32 v9, 8, v14
	s_mov_b32 s3, 0
	s_delay_alu instid0(VALU_DEP_2)
	v_dual_mov_b32 v4, v2 :: v_dual_mov_b32 v3, v1
	.p2align	6
.LBB55_29:                              ; =>This Inner Loop Header: Depth=1
	scratch_load_b128 v[15:18], v9, off offset:-8
	ds_load_b128 v[19:22], v8
	v_add_nc_u32_e32 v7, 1, v7
	v_add_nc_u32_e32 v8, 16, v8
	v_add_nc_u32_e32 v9, 16, v9
	s_delay_alu instid0(VALU_DEP_3) | instskip(SKIP_4) | instid1(VALU_DEP_2)
	v_cmp_lt_u32_e32 vcc_lo, 2, v7
	s_or_b32 s3, vcc_lo, s3
	s_waitcnt vmcnt(0) lgkmcnt(0)
	v_mul_f64 v[10:11], v[21:22], v[17:18]
	v_mul_f64 v[17:18], v[19:20], v[17:18]
	v_fma_f64 v[10:11], v[19:20], v[15:16], -v[10:11]
	s_delay_alu instid0(VALU_DEP_2) | instskip(NEXT) | instid1(VALU_DEP_2)
	v_fma_f64 v[15:16], v[21:22], v[15:16], v[17:18]
	v_add_f64 v[3:4], v[3:4], v[10:11]
	s_delay_alu instid0(VALU_DEP_2)
	v_add_f64 v[1:2], v[1:2], v[15:16]
	s_and_not1_b32 exec_lo, exec_lo, s3
	s_cbranch_execnz .LBB55_29
; %bb.30:
	s_or_b32 exec_lo, exec_lo, s3
	v_mov_b32_e32 v7, 0
	ds_load_b128 v[7:10], v7 offset:64
	s_waitcnt lgkmcnt(0)
	v_mul_f64 v[11:12], v[1:2], v[9:10]
	v_mul_f64 v[15:16], v[3:4], v[9:10]
	s_delay_alu instid0(VALU_DEP_2) | instskip(NEXT) | instid1(VALU_DEP_2)
	v_fma_f64 v[9:10], v[3:4], v[7:8], -v[11:12]
	v_fma_f64 v[11:12], v[1:2], v[7:8], v[15:16]
	scratch_store_b128 off, v[9:12], off offset:64
.LBB55_31:
	s_or_b32 exec_lo, exec_lo, s2
	s_waitcnt_vscnt null, 0x0
	s_barrier
	buffer_gl0_inv
	scratch_load_b128 v[1:4], v205, off
	s_mov_b32 s2, exec_lo
	s_waitcnt vmcnt(0)
	ds_store_b128 v5, v[1:4]
	s_waitcnt lgkmcnt(0)
	s_barrier
	buffer_gl0_inv
	v_cmpx_gt_u32_e32 5, v154
	s_cbranch_execz .LBB55_35
; %bb.32:
	v_dual_mov_b32 v1, 0 :: v_dual_add_nc_u32 v8, 0x380, v13
	v_dual_mov_b32 v2, 0 :: v_dual_add_nc_u32 v7, -1, v154
	v_or_b32_e32 v9, 8, v14
	s_mov_b32 s3, 0
	s_delay_alu instid0(VALU_DEP_2)
	v_dual_mov_b32 v4, v2 :: v_dual_mov_b32 v3, v1
	.p2align	6
.LBB55_33:                              ; =>This Inner Loop Header: Depth=1
	scratch_load_b128 v[15:18], v9, off offset:-8
	ds_load_b128 v[19:22], v8
	v_add_nc_u32_e32 v7, 1, v7
	v_add_nc_u32_e32 v8, 16, v8
	;; [unrolled: 1-line block ×3, first 2 shown]
	s_delay_alu instid0(VALU_DEP_3) | instskip(SKIP_4) | instid1(VALU_DEP_2)
	v_cmp_lt_u32_e32 vcc_lo, 3, v7
	s_or_b32 s3, vcc_lo, s3
	s_waitcnt vmcnt(0) lgkmcnt(0)
	v_mul_f64 v[10:11], v[21:22], v[17:18]
	v_mul_f64 v[17:18], v[19:20], v[17:18]
	v_fma_f64 v[10:11], v[19:20], v[15:16], -v[10:11]
	s_delay_alu instid0(VALU_DEP_2) | instskip(NEXT) | instid1(VALU_DEP_2)
	v_fma_f64 v[15:16], v[21:22], v[15:16], v[17:18]
	v_add_f64 v[3:4], v[3:4], v[10:11]
	s_delay_alu instid0(VALU_DEP_2)
	v_add_f64 v[1:2], v[1:2], v[15:16]
	s_and_not1_b32 exec_lo, exec_lo, s3
	s_cbranch_execnz .LBB55_33
; %bb.34:
	s_or_b32 exec_lo, exec_lo, s3
	v_mov_b32_e32 v7, 0
	ds_load_b128 v[7:10], v7 offset:80
	s_waitcnt lgkmcnt(0)
	v_mul_f64 v[11:12], v[1:2], v[9:10]
	v_mul_f64 v[15:16], v[3:4], v[9:10]
	s_delay_alu instid0(VALU_DEP_2) | instskip(NEXT) | instid1(VALU_DEP_2)
	v_fma_f64 v[9:10], v[3:4], v[7:8], -v[11:12]
	v_fma_f64 v[11:12], v[1:2], v[7:8], v[15:16]
	scratch_store_b128 off, v[9:12], off offset:80
.LBB55_35:
	s_or_b32 exec_lo, exec_lo, s2
	s_waitcnt_vscnt null, 0x0
	s_barrier
	buffer_gl0_inv
	scratch_load_b128 v[1:4], v204, off
	s_mov_b32 s2, exec_lo
	s_waitcnt vmcnt(0)
	ds_store_b128 v5, v[1:4]
	s_waitcnt lgkmcnt(0)
	s_barrier
	buffer_gl0_inv
	v_cmpx_gt_u32_e32 6, v154
	s_cbranch_execz .LBB55_39
; %bb.36:
	v_dual_mov_b32 v1, 0 :: v_dual_add_nc_u32 v8, 0x380, v13
	v_dual_mov_b32 v2, 0 :: v_dual_add_nc_u32 v7, -1, v154
	v_or_b32_e32 v9, 8, v14
	s_mov_b32 s3, 0
	s_delay_alu instid0(VALU_DEP_2)
	v_dual_mov_b32 v4, v2 :: v_dual_mov_b32 v3, v1
	.p2align	6
.LBB55_37:                              ; =>This Inner Loop Header: Depth=1
	scratch_load_b128 v[15:18], v9, off offset:-8
	ds_load_b128 v[19:22], v8
	v_add_nc_u32_e32 v7, 1, v7
	v_add_nc_u32_e32 v8, 16, v8
	;; [unrolled: 1-line block ×3, first 2 shown]
	s_delay_alu instid0(VALU_DEP_3) | instskip(SKIP_4) | instid1(VALU_DEP_2)
	v_cmp_lt_u32_e32 vcc_lo, 4, v7
	s_or_b32 s3, vcc_lo, s3
	s_waitcnt vmcnt(0) lgkmcnt(0)
	v_mul_f64 v[10:11], v[21:22], v[17:18]
	v_mul_f64 v[17:18], v[19:20], v[17:18]
	v_fma_f64 v[10:11], v[19:20], v[15:16], -v[10:11]
	s_delay_alu instid0(VALU_DEP_2) | instskip(NEXT) | instid1(VALU_DEP_2)
	v_fma_f64 v[15:16], v[21:22], v[15:16], v[17:18]
	v_add_f64 v[3:4], v[3:4], v[10:11]
	s_delay_alu instid0(VALU_DEP_2)
	v_add_f64 v[1:2], v[1:2], v[15:16]
	s_and_not1_b32 exec_lo, exec_lo, s3
	s_cbranch_execnz .LBB55_37
; %bb.38:
	s_or_b32 exec_lo, exec_lo, s3
	v_mov_b32_e32 v7, 0
	ds_load_b128 v[7:10], v7 offset:96
	s_waitcnt lgkmcnt(0)
	v_mul_f64 v[11:12], v[1:2], v[9:10]
	v_mul_f64 v[15:16], v[3:4], v[9:10]
	s_delay_alu instid0(VALU_DEP_2) | instskip(NEXT) | instid1(VALU_DEP_2)
	v_fma_f64 v[9:10], v[3:4], v[7:8], -v[11:12]
	v_fma_f64 v[11:12], v[1:2], v[7:8], v[15:16]
	scratch_store_b128 off, v[9:12], off offset:96
.LBB55_39:
	s_or_b32 exec_lo, exec_lo, s2
	s_waitcnt_vscnt null, 0x0
	s_barrier
	buffer_gl0_inv
	scratch_load_b128 v[1:4], v203, off
	s_mov_b32 s2, exec_lo
	s_waitcnt vmcnt(0)
	ds_store_b128 v5, v[1:4]
	s_waitcnt lgkmcnt(0)
	s_barrier
	buffer_gl0_inv
	v_cmpx_gt_u32_e32 7, v154
	s_cbranch_execz .LBB55_43
; %bb.40:
	v_dual_mov_b32 v1, 0 :: v_dual_add_nc_u32 v8, 0x380, v13
	v_dual_mov_b32 v2, 0 :: v_dual_add_nc_u32 v7, -1, v154
	v_or_b32_e32 v9, 8, v14
	s_mov_b32 s3, 0
	s_delay_alu instid0(VALU_DEP_2)
	v_dual_mov_b32 v4, v2 :: v_dual_mov_b32 v3, v1
	.p2align	6
.LBB55_41:                              ; =>This Inner Loop Header: Depth=1
	scratch_load_b128 v[15:18], v9, off offset:-8
	ds_load_b128 v[19:22], v8
	v_add_nc_u32_e32 v7, 1, v7
	v_add_nc_u32_e32 v8, 16, v8
	;; [unrolled: 1-line block ×3, first 2 shown]
	s_delay_alu instid0(VALU_DEP_3) | instskip(SKIP_4) | instid1(VALU_DEP_2)
	v_cmp_lt_u32_e32 vcc_lo, 5, v7
	s_or_b32 s3, vcc_lo, s3
	s_waitcnt vmcnt(0) lgkmcnt(0)
	v_mul_f64 v[10:11], v[21:22], v[17:18]
	v_mul_f64 v[17:18], v[19:20], v[17:18]
	v_fma_f64 v[10:11], v[19:20], v[15:16], -v[10:11]
	s_delay_alu instid0(VALU_DEP_2) | instskip(NEXT) | instid1(VALU_DEP_2)
	v_fma_f64 v[15:16], v[21:22], v[15:16], v[17:18]
	v_add_f64 v[3:4], v[3:4], v[10:11]
	s_delay_alu instid0(VALU_DEP_2)
	v_add_f64 v[1:2], v[1:2], v[15:16]
	s_and_not1_b32 exec_lo, exec_lo, s3
	s_cbranch_execnz .LBB55_41
; %bb.42:
	s_or_b32 exec_lo, exec_lo, s3
	v_mov_b32_e32 v7, 0
	ds_load_b128 v[7:10], v7 offset:112
	s_waitcnt lgkmcnt(0)
	v_mul_f64 v[11:12], v[1:2], v[9:10]
	v_mul_f64 v[15:16], v[3:4], v[9:10]
	s_delay_alu instid0(VALU_DEP_2) | instskip(NEXT) | instid1(VALU_DEP_2)
	v_fma_f64 v[9:10], v[3:4], v[7:8], -v[11:12]
	v_fma_f64 v[11:12], v[1:2], v[7:8], v[15:16]
	scratch_store_b128 off, v[9:12], off offset:112
.LBB55_43:
	s_or_b32 exec_lo, exec_lo, s2
	s_waitcnt_vscnt null, 0x0
	s_barrier
	buffer_gl0_inv
	scratch_load_b128 v[1:4], v202, off
	s_mov_b32 s2, exec_lo
	s_waitcnt vmcnt(0)
	ds_store_b128 v5, v[1:4]
	s_waitcnt lgkmcnt(0)
	s_barrier
	buffer_gl0_inv
	v_cmpx_gt_u32_e32 8, v154
	s_cbranch_execz .LBB55_47
; %bb.44:
	v_dual_mov_b32 v1, 0 :: v_dual_add_nc_u32 v8, 0x380, v13
	v_dual_mov_b32 v2, 0 :: v_dual_add_nc_u32 v7, -1, v154
	v_or_b32_e32 v9, 8, v14
	s_mov_b32 s3, 0
	s_delay_alu instid0(VALU_DEP_2)
	v_dual_mov_b32 v4, v2 :: v_dual_mov_b32 v3, v1
	.p2align	6
.LBB55_45:                              ; =>This Inner Loop Header: Depth=1
	scratch_load_b128 v[15:18], v9, off offset:-8
	ds_load_b128 v[19:22], v8
	v_add_nc_u32_e32 v7, 1, v7
	v_add_nc_u32_e32 v8, 16, v8
	;; [unrolled: 1-line block ×3, first 2 shown]
	s_delay_alu instid0(VALU_DEP_3) | instskip(SKIP_4) | instid1(VALU_DEP_2)
	v_cmp_lt_u32_e32 vcc_lo, 6, v7
	s_or_b32 s3, vcc_lo, s3
	s_waitcnt vmcnt(0) lgkmcnt(0)
	v_mul_f64 v[10:11], v[21:22], v[17:18]
	v_mul_f64 v[17:18], v[19:20], v[17:18]
	v_fma_f64 v[10:11], v[19:20], v[15:16], -v[10:11]
	s_delay_alu instid0(VALU_DEP_2) | instskip(NEXT) | instid1(VALU_DEP_2)
	v_fma_f64 v[15:16], v[21:22], v[15:16], v[17:18]
	v_add_f64 v[3:4], v[3:4], v[10:11]
	s_delay_alu instid0(VALU_DEP_2)
	v_add_f64 v[1:2], v[1:2], v[15:16]
	s_and_not1_b32 exec_lo, exec_lo, s3
	s_cbranch_execnz .LBB55_45
; %bb.46:
	s_or_b32 exec_lo, exec_lo, s3
	v_mov_b32_e32 v7, 0
	ds_load_b128 v[7:10], v7 offset:128
	s_waitcnt lgkmcnt(0)
	v_mul_f64 v[11:12], v[1:2], v[9:10]
	v_mul_f64 v[15:16], v[3:4], v[9:10]
	s_delay_alu instid0(VALU_DEP_2) | instskip(NEXT) | instid1(VALU_DEP_2)
	v_fma_f64 v[9:10], v[3:4], v[7:8], -v[11:12]
	v_fma_f64 v[11:12], v[1:2], v[7:8], v[15:16]
	scratch_store_b128 off, v[9:12], off offset:128
.LBB55_47:
	s_or_b32 exec_lo, exec_lo, s2
	s_waitcnt_vscnt null, 0x0
	s_barrier
	buffer_gl0_inv
	scratch_load_b128 v[1:4], v201, off
	s_mov_b32 s2, exec_lo
	s_waitcnt vmcnt(0)
	ds_store_b128 v5, v[1:4]
	s_waitcnt lgkmcnt(0)
	s_barrier
	buffer_gl0_inv
	v_cmpx_gt_u32_e32 9, v154
	s_cbranch_execz .LBB55_51
; %bb.48:
	v_dual_mov_b32 v1, 0 :: v_dual_add_nc_u32 v8, 0x380, v13
	v_dual_mov_b32 v2, 0 :: v_dual_add_nc_u32 v7, -1, v154
	v_or_b32_e32 v9, 8, v14
	s_mov_b32 s3, 0
	s_delay_alu instid0(VALU_DEP_2)
	v_dual_mov_b32 v4, v2 :: v_dual_mov_b32 v3, v1
	.p2align	6
.LBB55_49:                              ; =>This Inner Loop Header: Depth=1
	scratch_load_b128 v[15:18], v9, off offset:-8
	ds_load_b128 v[19:22], v8
	v_add_nc_u32_e32 v7, 1, v7
	v_add_nc_u32_e32 v8, 16, v8
	;; [unrolled: 1-line block ×3, first 2 shown]
	s_delay_alu instid0(VALU_DEP_3) | instskip(SKIP_4) | instid1(VALU_DEP_2)
	v_cmp_lt_u32_e32 vcc_lo, 7, v7
	s_or_b32 s3, vcc_lo, s3
	s_waitcnt vmcnt(0) lgkmcnt(0)
	v_mul_f64 v[10:11], v[21:22], v[17:18]
	v_mul_f64 v[17:18], v[19:20], v[17:18]
	v_fma_f64 v[10:11], v[19:20], v[15:16], -v[10:11]
	s_delay_alu instid0(VALU_DEP_2) | instskip(NEXT) | instid1(VALU_DEP_2)
	v_fma_f64 v[15:16], v[21:22], v[15:16], v[17:18]
	v_add_f64 v[3:4], v[3:4], v[10:11]
	s_delay_alu instid0(VALU_DEP_2)
	v_add_f64 v[1:2], v[1:2], v[15:16]
	s_and_not1_b32 exec_lo, exec_lo, s3
	s_cbranch_execnz .LBB55_49
; %bb.50:
	s_or_b32 exec_lo, exec_lo, s3
	v_mov_b32_e32 v7, 0
	ds_load_b128 v[7:10], v7 offset:144
	s_waitcnt lgkmcnt(0)
	v_mul_f64 v[11:12], v[1:2], v[9:10]
	v_mul_f64 v[15:16], v[3:4], v[9:10]
	s_delay_alu instid0(VALU_DEP_2) | instskip(NEXT) | instid1(VALU_DEP_2)
	v_fma_f64 v[9:10], v[3:4], v[7:8], -v[11:12]
	v_fma_f64 v[11:12], v[1:2], v[7:8], v[15:16]
	scratch_store_b128 off, v[9:12], off offset:144
.LBB55_51:
	s_or_b32 exec_lo, exec_lo, s2
	s_waitcnt_vscnt null, 0x0
	s_barrier
	buffer_gl0_inv
	scratch_load_b128 v[1:4], v200, off
	s_mov_b32 s2, exec_lo
	s_waitcnt vmcnt(0)
	ds_store_b128 v5, v[1:4]
	s_waitcnt lgkmcnt(0)
	s_barrier
	buffer_gl0_inv
	v_cmpx_gt_u32_e32 10, v154
	s_cbranch_execz .LBB55_55
; %bb.52:
	v_dual_mov_b32 v1, 0 :: v_dual_add_nc_u32 v8, 0x380, v13
	v_dual_mov_b32 v2, 0 :: v_dual_add_nc_u32 v7, -1, v154
	v_or_b32_e32 v9, 8, v14
	s_mov_b32 s3, 0
	s_delay_alu instid0(VALU_DEP_2)
	v_dual_mov_b32 v4, v2 :: v_dual_mov_b32 v3, v1
	.p2align	6
.LBB55_53:                              ; =>This Inner Loop Header: Depth=1
	scratch_load_b128 v[15:18], v9, off offset:-8
	ds_load_b128 v[19:22], v8
	v_add_nc_u32_e32 v7, 1, v7
	v_add_nc_u32_e32 v8, 16, v8
	;; [unrolled: 1-line block ×3, first 2 shown]
	s_delay_alu instid0(VALU_DEP_3) | instskip(SKIP_4) | instid1(VALU_DEP_2)
	v_cmp_lt_u32_e32 vcc_lo, 8, v7
	s_or_b32 s3, vcc_lo, s3
	s_waitcnt vmcnt(0) lgkmcnt(0)
	v_mul_f64 v[10:11], v[21:22], v[17:18]
	v_mul_f64 v[17:18], v[19:20], v[17:18]
	v_fma_f64 v[10:11], v[19:20], v[15:16], -v[10:11]
	s_delay_alu instid0(VALU_DEP_2) | instskip(NEXT) | instid1(VALU_DEP_2)
	v_fma_f64 v[15:16], v[21:22], v[15:16], v[17:18]
	v_add_f64 v[3:4], v[3:4], v[10:11]
	s_delay_alu instid0(VALU_DEP_2)
	v_add_f64 v[1:2], v[1:2], v[15:16]
	s_and_not1_b32 exec_lo, exec_lo, s3
	s_cbranch_execnz .LBB55_53
; %bb.54:
	s_or_b32 exec_lo, exec_lo, s3
	v_mov_b32_e32 v7, 0
	ds_load_b128 v[7:10], v7 offset:160
	s_waitcnt lgkmcnt(0)
	v_mul_f64 v[11:12], v[1:2], v[9:10]
	v_mul_f64 v[15:16], v[3:4], v[9:10]
	s_delay_alu instid0(VALU_DEP_2) | instskip(NEXT) | instid1(VALU_DEP_2)
	v_fma_f64 v[9:10], v[3:4], v[7:8], -v[11:12]
	v_fma_f64 v[11:12], v[1:2], v[7:8], v[15:16]
	scratch_store_b128 off, v[9:12], off offset:160
.LBB55_55:
	s_or_b32 exec_lo, exec_lo, s2
	s_waitcnt_vscnt null, 0x0
	s_barrier
	buffer_gl0_inv
	scratch_load_b128 v[1:4], v199, off
	s_mov_b32 s2, exec_lo
	s_waitcnt vmcnt(0)
	ds_store_b128 v5, v[1:4]
	s_waitcnt lgkmcnt(0)
	s_barrier
	buffer_gl0_inv
	v_cmpx_gt_u32_e32 11, v154
	s_cbranch_execz .LBB55_59
; %bb.56:
	v_dual_mov_b32 v1, 0 :: v_dual_add_nc_u32 v8, 0x380, v13
	v_dual_mov_b32 v2, 0 :: v_dual_add_nc_u32 v7, -1, v154
	v_or_b32_e32 v9, 8, v14
	s_mov_b32 s3, 0
	s_delay_alu instid0(VALU_DEP_2)
	v_dual_mov_b32 v4, v2 :: v_dual_mov_b32 v3, v1
	.p2align	6
.LBB55_57:                              ; =>This Inner Loop Header: Depth=1
	scratch_load_b128 v[15:18], v9, off offset:-8
	ds_load_b128 v[19:22], v8
	v_add_nc_u32_e32 v7, 1, v7
	v_add_nc_u32_e32 v8, 16, v8
	;; [unrolled: 1-line block ×3, first 2 shown]
	s_delay_alu instid0(VALU_DEP_3) | instskip(SKIP_4) | instid1(VALU_DEP_2)
	v_cmp_lt_u32_e32 vcc_lo, 9, v7
	s_or_b32 s3, vcc_lo, s3
	s_waitcnt vmcnt(0) lgkmcnt(0)
	v_mul_f64 v[10:11], v[21:22], v[17:18]
	v_mul_f64 v[17:18], v[19:20], v[17:18]
	v_fma_f64 v[10:11], v[19:20], v[15:16], -v[10:11]
	s_delay_alu instid0(VALU_DEP_2) | instskip(NEXT) | instid1(VALU_DEP_2)
	v_fma_f64 v[15:16], v[21:22], v[15:16], v[17:18]
	v_add_f64 v[3:4], v[3:4], v[10:11]
	s_delay_alu instid0(VALU_DEP_2)
	v_add_f64 v[1:2], v[1:2], v[15:16]
	s_and_not1_b32 exec_lo, exec_lo, s3
	s_cbranch_execnz .LBB55_57
; %bb.58:
	s_or_b32 exec_lo, exec_lo, s3
	v_mov_b32_e32 v7, 0
	ds_load_b128 v[7:10], v7 offset:176
	s_waitcnt lgkmcnt(0)
	v_mul_f64 v[11:12], v[1:2], v[9:10]
	v_mul_f64 v[15:16], v[3:4], v[9:10]
	s_delay_alu instid0(VALU_DEP_2) | instskip(NEXT) | instid1(VALU_DEP_2)
	v_fma_f64 v[9:10], v[3:4], v[7:8], -v[11:12]
	v_fma_f64 v[11:12], v[1:2], v[7:8], v[15:16]
	scratch_store_b128 off, v[9:12], off offset:176
.LBB55_59:
	s_or_b32 exec_lo, exec_lo, s2
	s_waitcnt_vscnt null, 0x0
	s_barrier
	buffer_gl0_inv
	scratch_load_b128 v[1:4], v198, off
	s_mov_b32 s2, exec_lo
	s_waitcnt vmcnt(0)
	ds_store_b128 v5, v[1:4]
	s_waitcnt lgkmcnt(0)
	s_barrier
	buffer_gl0_inv
	v_cmpx_gt_u32_e32 12, v154
	s_cbranch_execz .LBB55_63
; %bb.60:
	v_dual_mov_b32 v1, 0 :: v_dual_add_nc_u32 v8, 0x380, v13
	v_dual_mov_b32 v2, 0 :: v_dual_add_nc_u32 v7, -1, v154
	v_or_b32_e32 v9, 8, v14
	s_mov_b32 s3, 0
	s_delay_alu instid0(VALU_DEP_2)
	v_dual_mov_b32 v4, v2 :: v_dual_mov_b32 v3, v1
	.p2align	6
.LBB55_61:                              ; =>This Inner Loop Header: Depth=1
	scratch_load_b128 v[15:18], v9, off offset:-8
	ds_load_b128 v[19:22], v8
	v_add_nc_u32_e32 v7, 1, v7
	v_add_nc_u32_e32 v8, 16, v8
	;; [unrolled: 1-line block ×3, first 2 shown]
	s_delay_alu instid0(VALU_DEP_3) | instskip(SKIP_4) | instid1(VALU_DEP_2)
	v_cmp_lt_u32_e32 vcc_lo, 10, v7
	s_or_b32 s3, vcc_lo, s3
	s_waitcnt vmcnt(0) lgkmcnt(0)
	v_mul_f64 v[10:11], v[21:22], v[17:18]
	v_mul_f64 v[17:18], v[19:20], v[17:18]
	v_fma_f64 v[10:11], v[19:20], v[15:16], -v[10:11]
	s_delay_alu instid0(VALU_DEP_2) | instskip(NEXT) | instid1(VALU_DEP_2)
	v_fma_f64 v[15:16], v[21:22], v[15:16], v[17:18]
	v_add_f64 v[3:4], v[3:4], v[10:11]
	s_delay_alu instid0(VALU_DEP_2)
	v_add_f64 v[1:2], v[1:2], v[15:16]
	s_and_not1_b32 exec_lo, exec_lo, s3
	s_cbranch_execnz .LBB55_61
; %bb.62:
	s_or_b32 exec_lo, exec_lo, s3
	v_mov_b32_e32 v7, 0
	ds_load_b128 v[7:10], v7 offset:192
	s_waitcnt lgkmcnt(0)
	v_mul_f64 v[11:12], v[1:2], v[9:10]
	v_mul_f64 v[15:16], v[3:4], v[9:10]
	s_delay_alu instid0(VALU_DEP_2) | instskip(NEXT) | instid1(VALU_DEP_2)
	v_fma_f64 v[9:10], v[3:4], v[7:8], -v[11:12]
	v_fma_f64 v[11:12], v[1:2], v[7:8], v[15:16]
	scratch_store_b128 off, v[9:12], off offset:192
.LBB55_63:
	s_or_b32 exec_lo, exec_lo, s2
	s_waitcnt_vscnt null, 0x0
	s_barrier
	buffer_gl0_inv
	scratch_load_b128 v[1:4], v197, off
	s_mov_b32 s2, exec_lo
	s_waitcnt vmcnt(0)
	ds_store_b128 v5, v[1:4]
	s_waitcnt lgkmcnt(0)
	s_barrier
	buffer_gl0_inv
	v_cmpx_gt_u32_e32 13, v154
	s_cbranch_execz .LBB55_67
; %bb.64:
	v_dual_mov_b32 v1, 0 :: v_dual_add_nc_u32 v8, 0x380, v13
	v_dual_mov_b32 v2, 0 :: v_dual_add_nc_u32 v7, -1, v154
	v_or_b32_e32 v9, 8, v14
	s_mov_b32 s3, 0
	s_delay_alu instid0(VALU_DEP_2)
	v_dual_mov_b32 v4, v2 :: v_dual_mov_b32 v3, v1
	.p2align	6
.LBB55_65:                              ; =>This Inner Loop Header: Depth=1
	scratch_load_b128 v[15:18], v9, off offset:-8
	ds_load_b128 v[19:22], v8
	v_add_nc_u32_e32 v7, 1, v7
	v_add_nc_u32_e32 v8, 16, v8
	;; [unrolled: 1-line block ×3, first 2 shown]
	s_delay_alu instid0(VALU_DEP_3) | instskip(SKIP_4) | instid1(VALU_DEP_2)
	v_cmp_lt_u32_e32 vcc_lo, 11, v7
	s_or_b32 s3, vcc_lo, s3
	s_waitcnt vmcnt(0) lgkmcnt(0)
	v_mul_f64 v[10:11], v[21:22], v[17:18]
	v_mul_f64 v[17:18], v[19:20], v[17:18]
	v_fma_f64 v[10:11], v[19:20], v[15:16], -v[10:11]
	s_delay_alu instid0(VALU_DEP_2) | instskip(NEXT) | instid1(VALU_DEP_2)
	v_fma_f64 v[15:16], v[21:22], v[15:16], v[17:18]
	v_add_f64 v[3:4], v[3:4], v[10:11]
	s_delay_alu instid0(VALU_DEP_2)
	v_add_f64 v[1:2], v[1:2], v[15:16]
	s_and_not1_b32 exec_lo, exec_lo, s3
	s_cbranch_execnz .LBB55_65
; %bb.66:
	s_or_b32 exec_lo, exec_lo, s3
	v_mov_b32_e32 v7, 0
	ds_load_b128 v[7:10], v7 offset:208
	s_waitcnt lgkmcnt(0)
	v_mul_f64 v[11:12], v[1:2], v[9:10]
	v_mul_f64 v[15:16], v[3:4], v[9:10]
	s_delay_alu instid0(VALU_DEP_2) | instskip(NEXT) | instid1(VALU_DEP_2)
	v_fma_f64 v[9:10], v[3:4], v[7:8], -v[11:12]
	v_fma_f64 v[11:12], v[1:2], v[7:8], v[15:16]
	scratch_store_b128 off, v[9:12], off offset:208
.LBB55_67:
	s_or_b32 exec_lo, exec_lo, s2
	s_waitcnt_vscnt null, 0x0
	s_barrier
	buffer_gl0_inv
	scratch_load_b128 v[1:4], v196, off
	s_mov_b32 s2, exec_lo
	s_waitcnt vmcnt(0)
	ds_store_b128 v5, v[1:4]
	s_waitcnt lgkmcnt(0)
	s_barrier
	buffer_gl0_inv
	v_cmpx_gt_u32_e32 14, v154
	s_cbranch_execz .LBB55_71
; %bb.68:
	v_dual_mov_b32 v1, 0 :: v_dual_add_nc_u32 v8, 0x380, v13
	v_dual_mov_b32 v2, 0 :: v_dual_add_nc_u32 v7, -1, v154
	v_or_b32_e32 v9, 8, v14
	s_mov_b32 s3, 0
	s_delay_alu instid0(VALU_DEP_2)
	v_dual_mov_b32 v4, v2 :: v_dual_mov_b32 v3, v1
	.p2align	6
.LBB55_69:                              ; =>This Inner Loop Header: Depth=1
	scratch_load_b128 v[15:18], v9, off offset:-8
	ds_load_b128 v[19:22], v8
	v_add_nc_u32_e32 v7, 1, v7
	v_add_nc_u32_e32 v8, 16, v8
	;; [unrolled: 1-line block ×3, first 2 shown]
	s_delay_alu instid0(VALU_DEP_3) | instskip(SKIP_4) | instid1(VALU_DEP_2)
	v_cmp_lt_u32_e32 vcc_lo, 12, v7
	s_or_b32 s3, vcc_lo, s3
	s_waitcnt vmcnt(0) lgkmcnt(0)
	v_mul_f64 v[10:11], v[21:22], v[17:18]
	v_mul_f64 v[17:18], v[19:20], v[17:18]
	v_fma_f64 v[10:11], v[19:20], v[15:16], -v[10:11]
	s_delay_alu instid0(VALU_DEP_2) | instskip(NEXT) | instid1(VALU_DEP_2)
	v_fma_f64 v[15:16], v[21:22], v[15:16], v[17:18]
	v_add_f64 v[3:4], v[3:4], v[10:11]
	s_delay_alu instid0(VALU_DEP_2)
	v_add_f64 v[1:2], v[1:2], v[15:16]
	s_and_not1_b32 exec_lo, exec_lo, s3
	s_cbranch_execnz .LBB55_69
; %bb.70:
	s_or_b32 exec_lo, exec_lo, s3
	v_mov_b32_e32 v7, 0
	ds_load_b128 v[7:10], v7 offset:224
	s_waitcnt lgkmcnt(0)
	v_mul_f64 v[11:12], v[1:2], v[9:10]
	v_mul_f64 v[15:16], v[3:4], v[9:10]
	s_delay_alu instid0(VALU_DEP_2) | instskip(NEXT) | instid1(VALU_DEP_2)
	v_fma_f64 v[9:10], v[3:4], v[7:8], -v[11:12]
	v_fma_f64 v[11:12], v[1:2], v[7:8], v[15:16]
	scratch_store_b128 off, v[9:12], off offset:224
.LBB55_71:
	s_or_b32 exec_lo, exec_lo, s2
	s_waitcnt_vscnt null, 0x0
	s_barrier
	buffer_gl0_inv
	scratch_load_b128 v[1:4], v195, off
	s_mov_b32 s2, exec_lo
	s_waitcnt vmcnt(0)
	ds_store_b128 v5, v[1:4]
	s_waitcnt lgkmcnt(0)
	s_barrier
	buffer_gl0_inv
	v_cmpx_gt_u32_e32 15, v154
	s_cbranch_execz .LBB55_75
; %bb.72:
	v_dual_mov_b32 v1, 0 :: v_dual_add_nc_u32 v8, 0x380, v13
	v_dual_mov_b32 v2, 0 :: v_dual_add_nc_u32 v7, -1, v154
	v_or_b32_e32 v9, 8, v14
	s_mov_b32 s3, 0
	s_delay_alu instid0(VALU_DEP_2)
	v_dual_mov_b32 v4, v2 :: v_dual_mov_b32 v3, v1
	.p2align	6
.LBB55_73:                              ; =>This Inner Loop Header: Depth=1
	scratch_load_b128 v[15:18], v9, off offset:-8
	ds_load_b128 v[19:22], v8
	v_add_nc_u32_e32 v7, 1, v7
	v_add_nc_u32_e32 v8, 16, v8
	;; [unrolled: 1-line block ×3, first 2 shown]
	s_delay_alu instid0(VALU_DEP_3) | instskip(SKIP_4) | instid1(VALU_DEP_2)
	v_cmp_lt_u32_e32 vcc_lo, 13, v7
	s_or_b32 s3, vcc_lo, s3
	s_waitcnt vmcnt(0) lgkmcnt(0)
	v_mul_f64 v[10:11], v[21:22], v[17:18]
	v_mul_f64 v[17:18], v[19:20], v[17:18]
	v_fma_f64 v[10:11], v[19:20], v[15:16], -v[10:11]
	s_delay_alu instid0(VALU_DEP_2) | instskip(NEXT) | instid1(VALU_DEP_2)
	v_fma_f64 v[15:16], v[21:22], v[15:16], v[17:18]
	v_add_f64 v[3:4], v[3:4], v[10:11]
	s_delay_alu instid0(VALU_DEP_2)
	v_add_f64 v[1:2], v[1:2], v[15:16]
	s_and_not1_b32 exec_lo, exec_lo, s3
	s_cbranch_execnz .LBB55_73
; %bb.74:
	s_or_b32 exec_lo, exec_lo, s3
	v_mov_b32_e32 v7, 0
	ds_load_b128 v[7:10], v7 offset:240
	s_waitcnt lgkmcnt(0)
	v_mul_f64 v[11:12], v[1:2], v[9:10]
	v_mul_f64 v[15:16], v[3:4], v[9:10]
	s_delay_alu instid0(VALU_DEP_2) | instskip(NEXT) | instid1(VALU_DEP_2)
	v_fma_f64 v[9:10], v[3:4], v[7:8], -v[11:12]
	v_fma_f64 v[11:12], v[1:2], v[7:8], v[15:16]
	scratch_store_b128 off, v[9:12], off offset:240
.LBB55_75:
	s_or_b32 exec_lo, exec_lo, s2
	s_waitcnt_vscnt null, 0x0
	s_barrier
	buffer_gl0_inv
	scratch_load_b128 v[1:4], v194, off
	s_mov_b32 s2, exec_lo
	s_waitcnt vmcnt(0)
	ds_store_b128 v5, v[1:4]
	s_waitcnt lgkmcnt(0)
	s_barrier
	buffer_gl0_inv
	v_cmpx_gt_u32_e32 16, v154
	s_cbranch_execz .LBB55_79
; %bb.76:
	v_dual_mov_b32 v1, 0 :: v_dual_add_nc_u32 v8, 0x380, v13
	v_dual_mov_b32 v2, 0 :: v_dual_add_nc_u32 v7, -1, v154
	v_or_b32_e32 v9, 8, v14
	s_mov_b32 s3, 0
	s_delay_alu instid0(VALU_DEP_2)
	v_dual_mov_b32 v4, v2 :: v_dual_mov_b32 v3, v1
	.p2align	6
.LBB55_77:                              ; =>This Inner Loop Header: Depth=1
	scratch_load_b128 v[15:18], v9, off offset:-8
	ds_load_b128 v[19:22], v8
	v_add_nc_u32_e32 v7, 1, v7
	v_add_nc_u32_e32 v8, 16, v8
	v_add_nc_u32_e32 v9, 16, v9
	s_delay_alu instid0(VALU_DEP_3) | instskip(SKIP_4) | instid1(VALU_DEP_2)
	v_cmp_lt_u32_e32 vcc_lo, 14, v7
	s_or_b32 s3, vcc_lo, s3
	s_waitcnt vmcnt(0) lgkmcnt(0)
	v_mul_f64 v[10:11], v[21:22], v[17:18]
	v_mul_f64 v[17:18], v[19:20], v[17:18]
	v_fma_f64 v[10:11], v[19:20], v[15:16], -v[10:11]
	s_delay_alu instid0(VALU_DEP_2) | instskip(NEXT) | instid1(VALU_DEP_2)
	v_fma_f64 v[15:16], v[21:22], v[15:16], v[17:18]
	v_add_f64 v[3:4], v[3:4], v[10:11]
	s_delay_alu instid0(VALU_DEP_2)
	v_add_f64 v[1:2], v[1:2], v[15:16]
	s_and_not1_b32 exec_lo, exec_lo, s3
	s_cbranch_execnz .LBB55_77
; %bb.78:
	s_or_b32 exec_lo, exec_lo, s3
	v_mov_b32_e32 v7, 0
	ds_load_b128 v[7:10], v7 offset:256
	s_waitcnt lgkmcnt(0)
	v_mul_f64 v[11:12], v[1:2], v[9:10]
	v_mul_f64 v[15:16], v[3:4], v[9:10]
	s_delay_alu instid0(VALU_DEP_2) | instskip(NEXT) | instid1(VALU_DEP_2)
	v_fma_f64 v[9:10], v[3:4], v[7:8], -v[11:12]
	v_fma_f64 v[11:12], v[1:2], v[7:8], v[15:16]
	scratch_store_b128 off, v[9:12], off offset:256
.LBB55_79:
	s_or_b32 exec_lo, exec_lo, s2
	s_waitcnt_vscnt null, 0x0
	s_barrier
	buffer_gl0_inv
	scratch_load_b128 v[1:4], v193, off
	s_mov_b32 s2, exec_lo
	s_waitcnt vmcnt(0)
	ds_store_b128 v5, v[1:4]
	s_waitcnt lgkmcnt(0)
	s_barrier
	buffer_gl0_inv
	v_cmpx_gt_u32_e32 17, v154
	s_cbranch_execz .LBB55_83
; %bb.80:
	v_dual_mov_b32 v1, 0 :: v_dual_add_nc_u32 v8, 0x380, v13
	v_dual_mov_b32 v2, 0 :: v_dual_add_nc_u32 v7, -1, v154
	v_or_b32_e32 v9, 8, v14
	s_mov_b32 s3, 0
	s_delay_alu instid0(VALU_DEP_2)
	v_dual_mov_b32 v4, v2 :: v_dual_mov_b32 v3, v1
	.p2align	6
.LBB55_81:                              ; =>This Inner Loop Header: Depth=1
	scratch_load_b128 v[15:18], v9, off offset:-8
	ds_load_b128 v[19:22], v8
	v_add_nc_u32_e32 v7, 1, v7
	v_add_nc_u32_e32 v8, 16, v8
	;; [unrolled: 1-line block ×3, first 2 shown]
	s_delay_alu instid0(VALU_DEP_3) | instskip(SKIP_4) | instid1(VALU_DEP_2)
	v_cmp_lt_u32_e32 vcc_lo, 15, v7
	s_or_b32 s3, vcc_lo, s3
	s_waitcnt vmcnt(0) lgkmcnt(0)
	v_mul_f64 v[10:11], v[21:22], v[17:18]
	v_mul_f64 v[17:18], v[19:20], v[17:18]
	v_fma_f64 v[10:11], v[19:20], v[15:16], -v[10:11]
	s_delay_alu instid0(VALU_DEP_2) | instskip(NEXT) | instid1(VALU_DEP_2)
	v_fma_f64 v[15:16], v[21:22], v[15:16], v[17:18]
	v_add_f64 v[3:4], v[3:4], v[10:11]
	s_delay_alu instid0(VALU_DEP_2)
	v_add_f64 v[1:2], v[1:2], v[15:16]
	s_and_not1_b32 exec_lo, exec_lo, s3
	s_cbranch_execnz .LBB55_81
; %bb.82:
	s_or_b32 exec_lo, exec_lo, s3
	v_mov_b32_e32 v7, 0
	ds_load_b128 v[7:10], v7 offset:272
	s_waitcnt lgkmcnt(0)
	v_mul_f64 v[11:12], v[1:2], v[9:10]
	v_mul_f64 v[15:16], v[3:4], v[9:10]
	s_delay_alu instid0(VALU_DEP_2) | instskip(NEXT) | instid1(VALU_DEP_2)
	v_fma_f64 v[9:10], v[3:4], v[7:8], -v[11:12]
	v_fma_f64 v[11:12], v[1:2], v[7:8], v[15:16]
	scratch_store_b128 off, v[9:12], off offset:272
.LBB55_83:
	s_or_b32 exec_lo, exec_lo, s2
	s_waitcnt_vscnt null, 0x0
	s_barrier
	buffer_gl0_inv
	scratch_load_b128 v[1:4], v192, off
	s_mov_b32 s2, exec_lo
	s_waitcnt vmcnt(0)
	ds_store_b128 v5, v[1:4]
	s_waitcnt lgkmcnt(0)
	s_barrier
	buffer_gl0_inv
	v_cmpx_gt_u32_e32 18, v154
	s_cbranch_execz .LBB55_87
; %bb.84:
	v_dual_mov_b32 v1, 0 :: v_dual_add_nc_u32 v8, 0x380, v13
	v_dual_mov_b32 v2, 0 :: v_dual_add_nc_u32 v7, -1, v154
	v_or_b32_e32 v9, 8, v14
	s_mov_b32 s3, 0
	s_delay_alu instid0(VALU_DEP_2)
	v_dual_mov_b32 v4, v2 :: v_dual_mov_b32 v3, v1
	.p2align	6
.LBB55_85:                              ; =>This Inner Loop Header: Depth=1
	scratch_load_b128 v[15:18], v9, off offset:-8
	ds_load_b128 v[19:22], v8
	v_add_nc_u32_e32 v7, 1, v7
	v_add_nc_u32_e32 v8, 16, v8
	;; [unrolled: 1-line block ×3, first 2 shown]
	s_delay_alu instid0(VALU_DEP_3) | instskip(SKIP_4) | instid1(VALU_DEP_2)
	v_cmp_lt_u32_e32 vcc_lo, 16, v7
	s_or_b32 s3, vcc_lo, s3
	s_waitcnt vmcnt(0) lgkmcnt(0)
	v_mul_f64 v[10:11], v[21:22], v[17:18]
	v_mul_f64 v[17:18], v[19:20], v[17:18]
	v_fma_f64 v[10:11], v[19:20], v[15:16], -v[10:11]
	s_delay_alu instid0(VALU_DEP_2) | instskip(NEXT) | instid1(VALU_DEP_2)
	v_fma_f64 v[15:16], v[21:22], v[15:16], v[17:18]
	v_add_f64 v[3:4], v[3:4], v[10:11]
	s_delay_alu instid0(VALU_DEP_2)
	v_add_f64 v[1:2], v[1:2], v[15:16]
	s_and_not1_b32 exec_lo, exec_lo, s3
	s_cbranch_execnz .LBB55_85
; %bb.86:
	s_or_b32 exec_lo, exec_lo, s3
	v_mov_b32_e32 v7, 0
	ds_load_b128 v[7:10], v7 offset:288
	s_waitcnt lgkmcnt(0)
	v_mul_f64 v[11:12], v[1:2], v[9:10]
	v_mul_f64 v[15:16], v[3:4], v[9:10]
	s_delay_alu instid0(VALU_DEP_2) | instskip(NEXT) | instid1(VALU_DEP_2)
	v_fma_f64 v[9:10], v[3:4], v[7:8], -v[11:12]
	v_fma_f64 v[11:12], v[1:2], v[7:8], v[15:16]
	scratch_store_b128 off, v[9:12], off offset:288
.LBB55_87:
	s_or_b32 exec_lo, exec_lo, s2
	s_waitcnt_vscnt null, 0x0
	s_barrier
	buffer_gl0_inv
	scratch_load_b128 v[1:4], v191, off
	s_mov_b32 s2, exec_lo
	s_waitcnt vmcnt(0)
	ds_store_b128 v5, v[1:4]
	s_waitcnt lgkmcnt(0)
	s_barrier
	buffer_gl0_inv
	v_cmpx_gt_u32_e32 19, v154
	s_cbranch_execz .LBB55_91
; %bb.88:
	v_dual_mov_b32 v1, 0 :: v_dual_add_nc_u32 v8, 0x380, v13
	v_dual_mov_b32 v2, 0 :: v_dual_add_nc_u32 v7, -1, v154
	v_or_b32_e32 v9, 8, v14
	s_mov_b32 s3, 0
	s_delay_alu instid0(VALU_DEP_2)
	v_dual_mov_b32 v4, v2 :: v_dual_mov_b32 v3, v1
	.p2align	6
.LBB55_89:                              ; =>This Inner Loop Header: Depth=1
	scratch_load_b128 v[15:18], v9, off offset:-8
	ds_load_b128 v[19:22], v8
	v_add_nc_u32_e32 v7, 1, v7
	v_add_nc_u32_e32 v8, 16, v8
	;; [unrolled: 1-line block ×3, first 2 shown]
	s_delay_alu instid0(VALU_DEP_3) | instskip(SKIP_4) | instid1(VALU_DEP_2)
	v_cmp_lt_u32_e32 vcc_lo, 17, v7
	s_or_b32 s3, vcc_lo, s3
	s_waitcnt vmcnt(0) lgkmcnt(0)
	v_mul_f64 v[10:11], v[21:22], v[17:18]
	v_mul_f64 v[17:18], v[19:20], v[17:18]
	v_fma_f64 v[10:11], v[19:20], v[15:16], -v[10:11]
	s_delay_alu instid0(VALU_DEP_2) | instskip(NEXT) | instid1(VALU_DEP_2)
	v_fma_f64 v[15:16], v[21:22], v[15:16], v[17:18]
	v_add_f64 v[3:4], v[3:4], v[10:11]
	s_delay_alu instid0(VALU_DEP_2)
	v_add_f64 v[1:2], v[1:2], v[15:16]
	s_and_not1_b32 exec_lo, exec_lo, s3
	s_cbranch_execnz .LBB55_89
; %bb.90:
	s_or_b32 exec_lo, exec_lo, s3
	v_mov_b32_e32 v7, 0
	ds_load_b128 v[7:10], v7 offset:304
	s_waitcnt lgkmcnt(0)
	v_mul_f64 v[11:12], v[1:2], v[9:10]
	v_mul_f64 v[15:16], v[3:4], v[9:10]
	s_delay_alu instid0(VALU_DEP_2) | instskip(NEXT) | instid1(VALU_DEP_2)
	v_fma_f64 v[9:10], v[3:4], v[7:8], -v[11:12]
	v_fma_f64 v[11:12], v[1:2], v[7:8], v[15:16]
	scratch_store_b128 off, v[9:12], off offset:304
.LBB55_91:
	s_or_b32 exec_lo, exec_lo, s2
	s_waitcnt_vscnt null, 0x0
	s_barrier
	buffer_gl0_inv
	scratch_load_b128 v[1:4], v190, off
	s_mov_b32 s2, exec_lo
	s_waitcnt vmcnt(0)
	ds_store_b128 v5, v[1:4]
	s_waitcnt lgkmcnt(0)
	s_barrier
	buffer_gl0_inv
	v_cmpx_gt_u32_e32 20, v154
	s_cbranch_execz .LBB55_95
; %bb.92:
	v_dual_mov_b32 v1, 0 :: v_dual_add_nc_u32 v8, 0x380, v13
	v_dual_mov_b32 v2, 0 :: v_dual_add_nc_u32 v7, -1, v154
	v_or_b32_e32 v9, 8, v14
	s_mov_b32 s3, 0
	s_delay_alu instid0(VALU_DEP_2)
	v_dual_mov_b32 v4, v2 :: v_dual_mov_b32 v3, v1
	.p2align	6
.LBB55_93:                              ; =>This Inner Loop Header: Depth=1
	scratch_load_b128 v[15:18], v9, off offset:-8
	ds_load_b128 v[19:22], v8
	v_add_nc_u32_e32 v7, 1, v7
	v_add_nc_u32_e32 v8, 16, v8
	;; [unrolled: 1-line block ×3, first 2 shown]
	s_delay_alu instid0(VALU_DEP_3) | instskip(SKIP_4) | instid1(VALU_DEP_2)
	v_cmp_lt_u32_e32 vcc_lo, 18, v7
	s_or_b32 s3, vcc_lo, s3
	s_waitcnt vmcnt(0) lgkmcnt(0)
	v_mul_f64 v[10:11], v[21:22], v[17:18]
	v_mul_f64 v[17:18], v[19:20], v[17:18]
	v_fma_f64 v[10:11], v[19:20], v[15:16], -v[10:11]
	s_delay_alu instid0(VALU_DEP_2) | instskip(NEXT) | instid1(VALU_DEP_2)
	v_fma_f64 v[15:16], v[21:22], v[15:16], v[17:18]
	v_add_f64 v[3:4], v[3:4], v[10:11]
	s_delay_alu instid0(VALU_DEP_2)
	v_add_f64 v[1:2], v[1:2], v[15:16]
	s_and_not1_b32 exec_lo, exec_lo, s3
	s_cbranch_execnz .LBB55_93
; %bb.94:
	s_or_b32 exec_lo, exec_lo, s3
	v_mov_b32_e32 v7, 0
	ds_load_b128 v[7:10], v7 offset:320
	s_waitcnt lgkmcnt(0)
	v_mul_f64 v[11:12], v[1:2], v[9:10]
	v_mul_f64 v[15:16], v[3:4], v[9:10]
	s_delay_alu instid0(VALU_DEP_2) | instskip(NEXT) | instid1(VALU_DEP_2)
	v_fma_f64 v[9:10], v[3:4], v[7:8], -v[11:12]
	v_fma_f64 v[11:12], v[1:2], v[7:8], v[15:16]
	scratch_store_b128 off, v[9:12], off offset:320
.LBB55_95:
	s_or_b32 exec_lo, exec_lo, s2
	s_waitcnt_vscnt null, 0x0
	s_barrier
	buffer_gl0_inv
	scratch_load_b128 v[1:4], v189, off
	s_mov_b32 s2, exec_lo
	s_waitcnt vmcnt(0)
	ds_store_b128 v5, v[1:4]
	s_waitcnt lgkmcnt(0)
	s_barrier
	buffer_gl0_inv
	v_cmpx_gt_u32_e32 21, v154
	s_cbranch_execz .LBB55_99
; %bb.96:
	v_dual_mov_b32 v1, 0 :: v_dual_add_nc_u32 v8, 0x380, v13
	v_dual_mov_b32 v2, 0 :: v_dual_add_nc_u32 v7, -1, v154
	v_or_b32_e32 v9, 8, v14
	s_mov_b32 s3, 0
	s_delay_alu instid0(VALU_DEP_2)
	v_dual_mov_b32 v4, v2 :: v_dual_mov_b32 v3, v1
	.p2align	6
.LBB55_97:                              ; =>This Inner Loop Header: Depth=1
	scratch_load_b128 v[15:18], v9, off offset:-8
	ds_load_b128 v[19:22], v8
	v_add_nc_u32_e32 v7, 1, v7
	v_add_nc_u32_e32 v8, 16, v8
	;; [unrolled: 1-line block ×3, first 2 shown]
	s_delay_alu instid0(VALU_DEP_3) | instskip(SKIP_4) | instid1(VALU_DEP_2)
	v_cmp_lt_u32_e32 vcc_lo, 19, v7
	s_or_b32 s3, vcc_lo, s3
	s_waitcnt vmcnt(0) lgkmcnt(0)
	v_mul_f64 v[10:11], v[21:22], v[17:18]
	v_mul_f64 v[17:18], v[19:20], v[17:18]
	v_fma_f64 v[10:11], v[19:20], v[15:16], -v[10:11]
	s_delay_alu instid0(VALU_DEP_2) | instskip(NEXT) | instid1(VALU_DEP_2)
	v_fma_f64 v[15:16], v[21:22], v[15:16], v[17:18]
	v_add_f64 v[3:4], v[3:4], v[10:11]
	s_delay_alu instid0(VALU_DEP_2)
	v_add_f64 v[1:2], v[1:2], v[15:16]
	s_and_not1_b32 exec_lo, exec_lo, s3
	s_cbranch_execnz .LBB55_97
; %bb.98:
	s_or_b32 exec_lo, exec_lo, s3
	v_mov_b32_e32 v7, 0
	ds_load_b128 v[7:10], v7 offset:336
	s_waitcnt lgkmcnt(0)
	v_mul_f64 v[11:12], v[1:2], v[9:10]
	v_mul_f64 v[15:16], v[3:4], v[9:10]
	s_delay_alu instid0(VALU_DEP_2) | instskip(NEXT) | instid1(VALU_DEP_2)
	v_fma_f64 v[9:10], v[3:4], v[7:8], -v[11:12]
	v_fma_f64 v[11:12], v[1:2], v[7:8], v[15:16]
	scratch_store_b128 off, v[9:12], off offset:336
.LBB55_99:
	s_or_b32 exec_lo, exec_lo, s2
	s_waitcnt_vscnt null, 0x0
	s_barrier
	buffer_gl0_inv
	scratch_load_b128 v[1:4], v187, off
	s_mov_b32 s2, exec_lo
	s_waitcnt vmcnt(0)
	ds_store_b128 v5, v[1:4]
	s_waitcnt lgkmcnt(0)
	s_barrier
	buffer_gl0_inv
	v_cmpx_gt_u32_e32 22, v154
	s_cbranch_execz .LBB55_103
; %bb.100:
	v_dual_mov_b32 v1, 0 :: v_dual_add_nc_u32 v8, 0x380, v13
	v_dual_mov_b32 v2, 0 :: v_dual_add_nc_u32 v7, -1, v154
	v_or_b32_e32 v9, 8, v14
	s_mov_b32 s3, 0
	s_delay_alu instid0(VALU_DEP_2)
	v_dual_mov_b32 v4, v2 :: v_dual_mov_b32 v3, v1
	.p2align	6
.LBB55_101:                             ; =>This Inner Loop Header: Depth=1
	scratch_load_b128 v[15:18], v9, off offset:-8
	ds_load_b128 v[19:22], v8
	v_add_nc_u32_e32 v7, 1, v7
	v_add_nc_u32_e32 v8, 16, v8
	;; [unrolled: 1-line block ×3, first 2 shown]
	s_delay_alu instid0(VALU_DEP_3) | instskip(SKIP_4) | instid1(VALU_DEP_2)
	v_cmp_lt_u32_e32 vcc_lo, 20, v7
	s_or_b32 s3, vcc_lo, s3
	s_waitcnt vmcnt(0) lgkmcnt(0)
	v_mul_f64 v[10:11], v[21:22], v[17:18]
	v_mul_f64 v[17:18], v[19:20], v[17:18]
	v_fma_f64 v[10:11], v[19:20], v[15:16], -v[10:11]
	s_delay_alu instid0(VALU_DEP_2) | instskip(NEXT) | instid1(VALU_DEP_2)
	v_fma_f64 v[15:16], v[21:22], v[15:16], v[17:18]
	v_add_f64 v[3:4], v[3:4], v[10:11]
	s_delay_alu instid0(VALU_DEP_2)
	v_add_f64 v[1:2], v[1:2], v[15:16]
	s_and_not1_b32 exec_lo, exec_lo, s3
	s_cbranch_execnz .LBB55_101
; %bb.102:
	s_or_b32 exec_lo, exec_lo, s3
	v_mov_b32_e32 v7, 0
	ds_load_b128 v[7:10], v7 offset:352
	s_waitcnt lgkmcnt(0)
	v_mul_f64 v[11:12], v[1:2], v[9:10]
	v_mul_f64 v[15:16], v[3:4], v[9:10]
	s_delay_alu instid0(VALU_DEP_2) | instskip(NEXT) | instid1(VALU_DEP_2)
	v_fma_f64 v[9:10], v[3:4], v[7:8], -v[11:12]
	v_fma_f64 v[11:12], v[1:2], v[7:8], v[15:16]
	scratch_store_b128 off, v[9:12], off offset:352
.LBB55_103:
	s_or_b32 exec_lo, exec_lo, s2
	s_waitcnt_vscnt null, 0x0
	s_barrier
	buffer_gl0_inv
	scratch_load_b128 v[1:4], v188, off
	s_mov_b32 s2, exec_lo
	s_waitcnt vmcnt(0)
	ds_store_b128 v5, v[1:4]
	s_waitcnt lgkmcnt(0)
	s_barrier
	buffer_gl0_inv
	v_cmpx_gt_u32_e32 23, v154
	s_cbranch_execz .LBB55_107
; %bb.104:
	v_dual_mov_b32 v1, 0 :: v_dual_add_nc_u32 v8, 0x380, v13
	v_dual_mov_b32 v2, 0 :: v_dual_add_nc_u32 v7, -1, v154
	v_or_b32_e32 v9, 8, v14
	s_mov_b32 s3, 0
	s_delay_alu instid0(VALU_DEP_2)
	v_dual_mov_b32 v4, v2 :: v_dual_mov_b32 v3, v1
	.p2align	6
.LBB55_105:                             ; =>This Inner Loop Header: Depth=1
	scratch_load_b128 v[15:18], v9, off offset:-8
	ds_load_b128 v[19:22], v8
	v_add_nc_u32_e32 v7, 1, v7
	v_add_nc_u32_e32 v8, 16, v8
	;; [unrolled: 1-line block ×3, first 2 shown]
	s_delay_alu instid0(VALU_DEP_3) | instskip(SKIP_4) | instid1(VALU_DEP_2)
	v_cmp_lt_u32_e32 vcc_lo, 21, v7
	s_or_b32 s3, vcc_lo, s3
	s_waitcnt vmcnt(0) lgkmcnt(0)
	v_mul_f64 v[10:11], v[21:22], v[17:18]
	v_mul_f64 v[17:18], v[19:20], v[17:18]
	v_fma_f64 v[10:11], v[19:20], v[15:16], -v[10:11]
	s_delay_alu instid0(VALU_DEP_2) | instskip(NEXT) | instid1(VALU_DEP_2)
	v_fma_f64 v[15:16], v[21:22], v[15:16], v[17:18]
	v_add_f64 v[3:4], v[3:4], v[10:11]
	s_delay_alu instid0(VALU_DEP_2)
	v_add_f64 v[1:2], v[1:2], v[15:16]
	s_and_not1_b32 exec_lo, exec_lo, s3
	s_cbranch_execnz .LBB55_105
; %bb.106:
	s_or_b32 exec_lo, exec_lo, s3
	v_mov_b32_e32 v7, 0
	ds_load_b128 v[7:10], v7 offset:368
	s_waitcnt lgkmcnt(0)
	v_mul_f64 v[11:12], v[1:2], v[9:10]
	v_mul_f64 v[15:16], v[3:4], v[9:10]
	s_delay_alu instid0(VALU_DEP_2) | instskip(NEXT) | instid1(VALU_DEP_2)
	v_fma_f64 v[9:10], v[3:4], v[7:8], -v[11:12]
	v_fma_f64 v[11:12], v[1:2], v[7:8], v[15:16]
	scratch_store_b128 off, v[9:12], off offset:368
.LBB55_107:
	s_or_b32 exec_lo, exec_lo, s2
	s_waitcnt_vscnt null, 0x0
	s_barrier
	buffer_gl0_inv
	scratch_load_b128 v[1:4], v186, off
	s_mov_b32 s2, exec_lo
	s_waitcnt vmcnt(0)
	ds_store_b128 v5, v[1:4]
	s_waitcnt lgkmcnt(0)
	s_barrier
	buffer_gl0_inv
	v_cmpx_gt_u32_e32 24, v154
	s_cbranch_execz .LBB55_111
; %bb.108:
	v_dual_mov_b32 v1, 0 :: v_dual_add_nc_u32 v8, 0x380, v13
	v_dual_mov_b32 v2, 0 :: v_dual_add_nc_u32 v7, -1, v154
	v_or_b32_e32 v9, 8, v14
	s_mov_b32 s3, 0
	s_delay_alu instid0(VALU_DEP_2)
	v_dual_mov_b32 v4, v2 :: v_dual_mov_b32 v3, v1
	.p2align	6
.LBB55_109:                             ; =>This Inner Loop Header: Depth=1
	scratch_load_b128 v[15:18], v9, off offset:-8
	ds_load_b128 v[19:22], v8
	v_add_nc_u32_e32 v7, 1, v7
	v_add_nc_u32_e32 v8, 16, v8
	;; [unrolled: 1-line block ×3, first 2 shown]
	s_delay_alu instid0(VALU_DEP_3) | instskip(SKIP_4) | instid1(VALU_DEP_2)
	v_cmp_lt_u32_e32 vcc_lo, 22, v7
	s_or_b32 s3, vcc_lo, s3
	s_waitcnt vmcnt(0) lgkmcnt(0)
	v_mul_f64 v[10:11], v[21:22], v[17:18]
	v_mul_f64 v[17:18], v[19:20], v[17:18]
	v_fma_f64 v[10:11], v[19:20], v[15:16], -v[10:11]
	s_delay_alu instid0(VALU_DEP_2) | instskip(NEXT) | instid1(VALU_DEP_2)
	v_fma_f64 v[15:16], v[21:22], v[15:16], v[17:18]
	v_add_f64 v[3:4], v[3:4], v[10:11]
	s_delay_alu instid0(VALU_DEP_2)
	v_add_f64 v[1:2], v[1:2], v[15:16]
	s_and_not1_b32 exec_lo, exec_lo, s3
	s_cbranch_execnz .LBB55_109
; %bb.110:
	s_or_b32 exec_lo, exec_lo, s3
	v_mov_b32_e32 v7, 0
	ds_load_b128 v[7:10], v7 offset:384
	s_waitcnt lgkmcnt(0)
	v_mul_f64 v[11:12], v[1:2], v[9:10]
	v_mul_f64 v[15:16], v[3:4], v[9:10]
	s_delay_alu instid0(VALU_DEP_2) | instskip(NEXT) | instid1(VALU_DEP_2)
	v_fma_f64 v[9:10], v[3:4], v[7:8], -v[11:12]
	v_fma_f64 v[11:12], v[1:2], v[7:8], v[15:16]
	scratch_store_b128 off, v[9:12], off offset:384
.LBB55_111:
	s_or_b32 exec_lo, exec_lo, s2
	s_waitcnt_vscnt null, 0x0
	s_barrier
	buffer_gl0_inv
	scratch_load_b128 v[1:4], v211, off
	s_mov_b32 s2, exec_lo
	s_waitcnt vmcnt(0)
	ds_store_b128 v5, v[1:4]
	s_waitcnt lgkmcnt(0)
	s_barrier
	buffer_gl0_inv
	v_cmpx_gt_u32_e32 25, v154
	s_cbranch_execz .LBB55_115
; %bb.112:
	v_dual_mov_b32 v1, 0 :: v_dual_add_nc_u32 v8, 0x380, v13
	v_dual_mov_b32 v2, 0 :: v_dual_add_nc_u32 v7, -1, v154
	v_or_b32_e32 v9, 8, v14
	s_mov_b32 s3, 0
	s_delay_alu instid0(VALU_DEP_2)
	v_dual_mov_b32 v4, v2 :: v_dual_mov_b32 v3, v1
	.p2align	6
.LBB55_113:                             ; =>This Inner Loop Header: Depth=1
	scratch_load_b128 v[15:18], v9, off offset:-8
	ds_load_b128 v[19:22], v8
	v_add_nc_u32_e32 v7, 1, v7
	v_add_nc_u32_e32 v8, 16, v8
	v_add_nc_u32_e32 v9, 16, v9
	s_delay_alu instid0(VALU_DEP_3) | instskip(SKIP_4) | instid1(VALU_DEP_2)
	v_cmp_lt_u32_e32 vcc_lo, 23, v7
	s_or_b32 s3, vcc_lo, s3
	s_waitcnt vmcnt(0) lgkmcnt(0)
	v_mul_f64 v[10:11], v[21:22], v[17:18]
	v_mul_f64 v[17:18], v[19:20], v[17:18]
	v_fma_f64 v[10:11], v[19:20], v[15:16], -v[10:11]
	s_delay_alu instid0(VALU_DEP_2) | instskip(NEXT) | instid1(VALU_DEP_2)
	v_fma_f64 v[15:16], v[21:22], v[15:16], v[17:18]
	v_add_f64 v[3:4], v[3:4], v[10:11]
	s_delay_alu instid0(VALU_DEP_2)
	v_add_f64 v[1:2], v[1:2], v[15:16]
	s_and_not1_b32 exec_lo, exec_lo, s3
	s_cbranch_execnz .LBB55_113
; %bb.114:
	s_or_b32 exec_lo, exec_lo, s3
	v_mov_b32_e32 v7, 0
	ds_load_b128 v[7:10], v7 offset:400
	s_waitcnt lgkmcnt(0)
	v_mul_f64 v[11:12], v[1:2], v[9:10]
	v_mul_f64 v[15:16], v[3:4], v[9:10]
	s_delay_alu instid0(VALU_DEP_2) | instskip(NEXT) | instid1(VALU_DEP_2)
	v_fma_f64 v[9:10], v[3:4], v[7:8], -v[11:12]
	v_fma_f64 v[11:12], v[1:2], v[7:8], v[15:16]
	scratch_store_b128 off, v[9:12], off offset:400
.LBB55_115:
	s_or_b32 exec_lo, exec_lo, s2
	s_waitcnt_vscnt null, 0x0
	s_barrier
	buffer_gl0_inv
	scratch_load_b128 v[1:4], v254, off
	s_mov_b32 s2, exec_lo
	s_waitcnt vmcnt(0)
	ds_store_b128 v5, v[1:4]
	s_waitcnt lgkmcnt(0)
	s_barrier
	buffer_gl0_inv
	v_cmpx_gt_u32_e32 26, v154
	s_cbranch_execz .LBB55_119
; %bb.116:
	v_dual_mov_b32 v1, 0 :: v_dual_add_nc_u32 v8, 0x380, v13
	v_dual_mov_b32 v2, 0 :: v_dual_add_nc_u32 v7, -1, v154
	v_or_b32_e32 v9, 8, v14
	s_mov_b32 s3, 0
	s_delay_alu instid0(VALU_DEP_2)
	v_dual_mov_b32 v4, v2 :: v_dual_mov_b32 v3, v1
	.p2align	6
.LBB55_117:                             ; =>This Inner Loop Header: Depth=1
	scratch_load_b128 v[15:18], v9, off offset:-8
	ds_load_b128 v[19:22], v8
	v_add_nc_u32_e32 v7, 1, v7
	v_add_nc_u32_e32 v8, 16, v8
	;; [unrolled: 1-line block ×3, first 2 shown]
	s_delay_alu instid0(VALU_DEP_3) | instskip(SKIP_4) | instid1(VALU_DEP_2)
	v_cmp_lt_u32_e32 vcc_lo, 24, v7
	s_or_b32 s3, vcc_lo, s3
	s_waitcnt vmcnt(0) lgkmcnt(0)
	v_mul_f64 v[10:11], v[21:22], v[17:18]
	v_mul_f64 v[17:18], v[19:20], v[17:18]
	v_fma_f64 v[10:11], v[19:20], v[15:16], -v[10:11]
	s_delay_alu instid0(VALU_DEP_2) | instskip(NEXT) | instid1(VALU_DEP_2)
	v_fma_f64 v[15:16], v[21:22], v[15:16], v[17:18]
	v_add_f64 v[3:4], v[3:4], v[10:11]
	s_delay_alu instid0(VALU_DEP_2)
	v_add_f64 v[1:2], v[1:2], v[15:16]
	s_and_not1_b32 exec_lo, exec_lo, s3
	s_cbranch_execnz .LBB55_117
; %bb.118:
	s_or_b32 exec_lo, exec_lo, s3
	v_mov_b32_e32 v7, 0
	ds_load_b128 v[7:10], v7 offset:416
	s_waitcnt lgkmcnt(0)
	v_mul_f64 v[11:12], v[1:2], v[9:10]
	v_mul_f64 v[15:16], v[3:4], v[9:10]
	s_delay_alu instid0(VALU_DEP_2) | instskip(NEXT) | instid1(VALU_DEP_2)
	v_fma_f64 v[9:10], v[3:4], v[7:8], -v[11:12]
	v_fma_f64 v[11:12], v[1:2], v[7:8], v[15:16]
	scratch_store_b128 off, v[9:12], off offset:416
.LBB55_119:
	s_or_b32 exec_lo, exec_lo, s2
	s_waitcnt_vscnt null, 0x0
	s_barrier
	buffer_gl0_inv
	scratch_load_b128 v[1:4], v255, off
	s_mov_b32 s2, exec_lo
	s_waitcnt vmcnt(0)
	ds_store_b128 v5, v[1:4]
	s_waitcnt lgkmcnt(0)
	s_barrier
	buffer_gl0_inv
	v_cmpx_gt_u32_e32 27, v154
	s_cbranch_execz .LBB55_123
; %bb.120:
	v_dual_mov_b32 v1, 0 :: v_dual_add_nc_u32 v8, 0x380, v13
	v_dual_mov_b32 v2, 0 :: v_dual_add_nc_u32 v7, -1, v154
	v_or_b32_e32 v9, 8, v14
	s_mov_b32 s3, 0
	s_delay_alu instid0(VALU_DEP_2)
	v_dual_mov_b32 v4, v2 :: v_dual_mov_b32 v3, v1
	.p2align	6
.LBB55_121:                             ; =>This Inner Loop Header: Depth=1
	scratch_load_b128 v[15:18], v9, off offset:-8
	ds_load_b128 v[19:22], v8
	v_add_nc_u32_e32 v7, 1, v7
	v_add_nc_u32_e32 v8, 16, v8
	;; [unrolled: 1-line block ×3, first 2 shown]
	s_delay_alu instid0(VALU_DEP_3) | instskip(SKIP_4) | instid1(VALU_DEP_2)
	v_cmp_lt_u32_e32 vcc_lo, 25, v7
	s_or_b32 s3, vcc_lo, s3
	s_waitcnt vmcnt(0) lgkmcnt(0)
	v_mul_f64 v[10:11], v[21:22], v[17:18]
	v_mul_f64 v[17:18], v[19:20], v[17:18]
	v_fma_f64 v[10:11], v[19:20], v[15:16], -v[10:11]
	s_delay_alu instid0(VALU_DEP_2) | instskip(NEXT) | instid1(VALU_DEP_2)
	v_fma_f64 v[15:16], v[21:22], v[15:16], v[17:18]
	v_add_f64 v[3:4], v[3:4], v[10:11]
	s_delay_alu instid0(VALU_DEP_2)
	v_add_f64 v[1:2], v[1:2], v[15:16]
	s_and_not1_b32 exec_lo, exec_lo, s3
	s_cbranch_execnz .LBB55_121
; %bb.122:
	s_or_b32 exec_lo, exec_lo, s3
	v_mov_b32_e32 v7, 0
	ds_load_b128 v[7:10], v7 offset:432
	s_waitcnt lgkmcnt(0)
	v_mul_f64 v[11:12], v[1:2], v[9:10]
	v_mul_f64 v[15:16], v[3:4], v[9:10]
	s_delay_alu instid0(VALU_DEP_2) | instskip(NEXT) | instid1(VALU_DEP_2)
	v_fma_f64 v[9:10], v[3:4], v[7:8], -v[11:12]
	v_fma_f64 v[11:12], v[1:2], v[7:8], v[15:16]
	scratch_store_b128 off, v[9:12], off offset:432
.LBB55_123:
	s_or_b32 exec_lo, exec_lo, s2
	s_waitcnt_vscnt null, 0x0
	s_barrier
	buffer_gl0_inv
	scratch_load_b128 v[1:4], v161, off
	s_mov_b32 s2, exec_lo
	s_waitcnt vmcnt(0)
	ds_store_b128 v5, v[1:4]
	s_waitcnt lgkmcnt(0)
	s_barrier
	buffer_gl0_inv
	v_cmpx_gt_u32_e32 28, v154
	s_cbranch_execz .LBB55_127
; %bb.124:
	v_dual_mov_b32 v1, 0 :: v_dual_add_nc_u32 v8, 0x380, v13
	v_dual_mov_b32 v2, 0 :: v_dual_add_nc_u32 v7, -1, v154
	v_or_b32_e32 v9, 8, v14
	s_mov_b32 s3, 0
	s_delay_alu instid0(VALU_DEP_2)
	v_dual_mov_b32 v4, v2 :: v_dual_mov_b32 v3, v1
	.p2align	6
.LBB55_125:                             ; =>This Inner Loop Header: Depth=1
	scratch_load_b128 v[15:18], v9, off offset:-8
	ds_load_b128 v[19:22], v8
	v_add_nc_u32_e32 v7, 1, v7
	v_add_nc_u32_e32 v8, 16, v8
	v_add_nc_u32_e32 v9, 16, v9
	s_delay_alu instid0(VALU_DEP_3) | instskip(SKIP_4) | instid1(VALU_DEP_2)
	v_cmp_lt_u32_e32 vcc_lo, 26, v7
	s_or_b32 s3, vcc_lo, s3
	s_waitcnt vmcnt(0) lgkmcnt(0)
	v_mul_f64 v[10:11], v[21:22], v[17:18]
	v_mul_f64 v[17:18], v[19:20], v[17:18]
	v_fma_f64 v[10:11], v[19:20], v[15:16], -v[10:11]
	s_delay_alu instid0(VALU_DEP_2) | instskip(NEXT) | instid1(VALU_DEP_2)
	v_fma_f64 v[15:16], v[21:22], v[15:16], v[17:18]
	v_add_f64 v[3:4], v[3:4], v[10:11]
	s_delay_alu instid0(VALU_DEP_2)
	v_add_f64 v[1:2], v[1:2], v[15:16]
	s_and_not1_b32 exec_lo, exec_lo, s3
	s_cbranch_execnz .LBB55_125
; %bb.126:
	s_or_b32 exec_lo, exec_lo, s3
	v_mov_b32_e32 v7, 0
	ds_load_b128 v[7:10], v7 offset:448
	s_waitcnt lgkmcnt(0)
	v_mul_f64 v[11:12], v[1:2], v[9:10]
	v_mul_f64 v[15:16], v[3:4], v[9:10]
	s_delay_alu instid0(VALU_DEP_2) | instskip(NEXT) | instid1(VALU_DEP_2)
	v_fma_f64 v[9:10], v[3:4], v[7:8], -v[11:12]
	v_fma_f64 v[11:12], v[1:2], v[7:8], v[15:16]
	scratch_store_b128 off, v[9:12], off offset:448
.LBB55_127:
	s_or_b32 exec_lo, exec_lo, s2
	s_waitcnt_vscnt null, 0x0
	s_barrier
	buffer_gl0_inv
	scratch_load_b128 v[1:4], v160, off
	s_mov_b32 s2, exec_lo
	s_waitcnt vmcnt(0)
	ds_store_b128 v5, v[1:4]
	s_waitcnt lgkmcnt(0)
	s_barrier
	buffer_gl0_inv
	v_cmpx_gt_u32_e32 29, v154
	s_cbranch_execz .LBB55_131
; %bb.128:
	v_dual_mov_b32 v1, 0 :: v_dual_add_nc_u32 v8, 0x380, v13
	v_dual_mov_b32 v2, 0 :: v_dual_add_nc_u32 v7, -1, v154
	v_or_b32_e32 v9, 8, v14
	s_mov_b32 s3, 0
	s_delay_alu instid0(VALU_DEP_2)
	v_dual_mov_b32 v4, v2 :: v_dual_mov_b32 v3, v1
	.p2align	6
.LBB55_129:                             ; =>This Inner Loop Header: Depth=1
	scratch_load_b128 v[15:18], v9, off offset:-8
	ds_load_b128 v[19:22], v8
	v_add_nc_u32_e32 v7, 1, v7
	v_add_nc_u32_e32 v8, 16, v8
	v_add_nc_u32_e32 v9, 16, v9
	s_delay_alu instid0(VALU_DEP_3) | instskip(SKIP_4) | instid1(VALU_DEP_2)
	v_cmp_lt_u32_e32 vcc_lo, 27, v7
	s_or_b32 s3, vcc_lo, s3
	s_waitcnt vmcnt(0) lgkmcnt(0)
	v_mul_f64 v[10:11], v[21:22], v[17:18]
	v_mul_f64 v[17:18], v[19:20], v[17:18]
	v_fma_f64 v[10:11], v[19:20], v[15:16], -v[10:11]
	s_delay_alu instid0(VALU_DEP_2) | instskip(NEXT) | instid1(VALU_DEP_2)
	v_fma_f64 v[15:16], v[21:22], v[15:16], v[17:18]
	v_add_f64 v[3:4], v[3:4], v[10:11]
	s_delay_alu instid0(VALU_DEP_2)
	v_add_f64 v[1:2], v[1:2], v[15:16]
	s_and_not1_b32 exec_lo, exec_lo, s3
	s_cbranch_execnz .LBB55_129
; %bb.130:
	s_or_b32 exec_lo, exec_lo, s3
	v_mov_b32_e32 v7, 0
	ds_load_b128 v[7:10], v7 offset:464
	s_waitcnt lgkmcnt(0)
	v_mul_f64 v[11:12], v[1:2], v[9:10]
	v_mul_f64 v[15:16], v[3:4], v[9:10]
	s_delay_alu instid0(VALU_DEP_2) | instskip(NEXT) | instid1(VALU_DEP_2)
	v_fma_f64 v[9:10], v[3:4], v[7:8], -v[11:12]
	v_fma_f64 v[11:12], v[1:2], v[7:8], v[15:16]
	scratch_store_b128 off, v[9:12], off offset:464
.LBB55_131:
	s_or_b32 exec_lo, exec_lo, s2
	s_waitcnt_vscnt null, 0x0
	s_barrier
	buffer_gl0_inv
	scratch_load_b128 v[1:4], v213, off
	s_mov_b32 s2, exec_lo
	s_waitcnt vmcnt(0)
	ds_store_b128 v5, v[1:4]
	s_waitcnt lgkmcnt(0)
	s_barrier
	buffer_gl0_inv
	v_cmpx_gt_u32_e32 30, v154
	s_cbranch_execz .LBB55_135
; %bb.132:
	v_dual_mov_b32 v1, 0 :: v_dual_add_nc_u32 v8, 0x380, v13
	v_dual_mov_b32 v2, 0 :: v_dual_add_nc_u32 v7, -1, v154
	v_or_b32_e32 v9, 8, v14
	s_mov_b32 s3, 0
	s_delay_alu instid0(VALU_DEP_2)
	v_dual_mov_b32 v4, v2 :: v_dual_mov_b32 v3, v1
	.p2align	6
.LBB55_133:                             ; =>This Inner Loop Header: Depth=1
	scratch_load_b128 v[15:18], v9, off offset:-8
	ds_load_b128 v[19:22], v8
	v_add_nc_u32_e32 v7, 1, v7
	v_add_nc_u32_e32 v8, 16, v8
	;; [unrolled: 1-line block ×3, first 2 shown]
	s_delay_alu instid0(VALU_DEP_3) | instskip(SKIP_4) | instid1(VALU_DEP_2)
	v_cmp_lt_u32_e32 vcc_lo, 28, v7
	s_or_b32 s3, vcc_lo, s3
	s_waitcnt vmcnt(0) lgkmcnt(0)
	v_mul_f64 v[10:11], v[21:22], v[17:18]
	v_mul_f64 v[17:18], v[19:20], v[17:18]
	v_fma_f64 v[10:11], v[19:20], v[15:16], -v[10:11]
	s_delay_alu instid0(VALU_DEP_2) | instskip(NEXT) | instid1(VALU_DEP_2)
	v_fma_f64 v[15:16], v[21:22], v[15:16], v[17:18]
	v_add_f64 v[3:4], v[3:4], v[10:11]
	s_delay_alu instid0(VALU_DEP_2)
	v_add_f64 v[1:2], v[1:2], v[15:16]
	s_and_not1_b32 exec_lo, exec_lo, s3
	s_cbranch_execnz .LBB55_133
; %bb.134:
	s_or_b32 exec_lo, exec_lo, s3
	v_mov_b32_e32 v7, 0
	ds_load_b128 v[7:10], v7 offset:480
	s_waitcnt lgkmcnt(0)
	v_mul_f64 v[11:12], v[1:2], v[9:10]
	v_mul_f64 v[15:16], v[3:4], v[9:10]
	s_delay_alu instid0(VALU_DEP_2) | instskip(NEXT) | instid1(VALU_DEP_2)
	v_fma_f64 v[9:10], v[3:4], v[7:8], -v[11:12]
	v_fma_f64 v[11:12], v[1:2], v[7:8], v[15:16]
	scratch_store_b128 off, v[9:12], off offset:480
.LBB55_135:
	s_or_b32 exec_lo, exec_lo, s2
	s_waitcnt_vscnt null, 0x0
	s_barrier
	buffer_gl0_inv
	scratch_load_b128 v[1:4], v159, off
	s_mov_b32 s2, exec_lo
	s_waitcnt vmcnt(0)
	ds_store_b128 v5, v[1:4]
	s_waitcnt lgkmcnt(0)
	s_barrier
	buffer_gl0_inv
	v_cmpx_gt_u32_e32 31, v154
	s_cbranch_execz .LBB55_139
; %bb.136:
	v_dual_mov_b32 v1, 0 :: v_dual_add_nc_u32 v8, 0x380, v13
	v_dual_mov_b32 v2, 0 :: v_dual_add_nc_u32 v7, -1, v154
	v_or_b32_e32 v9, 8, v14
	s_mov_b32 s3, 0
	s_delay_alu instid0(VALU_DEP_2)
	v_dual_mov_b32 v4, v2 :: v_dual_mov_b32 v3, v1
	.p2align	6
.LBB55_137:                             ; =>This Inner Loop Header: Depth=1
	scratch_load_b128 v[15:18], v9, off offset:-8
	ds_load_b128 v[19:22], v8
	v_add_nc_u32_e32 v7, 1, v7
	v_add_nc_u32_e32 v8, 16, v8
	;; [unrolled: 1-line block ×3, first 2 shown]
	s_delay_alu instid0(VALU_DEP_3) | instskip(SKIP_4) | instid1(VALU_DEP_2)
	v_cmp_lt_u32_e32 vcc_lo, 29, v7
	s_or_b32 s3, vcc_lo, s3
	s_waitcnt vmcnt(0) lgkmcnt(0)
	v_mul_f64 v[10:11], v[21:22], v[17:18]
	v_mul_f64 v[17:18], v[19:20], v[17:18]
	v_fma_f64 v[10:11], v[19:20], v[15:16], -v[10:11]
	s_delay_alu instid0(VALU_DEP_2) | instskip(NEXT) | instid1(VALU_DEP_2)
	v_fma_f64 v[15:16], v[21:22], v[15:16], v[17:18]
	v_add_f64 v[3:4], v[3:4], v[10:11]
	s_delay_alu instid0(VALU_DEP_2)
	v_add_f64 v[1:2], v[1:2], v[15:16]
	s_and_not1_b32 exec_lo, exec_lo, s3
	s_cbranch_execnz .LBB55_137
; %bb.138:
	s_or_b32 exec_lo, exec_lo, s3
	v_mov_b32_e32 v7, 0
	ds_load_b128 v[7:10], v7 offset:496
	s_waitcnt lgkmcnt(0)
	v_mul_f64 v[11:12], v[1:2], v[9:10]
	v_mul_f64 v[15:16], v[3:4], v[9:10]
	s_delay_alu instid0(VALU_DEP_2) | instskip(NEXT) | instid1(VALU_DEP_2)
	v_fma_f64 v[9:10], v[3:4], v[7:8], -v[11:12]
	v_fma_f64 v[11:12], v[1:2], v[7:8], v[15:16]
	scratch_store_b128 off, v[9:12], off offset:496
.LBB55_139:
	s_or_b32 exec_lo, exec_lo, s2
	s_waitcnt_vscnt null, 0x0
	s_barrier
	buffer_gl0_inv
	scratch_load_b128 v[1:4], v212, off
	s_mov_b32 s2, exec_lo
	s_waitcnt vmcnt(0)
	ds_store_b128 v5, v[1:4]
	s_waitcnt lgkmcnt(0)
	s_barrier
	buffer_gl0_inv
	v_cmpx_gt_u32_e32 32, v154
	s_cbranch_execz .LBB55_143
; %bb.140:
	v_dual_mov_b32 v1, 0 :: v_dual_add_nc_u32 v8, 0x380, v13
	v_dual_mov_b32 v2, 0 :: v_dual_add_nc_u32 v7, -1, v154
	v_or_b32_e32 v9, 8, v14
	s_mov_b32 s3, 0
	s_delay_alu instid0(VALU_DEP_2)
	v_dual_mov_b32 v4, v2 :: v_dual_mov_b32 v3, v1
	.p2align	6
.LBB55_141:                             ; =>This Inner Loop Header: Depth=1
	scratch_load_b128 v[15:18], v9, off offset:-8
	ds_load_b128 v[19:22], v8
	v_add_nc_u32_e32 v7, 1, v7
	v_add_nc_u32_e32 v8, 16, v8
	v_add_nc_u32_e32 v9, 16, v9
	s_delay_alu instid0(VALU_DEP_3) | instskip(SKIP_4) | instid1(VALU_DEP_2)
	v_cmp_lt_u32_e32 vcc_lo, 30, v7
	s_or_b32 s3, vcc_lo, s3
	s_waitcnt vmcnt(0) lgkmcnt(0)
	v_mul_f64 v[10:11], v[21:22], v[17:18]
	v_mul_f64 v[17:18], v[19:20], v[17:18]
	v_fma_f64 v[10:11], v[19:20], v[15:16], -v[10:11]
	s_delay_alu instid0(VALU_DEP_2) | instskip(NEXT) | instid1(VALU_DEP_2)
	v_fma_f64 v[15:16], v[21:22], v[15:16], v[17:18]
	v_add_f64 v[3:4], v[3:4], v[10:11]
	s_delay_alu instid0(VALU_DEP_2)
	v_add_f64 v[1:2], v[1:2], v[15:16]
	s_and_not1_b32 exec_lo, exec_lo, s3
	s_cbranch_execnz .LBB55_141
; %bb.142:
	s_or_b32 exec_lo, exec_lo, s3
	v_mov_b32_e32 v7, 0
	ds_load_b128 v[7:10], v7 offset:512
	s_waitcnt lgkmcnt(0)
	v_mul_f64 v[11:12], v[1:2], v[9:10]
	v_mul_f64 v[15:16], v[3:4], v[9:10]
	s_delay_alu instid0(VALU_DEP_2) | instskip(NEXT) | instid1(VALU_DEP_2)
	v_fma_f64 v[9:10], v[3:4], v[7:8], -v[11:12]
	v_fma_f64 v[11:12], v[1:2], v[7:8], v[15:16]
	scratch_store_b128 off, v[9:12], off offset:512
.LBB55_143:
	s_or_b32 exec_lo, exec_lo, s2
	s_waitcnt_vscnt null, 0x0
	s_barrier
	buffer_gl0_inv
	scratch_load_b32 v1, off, off offset:900 ; 4-byte Folded Reload
	s_mov_b32 s2, exec_lo
	s_waitcnt vmcnt(0)
	scratch_load_b128 v[1:4], v1, off
	s_waitcnt vmcnt(0)
	ds_store_b128 v5, v[1:4]
	s_waitcnt lgkmcnt(0)
	s_barrier
	buffer_gl0_inv
	v_cmpx_gt_u32_e32 33, v154
	s_cbranch_execz .LBB55_147
; %bb.144:
	v_dual_mov_b32 v1, 0 :: v_dual_add_nc_u32 v8, 0x380, v13
	v_dual_mov_b32 v2, 0 :: v_dual_add_nc_u32 v7, -1, v154
	v_or_b32_e32 v9, 8, v14
	s_mov_b32 s3, 0
	s_delay_alu instid0(VALU_DEP_2)
	v_dual_mov_b32 v4, v2 :: v_dual_mov_b32 v3, v1
	.p2align	6
.LBB55_145:                             ; =>This Inner Loop Header: Depth=1
	scratch_load_b128 v[15:18], v9, off offset:-8
	ds_load_b128 v[19:22], v8
	v_add_nc_u32_e32 v7, 1, v7
	v_add_nc_u32_e32 v8, 16, v8
	;; [unrolled: 1-line block ×3, first 2 shown]
	s_delay_alu instid0(VALU_DEP_3) | instskip(SKIP_4) | instid1(VALU_DEP_2)
	v_cmp_lt_u32_e32 vcc_lo, 31, v7
	s_or_b32 s3, vcc_lo, s3
	s_waitcnt vmcnt(0) lgkmcnt(0)
	v_mul_f64 v[10:11], v[21:22], v[17:18]
	v_mul_f64 v[17:18], v[19:20], v[17:18]
	v_fma_f64 v[10:11], v[19:20], v[15:16], -v[10:11]
	s_delay_alu instid0(VALU_DEP_2) | instskip(NEXT) | instid1(VALU_DEP_2)
	v_fma_f64 v[15:16], v[21:22], v[15:16], v[17:18]
	v_add_f64 v[3:4], v[3:4], v[10:11]
	s_delay_alu instid0(VALU_DEP_2)
	v_add_f64 v[1:2], v[1:2], v[15:16]
	s_and_not1_b32 exec_lo, exec_lo, s3
	s_cbranch_execnz .LBB55_145
; %bb.146:
	s_or_b32 exec_lo, exec_lo, s3
	v_mov_b32_e32 v7, 0
	ds_load_b128 v[7:10], v7 offset:528
	s_waitcnt lgkmcnt(0)
	v_mul_f64 v[11:12], v[1:2], v[9:10]
	v_mul_f64 v[15:16], v[3:4], v[9:10]
	s_delay_alu instid0(VALU_DEP_2) | instskip(NEXT) | instid1(VALU_DEP_2)
	v_fma_f64 v[9:10], v[3:4], v[7:8], -v[11:12]
	v_fma_f64 v[11:12], v[1:2], v[7:8], v[15:16]
	scratch_store_b128 off, v[9:12], off offset:528
.LBB55_147:
	s_or_b32 exec_lo, exec_lo, s2
	s_waitcnt_vscnt null, 0x0
	s_barrier
	buffer_gl0_inv
	scratch_load_b128 v[1:4], v210, off
	s_mov_b32 s2, exec_lo
	s_waitcnt vmcnt(0)
	ds_store_b128 v5, v[1:4]
	s_waitcnt lgkmcnt(0)
	s_barrier
	buffer_gl0_inv
	v_cmpx_gt_u32_e32 34, v154
	s_cbranch_execz .LBB55_151
; %bb.148:
	v_dual_mov_b32 v1, 0 :: v_dual_add_nc_u32 v8, 0x380, v13
	v_dual_mov_b32 v2, 0 :: v_dual_add_nc_u32 v7, -1, v154
	v_or_b32_e32 v9, 8, v14
	s_mov_b32 s3, 0
	s_delay_alu instid0(VALU_DEP_2)
	v_dual_mov_b32 v4, v2 :: v_dual_mov_b32 v3, v1
	.p2align	6
.LBB55_149:                             ; =>This Inner Loop Header: Depth=1
	scratch_load_b128 v[15:18], v9, off offset:-8
	ds_load_b128 v[19:22], v8
	v_add_nc_u32_e32 v7, 1, v7
	v_add_nc_u32_e32 v8, 16, v8
	;; [unrolled: 1-line block ×3, first 2 shown]
	s_delay_alu instid0(VALU_DEP_3) | instskip(SKIP_4) | instid1(VALU_DEP_2)
	v_cmp_lt_u32_e32 vcc_lo, 32, v7
	s_or_b32 s3, vcc_lo, s3
	s_waitcnt vmcnt(0) lgkmcnt(0)
	v_mul_f64 v[10:11], v[21:22], v[17:18]
	v_mul_f64 v[17:18], v[19:20], v[17:18]
	v_fma_f64 v[10:11], v[19:20], v[15:16], -v[10:11]
	s_delay_alu instid0(VALU_DEP_2) | instskip(NEXT) | instid1(VALU_DEP_2)
	v_fma_f64 v[15:16], v[21:22], v[15:16], v[17:18]
	v_add_f64 v[3:4], v[3:4], v[10:11]
	s_delay_alu instid0(VALU_DEP_2)
	v_add_f64 v[1:2], v[1:2], v[15:16]
	s_and_not1_b32 exec_lo, exec_lo, s3
	s_cbranch_execnz .LBB55_149
; %bb.150:
	s_or_b32 exec_lo, exec_lo, s3
	v_mov_b32_e32 v7, 0
	ds_load_b128 v[7:10], v7 offset:544
	s_waitcnt lgkmcnt(0)
	v_mul_f64 v[11:12], v[1:2], v[9:10]
	v_mul_f64 v[15:16], v[3:4], v[9:10]
	s_delay_alu instid0(VALU_DEP_2) | instskip(NEXT) | instid1(VALU_DEP_2)
	v_fma_f64 v[9:10], v[3:4], v[7:8], -v[11:12]
	v_fma_f64 v[11:12], v[1:2], v[7:8], v[15:16]
	scratch_store_b128 off, v[9:12], off offset:544
.LBB55_151:
	s_or_b32 exec_lo, exec_lo, s2
	s_waitcnt_vscnt null, 0x0
	s_barrier
	buffer_gl0_inv
	scratch_load_b32 v1, off, off offset:896 ; 4-byte Folded Reload
	s_mov_b32 s2, exec_lo
	s_waitcnt vmcnt(0)
	scratch_load_b128 v[1:4], v1, off
	s_waitcnt vmcnt(0)
	ds_store_b128 v5, v[1:4]
	s_waitcnt lgkmcnt(0)
	s_barrier
	buffer_gl0_inv
	v_cmpx_gt_u32_e32 35, v154
	s_cbranch_execz .LBB55_155
; %bb.152:
	v_dual_mov_b32 v1, 0 :: v_dual_add_nc_u32 v8, 0x380, v13
	v_dual_mov_b32 v2, 0 :: v_dual_add_nc_u32 v7, -1, v154
	v_or_b32_e32 v9, 8, v14
	s_mov_b32 s3, 0
	s_delay_alu instid0(VALU_DEP_2)
	v_dual_mov_b32 v4, v2 :: v_dual_mov_b32 v3, v1
	.p2align	6
.LBB55_153:                             ; =>This Inner Loop Header: Depth=1
	scratch_load_b128 v[15:18], v9, off offset:-8
	ds_load_b128 v[19:22], v8
	v_add_nc_u32_e32 v7, 1, v7
	v_add_nc_u32_e32 v8, 16, v8
	;; [unrolled: 1-line block ×3, first 2 shown]
	s_delay_alu instid0(VALU_DEP_3) | instskip(SKIP_4) | instid1(VALU_DEP_2)
	v_cmp_lt_u32_e32 vcc_lo, 33, v7
	s_or_b32 s3, vcc_lo, s3
	s_waitcnt vmcnt(0) lgkmcnt(0)
	v_mul_f64 v[10:11], v[21:22], v[17:18]
	v_mul_f64 v[17:18], v[19:20], v[17:18]
	v_fma_f64 v[10:11], v[19:20], v[15:16], -v[10:11]
	s_delay_alu instid0(VALU_DEP_2) | instskip(NEXT) | instid1(VALU_DEP_2)
	v_fma_f64 v[15:16], v[21:22], v[15:16], v[17:18]
	v_add_f64 v[3:4], v[3:4], v[10:11]
	s_delay_alu instid0(VALU_DEP_2)
	v_add_f64 v[1:2], v[1:2], v[15:16]
	s_and_not1_b32 exec_lo, exec_lo, s3
	s_cbranch_execnz .LBB55_153
; %bb.154:
	s_or_b32 exec_lo, exec_lo, s3
	v_mov_b32_e32 v7, 0
	ds_load_b128 v[7:10], v7 offset:560
	s_waitcnt lgkmcnt(0)
	v_mul_f64 v[11:12], v[1:2], v[9:10]
	v_mul_f64 v[15:16], v[3:4], v[9:10]
	s_delay_alu instid0(VALU_DEP_2) | instskip(NEXT) | instid1(VALU_DEP_2)
	v_fma_f64 v[9:10], v[3:4], v[7:8], -v[11:12]
	v_fma_f64 v[11:12], v[1:2], v[7:8], v[15:16]
	scratch_store_b128 off, v[9:12], off offset:560
.LBB55_155:
	s_or_b32 exec_lo, exec_lo, s2
	s_waitcnt_vscnt null, 0x0
	s_barrier
	buffer_gl0_inv
	scratch_load_b128 v[1:4], v49, off
	s_mov_b32 s2, exec_lo
	s_waitcnt vmcnt(0)
	ds_store_b128 v5, v[1:4]
	s_waitcnt lgkmcnt(0)
	s_barrier
	buffer_gl0_inv
	v_cmpx_gt_u32_e32 36, v154
	s_cbranch_execz .LBB55_159
; %bb.156:
	v_dual_mov_b32 v1, 0 :: v_dual_add_nc_u32 v8, 0x380, v13
	v_dual_mov_b32 v2, 0 :: v_dual_add_nc_u32 v7, -1, v154
	v_or_b32_e32 v9, 8, v14
	s_mov_b32 s3, 0
	s_delay_alu instid0(VALU_DEP_2)
	v_dual_mov_b32 v4, v2 :: v_dual_mov_b32 v3, v1
	.p2align	6
.LBB55_157:                             ; =>This Inner Loop Header: Depth=1
	scratch_load_b128 v[15:18], v9, off offset:-8
	ds_load_b128 v[19:22], v8
	v_add_nc_u32_e32 v7, 1, v7
	v_add_nc_u32_e32 v8, 16, v8
	;; [unrolled: 1-line block ×3, first 2 shown]
	s_delay_alu instid0(VALU_DEP_3) | instskip(SKIP_4) | instid1(VALU_DEP_2)
	v_cmp_lt_u32_e32 vcc_lo, 34, v7
	s_or_b32 s3, vcc_lo, s3
	s_waitcnt vmcnt(0) lgkmcnt(0)
	v_mul_f64 v[10:11], v[21:22], v[17:18]
	v_mul_f64 v[17:18], v[19:20], v[17:18]
	v_fma_f64 v[10:11], v[19:20], v[15:16], -v[10:11]
	s_delay_alu instid0(VALU_DEP_2) | instskip(NEXT) | instid1(VALU_DEP_2)
	v_fma_f64 v[15:16], v[21:22], v[15:16], v[17:18]
	v_add_f64 v[3:4], v[3:4], v[10:11]
	s_delay_alu instid0(VALU_DEP_2)
	v_add_f64 v[1:2], v[1:2], v[15:16]
	s_and_not1_b32 exec_lo, exec_lo, s3
	s_cbranch_execnz .LBB55_157
; %bb.158:
	s_or_b32 exec_lo, exec_lo, s3
	v_mov_b32_e32 v7, 0
	ds_load_b128 v[7:10], v7 offset:576
	s_waitcnt lgkmcnt(0)
	v_mul_f64 v[11:12], v[1:2], v[9:10]
	v_mul_f64 v[15:16], v[3:4], v[9:10]
	s_delay_alu instid0(VALU_DEP_2) | instskip(NEXT) | instid1(VALU_DEP_2)
	v_fma_f64 v[9:10], v[3:4], v[7:8], -v[11:12]
	v_fma_f64 v[11:12], v[1:2], v[7:8], v[15:16]
	scratch_store_b128 off, v[9:12], off offset:576
.LBB55_159:
	s_or_b32 exec_lo, exec_lo, s2
	s_waitcnt_vscnt null, 0x0
	s_barrier
	buffer_gl0_inv
	scratch_load_b128 v[1:4], v48, off
	s_mov_b32 s2, exec_lo
	s_waitcnt vmcnt(0)
	ds_store_b128 v5, v[1:4]
	s_waitcnt lgkmcnt(0)
	s_barrier
	buffer_gl0_inv
	v_cmpx_gt_u32_e32 37, v154
	s_cbranch_execz .LBB55_163
; %bb.160:
	v_dual_mov_b32 v1, 0 :: v_dual_add_nc_u32 v8, 0x380, v13
	v_dual_mov_b32 v2, 0 :: v_dual_add_nc_u32 v7, -1, v154
	v_or_b32_e32 v9, 8, v14
	s_mov_b32 s3, 0
	s_delay_alu instid0(VALU_DEP_2)
	v_dual_mov_b32 v4, v2 :: v_dual_mov_b32 v3, v1
	.p2align	6
.LBB55_161:                             ; =>This Inner Loop Header: Depth=1
	scratch_load_b128 v[15:18], v9, off offset:-8
	ds_load_b128 v[19:22], v8
	v_add_nc_u32_e32 v7, 1, v7
	v_add_nc_u32_e32 v8, 16, v8
	;; [unrolled: 1-line block ×3, first 2 shown]
	s_delay_alu instid0(VALU_DEP_3) | instskip(SKIP_4) | instid1(VALU_DEP_2)
	v_cmp_lt_u32_e32 vcc_lo, 35, v7
	s_or_b32 s3, vcc_lo, s3
	s_waitcnt vmcnt(0) lgkmcnt(0)
	v_mul_f64 v[10:11], v[21:22], v[17:18]
	v_mul_f64 v[17:18], v[19:20], v[17:18]
	v_fma_f64 v[10:11], v[19:20], v[15:16], -v[10:11]
	s_delay_alu instid0(VALU_DEP_2) | instskip(NEXT) | instid1(VALU_DEP_2)
	v_fma_f64 v[15:16], v[21:22], v[15:16], v[17:18]
	v_add_f64 v[3:4], v[3:4], v[10:11]
	s_delay_alu instid0(VALU_DEP_2)
	v_add_f64 v[1:2], v[1:2], v[15:16]
	s_and_not1_b32 exec_lo, exec_lo, s3
	s_cbranch_execnz .LBB55_161
; %bb.162:
	s_or_b32 exec_lo, exec_lo, s3
	v_mov_b32_e32 v7, 0
	ds_load_b128 v[7:10], v7 offset:592
	s_waitcnt lgkmcnt(0)
	v_mul_f64 v[11:12], v[1:2], v[9:10]
	v_mul_f64 v[15:16], v[3:4], v[9:10]
	s_delay_alu instid0(VALU_DEP_2) | instskip(NEXT) | instid1(VALU_DEP_2)
	v_fma_f64 v[9:10], v[3:4], v[7:8], -v[11:12]
	v_fma_f64 v[11:12], v[1:2], v[7:8], v[15:16]
	scratch_store_b128 off, v[9:12], off offset:592
.LBB55_163:
	s_or_b32 exec_lo, exec_lo, s2
	s_waitcnt_vscnt null, 0x0
	s_barrier
	buffer_gl0_inv
	scratch_load_b128 v[1:4], v46, off
	s_mov_b32 s2, exec_lo
	s_waitcnt vmcnt(0)
	ds_store_b128 v5, v[1:4]
	s_waitcnt lgkmcnt(0)
	s_barrier
	buffer_gl0_inv
	v_cmpx_gt_u32_e32 38, v154
	s_cbranch_execz .LBB55_167
; %bb.164:
	v_dual_mov_b32 v1, 0 :: v_dual_add_nc_u32 v8, 0x380, v13
	v_dual_mov_b32 v2, 0 :: v_dual_add_nc_u32 v7, -1, v154
	v_or_b32_e32 v9, 8, v14
	s_mov_b32 s3, 0
	s_delay_alu instid0(VALU_DEP_2)
	v_dual_mov_b32 v4, v2 :: v_dual_mov_b32 v3, v1
	.p2align	6
.LBB55_165:                             ; =>This Inner Loop Header: Depth=1
	scratch_load_b128 v[15:18], v9, off offset:-8
	ds_load_b128 v[19:22], v8
	v_add_nc_u32_e32 v7, 1, v7
	v_add_nc_u32_e32 v8, 16, v8
	;; [unrolled: 1-line block ×3, first 2 shown]
	s_delay_alu instid0(VALU_DEP_3) | instskip(SKIP_4) | instid1(VALU_DEP_2)
	v_cmp_lt_u32_e32 vcc_lo, 36, v7
	s_or_b32 s3, vcc_lo, s3
	s_waitcnt vmcnt(0) lgkmcnt(0)
	v_mul_f64 v[10:11], v[21:22], v[17:18]
	v_mul_f64 v[17:18], v[19:20], v[17:18]
	v_fma_f64 v[10:11], v[19:20], v[15:16], -v[10:11]
	s_delay_alu instid0(VALU_DEP_2) | instskip(NEXT) | instid1(VALU_DEP_2)
	v_fma_f64 v[15:16], v[21:22], v[15:16], v[17:18]
	v_add_f64 v[3:4], v[3:4], v[10:11]
	s_delay_alu instid0(VALU_DEP_2)
	v_add_f64 v[1:2], v[1:2], v[15:16]
	s_and_not1_b32 exec_lo, exec_lo, s3
	s_cbranch_execnz .LBB55_165
; %bb.166:
	s_or_b32 exec_lo, exec_lo, s3
	v_mov_b32_e32 v7, 0
	ds_load_b128 v[7:10], v7 offset:608
	s_waitcnt lgkmcnt(0)
	v_mul_f64 v[11:12], v[1:2], v[9:10]
	v_mul_f64 v[15:16], v[3:4], v[9:10]
	s_delay_alu instid0(VALU_DEP_2) | instskip(NEXT) | instid1(VALU_DEP_2)
	v_fma_f64 v[9:10], v[3:4], v[7:8], -v[11:12]
	v_fma_f64 v[11:12], v[1:2], v[7:8], v[15:16]
	scratch_store_b128 off, v[9:12], off offset:608
.LBB55_167:
	s_or_b32 exec_lo, exec_lo, s2
	s_waitcnt_vscnt null, 0x0
	s_barrier
	buffer_gl0_inv
	scratch_load_b128 v[1:4], v47, off
	s_mov_b32 s2, exec_lo
	s_waitcnt vmcnt(0)
	ds_store_b128 v5, v[1:4]
	s_waitcnt lgkmcnt(0)
	s_barrier
	buffer_gl0_inv
	v_cmpx_gt_u32_e32 39, v154
	s_cbranch_execz .LBB55_171
; %bb.168:
	v_dual_mov_b32 v1, 0 :: v_dual_add_nc_u32 v8, 0x380, v13
	v_dual_mov_b32 v2, 0 :: v_dual_add_nc_u32 v7, -1, v154
	v_or_b32_e32 v9, 8, v14
	s_mov_b32 s3, 0
	s_delay_alu instid0(VALU_DEP_2)
	v_dual_mov_b32 v4, v2 :: v_dual_mov_b32 v3, v1
	.p2align	6
.LBB55_169:                             ; =>This Inner Loop Header: Depth=1
	scratch_load_b128 v[15:18], v9, off offset:-8
	ds_load_b128 v[19:22], v8
	v_add_nc_u32_e32 v7, 1, v7
	v_add_nc_u32_e32 v8, 16, v8
	;; [unrolled: 1-line block ×3, first 2 shown]
	s_delay_alu instid0(VALU_DEP_3) | instskip(SKIP_4) | instid1(VALU_DEP_2)
	v_cmp_lt_u32_e32 vcc_lo, 37, v7
	s_or_b32 s3, vcc_lo, s3
	s_waitcnt vmcnt(0) lgkmcnt(0)
	v_mul_f64 v[10:11], v[21:22], v[17:18]
	v_mul_f64 v[17:18], v[19:20], v[17:18]
	v_fma_f64 v[10:11], v[19:20], v[15:16], -v[10:11]
	s_delay_alu instid0(VALU_DEP_2) | instskip(NEXT) | instid1(VALU_DEP_2)
	v_fma_f64 v[15:16], v[21:22], v[15:16], v[17:18]
	v_add_f64 v[3:4], v[3:4], v[10:11]
	s_delay_alu instid0(VALU_DEP_2)
	v_add_f64 v[1:2], v[1:2], v[15:16]
	s_and_not1_b32 exec_lo, exec_lo, s3
	s_cbranch_execnz .LBB55_169
; %bb.170:
	s_or_b32 exec_lo, exec_lo, s3
	v_mov_b32_e32 v7, 0
	ds_load_b128 v[7:10], v7 offset:624
	s_waitcnt lgkmcnt(0)
	v_mul_f64 v[11:12], v[1:2], v[9:10]
	v_mul_f64 v[15:16], v[3:4], v[9:10]
	s_delay_alu instid0(VALU_DEP_2) | instskip(NEXT) | instid1(VALU_DEP_2)
	v_fma_f64 v[9:10], v[3:4], v[7:8], -v[11:12]
	v_fma_f64 v[11:12], v[1:2], v[7:8], v[15:16]
	scratch_store_b128 off, v[9:12], off offset:624
.LBB55_171:
	s_or_b32 exec_lo, exec_lo, s2
	s_waitcnt_vscnt null, 0x0
	s_barrier
	buffer_gl0_inv
	scratch_load_b128 v[1:4], v45, off
	s_mov_b32 s2, exec_lo
	s_waitcnt vmcnt(0)
	ds_store_b128 v5, v[1:4]
	s_waitcnt lgkmcnt(0)
	s_barrier
	buffer_gl0_inv
	v_cmpx_gt_u32_e32 40, v154
	s_cbranch_execz .LBB55_175
; %bb.172:
	v_dual_mov_b32 v1, 0 :: v_dual_add_nc_u32 v8, 0x380, v13
	v_dual_mov_b32 v2, 0 :: v_dual_add_nc_u32 v7, -1, v154
	v_or_b32_e32 v9, 8, v14
	s_mov_b32 s3, 0
	s_delay_alu instid0(VALU_DEP_2)
	v_dual_mov_b32 v4, v2 :: v_dual_mov_b32 v3, v1
	.p2align	6
.LBB55_173:                             ; =>This Inner Loop Header: Depth=1
	scratch_load_b128 v[15:18], v9, off offset:-8
	ds_load_b128 v[19:22], v8
	v_add_nc_u32_e32 v7, 1, v7
	v_add_nc_u32_e32 v8, 16, v8
	;; [unrolled: 1-line block ×3, first 2 shown]
	s_delay_alu instid0(VALU_DEP_3) | instskip(SKIP_4) | instid1(VALU_DEP_2)
	v_cmp_lt_u32_e32 vcc_lo, 38, v7
	s_or_b32 s3, vcc_lo, s3
	s_waitcnt vmcnt(0) lgkmcnt(0)
	v_mul_f64 v[10:11], v[21:22], v[17:18]
	v_mul_f64 v[17:18], v[19:20], v[17:18]
	v_fma_f64 v[10:11], v[19:20], v[15:16], -v[10:11]
	s_delay_alu instid0(VALU_DEP_2) | instskip(NEXT) | instid1(VALU_DEP_2)
	v_fma_f64 v[15:16], v[21:22], v[15:16], v[17:18]
	v_add_f64 v[3:4], v[3:4], v[10:11]
	s_delay_alu instid0(VALU_DEP_2)
	v_add_f64 v[1:2], v[1:2], v[15:16]
	s_and_not1_b32 exec_lo, exec_lo, s3
	s_cbranch_execnz .LBB55_173
; %bb.174:
	s_or_b32 exec_lo, exec_lo, s3
	v_mov_b32_e32 v7, 0
	ds_load_b128 v[7:10], v7 offset:640
	s_waitcnt lgkmcnt(0)
	v_mul_f64 v[11:12], v[1:2], v[9:10]
	v_mul_f64 v[15:16], v[3:4], v[9:10]
	s_delay_alu instid0(VALU_DEP_2) | instskip(NEXT) | instid1(VALU_DEP_2)
	v_fma_f64 v[9:10], v[3:4], v[7:8], -v[11:12]
	v_fma_f64 v[11:12], v[1:2], v[7:8], v[15:16]
	scratch_store_b128 off, v[9:12], off offset:640
.LBB55_175:
	s_or_b32 exec_lo, exec_lo, s2
	s_waitcnt_vscnt null, 0x0
	s_barrier
	buffer_gl0_inv
	scratch_load_b128 v[1:4], v44, off
	s_mov_b32 s2, exec_lo
	s_waitcnt vmcnt(0)
	ds_store_b128 v5, v[1:4]
	s_waitcnt lgkmcnt(0)
	s_barrier
	buffer_gl0_inv
	v_cmpx_gt_u32_e32 41, v154
	s_cbranch_execz .LBB55_179
; %bb.176:
	v_dual_mov_b32 v1, 0 :: v_dual_add_nc_u32 v8, 0x380, v13
	v_dual_mov_b32 v2, 0 :: v_dual_add_nc_u32 v7, -1, v154
	v_or_b32_e32 v9, 8, v14
	s_mov_b32 s3, 0
	s_delay_alu instid0(VALU_DEP_2)
	v_dual_mov_b32 v4, v2 :: v_dual_mov_b32 v3, v1
	.p2align	6
.LBB55_177:                             ; =>This Inner Loop Header: Depth=1
	scratch_load_b128 v[15:18], v9, off offset:-8
	ds_load_b128 v[19:22], v8
	v_add_nc_u32_e32 v7, 1, v7
	v_add_nc_u32_e32 v8, 16, v8
	;; [unrolled: 1-line block ×3, first 2 shown]
	s_delay_alu instid0(VALU_DEP_3) | instskip(SKIP_4) | instid1(VALU_DEP_2)
	v_cmp_lt_u32_e32 vcc_lo, 39, v7
	s_or_b32 s3, vcc_lo, s3
	s_waitcnt vmcnt(0) lgkmcnt(0)
	v_mul_f64 v[10:11], v[21:22], v[17:18]
	v_mul_f64 v[17:18], v[19:20], v[17:18]
	v_fma_f64 v[10:11], v[19:20], v[15:16], -v[10:11]
	s_delay_alu instid0(VALU_DEP_2) | instskip(NEXT) | instid1(VALU_DEP_2)
	v_fma_f64 v[15:16], v[21:22], v[15:16], v[17:18]
	v_add_f64 v[3:4], v[3:4], v[10:11]
	s_delay_alu instid0(VALU_DEP_2)
	v_add_f64 v[1:2], v[1:2], v[15:16]
	s_and_not1_b32 exec_lo, exec_lo, s3
	s_cbranch_execnz .LBB55_177
; %bb.178:
	s_or_b32 exec_lo, exec_lo, s3
	v_mov_b32_e32 v7, 0
	ds_load_b128 v[7:10], v7 offset:656
	s_waitcnt lgkmcnt(0)
	v_mul_f64 v[11:12], v[1:2], v[9:10]
	v_mul_f64 v[15:16], v[3:4], v[9:10]
	s_delay_alu instid0(VALU_DEP_2) | instskip(NEXT) | instid1(VALU_DEP_2)
	v_fma_f64 v[9:10], v[3:4], v[7:8], -v[11:12]
	v_fma_f64 v[11:12], v[1:2], v[7:8], v[15:16]
	scratch_store_b128 off, v[9:12], off offset:656
.LBB55_179:
	s_or_b32 exec_lo, exec_lo, s2
	s_waitcnt_vscnt null, 0x0
	s_barrier
	buffer_gl0_inv
	scratch_load_b128 v[1:4], v28, off
	s_mov_b32 s2, exec_lo
	s_waitcnt vmcnt(0)
	ds_store_b128 v5, v[1:4]
	s_waitcnt lgkmcnt(0)
	s_barrier
	buffer_gl0_inv
	v_cmpx_gt_u32_e32 42, v154
	s_cbranch_execz .LBB55_183
; %bb.180:
	v_dual_mov_b32 v1, 0 :: v_dual_add_nc_u32 v8, 0x380, v13
	v_dual_mov_b32 v2, 0 :: v_dual_add_nc_u32 v7, -1, v154
	v_or_b32_e32 v9, 8, v14
	s_mov_b32 s3, 0
	s_delay_alu instid0(VALU_DEP_2)
	v_dual_mov_b32 v4, v2 :: v_dual_mov_b32 v3, v1
	.p2align	6
.LBB55_181:                             ; =>This Inner Loop Header: Depth=1
	scratch_load_b128 v[15:18], v9, off offset:-8
	ds_load_b128 v[19:22], v8
	v_add_nc_u32_e32 v7, 1, v7
	v_add_nc_u32_e32 v8, 16, v8
	;; [unrolled: 1-line block ×3, first 2 shown]
	s_delay_alu instid0(VALU_DEP_3) | instskip(SKIP_4) | instid1(VALU_DEP_2)
	v_cmp_lt_u32_e32 vcc_lo, 40, v7
	s_or_b32 s3, vcc_lo, s3
	s_waitcnt vmcnt(0) lgkmcnt(0)
	v_mul_f64 v[10:11], v[21:22], v[17:18]
	v_mul_f64 v[17:18], v[19:20], v[17:18]
	v_fma_f64 v[10:11], v[19:20], v[15:16], -v[10:11]
	s_delay_alu instid0(VALU_DEP_2) | instskip(NEXT) | instid1(VALU_DEP_2)
	v_fma_f64 v[15:16], v[21:22], v[15:16], v[17:18]
	v_add_f64 v[3:4], v[3:4], v[10:11]
	s_delay_alu instid0(VALU_DEP_2)
	v_add_f64 v[1:2], v[1:2], v[15:16]
	s_and_not1_b32 exec_lo, exec_lo, s3
	s_cbranch_execnz .LBB55_181
; %bb.182:
	s_or_b32 exec_lo, exec_lo, s3
	v_mov_b32_e32 v7, 0
	ds_load_b128 v[7:10], v7 offset:672
	s_waitcnt lgkmcnt(0)
	v_mul_f64 v[11:12], v[1:2], v[9:10]
	v_mul_f64 v[15:16], v[3:4], v[9:10]
	s_delay_alu instid0(VALU_DEP_2) | instskip(NEXT) | instid1(VALU_DEP_2)
	v_fma_f64 v[9:10], v[3:4], v[7:8], -v[11:12]
	v_fma_f64 v[11:12], v[1:2], v[7:8], v[15:16]
	scratch_store_b128 off, v[9:12], off offset:672
.LBB55_183:
	s_or_b32 exec_lo, exec_lo, s2
	s_waitcnt_vscnt null, 0x0
	s_barrier
	buffer_gl0_inv
	scratch_load_b128 v[1:4], v29, off
	s_mov_b32 s2, exec_lo
	s_waitcnt vmcnt(0)
	ds_store_b128 v5, v[1:4]
	s_waitcnt lgkmcnt(0)
	s_barrier
	buffer_gl0_inv
	v_cmpx_gt_u32_e32 43, v154
	s_cbranch_execz .LBB55_187
; %bb.184:
	v_dual_mov_b32 v1, 0 :: v_dual_add_nc_u32 v8, 0x380, v13
	v_dual_mov_b32 v2, 0 :: v_dual_add_nc_u32 v7, -1, v154
	v_or_b32_e32 v9, 8, v14
	s_mov_b32 s3, 0
	s_delay_alu instid0(VALU_DEP_2)
	v_dual_mov_b32 v4, v2 :: v_dual_mov_b32 v3, v1
	.p2align	6
.LBB55_185:                             ; =>This Inner Loop Header: Depth=1
	scratch_load_b128 v[15:18], v9, off offset:-8
	ds_load_b128 v[19:22], v8
	v_add_nc_u32_e32 v7, 1, v7
	v_add_nc_u32_e32 v8, 16, v8
	;; [unrolled: 1-line block ×3, first 2 shown]
	s_delay_alu instid0(VALU_DEP_3) | instskip(SKIP_4) | instid1(VALU_DEP_2)
	v_cmp_lt_u32_e32 vcc_lo, 41, v7
	s_or_b32 s3, vcc_lo, s3
	s_waitcnt vmcnt(0) lgkmcnt(0)
	v_mul_f64 v[10:11], v[21:22], v[17:18]
	v_mul_f64 v[17:18], v[19:20], v[17:18]
	v_fma_f64 v[10:11], v[19:20], v[15:16], -v[10:11]
	s_delay_alu instid0(VALU_DEP_2) | instskip(NEXT) | instid1(VALU_DEP_2)
	v_fma_f64 v[15:16], v[21:22], v[15:16], v[17:18]
	v_add_f64 v[3:4], v[3:4], v[10:11]
	s_delay_alu instid0(VALU_DEP_2)
	v_add_f64 v[1:2], v[1:2], v[15:16]
	s_and_not1_b32 exec_lo, exec_lo, s3
	s_cbranch_execnz .LBB55_185
; %bb.186:
	s_or_b32 exec_lo, exec_lo, s3
	v_mov_b32_e32 v7, 0
	ds_load_b128 v[7:10], v7 offset:688
	s_waitcnt lgkmcnt(0)
	v_mul_f64 v[11:12], v[1:2], v[9:10]
	v_mul_f64 v[15:16], v[3:4], v[9:10]
	s_delay_alu instid0(VALU_DEP_2) | instskip(NEXT) | instid1(VALU_DEP_2)
	v_fma_f64 v[9:10], v[3:4], v[7:8], -v[11:12]
	v_fma_f64 v[11:12], v[1:2], v[7:8], v[15:16]
	scratch_store_b128 off, v[9:12], off offset:688
.LBB55_187:
	s_or_b32 exec_lo, exec_lo, s2
	s_waitcnt_vscnt null, 0x0
	s_barrier
	buffer_gl0_inv
	scratch_load_b128 v[1:4], v27, off
	s_mov_b32 s2, exec_lo
	s_waitcnt vmcnt(0)
	ds_store_b128 v5, v[1:4]
	s_waitcnt lgkmcnt(0)
	s_barrier
	buffer_gl0_inv
	v_cmpx_gt_u32_e32 44, v154
	s_cbranch_execz .LBB55_191
; %bb.188:
	v_dual_mov_b32 v1, 0 :: v_dual_add_nc_u32 v8, 0x380, v13
	v_dual_mov_b32 v2, 0 :: v_dual_add_nc_u32 v7, -1, v154
	v_or_b32_e32 v9, 8, v14
	s_mov_b32 s3, 0
	s_delay_alu instid0(VALU_DEP_2)
	v_dual_mov_b32 v4, v2 :: v_dual_mov_b32 v3, v1
	.p2align	6
.LBB55_189:                             ; =>This Inner Loop Header: Depth=1
	scratch_load_b128 v[15:18], v9, off offset:-8
	ds_load_b128 v[19:22], v8
	v_add_nc_u32_e32 v7, 1, v7
	v_add_nc_u32_e32 v8, 16, v8
	;; [unrolled: 1-line block ×3, first 2 shown]
	s_delay_alu instid0(VALU_DEP_3) | instskip(SKIP_4) | instid1(VALU_DEP_2)
	v_cmp_lt_u32_e32 vcc_lo, 42, v7
	s_or_b32 s3, vcc_lo, s3
	s_waitcnt vmcnt(0) lgkmcnt(0)
	v_mul_f64 v[10:11], v[21:22], v[17:18]
	v_mul_f64 v[17:18], v[19:20], v[17:18]
	v_fma_f64 v[10:11], v[19:20], v[15:16], -v[10:11]
	s_delay_alu instid0(VALU_DEP_2) | instskip(NEXT) | instid1(VALU_DEP_2)
	v_fma_f64 v[15:16], v[21:22], v[15:16], v[17:18]
	v_add_f64 v[3:4], v[3:4], v[10:11]
	s_delay_alu instid0(VALU_DEP_2)
	v_add_f64 v[1:2], v[1:2], v[15:16]
	s_and_not1_b32 exec_lo, exec_lo, s3
	s_cbranch_execnz .LBB55_189
; %bb.190:
	s_or_b32 exec_lo, exec_lo, s3
	v_mov_b32_e32 v7, 0
	ds_load_b128 v[7:10], v7 offset:704
	s_waitcnt lgkmcnt(0)
	v_mul_f64 v[11:12], v[1:2], v[9:10]
	v_mul_f64 v[15:16], v[3:4], v[9:10]
	s_delay_alu instid0(VALU_DEP_2) | instskip(NEXT) | instid1(VALU_DEP_2)
	v_fma_f64 v[9:10], v[3:4], v[7:8], -v[11:12]
	v_fma_f64 v[11:12], v[1:2], v[7:8], v[15:16]
	scratch_store_b128 off, v[9:12], off offset:704
.LBB55_191:
	s_or_b32 exec_lo, exec_lo, s2
	s_waitcnt_vscnt null, 0x0
	s_barrier
	buffer_gl0_inv
	scratch_load_b128 v[1:4], v26, off
	s_mov_b32 s2, exec_lo
	s_waitcnt vmcnt(0)
	ds_store_b128 v5, v[1:4]
	s_waitcnt lgkmcnt(0)
	s_barrier
	buffer_gl0_inv
	v_cmpx_gt_u32_e32 45, v154
	s_cbranch_execz .LBB55_195
; %bb.192:
	v_dual_mov_b32 v1, 0 :: v_dual_add_nc_u32 v8, 0x380, v13
	v_dual_mov_b32 v2, 0 :: v_dual_add_nc_u32 v7, -1, v154
	v_or_b32_e32 v9, 8, v14
	s_mov_b32 s3, 0
	s_delay_alu instid0(VALU_DEP_2)
	v_dual_mov_b32 v4, v2 :: v_dual_mov_b32 v3, v1
	.p2align	6
.LBB55_193:                             ; =>This Inner Loop Header: Depth=1
	scratch_load_b128 v[15:18], v9, off offset:-8
	ds_load_b128 v[19:22], v8
	v_add_nc_u32_e32 v7, 1, v7
	v_add_nc_u32_e32 v8, 16, v8
	;; [unrolled: 1-line block ×3, first 2 shown]
	s_delay_alu instid0(VALU_DEP_3) | instskip(SKIP_4) | instid1(VALU_DEP_2)
	v_cmp_lt_u32_e32 vcc_lo, 43, v7
	s_or_b32 s3, vcc_lo, s3
	s_waitcnt vmcnt(0) lgkmcnt(0)
	v_mul_f64 v[10:11], v[21:22], v[17:18]
	v_mul_f64 v[17:18], v[19:20], v[17:18]
	v_fma_f64 v[10:11], v[19:20], v[15:16], -v[10:11]
	s_delay_alu instid0(VALU_DEP_2) | instskip(NEXT) | instid1(VALU_DEP_2)
	v_fma_f64 v[15:16], v[21:22], v[15:16], v[17:18]
	v_add_f64 v[3:4], v[3:4], v[10:11]
	s_delay_alu instid0(VALU_DEP_2)
	v_add_f64 v[1:2], v[1:2], v[15:16]
	s_and_not1_b32 exec_lo, exec_lo, s3
	s_cbranch_execnz .LBB55_193
; %bb.194:
	s_or_b32 exec_lo, exec_lo, s3
	v_mov_b32_e32 v7, 0
	ds_load_b128 v[7:10], v7 offset:720
	s_waitcnt lgkmcnt(0)
	v_mul_f64 v[11:12], v[1:2], v[9:10]
	v_mul_f64 v[15:16], v[3:4], v[9:10]
	s_delay_alu instid0(VALU_DEP_2) | instskip(NEXT) | instid1(VALU_DEP_2)
	v_fma_f64 v[9:10], v[3:4], v[7:8], -v[11:12]
	v_fma_f64 v[11:12], v[1:2], v[7:8], v[15:16]
	scratch_store_b128 off, v[9:12], off offset:720
.LBB55_195:
	s_or_b32 exec_lo, exec_lo, s2
	s_waitcnt_vscnt null, 0x0
	s_barrier
	buffer_gl0_inv
	scratch_load_b128 v[1:4], v24, off
	s_mov_b32 s2, exec_lo
	s_waitcnt vmcnt(0)
	ds_store_b128 v5, v[1:4]
	s_waitcnt lgkmcnt(0)
	s_barrier
	buffer_gl0_inv
	v_cmpx_gt_u32_e32 46, v154
	s_cbranch_execz .LBB55_199
; %bb.196:
	v_dual_mov_b32 v1, 0 :: v_dual_add_nc_u32 v8, 0x380, v13
	v_dual_mov_b32 v2, 0 :: v_dual_add_nc_u32 v7, -1, v154
	v_or_b32_e32 v9, 8, v14
	s_mov_b32 s3, 0
	s_delay_alu instid0(VALU_DEP_2)
	v_dual_mov_b32 v4, v2 :: v_dual_mov_b32 v3, v1
	.p2align	6
.LBB55_197:                             ; =>This Inner Loop Header: Depth=1
	scratch_load_b128 v[15:18], v9, off offset:-8
	ds_load_b128 v[19:22], v8
	v_add_nc_u32_e32 v7, 1, v7
	v_add_nc_u32_e32 v8, 16, v8
	;; [unrolled: 1-line block ×3, first 2 shown]
	s_delay_alu instid0(VALU_DEP_3) | instskip(SKIP_4) | instid1(VALU_DEP_2)
	v_cmp_lt_u32_e32 vcc_lo, 44, v7
	s_or_b32 s3, vcc_lo, s3
	s_waitcnt vmcnt(0) lgkmcnt(0)
	v_mul_f64 v[10:11], v[21:22], v[17:18]
	v_mul_f64 v[17:18], v[19:20], v[17:18]
	v_fma_f64 v[10:11], v[19:20], v[15:16], -v[10:11]
	s_delay_alu instid0(VALU_DEP_2) | instskip(NEXT) | instid1(VALU_DEP_2)
	v_fma_f64 v[15:16], v[21:22], v[15:16], v[17:18]
	v_add_f64 v[3:4], v[3:4], v[10:11]
	s_delay_alu instid0(VALU_DEP_2)
	v_add_f64 v[1:2], v[1:2], v[15:16]
	s_and_not1_b32 exec_lo, exec_lo, s3
	s_cbranch_execnz .LBB55_197
; %bb.198:
	s_or_b32 exec_lo, exec_lo, s3
	v_mov_b32_e32 v7, 0
	ds_load_b128 v[7:10], v7 offset:736
	s_waitcnt lgkmcnt(0)
	v_mul_f64 v[11:12], v[1:2], v[9:10]
	v_mul_f64 v[15:16], v[3:4], v[9:10]
	s_delay_alu instid0(VALU_DEP_2) | instskip(NEXT) | instid1(VALU_DEP_2)
	v_fma_f64 v[9:10], v[3:4], v[7:8], -v[11:12]
	v_fma_f64 v[11:12], v[1:2], v[7:8], v[15:16]
	scratch_store_b128 off, v[9:12], off offset:736
.LBB55_199:
	s_or_b32 exec_lo, exec_lo, s2
	s_waitcnt_vscnt null, 0x0
	s_barrier
	buffer_gl0_inv
	scratch_load_b128 v[1:4], v25, off
	s_mov_b32 s2, exec_lo
	s_waitcnt vmcnt(0)
	ds_store_b128 v5, v[1:4]
	s_waitcnt lgkmcnt(0)
	s_barrier
	buffer_gl0_inv
	v_cmpx_gt_u32_e32 47, v154
	s_cbranch_execz .LBB55_203
; %bb.200:
	v_dual_mov_b32 v1, 0 :: v_dual_add_nc_u32 v8, 0x380, v13
	v_dual_mov_b32 v2, 0 :: v_dual_add_nc_u32 v7, -1, v154
	v_or_b32_e32 v9, 8, v14
	s_mov_b32 s3, 0
	s_delay_alu instid0(VALU_DEP_2)
	v_dual_mov_b32 v4, v2 :: v_dual_mov_b32 v3, v1
	.p2align	6
.LBB55_201:                             ; =>This Inner Loop Header: Depth=1
	scratch_load_b128 v[15:18], v9, off offset:-8
	ds_load_b128 v[19:22], v8
	v_add_nc_u32_e32 v7, 1, v7
	v_add_nc_u32_e32 v8, 16, v8
	;; [unrolled: 1-line block ×3, first 2 shown]
	s_delay_alu instid0(VALU_DEP_3) | instskip(SKIP_4) | instid1(VALU_DEP_2)
	v_cmp_lt_u32_e32 vcc_lo, 45, v7
	s_or_b32 s3, vcc_lo, s3
	s_waitcnt vmcnt(0) lgkmcnt(0)
	v_mul_f64 v[10:11], v[21:22], v[17:18]
	v_mul_f64 v[17:18], v[19:20], v[17:18]
	v_fma_f64 v[10:11], v[19:20], v[15:16], -v[10:11]
	s_delay_alu instid0(VALU_DEP_2) | instskip(NEXT) | instid1(VALU_DEP_2)
	v_fma_f64 v[15:16], v[21:22], v[15:16], v[17:18]
	v_add_f64 v[3:4], v[3:4], v[10:11]
	s_delay_alu instid0(VALU_DEP_2)
	v_add_f64 v[1:2], v[1:2], v[15:16]
	s_and_not1_b32 exec_lo, exec_lo, s3
	s_cbranch_execnz .LBB55_201
; %bb.202:
	s_or_b32 exec_lo, exec_lo, s3
	v_mov_b32_e32 v7, 0
	ds_load_b128 v[7:10], v7 offset:752
	s_waitcnt lgkmcnt(0)
	v_mul_f64 v[11:12], v[1:2], v[9:10]
	v_mul_f64 v[15:16], v[3:4], v[9:10]
	s_delay_alu instid0(VALU_DEP_2) | instskip(NEXT) | instid1(VALU_DEP_2)
	v_fma_f64 v[9:10], v[3:4], v[7:8], -v[11:12]
	v_fma_f64 v[11:12], v[1:2], v[7:8], v[15:16]
	scratch_store_b128 off, v[9:12], off offset:752
.LBB55_203:
	s_or_b32 exec_lo, exec_lo, s2
	s_waitcnt_vscnt null, 0x0
	s_barrier
	buffer_gl0_inv
	scratch_load_b128 v[1:4], v23, off
	s_mov_b32 s2, exec_lo
	s_waitcnt vmcnt(0)
	ds_store_b128 v5, v[1:4]
	s_waitcnt lgkmcnt(0)
	s_barrier
	buffer_gl0_inv
	v_cmpx_gt_u32_e32 48, v154
	s_cbranch_execz .LBB55_207
; %bb.204:
	v_dual_mov_b32 v1, 0 :: v_dual_add_nc_u32 v8, 0x380, v13
	v_dual_mov_b32 v2, 0 :: v_dual_add_nc_u32 v7, -1, v154
	v_or_b32_e32 v9, 8, v14
	s_mov_b32 s3, 0
	s_delay_alu instid0(VALU_DEP_2)
	v_dual_mov_b32 v4, v2 :: v_dual_mov_b32 v3, v1
	.p2align	6
.LBB55_205:                             ; =>This Inner Loop Header: Depth=1
	scratch_load_b128 v[15:18], v9, off offset:-8
	ds_load_b128 v[19:22], v8
	v_add_nc_u32_e32 v7, 1, v7
	v_add_nc_u32_e32 v8, 16, v8
	;; [unrolled: 1-line block ×3, first 2 shown]
	s_delay_alu instid0(VALU_DEP_3) | instskip(SKIP_4) | instid1(VALU_DEP_2)
	v_cmp_lt_u32_e32 vcc_lo, 46, v7
	s_or_b32 s3, vcc_lo, s3
	s_waitcnt vmcnt(0) lgkmcnt(0)
	v_mul_f64 v[10:11], v[21:22], v[17:18]
	v_mul_f64 v[17:18], v[19:20], v[17:18]
	v_fma_f64 v[10:11], v[19:20], v[15:16], -v[10:11]
	s_delay_alu instid0(VALU_DEP_2) | instskip(NEXT) | instid1(VALU_DEP_2)
	v_fma_f64 v[15:16], v[21:22], v[15:16], v[17:18]
	v_add_f64 v[3:4], v[3:4], v[10:11]
	s_delay_alu instid0(VALU_DEP_2)
	v_add_f64 v[1:2], v[1:2], v[15:16]
	s_and_not1_b32 exec_lo, exec_lo, s3
	s_cbranch_execnz .LBB55_205
; %bb.206:
	s_or_b32 exec_lo, exec_lo, s3
	v_mov_b32_e32 v7, 0
	ds_load_b128 v[7:10], v7 offset:768
	s_waitcnt lgkmcnt(0)
	v_mul_f64 v[11:12], v[1:2], v[9:10]
	v_mul_f64 v[15:16], v[3:4], v[9:10]
	s_delay_alu instid0(VALU_DEP_2) | instskip(NEXT) | instid1(VALU_DEP_2)
	v_fma_f64 v[9:10], v[3:4], v[7:8], -v[11:12]
	v_fma_f64 v[11:12], v[1:2], v[7:8], v[15:16]
	scratch_store_b128 off, v[9:12], off offset:768
.LBB55_207:
	s_or_b32 exec_lo, exec_lo, s2
	s_waitcnt_vscnt null, 0x0
	s_barrier
	buffer_gl0_inv
	scratch_load_b128 v[1:4], v166, off
	s_mov_b32 s2, exec_lo
	s_waitcnt vmcnt(0)
	ds_store_b128 v5, v[1:4]
	s_waitcnt lgkmcnt(0)
	s_barrier
	buffer_gl0_inv
	v_cmpx_gt_u32_e32 49, v154
	s_cbranch_execz .LBB55_211
; %bb.208:
	v_dual_mov_b32 v1, 0 :: v_dual_add_nc_u32 v8, 0x380, v13
	v_dual_mov_b32 v2, 0 :: v_dual_add_nc_u32 v7, -1, v154
	v_or_b32_e32 v9, 8, v14
	s_mov_b32 s3, 0
	s_delay_alu instid0(VALU_DEP_2)
	v_dual_mov_b32 v4, v2 :: v_dual_mov_b32 v3, v1
	.p2align	6
.LBB55_209:                             ; =>This Inner Loop Header: Depth=1
	scratch_load_b128 v[15:18], v9, off offset:-8
	ds_load_b128 v[19:22], v8
	v_add_nc_u32_e32 v7, 1, v7
	v_add_nc_u32_e32 v8, 16, v8
	;; [unrolled: 1-line block ×3, first 2 shown]
	s_delay_alu instid0(VALU_DEP_3) | instskip(SKIP_4) | instid1(VALU_DEP_2)
	v_cmp_lt_u32_e32 vcc_lo, 47, v7
	s_or_b32 s3, vcc_lo, s3
	s_waitcnt vmcnt(0) lgkmcnt(0)
	v_mul_f64 v[10:11], v[21:22], v[17:18]
	v_mul_f64 v[17:18], v[19:20], v[17:18]
	v_fma_f64 v[10:11], v[19:20], v[15:16], -v[10:11]
	s_delay_alu instid0(VALU_DEP_2) | instskip(NEXT) | instid1(VALU_DEP_2)
	v_fma_f64 v[15:16], v[21:22], v[15:16], v[17:18]
	v_add_f64 v[3:4], v[3:4], v[10:11]
	s_delay_alu instid0(VALU_DEP_2)
	v_add_f64 v[1:2], v[1:2], v[15:16]
	s_and_not1_b32 exec_lo, exec_lo, s3
	s_cbranch_execnz .LBB55_209
; %bb.210:
	s_or_b32 exec_lo, exec_lo, s3
	v_mov_b32_e32 v7, 0
	ds_load_b128 v[7:10], v7 offset:784
	s_waitcnt lgkmcnt(0)
	v_mul_f64 v[11:12], v[1:2], v[9:10]
	v_mul_f64 v[15:16], v[3:4], v[9:10]
	s_delay_alu instid0(VALU_DEP_2) | instskip(NEXT) | instid1(VALU_DEP_2)
	v_fma_f64 v[9:10], v[3:4], v[7:8], -v[11:12]
	v_fma_f64 v[11:12], v[1:2], v[7:8], v[15:16]
	scratch_store_b128 off, v[9:12], off offset:784
.LBB55_211:
	s_or_b32 exec_lo, exec_lo, s2
	s_waitcnt_vscnt null, 0x0
	s_barrier
	buffer_gl0_inv
	scratch_load_b128 v[1:4], v165, off
	s_mov_b32 s2, exec_lo
	s_waitcnt vmcnt(0)
	ds_store_b128 v5, v[1:4]
	s_waitcnt lgkmcnt(0)
	s_barrier
	buffer_gl0_inv
	v_cmpx_gt_u32_e32 50, v154
	s_cbranch_execz .LBB55_215
; %bb.212:
	v_dual_mov_b32 v1, 0 :: v_dual_add_nc_u32 v8, 0x380, v13
	v_dual_mov_b32 v2, 0 :: v_dual_add_nc_u32 v7, -1, v154
	v_or_b32_e32 v9, 8, v14
	s_mov_b32 s3, 0
	s_delay_alu instid0(VALU_DEP_2)
	v_dual_mov_b32 v4, v2 :: v_dual_mov_b32 v3, v1
	.p2align	6
.LBB55_213:                             ; =>This Inner Loop Header: Depth=1
	scratch_load_b128 v[15:18], v9, off offset:-8
	ds_load_b128 v[19:22], v8
	v_add_nc_u32_e32 v7, 1, v7
	v_add_nc_u32_e32 v8, 16, v8
	;; [unrolled: 1-line block ×3, first 2 shown]
	s_delay_alu instid0(VALU_DEP_3) | instskip(SKIP_4) | instid1(VALU_DEP_2)
	v_cmp_lt_u32_e32 vcc_lo, 48, v7
	s_or_b32 s3, vcc_lo, s3
	s_waitcnt vmcnt(0) lgkmcnt(0)
	v_mul_f64 v[10:11], v[21:22], v[17:18]
	v_mul_f64 v[17:18], v[19:20], v[17:18]
	v_fma_f64 v[10:11], v[19:20], v[15:16], -v[10:11]
	s_delay_alu instid0(VALU_DEP_2) | instskip(NEXT) | instid1(VALU_DEP_2)
	v_fma_f64 v[15:16], v[21:22], v[15:16], v[17:18]
	v_add_f64 v[3:4], v[3:4], v[10:11]
	s_delay_alu instid0(VALU_DEP_2)
	v_add_f64 v[1:2], v[1:2], v[15:16]
	s_and_not1_b32 exec_lo, exec_lo, s3
	s_cbranch_execnz .LBB55_213
; %bb.214:
	s_or_b32 exec_lo, exec_lo, s3
	v_mov_b32_e32 v7, 0
	ds_load_b128 v[7:10], v7 offset:800
	s_waitcnt lgkmcnt(0)
	v_mul_f64 v[11:12], v[1:2], v[9:10]
	v_mul_f64 v[15:16], v[3:4], v[9:10]
	s_delay_alu instid0(VALU_DEP_2) | instskip(NEXT) | instid1(VALU_DEP_2)
	v_fma_f64 v[9:10], v[3:4], v[7:8], -v[11:12]
	v_fma_f64 v[11:12], v[1:2], v[7:8], v[15:16]
	scratch_store_b128 off, v[9:12], off offset:800
.LBB55_215:
	s_or_b32 exec_lo, exec_lo, s2
	s_waitcnt_vscnt null, 0x0
	s_barrier
	buffer_gl0_inv
	scratch_load_b128 v[1:4], v164, off
	s_mov_b32 s2, exec_lo
	s_waitcnt vmcnt(0)
	ds_store_b128 v5, v[1:4]
	s_waitcnt lgkmcnt(0)
	s_barrier
	buffer_gl0_inv
	v_cmpx_gt_u32_e32 51, v154
	s_cbranch_execz .LBB55_219
; %bb.216:
	v_dual_mov_b32 v1, 0 :: v_dual_add_nc_u32 v8, 0x380, v13
	v_dual_mov_b32 v2, 0 :: v_dual_add_nc_u32 v7, -1, v154
	v_or_b32_e32 v9, 8, v14
	s_mov_b32 s3, 0
	s_delay_alu instid0(VALU_DEP_2)
	v_dual_mov_b32 v4, v2 :: v_dual_mov_b32 v3, v1
	.p2align	6
.LBB55_217:                             ; =>This Inner Loop Header: Depth=1
	scratch_load_b128 v[15:18], v9, off offset:-8
	ds_load_b128 v[19:22], v8
	v_add_nc_u32_e32 v7, 1, v7
	v_add_nc_u32_e32 v8, 16, v8
	;; [unrolled: 1-line block ×3, first 2 shown]
	s_delay_alu instid0(VALU_DEP_3) | instskip(SKIP_4) | instid1(VALU_DEP_2)
	v_cmp_lt_u32_e32 vcc_lo, 49, v7
	s_or_b32 s3, vcc_lo, s3
	s_waitcnt vmcnt(0) lgkmcnt(0)
	v_mul_f64 v[10:11], v[21:22], v[17:18]
	v_mul_f64 v[17:18], v[19:20], v[17:18]
	v_fma_f64 v[10:11], v[19:20], v[15:16], -v[10:11]
	s_delay_alu instid0(VALU_DEP_2) | instskip(NEXT) | instid1(VALU_DEP_2)
	v_fma_f64 v[15:16], v[21:22], v[15:16], v[17:18]
	v_add_f64 v[3:4], v[3:4], v[10:11]
	s_delay_alu instid0(VALU_DEP_2)
	v_add_f64 v[1:2], v[1:2], v[15:16]
	s_and_not1_b32 exec_lo, exec_lo, s3
	s_cbranch_execnz .LBB55_217
; %bb.218:
	s_or_b32 exec_lo, exec_lo, s3
	v_mov_b32_e32 v7, 0
	ds_load_b128 v[7:10], v7 offset:816
	s_waitcnt lgkmcnt(0)
	v_mul_f64 v[11:12], v[1:2], v[9:10]
	v_mul_f64 v[15:16], v[3:4], v[9:10]
	s_delay_alu instid0(VALU_DEP_2) | instskip(NEXT) | instid1(VALU_DEP_2)
	v_fma_f64 v[9:10], v[3:4], v[7:8], -v[11:12]
	v_fma_f64 v[11:12], v[1:2], v[7:8], v[15:16]
	scratch_store_b128 off, v[9:12], off offset:816
.LBB55_219:
	s_or_b32 exec_lo, exec_lo, s2
	s_waitcnt_vscnt null, 0x0
	s_barrier
	buffer_gl0_inv
	scratch_load_b128 v[1:4], v163, off
	s_mov_b32 s2, exec_lo
	s_waitcnt vmcnt(0)
	ds_store_b128 v5, v[1:4]
	s_waitcnt lgkmcnt(0)
	s_barrier
	buffer_gl0_inv
	v_cmpx_gt_u32_e32 52, v154
	s_cbranch_execz .LBB55_223
; %bb.220:
	v_dual_mov_b32 v1, 0 :: v_dual_add_nc_u32 v8, 0x380, v13
	v_dual_mov_b32 v2, 0 :: v_dual_add_nc_u32 v7, -1, v154
	v_or_b32_e32 v9, 8, v14
	s_mov_b32 s3, 0
	s_delay_alu instid0(VALU_DEP_2)
	v_dual_mov_b32 v4, v2 :: v_dual_mov_b32 v3, v1
	.p2align	6
.LBB55_221:                             ; =>This Inner Loop Header: Depth=1
	scratch_load_b128 v[15:18], v9, off offset:-8
	ds_load_b128 v[19:22], v8
	v_add_nc_u32_e32 v7, 1, v7
	v_add_nc_u32_e32 v8, 16, v8
	;; [unrolled: 1-line block ×3, first 2 shown]
	s_delay_alu instid0(VALU_DEP_3) | instskip(SKIP_4) | instid1(VALU_DEP_2)
	v_cmp_lt_u32_e32 vcc_lo, 50, v7
	s_or_b32 s3, vcc_lo, s3
	s_waitcnt vmcnt(0) lgkmcnt(0)
	v_mul_f64 v[10:11], v[21:22], v[17:18]
	v_mul_f64 v[17:18], v[19:20], v[17:18]
	v_fma_f64 v[10:11], v[19:20], v[15:16], -v[10:11]
	s_delay_alu instid0(VALU_DEP_2) | instskip(NEXT) | instid1(VALU_DEP_2)
	v_fma_f64 v[15:16], v[21:22], v[15:16], v[17:18]
	v_add_f64 v[3:4], v[3:4], v[10:11]
	s_delay_alu instid0(VALU_DEP_2)
	v_add_f64 v[1:2], v[1:2], v[15:16]
	s_and_not1_b32 exec_lo, exec_lo, s3
	s_cbranch_execnz .LBB55_221
; %bb.222:
	s_or_b32 exec_lo, exec_lo, s3
	v_mov_b32_e32 v7, 0
	ds_load_b128 v[7:10], v7 offset:832
	s_waitcnt lgkmcnt(0)
	v_mul_f64 v[11:12], v[1:2], v[9:10]
	v_mul_f64 v[15:16], v[3:4], v[9:10]
	s_delay_alu instid0(VALU_DEP_2) | instskip(NEXT) | instid1(VALU_DEP_2)
	v_fma_f64 v[9:10], v[3:4], v[7:8], -v[11:12]
	v_fma_f64 v[11:12], v[1:2], v[7:8], v[15:16]
	scratch_store_b128 off, v[9:12], off offset:832
.LBB55_223:
	s_or_b32 exec_lo, exec_lo, s2
	s_waitcnt_vscnt null, 0x0
	s_barrier
	buffer_gl0_inv
	scratch_load_b128 v[1:4], v162, off
	s_mov_b32 s2, exec_lo
	s_waitcnt vmcnt(0)
	ds_store_b128 v5, v[1:4]
	s_waitcnt lgkmcnt(0)
	s_barrier
	buffer_gl0_inv
	v_cmpx_gt_u32_e32 53, v154
	s_cbranch_execz .LBB55_227
; %bb.224:
	v_dual_mov_b32 v1, 0 :: v_dual_add_nc_u32 v8, 0x380, v13
	v_dual_mov_b32 v2, 0 :: v_dual_add_nc_u32 v7, -1, v154
	v_or_b32_e32 v9, 8, v14
	s_mov_b32 s3, 0
	s_delay_alu instid0(VALU_DEP_2)
	v_dual_mov_b32 v4, v2 :: v_dual_mov_b32 v3, v1
	.p2align	6
.LBB55_225:                             ; =>This Inner Loop Header: Depth=1
	scratch_load_b128 v[15:18], v9, off offset:-8
	ds_load_b128 v[19:22], v8
	v_add_nc_u32_e32 v7, 1, v7
	v_add_nc_u32_e32 v8, 16, v8
	v_add_nc_u32_e32 v9, 16, v9
	s_delay_alu instid0(VALU_DEP_3) | instskip(SKIP_4) | instid1(VALU_DEP_2)
	v_cmp_lt_u32_e32 vcc_lo, 51, v7
	s_or_b32 s3, vcc_lo, s3
	s_waitcnt vmcnt(0) lgkmcnt(0)
	v_mul_f64 v[10:11], v[21:22], v[17:18]
	v_mul_f64 v[17:18], v[19:20], v[17:18]
	v_fma_f64 v[10:11], v[19:20], v[15:16], -v[10:11]
	s_delay_alu instid0(VALU_DEP_2) | instskip(NEXT) | instid1(VALU_DEP_2)
	v_fma_f64 v[15:16], v[21:22], v[15:16], v[17:18]
	v_add_f64 v[3:4], v[3:4], v[10:11]
	s_delay_alu instid0(VALU_DEP_2)
	v_add_f64 v[1:2], v[1:2], v[15:16]
	s_and_not1_b32 exec_lo, exec_lo, s3
	s_cbranch_execnz .LBB55_225
; %bb.226:
	s_or_b32 exec_lo, exec_lo, s3
	v_mov_b32_e32 v7, 0
	ds_load_b128 v[7:10], v7 offset:848
	s_waitcnt lgkmcnt(0)
	v_mul_f64 v[11:12], v[1:2], v[9:10]
	v_mul_f64 v[15:16], v[3:4], v[9:10]
	s_delay_alu instid0(VALU_DEP_2) | instskip(NEXT) | instid1(VALU_DEP_2)
	v_fma_f64 v[9:10], v[3:4], v[7:8], -v[11:12]
	v_fma_f64 v[11:12], v[1:2], v[7:8], v[15:16]
	scratch_store_b128 off, v[9:12], off offset:848
.LBB55_227:
	s_or_b32 exec_lo, exec_lo, s2
	s_waitcnt_vscnt null, 0x0
	s_barrier
	buffer_gl0_inv
	scratch_load_b128 v[1:4], v155, off
	s_mov_b32 s2, exec_lo
	s_waitcnt vmcnt(0)
	ds_store_b128 v5, v[1:4]
	s_waitcnt lgkmcnt(0)
	s_barrier
	buffer_gl0_inv
	v_cmpx_gt_u32_e32 54, v154
	s_cbranch_execz .LBB55_231
; %bb.228:
	v_dual_mov_b32 v1, 0 :: v_dual_add_nc_u32 v8, 0x380, v13
	v_dual_mov_b32 v2, 0 :: v_dual_add_nc_u32 v7, -1, v154
	v_or_b32_e32 v9, 8, v14
	s_mov_b32 s3, 0
	s_delay_alu instid0(VALU_DEP_2)
	v_dual_mov_b32 v4, v2 :: v_dual_mov_b32 v3, v1
	.p2align	6
.LBB55_229:                             ; =>This Inner Loop Header: Depth=1
	scratch_load_b128 v[10:13], v9, off offset:-8
	ds_load_b128 v[15:18], v8
	v_add_nc_u32_e32 v7, 1, v7
	v_add_nc_u32_e32 v8, 16, v8
	;; [unrolled: 1-line block ×3, first 2 shown]
	s_delay_alu instid0(VALU_DEP_3) | instskip(SKIP_4) | instid1(VALU_DEP_2)
	v_cmp_lt_u32_e32 vcc_lo, 52, v7
	s_or_b32 s3, vcc_lo, s3
	s_waitcnt vmcnt(0) lgkmcnt(0)
	v_mul_f64 v[19:20], v[17:18], v[12:13]
	v_mul_f64 v[12:13], v[15:16], v[12:13]
	v_fma_f64 v[15:16], v[15:16], v[10:11], -v[19:20]
	s_delay_alu instid0(VALU_DEP_2) | instskip(NEXT) | instid1(VALU_DEP_2)
	v_fma_f64 v[10:11], v[17:18], v[10:11], v[12:13]
	v_add_f64 v[3:4], v[3:4], v[15:16]
	s_delay_alu instid0(VALU_DEP_2)
	v_add_f64 v[1:2], v[1:2], v[10:11]
	s_and_not1_b32 exec_lo, exec_lo, s3
	s_cbranch_execnz .LBB55_229
; %bb.230:
	s_or_b32 exec_lo, exec_lo, s3
	v_mov_b32_e32 v7, 0
	ds_load_b128 v[7:10], v7 offset:864
	s_waitcnt lgkmcnt(0)
	v_mul_f64 v[11:12], v[1:2], v[9:10]
	v_mul_f64 v[15:16], v[3:4], v[9:10]
	s_delay_alu instid0(VALU_DEP_2) | instskip(NEXT) | instid1(VALU_DEP_2)
	v_fma_f64 v[9:10], v[3:4], v[7:8], -v[11:12]
	v_fma_f64 v[11:12], v[1:2], v[7:8], v[15:16]
	scratch_store_b128 off, v[9:12], off offset:864
.LBB55_231:
	s_or_b32 exec_lo, exec_lo, s2
	s_waitcnt_vscnt null, 0x0
	s_barrier
	buffer_gl0_inv
	scratch_load_b128 v[1:4], v158, off
	s_mov_b32 s2, exec_lo
	s_waitcnt vmcnt(0)
	ds_store_b128 v5, v[1:4]
	s_waitcnt lgkmcnt(0)
	s_barrier
	buffer_gl0_inv
	v_cmpx_ne_u32_e32 55, v154
	s_cbranch_execz .LBB55_235
; %bb.232:
	v_mov_b32_e32 v1, 0
	v_mov_b32_e32 v2, 0
	v_or_b32_e32 v7, 8, v14
	s_mov_b32 s3, 0
	s_delay_alu instid0(VALU_DEP_2)
	v_dual_mov_b32 v4, v2 :: v_dual_mov_b32 v3, v1
	.p2align	6
.LBB55_233:                             ; =>This Inner Loop Header: Depth=1
	scratch_load_b128 v[8:11], v7, off offset:-8
	ds_load_b128 v[12:15], v5
	v_add_nc_u32_e32 v6, 1, v6
	v_add_nc_u32_e32 v5, 16, v5
	;; [unrolled: 1-line block ×3, first 2 shown]
	s_delay_alu instid0(VALU_DEP_3) | instskip(SKIP_4) | instid1(VALU_DEP_2)
	v_cmp_lt_u32_e32 vcc_lo, 53, v6
	s_or_b32 s3, vcc_lo, s3
	s_waitcnt vmcnt(0) lgkmcnt(0)
	v_mul_f64 v[16:17], v[14:15], v[10:11]
	v_mul_f64 v[10:11], v[12:13], v[10:11]
	v_fma_f64 v[12:13], v[12:13], v[8:9], -v[16:17]
	s_delay_alu instid0(VALU_DEP_2) | instskip(NEXT) | instid1(VALU_DEP_2)
	v_fma_f64 v[8:9], v[14:15], v[8:9], v[10:11]
	v_add_f64 v[3:4], v[3:4], v[12:13]
	s_delay_alu instid0(VALU_DEP_2)
	v_add_f64 v[1:2], v[1:2], v[8:9]
	s_and_not1_b32 exec_lo, exec_lo, s3
	s_cbranch_execnz .LBB55_233
; %bb.234:
	s_or_b32 exec_lo, exec_lo, s3
	v_mov_b32_e32 v5, 0
	ds_load_b128 v[5:8], v5 offset:880
	s_waitcnt lgkmcnt(0)
	v_mul_f64 v[9:10], v[1:2], v[7:8]
	v_mul_f64 v[7:8], v[3:4], v[7:8]
	s_delay_alu instid0(VALU_DEP_2) | instskip(NEXT) | instid1(VALU_DEP_2)
	v_fma_f64 v[3:4], v[3:4], v[5:6], -v[9:10]
	v_fma_f64 v[5:6], v[1:2], v[5:6], v[7:8]
	scratch_store_b128 off, v[3:6], off offset:880
.LBB55_235:
	s_or_b32 exec_lo, exec_lo, s2
	s_mov_b32 s3, -1
	s_waitcnt_vscnt null, 0x0
	s_barrier
	buffer_gl0_inv
.LBB55_236:
	s_and_b32 vcc_lo, exec_lo, s3
	s_cbranch_vccz .LBB55_238
; %bb.237:
	s_lshl_b64 s[2:3], s[18:19], 2
	v_mov_b32_e32 v1, 0
	s_add_u32 s2, s6, s2
	s_addc_u32 s3, s7, s3
	global_load_b32 v1, v1, s[2:3]
	s_waitcnt vmcnt(0)
	v_cmp_ne_u32_e32 vcc_lo, 0, v1
	s_cbranch_vccz .LBB55_239
.LBB55_238:
	s_endpgm
.LBB55_239:
	v_dual_mov_b32 v232, v210 :: v_dual_mov_b32 v231, v49
	v_dual_mov_b32 v230, v48 :: v_dual_mov_b32 v237, v47
	;; [unrolled: 1-line block ×6, first 2 shown]
	v_mov_b32_e32 v244, v25
	v_mov_b32_e32 v242, v23
	v_lshl_add_u32 v210, v154, 4, 0x380
	s_mov_b32 s2, exec_lo
	v_cmpx_eq_u32_e32 55, v154
	s_cbranch_execz .LBB55_241
; %bb.240:
	scratch_load_b128 v[1:4], v155, off
	v_mov_b32_e32 v5, 0
	s_delay_alu instid0(VALU_DEP_1)
	v_mov_b32_e32 v6, v5
	v_mov_b32_e32 v7, v5
	;; [unrolled: 1-line block ×3, first 2 shown]
	scratch_store_b128 off, v[5:8], off offset:864
	s_waitcnt vmcnt(0)
	ds_store_b128 v210, v[1:4]
.LBB55_241:
	s_or_b32 exec_lo, exec_lo, s2
	s_waitcnt lgkmcnt(0)
	s_waitcnt_vscnt null, 0x0
	s_barrier
	buffer_gl0_inv
	s_clause 0x1
	scratch_load_b128 v[2:5], off, off offset:880
	scratch_load_b128 v[6:9], off, off offset:864
	v_mov_b32_e32 v1, 0
	s_mov_b32 s2, exec_lo
	ds_load_b128 v[10:13], v1 offset:1776
	s_waitcnt vmcnt(1) lgkmcnt(0)
	v_mul_f64 v[14:15], v[12:13], v[4:5]
	v_mul_f64 v[4:5], v[10:11], v[4:5]
	s_delay_alu instid0(VALU_DEP_2) | instskip(NEXT) | instid1(VALU_DEP_2)
	v_fma_f64 v[10:11], v[10:11], v[2:3], -v[14:15]
	v_fma_f64 v[2:3], v[12:13], v[2:3], v[4:5]
	s_delay_alu instid0(VALU_DEP_2) | instskip(NEXT) | instid1(VALU_DEP_2)
	v_add_f64 v[4:5], v[10:11], 0
	v_add_f64 v[10:11], v[2:3], 0
	s_waitcnt vmcnt(0)
	s_delay_alu instid0(VALU_DEP_2) | instskip(NEXT) | instid1(VALU_DEP_2)
	v_add_f64 v[2:3], v[6:7], -v[4:5]
	v_add_f64 v[4:5], v[8:9], -v[10:11]
	scratch_store_b128 off, v[2:5], off offset:864
	v_cmpx_lt_u32_e32 53, v154
	s_cbranch_execz .LBB55_243
; %bb.242:
	scratch_load_b128 v[5:8], v162, off
	v_mov_b32_e32 v2, v1
	v_mov_b32_e32 v3, v1
	;; [unrolled: 1-line block ×3, first 2 shown]
	scratch_store_b128 off, v[1:4], off offset:848
	s_waitcnt vmcnt(0)
	ds_store_b128 v210, v[5:8]
.LBB55_243:
	s_or_b32 exec_lo, exec_lo, s2
	s_waitcnt lgkmcnt(0)
	s_waitcnt_vscnt null, 0x0
	s_barrier
	buffer_gl0_inv
	s_clause 0x2
	scratch_load_b128 v[2:5], off, off offset:864
	scratch_load_b128 v[6:9], off, off offset:880
	;; [unrolled: 1-line block ×3, first 2 shown]
	ds_load_b128 v[14:17], v1 offset:1760
	ds_load_b128 v[18:21], v1 offset:1776
	s_mov_b32 s2, exec_lo
	s_waitcnt vmcnt(2) lgkmcnt(1)
	v_mul_f64 v[22:23], v[16:17], v[4:5]
	v_mul_f64 v[4:5], v[14:15], v[4:5]
	s_waitcnt vmcnt(1) lgkmcnt(0)
	v_mul_f64 v[24:25], v[18:19], v[8:9]
	v_mul_f64 v[8:9], v[20:21], v[8:9]
	s_delay_alu instid0(VALU_DEP_4) | instskip(NEXT) | instid1(VALU_DEP_4)
	v_fma_f64 v[14:15], v[14:15], v[2:3], -v[22:23]
	v_fma_f64 v[1:2], v[16:17], v[2:3], v[4:5]
	s_delay_alu instid0(VALU_DEP_4) | instskip(NEXT) | instid1(VALU_DEP_4)
	v_fma_f64 v[3:4], v[20:21], v[6:7], v[24:25]
	v_fma_f64 v[5:6], v[18:19], v[6:7], -v[8:9]
	s_delay_alu instid0(VALU_DEP_4) | instskip(NEXT) | instid1(VALU_DEP_4)
	v_add_f64 v[7:8], v[14:15], 0
	v_add_f64 v[1:2], v[1:2], 0
	s_delay_alu instid0(VALU_DEP_2) | instskip(NEXT) | instid1(VALU_DEP_2)
	v_add_f64 v[5:6], v[7:8], v[5:6]
	v_add_f64 v[3:4], v[1:2], v[3:4]
	s_waitcnt vmcnt(0)
	s_delay_alu instid0(VALU_DEP_2) | instskip(NEXT) | instid1(VALU_DEP_2)
	v_add_f64 v[1:2], v[10:11], -v[5:6]
	v_add_f64 v[3:4], v[12:13], -v[3:4]
	scratch_store_b128 off, v[1:4], off offset:848
	v_cmpx_lt_u32_e32 52, v154
	s_cbranch_execz .LBB55_245
; %bb.244:
	scratch_load_b128 v[1:4], v163, off
	v_mov_b32_e32 v5, 0
	s_delay_alu instid0(VALU_DEP_1)
	v_mov_b32_e32 v6, v5
	v_mov_b32_e32 v7, v5
	;; [unrolled: 1-line block ×3, first 2 shown]
	scratch_store_b128 off, v[5:8], off offset:832
	s_waitcnt vmcnt(0)
	ds_store_b128 v210, v[1:4]
.LBB55_245:
	s_or_b32 exec_lo, exec_lo, s2
	s_waitcnt lgkmcnt(0)
	s_waitcnt_vscnt null, 0x0
	s_barrier
	buffer_gl0_inv
	s_clause 0x3
	scratch_load_b128 v[2:5], off, off offset:848
	scratch_load_b128 v[6:9], off, off offset:864
	;; [unrolled: 1-line block ×4, first 2 shown]
	v_mov_b32_e32 v1, 0
	ds_load_b128 v[18:21], v1 offset:1744
	ds_load_b128 v[22:25], v1 offset:1760
	s_mov_b32 s2, exec_lo
	s_waitcnt vmcnt(3) lgkmcnt(1)
	v_mul_f64 v[26:27], v[20:21], v[4:5]
	v_mul_f64 v[4:5], v[18:19], v[4:5]
	s_waitcnt vmcnt(2) lgkmcnt(0)
	v_mul_f64 v[28:29], v[22:23], v[8:9]
	v_mul_f64 v[8:9], v[24:25], v[8:9]
	s_delay_alu instid0(VALU_DEP_4) | instskip(NEXT) | instid1(VALU_DEP_4)
	v_fma_f64 v[18:19], v[18:19], v[2:3], -v[26:27]
	v_fma_f64 v[20:21], v[20:21], v[2:3], v[4:5]
	ds_load_b128 v[2:5], v1 offset:1776
	v_fma_f64 v[24:25], v[24:25], v[6:7], v[28:29]
	v_fma_f64 v[6:7], v[22:23], v[6:7], -v[8:9]
	s_waitcnt vmcnt(1) lgkmcnt(0)
	v_mul_f64 v[26:27], v[2:3], v[12:13]
	v_mul_f64 v[12:13], v[4:5], v[12:13]
	v_add_f64 v[8:9], v[18:19], 0
	v_add_f64 v[18:19], v[20:21], 0
	s_delay_alu instid0(VALU_DEP_4) | instskip(NEXT) | instid1(VALU_DEP_4)
	v_fma_f64 v[4:5], v[4:5], v[10:11], v[26:27]
	v_fma_f64 v[2:3], v[2:3], v[10:11], -v[12:13]
	s_delay_alu instid0(VALU_DEP_4) | instskip(NEXT) | instid1(VALU_DEP_4)
	v_add_f64 v[6:7], v[8:9], v[6:7]
	v_add_f64 v[8:9], v[18:19], v[24:25]
	s_delay_alu instid0(VALU_DEP_2) | instskip(NEXT) | instid1(VALU_DEP_2)
	v_add_f64 v[2:3], v[6:7], v[2:3]
	v_add_f64 v[4:5], v[8:9], v[4:5]
	s_waitcnt vmcnt(0)
	s_delay_alu instid0(VALU_DEP_2) | instskip(NEXT) | instid1(VALU_DEP_2)
	v_add_f64 v[2:3], v[14:15], -v[2:3]
	v_add_f64 v[4:5], v[16:17], -v[4:5]
	scratch_store_b128 off, v[2:5], off offset:832
	v_cmpx_lt_u32_e32 51, v154
	s_cbranch_execz .LBB55_247
; %bb.246:
	scratch_load_b128 v[5:8], v164, off
	v_mov_b32_e32 v2, v1
	v_mov_b32_e32 v3, v1
	;; [unrolled: 1-line block ×3, first 2 shown]
	scratch_store_b128 off, v[1:4], off offset:816
	s_waitcnt vmcnt(0)
	ds_store_b128 v210, v[5:8]
.LBB55_247:
	s_or_b32 exec_lo, exec_lo, s2
	s_waitcnt lgkmcnt(0)
	s_waitcnt_vscnt null, 0x0
	s_barrier
	buffer_gl0_inv
	s_clause 0x4
	scratch_load_b128 v[2:5], off, off offset:832
	scratch_load_b128 v[6:9], off, off offset:848
	;; [unrolled: 1-line block ×5, first 2 shown]
	ds_load_b128 v[22:25], v1 offset:1728
	ds_load_b128 v[26:29], v1 offset:1744
	s_mov_b32 s2, exec_lo
	s_waitcnt vmcnt(4) lgkmcnt(1)
	v_mul_f64 v[30:31], v[24:25], v[4:5]
	v_mul_f64 v[4:5], v[22:23], v[4:5]
	s_waitcnt vmcnt(3) lgkmcnt(0)
	v_mul_f64 v[32:33], v[26:27], v[8:9]
	v_mul_f64 v[8:9], v[28:29], v[8:9]
	s_delay_alu instid0(VALU_DEP_4) | instskip(NEXT) | instid1(VALU_DEP_4)
	v_fma_f64 v[30:31], v[22:23], v[2:3], -v[30:31]
	v_fma_f64 v[34:35], v[24:25], v[2:3], v[4:5]
	ds_load_b128 v[2:5], v1 offset:1760
	ds_load_b128 v[22:25], v1 offset:1776
	v_fma_f64 v[28:29], v[28:29], v[6:7], v[32:33]
	v_fma_f64 v[6:7], v[26:27], v[6:7], -v[8:9]
	s_waitcnt vmcnt(2) lgkmcnt(1)
	v_mul_f64 v[36:37], v[2:3], v[12:13]
	v_mul_f64 v[12:13], v[4:5], v[12:13]
	v_add_f64 v[8:9], v[30:31], 0
	v_add_f64 v[26:27], v[34:35], 0
	s_waitcnt vmcnt(1) lgkmcnt(0)
	v_mul_f64 v[30:31], v[22:23], v[16:17]
	v_mul_f64 v[16:17], v[24:25], v[16:17]
	v_fma_f64 v[4:5], v[4:5], v[10:11], v[36:37]
	v_fma_f64 v[1:2], v[2:3], v[10:11], -v[12:13]
	v_add_f64 v[6:7], v[8:9], v[6:7]
	v_add_f64 v[8:9], v[26:27], v[28:29]
	v_fma_f64 v[10:11], v[24:25], v[14:15], v[30:31]
	v_fma_f64 v[12:13], v[22:23], v[14:15], -v[16:17]
	s_delay_alu instid0(VALU_DEP_4) | instskip(NEXT) | instid1(VALU_DEP_4)
	v_add_f64 v[1:2], v[6:7], v[1:2]
	v_add_f64 v[3:4], v[8:9], v[4:5]
	s_delay_alu instid0(VALU_DEP_2) | instskip(NEXT) | instid1(VALU_DEP_2)
	v_add_f64 v[1:2], v[1:2], v[12:13]
	v_add_f64 v[3:4], v[3:4], v[10:11]
	s_waitcnt vmcnt(0)
	s_delay_alu instid0(VALU_DEP_2) | instskip(NEXT) | instid1(VALU_DEP_2)
	v_add_f64 v[1:2], v[18:19], -v[1:2]
	v_add_f64 v[3:4], v[20:21], -v[3:4]
	scratch_store_b128 off, v[1:4], off offset:816
	v_cmpx_lt_u32_e32 50, v154
	s_cbranch_execz .LBB55_249
; %bb.248:
	scratch_load_b128 v[1:4], v165, off
	v_mov_b32_e32 v5, 0
	s_delay_alu instid0(VALU_DEP_1)
	v_mov_b32_e32 v6, v5
	v_mov_b32_e32 v7, v5
	v_mov_b32_e32 v8, v5
	scratch_store_b128 off, v[5:8], off offset:800
	s_waitcnt vmcnt(0)
	ds_store_b128 v210, v[1:4]
.LBB55_249:
	s_or_b32 exec_lo, exec_lo, s2
	s_waitcnt lgkmcnt(0)
	s_waitcnt_vscnt null, 0x0
	s_barrier
	buffer_gl0_inv
	s_clause 0x5
	scratch_load_b128 v[2:5], off, off offset:816
	scratch_load_b128 v[6:9], off, off offset:832
	;; [unrolled: 1-line block ×6, first 2 shown]
	v_mov_b32_e32 v1, 0
	ds_load_b128 v[26:29], v1 offset:1712
	ds_load_b128 v[30:33], v1 offset:1728
	s_mov_b32 s2, exec_lo
	s_waitcnt vmcnt(5) lgkmcnt(1)
	v_mul_f64 v[34:35], v[28:29], v[4:5]
	v_mul_f64 v[4:5], v[26:27], v[4:5]
	s_waitcnt vmcnt(4) lgkmcnt(0)
	v_mul_f64 v[36:37], v[30:31], v[8:9]
	v_mul_f64 v[8:9], v[32:33], v[8:9]
	s_delay_alu instid0(VALU_DEP_4) | instskip(NEXT) | instid1(VALU_DEP_4)
	v_fma_f64 v[34:35], v[26:27], v[2:3], -v[34:35]
	v_fma_f64 v[38:39], v[28:29], v[2:3], v[4:5]
	ds_load_b128 v[2:5], v1 offset:1744
	ds_load_b128 v[26:29], v1 offset:1760
	v_fma_f64 v[32:33], v[32:33], v[6:7], v[36:37]
	v_fma_f64 v[6:7], v[30:31], v[6:7], -v[8:9]
	s_waitcnt vmcnt(3) lgkmcnt(1)
	v_mul_f64 v[40:41], v[2:3], v[12:13]
	v_mul_f64 v[12:13], v[4:5], v[12:13]
	v_add_f64 v[8:9], v[34:35], 0
	v_add_f64 v[30:31], v[38:39], 0
	s_waitcnt vmcnt(2) lgkmcnt(0)
	v_mul_f64 v[34:35], v[26:27], v[16:17]
	v_mul_f64 v[16:17], v[28:29], v[16:17]
	v_fma_f64 v[36:37], v[4:5], v[10:11], v[40:41]
	v_fma_f64 v[10:11], v[2:3], v[10:11], -v[12:13]
	ds_load_b128 v[2:5], v1 offset:1776
	v_add_f64 v[6:7], v[8:9], v[6:7]
	v_add_f64 v[8:9], v[30:31], v[32:33]
	v_fma_f64 v[28:29], v[28:29], v[14:15], v[34:35]
	v_fma_f64 v[14:15], v[26:27], v[14:15], -v[16:17]
	s_waitcnt vmcnt(1) lgkmcnt(0)
	v_mul_f64 v[12:13], v[2:3], v[20:21]
	v_mul_f64 v[20:21], v[4:5], v[20:21]
	v_add_f64 v[6:7], v[6:7], v[10:11]
	v_add_f64 v[8:9], v[8:9], v[36:37]
	s_delay_alu instid0(VALU_DEP_4) | instskip(NEXT) | instid1(VALU_DEP_4)
	v_fma_f64 v[4:5], v[4:5], v[18:19], v[12:13]
	v_fma_f64 v[2:3], v[2:3], v[18:19], -v[20:21]
	s_delay_alu instid0(VALU_DEP_4) | instskip(NEXT) | instid1(VALU_DEP_4)
	v_add_f64 v[6:7], v[6:7], v[14:15]
	v_add_f64 v[8:9], v[8:9], v[28:29]
	s_delay_alu instid0(VALU_DEP_2) | instskip(NEXT) | instid1(VALU_DEP_2)
	v_add_f64 v[2:3], v[6:7], v[2:3]
	v_add_f64 v[4:5], v[8:9], v[4:5]
	s_waitcnt vmcnt(0)
	s_delay_alu instid0(VALU_DEP_2) | instskip(NEXT) | instid1(VALU_DEP_2)
	v_add_f64 v[2:3], v[22:23], -v[2:3]
	v_add_f64 v[4:5], v[24:25], -v[4:5]
	scratch_store_b128 off, v[2:5], off offset:800
	v_cmpx_lt_u32_e32 49, v154
	s_cbranch_execz .LBB55_251
; %bb.250:
	scratch_load_b128 v[5:8], v166, off
	v_mov_b32_e32 v2, v1
	v_mov_b32_e32 v3, v1
	;; [unrolled: 1-line block ×3, first 2 shown]
	scratch_store_b128 off, v[1:4], off offset:784
	s_waitcnt vmcnt(0)
	ds_store_b128 v210, v[5:8]
.LBB55_251:
	s_or_b32 exec_lo, exec_lo, s2
	s_waitcnt lgkmcnt(0)
	s_waitcnt_vscnt null, 0x0
	s_barrier
	buffer_gl0_inv
	s_clause 0x5
	scratch_load_b128 v[2:5], off, off offset:800
	scratch_load_b128 v[6:9], off, off offset:816
	;; [unrolled: 1-line block ×6, first 2 shown]
	ds_load_b128 v[26:29], v1 offset:1696
	ds_load_b128 v[34:37], v1 offset:1712
	scratch_load_b128 v[30:33], off, off offset:784
	s_mov_b32 s2, exec_lo
	s_waitcnt vmcnt(6) lgkmcnt(1)
	v_mul_f64 v[38:39], v[28:29], v[4:5]
	v_mul_f64 v[4:5], v[26:27], v[4:5]
	s_waitcnt vmcnt(5) lgkmcnt(0)
	v_mul_f64 v[40:41], v[34:35], v[8:9]
	v_mul_f64 v[8:9], v[36:37], v[8:9]
	s_delay_alu instid0(VALU_DEP_4) | instskip(NEXT) | instid1(VALU_DEP_4)
	v_fma_f64 v[38:39], v[26:27], v[2:3], -v[38:39]
	v_fma_f64 v[44:45], v[28:29], v[2:3], v[4:5]
	ds_load_b128 v[2:5], v1 offset:1728
	ds_load_b128 v[26:29], v1 offset:1744
	v_fma_f64 v[36:37], v[36:37], v[6:7], v[40:41]
	v_fma_f64 v[6:7], v[34:35], v[6:7], -v[8:9]
	s_waitcnt vmcnt(4) lgkmcnt(1)
	v_mul_f64 v[46:47], v[2:3], v[12:13]
	v_mul_f64 v[12:13], v[4:5], v[12:13]
	v_add_f64 v[8:9], v[38:39], 0
	v_add_f64 v[34:35], v[44:45], 0
	s_waitcnt vmcnt(3) lgkmcnt(0)
	v_mul_f64 v[38:39], v[26:27], v[16:17]
	v_mul_f64 v[16:17], v[28:29], v[16:17]
	v_fma_f64 v[40:41], v[4:5], v[10:11], v[46:47]
	v_fma_f64 v[10:11], v[2:3], v[10:11], -v[12:13]
	v_add_f64 v[12:13], v[8:9], v[6:7]
	v_add_f64 v[34:35], v[34:35], v[36:37]
	ds_load_b128 v[2:5], v1 offset:1760
	ds_load_b128 v[6:9], v1 offset:1776
	v_fma_f64 v[28:29], v[28:29], v[14:15], v[38:39]
	v_fma_f64 v[14:15], v[26:27], v[14:15], -v[16:17]
	s_waitcnt vmcnt(2) lgkmcnt(1)
	v_mul_f64 v[36:37], v[2:3], v[20:21]
	v_mul_f64 v[20:21], v[4:5], v[20:21]
	s_waitcnt vmcnt(1) lgkmcnt(0)
	v_mul_f64 v[16:17], v[6:7], v[24:25]
	v_mul_f64 v[24:25], v[8:9], v[24:25]
	v_add_f64 v[10:11], v[12:13], v[10:11]
	v_add_f64 v[12:13], v[34:35], v[40:41]
	v_fma_f64 v[4:5], v[4:5], v[18:19], v[36:37]
	v_fma_f64 v[1:2], v[2:3], v[18:19], -v[20:21]
	v_fma_f64 v[8:9], v[8:9], v[22:23], v[16:17]
	v_fma_f64 v[6:7], v[6:7], v[22:23], -v[24:25]
	v_add_f64 v[10:11], v[10:11], v[14:15]
	v_add_f64 v[12:13], v[12:13], v[28:29]
	s_delay_alu instid0(VALU_DEP_2) | instskip(NEXT) | instid1(VALU_DEP_2)
	v_add_f64 v[1:2], v[10:11], v[1:2]
	v_add_f64 v[3:4], v[12:13], v[4:5]
	s_delay_alu instid0(VALU_DEP_2) | instskip(NEXT) | instid1(VALU_DEP_2)
	v_add_f64 v[1:2], v[1:2], v[6:7]
	v_add_f64 v[3:4], v[3:4], v[8:9]
	s_waitcnt vmcnt(0)
	s_delay_alu instid0(VALU_DEP_2) | instskip(NEXT) | instid1(VALU_DEP_2)
	v_add_f64 v[1:2], v[30:31], -v[1:2]
	v_add_f64 v[3:4], v[32:33], -v[3:4]
	scratch_store_b128 off, v[1:4], off offset:784
	v_cmpx_lt_u32_e32 48, v154
	s_cbranch_execz .LBB55_253
; %bb.252:
	scratch_load_b128 v[1:4], v242, off
	v_mov_b32_e32 v5, 0
	s_delay_alu instid0(VALU_DEP_1)
	v_mov_b32_e32 v6, v5
	v_mov_b32_e32 v7, v5
	;; [unrolled: 1-line block ×3, first 2 shown]
	scratch_store_b128 off, v[5:8], off offset:768
	s_waitcnt vmcnt(0)
	ds_store_b128 v210, v[1:4]
.LBB55_253:
	s_or_b32 exec_lo, exec_lo, s2
	s_waitcnt lgkmcnt(0)
	s_waitcnt_vscnt null, 0x0
	s_barrier
	buffer_gl0_inv
	s_clause 0x6
	scratch_load_b128 v[2:5], off, off offset:784
	scratch_load_b128 v[6:9], off, off offset:800
	;; [unrolled: 1-line block ×7, first 2 shown]
	v_mov_b32_e32 v1, 0
	scratch_load_b128 v[34:37], off, off offset:768
	s_mov_b32 s2, exec_lo
	ds_load_b128 v[30:33], v1 offset:1680
	ds_load_b128 v[38:41], v1 offset:1696
	s_waitcnt vmcnt(7) lgkmcnt(1)
	v_mul_f64 v[44:45], v[32:33], v[4:5]
	v_mul_f64 v[4:5], v[30:31], v[4:5]
	s_waitcnt vmcnt(6) lgkmcnt(0)
	v_mul_f64 v[46:47], v[38:39], v[8:9]
	v_mul_f64 v[8:9], v[40:41], v[8:9]
	s_delay_alu instid0(VALU_DEP_4) | instskip(NEXT) | instid1(VALU_DEP_4)
	v_fma_f64 v[44:45], v[30:31], v[2:3], -v[44:45]
	v_fma_f64 v[48:49], v[32:33], v[2:3], v[4:5]
	ds_load_b128 v[2:5], v1 offset:1712
	ds_load_b128 v[30:33], v1 offset:1728
	v_fma_f64 v[40:41], v[40:41], v[6:7], v[46:47]
	v_fma_f64 v[6:7], v[38:39], v[6:7], -v[8:9]
	s_waitcnt vmcnt(5) lgkmcnt(1)
	v_mul_f64 v[156:157], v[2:3], v[12:13]
	v_mul_f64 v[12:13], v[4:5], v[12:13]
	v_add_f64 v[8:9], v[44:45], 0
	v_add_f64 v[38:39], v[48:49], 0
	s_waitcnt vmcnt(4) lgkmcnt(0)
	v_mul_f64 v[44:45], v[30:31], v[16:17]
	v_mul_f64 v[16:17], v[32:33], v[16:17]
	v_fma_f64 v[46:47], v[4:5], v[10:11], v[156:157]
	v_fma_f64 v[10:11], v[2:3], v[10:11], -v[12:13]
	v_add_f64 v[12:13], v[8:9], v[6:7]
	v_add_f64 v[38:39], v[38:39], v[40:41]
	ds_load_b128 v[2:5], v1 offset:1744
	ds_load_b128 v[6:9], v1 offset:1760
	v_fma_f64 v[32:33], v[32:33], v[14:15], v[44:45]
	v_fma_f64 v[14:15], v[30:31], v[14:15], -v[16:17]
	s_waitcnt vmcnt(3) lgkmcnt(1)
	v_mul_f64 v[40:41], v[2:3], v[20:21]
	v_mul_f64 v[20:21], v[4:5], v[20:21]
	s_waitcnt vmcnt(2) lgkmcnt(0)
	v_mul_f64 v[16:17], v[6:7], v[24:25]
	v_mul_f64 v[24:25], v[8:9], v[24:25]
	v_add_f64 v[10:11], v[12:13], v[10:11]
	v_add_f64 v[12:13], v[38:39], v[46:47]
	v_fma_f64 v[30:31], v[4:5], v[18:19], v[40:41]
	v_fma_f64 v[18:19], v[2:3], v[18:19], -v[20:21]
	ds_load_b128 v[2:5], v1 offset:1776
	v_fma_f64 v[8:9], v[8:9], v[22:23], v[16:17]
	v_fma_f64 v[6:7], v[6:7], v[22:23], -v[24:25]
	v_add_f64 v[10:11], v[10:11], v[14:15]
	v_add_f64 v[12:13], v[12:13], v[32:33]
	s_waitcnt vmcnt(1) lgkmcnt(0)
	v_mul_f64 v[14:15], v[2:3], v[28:29]
	v_mul_f64 v[20:21], v[4:5], v[28:29]
	s_delay_alu instid0(VALU_DEP_4) | instskip(NEXT) | instid1(VALU_DEP_4)
	v_add_f64 v[10:11], v[10:11], v[18:19]
	v_add_f64 v[12:13], v[12:13], v[30:31]
	s_delay_alu instid0(VALU_DEP_4) | instskip(NEXT) | instid1(VALU_DEP_4)
	v_fma_f64 v[4:5], v[4:5], v[26:27], v[14:15]
	v_fma_f64 v[2:3], v[2:3], v[26:27], -v[20:21]
	s_delay_alu instid0(VALU_DEP_4) | instskip(NEXT) | instid1(VALU_DEP_4)
	v_add_f64 v[6:7], v[10:11], v[6:7]
	v_add_f64 v[8:9], v[12:13], v[8:9]
	s_delay_alu instid0(VALU_DEP_2) | instskip(NEXT) | instid1(VALU_DEP_2)
	v_add_f64 v[2:3], v[6:7], v[2:3]
	v_add_f64 v[4:5], v[8:9], v[4:5]
	s_waitcnt vmcnt(0)
	s_delay_alu instid0(VALU_DEP_2) | instskip(NEXT) | instid1(VALU_DEP_2)
	v_add_f64 v[2:3], v[34:35], -v[2:3]
	v_add_f64 v[4:5], v[36:37], -v[4:5]
	scratch_store_b128 off, v[2:5], off offset:768
	v_cmpx_lt_u32_e32 47, v154
	s_cbranch_execz .LBB55_255
; %bb.254:
	scratch_load_b128 v[5:8], v244, off
	v_mov_b32_e32 v2, v1
	v_mov_b32_e32 v3, v1
	;; [unrolled: 1-line block ×3, first 2 shown]
	scratch_store_b128 off, v[1:4], off offset:752
	s_waitcnt vmcnt(0)
	ds_store_b128 v210, v[5:8]
.LBB55_255:
	s_or_b32 exec_lo, exec_lo, s2
	s_waitcnt lgkmcnt(0)
	s_waitcnt_vscnt null, 0x0
	s_barrier
	buffer_gl0_inv
	s_clause 0x7
	scratch_load_b128 v[2:5], off, off offset:768
	scratch_load_b128 v[6:9], off, off offset:784
	;; [unrolled: 1-line block ×8, first 2 shown]
	ds_load_b128 v[34:37], v1 offset:1664
	ds_load_b128 v[38:41], v1 offset:1680
	scratch_load_b128 v[167:170], off, off offset:752
	s_mov_b32 s2, exec_lo
	s_waitcnt vmcnt(8) lgkmcnt(1)
	v_mul_f64 v[44:45], v[36:37], v[4:5]
	v_mul_f64 v[4:5], v[34:35], v[4:5]
	s_waitcnt vmcnt(7) lgkmcnt(0)
	v_mul_f64 v[46:47], v[38:39], v[8:9]
	v_mul_f64 v[8:9], v[40:41], v[8:9]
	s_delay_alu instid0(VALU_DEP_4) | instskip(NEXT) | instid1(VALU_DEP_4)
	v_fma_f64 v[44:45], v[34:35], v[2:3], -v[44:45]
	v_fma_f64 v[48:49], v[36:37], v[2:3], v[4:5]
	ds_load_b128 v[2:5], v1 offset:1696
	ds_load_b128 v[34:37], v1 offset:1712
	v_fma_f64 v[40:41], v[40:41], v[6:7], v[46:47]
	v_fma_f64 v[6:7], v[38:39], v[6:7], -v[8:9]
	s_waitcnt vmcnt(6) lgkmcnt(1)
	v_mul_f64 v[156:157], v[2:3], v[12:13]
	v_mul_f64 v[12:13], v[4:5], v[12:13]
	v_add_f64 v[8:9], v[44:45], 0
	v_add_f64 v[38:39], v[48:49], 0
	s_waitcnt vmcnt(5) lgkmcnt(0)
	v_mul_f64 v[44:45], v[34:35], v[16:17]
	v_mul_f64 v[16:17], v[36:37], v[16:17]
	v_fma_f64 v[46:47], v[4:5], v[10:11], v[156:157]
	v_fma_f64 v[10:11], v[2:3], v[10:11], -v[12:13]
	v_add_f64 v[12:13], v[8:9], v[6:7]
	v_add_f64 v[38:39], v[38:39], v[40:41]
	ds_load_b128 v[2:5], v1 offset:1728
	ds_load_b128 v[6:9], v1 offset:1744
	v_fma_f64 v[36:37], v[36:37], v[14:15], v[44:45]
	v_fma_f64 v[14:15], v[34:35], v[14:15], -v[16:17]
	s_waitcnt vmcnt(4) lgkmcnt(1)
	v_mul_f64 v[40:41], v[2:3], v[20:21]
	v_mul_f64 v[20:21], v[4:5], v[20:21]
	s_waitcnt vmcnt(3) lgkmcnt(0)
	v_mul_f64 v[16:17], v[6:7], v[24:25]
	v_mul_f64 v[24:25], v[8:9], v[24:25]
	v_add_f64 v[10:11], v[12:13], v[10:11]
	v_add_f64 v[12:13], v[38:39], v[46:47]
	v_fma_f64 v[34:35], v[4:5], v[18:19], v[40:41]
	v_fma_f64 v[18:19], v[2:3], v[18:19], -v[20:21]
	v_fma_f64 v[8:9], v[8:9], v[22:23], v[16:17]
	v_fma_f64 v[6:7], v[6:7], v[22:23], -v[24:25]
	v_add_f64 v[14:15], v[10:11], v[14:15]
	v_add_f64 v[20:21], v[12:13], v[36:37]
	ds_load_b128 v[2:5], v1 offset:1760
	ds_load_b128 v[10:13], v1 offset:1776
	s_waitcnt vmcnt(2) lgkmcnt(1)
	v_mul_f64 v[36:37], v[2:3], v[28:29]
	v_mul_f64 v[28:29], v[4:5], v[28:29]
	v_add_f64 v[14:15], v[14:15], v[18:19]
	v_add_f64 v[16:17], v[20:21], v[34:35]
	s_waitcnt vmcnt(1) lgkmcnt(0)
	v_mul_f64 v[18:19], v[10:11], v[32:33]
	v_mul_f64 v[20:21], v[12:13], v[32:33]
	v_fma_f64 v[4:5], v[4:5], v[26:27], v[36:37]
	v_fma_f64 v[1:2], v[2:3], v[26:27], -v[28:29]
	v_add_f64 v[6:7], v[14:15], v[6:7]
	v_add_f64 v[8:9], v[16:17], v[8:9]
	v_fma_f64 v[12:13], v[12:13], v[30:31], v[18:19]
	v_fma_f64 v[10:11], v[10:11], v[30:31], -v[20:21]
	s_delay_alu instid0(VALU_DEP_4) | instskip(NEXT) | instid1(VALU_DEP_4)
	v_add_f64 v[1:2], v[6:7], v[1:2]
	v_add_f64 v[3:4], v[8:9], v[4:5]
	s_delay_alu instid0(VALU_DEP_2) | instskip(NEXT) | instid1(VALU_DEP_2)
	v_add_f64 v[1:2], v[1:2], v[10:11]
	v_add_f64 v[3:4], v[3:4], v[12:13]
	s_waitcnt vmcnt(0)
	s_delay_alu instid0(VALU_DEP_2) | instskip(NEXT) | instid1(VALU_DEP_2)
	v_add_f64 v[1:2], v[167:168], -v[1:2]
	v_add_f64 v[3:4], v[169:170], -v[3:4]
	scratch_store_b128 off, v[1:4], off offset:752
	v_cmpx_lt_u32_e32 46, v154
	s_cbranch_execz .LBB55_257
; %bb.256:
	scratch_load_b128 v[1:4], v243, off
	v_mov_b32_e32 v5, 0
	s_delay_alu instid0(VALU_DEP_1)
	v_mov_b32_e32 v6, v5
	v_mov_b32_e32 v7, v5
	;; [unrolled: 1-line block ×3, first 2 shown]
	scratch_store_b128 off, v[5:8], off offset:736
	s_waitcnt vmcnt(0)
	ds_store_b128 v210, v[1:4]
.LBB55_257:
	s_or_b32 exec_lo, exec_lo, s2
	s_waitcnt lgkmcnt(0)
	s_waitcnt_vscnt null, 0x0
	s_barrier
	buffer_gl0_inv
	s_clause 0x7
	scratch_load_b128 v[2:5], off, off offset:752
	scratch_load_b128 v[6:9], off, off offset:768
	;; [unrolled: 1-line block ×8, first 2 shown]
	v_mov_b32_e32 v1, 0
	s_mov_b32 s2, exec_lo
	ds_load_b128 v[34:37], v1 offset:1648
	s_clause 0x1
	scratch_load_b128 v[38:41], off, off offset:880
	scratch_load_b128 v[167:170], off, off offset:736
	ds_load_b128 v[171:174], v1 offset:1664
	s_waitcnt vmcnt(9) lgkmcnt(1)
	v_mul_f64 v[44:45], v[36:37], v[4:5]
	v_mul_f64 v[4:5], v[34:35], v[4:5]
	s_waitcnt vmcnt(8) lgkmcnt(0)
	v_mul_f64 v[46:47], v[171:172], v[8:9]
	v_mul_f64 v[8:9], v[173:174], v[8:9]
	s_delay_alu instid0(VALU_DEP_4) | instskip(NEXT) | instid1(VALU_DEP_4)
	v_fma_f64 v[44:45], v[34:35], v[2:3], -v[44:45]
	v_fma_f64 v[48:49], v[36:37], v[2:3], v[4:5]
	ds_load_b128 v[2:5], v1 offset:1680
	ds_load_b128 v[34:37], v1 offset:1696
	v_fma_f64 v[46:47], v[173:174], v[6:7], v[46:47]
	v_fma_f64 v[6:7], v[171:172], v[6:7], -v[8:9]
	s_waitcnt vmcnt(7) lgkmcnt(1)
	v_mul_f64 v[156:157], v[2:3], v[12:13]
	v_mul_f64 v[12:13], v[4:5], v[12:13]
	v_add_f64 v[8:9], v[44:45], 0
	v_add_f64 v[44:45], v[48:49], 0
	s_waitcnt vmcnt(6) lgkmcnt(0)
	v_mul_f64 v[48:49], v[34:35], v[16:17]
	v_mul_f64 v[16:17], v[36:37], v[16:17]
	v_fma_f64 v[156:157], v[4:5], v[10:11], v[156:157]
	v_fma_f64 v[10:11], v[2:3], v[10:11], -v[12:13]
	v_add_f64 v[12:13], v[8:9], v[6:7]
	v_add_f64 v[44:45], v[44:45], v[46:47]
	ds_load_b128 v[2:5], v1 offset:1712
	ds_load_b128 v[6:9], v1 offset:1728
	v_fma_f64 v[36:37], v[36:37], v[14:15], v[48:49]
	v_fma_f64 v[14:15], v[34:35], v[14:15], -v[16:17]
	s_waitcnt vmcnt(5) lgkmcnt(1)
	v_mul_f64 v[46:47], v[2:3], v[20:21]
	v_mul_f64 v[20:21], v[4:5], v[20:21]
	s_waitcnt vmcnt(4) lgkmcnt(0)
	v_mul_f64 v[16:17], v[6:7], v[24:25]
	v_mul_f64 v[24:25], v[8:9], v[24:25]
	v_add_f64 v[10:11], v[12:13], v[10:11]
	v_add_f64 v[12:13], v[44:45], v[156:157]
	v_fma_f64 v[34:35], v[4:5], v[18:19], v[46:47]
	v_fma_f64 v[18:19], v[2:3], v[18:19], -v[20:21]
	v_fma_f64 v[8:9], v[8:9], v[22:23], v[16:17]
	v_fma_f64 v[6:7], v[6:7], v[22:23], -v[24:25]
	v_add_f64 v[14:15], v[10:11], v[14:15]
	v_add_f64 v[20:21], v[12:13], v[36:37]
	ds_load_b128 v[2:5], v1 offset:1744
	ds_load_b128 v[10:13], v1 offset:1760
	s_waitcnt vmcnt(3) lgkmcnt(1)
	v_mul_f64 v[36:37], v[2:3], v[28:29]
	v_mul_f64 v[28:29], v[4:5], v[28:29]
	v_add_f64 v[14:15], v[14:15], v[18:19]
	v_add_f64 v[16:17], v[20:21], v[34:35]
	s_waitcnt vmcnt(2) lgkmcnt(0)
	v_mul_f64 v[18:19], v[10:11], v[32:33]
	v_mul_f64 v[20:21], v[12:13], v[32:33]
	v_fma_f64 v[22:23], v[4:5], v[26:27], v[36:37]
	v_fma_f64 v[24:25], v[2:3], v[26:27], -v[28:29]
	ds_load_b128 v[2:5], v1 offset:1776
	v_add_f64 v[6:7], v[14:15], v[6:7]
	v_add_f64 v[8:9], v[16:17], v[8:9]
	v_fma_f64 v[12:13], v[12:13], v[30:31], v[18:19]
	v_fma_f64 v[10:11], v[10:11], v[30:31], -v[20:21]
	s_waitcnt vmcnt(1) lgkmcnt(0)
	v_mul_f64 v[14:15], v[2:3], v[40:41]
	v_mul_f64 v[16:17], v[4:5], v[40:41]
	v_add_f64 v[6:7], v[6:7], v[24:25]
	v_add_f64 v[8:9], v[8:9], v[22:23]
	s_delay_alu instid0(VALU_DEP_4) | instskip(NEXT) | instid1(VALU_DEP_4)
	v_fma_f64 v[4:5], v[4:5], v[38:39], v[14:15]
	v_fma_f64 v[2:3], v[2:3], v[38:39], -v[16:17]
	s_delay_alu instid0(VALU_DEP_4) | instskip(NEXT) | instid1(VALU_DEP_4)
	v_add_f64 v[6:7], v[6:7], v[10:11]
	v_add_f64 v[8:9], v[8:9], v[12:13]
	s_delay_alu instid0(VALU_DEP_2) | instskip(NEXT) | instid1(VALU_DEP_2)
	v_add_f64 v[2:3], v[6:7], v[2:3]
	v_add_f64 v[4:5], v[8:9], v[4:5]
	s_waitcnt vmcnt(0)
	s_delay_alu instid0(VALU_DEP_2) | instskip(NEXT) | instid1(VALU_DEP_2)
	v_add_f64 v[2:3], v[167:168], -v[2:3]
	v_add_f64 v[4:5], v[169:170], -v[4:5]
	scratch_store_b128 off, v[2:5], off offset:736
	v_cmpx_lt_u32_e32 45, v154
	s_cbranch_execz .LBB55_259
; %bb.258:
	scratch_load_b128 v[5:8], v238, off
	v_mov_b32_e32 v2, v1
	v_mov_b32_e32 v3, v1
	;; [unrolled: 1-line block ×3, first 2 shown]
	scratch_store_b128 off, v[1:4], off offset:720
	s_waitcnt vmcnt(0)
	ds_store_b128 v210, v[5:8]
.LBB55_259:
	s_or_b32 exec_lo, exec_lo, s2
	s_waitcnt lgkmcnt(0)
	s_waitcnt_vscnt null, 0x0
	s_barrier
	buffer_gl0_inv
	s_clause 0x8
	scratch_load_b128 v[2:5], off, off offset:736
	scratch_load_b128 v[6:9], off, off offset:752
	scratch_load_b128 v[10:13], off, off offset:768
	scratch_load_b128 v[14:17], off, off offset:784
	scratch_load_b128 v[18:21], off, off offset:800
	scratch_load_b128 v[22:25], off, off offset:816
	scratch_load_b128 v[26:29], off, off offset:832
	scratch_load_b128 v[30:33], off, off offset:848
	scratch_load_b128 v[34:37], off, off offset:864
	ds_load_b128 v[38:41], v1 offset:1632
	ds_load_b128 v[167:170], v1 offset:1648
	s_clause 0x1
	scratch_load_b128 v[171:174], off, off offset:720
	scratch_load_b128 v[175:178], off, off offset:880
	s_mov_b32 s2, exec_lo
	s_waitcnt vmcnt(10) lgkmcnt(1)
	v_mul_f64 v[44:45], v[40:41], v[4:5]
	v_mul_f64 v[4:5], v[38:39], v[4:5]
	s_waitcnt vmcnt(9) lgkmcnt(0)
	v_mul_f64 v[46:47], v[167:168], v[8:9]
	v_mul_f64 v[8:9], v[169:170], v[8:9]
	s_delay_alu instid0(VALU_DEP_4) | instskip(NEXT) | instid1(VALU_DEP_4)
	v_fma_f64 v[44:45], v[38:39], v[2:3], -v[44:45]
	v_fma_f64 v[48:49], v[40:41], v[2:3], v[4:5]
	ds_load_b128 v[2:5], v1 offset:1664
	ds_load_b128 v[38:41], v1 offset:1680
	v_fma_f64 v[46:47], v[169:170], v[6:7], v[46:47]
	v_fma_f64 v[6:7], v[167:168], v[6:7], -v[8:9]
	s_waitcnt vmcnt(8) lgkmcnt(1)
	v_mul_f64 v[156:157], v[2:3], v[12:13]
	v_mul_f64 v[12:13], v[4:5], v[12:13]
	v_add_f64 v[8:9], v[44:45], 0
	v_add_f64 v[44:45], v[48:49], 0
	s_waitcnt vmcnt(7) lgkmcnt(0)
	v_mul_f64 v[48:49], v[38:39], v[16:17]
	v_mul_f64 v[16:17], v[40:41], v[16:17]
	v_fma_f64 v[156:157], v[4:5], v[10:11], v[156:157]
	v_fma_f64 v[10:11], v[2:3], v[10:11], -v[12:13]
	v_add_f64 v[12:13], v[8:9], v[6:7]
	v_add_f64 v[44:45], v[44:45], v[46:47]
	ds_load_b128 v[2:5], v1 offset:1696
	ds_load_b128 v[6:9], v1 offset:1712
	v_fma_f64 v[40:41], v[40:41], v[14:15], v[48:49]
	v_fma_f64 v[14:15], v[38:39], v[14:15], -v[16:17]
	s_waitcnt vmcnt(6) lgkmcnt(1)
	v_mul_f64 v[46:47], v[2:3], v[20:21]
	v_mul_f64 v[20:21], v[4:5], v[20:21]
	s_waitcnt vmcnt(5) lgkmcnt(0)
	v_mul_f64 v[16:17], v[6:7], v[24:25]
	v_mul_f64 v[24:25], v[8:9], v[24:25]
	v_add_f64 v[10:11], v[12:13], v[10:11]
	v_add_f64 v[12:13], v[44:45], v[156:157]
	v_fma_f64 v[38:39], v[4:5], v[18:19], v[46:47]
	v_fma_f64 v[18:19], v[2:3], v[18:19], -v[20:21]
	v_fma_f64 v[8:9], v[8:9], v[22:23], v[16:17]
	v_fma_f64 v[6:7], v[6:7], v[22:23], -v[24:25]
	v_add_f64 v[14:15], v[10:11], v[14:15]
	v_add_f64 v[20:21], v[12:13], v[40:41]
	ds_load_b128 v[2:5], v1 offset:1728
	ds_load_b128 v[10:13], v1 offset:1744
	s_waitcnt vmcnt(4) lgkmcnt(1)
	v_mul_f64 v[40:41], v[2:3], v[28:29]
	v_mul_f64 v[28:29], v[4:5], v[28:29]
	v_add_f64 v[14:15], v[14:15], v[18:19]
	v_add_f64 v[16:17], v[20:21], v[38:39]
	s_waitcnt vmcnt(3) lgkmcnt(0)
	v_mul_f64 v[18:19], v[10:11], v[32:33]
	v_mul_f64 v[20:21], v[12:13], v[32:33]
	v_fma_f64 v[22:23], v[4:5], v[26:27], v[40:41]
	v_fma_f64 v[24:25], v[2:3], v[26:27], -v[28:29]
	v_add_f64 v[14:15], v[14:15], v[6:7]
	v_add_f64 v[16:17], v[16:17], v[8:9]
	ds_load_b128 v[2:5], v1 offset:1760
	ds_load_b128 v[6:9], v1 offset:1776
	v_fma_f64 v[12:13], v[12:13], v[30:31], v[18:19]
	v_fma_f64 v[10:11], v[10:11], v[30:31], -v[20:21]
	s_waitcnt vmcnt(2) lgkmcnt(1)
	v_mul_f64 v[26:27], v[2:3], v[36:37]
	v_mul_f64 v[28:29], v[4:5], v[36:37]
	s_waitcnt vmcnt(0) lgkmcnt(0)
	v_mul_f64 v[18:19], v[6:7], v[177:178]
	v_mul_f64 v[20:21], v[8:9], v[177:178]
	v_add_f64 v[14:15], v[14:15], v[24:25]
	v_add_f64 v[16:17], v[16:17], v[22:23]
	v_fma_f64 v[4:5], v[4:5], v[34:35], v[26:27]
	v_fma_f64 v[1:2], v[2:3], v[34:35], -v[28:29]
	v_fma_f64 v[8:9], v[8:9], v[175:176], v[18:19]
	v_fma_f64 v[6:7], v[6:7], v[175:176], -v[20:21]
	v_add_f64 v[10:11], v[14:15], v[10:11]
	v_add_f64 v[12:13], v[16:17], v[12:13]
	s_delay_alu instid0(VALU_DEP_2) | instskip(NEXT) | instid1(VALU_DEP_2)
	v_add_f64 v[1:2], v[10:11], v[1:2]
	v_add_f64 v[3:4], v[12:13], v[4:5]
	s_delay_alu instid0(VALU_DEP_2) | instskip(NEXT) | instid1(VALU_DEP_2)
	;; [unrolled: 3-line block ×3, first 2 shown]
	v_add_f64 v[1:2], v[171:172], -v[1:2]
	v_add_f64 v[3:4], v[173:174], -v[3:4]
	scratch_store_b128 off, v[1:4], off offset:720
	v_cmpx_lt_u32_e32 44, v154
	s_cbranch_execz .LBB55_261
; %bb.260:
	scratch_load_b128 v[1:4], v239, off
	v_mov_b32_e32 v5, 0
	s_delay_alu instid0(VALU_DEP_1)
	v_mov_b32_e32 v6, v5
	v_mov_b32_e32 v7, v5
	v_mov_b32_e32 v8, v5
	scratch_store_b128 off, v[5:8], off offset:704
	s_waitcnt vmcnt(0)
	ds_store_b128 v210, v[1:4]
.LBB55_261:
	s_or_b32 exec_lo, exec_lo, s2
	s_waitcnt lgkmcnt(0)
	s_waitcnt_vscnt null, 0x0
	s_barrier
	buffer_gl0_inv
	s_clause 0x7
	scratch_load_b128 v[2:5], off, off offset:720
	scratch_load_b128 v[6:9], off, off offset:736
	scratch_load_b128 v[10:13], off, off offset:752
	scratch_load_b128 v[14:17], off, off offset:768
	scratch_load_b128 v[18:21], off, off offset:784
	scratch_load_b128 v[22:25], off, off offset:800
	scratch_load_b128 v[26:29], off, off offset:816
	scratch_load_b128 v[30:33], off, off offset:832
	v_mov_b32_e32 v1, 0
	s_mov_b32 s2, exec_lo
	ds_load_b128 v[34:37], v1 offset:1616
	s_clause 0x1
	scratch_load_b128 v[38:41], off, off offset:848
	scratch_load_b128 v[167:170], off, off offset:704
	ds_load_b128 v[171:174], v1 offset:1632
	scratch_load_b128 v[175:178], off, off offset:864
	ds_load_b128 v[179:182], v1 offset:1664
	s_waitcnt vmcnt(10) lgkmcnt(2)
	v_mul_f64 v[44:45], v[36:37], v[4:5]
	v_mul_f64 v[4:5], v[34:35], v[4:5]
	s_delay_alu instid0(VALU_DEP_2) | instskip(NEXT) | instid1(VALU_DEP_2)
	v_fma_f64 v[44:45], v[34:35], v[2:3], -v[44:45]
	v_fma_f64 v[48:49], v[36:37], v[2:3], v[4:5]
	scratch_load_b128 v[34:37], off, off offset:880
	ds_load_b128 v[2:5], v1 offset:1648
	s_waitcnt vmcnt(10) lgkmcnt(2)
	v_mul_f64 v[46:47], v[171:172], v[8:9]
	v_mul_f64 v[8:9], v[173:174], v[8:9]
	s_waitcnt vmcnt(9) lgkmcnt(0)
	v_mul_f64 v[156:157], v[2:3], v[12:13]
	v_mul_f64 v[12:13], v[4:5], v[12:13]
	s_delay_alu instid0(VALU_DEP_4) | instskip(NEXT) | instid1(VALU_DEP_4)
	v_fma_f64 v[46:47], v[173:174], v[6:7], v[46:47]
	v_fma_f64 v[6:7], v[171:172], v[6:7], -v[8:9]
	v_add_f64 v[8:9], v[44:45], 0
	v_add_f64 v[44:45], v[48:49], 0
	s_waitcnt vmcnt(8)
	v_mul_f64 v[48:49], v[179:180], v[16:17]
	v_mul_f64 v[16:17], v[181:182], v[16:17]
	v_fma_f64 v[156:157], v[4:5], v[10:11], v[156:157]
	v_fma_f64 v[10:11], v[2:3], v[10:11], -v[12:13]
	v_add_f64 v[12:13], v[8:9], v[6:7]
	v_add_f64 v[44:45], v[44:45], v[46:47]
	ds_load_b128 v[2:5], v1 offset:1680
	ds_load_b128 v[6:9], v1 offset:1696
	v_fma_f64 v[48:49], v[181:182], v[14:15], v[48:49]
	v_fma_f64 v[14:15], v[179:180], v[14:15], -v[16:17]
	s_waitcnt vmcnt(7) lgkmcnt(1)
	v_mul_f64 v[46:47], v[2:3], v[20:21]
	v_mul_f64 v[20:21], v[4:5], v[20:21]
	s_waitcnt vmcnt(6) lgkmcnt(0)
	v_mul_f64 v[16:17], v[6:7], v[24:25]
	v_mul_f64 v[24:25], v[8:9], v[24:25]
	v_add_f64 v[10:11], v[12:13], v[10:11]
	v_add_f64 v[12:13], v[44:45], v[156:157]
	v_fma_f64 v[44:45], v[4:5], v[18:19], v[46:47]
	v_fma_f64 v[18:19], v[2:3], v[18:19], -v[20:21]
	v_fma_f64 v[8:9], v[8:9], v[22:23], v[16:17]
	v_fma_f64 v[6:7], v[6:7], v[22:23], -v[24:25]
	v_add_f64 v[14:15], v[10:11], v[14:15]
	v_add_f64 v[20:21], v[12:13], v[48:49]
	ds_load_b128 v[2:5], v1 offset:1712
	ds_load_b128 v[10:13], v1 offset:1728
	s_waitcnt vmcnt(5) lgkmcnt(1)
	v_mul_f64 v[46:47], v[2:3], v[28:29]
	v_mul_f64 v[28:29], v[4:5], v[28:29]
	v_add_f64 v[14:15], v[14:15], v[18:19]
	v_add_f64 v[16:17], v[20:21], v[44:45]
	s_waitcnt vmcnt(4) lgkmcnt(0)
	v_mul_f64 v[18:19], v[10:11], v[32:33]
	v_mul_f64 v[20:21], v[12:13], v[32:33]
	v_fma_f64 v[22:23], v[4:5], v[26:27], v[46:47]
	v_fma_f64 v[24:25], v[2:3], v[26:27], -v[28:29]
	v_add_f64 v[14:15], v[14:15], v[6:7]
	v_add_f64 v[16:17], v[16:17], v[8:9]
	ds_load_b128 v[2:5], v1 offset:1744
	ds_load_b128 v[6:9], v1 offset:1760
	v_fma_f64 v[12:13], v[12:13], v[30:31], v[18:19]
	v_fma_f64 v[10:11], v[10:11], v[30:31], -v[20:21]
	s_waitcnt vmcnt(3) lgkmcnt(1)
	v_mul_f64 v[26:27], v[2:3], v[40:41]
	v_mul_f64 v[28:29], v[4:5], v[40:41]
	s_waitcnt vmcnt(1) lgkmcnt(0)
	v_mul_f64 v[18:19], v[6:7], v[177:178]
	v_mul_f64 v[20:21], v[8:9], v[177:178]
	v_add_f64 v[14:15], v[14:15], v[24:25]
	v_add_f64 v[16:17], v[16:17], v[22:23]
	v_fma_f64 v[22:23], v[4:5], v[38:39], v[26:27]
	v_fma_f64 v[24:25], v[2:3], v[38:39], -v[28:29]
	ds_load_b128 v[2:5], v1 offset:1776
	v_fma_f64 v[8:9], v[8:9], v[175:176], v[18:19]
	v_fma_f64 v[6:7], v[6:7], v[175:176], -v[20:21]
	v_add_f64 v[10:11], v[14:15], v[10:11]
	v_add_f64 v[12:13], v[16:17], v[12:13]
	s_waitcnt vmcnt(0) lgkmcnt(0)
	v_mul_f64 v[14:15], v[2:3], v[36:37]
	v_mul_f64 v[16:17], v[4:5], v[36:37]
	s_delay_alu instid0(VALU_DEP_4) | instskip(NEXT) | instid1(VALU_DEP_4)
	v_add_f64 v[10:11], v[10:11], v[24:25]
	v_add_f64 v[12:13], v[12:13], v[22:23]
	s_delay_alu instid0(VALU_DEP_4) | instskip(NEXT) | instid1(VALU_DEP_4)
	v_fma_f64 v[4:5], v[4:5], v[34:35], v[14:15]
	v_fma_f64 v[2:3], v[2:3], v[34:35], -v[16:17]
	s_delay_alu instid0(VALU_DEP_4) | instskip(NEXT) | instid1(VALU_DEP_4)
	v_add_f64 v[6:7], v[10:11], v[6:7]
	v_add_f64 v[8:9], v[12:13], v[8:9]
	s_delay_alu instid0(VALU_DEP_2) | instskip(NEXT) | instid1(VALU_DEP_2)
	v_add_f64 v[2:3], v[6:7], v[2:3]
	v_add_f64 v[4:5], v[8:9], v[4:5]
	s_delay_alu instid0(VALU_DEP_2) | instskip(NEXT) | instid1(VALU_DEP_2)
	v_add_f64 v[2:3], v[167:168], -v[2:3]
	v_add_f64 v[4:5], v[169:170], -v[4:5]
	scratch_store_b128 off, v[2:5], off offset:704
	v_cmpx_lt_u32_e32 43, v154
	s_cbranch_execz .LBB55_263
; %bb.262:
	scratch_load_b128 v[5:8], v241, off
	v_mov_b32_e32 v2, v1
	v_mov_b32_e32 v3, v1
	;; [unrolled: 1-line block ×3, first 2 shown]
	scratch_store_b128 off, v[1:4], off offset:688
	s_waitcnt vmcnt(0)
	ds_store_b128 v210, v[5:8]
.LBB55_263:
	s_or_b32 exec_lo, exec_lo, s2
	s_waitcnt lgkmcnt(0)
	s_waitcnt_vscnt null, 0x0
	s_barrier
	buffer_gl0_inv
	s_clause 0x8
	scratch_load_b128 v[2:5], off, off offset:704
	scratch_load_b128 v[6:9], off, off offset:720
	;; [unrolled: 1-line block ×9, first 2 shown]
	ds_load_b128 v[38:41], v1 offset:1600
	ds_load_b128 v[167:170], v1 offset:1616
	s_clause 0x1
	scratch_load_b128 v[171:174], off, off offset:688
	scratch_load_b128 v[175:178], off, off offset:848
	s_mov_b32 s2, exec_lo
	ds_load_b128 v[179:182], v1 offset:1648
	s_waitcnt vmcnt(10) lgkmcnt(2)
	v_mul_f64 v[44:45], v[40:41], v[4:5]
	v_mul_f64 v[4:5], v[38:39], v[4:5]
	s_waitcnt vmcnt(9) lgkmcnt(1)
	v_mul_f64 v[46:47], v[167:168], v[8:9]
	v_mul_f64 v[8:9], v[169:170], v[8:9]
	s_delay_alu instid0(VALU_DEP_4) | instskip(NEXT) | instid1(VALU_DEP_4)
	v_fma_f64 v[44:45], v[38:39], v[2:3], -v[44:45]
	v_fma_f64 v[48:49], v[40:41], v[2:3], v[4:5]
	ds_load_b128 v[2:5], v1 offset:1632
	scratch_load_b128 v[38:41], off, off offset:864
	v_fma_f64 v[46:47], v[169:170], v[6:7], v[46:47]
	v_fma_f64 v[167:168], v[167:168], v[6:7], -v[8:9]
	scratch_load_b128 v[6:9], off, off offset:880
	s_waitcnt vmcnt(9) lgkmcnt(1)
	v_mul_f64 v[169:170], v[179:180], v[16:17]
	v_mul_f64 v[16:17], v[181:182], v[16:17]
	s_waitcnt lgkmcnt(0)
	v_mul_f64 v[156:157], v[2:3], v[12:13]
	v_mul_f64 v[12:13], v[4:5], v[12:13]
	v_add_f64 v[44:45], v[44:45], 0
	v_add_f64 v[48:49], v[48:49], 0
	s_delay_alu instid0(VALU_DEP_4) | instskip(NEXT) | instid1(VALU_DEP_4)
	v_fma_f64 v[156:157], v[4:5], v[10:11], v[156:157]
	v_fma_f64 v[183:184], v[2:3], v[10:11], -v[12:13]
	ds_load_b128 v[2:5], v1 offset:1664
	ds_load_b128 v[10:13], v1 offset:1680
	v_add_f64 v[44:45], v[44:45], v[167:168]
	v_add_f64 v[46:47], v[48:49], v[46:47]
	v_fma_f64 v[167:168], v[181:182], v[14:15], v[169:170]
	v_fma_f64 v[14:15], v[179:180], v[14:15], -v[16:17]
	s_waitcnt vmcnt(8) lgkmcnt(1)
	v_mul_f64 v[48:49], v[2:3], v[20:21]
	v_mul_f64 v[20:21], v[4:5], v[20:21]
	v_add_f64 v[16:17], v[44:45], v[183:184]
	v_add_f64 v[44:45], v[46:47], v[156:157]
	s_waitcnt vmcnt(7) lgkmcnt(0)
	v_mul_f64 v[46:47], v[10:11], v[24:25]
	v_mul_f64 v[24:25], v[12:13], v[24:25]
	v_fma_f64 v[48:49], v[4:5], v[18:19], v[48:49]
	v_fma_f64 v[18:19], v[2:3], v[18:19], -v[20:21]
	v_add_f64 v[20:21], v[16:17], v[14:15]
	v_add_f64 v[44:45], v[44:45], v[167:168]
	ds_load_b128 v[2:5], v1 offset:1696
	ds_load_b128 v[14:17], v1 offset:1712
	v_fma_f64 v[12:13], v[12:13], v[22:23], v[46:47]
	v_fma_f64 v[10:11], v[10:11], v[22:23], -v[24:25]
	s_waitcnt vmcnt(6) lgkmcnt(1)
	v_mul_f64 v[156:157], v[2:3], v[28:29]
	v_mul_f64 v[28:29], v[4:5], v[28:29]
	s_waitcnt vmcnt(5) lgkmcnt(0)
	v_mul_f64 v[22:23], v[14:15], v[32:33]
	v_mul_f64 v[24:25], v[16:17], v[32:33]
	v_add_f64 v[18:19], v[20:21], v[18:19]
	v_add_f64 v[20:21], v[44:45], v[48:49]
	v_fma_f64 v[32:33], v[4:5], v[26:27], v[156:157]
	v_fma_f64 v[26:27], v[2:3], v[26:27], -v[28:29]
	v_fma_f64 v[16:17], v[16:17], v[30:31], v[22:23]
	v_fma_f64 v[14:15], v[14:15], v[30:31], -v[24:25]
	v_add_f64 v[18:19], v[18:19], v[10:11]
	v_add_f64 v[20:21], v[20:21], v[12:13]
	ds_load_b128 v[2:5], v1 offset:1728
	ds_load_b128 v[10:13], v1 offset:1744
	s_waitcnt vmcnt(4) lgkmcnt(1)
	v_mul_f64 v[28:29], v[2:3], v[36:37]
	v_mul_f64 v[36:37], v[4:5], v[36:37]
	s_waitcnt vmcnt(2) lgkmcnt(0)
	v_mul_f64 v[22:23], v[10:11], v[177:178]
	v_mul_f64 v[24:25], v[12:13], v[177:178]
	v_add_f64 v[18:19], v[18:19], v[26:27]
	v_add_f64 v[20:21], v[20:21], v[32:33]
	v_fma_f64 v[26:27], v[4:5], v[34:35], v[28:29]
	v_fma_f64 v[28:29], v[2:3], v[34:35], -v[36:37]
	v_fma_f64 v[12:13], v[12:13], v[175:176], v[22:23]
	v_fma_f64 v[10:11], v[10:11], v[175:176], -v[24:25]
	v_add_f64 v[18:19], v[18:19], v[14:15]
	v_add_f64 v[20:21], v[20:21], v[16:17]
	ds_load_b128 v[2:5], v1 offset:1760
	ds_load_b128 v[14:17], v1 offset:1776
	s_waitcnt vmcnt(1) lgkmcnt(1)
	v_mul_f64 v[30:31], v[2:3], v[40:41]
	v_mul_f64 v[32:33], v[4:5], v[40:41]
	s_waitcnt vmcnt(0) lgkmcnt(0)
	v_mul_f64 v[22:23], v[14:15], v[8:9]
	v_mul_f64 v[8:9], v[16:17], v[8:9]
	v_add_f64 v[18:19], v[18:19], v[28:29]
	v_add_f64 v[20:21], v[20:21], v[26:27]
	v_fma_f64 v[4:5], v[4:5], v[38:39], v[30:31]
	v_fma_f64 v[1:2], v[2:3], v[38:39], -v[32:33]
	v_fma_f64 v[16:17], v[16:17], v[6:7], v[22:23]
	v_fma_f64 v[6:7], v[14:15], v[6:7], -v[8:9]
	v_add_f64 v[10:11], v[18:19], v[10:11]
	v_add_f64 v[12:13], v[20:21], v[12:13]
	s_delay_alu instid0(VALU_DEP_2) | instskip(NEXT) | instid1(VALU_DEP_2)
	v_add_f64 v[1:2], v[10:11], v[1:2]
	v_add_f64 v[3:4], v[12:13], v[4:5]
	s_delay_alu instid0(VALU_DEP_2) | instskip(NEXT) | instid1(VALU_DEP_2)
	;; [unrolled: 3-line block ×3, first 2 shown]
	v_add_f64 v[1:2], v[171:172], -v[1:2]
	v_add_f64 v[3:4], v[173:174], -v[3:4]
	scratch_store_b128 off, v[1:4], off offset:688
	v_cmpx_lt_u32_e32 42, v154
	s_cbranch_execz .LBB55_265
; %bb.264:
	scratch_load_b128 v[1:4], v240, off
	v_mov_b32_e32 v5, 0
	s_delay_alu instid0(VALU_DEP_1)
	v_mov_b32_e32 v6, v5
	v_mov_b32_e32 v7, v5
	v_mov_b32_e32 v8, v5
	scratch_store_b128 off, v[5:8], off offset:672
	s_waitcnt vmcnt(0)
	ds_store_b128 v210, v[1:4]
.LBB55_265:
	s_or_b32 exec_lo, exec_lo, s2
	s_waitcnt lgkmcnt(0)
	s_waitcnt_vscnt null, 0x0
	s_barrier
	buffer_gl0_inv
	s_clause 0x7
	scratch_load_b128 v[2:5], off, off offset:688
	scratch_load_b128 v[6:9], off, off offset:704
	;; [unrolled: 1-line block ×8, first 2 shown]
	v_mov_b32_e32 v1, 0
	s_clause 0x1
	scratch_load_b128 v[38:41], off, off offset:816
	scratch_load_b128 v[171:174], off, off offset:832
	s_mov_b32 s2, exec_lo
	ds_load_b128 v[34:37], v1 offset:1584
	ds_load_b128 v[167:170], v1 offset:1600
	s_waitcnt vmcnt(9) lgkmcnt(1)
	v_mul_f64 v[44:45], v[36:37], v[4:5]
	v_mul_f64 v[4:5], v[34:35], v[4:5]
	s_waitcnt vmcnt(8) lgkmcnt(0)
	v_mul_f64 v[46:47], v[167:168], v[8:9]
	v_mul_f64 v[8:9], v[169:170], v[8:9]
	s_delay_alu instid0(VALU_DEP_4) | instskip(NEXT) | instid1(VALU_DEP_4)
	v_fma_f64 v[44:45], v[34:35], v[2:3], -v[44:45]
	v_fma_f64 v[48:49], v[36:37], v[2:3], v[4:5]
	ds_load_b128 v[2:5], v1 offset:1616
	scratch_load_b128 v[34:37], off, off offset:848
	v_fma_f64 v[46:47], v[169:170], v[6:7], v[46:47]
	v_fma_f64 v[175:176], v[167:168], v[6:7], -v[8:9]
	ds_load_b128 v[6:9], v1 offset:1632
	scratch_load_b128 v[167:170], off, off offset:864
	s_waitcnt vmcnt(9) lgkmcnt(1)
	v_mul_f64 v[156:157], v[2:3], v[12:13]
	v_mul_f64 v[12:13], v[4:5], v[12:13]
	s_waitcnt vmcnt(8) lgkmcnt(0)
	v_mul_f64 v[177:178], v[6:7], v[16:17]
	v_mul_f64 v[16:17], v[8:9], v[16:17]
	v_add_f64 v[44:45], v[44:45], 0
	v_add_f64 v[48:49], v[48:49], 0
	v_fma_f64 v[156:157], v[4:5], v[10:11], v[156:157]
	v_fma_f64 v[179:180], v[2:3], v[10:11], -v[12:13]
	scratch_load_b128 v[10:13], off, off offset:880
	ds_load_b128 v[2:5], v1 offset:1648
	v_add_f64 v[44:45], v[44:45], v[175:176]
	v_add_f64 v[46:47], v[48:49], v[46:47]
	v_fma_f64 v[175:176], v[8:9], v[14:15], v[177:178]
	v_fma_f64 v[14:15], v[6:7], v[14:15], -v[16:17]
	ds_load_b128 v[6:9], v1 offset:1664
	s_waitcnt vmcnt(8) lgkmcnt(1)
	v_mul_f64 v[48:49], v[2:3], v[20:21]
	v_mul_f64 v[20:21], v[4:5], v[20:21]
	v_add_f64 v[16:17], v[44:45], v[179:180]
	v_add_f64 v[44:45], v[46:47], v[156:157]
	s_waitcnt vmcnt(7) lgkmcnt(0)
	v_mul_f64 v[46:47], v[6:7], v[24:25]
	v_mul_f64 v[24:25], v[8:9], v[24:25]
	v_fma_f64 v[48:49], v[4:5], v[18:19], v[48:49]
	v_fma_f64 v[18:19], v[2:3], v[18:19], -v[20:21]
	ds_load_b128 v[2:5], v1 offset:1680
	v_add_f64 v[14:15], v[16:17], v[14:15]
	v_add_f64 v[16:17], v[44:45], v[175:176]
	v_fma_f64 v[44:45], v[8:9], v[22:23], v[46:47]
	v_fma_f64 v[22:23], v[6:7], v[22:23], -v[24:25]
	ds_load_b128 v[6:9], v1 offset:1696
	s_waitcnt vmcnt(6) lgkmcnt(1)
	v_mul_f64 v[20:21], v[2:3], v[28:29]
	v_mul_f64 v[28:29], v[4:5], v[28:29]
	s_waitcnt vmcnt(5) lgkmcnt(0)
	v_mul_f64 v[46:47], v[6:7], v[32:33]
	v_mul_f64 v[32:33], v[8:9], v[32:33]
	v_add_f64 v[18:19], v[14:15], v[18:19]
	v_add_f64 v[24:25], v[16:17], v[48:49]
	scratch_load_b128 v[14:17], off, off offset:672
	v_fma_f64 v[20:21], v[4:5], v[26:27], v[20:21]
	v_fma_f64 v[26:27], v[2:3], v[26:27], -v[28:29]
	ds_load_b128 v[2:5], v1 offset:1712
	s_waitcnt vmcnt(5) lgkmcnt(0)
	v_mul_f64 v[28:29], v[4:5], v[40:41]
	v_add_f64 v[18:19], v[18:19], v[22:23]
	v_add_f64 v[22:23], v[24:25], v[44:45]
	v_mul_f64 v[24:25], v[2:3], v[40:41]
	v_fma_f64 v[40:41], v[8:9], v[30:31], v[46:47]
	v_fma_f64 v[30:31], v[6:7], v[30:31], -v[32:33]
	ds_load_b128 v[6:9], v1 offset:1728
	v_fma_f64 v[28:29], v[2:3], v[38:39], -v[28:29]
	v_add_f64 v[18:19], v[18:19], v[26:27]
	v_add_f64 v[20:21], v[22:23], v[20:21]
	v_fma_f64 v[24:25], v[4:5], v[38:39], v[24:25]
	ds_load_b128 v[2:5], v1 offset:1744
	s_waitcnt vmcnt(4) lgkmcnt(1)
	v_mul_f64 v[22:23], v[6:7], v[173:174]
	v_mul_f64 v[26:27], v[8:9], v[173:174]
	v_add_f64 v[18:19], v[18:19], v[30:31]
	v_add_f64 v[20:21], v[20:21], v[40:41]
	s_delay_alu instid0(VALU_DEP_4) | instskip(NEXT) | instid1(VALU_DEP_4)
	v_fma_f64 v[22:23], v[8:9], v[171:172], v[22:23]
	v_fma_f64 v[26:27], v[6:7], v[171:172], -v[26:27]
	ds_load_b128 v[6:9], v1 offset:1760
	s_waitcnt vmcnt(3) lgkmcnt(1)
	v_mul_f64 v[30:31], v[2:3], v[36:37]
	v_mul_f64 v[32:33], v[4:5], v[36:37]
	v_add_f64 v[18:19], v[18:19], v[28:29]
	v_add_f64 v[20:21], v[20:21], v[24:25]
	s_delay_alu instid0(VALU_DEP_4) | instskip(NEXT) | instid1(VALU_DEP_4)
	v_fma_f64 v[30:31], v[4:5], v[34:35], v[30:31]
	v_fma_f64 v[32:33], v[2:3], v[34:35], -v[32:33]
	ds_load_b128 v[2:5], v1 offset:1776
	s_waitcnt vmcnt(2) lgkmcnt(1)
	v_mul_f64 v[24:25], v[6:7], v[169:170]
	v_mul_f64 v[28:29], v[8:9], v[169:170]
	v_add_f64 v[18:19], v[18:19], v[26:27]
	v_add_f64 v[20:21], v[20:21], v[22:23]
	s_waitcnt vmcnt(1) lgkmcnt(0)
	v_mul_f64 v[22:23], v[2:3], v[12:13]
	v_mul_f64 v[12:13], v[4:5], v[12:13]
	v_fma_f64 v[8:9], v[8:9], v[167:168], v[24:25]
	v_fma_f64 v[6:7], v[6:7], v[167:168], -v[28:29]
	v_add_f64 v[18:19], v[18:19], v[32:33]
	v_add_f64 v[20:21], v[20:21], v[30:31]
	v_fma_f64 v[4:5], v[4:5], v[10:11], v[22:23]
	v_fma_f64 v[2:3], v[2:3], v[10:11], -v[12:13]
	s_delay_alu instid0(VALU_DEP_4) | instskip(NEXT) | instid1(VALU_DEP_4)
	v_add_f64 v[6:7], v[18:19], v[6:7]
	v_add_f64 v[8:9], v[20:21], v[8:9]
	s_delay_alu instid0(VALU_DEP_2) | instskip(NEXT) | instid1(VALU_DEP_2)
	v_add_f64 v[2:3], v[6:7], v[2:3]
	v_add_f64 v[4:5], v[8:9], v[4:5]
	s_waitcnt vmcnt(0)
	s_delay_alu instid0(VALU_DEP_2) | instskip(NEXT) | instid1(VALU_DEP_2)
	v_add_f64 v[2:3], v[14:15], -v[2:3]
	v_add_f64 v[4:5], v[16:17], -v[4:5]
	scratch_store_b128 off, v[2:5], off offset:672
	v_cmpx_lt_u32_e32 41, v154
	s_cbranch_execz .LBB55_267
; %bb.266:
	scratch_load_b128 v[5:8], v234, off
	v_mov_b32_e32 v2, v1
	v_mov_b32_e32 v3, v1
	;; [unrolled: 1-line block ×3, first 2 shown]
	scratch_store_b128 off, v[1:4], off offset:656
	s_waitcnt vmcnt(0)
	ds_store_b128 v210, v[5:8]
.LBB55_267:
	s_or_b32 exec_lo, exec_lo, s2
	s_waitcnt lgkmcnt(0)
	s_waitcnt_vscnt null, 0x0
	s_barrier
	buffer_gl0_inv
	s_clause 0x7
	scratch_load_b128 v[2:5], off, off offset:672
	scratch_load_b128 v[6:9], off, off offset:688
	scratch_load_b128 v[10:13], off, off offset:704
	scratch_load_b128 v[14:17], off, off offset:720
	scratch_load_b128 v[18:21], off, off offset:736
	scratch_load_b128 v[22:25], off, off offset:752
	scratch_load_b128 v[26:29], off, off offset:768
	scratch_load_b128 v[30:33], off, off offset:784
	ds_load_b128 v[34:37], v1 offset:1568
	ds_load_b128 v[167:170], v1 offset:1584
	s_clause 0x1
	scratch_load_b128 v[38:41], off, off offset:800
	scratch_load_b128 v[171:174], off, off offset:816
	s_mov_b32 s2, exec_lo
	s_waitcnt vmcnt(9) lgkmcnt(1)
	v_mul_f64 v[44:45], v[36:37], v[4:5]
	v_mul_f64 v[4:5], v[34:35], v[4:5]
	s_waitcnt vmcnt(8) lgkmcnt(0)
	v_mul_f64 v[46:47], v[167:168], v[8:9]
	v_mul_f64 v[8:9], v[169:170], v[8:9]
	s_delay_alu instid0(VALU_DEP_4) | instskip(NEXT) | instid1(VALU_DEP_4)
	v_fma_f64 v[44:45], v[34:35], v[2:3], -v[44:45]
	v_fma_f64 v[48:49], v[36:37], v[2:3], v[4:5]
	scratch_load_b128 v[34:37], off, off offset:832
	ds_load_b128 v[2:5], v1 offset:1600
	v_fma_f64 v[46:47], v[169:170], v[6:7], v[46:47]
	v_fma_f64 v[175:176], v[167:168], v[6:7], -v[8:9]
	ds_load_b128 v[6:9], v1 offset:1616
	scratch_load_b128 v[167:170], off, off offset:848
	s_waitcnt vmcnt(9) lgkmcnt(1)
	v_mul_f64 v[156:157], v[2:3], v[12:13]
	v_mul_f64 v[12:13], v[4:5], v[12:13]
	s_waitcnt vmcnt(8) lgkmcnt(0)
	v_mul_f64 v[177:178], v[6:7], v[16:17]
	v_mul_f64 v[16:17], v[8:9], v[16:17]
	v_add_f64 v[44:45], v[44:45], 0
	v_add_f64 v[48:49], v[48:49], 0
	v_fma_f64 v[156:157], v[4:5], v[10:11], v[156:157]
	v_fma_f64 v[179:180], v[2:3], v[10:11], -v[12:13]
	scratch_load_b128 v[10:13], off, off offset:864
	ds_load_b128 v[2:5], v1 offset:1632
	v_add_f64 v[44:45], v[44:45], v[175:176]
	v_add_f64 v[46:47], v[48:49], v[46:47]
	v_fma_f64 v[175:176], v[8:9], v[14:15], v[177:178]
	v_fma_f64 v[177:178], v[6:7], v[14:15], -v[16:17]
	ds_load_b128 v[6:9], v1 offset:1648
	scratch_load_b128 v[14:17], off, off offset:880
	s_waitcnt vmcnt(9) lgkmcnt(1)
	v_mul_f64 v[48:49], v[2:3], v[20:21]
	v_mul_f64 v[20:21], v[4:5], v[20:21]
	v_add_f64 v[44:45], v[44:45], v[179:180]
	v_add_f64 v[46:47], v[46:47], v[156:157]
	s_waitcnt vmcnt(8) lgkmcnt(0)
	v_mul_f64 v[156:157], v[6:7], v[24:25]
	v_mul_f64 v[24:25], v[8:9], v[24:25]
	v_fma_f64 v[48:49], v[4:5], v[18:19], v[48:49]
	v_fma_f64 v[18:19], v[2:3], v[18:19], -v[20:21]
	ds_load_b128 v[2:5], v1 offset:1664
	v_add_f64 v[20:21], v[44:45], v[177:178]
	v_add_f64 v[44:45], v[46:47], v[175:176]
	v_fma_f64 v[156:157], v[8:9], v[22:23], v[156:157]
	v_fma_f64 v[22:23], v[6:7], v[22:23], -v[24:25]
	ds_load_b128 v[6:9], v1 offset:1680
	s_waitcnt vmcnt(7) lgkmcnt(1)
	v_mul_f64 v[46:47], v[2:3], v[28:29]
	v_mul_f64 v[28:29], v[4:5], v[28:29]
	s_waitcnt vmcnt(6) lgkmcnt(0)
	v_mul_f64 v[24:25], v[6:7], v[32:33]
	v_mul_f64 v[32:33], v[8:9], v[32:33]
	v_add_f64 v[18:19], v[20:21], v[18:19]
	v_add_f64 v[20:21], v[44:45], v[48:49]
	v_fma_f64 v[44:45], v[4:5], v[26:27], v[46:47]
	v_fma_f64 v[26:27], v[2:3], v[26:27], -v[28:29]
	ds_load_b128 v[2:5], v1 offset:1696
	v_fma_f64 v[24:25], v[8:9], v[30:31], v[24:25]
	v_fma_f64 v[30:31], v[6:7], v[30:31], -v[32:33]
	ds_load_b128 v[6:9], v1 offset:1712
	v_add_f64 v[22:23], v[18:19], v[22:23]
	v_add_f64 v[28:29], v[20:21], v[156:157]
	scratch_load_b128 v[18:21], off, off offset:656
	s_waitcnt vmcnt(6) lgkmcnt(1)
	v_mul_f64 v[46:47], v[2:3], v[40:41]
	v_mul_f64 v[40:41], v[4:5], v[40:41]
	s_waitcnt vmcnt(5) lgkmcnt(0)
	v_mul_f64 v[32:33], v[8:9], v[173:174]
	v_add_f64 v[22:23], v[22:23], v[26:27]
	v_add_f64 v[26:27], v[28:29], v[44:45]
	v_mul_f64 v[28:29], v[6:7], v[173:174]
	v_fma_f64 v[44:45], v[4:5], v[38:39], v[46:47]
	v_fma_f64 v[38:39], v[2:3], v[38:39], -v[40:41]
	ds_load_b128 v[2:5], v1 offset:1728
	v_fma_f64 v[32:33], v[6:7], v[171:172], -v[32:33]
	v_add_f64 v[22:23], v[22:23], v[30:31]
	v_add_f64 v[24:25], v[26:27], v[24:25]
	v_fma_f64 v[28:29], v[8:9], v[171:172], v[28:29]
	ds_load_b128 v[6:9], v1 offset:1744
	s_waitcnt vmcnt(4) lgkmcnt(1)
	v_mul_f64 v[26:27], v[2:3], v[36:37]
	v_mul_f64 v[30:31], v[4:5], v[36:37]
	s_waitcnt vmcnt(3) lgkmcnt(0)
	v_mul_f64 v[36:37], v[6:7], v[169:170]
	v_add_f64 v[22:23], v[22:23], v[38:39]
	v_add_f64 v[24:25], v[24:25], v[44:45]
	v_mul_f64 v[38:39], v[8:9], v[169:170]
	v_fma_f64 v[26:27], v[4:5], v[34:35], v[26:27]
	v_fma_f64 v[30:31], v[2:3], v[34:35], -v[30:31]
	ds_load_b128 v[2:5], v1 offset:1760
	v_add_f64 v[22:23], v[22:23], v[32:33]
	v_add_f64 v[24:25], v[24:25], v[28:29]
	v_fma_f64 v[32:33], v[8:9], v[167:168], v[36:37]
	v_fma_f64 v[34:35], v[6:7], v[167:168], -v[38:39]
	ds_load_b128 v[6:9], v1 offset:1776
	s_waitcnt vmcnt(2) lgkmcnt(1)
	v_mul_f64 v[28:29], v[2:3], v[12:13]
	v_mul_f64 v[12:13], v[4:5], v[12:13]
	v_add_f64 v[22:23], v[22:23], v[30:31]
	v_add_f64 v[24:25], v[24:25], v[26:27]
	s_waitcnt vmcnt(1) lgkmcnt(0)
	v_mul_f64 v[26:27], v[6:7], v[16:17]
	v_mul_f64 v[16:17], v[8:9], v[16:17]
	v_fma_f64 v[4:5], v[4:5], v[10:11], v[28:29]
	v_fma_f64 v[1:2], v[2:3], v[10:11], -v[12:13]
	v_add_f64 v[10:11], v[22:23], v[34:35]
	v_add_f64 v[12:13], v[24:25], v[32:33]
	v_fma_f64 v[8:9], v[8:9], v[14:15], v[26:27]
	v_fma_f64 v[6:7], v[6:7], v[14:15], -v[16:17]
	s_delay_alu instid0(VALU_DEP_4) | instskip(NEXT) | instid1(VALU_DEP_4)
	v_add_f64 v[1:2], v[10:11], v[1:2]
	v_add_f64 v[3:4], v[12:13], v[4:5]
	s_delay_alu instid0(VALU_DEP_2) | instskip(NEXT) | instid1(VALU_DEP_2)
	v_add_f64 v[1:2], v[1:2], v[6:7]
	v_add_f64 v[3:4], v[3:4], v[8:9]
	s_waitcnt vmcnt(0)
	s_delay_alu instid0(VALU_DEP_2) | instskip(NEXT) | instid1(VALU_DEP_2)
	v_add_f64 v[1:2], v[18:19], -v[1:2]
	v_add_f64 v[3:4], v[20:21], -v[3:4]
	scratch_store_b128 off, v[1:4], off offset:656
	v_cmpx_lt_u32_e32 40, v154
	s_cbranch_execz .LBB55_269
; %bb.268:
	scratch_load_b128 v[1:4], v235, off
	v_mov_b32_e32 v5, 0
	s_delay_alu instid0(VALU_DEP_1)
	v_mov_b32_e32 v6, v5
	v_mov_b32_e32 v7, v5
	;; [unrolled: 1-line block ×3, first 2 shown]
	scratch_store_b128 off, v[5:8], off offset:640
	s_waitcnt vmcnt(0)
	ds_store_b128 v210, v[1:4]
.LBB55_269:
	s_or_b32 exec_lo, exec_lo, s2
	s_waitcnt lgkmcnt(0)
	s_waitcnt_vscnt null, 0x0
	s_barrier
	buffer_gl0_inv
	s_clause 0x7
	scratch_load_b128 v[2:5], off, off offset:656
	scratch_load_b128 v[6:9], off, off offset:672
	;; [unrolled: 1-line block ×8, first 2 shown]
	v_mov_b32_e32 v1, 0
	s_clause 0x1
	scratch_load_b128 v[38:41], off, off offset:784
	scratch_load_b128 v[171:174], off, off offset:800
	s_mov_b32 s2, exec_lo
	ds_load_b128 v[34:37], v1 offset:1552
	ds_load_b128 v[167:170], v1 offset:1568
	s_waitcnt vmcnt(9) lgkmcnt(1)
	v_mul_f64 v[44:45], v[36:37], v[4:5]
	v_mul_f64 v[4:5], v[34:35], v[4:5]
	s_waitcnt vmcnt(8) lgkmcnt(0)
	v_mul_f64 v[46:47], v[167:168], v[8:9]
	v_mul_f64 v[8:9], v[169:170], v[8:9]
	s_delay_alu instid0(VALU_DEP_4) | instskip(NEXT) | instid1(VALU_DEP_4)
	v_fma_f64 v[44:45], v[34:35], v[2:3], -v[44:45]
	v_fma_f64 v[48:49], v[36:37], v[2:3], v[4:5]
	ds_load_b128 v[2:5], v1 offset:1584
	scratch_load_b128 v[34:37], off, off offset:816
	v_fma_f64 v[46:47], v[169:170], v[6:7], v[46:47]
	v_fma_f64 v[175:176], v[167:168], v[6:7], -v[8:9]
	ds_load_b128 v[6:9], v1 offset:1600
	scratch_load_b128 v[167:170], off, off offset:832
	s_waitcnt vmcnt(9) lgkmcnt(1)
	v_mul_f64 v[156:157], v[2:3], v[12:13]
	v_mul_f64 v[12:13], v[4:5], v[12:13]
	s_waitcnt vmcnt(8) lgkmcnt(0)
	v_mul_f64 v[177:178], v[6:7], v[16:17]
	v_mul_f64 v[16:17], v[8:9], v[16:17]
	v_add_f64 v[44:45], v[44:45], 0
	v_add_f64 v[48:49], v[48:49], 0
	v_fma_f64 v[156:157], v[4:5], v[10:11], v[156:157]
	v_fma_f64 v[179:180], v[2:3], v[10:11], -v[12:13]
	scratch_load_b128 v[10:13], off, off offset:848
	ds_load_b128 v[2:5], v1 offset:1616
	v_add_f64 v[44:45], v[44:45], v[175:176]
	v_add_f64 v[46:47], v[48:49], v[46:47]
	v_fma_f64 v[175:176], v[8:9], v[14:15], v[177:178]
	v_fma_f64 v[177:178], v[6:7], v[14:15], -v[16:17]
	ds_load_b128 v[6:9], v1 offset:1632
	scratch_load_b128 v[14:17], off, off offset:864
	s_waitcnt vmcnt(9) lgkmcnt(1)
	v_mul_f64 v[48:49], v[2:3], v[20:21]
	v_mul_f64 v[20:21], v[4:5], v[20:21]
	v_add_f64 v[44:45], v[44:45], v[179:180]
	v_add_f64 v[46:47], v[46:47], v[156:157]
	s_waitcnt vmcnt(8) lgkmcnt(0)
	v_mul_f64 v[156:157], v[6:7], v[24:25]
	v_mul_f64 v[24:25], v[8:9], v[24:25]
	v_fma_f64 v[48:49], v[4:5], v[18:19], v[48:49]
	v_fma_f64 v[179:180], v[2:3], v[18:19], -v[20:21]
	scratch_load_b128 v[18:21], off, off offset:880
	ds_load_b128 v[2:5], v1 offset:1648
	v_add_f64 v[44:45], v[44:45], v[177:178]
	v_add_f64 v[46:47], v[46:47], v[175:176]
	v_fma_f64 v[156:157], v[8:9], v[22:23], v[156:157]
	v_fma_f64 v[22:23], v[6:7], v[22:23], -v[24:25]
	ds_load_b128 v[6:9], v1 offset:1664
	s_waitcnt vmcnt(8) lgkmcnt(1)
	v_mul_f64 v[175:176], v[2:3], v[28:29]
	v_mul_f64 v[28:29], v[4:5], v[28:29]
	v_add_f64 v[24:25], v[44:45], v[179:180]
	v_add_f64 v[44:45], v[46:47], v[48:49]
	s_waitcnt vmcnt(7) lgkmcnt(0)
	v_mul_f64 v[46:47], v[6:7], v[32:33]
	v_mul_f64 v[32:33], v[8:9], v[32:33]
	v_fma_f64 v[48:49], v[4:5], v[26:27], v[175:176]
	v_fma_f64 v[26:27], v[2:3], v[26:27], -v[28:29]
	ds_load_b128 v[2:5], v1 offset:1680
	v_add_f64 v[22:23], v[24:25], v[22:23]
	v_add_f64 v[24:25], v[44:45], v[156:157]
	v_fma_f64 v[44:45], v[8:9], v[30:31], v[46:47]
	v_fma_f64 v[30:31], v[6:7], v[30:31], -v[32:33]
	ds_load_b128 v[6:9], v1 offset:1696
	s_waitcnt vmcnt(5) lgkmcnt(0)
	v_mul_f64 v[46:47], v[6:7], v[173:174]
	v_add_f64 v[26:27], v[22:23], v[26:27]
	v_add_f64 v[32:33], v[24:25], v[48:49]
	scratch_load_b128 v[22:25], off, off offset:640
	v_mul_f64 v[28:29], v[2:3], v[40:41]
	v_mul_f64 v[40:41], v[4:5], v[40:41]
	;; [unrolled: 1-line block ×3, first 2 shown]
	v_add_f64 v[26:27], v[26:27], v[30:31]
	v_add_f64 v[30:31], v[32:33], v[44:45]
	v_fma_f64 v[28:29], v[4:5], v[38:39], v[28:29]
	v_fma_f64 v[38:39], v[2:3], v[38:39], -v[40:41]
	ds_load_b128 v[2:5], v1 offset:1712
	v_fma_f64 v[40:41], v[8:9], v[171:172], v[46:47]
	v_fma_f64 v[44:45], v[6:7], v[171:172], -v[48:49]
	ds_load_b128 v[6:9], v1 offset:1728
	s_waitcnt vmcnt(5) lgkmcnt(1)
	v_mul_f64 v[32:33], v[2:3], v[36:37]
	v_mul_f64 v[36:37], v[4:5], v[36:37]
	v_add_f64 v[28:29], v[30:31], v[28:29]
	v_add_f64 v[26:27], v[26:27], v[38:39]
	s_waitcnt vmcnt(4) lgkmcnt(0)
	v_mul_f64 v[30:31], v[6:7], v[169:170]
	v_mul_f64 v[38:39], v[8:9], v[169:170]
	v_fma_f64 v[32:33], v[4:5], v[34:35], v[32:33]
	v_fma_f64 v[34:35], v[2:3], v[34:35], -v[36:37]
	ds_load_b128 v[2:5], v1 offset:1744
	v_add_f64 v[28:29], v[28:29], v[40:41]
	v_add_f64 v[26:27], v[26:27], v[44:45]
	v_fma_f64 v[30:31], v[8:9], v[167:168], v[30:31]
	v_fma_f64 v[38:39], v[6:7], v[167:168], -v[38:39]
	ds_load_b128 v[6:9], v1 offset:1760
	s_waitcnt vmcnt(3) lgkmcnt(1)
	v_mul_f64 v[36:37], v[2:3], v[12:13]
	v_mul_f64 v[12:13], v[4:5], v[12:13]
	v_add_f64 v[28:29], v[28:29], v[32:33]
	v_add_f64 v[26:27], v[26:27], v[34:35]
	s_waitcnt vmcnt(2) lgkmcnt(0)
	v_mul_f64 v[32:33], v[6:7], v[16:17]
	v_mul_f64 v[16:17], v[8:9], v[16:17]
	v_fma_f64 v[34:35], v[4:5], v[10:11], v[36:37]
	v_fma_f64 v[10:11], v[2:3], v[10:11], -v[12:13]
	ds_load_b128 v[2:5], v1 offset:1776
	v_add_f64 v[12:13], v[26:27], v[38:39]
	v_add_f64 v[26:27], v[28:29], v[30:31]
	s_waitcnt vmcnt(1) lgkmcnt(0)
	v_mul_f64 v[28:29], v[2:3], v[20:21]
	v_mul_f64 v[20:21], v[4:5], v[20:21]
	v_fma_f64 v[8:9], v[8:9], v[14:15], v[32:33]
	v_fma_f64 v[6:7], v[6:7], v[14:15], -v[16:17]
	v_add_f64 v[10:11], v[12:13], v[10:11]
	v_add_f64 v[12:13], v[26:27], v[34:35]
	v_fma_f64 v[4:5], v[4:5], v[18:19], v[28:29]
	v_fma_f64 v[2:3], v[2:3], v[18:19], -v[20:21]
	s_delay_alu instid0(VALU_DEP_4) | instskip(NEXT) | instid1(VALU_DEP_4)
	v_add_f64 v[6:7], v[10:11], v[6:7]
	v_add_f64 v[8:9], v[12:13], v[8:9]
	s_delay_alu instid0(VALU_DEP_2) | instskip(NEXT) | instid1(VALU_DEP_2)
	v_add_f64 v[2:3], v[6:7], v[2:3]
	v_add_f64 v[4:5], v[8:9], v[4:5]
	s_waitcnt vmcnt(0)
	s_delay_alu instid0(VALU_DEP_2) | instskip(NEXT) | instid1(VALU_DEP_2)
	v_add_f64 v[2:3], v[22:23], -v[2:3]
	v_add_f64 v[4:5], v[24:25], -v[4:5]
	scratch_store_b128 off, v[2:5], off offset:640
	v_cmpx_lt_u32_e32 39, v154
	s_cbranch_execz .LBB55_271
; %bb.270:
	scratch_load_b128 v[5:8], v237, off
	v_mov_b32_e32 v2, v1
	v_mov_b32_e32 v3, v1
	;; [unrolled: 1-line block ×3, first 2 shown]
	scratch_store_b128 off, v[1:4], off offset:624
	s_waitcnt vmcnt(0)
	ds_store_b128 v210, v[5:8]
.LBB55_271:
	s_or_b32 exec_lo, exec_lo, s2
	s_waitcnt lgkmcnt(0)
	s_waitcnt_vscnt null, 0x0
	s_barrier
	buffer_gl0_inv
	s_clause 0x7
	scratch_load_b128 v[2:5], off, off offset:640
	scratch_load_b128 v[6:9], off, off offset:656
	;; [unrolled: 1-line block ×8, first 2 shown]
	ds_load_b128 v[34:37], v1 offset:1536
	ds_load_b128 v[167:170], v1 offset:1552
	s_clause 0x1
	scratch_load_b128 v[38:41], off, off offset:768
	scratch_load_b128 v[171:174], off, off offset:784
	s_mov_b32 s2, exec_lo
	s_waitcnt vmcnt(9) lgkmcnt(1)
	v_mul_f64 v[44:45], v[36:37], v[4:5]
	v_mul_f64 v[4:5], v[34:35], v[4:5]
	s_waitcnt vmcnt(8) lgkmcnt(0)
	v_mul_f64 v[46:47], v[167:168], v[8:9]
	v_mul_f64 v[8:9], v[169:170], v[8:9]
	s_delay_alu instid0(VALU_DEP_4) | instskip(NEXT) | instid1(VALU_DEP_4)
	v_fma_f64 v[44:45], v[34:35], v[2:3], -v[44:45]
	v_fma_f64 v[48:49], v[36:37], v[2:3], v[4:5]
	ds_load_b128 v[2:5], v1 offset:1568
	scratch_load_b128 v[34:37], off, off offset:800
	v_fma_f64 v[46:47], v[169:170], v[6:7], v[46:47]
	v_fma_f64 v[175:176], v[167:168], v[6:7], -v[8:9]
	ds_load_b128 v[6:9], v1 offset:1584
	scratch_load_b128 v[167:170], off, off offset:816
	s_waitcnt vmcnt(9) lgkmcnt(1)
	v_mul_f64 v[156:157], v[2:3], v[12:13]
	v_mul_f64 v[12:13], v[4:5], v[12:13]
	s_waitcnt vmcnt(8) lgkmcnt(0)
	v_mul_f64 v[177:178], v[6:7], v[16:17]
	v_mul_f64 v[16:17], v[8:9], v[16:17]
	v_add_f64 v[44:45], v[44:45], 0
	v_add_f64 v[48:49], v[48:49], 0
	v_fma_f64 v[156:157], v[4:5], v[10:11], v[156:157]
	v_fma_f64 v[179:180], v[2:3], v[10:11], -v[12:13]
	scratch_load_b128 v[10:13], off, off offset:832
	ds_load_b128 v[2:5], v1 offset:1600
	v_add_f64 v[44:45], v[44:45], v[175:176]
	v_add_f64 v[46:47], v[48:49], v[46:47]
	v_fma_f64 v[175:176], v[8:9], v[14:15], v[177:178]
	v_fma_f64 v[177:178], v[6:7], v[14:15], -v[16:17]
	ds_load_b128 v[6:9], v1 offset:1616
	scratch_load_b128 v[14:17], off, off offset:848
	s_waitcnt vmcnt(9) lgkmcnt(1)
	v_mul_f64 v[48:49], v[2:3], v[20:21]
	v_mul_f64 v[20:21], v[4:5], v[20:21]
	v_add_f64 v[44:45], v[44:45], v[179:180]
	v_add_f64 v[46:47], v[46:47], v[156:157]
	s_waitcnt vmcnt(8) lgkmcnt(0)
	v_mul_f64 v[156:157], v[6:7], v[24:25]
	v_mul_f64 v[24:25], v[8:9], v[24:25]
	v_fma_f64 v[48:49], v[4:5], v[18:19], v[48:49]
	v_fma_f64 v[179:180], v[2:3], v[18:19], -v[20:21]
	scratch_load_b128 v[18:21], off, off offset:864
	ds_load_b128 v[2:5], v1 offset:1632
	v_add_f64 v[44:45], v[44:45], v[177:178]
	v_add_f64 v[46:47], v[46:47], v[175:176]
	v_fma_f64 v[156:157], v[8:9], v[22:23], v[156:157]
	v_fma_f64 v[177:178], v[6:7], v[22:23], -v[24:25]
	ds_load_b128 v[6:9], v1 offset:1648
	s_waitcnt vmcnt(8) lgkmcnt(1)
	v_mul_f64 v[175:176], v[2:3], v[28:29]
	v_mul_f64 v[28:29], v[4:5], v[28:29]
	scratch_load_b128 v[22:25], off, off offset:880
	v_add_f64 v[44:45], v[44:45], v[179:180]
	v_add_f64 v[46:47], v[46:47], v[48:49]
	s_waitcnt vmcnt(8) lgkmcnt(0)
	v_mul_f64 v[48:49], v[6:7], v[32:33]
	v_mul_f64 v[32:33], v[8:9], v[32:33]
	v_fma_f64 v[175:176], v[4:5], v[26:27], v[175:176]
	v_fma_f64 v[26:27], v[2:3], v[26:27], -v[28:29]
	ds_load_b128 v[2:5], v1 offset:1664
	v_add_f64 v[28:29], v[44:45], v[177:178]
	v_add_f64 v[44:45], v[46:47], v[156:157]
	v_fma_f64 v[48:49], v[8:9], v[30:31], v[48:49]
	v_fma_f64 v[30:31], v[6:7], v[30:31], -v[32:33]
	ds_load_b128 v[6:9], v1 offset:1680
	s_waitcnt vmcnt(7) lgkmcnt(1)
	v_mul_f64 v[46:47], v[2:3], v[40:41]
	v_mul_f64 v[40:41], v[4:5], v[40:41]
	v_add_f64 v[26:27], v[28:29], v[26:27]
	v_add_f64 v[28:29], v[44:45], v[175:176]
	s_delay_alu instid0(VALU_DEP_4) | instskip(NEXT) | instid1(VALU_DEP_4)
	v_fma_f64 v[46:47], v[4:5], v[38:39], v[46:47]
	v_fma_f64 v[38:39], v[2:3], v[38:39], -v[40:41]
	ds_load_b128 v[2:5], v1 offset:1696
	v_add_f64 v[30:31], v[26:27], v[30:31]
	v_add_f64 v[40:41], v[28:29], v[48:49]
	scratch_load_b128 v[26:29], off, off offset:624
	s_waitcnt vmcnt(7) lgkmcnt(1)
	v_mul_f64 v[32:33], v[6:7], v[173:174]
	v_mul_f64 v[44:45], v[8:9], v[173:174]
	v_add_f64 v[30:31], v[30:31], v[38:39]
	v_add_f64 v[38:39], v[40:41], v[46:47]
	s_delay_alu instid0(VALU_DEP_4) | instskip(NEXT) | instid1(VALU_DEP_4)
	v_fma_f64 v[32:33], v[8:9], v[171:172], v[32:33]
	v_fma_f64 v[44:45], v[6:7], v[171:172], -v[44:45]
	ds_load_b128 v[6:9], v1 offset:1712
	s_waitcnt vmcnt(6) lgkmcnt(1)
	v_mul_f64 v[48:49], v[2:3], v[36:37]
	v_mul_f64 v[36:37], v[4:5], v[36:37]
	s_waitcnt vmcnt(5) lgkmcnt(0)
	v_mul_f64 v[40:41], v[6:7], v[169:170]
	v_mul_f64 v[46:47], v[8:9], v[169:170]
	v_add_f64 v[32:33], v[38:39], v[32:33]
	v_add_f64 v[30:31], v[30:31], v[44:45]
	v_fma_f64 v[48:49], v[4:5], v[34:35], v[48:49]
	v_fma_f64 v[34:35], v[2:3], v[34:35], -v[36:37]
	ds_load_b128 v[2:5], v1 offset:1728
	v_fma_f64 v[38:39], v[8:9], v[167:168], v[40:41]
	v_fma_f64 v[40:41], v[6:7], v[167:168], -v[46:47]
	ds_load_b128 v[6:9], v1 offset:1744
	s_waitcnt vmcnt(4) lgkmcnt(1)
	v_mul_f64 v[36:37], v[2:3], v[12:13]
	v_mul_f64 v[12:13], v[4:5], v[12:13]
	v_add_f64 v[32:33], v[32:33], v[48:49]
	v_add_f64 v[30:31], v[30:31], v[34:35]
	s_waitcnt vmcnt(3) lgkmcnt(0)
	v_mul_f64 v[34:35], v[6:7], v[16:17]
	v_mul_f64 v[16:17], v[8:9], v[16:17]
	v_fma_f64 v[36:37], v[4:5], v[10:11], v[36:37]
	v_fma_f64 v[10:11], v[2:3], v[10:11], -v[12:13]
	ds_load_b128 v[2:5], v1 offset:1760
	v_add_f64 v[12:13], v[30:31], v[40:41]
	v_add_f64 v[30:31], v[32:33], v[38:39]
	v_fma_f64 v[34:35], v[8:9], v[14:15], v[34:35]
	v_fma_f64 v[14:15], v[6:7], v[14:15], -v[16:17]
	ds_load_b128 v[6:9], v1 offset:1776
	s_waitcnt vmcnt(2) lgkmcnt(1)
	v_mul_f64 v[32:33], v[2:3], v[20:21]
	v_mul_f64 v[20:21], v[4:5], v[20:21]
	s_waitcnt vmcnt(1) lgkmcnt(0)
	v_mul_f64 v[16:17], v[6:7], v[24:25]
	v_mul_f64 v[24:25], v[8:9], v[24:25]
	v_add_f64 v[10:11], v[12:13], v[10:11]
	v_add_f64 v[12:13], v[30:31], v[36:37]
	v_fma_f64 v[4:5], v[4:5], v[18:19], v[32:33]
	v_fma_f64 v[1:2], v[2:3], v[18:19], -v[20:21]
	v_fma_f64 v[8:9], v[8:9], v[22:23], v[16:17]
	v_fma_f64 v[6:7], v[6:7], v[22:23], -v[24:25]
	v_add_f64 v[10:11], v[10:11], v[14:15]
	v_add_f64 v[12:13], v[12:13], v[34:35]
	s_delay_alu instid0(VALU_DEP_2) | instskip(NEXT) | instid1(VALU_DEP_2)
	v_add_f64 v[1:2], v[10:11], v[1:2]
	v_add_f64 v[3:4], v[12:13], v[4:5]
	s_delay_alu instid0(VALU_DEP_2) | instskip(NEXT) | instid1(VALU_DEP_2)
	v_add_f64 v[1:2], v[1:2], v[6:7]
	v_add_f64 v[3:4], v[3:4], v[8:9]
	s_waitcnt vmcnt(0)
	s_delay_alu instid0(VALU_DEP_2) | instskip(NEXT) | instid1(VALU_DEP_2)
	v_add_f64 v[1:2], v[26:27], -v[1:2]
	v_add_f64 v[3:4], v[28:29], -v[3:4]
	scratch_store_b128 off, v[1:4], off offset:624
	v_cmpx_lt_u32_e32 38, v154
	s_cbranch_execz .LBB55_273
; %bb.272:
	scratch_load_b128 v[1:4], v236, off
	v_mov_b32_e32 v5, 0
	s_delay_alu instid0(VALU_DEP_1)
	v_mov_b32_e32 v6, v5
	v_mov_b32_e32 v7, v5
	;; [unrolled: 1-line block ×3, first 2 shown]
	scratch_store_b128 off, v[5:8], off offset:608
	s_waitcnt vmcnt(0)
	ds_store_b128 v210, v[1:4]
.LBB55_273:
	s_or_b32 exec_lo, exec_lo, s2
	s_waitcnt lgkmcnt(0)
	s_waitcnt_vscnt null, 0x0
	s_barrier
	buffer_gl0_inv
	s_clause 0x7
	scratch_load_b128 v[2:5], off, off offset:624
	scratch_load_b128 v[6:9], off, off offset:640
	;; [unrolled: 1-line block ×8, first 2 shown]
	v_mov_b32_e32 v1, 0
	s_clause 0x1
	scratch_load_b128 v[38:41], off, off offset:752
	scratch_load_b128 v[171:174], off, off offset:768
	s_mov_b32 s2, exec_lo
	ds_load_b128 v[34:37], v1 offset:1520
	ds_load_b128 v[167:170], v1 offset:1536
	s_waitcnt vmcnt(9) lgkmcnt(1)
	v_mul_f64 v[44:45], v[36:37], v[4:5]
	v_mul_f64 v[4:5], v[34:35], v[4:5]
	s_waitcnt vmcnt(8) lgkmcnt(0)
	v_mul_f64 v[46:47], v[167:168], v[8:9]
	v_mul_f64 v[8:9], v[169:170], v[8:9]
	s_delay_alu instid0(VALU_DEP_4) | instskip(NEXT) | instid1(VALU_DEP_4)
	v_fma_f64 v[44:45], v[34:35], v[2:3], -v[44:45]
	v_fma_f64 v[48:49], v[36:37], v[2:3], v[4:5]
	ds_load_b128 v[2:5], v1 offset:1552
	v_fma_f64 v[46:47], v[169:170], v[6:7], v[46:47]
	v_fma_f64 v[175:176], v[167:168], v[6:7], -v[8:9]
	ds_load_b128 v[6:9], v1 offset:1568
	s_clause 0x1
	scratch_load_b128 v[34:37], off, off offset:784
	scratch_load_b128 v[167:170], off, off offset:800
	s_waitcnt vmcnt(9) lgkmcnt(1)
	v_mul_f64 v[156:157], v[2:3], v[12:13]
	v_mul_f64 v[12:13], v[4:5], v[12:13]
	s_waitcnt vmcnt(8) lgkmcnt(0)
	v_mul_f64 v[177:178], v[6:7], v[16:17]
	v_mul_f64 v[16:17], v[8:9], v[16:17]
	v_add_f64 v[44:45], v[44:45], 0
	v_add_f64 v[48:49], v[48:49], 0
	v_fma_f64 v[156:157], v[4:5], v[10:11], v[156:157]
	v_fma_f64 v[179:180], v[2:3], v[10:11], -v[12:13]
	scratch_load_b128 v[10:13], off, off offset:816
	ds_load_b128 v[2:5], v1 offset:1584
	v_add_f64 v[44:45], v[44:45], v[175:176]
	v_add_f64 v[46:47], v[48:49], v[46:47]
	v_fma_f64 v[175:176], v[8:9], v[14:15], v[177:178]
	v_fma_f64 v[177:178], v[6:7], v[14:15], -v[16:17]
	ds_load_b128 v[6:9], v1 offset:1600
	scratch_load_b128 v[14:17], off, off offset:832
	s_waitcnt vmcnt(9) lgkmcnt(1)
	v_mul_f64 v[48:49], v[2:3], v[20:21]
	v_mul_f64 v[20:21], v[4:5], v[20:21]
	v_add_f64 v[44:45], v[44:45], v[179:180]
	v_add_f64 v[46:47], v[46:47], v[156:157]
	s_waitcnt vmcnt(8) lgkmcnt(0)
	v_mul_f64 v[156:157], v[6:7], v[24:25]
	v_mul_f64 v[24:25], v[8:9], v[24:25]
	v_fma_f64 v[48:49], v[4:5], v[18:19], v[48:49]
	v_fma_f64 v[179:180], v[2:3], v[18:19], -v[20:21]
	scratch_load_b128 v[18:21], off, off offset:848
	ds_load_b128 v[2:5], v1 offset:1616
	v_add_f64 v[44:45], v[44:45], v[177:178]
	v_add_f64 v[46:47], v[46:47], v[175:176]
	v_fma_f64 v[156:157], v[8:9], v[22:23], v[156:157]
	v_fma_f64 v[177:178], v[6:7], v[22:23], -v[24:25]
	ds_load_b128 v[6:9], v1 offset:1632
	s_waitcnt vmcnt(8) lgkmcnt(1)
	v_mul_f64 v[175:176], v[2:3], v[28:29]
	v_mul_f64 v[28:29], v[4:5], v[28:29]
	scratch_load_b128 v[22:25], off, off offset:864
	v_add_f64 v[44:45], v[44:45], v[179:180]
	v_add_f64 v[46:47], v[46:47], v[48:49]
	s_waitcnt vmcnt(8) lgkmcnt(0)
	v_mul_f64 v[48:49], v[6:7], v[32:33]
	v_mul_f64 v[32:33], v[8:9], v[32:33]
	v_fma_f64 v[175:176], v[4:5], v[26:27], v[175:176]
	v_fma_f64 v[179:180], v[2:3], v[26:27], -v[28:29]
	scratch_load_b128 v[26:29], off, off offset:880
	ds_load_b128 v[2:5], v1 offset:1648
	v_add_f64 v[44:45], v[44:45], v[177:178]
	v_add_f64 v[46:47], v[46:47], v[156:157]
	v_fma_f64 v[48:49], v[8:9], v[30:31], v[48:49]
	v_fma_f64 v[30:31], v[6:7], v[30:31], -v[32:33]
	ds_load_b128 v[6:9], v1 offset:1664
	s_waitcnt vmcnt(8) lgkmcnt(1)
	v_mul_f64 v[156:157], v[2:3], v[40:41]
	v_mul_f64 v[40:41], v[4:5], v[40:41]
	v_add_f64 v[32:33], v[44:45], v[179:180]
	v_add_f64 v[44:45], v[46:47], v[175:176]
	s_delay_alu instid0(VALU_DEP_4) | instskip(NEXT) | instid1(VALU_DEP_4)
	v_fma_f64 v[156:157], v[4:5], v[38:39], v[156:157]
	v_fma_f64 v[38:39], v[2:3], v[38:39], -v[40:41]
	ds_load_b128 v[2:5], v1 offset:1680
	v_add_f64 v[30:31], v[32:33], v[30:31]
	v_add_f64 v[32:33], v[44:45], v[48:49]
	s_delay_alu instid0(VALU_DEP_2) | instskip(NEXT) | instid1(VALU_DEP_2)
	v_add_f64 v[38:39], v[30:31], v[38:39]
	v_add_f64 v[48:49], v[32:33], v[156:157]
	scratch_load_b128 v[30:33], off, off offset:608
	s_waitcnt vmcnt(8) lgkmcnt(1)
	v_mul_f64 v[46:47], v[6:7], v[173:174]
	v_mul_f64 v[173:174], v[8:9], v[173:174]
	s_delay_alu instid0(VALU_DEP_2) | instskip(NEXT) | instid1(VALU_DEP_2)
	v_fma_f64 v[44:45], v[8:9], v[171:172], v[46:47]
	v_fma_f64 v[46:47], v[6:7], v[171:172], -v[173:174]
	ds_load_b128 v[6:9], v1 offset:1696
	s_waitcnt vmcnt(7) lgkmcnt(1)
	v_mul_f64 v[40:41], v[2:3], v[36:37]
	v_mul_f64 v[36:37], v[4:5], v[36:37]
	s_waitcnt vmcnt(6) lgkmcnt(0)
	v_mul_f64 v[156:157], v[6:7], v[169:170]
	v_mul_f64 v[169:170], v[8:9], v[169:170]
	s_delay_alu instid0(VALU_DEP_4) | instskip(NEXT) | instid1(VALU_DEP_4)
	v_fma_f64 v[40:41], v[4:5], v[34:35], v[40:41]
	v_fma_f64 v[34:35], v[2:3], v[34:35], -v[36:37]
	v_add_f64 v[36:37], v[38:39], v[46:47]
	v_add_f64 v[38:39], v[48:49], v[44:45]
	ds_load_b128 v[2:5], v1 offset:1712
	v_fma_f64 v[46:47], v[8:9], v[167:168], v[156:157]
	v_fma_f64 v[48:49], v[6:7], v[167:168], -v[169:170]
	ds_load_b128 v[6:9], v1 offset:1728
	s_waitcnt vmcnt(5) lgkmcnt(1)
	v_mul_f64 v[44:45], v[2:3], v[12:13]
	v_mul_f64 v[12:13], v[4:5], v[12:13]
	v_add_f64 v[34:35], v[36:37], v[34:35]
	v_add_f64 v[36:37], v[38:39], v[40:41]
	s_waitcnt vmcnt(4) lgkmcnt(0)
	v_mul_f64 v[38:39], v[6:7], v[16:17]
	v_mul_f64 v[16:17], v[8:9], v[16:17]
	v_fma_f64 v[40:41], v[4:5], v[10:11], v[44:45]
	v_fma_f64 v[10:11], v[2:3], v[10:11], -v[12:13]
	ds_load_b128 v[2:5], v1 offset:1744
	v_add_f64 v[12:13], v[34:35], v[48:49]
	v_add_f64 v[34:35], v[36:37], v[46:47]
	v_fma_f64 v[38:39], v[8:9], v[14:15], v[38:39]
	v_fma_f64 v[14:15], v[6:7], v[14:15], -v[16:17]
	ds_load_b128 v[6:9], v1 offset:1760
	s_waitcnt vmcnt(3) lgkmcnt(1)
	v_mul_f64 v[36:37], v[2:3], v[20:21]
	v_mul_f64 v[20:21], v[4:5], v[20:21]
	s_waitcnt vmcnt(2) lgkmcnt(0)
	v_mul_f64 v[16:17], v[6:7], v[24:25]
	v_mul_f64 v[24:25], v[8:9], v[24:25]
	v_add_f64 v[10:11], v[12:13], v[10:11]
	v_add_f64 v[12:13], v[34:35], v[40:41]
	v_fma_f64 v[34:35], v[4:5], v[18:19], v[36:37]
	v_fma_f64 v[18:19], v[2:3], v[18:19], -v[20:21]
	ds_load_b128 v[2:5], v1 offset:1776
	v_fma_f64 v[8:9], v[8:9], v[22:23], v[16:17]
	v_fma_f64 v[6:7], v[6:7], v[22:23], -v[24:25]
	s_waitcnt vmcnt(1) lgkmcnt(0)
	v_mul_f64 v[20:21], v[4:5], v[28:29]
	v_add_f64 v[10:11], v[10:11], v[14:15]
	v_add_f64 v[12:13], v[12:13], v[38:39]
	v_mul_f64 v[14:15], v[2:3], v[28:29]
	s_delay_alu instid0(VALU_DEP_4) | instskip(NEXT) | instid1(VALU_DEP_4)
	v_fma_f64 v[2:3], v[2:3], v[26:27], -v[20:21]
	v_add_f64 v[10:11], v[10:11], v[18:19]
	s_delay_alu instid0(VALU_DEP_4) | instskip(NEXT) | instid1(VALU_DEP_4)
	v_add_f64 v[12:13], v[12:13], v[34:35]
	v_fma_f64 v[4:5], v[4:5], v[26:27], v[14:15]
	s_delay_alu instid0(VALU_DEP_3) | instskip(NEXT) | instid1(VALU_DEP_3)
	v_add_f64 v[6:7], v[10:11], v[6:7]
	v_add_f64 v[8:9], v[12:13], v[8:9]
	s_delay_alu instid0(VALU_DEP_2) | instskip(NEXT) | instid1(VALU_DEP_2)
	v_add_f64 v[2:3], v[6:7], v[2:3]
	v_add_f64 v[4:5], v[8:9], v[4:5]
	s_waitcnt vmcnt(0)
	s_delay_alu instid0(VALU_DEP_2) | instskip(NEXT) | instid1(VALU_DEP_2)
	v_add_f64 v[2:3], v[30:31], -v[2:3]
	v_add_f64 v[4:5], v[32:33], -v[4:5]
	scratch_store_b128 off, v[2:5], off offset:608
	v_cmpx_lt_u32_e32 37, v154
	s_cbranch_execz .LBB55_275
; %bb.274:
	scratch_load_b128 v[5:8], v230, off
	v_mov_b32_e32 v2, v1
	v_mov_b32_e32 v3, v1
	;; [unrolled: 1-line block ×3, first 2 shown]
	scratch_store_b128 off, v[1:4], off offset:592
	s_waitcnt vmcnt(0)
	ds_store_b128 v210, v[5:8]
.LBB55_275:
	s_or_b32 exec_lo, exec_lo, s2
	s_waitcnt lgkmcnt(0)
	s_waitcnt_vscnt null, 0x0
	s_barrier
	buffer_gl0_inv
	s_clause 0x7
	scratch_load_b128 v[2:5], off, off offset:608
	scratch_load_b128 v[6:9], off, off offset:624
	;; [unrolled: 1-line block ×8, first 2 shown]
	ds_load_b128 v[34:37], v1 offset:1504
	ds_load_b128 v[167:170], v1 offset:1520
	s_clause 0x1
	scratch_load_b128 v[38:41], off, off offset:736
	scratch_load_b128 v[171:174], off, off offset:752
	s_mov_b32 s2, exec_lo
	s_waitcnt vmcnt(9) lgkmcnt(1)
	v_mul_f64 v[44:45], v[36:37], v[4:5]
	v_mul_f64 v[4:5], v[34:35], v[4:5]
	s_waitcnt vmcnt(8) lgkmcnt(0)
	v_mul_f64 v[46:47], v[167:168], v[8:9]
	v_mul_f64 v[8:9], v[169:170], v[8:9]
	s_delay_alu instid0(VALU_DEP_4) | instskip(NEXT) | instid1(VALU_DEP_4)
	v_fma_f64 v[44:45], v[34:35], v[2:3], -v[44:45]
	v_fma_f64 v[48:49], v[36:37], v[2:3], v[4:5]
	ds_load_b128 v[2:5], v1 offset:1536
	scratch_load_b128 v[34:37], off, off offset:768
	v_fma_f64 v[46:47], v[169:170], v[6:7], v[46:47]
	v_fma_f64 v[175:176], v[167:168], v[6:7], -v[8:9]
	scratch_load_b128 v[167:170], off, off offset:784
	ds_load_b128 v[6:9], v1 offset:1552
	s_waitcnt vmcnt(9) lgkmcnt(1)
	v_mul_f64 v[156:157], v[2:3], v[12:13]
	v_mul_f64 v[12:13], v[4:5], v[12:13]
	s_waitcnt vmcnt(8) lgkmcnt(0)
	v_mul_f64 v[177:178], v[6:7], v[16:17]
	v_mul_f64 v[16:17], v[8:9], v[16:17]
	v_add_f64 v[44:45], v[44:45], 0
	v_add_f64 v[48:49], v[48:49], 0
	v_fma_f64 v[156:157], v[4:5], v[10:11], v[156:157]
	v_fma_f64 v[179:180], v[2:3], v[10:11], -v[12:13]
	ds_load_b128 v[2:5], v1 offset:1568
	scratch_load_b128 v[10:13], off, off offset:800
	v_add_f64 v[44:45], v[44:45], v[175:176]
	v_add_f64 v[46:47], v[48:49], v[46:47]
	v_fma_f64 v[175:176], v[8:9], v[14:15], v[177:178]
	v_fma_f64 v[177:178], v[6:7], v[14:15], -v[16:17]
	ds_load_b128 v[6:9], v1 offset:1584
	scratch_load_b128 v[14:17], off, off offset:816
	s_waitcnt vmcnt(9) lgkmcnt(1)
	v_mul_f64 v[48:49], v[2:3], v[20:21]
	v_mul_f64 v[20:21], v[4:5], v[20:21]
	v_add_f64 v[44:45], v[44:45], v[179:180]
	v_add_f64 v[46:47], v[46:47], v[156:157]
	s_waitcnt vmcnt(8) lgkmcnt(0)
	v_mul_f64 v[156:157], v[6:7], v[24:25]
	v_mul_f64 v[24:25], v[8:9], v[24:25]
	v_fma_f64 v[48:49], v[4:5], v[18:19], v[48:49]
	v_fma_f64 v[179:180], v[2:3], v[18:19], -v[20:21]
	scratch_load_b128 v[18:21], off, off offset:832
	ds_load_b128 v[2:5], v1 offset:1600
	v_add_f64 v[44:45], v[44:45], v[177:178]
	v_add_f64 v[46:47], v[46:47], v[175:176]
	v_fma_f64 v[156:157], v[8:9], v[22:23], v[156:157]
	v_fma_f64 v[177:178], v[6:7], v[22:23], -v[24:25]
	ds_load_b128 v[6:9], v1 offset:1616
	s_waitcnt vmcnt(8) lgkmcnt(1)
	v_mul_f64 v[175:176], v[2:3], v[28:29]
	v_mul_f64 v[28:29], v[4:5], v[28:29]
	scratch_load_b128 v[22:25], off, off offset:848
	v_add_f64 v[44:45], v[44:45], v[179:180]
	v_add_f64 v[46:47], v[46:47], v[48:49]
	s_waitcnt vmcnt(8) lgkmcnt(0)
	v_mul_f64 v[48:49], v[6:7], v[32:33]
	v_mul_f64 v[32:33], v[8:9], v[32:33]
	v_fma_f64 v[175:176], v[4:5], v[26:27], v[175:176]
	v_fma_f64 v[179:180], v[2:3], v[26:27], -v[28:29]
	scratch_load_b128 v[26:29], off, off offset:864
	ds_load_b128 v[2:5], v1 offset:1632
	v_add_f64 v[44:45], v[44:45], v[177:178]
	v_add_f64 v[46:47], v[46:47], v[156:157]
	v_fma_f64 v[48:49], v[8:9], v[30:31], v[48:49]
	v_fma_f64 v[177:178], v[6:7], v[30:31], -v[32:33]
	ds_load_b128 v[6:9], v1 offset:1648
	s_waitcnt vmcnt(8) lgkmcnt(1)
	v_mul_f64 v[156:157], v[2:3], v[40:41]
	v_mul_f64 v[40:41], v[4:5], v[40:41]
	scratch_load_b128 v[30:33], off, off offset:880
	v_add_f64 v[44:45], v[44:45], v[179:180]
	v_add_f64 v[46:47], v[46:47], v[175:176]
	s_waitcnt vmcnt(8) lgkmcnt(0)
	v_mul_f64 v[175:176], v[6:7], v[173:174]
	v_mul_f64 v[173:174], v[8:9], v[173:174]
	v_fma_f64 v[156:157], v[4:5], v[38:39], v[156:157]
	v_fma_f64 v[38:39], v[2:3], v[38:39], -v[40:41]
	ds_load_b128 v[2:5], v1 offset:1664
	v_add_f64 v[40:41], v[44:45], v[177:178]
	v_add_f64 v[44:45], v[46:47], v[48:49]
	v_fma_f64 v[48:49], v[8:9], v[171:172], v[175:176]
	v_fma_f64 v[171:172], v[6:7], v[171:172], -v[173:174]
	ds_load_b128 v[6:9], v1 offset:1680
	s_waitcnt vmcnt(7) lgkmcnt(1)
	v_mul_f64 v[46:47], v[2:3], v[36:37]
	v_mul_f64 v[36:37], v[4:5], v[36:37]
	v_add_f64 v[38:39], v[40:41], v[38:39]
	v_add_f64 v[40:41], v[44:45], v[156:157]
	s_waitcnt vmcnt(6) lgkmcnt(0)
	v_mul_f64 v[44:45], v[6:7], v[169:170]
	v_mul_f64 v[156:157], v[8:9], v[169:170]
	v_fma_f64 v[46:47], v[4:5], v[34:35], v[46:47]
	v_fma_f64 v[169:170], v[2:3], v[34:35], -v[36:37]
	ds_load_b128 v[2:5], v1 offset:1696
	scratch_load_b128 v[34:37], off, off offset:592
	v_add_f64 v[38:39], v[38:39], v[171:172]
	v_add_f64 v[40:41], v[40:41], v[48:49]
	v_fma_f64 v[44:45], v[8:9], v[167:168], v[44:45]
	v_fma_f64 v[156:157], v[6:7], v[167:168], -v[156:157]
	ds_load_b128 v[6:9], v1 offset:1712
	s_waitcnt vmcnt(6) lgkmcnt(1)
	v_mul_f64 v[48:49], v[2:3], v[12:13]
	v_mul_f64 v[12:13], v[4:5], v[12:13]
	v_add_f64 v[38:39], v[38:39], v[169:170]
	v_add_f64 v[40:41], v[40:41], v[46:47]
	s_waitcnt vmcnt(5) lgkmcnt(0)
	v_mul_f64 v[46:47], v[6:7], v[16:17]
	v_mul_f64 v[16:17], v[8:9], v[16:17]
	v_fma_f64 v[48:49], v[4:5], v[10:11], v[48:49]
	v_fma_f64 v[10:11], v[2:3], v[10:11], -v[12:13]
	ds_load_b128 v[2:5], v1 offset:1728
	v_add_f64 v[12:13], v[38:39], v[156:157]
	v_add_f64 v[38:39], v[40:41], v[44:45]
	v_fma_f64 v[44:45], v[8:9], v[14:15], v[46:47]
	v_fma_f64 v[14:15], v[6:7], v[14:15], -v[16:17]
	ds_load_b128 v[6:9], v1 offset:1744
	s_waitcnt vmcnt(4) lgkmcnt(1)
	v_mul_f64 v[40:41], v[2:3], v[20:21]
	v_mul_f64 v[20:21], v[4:5], v[20:21]
	s_waitcnt vmcnt(3) lgkmcnt(0)
	v_mul_f64 v[16:17], v[6:7], v[24:25]
	v_mul_f64 v[24:25], v[8:9], v[24:25]
	v_add_f64 v[10:11], v[12:13], v[10:11]
	v_add_f64 v[12:13], v[38:39], v[48:49]
	v_fma_f64 v[38:39], v[4:5], v[18:19], v[40:41]
	v_fma_f64 v[18:19], v[2:3], v[18:19], -v[20:21]
	ds_load_b128 v[2:5], v1 offset:1760
	v_fma_f64 v[16:17], v[8:9], v[22:23], v[16:17]
	v_fma_f64 v[22:23], v[6:7], v[22:23], -v[24:25]
	ds_load_b128 v[6:9], v1 offset:1776
	s_waitcnt vmcnt(2) lgkmcnt(1)
	v_mul_f64 v[20:21], v[4:5], v[28:29]
	v_add_f64 v[10:11], v[10:11], v[14:15]
	v_add_f64 v[12:13], v[12:13], v[44:45]
	v_mul_f64 v[14:15], v[2:3], v[28:29]
	s_waitcnt vmcnt(1) lgkmcnt(0)
	v_mul_f64 v[24:25], v[8:9], v[32:33]
	v_fma_f64 v[1:2], v[2:3], v[26:27], -v[20:21]
	v_add_f64 v[10:11], v[10:11], v[18:19]
	v_add_f64 v[12:13], v[12:13], v[38:39]
	v_mul_f64 v[18:19], v[6:7], v[32:33]
	v_fma_f64 v[4:5], v[4:5], v[26:27], v[14:15]
	v_fma_f64 v[6:7], v[6:7], v[30:31], -v[24:25]
	v_add_f64 v[10:11], v[10:11], v[22:23]
	v_add_f64 v[12:13], v[12:13], v[16:17]
	v_fma_f64 v[8:9], v[8:9], v[30:31], v[18:19]
	s_delay_alu instid0(VALU_DEP_3) | instskip(NEXT) | instid1(VALU_DEP_3)
	v_add_f64 v[1:2], v[10:11], v[1:2]
	v_add_f64 v[3:4], v[12:13], v[4:5]
	s_delay_alu instid0(VALU_DEP_2) | instskip(NEXT) | instid1(VALU_DEP_2)
	v_add_f64 v[1:2], v[1:2], v[6:7]
	v_add_f64 v[3:4], v[3:4], v[8:9]
	s_waitcnt vmcnt(0)
	s_delay_alu instid0(VALU_DEP_2) | instskip(NEXT) | instid1(VALU_DEP_2)
	v_add_f64 v[1:2], v[34:35], -v[1:2]
	v_add_f64 v[3:4], v[36:37], -v[3:4]
	scratch_store_b128 off, v[1:4], off offset:592
	v_cmpx_lt_u32_e32 36, v154
	s_cbranch_execz .LBB55_277
; %bb.276:
	scratch_load_b128 v[1:4], v231, off
	v_mov_b32_e32 v5, 0
	s_delay_alu instid0(VALU_DEP_1)
	v_mov_b32_e32 v6, v5
	v_mov_b32_e32 v7, v5
	;; [unrolled: 1-line block ×3, first 2 shown]
	scratch_store_b128 off, v[5:8], off offset:576
	s_waitcnt vmcnt(0)
	ds_store_b128 v210, v[1:4]
.LBB55_277:
	s_or_b32 exec_lo, exec_lo, s2
	s_waitcnt lgkmcnt(0)
	s_waitcnt_vscnt null, 0x0
	s_barrier
	buffer_gl0_inv
	s_clause 0x7
	scratch_load_b128 v[2:5], off, off offset:592
	scratch_load_b128 v[6:9], off, off offset:608
	;; [unrolled: 1-line block ×8, first 2 shown]
	v_mov_b32_e32 v1, 0
	s_clause 0x1
	scratch_load_b128 v[38:41], off, off offset:720
	scratch_load_b128 v[171:174], off, off offset:736
	s_mov_b32 s2, exec_lo
	ds_load_b128 v[34:37], v1 offset:1488
	ds_load_b128 v[167:170], v1 offset:1504
	s_waitcnt vmcnt(9) lgkmcnt(1)
	v_mul_f64 v[44:45], v[36:37], v[4:5]
	v_mul_f64 v[4:5], v[34:35], v[4:5]
	s_waitcnt vmcnt(8) lgkmcnt(0)
	v_mul_f64 v[46:47], v[167:168], v[8:9]
	v_mul_f64 v[8:9], v[169:170], v[8:9]
	s_delay_alu instid0(VALU_DEP_4) | instskip(NEXT) | instid1(VALU_DEP_4)
	v_fma_f64 v[44:45], v[34:35], v[2:3], -v[44:45]
	v_fma_f64 v[48:49], v[36:37], v[2:3], v[4:5]
	ds_load_b128 v[2:5], v1 offset:1520
	scratch_load_b128 v[34:37], off, off offset:752
	v_fma_f64 v[46:47], v[169:170], v[6:7], v[46:47]
	v_fma_f64 v[175:176], v[167:168], v[6:7], -v[8:9]
	scratch_load_b128 v[167:170], off, off offset:768
	ds_load_b128 v[6:9], v1 offset:1536
	s_waitcnt vmcnt(9) lgkmcnt(1)
	v_mul_f64 v[156:157], v[2:3], v[12:13]
	v_mul_f64 v[12:13], v[4:5], v[12:13]
	s_waitcnt vmcnt(8) lgkmcnt(0)
	v_mul_f64 v[177:178], v[6:7], v[16:17]
	v_mul_f64 v[16:17], v[8:9], v[16:17]
	v_add_f64 v[44:45], v[44:45], 0
	v_add_f64 v[48:49], v[48:49], 0
	v_fma_f64 v[156:157], v[4:5], v[10:11], v[156:157]
	v_fma_f64 v[179:180], v[2:3], v[10:11], -v[12:13]
	ds_load_b128 v[2:5], v1 offset:1552
	scratch_load_b128 v[10:13], off, off offset:784
	v_add_f64 v[44:45], v[44:45], v[175:176]
	v_add_f64 v[46:47], v[48:49], v[46:47]
	v_fma_f64 v[175:176], v[8:9], v[14:15], v[177:178]
	v_fma_f64 v[177:178], v[6:7], v[14:15], -v[16:17]
	ds_load_b128 v[6:9], v1 offset:1568
	scratch_load_b128 v[14:17], off, off offset:800
	s_waitcnt vmcnt(9) lgkmcnt(1)
	v_mul_f64 v[48:49], v[2:3], v[20:21]
	v_mul_f64 v[20:21], v[4:5], v[20:21]
	v_add_f64 v[44:45], v[44:45], v[179:180]
	v_add_f64 v[46:47], v[46:47], v[156:157]
	s_waitcnt vmcnt(8) lgkmcnt(0)
	v_mul_f64 v[156:157], v[6:7], v[24:25]
	v_mul_f64 v[24:25], v[8:9], v[24:25]
	v_fma_f64 v[48:49], v[4:5], v[18:19], v[48:49]
	v_fma_f64 v[179:180], v[2:3], v[18:19], -v[20:21]
	scratch_load_b128 v[18:21], off, off offset:816
	ds_load_b128 v[2:5], v1 offset:1584
	v_add_f64 v[44:45], v[44:45], v[177:178]
	v_add_f64 v[46:47], v[46:47], v[175:176]
	v_fma_f64 v[156:157], v[8:9], v[22:23], v[156:157]
	v_fma_f64 v[177:178], v[6:7], v[22:23], -v[24:25]
	ds_load_b128 v[6:9], v1 offset:1600
	s_waitcnt vmcnt(8) lgkmcnt(1)
	v_mul_f64 v[175:176], v[2:3], v[28:29]
	v_mul_f64 v[28:29], v[4:5], v[28:29]
	scratch_load_b128 v[22:25], off, off offset:832
	v_add_f64 v[44:45], v[44:45], v[179:180]
	v_add_f64 v[46:47], v[46:47], v[48:49]
	s_waitcnt vmcnt(8) lgkmcnt(0)
	v_mul_f64 v[48:49], v[6:7], v[32:33]
	v_mul_f64 v[32:33], v[8:9], v[32:33]
	v_fma_f64 v[175:176], v[4:5], v[26:27], v[175:176]
	v_fma_f64 v[179:180], v[2:3], v[26:27], -v[28:29]
	scratch_load_b128 v[26:29], off, off offset:848
	ds_load_b128 v[2:5], v1 offset:1616
	v_add_f64 v[44:45], v[44:45], v[177:178]
	v_add_f64 v[46:47], v[46:47], v[156:157]
	v_fma_f64 v[48:49], v[8:9], v[30:31], v[48:49]
	v_fma_f64 v[177:178], v[6:7], v[30:31], -v[32:33]
	ds_load_b128 v[6:9], v1 offset:1632
	s_waitcnt vmcnt(8) lgkmcnt(1)
	v_mul_f64 v[156:157], v[2:3], v[40:41]
	v_mul_f64 v[40:41], v[4:5], v[40:41]
	scratch_load_b128 v[30:33], off, off offset:864
	v_add_f64 v[44:45], v[44:45], v[179:180]
	v_add_f64 v[46:47], v[46:47], v[175:176]
	s_waitcnt vmcnt(8) lgkmcnt(0)
	v_mul_f64 v[175:176], v[6:7], v[173:174]
	v_mul_f64 v[173:174], v[8:9], v[173:174]
	v_fma_f64 v[156:157], v[4:5], v[38:39], v[156:157]
	v_fma_f64 v[179:180], v[2:3], v[38:39], -v[40:41]
	scratch_load_b128 v[38:41], off, off offset:880
	ds_load_b128 v[2:5], v1 offset:1648
	v_add_f64 v[44:45], v[44:45], v[177:178]
	v_add_f64 v[46:47], v[46:47], v[48:49]
	v_fma_f64 v[175:176], v[8:9], v[171:172], v[175:176]
	v_fma_f64 v[171:172], v[6:7], v[171:172], -v[173:174]
	ds_load_b128 v[6:9], v1 offset:1664
	s_waitcnt vmcnt(8) lgkmcnt(1)
	v_mul_f64 v[48:49], v[2:3], v[36:37]
	v_mul_f64 v[36:37], v[4:5], v[36:37]
	v_add_f64 v[44:45], v[44:45], v[179:180]
	v_add_f64 v[46:47], v[46:47], v[156:157]
	s_waitcnt vmcnt(7) lgkmcnt(0)
	v_mul_f64 v[156:157], v[6:7], v[169:170]
	v_mul_f64 v[169:170], v[8:9], v[169:170]
	v_fma_f64 v[48:49], v[4:5], v[34:35], v[48:49]
	v_fma_f64 v[34:35], v[2:3], v[34:35], -v[36:37]
	ds_load_b128 v[2:5], v1 offset:1680
	v_add_f64 v[36:37], v[44:45], v[171:172]
	v_add_f64 v[44:45], v[46:47], v[175:176]
	v_fma_f64 v[156:157], v[8:9], v[167:168], v[156:157]
	v_fma_f64 v[167:168], v[6:7], v[167:168], -v[169:170]
	ds_load_b128 v[6:9], v1 offset:1696
	v_add_f64 v[169:170], v[36:37], v[34:35]
	v_add_f64 v[44:45], v[44:45], v[48:49]
	scratch_load_b128 v[34:37], off, off offset:576
	s_waitcnt vmcnt(7) lgkmcnt(1)
	v_mul_f64 v[46:47], v[2:3], v[12:13]
	v_mul_f64 v[12:13], v[4:5], v[12:13]
	s_waitcnt vmcnt(6) lgkmcnt(0)
	v_mul_f64 v[48:49], v[6:7], v[16:17]
	v_mul_f64 v[16:17], v[8:9], v[16:17]
	v_add_f64 v[44:45], v[44:45], v[156:157]
	v_fma_f64 v[46:47], v[4:5], v[10:11], v[46:47]
	v_fma_f64 v[10:11], v[2:3], v[10:11], -v[12:13]
	v_add_f64 v[12:13], v[169:170], v[167:168]
	ds_load_b128 v[2:5], v1 offset:1712
	v_fma_f64 v[48:49], v[8:9], v[14:15], v[48:49]
	v_fma_f64 v[14:15], v[6:7], v[14:15], -v[16:17]
	ds_load_b128 v[6:9], v1 offset:1728
	s_waitcnt vmcnt(5) lgkmcnt(1)
	v_mul_f64 v[156:157], v[2:3], v[20:21]
	v_mul_f64 v[20:21], v[4:5], v[20:21]
	s_waitcnt vmcnt(4) lgkmcnt(0)
	v_mul_f64 v[16:17], v[6:7], v[24:25]
	v_mul_f64 v[24:25], v[8:9], v[24:25]
	v_add_f64 v[10:11], v[12:13], v[10:11]
	v_add_f64 v[12:13], v[44:45], v[46:47]
	v_fma_f64 v[44:45], v[4:5], v[18:19], v[156:157]
	v_fma_f64 v[18:19], v[2:3], v[18:19], -v[20:21]
	ds_load_b128 v[2:5], v1 offset:1744
	v_fma_f64 v[16:17], v[8:9], v[22:23], v[16:17]
	v_fma_f64 v[22:23], v[6:7], v[22:23], -v[24:25]
	ds_load_b128 v[6:9], v1 offset:1760
	v_add_f64 v[10:11], v[10:11], v[14:15]
	v_add_f64 v[12:13], v[12:13], v[48:49]
	s_waitcnt vmcnt(3) lgkmcnt(1)
	v_mul_f64 v[14:15], v[2:3], v[28:29]
	v_mul_f64 v[20:21], v[4:5], v[28:29]
	s_waitcnt vmcnt(2) lgkmcnt(0)
	v_mul_f64 v[24:25], v[8:9], v[32:33]
	v_add_f64 v[10:11], v[10:11], v[18:19]
	v_add_f64 v[12:13], v[12:13], v[44:45]
	v_mul_f64 v[18:19], v[6:7], v[32:33]
	v_fma_f64 v[14:15], v[4:5], v[26:27], v[14:15]
	v_fma_f64 v[20:21], v[2:3], v[26:27], -v[20:21]
	ds_load_b128 v[2:5], v1 offset:1776
	v_fma_f64 v[6:7], v[6:7], v[30:31], -v[24:25]
	v_add_f64 v[10:11], v[10:11], v[22:23]
	v_add_f64 v[12:13], v[12:13], v[16:17]
	s_waitcnt vmcnt(1) lgkmcnt(0)
	v_mul_f64 v[16:17], v[2:3], v[40:41]
	v_mul_f64 v[22:23], v[4:5], v[40:41]
	v_fma_f64 v[8:9], v[8:9], v[30:31], v[18:19]
	v_add_f64 v[10:11], v[10:11], v[20:21]
	v_add_f64 v[12:13], v[12:13], v[14:15]
	v_fma_f64 v[4:5], v[4:5], v[38:39], v[16:17]
	v_fma_f64 v[2:3], v[2:3], v[38:39], -v[22:23]
	s_delay_alu instid0(VALU_DEP_4) | instskip(NEXT) | instid1(VALU_DEP_4)
	v_add_f64 v[6:7], v[10:11], v[6:7]
	v_add_f64 v[8:9], v[12:13], v[8:9]
	s_delay_alu instid0(VALU_DEP_2) | instskip(NEXT) | instid1(VALU_DEP_2)
	v_add_f64 v[2:3], v[6:7], v[2:3]
	v_add_f64 v[4:5], v[8:9], v[4:5]
	s_waitcnt vmcnt(0)
	s_delay_alu instid0(VALU_DEP_2) | instskip(NEXT) | instid1(VALU_DEP_2)
	v_add_f64 v[2:3], v[34:35], -v[2:3]
	v_add_f64 v[4:5], v[36:37], -v[4:5]
	scratch_store_b128 off, v[2:5], off offset:576
	v_cmpx_lt_u32_e32 35, v154
	s_cbranch_execz .LBB55_279
; %bb.278:
	scratch_load_b32 v2, off, off offset:896 ; 4-byte Folded Reload
	v_mov_b32_e32 v3, v1
	v_mov_b32_e32 v4, v1
	s_waitcnt vmcnt(0)
	scratch_load_b128 v[5:8], v2, off
	v_mov_b32_e32 v2, v1
	scratch_store_b128 off, v[1:4], off offset:560
	s_waitcnt vmcnt(0)
	ds_store_b128 v210, v[5:8]
.LBB55_279:
	s_or_b32 exec_lo, exec_lo, s2
	s_waitcnt lgkmcnt(0)
	s_waitcnt_vscnt null, 0x0
	s_barrier
	buffer_gl0_inv
	s_clause 0x7
	scratch_load_b128 v[2:5], off, off offset:576
	scratch_load_b128 v[6:9], off, off offset:592
	;; [unrolled: 1-line block ×8, first 2 shown]
	ds_load_b128 v[34:37], v1 offset:1472
	ds_load_b128 v[167:170], v1 offset:1488
	s_clause 0x1
	scratch_load_b128 v[38:41], off, off offset:704
	scratch_load_b128 v[171:174], off, off offset:720
	s_mov_b32 s2, exec_lo
	s_waitcnt vmcnt(9) lgkmcnt(1)
	v_mul_f64 v[44:45], v[36:37], v[4:5]
	v_mul_f64 v[4:5], v[34:35], v[4:5]
	s_waitcnt vmcnt(8) lgkmcnt(0)
	v_mul_f64 v[46:47], v[167:168], v[8:9]
	v_mul_f64 v[8:9], v[169:170], v[8:9]
	s_delay_alu instid0(VALU_DEP_4) | instskip(NEXT) | instid1(VALU_DEP_4)
	v_fma_f64 v[44:45], v[34:35], v[2:3], -v[44:45]
	v_fma_f64 v[48:49], v[36:37], v[2:3], v[4:5]
	ds_load_b128 v[2:5], v1 offset:1504
	scratch_load_b128 v[34:37], off, off offset:736
	v_fma_f64 v[46:47], v[169:170], v[6:7], v[46:47]
	v_fma_f64 v[175:176], v[167:168], v[6:7], -v[8:9]
	ds_load_b128 v[6:9], v1 offset:1520
	scratch_load_b128 v[167:170], off, off offset:752
	s_waitcnt vmcnt(9) lgkmcnt(1)
	v_mul_f64 v[156:157], v[2:3], v[12:13]
	v_mul_f64 v[12:13], v[4:5], v[12:13]
	s_waitcnt vmcnt(8) lgkmcnt(0)
	v_mul_f64 v[177:178], v[6:7], v[16:17]
	v_mul_f64 v[16:17], v[8:9], v[16:17]
	v_add_f64 v[44:45], v[44:45], 0
	v_add_f64 v[48:49], v[48:49], 0
	v_fma_f64 v[156:157], v[4:5], v[10:11], v[156:157]
	v_fma_f64 v[179:180], v[2:3], v[10:11], -v[12:13]
	scratch_load_b128 v[10:13], off, off offset:768
	ds_load_b128 v[2:5], v1 offset:1536
	v_add_f64 v[44:45], v[44:45], v[175:176]
	v_add_f64 v[46:47], v[48:49], v[46:47]
	v_fma_f64 v[175:176], v[8:9], v[14:15], v[177:178]
	v_fma_f64 v[177:178], v[6:7], v[14:15], -v[16:17]
	ds_load_b128 v[6:9], v1 offset:1552
	scratch_load_b128 v[14:17], off, off offset:784
	s_waitcnt vmcnt(9) lgkmcnt(1)
	v_mul_f64 v[48:49], v[2:3], v[20:21]
	v_mul_f64 v[20:21], v[4:5], v[20:21]
	v_add_f64 v[44:45], v[44:45], v[179:180]
	v_add_f64 v[46:47], v[46:47], v[156:157]
	s_waitcnt vmcnt(8) lgkmcnt(0)
	v_mul_f64 v[156:157], v[6:7], v[24:25]
	v_mul_f64 v[24:25], v[8:9], v[24:25]
	v_fma_f64 v[48:49], v[4:5], v[18:19], v[48:49]
	v_fma_f64 v[179:180], v[2:3], v[18:19], -v[20:21]
	scratch_load_b128 v[18:21], off, off offset:800
	ds_load_b128 v[2:5], v1 offset:1568
	v_add_f64 v[44:45], v[44:45], v[177:178]
	v_add_f64 v[46:47], v[46:47], v[175:176]
	v_fma_f64 v[156:157], v[8:9], v[22:23], v[156:157]
	v_fma_f64 v[177:178], v[6:7], v[22:23], -v[24:25]
	ds_load_b128 v[6:9], v1 offset:1584
	s_waitcnt vmcnt(8) lgkmcnt(1)
	v_mul_f64 v[175:176], v[2:3], v[28:29]
	v_mul_f64 v[28:29], v[4:5], v[28:29]
	scratch_load_b128 v[22:25], off, off offset:816
	v_add_f64 v[44:45], v[44:45], v[179:180]
	v_add_f64 v[46:47], v[46:47], v[48:49]
	s_waitcnt vmcnt(8) lgkmcnt(0)
	v_mul_f64 v[48:49], v[6:7], v[32:33]
	v_mul_f64 v[32:33], v[8:9], v[32:33]
	v_fma_f64 v[175:176], v[4:5], v[26:27], v[175:176]
	v_fma_f64 v[179:180], v[2:3], v[26:27], -v[28:29]
	scratch_load_b128 v[26:29], off, off offset:832
	ds_load_b128 v[2:5], v1 offset:1600
	v_add_f64 v[44:45], v[44:45], v[177:178]
	v_add_f64 v[46:47], v[46:47], v[156:157]
	v_fma_f64 v[48:49], v[8:9], v[30:31], v[48:49]
	v_fma_f64 v[177:178], v[6:7], v[30:31], -v[32:33]
	ds_load_b128 v[6:9], v1 offset:1616
	s_waitcnt vmcnt(8) lgkmcnt(1)
	v_mul_f64 v[156:157], v[2:3], v[40:41]
	v_mul_f64 v[40:41], v[4:5], v[40:41]
	scratch_load_b128 v[30:33], off, off offset:848
	v_add_f64 v[44:45], v[44:45], v[179:180]
	v_add_f64 v[46:47], v[46:47], v[175:176]
	s_waitcnt vmcnt(8) lgkmcnt(0)
	v_mul_f64 v[175:176], v[6:7], v[173:174]
	v_mul_f64 v[173:174], v[8:9], v[173:174]
	v_fma_f64 v[156:157], v[4:5], v[38:39], v[156:157]
	v_fma_f64 v[179:180], v[2:3], v[38:39], -v[40:41]
	scratch_load_b128 v[38:41], off, off offset:864
	ds_load_b128 v[2:5], v1 offset:1632
	v_add_f64 v[44:45], v[44:45], v[177:178]
	v_add_f64 v[46:47], v[46:47], v[48:49]
	v_fma_f64 v[175:176], v[8:9], v[171:172], v[175:176]
	v_fma_f64 v[177:178], v[6:7], v[171:172], -v[173:174]
	ds_load_b128 v[6:9], v1 offset:1648
	scratch_load_b128 v[171:174], off, off offset:880
	s_waitcnt vmcnt(9) lgkmcnt(1)
	v_mul_f64 v[48:49], v[2:3], v[36:37]
	v_mul_f64 v[36:37], v[4:5], v[36:37]
	v_add_f64 v[44:45], v[44:45], v[179:180]
	v_add_f64 v[46:47], v[46:47], v[156:157]
	s_delay_alu instid0(VALU_DEP_4) | instskip(NEXT) | instid1(VALU_DEP_4)
	v_fma_f64 v[48:49], v[4:5], v[34:35], v[48:49]
	v_fma_f64 v[34:35], v[2:3], v[34:35], -v[36:37]
	ds_load_b128 v[2:5], v1 offset:1664
	v_add_f64 v[36:37], v[44:45], v[177:178]
	v_add_f64 v[44:45], v[46:47], v[175:176]
	s_waitcnt vmcnt(7) lgkmcnt(0)
	v_mul_f64 v[46:47], v[2:3], v[12:13]
	v_mul_f64 v[12:13], v[4:5], v[12:13]
	s_delay_alu instid0(VALU_DEP_4) | instskip(NEXT) | instid1(VALU_DEP_4)
	v_add_f64 v[34:35], v[36:37], v[34:35]
	v_add_f64 v[36:37], v[44:45], v[48:49]
	s_delay_alu instid0(VALU_DEP_4) | instskip(NEXT) | instid1(VALU_DEP_4)
	v_fma_f64 v[46:47], v[4:5], v[10:11], v[46:47]
	v_fma_f64 v[48:49], v[2:3], v[10:11], -v[12:13]
	scratch_load_b128 v[10:13], off, off offset:560
	v_mul_f64 v[156:157], v[6:7], v[169:170]
	v_mul_f64 v[169:170], v[8:9], v[169:170]
	ds_load_b128 v[2:5], v1 offset:1696
	v_fma_f64 v[156:157], v[8:9], v[167:168], v[156:157]
	v_fma_f64 v[167:168], v[6:7], v[167:168], -v[169:170]
	ds_load_b128 v[6:9], v1 offset:1680
	s_waitcnt vmcnt(7) lgkmcnt(0)
	v_mul_f64 v[44:45], v[6:7], v[16:17]
	v_mul_f64 v[16:17], v[8:9], v[16:17]
	v_add_f64 v[36:37], v[36:37], v[156:157]
	v_add_f64 v[34:35], v[34:35], v[167:168]
	s_waitcnt vmcnt(6)
	v_mul_f64 v[156:157], v[2:3], v[20:21]
	v_mul_f64 v[20:21], v[4:5], v[20:21]
	v_fma_f64 v[44:45], v[8:9], v[14:15], v[44:45]
	v_fma_f64 v[14:15], v[6:7], v[14:15], -v[16:17]
	ds_load_b128 v[6:9], v1 offset:1712
	v_add_f64 v[16:17], v[34:35], v[48:49]
	v_add_f64 v[34:35], v[36:37], v[46:47]
	v_fma_f64 v[46:47], v[4:5], v[18:19], v[156:157]
	v_fma_f64 v[18:19], v[2:3], v[18:19], -v[20:21]
	ds_load_b128 v[2:5], v1 offset:1728
	s_waitcnt vmcnt(5) lgkmcnt(1)
	v_mul_f64 v[36:37], v[6:7], v[24:25]
	v_mul_f64 v[24:25], v[8:9], v[24:25]
	s_waitcnt vmcnt(4) lgkmcnt(0)
	v_mul_f64 v[20:21], v[2:3], v[28:29]
	v_mul_f64 v[28:29], v[4:5], v[28:29]
	v_add_f64 v[14:15], v[16:17], v[14:15]
	v_add_f64 v[16:17], v[34:35], v[44:45]
	v_fma_f64 v[34:35], v[8:9], v[22:23], v[36:37]
	v_fma_f64 v[22:23], v[6:7], v[22:23], -v[24:25]
	ds_load_b128 v[6:9], v1 offset:1744
	v_fma_f64 v[20:21], v[4:5], v[26:27], v[20:21]
	v_fma_f64 v[26:27], v[2:3], v[26:27], -v[28:29]
	ds_load_b128 v[2:5], v1 offset:1760
	s_waitcnt vmcnt(3) lgkmcnt(1)
	v_mul_f64 v[24:25], v[8:9], v[32:33]
	v_add_f64 v[14:15], v[14:15], v[18:19]
	v_add_f64 v[16:17], v[16:17], v[46:47]
	v_mul_f64 v[18:19], v[6:7], v[32:33]
	s_waitcnt vmcnt(2) lgkmcnt(0)
	v_mul_f64 v[28:29], v[4:5], v[40:41]
	v_fma_f64 v[24:25], v[6:7], v[30:31], -v[24:25]
	v_add_f64 v[14:15], v[14:15], v[22:23]
	v_add_f64 v[16:17], v[16:17], v[34:35]
	v_mul_f64 v[22:23], v[2:3], v[40:41]
	v_fma_f64 v[18:19], v[8:9], v[30:31], v[18:19]
	ds_load_b128 v[6:9], v1 offset:1776
	v_fma_f64 v[1:2], v[2:3], v[38:39], -v[28:29]
	v_add_f64 v[14:15], v[14:15], v[26:27]
	v_add_f64 v[16:17], v[16:17], v[20:21]
	s_waitcnt vmcnt(1) lgkmcnt(0)
	v_mul_f64 v[20:21], v[6:7], v[173:174]
	v_mul_f64 v[26:27], v[8:9], v[173:174]
	v_fma_f64 v[4:5], v[4:5], v[38:39], v[22:23]
	v_add_f64 v[14:15], v[14:15], v[24:25]
	v_add_f64 v[16:17], v[16:17], v[18:19]
	v_fma_f64 v[8:9], v[8:9], v[171:172], v[20:21]
	v_fma_f64 v[6:7], v[6:7], v[171:172], -v[26:27]
	s_delay_alu instid0(VALU_DEP_4) | instskip(NEXT) | instid1(VALU_DEP_4)
	v_add_f64 v[1:2], v[14:15], v[1:2]
	v_add_f64 v[3:4], v[16:17], v[4:5]
	s_delay_alu instid0(VALU_DEP_2) | instskip(NEXT) | instid1(VALU_DEP_2)
	v_add_f64 v[1:2], v[1:2], v[6:7]
	v_add_f64 v[3:4], v[3:4], v[8:9]
	s_waitcnt vmcnt(0)
	s_delay_alu instid0(VALU_DEP_2) | instskip(NEXT) | instid1(VALU_DEP_2)
	v_add_f64 v[1:2], v[10:11], -v[1:2]
	v_add_f64 v[3:4], v[12:13], -v[3:4]
	scratch_store_b128 off, v[1:4], off offset:560
	v_cmpx_lt_u32_e32 34, v154
	s_cbranch_execz .LBB55_281
; %bb.280:
	scratch_load_b128 v[1:4], v232, off
	v_mov_b32_e32 v5, 0
	s_delay_alu instid0(VALU_DEP_1)
	v_mov_b32_e32 v6, v5
	v_mov_b32_e32 v7, v5
	;; [unrolled: 1-line block ×3, first 2 shown]
	scratch_store_b128 off, v[5:8], off offset:544
	s_waitcnt vmcnt(0)
	ds_store_b128 v210, v[1:4]
.LBB55_281:
	s_or_b32 exec_lo, exec_lo, s2
	s_waitcnt lgkmcnt(0)
	s_waitcnt_vscnt null, 0x0
	s_barrier
	buffer_gl0_inv
	s_clause 0x7
	scratch_load_b128 v[2:5], off, off offset:560
	scratch_load_b128 v[6:9], off, off offset:576
	;; [unrolled: 1-line block ×8, first 2 shown]
	v_mov_b32_e32 v1, 0
	s_clause 0x1
	scratch_load_b128 v[38:41], off, off offset:688
	scratch_load_b128 v[171:174], off, off offset:704
	s_mov_b32 s2, exec_lo
	ds_load_b128 v[34:37], v1 offset:1456
	ds_load_b128 v[167:170], v1 offset:1472
	s_waitcnt vmcnt(9) lgkmcnt(1)
	v_mul_f64 v[44:45], v[36:37], v[4:5]
	v_mul_f64 v[4:5], v[34:35], v[4:5]
	s_waitcnt vmcnt(8) lgkmcnt(0)
	v_mul_f64 v[46:47], v[167:168], v[8:9]
	v_mul_f64 v[8:9], v[169:170], v[8:9]
	s_delay_alu instid0(VALU_DEP_4) | instskip(NEXT) | instid1(VALU_DEP_4)
	v_fma_f64 v[44:45], v[34:35], v[2:3], -v[44:45]
	v_fma_f64 v[48:49], v[36:37], v[2:3], v[4:5]
	ds_load_b128 v[2:5], v1 offset:1488
	scratch_load_b128 v[34:37], off, off offset:720
	v_fma_f64 v[46:47], v[169:170], v[6:7], v[46:47]
	v_fma_f64 v[175:176], v[167:168], v[6:7], -v[8:9]
	scratch_load_b128 v[167:170], off, off offset:736
	ds_load_b128 v[6:9], v1 offset:1504
	s_waitcnt vmcnt(9) lgkmcnt(1)
	v_mul_f64 v[156:157], v[2:3], v[12:13]
	v_mul_f64 v[12:13], v[4:5], v[12:13]
	s_waitcnt vmcnt(8) lgkmcnt(0)
	v_mul_f64 v[177:178], v[6:7], v[16:17]
	v_mul_f64 v[16:17], v[8:9], v[16:17]
	v_add_f64 v[44:45], v[44:45], 0
	v_add_f64 v[48:49], v[48:49], 0
	v_fma_f64 v[156:157], v[4:5], v[10:11], v[156:157]
	v_fma_f64 v[179:180], v[2:3], v[10:11], -v[12:13]
	ds_load_b128 v[2:5], v1 offset:1520
	scratch_load_b128 v[10:13], off, off offset:752
	v_add_f64 v[44:45], v[44:45], v[175:176]
	v_add_f64 v[46:47], v[48:49], v[46:47]
	v_fma_f64 v[175:176], v[8:9], v[14:15], v[177:178]
	v_fma_f64 v[177:178], v[6:7], v[14:15], -v[16:17]
	scratch_load_b128 v[14:17], off, off offset:768
	ds_load_b128 v[6:9], v1 offset:1536
	s_waitcnt vmcnt(9) lgkmcnt(1)
	v_mul_f64 v[48:49], v[2:3], v[20:21]
	v_mul_f64 v[20:21], v[4:5], v[20:21]
	v_add_f64 v[44:45], v[44:45], v[179:180]
	v_add_f64 v[46:47], v[46:47], v[156:157]
	s_waitcnt vmcnt(8) lgkmcnt(0)
	v_mul_f64 v[156:157], v[6:7], v[24:25]
	v_mul_f64 v[24:25], v[8:9], v[24:25]
	v_fma_f64 v[48:49], v[4:5], v[18:19], v[48:49]
	v_fma_f64 v[179:180], v[2:3], v[18:19], -v[20:21]
	ds_load_b128 v[2:5], v1 offset:1552
	scratch_load_b128 v[18:21], off, off offset:784
	v_add_f64 v[44:45], v[44:45], v[177:178]
	v_add_f64 v[46:47], v[46:47], v[175:176]
	v_fma_f64 v[156:157], v[8:9], v[22:23], v[156:157]
	v_fma_f64 v[177:178], v[6:7], v[22:23], -v[24:25]
	ds_load_b128 v[6:9], v1 offset:1568
	s_waitcnt vmcnt(8) lgkmcnt(1)
	v_mul_f64 v[175:176], v[2:3], v[28:29]
	v_mul_f64 v[28:29], v[4:5], v[28:29]
	scratch_load_b128 v[22:25], off, off offset:800
	v_add_f64 v[44:45], v[44:45], v[179:180]
	v_add_f64 v[46:47], v[46:47], v[48:49]
	s_waitcnt vmcnt(8) lgkmcnt(0)
	v_mul_f64 v[48:49], v[6:7], v[32:33]
	v_mul_f64 v[32:33], v[8:9], v[32:33]
	v_fma_f64 v[175:176], v[4:5], v[26:27], v[175:176]
	v_fma_f64 v[179:180], v[2:3], v[26:27], -v[28:29]
	scratch_load_b128 v[26:29], off, off offset:816
	ds_load_b128 v[2:5], v1 offset:1584
	v_add_f64 v[44:45], v[44:45], v[177:178]
	v_add_f64 v[46:47], v[46:47], v[156:157]
	v_fma_f64 v[48:49], v[8:9], v[30:31], v[48:49]
	v_fma_f64 v[177:178], v[6:7], v[30:31], -v[32:33]
	ds_load_b128 v[6:9], v1 offset:1600
	s_waitcnt vmcnt(8) lgkmcnt(1)
	v_mul_f64 v[156:157], v[2:3], v[40:41]
	v_mul_f64 v[40:41], v[4:5], v[40:41]
	scratch_load_b128 v[30:33], off, off offset:832
	v_add_f64 v[44:45], v[44:45], v[179:180]
	v_add_f64 v[46:47], v[46:47], v[175:176]
	s_waitcnt vmcnt(8) lgkmcnt(0)
	v_mul_f64 v[175:176], v[6:7], v[173:174]
	v_mul_f64 v[173:174], v[8:9], v[173:174]
	v_fma_f64 v[156:157], v[4:5], v[38:39], v[156:157]
	v_fma_f64 v[179:180], v[2:3], v[38:39], -v[40:41]
	scratch_load_b128 v[38:41], off, off offset:848
	ds_load_b128 v[2:5], v1 offset:1616
	v_add_f64 v[44:45], v[44:45], v[177:178]
	v_add_f64 v[46:47], v[46:47], v[48:49]
	v_fma_f64 v[175:176], v[8:9], v[171:172], v[175:176]
	v_fma_f64 v[177:178], v[6:7], v[171:172], -v[173:174]
	ds_load_b128 v[6:9], v1 offset:1632
	scratch_load_b128 v[171:174], off, off offset:864
	s_waitcnt vmcnt(9) lgkmcnt(1)
	v_mul_f64 v[48:49], v[2:3], v[36:37]
	v_mul_f64 v[36:37], v[4:5], v[36:37]
	v_add_f64 v[44:45], v[44:45], v[179:180]
	v_add_f64 v[46:47], v[46:47], v[156:157]
	s_waitcnt vmcnt(8) lgkmcnt(0)
	v_mul_f64 v[156:157], v[6:7], v[169:170]
	v_mul_f64 v[169:170], v[8:9], v[169:170]
	v_fma_f64 v[48:49], v[4:5], v[34:35], v[48:49]
	v_fma_f64 v[179:180], v[2:3], v[34:35], -v[36:37]
	scratch_load_b128 v[34:37], off, off offset:880
	ds_load_b128 v[2:5], v1 offset:1648
	v_add_f64 v[44:45], v[44:45], v[177:178]
	v_add_f64 v[46:47], v[46:47], v[175:176]
	v_fma_f64 v[156:157], v[8:9], v[167:168], v[156:157]
	v_fma_f64 v[167:168], v[6:7], v[167:168], -v[169:170]
	ds_load_b128 v[6:9], v1 offset:1664
	s_waitcnt vmcnt(8) lgkmcnt(1)
	v_mul_f64 v[175:176], v[2:3], v[12:13]
	v_mul_f64 v[12:13], v[4:5], v[12:13]
	v_add_f64 v[44:45], v[44:45], v[179:180]
	v_add_f64 v[46:47], v[46:47], v[48:49]
	s_waitcnt vmcnt(7) lgkmcnt(0)
	v_mul_f64 v[48:49], v[6:7], v[16:17]
	v_mul_f64 v[16:17], v[8:9], v[16:17]
	v_fma_f64 v[169:170], v[4:5], v[10:11], v[175:176]
	v_fma_f64 v[10:11], v[2:3], v[10:11], -v[12:13]
	ds_load_b128 v[2:5], v1 offset:1680
	v_add_f64 v[12:13], v[44:45], v[167:168]
	v_add_f64 v[44:45], v[46:47], v[156:157]
	v_fma_f64 v[48:49], v[8:9], v[14:15], v[48:49]
	v_fma_f64 v[14:15], v[6:7], v[14:15], -v[16:17]
	ds_load_b128 v[6:9], v1 offset:1696
	s_waitcnt vmcnt(5) lgkmcnt(0)
	v_mul_f64 v[156:157], v[6:7], v[24:25]
	v_mul_f64 v[24:25], v[8:9], v[24:25]
	v_add_f64 v[16:17], v[12:13], v[10:11]
	v_add_f64 v[44:45], v[44:45], v[169:170]
	scratch_load_b128 v[10:13], off, off offset:544
	v_mul_f64 v[46:47], v[2:3], v[20:21]
	v_mul_f64 v[20:21], v[4:5], v[20:21]
	v_add_f64 v[14:15], v[16:17], v[14:15]
	v_add_f64 v[16:17], v[44:45], v[48:49]
	v_fma_f64 v[44:45], v[8:9], v[22:23], v[156:157]
	v_fma_f64 v[46:47], v[4:5], v[18:19], v[46:47]
	v_fma_f64 v[18:19], v[2:3], v[18:19], -v[20:21]
	ds_load_b128 v[2:5], v1 offset:1712
	v_fma_f64 v[22:23], v[6:7], v[22:23], -v[24:25]
	ds_load_b128 v[6:9], v1 offset:1728
	s_waitcnt vmcnt(5) lgkmcnt(1)
	v_mul_f64 v[20:21], v[2:3], v[28:29]
	v_mul_f64 v[28:29], v[4:5], v[28:29]
	s_waitcnt vmcnt(4) lgkmcnt(0)
	v_mul_f64 v[24:25], v[8:9], v[32:33]
	v_add_f64 v[16:17], v[16:17], v[46:47]
	v_add_f64 v[14:15], v[14:15], v[18:19]
	v_mul_f64 v[18:19], v[6:7], v[32:33]
	v_fma_f64 v[20:21], v[4:5], v[26:27], v[20:21]
	v_fma_f64 v[26:27], v[2:3], v[26:27], -v[28:29]
	ds_load_b128 v[2:5], v1 offset:1744
	v_fma_f64 v[24:25], v[6:7], v[30:31], -v[24:25]
	v_add_f64 v[16:17], v[16:17], v[44:45]
	v_add_f64 v[14:15], v[14:15], v[22:23]
	v_fma_f64 v[18:19], v[8:9], v[30:31], v[18:19]
	ds_load_b128 v[6:9], v1 offset:1760
	s_waitcnt vmcnt(3) lgkmcnt(1)
	v_mul_f64 v[22:23], v[2:3], v[40:41]
	v_mul_f64 v[28:29], v[4:5], v[40:41]
	v_add_f64 v[16:17], v[16:17], v[20:21]
	v_add_f64 v[14:15], v[14:15], v[26:27]
	s_waitcnt vmcnt(2) lgkmcnt(0)
	v_mul_f64 v[20:21], v[6:7], v[173:174]
	v_mul_f64 v[26:27], v[8:9], v[173:174]
	v_fma_f64 v[22:23], v[4:5], v[38:39], v[22:23]
	v_fma_f64 v[28:29], v[2:3], v[38:39], -v[28:29]
	ds_load_b128 v[2:5], v1 offset:1776
	v_add_f64 v[16:17], v[16:17], v[18:19]
	v_add_f64 v[14:15], v[14:15], v[24:25]
	s_waitcnt vmcnt(1) lgkmcnt(0)
	v_mul_f64 v[18:19], v[2:3], v[36:37]
	v_mul_f64 v[24:25], v[4:5], v[36:37]
	v_fma_f64 v[8:9], v[8:9], v[171:172], v[20:21]
	v_fma_f64 v[6:7], v[6:7], v[171:172], -v[26:27]
	v_add_f64 v[16:17], v[16:17], v[22:23]
	v_add_f64 v[14:15], v[14:15], v[28:29]
	v_fma_f64 v[4:5], v[4:5], v[34:35], v[18:19]
	v_fma_f64 v[2:3], v[2:3], v[34:35], -v[24:25]
	s_delay_alu instid0(VALU_DEP_4) | instskip(NEXT) | instid1(VALU_DEP_4)
	v_add_f64 v[8:9], v[16:17], v[8:9]
	v_add_f64 v[6:7], v[14:15], v[6:7]
	s_delay_alu instid0(VALU_DEP_2) | instskip(NEXT) | instid1(VALU_DEP_2)
	v_add_f64 v[4:5], v[8:9], v[4:5]
	v_add_f64 v[2:3], v[6:7], v[2:3]
	s_waitcnt vmcnt(0)
	s_delay_alu instid0(VALU_DEP_2) | instskip(NEXT) | instid1(VALU_DEP_2)
	v_add_f64 v[4:5], v[12:13], -v[4:5]
	v_add_f64 v[2:3], v[10:11], -v[2:3]
	scratch_store_b128 off, v[2:5], off offset:544
	v_cmpx_lt_u32_e32 33, v154
	s_cbranch_execz .LBB55_283
; %bb.282:
	scratch_load_b32 v2, off, off offset:900 ; 4-byte Folded Reload
	v_mov_b32_e32 v3, v1
	v_mov_b32_e32 v4, v1
	s_waitcnt vmcnt(0)
	scratch_load_b128 v[5:8], v2, off
	v_mov_b32_e32 v2, v1
	scratch_store_b128 off, v[1:4], off offset:528
	s_waitcnt vmcnt(0)
	ds_store_b128 v210, v[5:8]
.LBB55_283:
	s_or_b32 exec_lo, exec_lo, s2
	s_waitcnt lgkmcnt(0)
	s_waitcnt_vscnt null, 0x0
	s_barrier
	buffer_gl0_inv
	s_clause 0x7
	scratch_load_b128 v[2:5], off, off offset:544
	scratch_load_b128 v[6:9], off, off offset:560
	;; [unrolled: 1-line block ×8, first 2 shown]
	ds_load_b128 v[34:37], v1 offset:1440
	ds_load_b128 v[167:170], v1 offset:1456
	s_clause 0x1
	scratch_load_b128 v[38:41], off, off offset:672
	scratch_load_b128 v[171:174], off, off offset:688
	s_mov_b32 s2, exec_lo
	s_waitcnt vmcnt(9) lgkmcnt(1)
	v_mul_f64 v[44:45], v[36:37], v[4:5]
	v_mul_f64 v[4:5], v[34:35], v[4:5]
	s_waitcnt vmcnt(8) lgkmcnt(0)
	v_mul_f64 v[46:47], v[167:168], v[8:9]
	v_mul_f64 v[8:9], v[169:170], v[8:9]
	s_delay_alu instid0(VALU_DEP_4) | instskip(NEXT) | instid1(VALU_DEP_4)
	v_fma_f64 v[44:45], v[34:35], v[2:3], -v[44:45]
	v_fma_f64 v[48:49], v[36:37], v[2:3], v[4:5]
	ds_load_b128 v[2:5], v1 offset:1472
	scratch_load_b128 v[34:37], off, off offset:704
	v_fma_f64 v[46:47], v[169:170], v[6:7], v[46:47]
	v_fma_f64 v[175:176], v[167:168], v[6:7], -v[8:9]
	scratch_load_b128 v[167:170], off, off offset:720
	ds_load_b128 v[6:9], v1 offset:1488
	s_waitcnt vmcnt(9) lgkmcnt(1)
	v_mul_f64 v[156:157], v[2:3], v[12:13]
	v_mul_f64 v[12:13], v[4:5], v[12:13]
	s_waitcnt vmcnt(8) lgkmcnt(0)
	v_mul_f64 v[177:178], v[6:7], v[16:17]
	v_mul_f64 v[16:17], v[8:9], v[16:17]
	v_add_f64 v[44:45], v[44:45], 0
	v_add_f64 v[48:49], v[48:49], 0
	v_fma_f64 v[156:157], v[4:5], v[10:11], v[156:157]
	v_fma_f64 v[179:180], v[2:3], v[10:11], -v[12:13]
	ds_load_b128 v[2:5], v1 offset:1504
	scratch_load_b128 v[10:13], off, off offset:736
	v_add_f64 v[44:45], v[44:45], v[175:176]
	v_add_f64 v[46:47], v[48:49], v[46:47]
	v_fma_f64 v[175:176], v[8:9], v[14:15], v[177:178]
	v_fma_f64 v[177:178], v[6:7], v[14:15], -v[16:17]
	scratch_load_b128 v[14:17], off, off offset:752
	ds_load_b128 v[6:9], v1 offset:1520
	s_waitcnt vmcnt(9) lgkmcnt(1)
	v_mul_f64 v[48:49], v[2:3], v[20:21]
	v_mul_f64 v[20:21], v[4:5], v[20:21]
	v_add_f64 v[44:45], v[44:45], v[179:180]
	v_add_f64 v[46:47], v[46:47], v[156:157]
	s_waitcnt vmcnt(8) lgkmcnt(0)
	v_mul_f64 v[156:157], v[6:7], v[24:25]
	v_mul_f64 v[24:25], v[8:9], v[24:25]
	v_fma_f64 v[48:49], v[4:5], v[18:19], v[48:49]
	v_fma_f64 v[179:180], v[2:3], v[18:19], -v[20:21]
	ds_load_b128 v[2:5], v1 offset:1536
	scratch_load_b128 v[18:21], off, off offset:768
	v_add_f64 v[44:45], v[44:45], v[177:178]
	v_add_f64 v[46:47], v[46:47], v[175:176]
	v_fma_f64 v[156:157], v[8:9], v[22:23], v[156:157]
	v_fma_f64 v[177:178], v[6:7], v[22:23], -v[24:25]
	ds_load_b128 v[6:9], v1 offset:1552
	s_waitcnt vmcnt(8) lgkmcnt(1)
	v_mul_f64 v[175:176], v[2:3], v[28:29]
	v_mul_f64 v[28:29], v[4:5], v[28:29]
	scratch_load_b128 v[22:25], off, off offset:784
	v_add_f64 v[44:45], v[44:45], v[179:180]
	v_add_f64 v[46:47], v[46:47], v[48:49]
	s_waitcnt vmcnt(8) lgkmcnt(0)
	v_mul_f64 v[48:49], v[6:7], v[32:33]
	v_mul_f64 v[32:33], v[8:9], v[32:33]
	v_fma_f64 v[175:176], v[4:5], v[26:27], v[175:176]
	v_fma_f64 v[179:180], v[2:3], v[26:27], -v[28:29]
	ds_load_b128 v[2:5], v1 offset:1568
	scratch_load_b128 v[26:29], off, off offset:800
	v_add_f64 v[44:45], v[44:45], v[177:178]
	v_add_f64 v[46:47], v[46:47], v[156:157]
	v_fma_f64 v[48:49], v[8:9], v[30:31], v[48:49]
	v_fma_f64 v[177:178], v[6:7], v[30:31], -v[32:33]
	ds_load_b128 v[6:9], v1 offset:1584
	s_waitcnt vmcnt(8) lgkmcnt(1)
	v_mul_f64 v[156:157], v[2:3], v[40:41]
	v_mul_f64 v[40:41], v[4:5], v[40:41]
	scratch_load_b128 v[30:33], off, off offset:816
	v_add_f64 v[44:45], v[44:45], v[179:180]
	v_add_f64 v[46:47], v[46:47], v[175:176]
	s_waitcnt vmcnt(8) lgkmcnt(0)
	v_mul_f64 v[175:176], v[6:7], v[173:174]
	v_mul_f64 v[173:174], v[8:9], v[173:174]
	v_fma_f64 v[156:157], v[4:5], v[38:39], v[156:157]
	v_fma_f64 v[179:180], v[2:3], v[38:39], -v[40:41]
	scratch_load_b128 v[38:41], off, off offset:832
	ds_load_b128 v[2:5], v1 offset:1600
	v_add_f64 v[44:45], v[44:45], v[177:178]
	v_add_f64 v[46:47], v[46:47], v[48:49]
	v_fma_f64 v[175:176], v[8:9], v[171:172], v[175:176]
	v_fma_f64 v[177:178], v[6:7], v[171:172], -v[173:174]
	ds_load_b128 v[6:9], v1 offset:1616
	scratch_load_b128 v[171:174], off, off offset:848
	s_waitcnt vmcnt(9) lgkmcnt(1)
	v_mul_f64 v[48:49], v[2:3], v[36:37]
	v_mul_f64 v[36:37], v[4:5], v[36:37]
	v_add_f64 v[44:45], v[44:45], v[179:180]
	v_add_f64 v[46:47], v[46:47], v[156:157]
	s_waitcnt vmcnt(8) lgkmcnt(0)
	v_mul_f64 v[156:157], v[6:7], v[169:170]
	v_mul_f64 v[169:170], v[8:9], v[169:170]
	v_fma_f64 v[48:49], v[4:5], v[34:35], v[48:49]
	v_fma_f64 v[179:180], v[2:3], v[34:35], -v[36:37]
	scratch_load_b128 v[34:37], off, off offset:864
	ds_load_b128 v[2:5], v1 offset:1632
	v_add_f64 v[44:45], v[44:45], v[177:178]
	v_add_f64 v[46:47], v[46:47], v[175:176]
	v_fma_f64 v[156:157], v[8:9], v[167:168], v[156:157]
	v_fma_f64 v[177:178], v[6:7], v[167:168], -v[169:170]
	ds_load_b128 v[6:9], v1 offset:1648
	s_waitcnt vmcnt(8) lgkmcnt(1)
	v_mul_f64 v[175:176], v[2:3], v[12:13]
	v_mul_f64 v[12:13], v[4:5], v[12:13]
	scratch_load_b128 v[167:170], off, off offset:880
	v_add_f64 v[44:45], v[44:45], v[179:180]
	v_add_f64 v[46:47], v[46:47], v[48:49]
	s_waitcnt vmcnt(8) lgkmcnt(0)
	v_mul_f64 v[48:49], v[6:7], v[16:17]
	v_mul_f64 v[16:17], v[8:9], v[16:17]
	v_fma_f64 v[175:176], v[4:5], v[10:11], v[175:176]
	v_fma_f64 v[10:11], v[2:3], v[10:11], -v[12:13]
	ds_load_b128 v[2:5], v1 offset:1664
	v_add_f64 v[12:13], v[44:45], v[177:178]
	v_add_f64 v[44:45], v[46:47], v[156:157]
	v_fma_f64 v[48:49], v[8:9], v[14:15], v[48:49]
	v_fma_f64 v[14:15], v[6:7], v[14:15], -v[16:17]
	ds_load_b128 v[6:9], v1 offset:1680
	s_waitcnt vmcnt(7) lgkmcnt(1)
	v_mul_f64 v[46:47], v[2:3], v[20:21]
	v_mul_f64 v[20:21], v[4:5], v[20:21]
	v_add_f64 v[10:11], v[12:13], v[10:11]
	v_add_f64 v[12:13], v[44:45], v[175:176]
	s_delay_alu instid0(VALU_DEP_4) | instskip(NEXT) | instid1(VALU_DEP_4)
	v_fma_f64 v[44:45], v[4:5], v[18:19], v[46:47]
	v_fma_f64 v[18:19], v[2:3], v[18:19], -v[20:21]
	ds_load_b128 v[2:5], v1 offset:1696
	v_add_f64 v[14:15], v[10:11], v[14:15]
	v_add_f64 v[20:21], v[12:13], v[48:49]
	scratch_load_b128 v[10:13], off, off offset:528
	s_waitcnt vmcnt(7) lgkmcnt(1)
	v_mul_f64 v[16:17], v[6:7], v[24:25]
	v_mul_f64 v[24:25], v[8:9], v[24:25]
	v_add_f64 v[14:15], v[14:15], v[18:19]
	v_add_f64 v[18:19], v[20:21], v[44:45]
	s_delay_alu instid0(VALU_DEP_4) | instskip(NEXT) | instid1(VALU_DEP_4)
	v_fma_f64 v[16:17], v[8:9], v[22:23], v[16:17]
	v_fma_f64 v[22:23], v[6:7], v[22:23], -v[24:25]
	ds_load_b128 v[6:9], v1 offset:1712
	s_waitcnt vmcnt(6) lgkmcnt(1)
	v_mul_f64 v[46:47], v[2:3], v[28:29]
	v_mul_f64 v[28:29], v[4:5], v[28:29]
	s_waitcnt vmcnt(5) lgkmcnt(0)
	v_mul_f64 v[20:21], v[6:7], v[32:33]
	v_mul_f64 v[24:25], v[8:9], v[32:33]
	v_add_f64 v[16:17], v[18:19], v[16:17]
	v_add_f64 v[14:15], v[14:15], v[22:23]
	v_fma_f64 v[32:33], v[4:5], v[26:27], v[46:47]
	v_fma_f64 v[26:27], v[2:3], v[26:27], -v[28:29]
	ds_load_b128 v[2:5], v1 offset:1728
	v_fma_f64 v[20:21], v[8:9], v[30:31], v[20:21]
	v_fma_f64 v[24:25], v[6:7], v[30:31], -v[24:25]
	ds_load_b128 v[6:9], v1 offset:1744
	s_waitcnt vmcnt(4) lgkmcnt(1)
	v_mul_f64 v[18:19], v[2:3], v[40:41]
	v_mul_f64 v[22:23], v[4:5], v[40:41]
	v_add_f64 v[16:17], v[16:17], v[32:33]
	v_add_f64 v[14:15], v[14:15], v[26:27]
	s_waitcnt vmcnt(3) lgkmcnt(0)
	v_mul_f64 v[26:27], v[6:7], v[173:174]
	v_mul_f64 v[28:29], v[8:9], v[173:174]
	v_fma_f64 v[18:19], v[4:5], v[38:39], v[18:19]
	v_fma_f64 v[22:23], v[2:3], v[38:39], -v[22:23]
	ds_load_b128 v[2:5], v1 offset:1760
	v_add_f64 v[16:17], v[16:17], v[20:21]
	v_add_f64 v[14:15], v[14:15], v[24:25]
	v_fma_f64 v[26:27], v[8:9], v[171:172], v[26:27]
	v_fma_f64 v[28:29], v[6:7], v[171:172], -v[28:29]
	ds_load_b128 v[6:9], v1 offset:1776
	s_waitcnt vmcnt(2) lgkmcnt(1)
	v_mul_f64 v[20:21], v[2:3], v[36:37]
	v_mul_f64 v[24:25], v[4:5], v[36:37]
	v_add_f64 v[16:17], v[16:17], v[18:19]
	v_add_f64 v[14:15], v[14:15], v[22:23]
	s_waitcnt vmcnt(1) lgkmcnt(0)
	v_mul_f64 v[18:19], v[6:7], v[169:170]
	v_mul_f64 v[22:23], v[8:9], v[169:170]
	v_fma_f64 v[4:5], v[4:5], v[34:35], v[20:21]
	v_fma_f64 v[1:2], v[2:3], v[34:35], -v[24:25]
	v_add_f64 v[16:17], v[16:17], v[26:27]
	v_add_f64 v[14:15], v[14:15], v[28:29]
	v_fma_f64 v[8:9], v[8:9], v[167:168], v[18:19]
	v_fma_f64 v[6:7], v[6:7], v[167:168], -v[22:23]
	s_delay_alu instid0(VALU_DEP_4) | instskip(NEXT) | instid1(VALU_DEP_4)
	v_add_f64 v[3:4], v[16:17], v[4:5]
	v_add_f64 v[1:2], v[14:15], v[1:2]
	s_delay_alu instid0(VALU_DEP_2) | instskip(NEXT) | instid1(VALU_DEP_2)
	v_add_f64 v[3:4], v[3:4], v[8:9]
	v_add_f64 v[1:2], v[1:2], v[6:7]
	s_waitcnt vmcnt(0)
	s_delay_alu instid0(VALU_DEP_2) | instskip(NEXT) | instid1(VALU_DEP_2)
	v_add_f64 v[3:4], v[12:13], -v[3:4]
	v_add_f64 v[1:2], v[10:11], -v[1:2]
	scratch_store_b128 off, v[1:4], off offset:528
	v_cmpx_lt_u32_e32 32, v154
	s_cbranch_execz .LBB55_285
; %bb.284:
	scratch_load_b128 v[1:4], v212, off
	v_mov_b32_e32 v5, 0
	s_delay_alu instid0(VALU_DEP_1)
	v_mov_b32_e32 v6, v5
	v_mov_b32_e32 v7, v5
	;; [unrolled: 1-line block ×3, first 2 shown]
	scratch_store_b128 off, v[5:8], off offset:512
	s_waitcnt vmcnt(0)
	ds_store_b128 v210, v[1:4]
.LBB55_285:
	s_or_b32 exec_lo, exec_lo, s2
	s_waitcnt lgkmcnt(0)
	s_waitcnt_vscnt null, 0x0
	s_barrier
	buffer_gl0_inv
	s_clause 0x7
	scratch_load_b128 v[2:5], off, off offset:528
	scratch_load_b128 v[6:9], off, off offset:544
	;; [unrolled: 1-line block ×8, first 2 shown]
	v_mov_b32_e32 v1, 0
	s_clause 0x1
	scratch_load_b128 v[38:41], off, off offset:656
	scratch_load_b128 v[171:174], off, off offset:672
	s_mov_b32 s2, exec_lo
	ds_load_b128 v[34:37], v1 offset:1424
	ds_load_b128 v[167:170], v1 offset:1440
	s_waitcnt vmcnt(9) lgkmcnt(1)
	v_mul_f64 v[44:45], v[36:37], v[4:5]
	v_mul_f64 v[4:5], v[34:35], v[4:5]
	s_waitcnt vmcnt(8) lgkmcnt(0)
	v_mul_f64 v[46:47], v[167:168], v[8:9]
	v_mul_f64 v[8:9], v[169:170], v[8:9]
	s_delay_alu instid0(VALU_DEP_4) | instskip(NEXT) | instid1(VALU_DEP_4)
	v_fma_f64 v[44:45], v[34:35], v[2:3], -v[44:45]
	v_fma_f64 v[48:49], v[36:37], v[2:3], v[4:5]
	ds_load_b128 v[2:5], v1 offset:1456
	scratch_load_b128 v[34:37], off, off offset:688
	v_fma_f64 v[46:47], v[169:170], v[6:7], v[46:47]
	v_fma_f64 v[175:176], v[167:168], v[6:7], -v[8:9]
	scratch_load_b128 v[167:170], off, off offset:704
	ds_load_b128 v[6:9], v1 offset:1472
	s_waitcnt vmcnt(9) lgkmcnt(1)
	v_mul_f64 v[156:157], v[2:3], v[12:13]
	v_mul_f64 v[12:13], v[4:5], v[12:13]
	s_waitcnt vmcnt(8) lgkmcnt(0)
	v_mul_f64 v[177:178], v[6:7], v[16:17]
	v_mul_f64 v[16:17], v[8:9], v[16:17]
	v_add_f64 v[44:45], v[44:45], 0
	v_add_f64 v[48:49], v[48:49], 0
	v_fma_f64 v[156:157], v[4:5], v[10:11], v[156:157]
	v_fma_f64 v[179:180], v[2:3], v[10:11], -v[12:13]
	ds_load_b128 v[2:5], v1 offset:1488
	scratch_load_b128 v[10:13], off, off offset:720
	v_add_f64 v[44:45], v[44:45], v[175:176]
	v_add_f64 v[46:47], v[48:49], v[46:47]
	v_fma_f64 v[175:176], v[8:9], v[14:15], v[177:178]
	v_fma_f64 v[177:178], v[6:7], v[14:15], -v[16:17]
	scratch_load_b128 v[14:17], off, off offset:736
	ds_load_b128 v[6:9], v1 offset:1504
	s_waitcnt vmcnt(9) lgkmcnt(1)
	v_mul_f64 v[48:49], v[2:3], v[20:21]
	v_mul_f64 v[20:21], v[4:5], v[20:21]
	v_add_f64 v[44:45], v[44:45], v[179:180]
	v_add_f64 v[46:47], v[46:47], v[156:157]
	s_waitcnt vmcnt(8) lgkmcnt(0)
	v_mul_f64 v[156:157], v[6:7], v[24:25]
	v_mul_f64 v[24:25], v[8:9], v[24:25]
	v_fma_f64 v[48:49], v[4:5], v[18:19], v[48:49]
	v_fma_f64 v[179:180], v[2:3], v[18:19], -v[20:21]
	ds_load_b128 v[2:5], v1 offset:1520
	scratch_load_b128 v[18:21], off, off offset:752
	v_add_f64 v[44:45], v[44:45], v[177:178]
	v_add_f64 v[46:47], v[46:47], v[175:176]
	v_fma_f64 v[156:157], v[8:9], v[22:23], v[156:157]
	v_fma_f64 v[177:178], v[6:7], v[22:23], -v[24:25]
	scratch_load_b128 v[22:25], off, off offset:768
	ds_load_b128 v[6:9], v1 offset:1536
	s_waitcnt vmcnt(9) lgkmcnt(1)
	v_mul_f64 v[175:176], v[2:3], v[28:29]
	v_mul_f64 v[28:29], v[4:5], v[28:29]
	v_add_f64 v[44:45], v[44:45], v[179:180]
	v_add_f64 v[46:47], v[46:47], v[48:49]
	s_waitcnt vmcnt(8) lgkmcnt(0)
	v_mul_f64 v[48:49], v[6:7], v[32:33]
	v_mul_f64 v[32:33], v[8:9], v[32:33]
	v_fma_f64 v[175:176], v[4:5], v[26:27], v[175:176]
	v_fma_f64 v[179:180], v[2:3], v[26:27], -v[28:29]
	ds_load_b128 v[2:5], v1 offset:1552
	scratch_load_b128 v[26:29], off, off offset:784
	v_add_f64 v[44:45], v[44:45], v[177:178]
	v_add_f64 v[46:47], v[46:47], v[156:157]
	v_fma_f64 v[48:49], v[8:9], v[30:31], v[48:49]
	v_fma_f64 v[177:178], v[6:7], v[30:31], -v[32:33]
	ds_load_b128 v[6:9], v1 offset:1568
	s_waitcnt vmcnt(8) lgkmcnt(1)
	v_mul_f64 v[156:157], v[2:3], v[40:41]
	v_mul_f64 v[40:41], v[4:5], v[40:41]
	scratch_load_b128 v[30:33], off, off offset:800
	v_add_f64 v[44:45], v[44:45], v[179:180]
	v_add_f64 v[46:47], v[46:47], v[175:176]
	s_waitcnt vmcnt(8) lgkmcnt(0)
	v_mul_f64 v[175:176], v[6:7], v[173:174]
	v_mul_f64 v[173:174], v[8:9], v[173:174]
	v_fma_f64 v[156:157], v[4:5], v[38:39], v[156:157]
	v_fma_f64 v[179:180], v[2:3], v[38:39], -v[40:41]
	scratch_load_b128 v[38:41], off, off offset:816
	ds_load_b128 v[2:5], v1 offset:1584
	v_add_f64 v[44:45], v[44:45], v[177:178]
	v_add_f64 v[46:47], v[46:47], v[48:49]
	v_fma_f64 v[175:176], v[8:9], v[171:172], v[175:176]
	v_fma_f64 v[177:178], v[6:7], v[171:172], -v[173:174]
	ds_load_b128 v[6:9], v1 offset:1600
	scratch_load_b128 v[171:174], off, off offset:832
	s_waitcnt vmcnt(9) lgkmcnt(1)
	v_mul_f64 v[48:49], v[2:3], v[36:37]
	v_mul_f64 v[36:37], v[4:5], v[36:37]
	v_add_f64 v[44:45], v[44:45], v[179:180]
	v_add_f64 v[46:47], v[46:47], v[156:157]
	s_waitcnt vmcnt(8) lgkmcnt(0)
	v_mul_f64 v[156:157], v[6:7], v[169:170]
	v_mul_f64 v[169:170], v[8:9], v[169:170]
	v_fma_f64 v[48:49], v[4:5], v[34:35], v[48:49]
	v_fma_f64 v[179:180], v[2:3], v[34:35], -v[36:37]
	scratch_load_b128 v[34:37], off, off offset:848
	ds_load_b128 v[2:5], v1 offset:1616
	v_add_f64 v[44:45], v[44:45], v[177:178]
	v_add_f64 v[46:47], v[46:47], v[175:176]
	v_fma_f64 v[156:157], v[8:9], v[167:168], v[156:157]
	v_fma_f64 v[177:178], v[6:7], v[167:168], -v[169:170]
	ds_load_b128 v[6:9], v1 offset:1632
	s_waitcnt vmcnt(8) lgkmcnt(1)
	v_mul_f64 v[175:176], v[2:3], v[12:13]
	v_mul_f64 v[12:13], v[4:5], v[12:13]
	scratch_load_b128 v[167:170], off, off offset:864
	v_add_f64 v[44:45], v[44:45], v[179:180]
	v_add_f64 v[46:47], v[46:47], v[48:49]
	s_waitcnt vmcnt(8) lgkmcnt(0)
	v_mul_f64 v[48:49], v[6:7], v[16:17]
	v_mul_f64 v[16:17], v[8:9], v[16:17]
	v_fma_f64 v[175:176], v[4:5], v[10:11], v[175:176]
	v_fma_f64 v[179:180], v[2:3], v[10:11], -v[12:13]
	scratch_load_b128 v[10:13], off, off offset:880
	ds_load_b128 v[2:5], v1 offset:1648
	v_add_f64 v[44:45], v[44:45], v[177:178]
	v_add_f64 v[46:47], v[46:47], v[156:157]
	v_fma_f64 v[48:49], v[8:9], v[14:15], v[48:49]
	v_fma_f64 v[14:15], v[6:7], v[14:15], -v[16:17]
	ds_load_b128 v[6:9], v1 offset:1664
	s_waitcnt vmcnt(8) lgkmcnt(1)
	v_mul_f64 v[156:157], v[2:3], v[20:21]
	v_mul_f64 v[20:21], v[4:5], v[20:21]
	v_add_f64 v[16:17], v[44:45], v[179:180]
	v_add_f64 v[44:45], v[46:47], v[175:176]
	s_waitcnt vmcnt(7) lgkmcnt(0)
	v_mul_f64 v[46:47], v[6:7], v[24:25]
	v_mul_f64 v[24:25], v[8:9], v[24:25]
	v_fma_f64 v[156:157], v[4:5], v[18:19], v[156:157]
	v_fma_f64 v[18:19], v[2:3], v[18:19], -v[20:21]
	ds_load_b128 v[2:5], v1 offset:1680
	v_add_f64 v[14:15], v[16:17], v[14:15]
	v_add_f64 v[16:17], v[44:45], v[48:49]
	v_fma_f64 v[44:45], v[8:9], v[22:23], v[46:47]
	v_fma_f64 v[22:23], v[6:7], v[22:23], -v[24:25]
	ds_load_b128 v[6:9], v1 offset:1696
	s_waitcnt vmcnt(5) lgkmcnt(0)
	v_mul_f64 v[46:47], v[6:7], v[32:33]
	v_mul_f64 v[32:33], v[8:9], v[32:33]
	v_add_f64 v[18:19], v[14:15], v[18:19]
	v_add_f64 v[24:25], v[16:17], v[156:157]
	scratch_load_b128 v[14:17], off, off offset:512
	v_mul_f64 v[20:21], v[2:3], v[28:29]
	v_mul_f64 v[28:29], v[4:5], v[28:29]
	v_add_f64 v[18:19], v[18:19], v[22:23]
	v_add_f64 v[22:23], v[24:25], v[44:45]
	s_delay_alu instid0(VALU_DEP_4) | instskip(NEXT) | instid1(VALU_DEP_4)
	v_fma_f64 v[20:21], v[4:5], v[26:27], v[20:21]
	v_fma_f64 v[26:27], v[2:3], v[26:27], -v[28:29]
	ds_load_b128 v[2:5], v1 offset:1712
	s_waitcnt vmcnt(5) lgkmcnt(0)
	v_mul_f64 v[24:25], v[2:3], v[40:41]
	v_mul_f64 v[28:29], v[4:5], v[40:41]
	v_fma_f64 v[40:41], v[8:9], v[30:31], v[46:47]
	v_fma_f64 v[30:31], v[6:7], v[30:31], -v[32:33]
	ds_load_b128 v[6:9], v1 offset:1728
	v_add_f64 v[20:21], v[22:23], v[20:21]
	v_add_f64 v[18:19], v[18:19], v[26:27]
	v_fma_f64 v[24:25], v[4:5], v[38:39], v[24:25]
	v_fma_f64 v[28:29], v[2:3], v[38:39], -v[28:29]
	ds_load_b128 v[2:5], v1 offset:1744
	s_waitcnt vmcnt(4) lgkmcnt(1)
	v_mul_f64 v[22:23], v[6:7], v[173:174]
	v_mul_f64 v[26:27], v[8:9], v[173:174]
	v_add_f64 v[20:21], v[20:21], v[40:41]
	v_add_f64 v[18:19], v[18:19], v[30:31]
	s_waitcnt vmcnt(3) lgkmcnt(0)
	v_mul_f64 v[30:31], v[2:3], v[36:37]
	v_mul_f64 v[32:33], v[4:5], v[36:37]
	v_fma_f64 v[22:23], v[8:9], v[171:172], v[22:23]
	v_fma_f64 v[26:27], v[6:7], v[171:172], -v[26:27]
	ds_load_b128 v[6:9], v1 offset:1760
	v_add_f64 v[20:21], v[20:21], v[24:25]
	v_add_f64 v[18:19], v[18:19], v[28:29]
	v_fma_f64 v[30:31], v[4:5], v[34:35], v[30:31]
	v_fma_f64 v[32:33], v[2:3], v[34:35], -v[32:33]
	ds_load_b128 v[2:5], v1 offset:1776
	s_waitcnt vmcnt(2) lgkmcnt(1)
	v_mul_f64 v[24:25], v[6:7], v[169:170]
	v_mul_f64 v[28:29], v[8:9], v[169:170]
	v_add_f64 v[20:21], v[20:21], v[22:23]
	v_add_f64 v[18:19], v[18:19], v[26:27]
	s_waitcnt vmcnt(1) lgkmcnt(0)
	v_mul_f64 v[22:23], v[2:3], v[12:13]
	v_mul_f64 v[12:13], v[4:5], v[12:13]
	v_fma_f64 v[8:9], v[8:9], v[167:168], v[24:25]
	v_fma_f64 v[6:7], v[6:7], v[167:168], -v[28:29]
	v_add_f64 v[20:21], v[20:21], v[30:31]
	v_add_f64 v[18:19], v[18:19], v[32:33]
	v_fma_f64 v[4:5], v[4:5], v[10:11], v[22:23]
	v_fma_f64 v[2:3], v[2:3], v[10:11], -v[12:13]
	s_delay_alu instid0(VALU_DEP_4) | instskip(NEXT) | instid1(VALU_DEP_4)
	v_add_f64 v[8:9], v[20:21], v[8:9]
	v_add_f64 v[6:7], v[18:19], v[6:7]
	s_delay_alu instid0(VALU_DEP_2) | instskip(NEXT) | instid1(VALU_DEP_2)
	v_add_f64 v[4:5], v[8:9], v[4:5]
	v_add_f64 v[2:3], v[6:7], v[2:3]
	s_waitcnt vmcnt(0)
	s_delay_alu instid0(VALU_DEP_2) | instskip(NEXT) | instid1(VALU_DEP_2)
	v_add_f64 v[4:5], v[16:17], -v[4:5]
	v_add_f64 v[2:3], v[14:15], -v[2:3]
	scratch_store_b128 off, v[2:5], off offset:512
	v_cmpx_lt_u32_e32 31, v154
	s_cbranch_execz .LBB55_287
; %bb.286:
	scratch_load_b128 v[5:8], v159, off
	v_mov_b32_e32 v2, v1
	v_mov_b32_e32 v3, v1
	;; [unrolled: 1-line block ×3, first 2 shown]
	scratch_store_b128 off, v[1:4], off offset:496
	s_waitcnt vmcnt(0)
	ds_store_b128 v210, v[5:8]
.LBB55_287:
	s_or_b32 exec_lo, exec_lo, s2
	s_waitcnt lgkmcnt(0)
	s_waitcnt_vscnt null, 0x0
	s_barrier
	buffer_gl0_inv
	s_clause 0x7
	scratch_load_b128 v[2:5], off, off offset:512
	scratch_load_b128 v[6:9], off, off offset:528
	;; [unrolled: 1-line block ×8, first 2 shown]
	ds_load_b128 v[34:37], v1 offset:1408
	ds_load_b128 v[167:170], v1 offset:1424
	s_clause 0x1
	scratch_load_b128 v[38:41], off, off offset:640
	scratch_load_b128 v[171:174], off, off offset:656
	s_mov_b32 s2, exec_lo
	s_waitcnt vmcnt(9) lgkmcnt(1)
	v_mul_f64 v[44:45], v[36:37], v[4:5]
	v_mul_f64 v[4:5], v[34:35], v[4:5]
	s_waitcnt vmcnt(8) lgkmcnt(0)
	v_mul_f64 v[46:47], v[167:168], v[8:9]
	v_mul_f64 v[8:9], v[169:170], v[8:9]
	s_delay_alu instid0(VALU_DEP_4) | instskip(NEXT) | instid1(VALU_DEP_4)
	v_fma_f64 v[44:45], v[34:35], v[2:3], -v[44:45]
	v_fma_f64 v[48:49], v[36:37], v[2:3], v[4:5]
	ds_load_b128 v[2:5], v1 offset:1440
	scratch_load_b128 v[34:37], off, off offset:672
	v_fma_f64 v[46:47], v[169:170], v[6:7], v[46:47]
	v_fma_f64 v[175:176], v[167:168], v[6:7], -v[8:9]
	scratch_load_b128 v[167:170], off, off offset:688
	ds_load_b128 v[6:9], v1 offset:1456
	s_waitcnt vmcnt(9) lgkmcnt(1)
	v_mul_f64 v[156:157], v[2:3], v[12:13]
	v_mul_f64 v[12:13], v[4:5], v[12:13]
	s_waitcnt vmcnt(8) lgkmcnt(0)
	v_mul_f64 v[177:178], v[6:7], v[16:17]
	v_mul_f64 v[16:17], v[8:9], v[16:17]
	v_add_f64 v[44:45], v[44:45], 0
	v_add_f64 v[48:49], v[48:49], 0
	v_fma_f64 v[156:157], v[4:5], v[10:11], v[156:157]
	v_fma_f64 v[179:180], v[2:3], v[10:11], -v[12:13]
	ds_load_b128 v[2:5], v1 offset:1472
	scratch_load_b128 v[10:13], off, off offset:704
	v_add_f64 v[44:45], v[44:45], v[175:176]
	v_add_f64 v[46:47], v[48:49], v[46:47]
	v_fma_f64 v[175:176], v[8:9], v[14:15], v[177:178]
	v_fma_f64 v[177:178], v[6:7], v[14:15], -v[16:17]
	scratch_load_b128 v[14:17], off, off offset:720
	ds_load_b128 v[6:9], v1 offset:1488
	s_waitcnt vmcnt(9) lgkmcnt(1)
	v_mul_f64 v[48:49], v[2:3], v[20:21]
	v_mul_f64 v[20:21], v[4:5], v[20:21]
	v_add_f64 v[44:45], v[44:45], v[179:180]
	v_add_f64 v[46:47], v[46:47], v[156:157]
	s_waitcnt vmcnt(8) lgkmcnt(0)
	v_mul_f64 v[156:157], v[6:7], v[24:25]
	v_mul_f64 v[24:25], v[8:9], v[24:25]
	v_fma_f64 v[48:49], v[4:5], v[18:19], v[48:49]
	v_fma_f64 v[179:180], v[2:3], v[18:19], -v[20:21]
	ds_load_b128 v[2:5], v1 offset:1504
	scratch_load_b128 v[18:21], off, off offset:736
	v_add_f64 v[44:45], v[44:45], v[177:178]
	v_add_f64 v[46:47], v[46:47], v[175:176]
	v_fma_f64 v[156:157], v[8:9], v[22:23], v[156:157]
	v_fma_f64 v[177:178], v[6:7], v[22:23], -v[24:25]
	scratch_load_b128 v[22:25], off, off offset:752
	ds_load_b128 v[6:9], v1 offset:1520
	s_waitcnt vmcnt(9) lgkmcnt(1)
	v_mul_f64 v[175:176], v[2:3], v[28:29]
	v_mul_f64 v[28:29], v[4:5], v[28:29]
	v_add_f64 v[44:45], v[44:45], v[179:180]
	v_add_f64 v[46:47], v[46:47], v[48:49]
	s_waitcnt vmcnt(8) lgkmcnt(0)
	v_mul_f64 v[48:49], v[6:7], v[32:33]
	v_mul_f64 v[32:33], v[8:9], v[32:33]
	v_fma_f64 v[175:176], v[4:5], v[26:27], v[175:176]
	v_fma_f64 v[179:180], v[2:3], v[26:27], -v[28:29]
	ds_load_b128 v[2:5], v1 offset:1536
	scratch_load_b128 v[26:29], off, off offset:768
	v_add_f64 v[44:45], v[44:45], v[177:178]
	v_add_f64 v[46:47], v[46:47], v[156:157]
	v_fma_f64 v[48:49], v[8:9], v[30:31], v[48:49]
	v_fma_f64 v[177:178], v[6:7], v[30:31], -v[32:33]
	ds_load_b128 v[6:9], v1 offset:1552
	s_waitcnt vmcnt(8) lgkmcnt(1)
	v_mul_f64 v[156:157], v[2:3], v[40:41]
	v_mul_f64 v[40:41], v[4:5], v[40:41]
	scratch_load_b128 v[30:33], off, off offset:784
	v_add_f64 v[44:45], v[44:45], v[179:180]
	v_add_f64 v[46:47], v[46:47], v[175:176]
	s_waitcnt vmcnt(8) lgkmcnt(0)
	v_mul_f64 v[175:176], v[6:7], v[173:174]
	v_mul_f64 v[173:174], v[8:9], v[173:174]
	v_fma_f64 v[156:157], v[4:5], v[38:39], v[156:157]
	v_fma_f64 v[179:180], v[2:3], v[38:39], -v[40:41]
	ds_load_b128 v[2:5], v1 offset:1568
	scratch_load_b128 v[38:41], off, off offset:800
	v_add_f64 v[44:45], v[44:45], v[177:178]
	v_add_f64 v[46:47], v[46:47], v[48:49]
	v_fma_f64 v[175:176], v[8:9], v[171:172], v[175:176]
	v_fma_f64 v[177:178], v[6:7], v[171:172], -v[173:174]
	ds_load_b128 v[6:9], v1 offset:1584
	scratch_load_b128 v[171:174], off, off offset:816
	s_waitcnt vmcnt(9) lgkmcnt(1)
	v_mul_f64 v[48:49], v[2:3], v[36:37]
	v_mul_f64 v[36:37], v[4:5], v[36:37]
	v_add_f64 v[44:45], v[44:45], v[179:180]
	v_add_f64 v[46:47], v[46:47], v[156:157]
	s_waitcnt vmcnt(8) lgkmcnt(0)
	v_mul_f64 v[156:157], v[6:7], v[169:170]
	v_mul_f64 v[169:170], v[8:9], v[169:170]
	v_fma_f64 v[48:49], v[4:5], v[34:35], v[48:49]
	v_fma_f64 v[179:180], v[2:3], v[34:35], -v[36:37]
	scratch_load_b128 v[34:37], off, off offset:832
	ds_load_b128 v[2:5], v1 offset:1600
	v_add_f64 v[44:45], v[44:45], v[177:178]
	v_add_f64 v[46:47], v[46:47], v[175:176]
	v_fma_f64 v[156:157], v[8:9], v[167:168], v[156:157]
	v_fma_f64 v[177:178], v[6:7], v[167:168], -v[169:170]
	ds_load_b128 v[6:9], v1 offset:1616
	s_waitcnt vmcnt(8) lgkmcnt(1)
	v_mul_f64 v[175:176], v[2:3], v[12:13]
	v_mul_f64 v[12:13], v[4:5], v[12:13]
	scratch_load_b128 v[167:170], off, off offset:848
	v_add_f64 v[44:45], v[44:45], v[179:180]
	v_add_f64 v[46:47], v[46:47], v[48:49]
	s_waitcnt vmcnt(8) lgkmcnt(0)
	v_mul_f64 v[48:49], v[6:7], v[16:17]
	v_mul_f64 v[16:17], v[8:9], v[16:17]
	v_fma_f64 v[175:176], v[4:5], v[10:11], v[175:176]
	v_fma_f64 v[179:180], v[2:3], v[10:11], -v[12:13]
	scratch_load_b128 v[10:13], off, off offset:864
	ds_load_b128 v[2:5], v1 offset:1632
	v_add_f64 v[44:45], v[44:45], v[177:178]
	v_add_f64 v[46:47], v[46:47], v[156:157]
	v_fma_f64 v[48:49], v[8:9], v[14:15], v[48:49]
	v_fma_f64 v[177:178], v[6:7], v[14:15], -v[16:17]
	ds_load_b128 v[6:9], v1 offset:1648
	s_waitcnt vmcnt(8) lgkmcnt(1)
	v_mul_f64 v[156:157], v[2:3], v[20:21]
	v_mul_f64 v[20:21], v[4:5], v[20:21]
	scratch_load_b128 v[14:17], off, off offset:880
	v_add_f64 v[44:45], v[44:45], v[179:180]
	v_add_f64 v[46:47], v[46:47], v[175:176]
	s_waitcnt vmcnt(8) lgkmcnt(0)
	v_mul_f64 v[175:176], v[6:7], v[24:25]
	v_mul_f64 v[24:25], v[8:9], v[24:25]
	v_fma_f64 v[156:157], v[4:5], v[18:19], v[156:157]
	v_fma_f64 v[18:19], v[2:3], v[18:19], -v[20:21]
	ds_load_b128 v[2:5], v1 offset:1664
	v_add_f64 v[20:21], v[44:45], v[177:178]
	v_add_f64 v[44:45], v[46:47], v[48:49]
	v_fma_f64 v[48:49], v[8:9], v[22:23], v[175:176]
	v_fma_f64 v[22:23], v[6:7], v[22:23], -v[24:25]
	ds_load_b128 v[6:9], v1 offset:1680
	s_waitcnt vmcnt(7) lgkmcnt(1)
	v_mul_f64 v[46:47], v[2:3], v[28:29]
	v_mul_f64 v[28:29], v[4:5], v[28:29]
	v_add_f64 v[18:19], v[20:21], v[18:19]
	v_add_f64 v[20:21], v[44:45], v[156:157]
	s_delay_alu instid0(VALU_DEP_4) | instskip(NEXT) | instid1(VALU_DEP_4)
	v_fma_f64 v[44:45], v[4:5], v[26:27], v[46:47]
	v_fma_f64 v[26:27], v[2:3], v[26:27], -v[28:29]
	ds_load_b128 v[2:5], v1 offset:1696
	v_add_f64 v[22:23], v[18:19], v[22:23]
	v_add_f64 v[28:29], v[20:21], v[48:49]
	scratch_load_b128 v[18:21], off, off offset:496
	s_waitcnt vmcnt(7) lgkmcnt(1)
	v_mul_f64 v[24:25], v[6:7], v[32:33]
	v_mul_f64 v[32:33], v[8:9], v[32:33]
	v_add_f64 v[22:23], v[22:23], v[26:27]
	v_add_f64 v[26:27], v[28:29], v[44:45]
	s_delay_alu instid0(VALU_DEP_4) | instskip(NEXT) | instid1(VALU_DEP_4)
	v_fma_f64 v[24:25], v[8:9], v[30:31], v[24:25]
	v_fma_f64 v[30:31], v[6:7], v[30:31], -v[32:33]
	ds_load_b128 v[6:9], v1 offset:1712
	s_waitcnt vmcnt(6) lgkmcnt(1)
	v_mul_f64 v[46:47], v[2:3], v[40:41]
	v_mul_f64 v[40:41], v[4:5], v[40:41]
	s_waitcnt vmcnt(5) lgkmcnt(0)
	v_mul_f64 v[28:29], v[6:7], v[173:174]
	v_mul_f64 v[32:33], v[8:9], v[173:174]
	v_add_f64 v[24:25], v[26:27], v[24:25]
	v_add_f64 v[22:23], v[22:23], v[30:31]
	v_fma_f64 v[44:45], v[4:5], v[38:39], v[46:47]
	v_fma_f64 v[38:39], v[2:3], v[38:39], -v[40:41]
	ds_load_b128 v[2:5], v1 offset:1728
	v_fma_f64 v[28:29], v[8:9], v[171:172], v[28:29]
	v_fma_f64 v[32:33], v[6:7], v[171:172], -v[32:33]
	ds_load_b128 v[6:9], v1 offset:1744
	s_waitcnt vmcnt(4) lgkmcnt(1)
	v_mul_f64 v[26:27], v[2:3], v[36:37]
	v_mul_f64 v[30:31], v[4:5], v[36:37]
	v_add_f64 v[24:25], v[24:25], v[44:45]
	v_add_f64 v[22:23], v[22:23], v[38:39]
	s_waitcnt vmcnt(3) lgkmcnt(0)
	v_mul_f64 v[36:37], v[6:7], v[169:170]
	v_mul_f64 v[38:39], v[8:9], v[169:170]
	v_fma_f64 v[26:27], v[4:5], v[34:35], v[26:27]
	v_fma_f64 v[30:31], v[2:3], v[34:35], -v[30:31]
	ds_load_b128 v[2:5], v1 offset:1760
	v_add_f64 v[24:25], v[24:25], v[28:29]
	v_add_f64 v[22:23], v[22:23], v[32:33]
	v_fma_f64 v[32:33], v[8:9], v[167:168], v[36:37]
	v_fma_f64 v[34:35], v[6:7], v[167:168], -v[38:39]
	ds_load_b128 v[6:9], v1 offset:1776
	s_waitcnt vmcnt(2) lgkmcnt(1)
	v_mul_f64 v[28:29], v[2:3], v[12:13]
	v_mul_f64 v[12:13], v[4:5], v[12:13]
	v_add_f64 v[24:25], v[24:25], v[26:27]
	v_add_f64 v[22:23], v[22:23], v[30:31]
	s_waitcnt vmcnt(1) lgkmcnt(0)
	v_mul_f64 v[26:27], v[6:7], v[16:17]
	v_mul_f64 v[16:17], v[8:9], v[16:17]
	v_fma_f64 v[4:5], v[4:5], v[10:11], v[28:29]
	v_fma_f64 v[1:2], v[2:3], v[10:11], -v[12:13]
	v_add_f64 v[12:13], v[24:25], v[32:33]
	v_add_f64 v[10:11], v[22:23], v[34:35]
	v_fma_f64 v[8:9], v[8:9], v[14:15], v[26:27]
	v_fma_f64 v[6:7], v[6:7], v[14:15], -v[16:17]
	s_delay_alu instid0(VALU_DEP_4) | instskip(NEXT) | instid1(VALU_DEP_4)
	v_add_f64 v[3:4], v[12:13], v[4:5]
	v_add_f64 v[1:2], v[10:11], v[1:2]
	s_delay_alu instid0(VALU_DEP_2) | instskip(NEXT) | instid1(VALU_DEP_2)
	v_add_f64 v[3:4], v[3:4], v[8:9]
	v_add_f64 v[1:2], v[1:2], v[6:7]
	s_waitcnt vmcnt(0)
	s_delay_alu instid0(VALU_DEP_2) | instskip(NEXT) | instid1(VALU_DEP_2)
	v_add_f64 v[3:4], v[20:21], -v[3:4]
	v_add_f64 v[1:2], v[18:19], -v[1:2]
	scratch_store_b128 off, v[1:4], off offset:496
	v_cmpx_lt_u32_e32 30, v154
	s_cbranch_execz .LBB55_289
; %bb.288:
	scratch_load_b128 v[1:4], v213, off
	v_mov_b32_e32 v5, 0
	s_delay_alu instid0(VALU_DEP_1)
	v_mov_b32_e32 v6, v5
	v_mov_b32_e32 v7, v5
	;; [unrolled: 1-line block ×3, first 2 shown]
	scratch_store_b128 off, v[5:8], off offset:480
	s_waitcnt vmcnt(0)
	ds_store_b128 v210, v[1:4]
.LBB55_289:
	s_or_b32 exec_lo, exec_lo, s2
	s_waitcnt lgkmcnt(0)
	s_waitcnt_vscnt null, 0x0
	s_barrier
	buffer_gl0_inv
	s_clause 0x7
	scratch_load_b128 v[2:5], off, off offset:496
	scratch_load_b128 v[6:9], off, off offset:512
	;; [unrolled: 1-line block ×8, first 2 shown]
	v_mov_b32_e32 v1, 0
	s_clause 0x1
	scratch_load_b128 v[38:41], off, off offset:624
	scratch_load_b128 v[171:174], off, off offset:640
	s_mov_b32 s2, exec_lo
	ds_load_b128 v[34:37], v1 offset:1392
	ds_load_b128 v[167:170], v1 offset:1408
	s_waitcnt vmcnt(9) lgkmcnt(1)
	v_mul_f64 v[44:45], v[36:37], v[4:5]
	v_mul_f64 v[4:5], v[34:35], v[4:5]
	s_waitcnt vmcnt(8) lgkmcnt(0)
	v_mul_f64 v[46:47], v[167:168], v[8:9]
	v_mul_f64 v[8:9], v[169:170], v[8:9]
	s_delay_alu instid0(VALU_DEP_4) | instskip(NEXT) | instid1(VALU_DEP_4)
	v_fma_f64 v[44:45], v[34:35], v[2:3], -v[44:45]
	v_fma_f64 v[48:49], v[36:37], v[2:3], v[4:5]
	ds_load_b128 v[2:5], v1 offset:1424
	scratch_load_b128 v[34:37], off, off offset:656
	v_fma_f64 v[46:47], v[169:170], v[6:7], v[46:47]
	v_fma_f64 v[175:176], v[167:168], v[6:7], -v[8:9]
	scratch_load_b128 v[167:170], off, off offset:672
	ds_load_b128 v[6:9], v1 offset:1440
	s_waitcnt vmcnt(9) lgkmcnt(1)
	v_mul_f64 v[156:157], v[2:3], v[12:13]
	v_mul_f64 v[12:13], v[4:5], v[12:13]
	s_waitcnt vmcnt(8) lgkmcnt(0)
	v_mul_f64 v[177:178], v[6:7], v[16:17]
	v_mul_f64 v[16:17], v[8:9], v[16:17]
	v_add_f64 v[44:45], v[44:45], 0
	v_add_f64 v[48:49], v[48:49], 0
	v_fma_f64 v[156:157], v[4:5], v[10:11], v[156:157]
	v_fma_f64 v[179:180], v[2:3], v[10:11], -v[12:13]
	ds_load_b128 v[2:5], v1 offset:1456
	scratch_load_b128 v[10:13], off, off offset:688
	v_add_f64 v[44:45], v[44:45], v[175:176]
	v_add_f64 v[46:47], v[48:49], v[46:47]
	v_fma_f64 v[175:176], v[8:9], v[14:15], v[177:178]
	v_fma_f64 v[177:178], v[6:7], v[14:15], -v[16:17]
	scratch_load_b128 v[14:17], off, off offset:704
	ds_load_b128 v[6:9], v1 offset:1472
	s_waitcnt vmcnt(9) lgkmcnt(1)
	v_mul_f64 v[48:49], v[2:3], v[20:21]
	v_mul_f64 v[20:21], v[4:5], v[20:21]
	v_add_f64 v[44:45], v[44:45], v[179:180]
	v_add_f64 v[46:47], v[46:47], v[156:157]
	s_waitcnt vmcnt(8) lgkmcnt(0)
	v_mul_f64 v[156:157], v[6:7], v[24:25]
	v_mul_f64 v[24:25], v[8:9], v[24:25]
	v_fma_f64 v[48:49], v[4:5], v[18:19], v[48:49]
	v_fma_f64 v[179:180], v[2:3], v[18:19], -v[20:21]
	ds_load_b128 v[2:5], v1 offset:1488
	scratch_load_b128 v[18:21], off, off offset:720
	v_add_f64 v[44:45], v[44:45], v[177:178]
	v_add_f64 v[46:47], v[46:47], v[175:176]
	v_fma_f64 v[156:157], v[8:9], v[22:23], v[156:157]
	v_fma_f64 v[177:178], v[6:7], v[22:23], -v[24:25]
	scratch_load_b128 v[22:25], off, off offset:736
	ds_load_b128 v[6:9], v1 offset:1504
	s_waitcnt vmcnt(9) lgkmcnt(1)
	v_mul_f64 v[175:176], v[2:3], v[28:29]
	v_mul_f64 v[28:29], v[4:5], v[28:29]
	v_add_f64 v[44:45], v[44:45], v[179:180]
	v_add_f64 v[46:47], v[46:47], v[48:49]
	s_waitcnt vmcnt(8) lgkmcnt(0)
	v_mul_f64 v[48:49], v[6:7], v[32:33]
	v_mul_f64 v[32:33], v[8:9], v[32:33]
	;; [unrolled: 18-line block ×3, first 2 shown]
	v_fma_f64 v[156:157], v[4:5], v[38:39], v[156:157]
	v_fma_f64 v[179:180], v[2:3], v[38:39], -v[40:41]
	ds_load_b128 v[2:5], v1 offset:1552
	scratch_load_b128 v[38:41], off, off offset:784
	v_add_f64 v[44:45], v[44:45], v[177:178]
	v_add_f64 v[46:47], v[46:47], v[48:49]
	v_fma_f64 v[175:176], v[8:9], v[171:172], v[175:176]
	v_fma_f64 v[177:178], v[6:7], v[171:172], -v[173:174]
	ds_load_b128 v[6:9], v1 offset:1568
	scratch_load_b128 v[171:174], off, off offset:800
	s_waitcnt vmcnt(9) lgkmcnt(1)
	v_mul_f64 v[48:49], v[2:3], v[36:37]
	v_mul_f64 v[36:37], v[4:5], v[36:37]
	v_add_f64 v[44:45], v[44:45], v[179:180]
	v_add_f64 v[46:47], v[46:47], v[156:157]
	s_waitcnt vmcnt(8) lgkmcnt(0)
	v_mul_f64 v[156:157], v[6:7], v[169:170]
	v_mul_f64 v[169:170], v[8:9], v[169:170]
	v_fma_f64 v[48:49], v[4:5], v[34:35], v[48:49]
	v_fma_f64 v[179:180], v[2:3], v[34:35], -v[36:37]
	scratch_load_b128 v[34:37], off, off offset:816
	ds_load_b128 v[2:5], v1 offset:1584
	v_add_f64 v[44:45], v[44:45], v[177:178]
	v_add_f64 v[46:47], v[46:47], v[175:176]
	v_fma_f64 v[156:157], v[8:9], v[167:168], v[156:157]
	v_fma_f64 v[177:178], v[6:7], v[167:168], -v[169:170]
	ds_load_b128 v[6:9], v1 offset:1600
	s_waitcnt vmcnt(8) lgkmcnt(1)
	v_mul_f64 v[175:176], v[2:3], v[12:13]
	v_mul_f64 v[12:13], v[4:5], v[12:13]
	scratch_load_b128 v[167:170], off, off offset:832
	v_add_f64 v[44:45], v[44:45], v[179:180]
	v_add_f64 v[46:47], v[46:47], v[48:49]
	s_waitcnt vmcnt(8) lgkmcnt(0)
	v_mul_f64 v[48:49], v[6:7], v[16:17]
	v_mul_f64 v[16:17], v[8:9], v[16:17]
	v_fma_f64 v[175:176], v[4:5], v[10:11], v[175:176]
	v_fma_f64 v[179:180], v[2:3], v[10:11], -v[12:13]
	scratch_load_b128 v[10:13], off, off offset:848
	ds_load_b128 v[2:5], v1 offset:1616
	v_add_f64 v[44:45], v[44:45], v[177:178]
	v_add_f64 v[46:47], v[46:47], v[156:157]
	v_fma_f64 v[48:49], v[8:9], v[14:15], v[48:49]
	v_fma_f64 v[177:178], v[6:7], v[14:15], -v[16:17]
	ds_load_b128 v[6:9], v1 offset:1632
	s_waitcnt vmcnt(8) lgkmcnt(1)
	v_mul_f64 v[156:157], v[2:3], v[20:21]
	v_mul_f64 v[20:21], v[4:5], v[20:21]
	scratch_load_b128 v[14:17], off, off offset:864
	v_add_f64 v[44:45], v[44:45], v[179:180]
	v_add_f64 v[46:47], v[46:47], v[175:176]
	s_waitcnt vmcnt(8) lgkmcnt(0)
	v_mul_f64 v[175:176], v[6:7], v[24:25]
	v_mul_f64 v[24:25], v[8:9], v[24:25]
	v_fma_f64 v[156:157], v[4:5], v[18:19], v[156:157]
	v_fma_f64 v[179:180], v[2:3], v[18:19], -v[20:21]
	scratch_load_b128 v[18:21], off, off offset:880
	ds_load_b128 v[2:5], v1 offset:1648
	v_add_f64 v[44:45], v[44:45], v[177:178]
	v_add_f64 v[46:47], v[46:47], v[48:49]
	v_fma_f64 v[175:176], v[8:9], v[22:23], v[175:176]
	v_fma_f64 v[22:23], v[6:7], v[22:23], -v[24:25]
	ds_load_b128 v[6:9], v1 offset:1664
	s_waitcnt vmcnt(8) lgkmcnt(1)
	v_mul_f64 v[48:49], v[2:3], v[28:29]
	v_mul_f64 v[28:29], v[4:5], v[28:29]
	v_add_f64 v[24:25], v[44:45], v[179:180]
	v_add_f64 v[44:45], v[46:47], v[156:157]
	s_waitcnt vmcnt(7) lgkmcnt(0)
	v_mul_f64 v[46:47], v[6:7], v[32:33]
	v_mul_f64 v[32:33], v[8:9], v[32:33]
	v_fma_f64 v[48:49], v[4:5], v[26:27], v[48:49]
	v_fma_f64 v[26:27], v[2:3], v[26:27], -v[28:29]
	ds_load_b128 v[2:5], v1 offset:1680
	v_add_f64 v[22:23], v[24:25], v[22:23]
	v_add_f64 v[24:25], v[44:45], v[175:176]
	v_fma_f64 v[44:45], v[8:9], v[30:31], v[46:47]
	v_fma_f64 v[30:31], v[6:7], v[30:31], -v[32:33]
	ds_load_b128 v[6:9], v1 offset:1696
	s_waitcnt vmcnt(5) lgkmcnt(0)
	v_mul_f64 v[46:47], v[6:7], v[173:174]
	v_add_f64 v[26:27], v[22:23], v[26:27]
	v_add_f64 v[32:33], v[24:25], v[48:49]
	scratch_load_b128 v[22:25], off, off offset:480
	v_mul_f64 v[28:29], v[2:3], v[40:41]
	v_mul_f64 v[40:41], v[4:5], v[40:41]
	;; [unrolled: 1-line block ×3, first 2 shown]
	v_add_f64 v[26:27], v[26:27], v[30:31]
	v_add_f64 v[30:31], v[32:33], v[44:45]
	v_fma_f64 v[28:29], v[4:5], v[38:39], v[28:29]
	v_fma_f64 v[38:39], v[2:3], v[38:39], -v[40:41]
	ds_load_b128 v[2:5], v1 offset:1712
	v_fma_f64 v[40:41], v[8:9], v[171:172], v[46:47]
	v_fma_f64 v[44:45], v[6:7], v[171:172], -v[48:49]
	ds_load_b128 v[6:9], v1 offset:1728
	s_waitcnt vmcnt(5) lgkmcnt(1)
	v_mul_f64 v[32:33], v[2:3], v[36:37]
	v_mul_f64 v[36:37], v[4:5], v[36:37]
	v_add_f64 v[28:29], v[30:31], v[28:29]
	v_add_f64 v[26:27], v[26:27], v[38:39]
	s_waitcnt vmcnt(4) lgkmcnt(0)
	v_mul_f64 v[30:31], v[6:7], v[169:170]
	v_mul_f64 v[38:39], v[8:9], v[169:170]
	v_fma_f64 v[32:33], v[4:5], v[34:35], v[32:33]
	v_fma_f64 v[34:35], v[2:3], v[34:35], -v[36:37]
	ds_load_b128 v[2:5], v1 offset:1744
	v_add_f64 v[28:29], v[28:29], v[40:41]
	v_add_f64 v[26:27], v[26:27], v[44:45]
	v_fma_f64 v[30:31], v[8:9], v[167:168], v[30:31]
	v_fma_f64 v[38:39], v[6:7], v[167:168], -v[38:39]
	ds_load_b128 v[6:9], v1 offset:1760
	s_waitcnt vmcnt(3) lgkmcnt(1)
	v_mul_f64 v[36:37], v[2:3], v[12:13]
	v_mul_f64 v[12:13], v[4:5], v[12:13]
	v_add_f64 v[28:29], v[28:29], v[32:33]
	v_add_f64 v[26:27], v[26:27], v[34:35]
	s_waitcnt vmcnt(2) lgkmcnt(0)
	v_mul_f64 v[32:33], v[6:7], v[16:17]
	v_mul_f64 v[16:17], v[8:9], v[16:17]
	v_fma_f64 v[34:35], v[4:5], v[10:11], v[36:37]
	v_fma_f64 v[10:11], v[2:3], v[10:11], -v[12:13]
	ds_load_b128 v[2:5], v1 offset:1776
	v_add_f64 v[12:13], v[26:27], v[38:39]
	v_add_f64 v[26:27], v[28:29], v[30:31]
	s_waitcnt vmcnt(1) lgkmcnt(0)
	v_mul_f64 v[28:29], v[2:3], v[20:21]
	v_mul_f64 v[20:21], v[4:5], v[20:21]
	v_fma_f64 v[8:9], v[8:9], v[14:15], v[32:33]
	v_fma_f64 v[6:7], v[6:7], v[14:15], -v[16:17]
	v_add_f64 v[10:11], v[12:13], v[10:11]
	v_add_f64 v[12:13], v[26:27], v[34:35]
	v_fma_f64 v[4:5], v[4:5], v[18:19], v[28:29]
	v_fma_f64 v[2:3], v[2:3], v[18:19], -v[20:21]
	s_delay_alu instid0(VALU_DEP_4) | instskip(NEXT) | instid1(VALU_DEP_4)
	v_add_f64 v[6:7], v[10:11], v[6:7]
	v_add_f64 v[8:9], v[12:13], v[8:9]
	s_delay_alu instid0(VALU_DEP_2) | instskip(NEXT) | instid1(VALU_DEP_2)
	v_add_f64 v[2:3], v[6:7], v[2:3]
	v_add_f64 v[4:5], v[8:9], v[4:5]
	s_waitcnt vmcnt(0)
	s_delay_alu instid0(VALU_DEP_2) | instskip(NEXT) | instid1(VALU_DEP_2)
	v_add_f64 v[2:3], v[22:23], -v[2:3]
	v_add_f64 v[4:5], v[24:25], -v[4:5]
	scratch_store_b128 off, v[2:5], off offset:480
	v_cmpx_lt_u32_e32 29, v154
	s_cbranch_execz .LBB55_291
; %bb.290:
	scratch_load_b128 v[5:8], v160, off
	v_mov_b32_e32 v2, v1
	v_mov_b32_e32 v3, v1
	v_mov_b32_e32 v4, v1
	scratch_store_b128 off, v[1:4], off offset:464
	s_waitcnt vmcnt(0)
	ds_store_b128 v210, v[5:8]
.LBB55_291:
	s_or_b32 exec_lo, exec_lo, s2
	s_waitcnt lgkmcnt(0)
	s_waitcnt_vscnt null, 0x0
	s_barrier
	buffer_gl0_inv
	s_clause 0x7
	scratch_load_b128 v[2:5], off, off offset:480
	scratch_load_b128 v[6:9], off, off offset:496
	;; [unrolled: 1-line block ×8, first 2 shown]
	ds_load_b128 v[38:41], v1 offset:1376
	ds_load_b128 v[167:170], v1 offset:1392
	s_clause 0x1
	scratch_load_b128 v[34:37], off, off offset:608
	scratch_load_b128 v[171:174], off, off offset:624
	s_mov_b32 s2, exec_lo
	s_waitcnt vmcnt(9) lgkmcnt(1)
	v_mul_f64 v[44:45], v[40:41], v[4:5]
	v_mul_f64 v[4:5], v[38:39], v[4:5]
	s_waitcnt vmcnt(8) lgkmcnt(0)
	v_mul_f64 v[46:47], v[167:168], v[8:9]
	v_mul_f64 v[8:9], v[169:170], v[8:9]
	s_delay_alu instid0(VALU_DEP_4) | instskip(NEXT) | instid1(VALU_DEP_4)
	v_fma_f64 v[44:45], v[38:39], v[2:3], -v[44:45]
	v_fma_f64 v[48:49], v[40:41], v[2:3], v[4:5]
	ds_load_b128 v[2:5], v1 offset:1408
	scratch_load_b128 v[38:41], off, off offset:640
	v_fma_f64 v[46:47], v[169:170], v[6:7], v[46:47]
	v_fma_f64 v[175:176], v[167:168], v[6:7], -v[8:9]
	scratch_load_b128 v[167:170], off, off offset:656
	ds_load_b128 v[6:9], v1 offset:1424
	s_waitcnt vmcnt(9) lgkmcnt(1)
	v_mul_f64 v[156:157], v[2:3], v[12:13]
	v_mul_f64 v[12:13], v[4:5], v[12:13]
	s_waitcnt vmcnt(8) lgkmcnt(0)
	v_mul_f64 v[177:178], v[6:7], v[16:17]
	v_mul_f64 v[16:17], v[8:9], v[16:17]
	v_add_f64 v[44:45], v[44:45], 0
	v_add_f64 v[48:49], v[48:49], 0
	v_fma_f64 v[156:157], v[4:5], v[10:11], v[156:157]
	v_fma_f64 v[179:180], v[2:3], v[10:11], -v[12:13]
	ds_load_b128 v[2:5], v1 offset:1440
	scratch_load_b128 v[10:13], off, off offset:672
	v_add_f64 v[44:45], v[44:45], v[175:176]
	v_add_f64 v[46:47], v[48:49], v[46:47]
	v_fma_f64 v[175:176], v[8:9], v[14:15], v[177:178]
	v_fma_f64 v[177:178], v[6:7], v[14:15], -v[16:17]
	scratch_load_b128 v[14:17], off, off offset:688
	ds_load_b128 v[6:9], v1 offset:1456
	s_waitcnt vmcnt(9) lgkmcnt(1)
	v_mul_f64 v[48:49], v[2:3], v[20:21]
	v_mul_f64 v[20:21], v[4:5], v[20:21]
	v_add_f64 v[44:45], v[44:45], v[179:180]
	v_add_f64 v[46:47], v[46:47], v[156:157]
	s_waitcnt vmcnt(8) lgkmcnt(0)
	v_mul_f64 v[156:157], v[6:7], v[24:25]
	v_mul_f64 v[24:25], v[8:9], v[24:25]
	v_fma_f64 v[48:49], v[4:5], v[18:19], v[48:49]
	v_fma_f64 v[179:180], v[2:3], v[18:19], -v[20:21]
	ds_load_b128 v[2:5], v1 offset:1472
	scratch_load_b128 v[18:21], off, off offset:704
	v_add_f64 v[44:45], v[44:45], v[177:178]
	v_add_f64 v[46:47], v[46:47], v[175:176]
	v_fma_f64 v[156:157], v[8:9], v[22:23], v[156:157]
	v_fma_f64 v[177:178], v[6:7], v[22:23], -v[24:25]
	scratch_load_b128 v[22:25], off, off offset:720
	ds_load_b128 v[6:9], v1 offset:1488
	s_waitcnt vmcnt(9) lgkmcnt(1)
	v_mul_f64 v[175:176], v[2:3], v[28:29]
	v_mul_f64 v[28:29], v[4:5], v[28:29]
	v_add_f64 v[44:45], v[44:45], v[179:180]
	v_add_f64 v[46:47], v[46:47], v[48:49]
	s_waitcnt vmcnt(8) lgkmcnt(0)
	v_mul_f64 v[48:49], v[6:7], v[32:33]
	v_mul_f64 v[32:33], v[8:9], v[32:33]
	;; [unrolled: 18-line block ×3, first 2 shown]
	v_fma_f64 v[156:157], v[4:5], v[34:35], v[156:157]
	v_fma_f64 v[179:180], v[2:3], v[34:35], -v[36:37]
	ds_load_b128 v[2:5], v1 offset:1536
	scratch_load_b128 v[34:37], off, off offset:768
	v_add_f64 v[44:45], v[44:45], v[177:178]
	v_add_f64 v[46:47], v[46:47], v[48:49]
	v_fma_f64 v[175:176], v[8:9], v[171:172], v[175:176]
	v_fma_f64 v[177:178], v[6:7], v[171:172], -v[173:174]
	ds_load_b128 v[6:9], v1 offset:1552
	scratch_load_b128 v[171:174], off, off offset:784
	s_waitcnt vmcnt(9) lgkmcnt(1)
	v_mul_f64 v[48:49], v[2:3], v[40:41]
	v_mul_f64 v[40:41], v[4:5], v[40:41]
	v_add_f64 v[44:45], v[44:45], v[179:180]
	v_add_f64 v[46:47], v[46:47], v[156:157]
	s_waitcnt vmcnt(8) lgkmcnt(0)
	v_mul_f64 v[156:157], v[6:7], v[169:170]
	v_mul_f64 v[169:170], v[8:9], v[169:170]
	v_fma_f64 v[48:49], v[4:5], v[38:39], v[48:49]
	v_fma_f64 v[179:180], v[2:3], v[38:39], -v[40:41]
	ds_load_b128 v[2:5], v1 offset:1568
	scratch_load_b128 v[38:41], off, off offset:800
	v_add_f64 v[44:45], v[44:45], v[177:178]
	v_add_f64 v[46:47], v[46:47], v[175:176]
	v_fma_f64 v[156:157], v[8:9], v[167:168], v[156:157]
	v_fma_f64 v[177:178], v[6:7], v[167:168], -v[169:170]
	ds_load_b128 v[6:9], v1 offset:1584
	s_waitcnt vmcnt(8) lgkmcnt(1)
	v_mul_f64 v[175:176], v[2:3], v[12:13]
	v_mul_f64 v[12:13], v[4:5], v[12:13]
	scratch_load_b128 v[167:170], off, off offset:816
	v_add_f64 v[44:45], v[44:45], v[179:180]
	v_add_f64 v[46:47], v[46:47], v[48:49]
	s_waitcnt vmcnt(8) lgkmcnt(0)
	v_mul_f64 v[48:49], v[6:7], v[16:17]
	v_mul_f64 v[16:17], v[8:9], v[16:17]
	v_fma_f64 v[175:176], v[4:5], v[10:11], v[175:176]
	v_fma_f64 v[179:180], v[2:3], v[10:11], -v[12:13]
	scratch_load_b128 v[10:13], off, off offset:832
	ds_load_b128 v[2:5], v1 offset:1600
	v_add_f64 v[44:45], v[44:45], v[177:178]
	v_add_f64 v[46:47], v[46:47], v[156:157]
	v_fma_f64 v[48:49], v[8:9], v[14:15], v[48:49]
	v_fma_f64 v[177:178], v[6:7], v[14:15], -v[16:17]
	ds_load_b128 v[6:9], v1 offset:1616
	s_waitcnt vmcnt(8) lgkmcnt(1)
	v_mul_f64 v[156:157], v[2:3], v[20:21]
	v_mul_f64 v[20:21], v[4:5], v[20:21]
	scratch_load_b128 v[14:17], off, off offset:848
	v_add_f64 v[44:45], v[44:45], v[179:180]
	v_add_f64 v[46:47], v[46:47], v[175:176]
	s_waitcnt vmcnt(8) lgkmcnt(0)
	v_mul_f64 v[175:176], v[6:7], v[24:25]
	v_mul_f64 v[24:25], v[8:9], v[24:25]
	v_fma_f64 v[156:157], v[4:5], v[18:19], v[156:157]
	v_fma_f64 v[179:180], v[2:3], v[18:19], -v[20:21]
	scratch_load_b128 v[18:21], off, off offset:864
	ds_load_b128 v[2:5], v1 offset:1632
	v_add_f64 v[44:45], v[44:45], v[177:178]
	v_add_f64 v[46:47], v[46:47], v[48:49]
	v_fma_f64 v[175:176], v[8:9], v[22:23], v[175:176]
	v_fma_f64 v[177:178], v[6:7], v[22:23], -v[24:25]
	ds_load_b128 v[6:9], v1 offset:1648
	s_waitcnt vmcnt(8) lgkmcnt(1)
	v_mul_f64 v[48:49], v[2:3], v[28:29]
	v_mul_f64 v[28:29], v[4:5], v[28:29]
	scratch_load_b128 v[22:25], off, off offset:880
	v_add_f64 v[44:45], v[44:45], v[179:180]
	v_add_f64 v[46:47], v[46:47], v[156:157]
	s_waitcnt vmcnt(8) lgkmcnt(0)
	v_mul_f64 v[156:157], v[6:7], v[32:33]
	v_mul_f64 v[32:33], v[8:9], v[32:33]
	v_fma_f64 v[48:49], v[4:5], v[26:27], v[48:49]
	v_fma_f64 v[26:27], v[2:3], v[26:27], -v[28:29]
	ds_load_b128 v[2:5], v1 offset:1664
	v_add_f64 v[28:29], v[44:45], v[177:178]
	v_add_f64 v[44:45], v[46:47], v[175:176]
	v_fma_f64 v[156:157], v[8:9], v[30:31], v[156:157]
	v_fma_f64 v[30:31], v[6:7], v[30:31], -v[32:33]
	ds_load_b128 v[6:9], v1 offset:1680
	s_waitcnt vmcnt(7) lgkmcnt(1)
	v_mul_f64 v[46:47], v[2:3], v[36:37]
	v_mul_f64 v[36:37], v[4:5], v[36:37]
	v_add_f64 v[26:27], v[28:29], v[26:27]
	v_add_f64 v[28:29], v[44:45], v[48:49]
	s_delay_alu instid0(VALU_DEP_4) | instskip(NEXT) | instid1(VALU_DEP_4)
	v_fma_f64 v[46:47], v[4:5], v[34:35], v[46:47]
	v_fma_f64 v[34:35], v[2:3], v[34:35], -v[36:37]
	ds_load_b128 v[2:5], v1 offset:1696
	v_add_f64 v[30:31], v[26:27], v[30:31]
	v_add_f64 v[36:37], v[28:29], v[156:157]
	scratch_load_b128 v[26:29], off, off offset:464
	s_waitcnt vmcnt(7) lgkmcnt(1)
	v_mul_f64 v[32:33], v[6:7], v[173:174]
	v_mul_f64 v[44:45], v[8:9], v[173:174]
	v_add_f64 v[30:31], v[30:31], v[34:35]
	v_add_f64 v[34:35], v[36:37], v[46:47]
	s_delay_alu instid0(VALU_DEP_4) | instskip(NEXT) | instid1(VALU_DEP_4)
	v_fma_f64 v[32:33], v[8:9], v[171:172], v[32:33]
	v_fma_f64 v[44:45], v[6:7], v[171:172], -v[44:45]
	ds_load_b128 v[6:9], v1 offset:1712
	s_waitcnt vmcnt(6) lgkmcnt(1)
	v_mul_f64 v[48:49], v[2:3], v[40:41]
	v_mul_f64 v[40:41], v[4:5], v[40:41]
	s_waitcnt vmcnt(5) lgkmcnt(0)
	v_mul_f64 v[36:37], v[6:7], v[169:170]
	v_mul_f64 v[46:47], v[8:9], v[169:170]
	v_add_f64 v[32:33], v[34:35], v[32:33]
	v_add_f64 v[30:31], v[30:31], v[44:45]
	v_fma_f64 v[48:49], v[4:5], v[38:39], v[48:49]
	v_fma_f64 v[38:39], v[2:3], v[38:39], -v[40:41]
	ds_load_b128 v[2:5], v1 offset:1728
	v_fma_f64 v[36:37], v[8:9], v[167:168], v[36:37]
	v_fma_f64 v[40:41], v[6:7], v[167:168], -v[46:47]
	ds_load_b128 v[6:9], v1 offset:1744
	s_waitcnt vmcnt(4) lgkmcnt(1)
	v_mul_f64 v[34:35], v[2:3], v[12:13]
	v_mul_f64 v[12:13], v[4:5], v[12:13]
	v_add_f64 v[32:33], v[32:33], v[48:49]
	v_add_f64 v[30:31], v[30:31], v[38:39]
	s_waitcnt vmcnt(3) lgkmcnt(0)
	v_mul_f64 v[38:39], v[6:7], v[16:17]
	v_mul_f64 v[16:17], v[8:9], v[16:17]
	v_fma_f64 v[34:35], v[4:5], v[10:11], v[34:35]
	v_fma_f64 v[10:11], v[2:3], v[10:11], -v[12:13]
	ds_load_b128 v[2:5], v1 offset:1760
	v_add_f64 v[12:13], v[30:31], v[40:41]
	v_add_f64 v[30:31], v[32:33], v[36:37]
	v_fma_f64 v[36:37], v[8:9], v[14:15], v[38:39]
	v_fma_f64 v[14:15], v[6:7], v[14:15], -v[16:17]
	ds_load_b128 v[6:9], v1 offset:1776
	s_waitcnt vmcnt(2) lgkmcnt(1)
	v_mul_f64 v[32:33], v[2:3], v[20:21]
	v_mul_f64 v[20:21], v[4:5], v[20:21]
	s_waitcnt vmcnt(1) lgkmcnt(0)
	v_mul_f64 v[16:17], v[6:7], v[24:25]
	v_mul_f64 v[24:25], v[8:9], v[24:25]
	v_add_f64 v[10:11], v[12:13], v[10:11]
	v_add_f64 v[12:13], v[30:31], v[34:35]
	v_fma_f64 v[4:5], v[4:5], v[18:19], v[32:33]
	v_fma_f64 v[1:2], v[2:3], v[18:19], -v[20:21]
	v_fma_f64 v[8:9], v[8:9], v[22:23], v[16:17]
	v_fma_f64 v[6:7], v[6:7], v[22:23], -v[24:25]
	v_add_f64 v[10:11], v[10:11], v[14:15]
	v_add_f64 v[12:13], v[12:13], v[36:37]
	s_delay_alu instid0(VALU_DEP_2) | instskip(NEXT) | instid1(VALU_DEP_2)
	v_add_f64 v[1:2], v[10:11], v[1:2]
	v_add_f64 v[3:4], v[12:13], v[4:5]
	s_delay_alu instid0(VALU_DEP_2) | instskip(NEXT) | instid1(VALU_DEP_2)
	v_add_f64 v[1:2], v[1:2], v[6:7]
	v_add_f64 v[3:4], v[3:4], v[8:9]
	s_waitcnt vmcnt(0)
	s_delay_alu instid0(VALU_DEP_2) | instskip(NEXT) | instid1(VALU_DEP_2)
	v_add_f64 v[1:2], v[26:27], -v[1:2]
	v_add_f64 v[3:4], v[28:29], -v[3:4]
	scratch_store_b128 off, v[1:4], off offset:464
	v_cmpx_lt_u32_e32 28, v154
	s_cbranch_execz .LBB55_293
; %bb.292:
	scratch_load_b128 v[1:4], v161, off
	v_mov_b32_e32 v5, 0
	s_delay_alu instid0(VALU_DEP_1)
	v_mov_b32_e32 v6, v5
	v_mov_b32_e32 v7, v5
	;; [unrolled: 1-line block ×3, first 2 shown]
	scratch_store_b128 off, v[5:8], off offset:448
	s_waitcnt vmcnt(0)
	ds_store_b128 v210, v[1:4]
.LBB55_293:
	s_or_b32 exec_lo, exec_lo, s2
	s_waitcnt lgkmcnt(0)
	s_waitcnt_vscnt null, 0x0
	s_barrier
	buffer_gl0_inv
	s_clause 0x7
	scratch_load_b128 v[2:5], off, off offset:464
	scratch_load_b128 v[6:9], off, off offset:480
	;; [unrolled: 1-line block ×8, first 2 shown]
	v_mov_b32_e32 v1, 0
	s_clause 0x1
	scratch_load_b128 v[34:37], off, off offset:592
	scratch_load_b128 v[171:174], off, off offset:608
	s_mov_b32 s2, exec_lo
	ds_load_b128 v[38:41], v1 offset:1360
	ds_load_b128 v[167:170], v1 offset:1376
	s_waitcnt vmcnt(9) lgkmcnt(1)
	v_mul_f64 v[44:45], v[40:41], v[4:5]
	v_mul_f64 v[4:5], v[38:39], v[4:5]
	s_waitcnt vmcnt(8) lgkmcnt(0)
	v_mul_f64 v[46:47], v[167:168], v[8:9]
	v_mul_f64 v[8:9], v[169:170], v[8:9]
	s_delay_alu instid0(VALU_DEP_4) | instskip(NEXT) | instid1(VALU_DEP_4)
	v_fma_f64 v[44:45], v[38:39], v[2:3], -v[44:45]
	v_fma_f64 v[48:49], v[40:41], v[2:3], v[4:5]
	ds_load_b128 v[2:5], v1 offset:1392
	scratch_load_b128 v[38:41], off, off offset:624
	v_fma_f64 v[46:47], v[169:170], v[6:7], v[46:47]
	v_fma_f64 v[175:176], v[167:168], v[6:7], -v[8:9]
	scratch_load_b128 v[167:170], off, off offset:640
	ds_load_b128 v[6:9], v1 offset:1408
	s_waitcnt vmcnt(9) lgkmcnt(1)
	v_mul_f64 v[156:157], v[2:3], v[12:13]
	v_mul_f64 v[12:13], v[4:5], v[12:13]
	s_waitcnt vmcnt(8) lgkmcnt(0)
	v_mul_f64 v[177:178], v[6:7], v[16:17]
	v_mul_f64 v[16:17], v[8:9], v[16:17]
	v_add_f64 v[44:45], v[44:45], 0
	v_add_f64 v[48:49], v[48:49], 0
	v_fma_f64 v[156:157], v[4:5], v[10:11], v[156:157]
	v_fma_f64 v[179:180], v[2:3], v[10:11], -v[12:13]
	ds_load_b128 v[2:5], v1 offset:1424
	scratch_load_b128 v[10:13], off, off offset:656
	v_add_f64 v[44:45], v[44:45], v[175:176]
	v_add_f64 v[46:47], v[48:49], v[46:47]
	v_fma_f64 v[175:176], v[8:9], v[14:15], v[177:178]
	v_fma_f64 v[177:178], v[6:7], v[14:15], -v[16:17]
	scratch_load_b128 v[14:17], off, off offset:672
	ds_load_b128 v[6:9], v1 offset:1440
	s_waitcnt vmcnt(9) lgkmcnt(1)
	v_mul_f64 v[48:49], v[2:3], v[20:21]
	v_mul_f64 v[20:21], v[4:5], v[20:21]
	v_add_f64 v[44:45], v[44:45], v[179:180]
	v_add_f64 v[46:47], v[46:47], v[156:157]
	s_waitcnt vmcnt(8) lgkmcnt(0)
	v_mul_f64 v[156:157], v[6:7], v[24:25]
	v_mul_f64 v[24:25], v[8:9], v[24:25]
	v_fma_f64 v[48:49], v[4:5], v[18:19], v[48:49]
	v_fma_f64 v[179:180], v[2:3], v[18:19], -v[20:21]
	ds_load_b128 v[2:5], v1 offset:1456
	scratch_load_b128 v[18:21], off, off offset:688
	v_add_f64 v[44:45], v[44:45], v[177:178]
	v_add_f64 v[46:47], v[46:47], v[175:176]
	v_fma_f64 v[156:157], v[8:9], v[22:23], v[156:157]
	v_fma_f64 v[177:178], v[6:7], v[22:23], -v[24:25]
	scratch_load_b128 v[22:25], off, off offset:704
	ds_load_b128 v[6:9], v1 offset:1472
	s_waitcnt vmcnt(9) lgkmcnt(1)
	v_mul_f64 v[175:176], v[2:3], v[28:29]
	v_mul_f64 v[28:29], v[4:5], v[28:29]
	v_add_f64 v[44:45], v[44:45], v[179:180]
	v_add_f64 v[46:47], v[46:47], v[48:49]
	s_waitcnt vmcnt(8) lgkmcnt(0)
	v_mul_f64 v[48:49], v[6:7], v[32:33]
	v_mul_f64 v[32:33], v[8:9], v[32:33]
	;; [unrolled: 18-line block ×4, first 2 shown]
	v_fma_f64 v[48:49], v[4:5], v[38:39], v[48:49]
	v_fma_f64 v[179:180], v[2:3], v[38:39], -v[40:41]
	ds_load_b128 v[2:5], v1 offset:1552
	scratch_load_b128 v[38:41], off, off offset:784
	v_add_f64 v[44:45], v[44:45], v[177:178]
	v_add_f64 v[46:47], v[46:47], v[175:176]
	v_fma_f64 v[156:157], v[8:9], v[167:168], v[156:157]
	v_fma_f64 v[177:178], v[6:7], v[167:168], -v[169:170]
	ds_load_b128 v[6:9], v1 offset:1568
	s_waitcnt vmcnt(8) lgkmcnt(1)
	v_mul_f64 v[175:176], v[2:3], v[12:13]
	v_mul_f64 v[12:13], v[4:5], v[12:13]
	scratch_load_b128 v[167:170], off, off offset:800
	v_add_f64 v[44:45], v[44:45], v[179:180]
	v_add_f64 v[46:47], v[46:47], v[48:49]
	s_waitcnt vmcnt(8) lgkmcnt(0)
	v_mul_f64 v[48:49], v[6:7], v[16:17]
	v_mul_f64 v[16:17], v[8:9], v[16:17]
	v_fma_f64 v[175:176], v[4:5], v[10:11], v[175:176]
	v_fma_f64 v[179:180], v[2:3], v[10:11], -v[12:13]
	scratch_load_b128 v[10:13], off, off offset:816
	ds_load_b128 v[2:5], v1 offset:1584
	v_add_f64 v[44:45], v[44:45], v[177:178]
	v_add_f64 v[46:47], v[46:47], v[156:157]
	v_fma_f64 v[48:49], v[8:9], v[14:15], v[48:49]
	v_fma_f64 v[177:178], v[6:7], v[14:15], -v[16:17]
	ds_load_b128 v[6:9], v1 offset:1600
	s_waitcnt vmcnt(8) lgkmcnt(1)
	v_mul_f64 v[156:157], v[2:3], v[20:21]
	v_mul_f64 v[20:21], v[4:5], v[20:21]
	scratch_load_b128 v[14:17], off, off offset:832
	v_add_f64 v[44:45], v[44:45], v[179:180]
	v_add_f64 v[46:47], v[46:47], v[175:176]
	s_waitcnt vmcnt(8) lgkmcnt(0)
	v_mul_f64 v[175:176], v[6:7], v[24:25]
	v_mul_f64 v[24:25], v[8:9], v[24:25]
	v_fma_f64 v[156:157], v[4:5], v[18:19], v[156:157]
	v_fma_f64 v[179:180], v[2:3], v[18:19], -v[20:21]
	scratch_load_b128 v[18:21], off, off offset:848
	ds_load_b128 v[2:5], v1 offset:1616
	;; [unrolled: 18-line block ×3, first 2 shown]
	v_add_f64 v[44:45], v[44:45], v[177:178]
	v_add_f64 v[46:47], v[46:47], v[175:176]
	v_fma_f64 v[156:157], v[8:9], v[30:31], v[156:157]
	v_fma_f64 v[30:31], v[6:7], v[30:31], -v[32:33]
	ds_load_b128 v[6:9], v1 offset:1664
	s_waitcnt vmcnt(8) lgkmcnt(1)
	v_mul_f64 v[175:176], v[2:3], v[36:37]
	v_mul_f64 v[36:37], v[4:5], v[36:37]
	v_add_f64 v[32:33], v[44:45], v[179:180]
	v_add_f64 v[44:45], v[46:47], v[48:49]
	s_waitcnt vmcnt(7) lgkmcnt(0)
	v_mul_f64 v[46:47], v[6:7], v[173:174]
	v_mul_f64 v[48:49], v[8:9], v[173:174]
	v_fma_f64 v[173:174], v[4:5], v[34:35], v[175:176]
	v_fma_f64 v[34:35], v[2:3], v[34:35], -v[36:37]
	ds_load_b128 v[2:5], v1 offset:1680
	v_add_f64 v[30:31], v[32:33], v[30:31]
	v_add_f64 v[32:33], v[44:45], v[156:157]
	v_fma_f64 v[44:45], v[8:9], v[171:172], v[46:47]
	v_fma_f64 v[46:47], v[6:7], v[171:172], -v[48:49]
	ds_load_b128 v[6:9], v1 offset:1696
	s_waitcnt vmcnt(5) lgkmcnt(0)
	v_mul_f64 v[156:157], v[6:7], v[169:170]
	v_mul_f64 v[169:170], v[8:9], v[169:170]
	v_add_f64 v[34:35], v[30:31], v[34:35]
	v_add_f64 v[48:49], v[32:33], v[173:174]
	scratch_load_b128 v[30:33], off, off offset:448
	v_mul_f64 v[36:37], v[2:3], v[40:41]
	v_mul_f64 v[40:41], v[4:5], v[40:41]
	v_add_f64 v[34:35], v[34:35], v[46:47]
	v_fma_f64 v[46:47], v[8:9], v[167:168], v[156:157]
	s_delay_alu instid0(VALU_DEP_4) | instskip(NEXT) | instid1(VALU_DEP_4)
	v_fma_f64 v[36:37], v[4:5], v[38:39], v[36:37]
	v_fma_f64 v[38:39], v[2:3], v[38:39], -v[40:41]
	v_add_f64 v[40:41], v[48:49], v[44:45]
	ds_load_b128 v[2:5], v1 offset:1712
	v_fma_f64 v[48:49], v[6:7], v[167:168], -v[169:170]
	ds_load_b128 v[6:9], v1 offset:1728
	s_waitcnt vmcnt(5) lgkmcnt(1)
	v_mul_f64 v[44:45], v[2:3], v[12:13]
	v_mul_f64 v[12:13], v[4:5], v[12:13]
	v_add_f64 v[34:35], v[34:35], v[38:39]
	v_add_f64 v[36:37], v[40:41], v[36:37]
	s_waitcnt vmcnt(4) lgkmcnt(0)
	v_mul_f64 v[38:39], v[6:7], v[16:17]
	v_mul_f64 v[16:17], v[8:9], v[16:17]
	v_fma_f64 v[40:41], v[4:5], v[10:11], v[44:45]
	v_fma_f64 v[10:11], v[2:3], v[10:11], -v[12:13]
	ds_load_b128 v[2:5], v1 offset:1744
	v_add_f64 v[12:13], v[34:35], v[48:49]
	v_add_f64 v[34:35], v[36:37], v[46:47]
	v_fma_f64 v[38:39], v[8:9], v[14:15], v[38:39]
	v_fma_f64 v[14:15], v[6:7], v[14:15], -v[16:17]
	ds_load_b128 v[6:9], v1 offset:1760
	s_waitcnt vmcnt(3) lgkmcnt(1)
	v_mul_f64 v[36:37], v[2:3], v[20:21]
	v_mul_f64 v[20:21], v[4:5], v[20:21]
	s_waitcnt vmcnt(2) lgkmcnt(0)
	v_mul_f64 v[16:17], v[6:7], v[24:25]
	v_mul_f64 v[24:25], v[8:9], v[24:25]
	v_add_f64 v[10:11], v[12:13], v[10:11]
	v_add_f64 v[12:13], v[34:35], v[40:41]
	v_fma_f64 v[34:35], v[4:5], v[18:19], v[36:37]
	v_fma_f64 v[18:19], v[2:3], v[18:19], -v[20:21]
	ds_load_b128 v[2:5], v1 offset:1776
	v_fma_f64 v[8:9], v[8:9], v[22:23], v[16:17]
	v_fma_f64 v[6:7], v[6:7], v[22:23], -v[24:25]
	s_waitcnt vmcnt(1) lgkmcnt(0)
	v_mul_f64 v[20:21], v[4:5], v[28:29]
	v_add_f64 v[10:11], v[10:11], v[14:15]
	v_add_f64 v[12:13], v[12:13], v[38:39]
	v_mul_f64 v[14:15], v[2:3], v[28:29]
	s_delay_alu instid0(VALU_DEP_4) | instskip(NEXT) | instid1(VALU_DEP_4)
	v_fma_f64 v[2:3], v[2:3], v[26:27], -v[20:21]
	v_add_f64 v[10:11], v[10:11], v[18:19]
	s_delay_alu instid0(VALU_DEP_4) | instskip(NEXT) | instid1(VALU_DEP_4)
	v_add_f64 v[12:13], v[12:13], v[34:35]
	v_fma_f64 v[4:5], v[4:5], v[26:27], v[14:15]
	s_delay_alu instid0(VALU_DEP_3) | instskip(NEXT) | instid1(VALU_DEP_3)
	v_add_f64 v[6:7], v[10:11], v[6:7]
	v_add_f64 v[8:9], v[12:13], v[8:9]
	s_delay_alu instid0(VALU_DEP_2) | instskip(NEXT) | instid1(VALU_DEP_2)
	v_add_f64 v[2:3], v[6:7], v[2:3]
	v_add_f64 v[4:5], v[8:9], v[4:5]
	s_waitcnt vmcnt(0)
	s_delay_alu instid0(VALU_DEP_2) | instskip(NEXT) | instid1(VALU_DEP_2)
	v_add_f64 v[2:3], v[30:31], -v[2:3]
	v_add_f64 v[4:5], v[32:33], -v[4:5]
	scratch_store_b128 off, v[2:5], off offset:448
	v_cmpx_lt_u32_e32 27, v154
	s_cbranch_execz .LBB55_295
; %bb.294:
	scratch_load_b128 v[5:8], v255, off
	v_mov_b32_e32 v2, v1
	v_mov_b32_e32 v3, v1
	v_mov_b32_e32 v4, v1
	scratch_store_b128 off, v[1:4], off offset:432
	s_waitcnt vmcnt(0)
	ds_store_b128 v210, v[5:8]
.LBB55_295:
	s_or_b32 exec_lo, exec_lo, s2
	s_waitcnt lgkmcnt(0)
	s_waitcnt_vscnt null, 0x0
	s_barrier
	buffer_gl0_inv
	s_clause 0x7
	scratch_load_b128 v[2:5], off, off offset:448
	scratch_load_b128 v[6:9], off, off offset:464
	;; [unrolled: 1-line block ×8, first 2 shown]
	ds_load_b128 v[38:41], v1 offset:1344
	ds_load_b128 v[167:170], v1 offset:1360
	s_clause 0x1
	scratch_load_b128 v[34:37], off, off offset:576
	scratch_load_b128 v[171:174], off, off offset:592
	s_mov_b32 s2, exec_lo
	s_waitcnt vmcnt(9) lgkmcnt(1)
	v_mul_f64 v[44:45], v[40:41], v[4:5]
	v_mul_f64 v[4:5], v[38:39], v[4:5]
	s_waitcnt vmcnt(8) lgkmcnt(0)
	v_mul_f64 v[46:47], v[167:168], v[8:9]
	v_mul_f64 v[8:9], v[169:170], v[8:9]
	s_delay_alu instid0(VALU_DEP_4) | instskip(NEXT) | instid1(VALU_DEP_4)
	v_fma_f64 v[44:45], v[38:39], v[2:3], -v[44:45]
	v_fma_f64 v[48:49], v[40:41], v[2:3], v[4:5]
	ds_load_b128 v[2:5], v1 offset:1376
	scratch_load_b128 v[38:41], off, off offset:608
	v_fma_f64 v[46:47], v[169:170], v[6:7], v[46:47]
	v_fma_f64 v[175:176], v[167:168], v[6:7], -v[8:9]
	scratch_load_b128 v[167:170], off, off offset:624
	ds_load_b128 v[6:9], v1 offset:1392
	s_waitcnt vmcnt(9) lgkmcnt(1)
	v_mul_f64 v[156:157], v[2:3], v[12:13]
	v_mul_f64 v[12:13], v[4:5], v[12:13]
	s_waitcnt vmcnt(8) lgkmcnt(0)
	v_mul_f64 v[177:178], v[6:7], v[16:17]
	v_mul_f64 v[16:17], v[8:9], v[16:17]
	v_add_f64 v[44:45], v[44:45], 0
	v_add_f64 v[48:49], v[48:49], 0
	v_fma_f64 v[156:157], v[4:5], v[10:11], v[156:157]
	v_fma_f64 v[179:180], v[2:3], v[10:11], -v[12:13]
	ds_load_b128 v[2:5], v1 offset:1408
	scratch_load_b128 v[10:13], off, off offset:640
	v_add_f64 v[44:45], v[44:45], v[175:176]
	v_add_f64 v[46:47], v[48:49], v[46:47]
	v_fma_f64 v[175:176], v[8:9], v[14:15], v[177:178]
	v_fma_f64 v[177:178], v[6:7], v[14:15], -v[16:17]
	scratch_load_b128 v[14:17], off, off offset:656
	ds_load_b128 v[6:9], v1 offset:1424
	s_waitcnt vmcnt(9) lgkmcnt(1)
	v_mul_f64 v[48:49], v[2:3], v[20:21]
	v_mul_f64 v[20:21], v[4:5], v[20:21]
	v_add_f64 v[44:45], v[44:45], v[179:180]
	v_add_f64 v[46:47], v[46:47], v[156:157]
	s_waitcnt vmcnt(8) lgkmcnt(0)
	v_mul_f64 v[156:157], v[6:7], v[24:25]
	v_mul_f64 v[24:25], v[8:9], v[24:25]
	v_fma_f64 v[48:49], v[4:5], v[18:19], v[48:49]
	v_fma_f64 v[179:180], v[2:3], v[18:19], -v[20:21]
	ds_load_b128 v[2:5], v1 offset:1440
	scratch_load_b128 v[18:21], off, off offset:672
	v_add_f64 v[44:45], v[44:45], v[177:178]
	v_add_f64 v[46:47], v[46:47], v[175:176]
	v_fma_f64 v[156:157], v[8:9], v[22:23], v[156:157]
	v_fma_f64 v[177:178], v[6:7], v[22:23], -v[24:25]
	scratch_load_b128 v[22:25], off, off offset:688
	ds_load_b128 v[6:9], v1 offset:1456
	s_waitcnt vmcnt(9) lgkmcnt(1)
	v_mul_f64 v[175:176], v[2:3], v[28:29]
	v_mul_f64 v[28:29], v[4:5], v[28:29]
	v_add_f64 v[44:45], v[44:45], v[179:180]
	v_add_f64 v[46:47], v[46:47], v[48:49]
	s_waitcnt vmcnt(8) lgkmcnt(0)
	v_mul_f64 v[48:49], v[6:7], v[32:33]
	v_mul_f64 v[32:33], v[8:9], v[32:33]
	v_fma_f64 v[175:176], v[4:5], v[26:27], v[175:176]
	v_fma_f64 v[179:180], v[2:3], v[26:27], -v[28:29]
	ds_load_b128 v[2:5], v1 offset:1472
	scratch_load_b128 v[26:29], off, off offset:704
	v_add_f64 v[44:45], v[44:45], v[177:178]
	v_add_f64 v[46:47], v[46:47], v[156:157]
	v_fma_f64 v[48:49], v[8:9], v[30:31], v[48:49]
	v_fma_f64 v[177:178], v[6:7], v[30:31], -v[32:33]
	scratch_load_b128 v[30:33], off, off offset:720
	ds_load_b128 v[6:9], v1 offset:1488
	s_waitcnt vmcnt(9) lgkmcnt(1)
	v_mul_f64 v[156:157], v[2:3], v[36:37]
	v_mul_f64 v[36:37], v[4:5], v[36:37]
	v_add_f64 v[44:45], v[44:45], v[179:180]
	v_add_f64 v[46:47], v[46:47], v[175:176]
	s_waitcnt vmcnt(8) lgkmcnt(0)
	v_mul_f64 v[175:176], v[6:7], v[173:174]
	v_mul_f64 v[173:174], v[8:9], v[173:174]
	v_fma_f64 v[156:157], v[4:5], v[34:35], v[156:157]
	v_fma_f64 v[179:180], v[2:3], v[34:35], -v[36:37]
	ds_load_b128 v[2:5], v1 offset:1504
	scratch_load_b128 v[34:37], off, off offset:736
	v_add_f64 v[44:45], v[44:45], v[177:178]
	v_add_f64 v[46:47], v[46:47], v[48:49]
	v_fma_f64 v[175:176], v[8:9], v[171:172], v[175:176]
	v_fma_f64 v[177:178], v[6:7], v[171:172], -v[173:174]
	scratch_load_b128 v[171:174], off, off offset:752
	ds_load_b128 v[6:9], v1 offset:1520
	s_waitcnt vmcnt(9) lgkmcnt(1)
	v_mul_f64 v[48:49], v[2:3], v[40:41]
	v_mul_f64 v[40:41], v[4:5], v[40:41]
	v_add_f64 v[44:45], v[44:45], v[179:180]
	v_add_f64 v[46:47], v[46:47], v[156:157]
	s_waitcnt vmcnt(8) lgkmcnt(0)
	v_mul_f64 v[156:157], v[6:7], v[169:170]
	v_mul_f64 v[169:170], v[8:9], v[169:170]
	v_fma_f64 v[48:49], v[4:5], v[38:39], v[48:49]
	v_fma_f64 v[179:180], v[2:3], v[38:39], -v[40:41]
	ds_load_b128 v[2:5], v1 offset:1536
	scratch_load_b128 v[38:41], off, off offset:768
	v_add_f64 v[44:45], v[44:45], v[177:178]
	v_add_f64 v[46:47], v[46:47], v[175:176]
	v_fma_f64 v[156:157], v[8:9], v[167:168], v[156:157]
	v_fma_f64 v[177:178], v[6:7], v[167:168], -v[169:170]
	ds_load_b128 v[6:9], v1 offset:1552
	s_waitcnt vmcnt(8) lgkmcnt(1)
	v_mul_f64 v[175:176], v[2:3], v[12:13]
	v_mul_f64 v[12:13], v[4:5], v[12:13]
	scratch_load_b128 v[167:170], off, off offset:784
	v_add_f64 v[44:45], v[44:45], v[179:180]
	v_add_f64 v[46:47], v[46:47], v[48:49]
	s_waitcnt vmcnt(8) lgkmcnt(0)
	v_mul_f64 v[48:49], v[6:7], v[16:17]
	v_mul_f64 v[16:17], v[8:9], v[16:17]
	v_fma_f64 v[175:176], v[4:5], v[10:11], v[175:176]
	v_fma_f64 v[179:180], v[2:3], v[10:11], -v[12:13]
	ds_load_b128 v[2:5], v1 offset:1568
	scratch_load_b128 v[10:13], off, off offset:800
	v_add_f64 v[44:45], v[44:45], v[177:178]
	v_add_f64 v[46:47], v[46:47], v[156:157]
	v_fma_f64 v[48:49], v[8:9], v[14:15], v[48:49]
	v_fma_f64 v[177:178], v[6:7], v[14:15], -v[16:17]
	ds_load_b128 v[6:9], v1 offset:1584
	s_waitcnt vmcnt(8) lgkmcnt(1)
	v_mul_f64 v[156:157], v[2:3], v[20:21]
	v_mul_f64 v[20:21], v[4:5], v[20:21]
	scratch_load_b128 v[14:17], off, off offset:816
	v_add_f64 v[44:45], v[44:45], v[179:180]
	v_add_f64 v[46:47], v[46:47], v[175:176]
	s_waitcnt vmcnt(8) lgkmcnt(0)
	v_mul_f64 v[175:176], v[6:7], v[24:25]
	v_mul_f64 v[24:25], v[8:9], v[24:25]
	v_fma_f64 v[156:157], v[4:5], v[18:19], v[156:157]
	v_fma_f64 v[179:180], v[2:3], v[18:19], -v[20:21]
	scratch_load_b128 v[18:21], off, off offset:832
	ds_load_b128 v[2:5], v1 offset:1600
	v_add_f64 v[44:45], v[44:45], v[177:178]
	v_add_f64 v[46:47], v[46:47], v[48:49]
	v_fma_f64 v[175:176], v[8:9], v[22:23], v[175:176]
	v_fma_f64 v[177:178], v[6:7], v[22:23], -v[24:25]
	ds_load_b128 v[6:9], v1 offset:1616
	s_waitcnt vmcnt(8) lgkmcnt(1)
	v_mul_f64 v[48:49], v[2:3], v[28:29]
	v_mul_f64 v[28:29], v[4:5], v[28:29]
	scratch_load_b128 v[22:25], off, off offset:848
	v_add_f64 v[44:45], v[44:45], v[179:180]
	v_add_f64 v[46:47], v[46:47], v[156:157]
	s_waitcnt vmcnt(8) lgkmcnt(0)
	v_mul_f64 v[156:157], v[6:7], v[32:33]
	v_mul_f64 v[32:33], v[8:9], v[32:33]
	v_fma_f64 v[48:49], v[4:5], v[26:27], v[48:49]
	v_fma_f64 v[179:180], v[2:3], v[26:27], -v[28:29]
	scratch_load_b128 v[26:29], off, off offset:864
	ds_load_b128 v[2:5], v1 offset:1632
	v_add_f64 v[44:45], v[44:45], v[177:178]
	v_add_f64 v[46:47], v[46:47], v[175:176]
	v_fma_f64 v[156:157], v[8:9], v[30:31], v[156:157]
	v_fma_f64 v[177:178], v[6:7], v[30:31], -v[32:33]
	ds_load_b128 v[6:9], v1 offset:1648
	s_waitcnt vmcnt(8) lgkmcnt(1)
	v_mul_f64 v[175:176], v[2:3], v[36:37]
	v_mul_f64 v[36:37], v[4:5], v[36:37]
	scratch_load_b128 v[30:33], off, off offset:880
	v_add_f64 v[44:45], v[44:45], v[179:180]
	v_add_f64 v[46:47], v[46:47], v[48:49]
	s_waitcnt vmcnt(8) lgkmcnt(0)
	v_mul_f64 v[48:49], v[6:7], v[173:174]
	v_mul_f64 v[173:174], v[8:9], v[173:174]
	v_fma_f64 v[175:176], v[4:5], v[34:35], v[175:176]
	v_fma_f64 v[34:35], v[2:3], v[34:35], -v[36:37]
	ds_load_b128 v[2:5], v1 offset:1664
	v_add_f64 v[36:37], v[44:45], v[177:178]
	v_add_f64 v[44:45], v[46:47], v[156:157]
	v_fma_f64 v[48:49], v[8:9], v[171:172], v[48:49]
	v_fma_f64 v[156:157], v[6:7], v[171:172], -v[173:174]
	ds_load_b128 v[6:9], v1 offset:1680
	s_waitcnt vmcnt(7) lgkmcnt(1)
	v_mul_f64 v[46:47], v[2:3], v[40:41]
	v_mul_f64 v[40:41], v[4:5], v[40:41]
	v_add_f64 v[34:35], v[36:37], v[34:35]
	v_add_f64 v[36:37], v[44:45], v[175:176]
	s_delay_alu instid0(VALU_DEP_4) | instskip(NEXT) | instid1(VALU_DEP_4)
	v_fma_f64 v[46:47], v[4:5], v[38:39], v[46:47]
	v_fma_f64 v[38:39], v[2:3], v[38:39], -v[40:41]
	ds_load_b128 v[2:5], v1 offset:1696
	v_add_f64 v[40:41], v[34:35], v[156:157]
	v_add_f64 v[48:49], v[36:37], v[48:49]
	scratch_load_b128 v[34:37], off, off offset:432
	s_waitcnt vmcnt(7) lgkmcnt(1)
	v_mul_f64 v[44:45], v[6:7], v[169:170]
	v_mul_f64 v[169:170], v[8:9], v[169:170]
	v_add_f64 v[38:39], v[40:41], v[38:39]
	v_add_f64 v[40:41], v[48:49], v[46:47]
	s_delay_alu instid0(VALU_DEP_4) | instskip(NEXT) | instid1(VALU_DEP_4)
	v_fma_f64 v[44:45], v[8:9], v[167:168], v[44:45]
	v_fma_f64 v[167:168], v[6:7], v[167:168], -v[169:170]
	ds_load_b128 v[6:9], v1 offset:1712
	s_waitcnt vmcnt(6) lgkmcnt(1)
	v_mul_f64 v[156:157], v[2:3], v[12:13]
	v_mul_f64 v[12:13], v[4:5], v[12:13]
	s_waitcnt vmcnt(5) lgkmcnt(0)
	v_mul_f64 v[46:47], v[6:7], v[16:17]
	v_mul_f64 v[16:17], v[8:9], v[16:17]
	s_delay_alu instid0(VALU_DEP_4) | instskip(NEXT) | instid1(VALU_DEP_4)
	v_fma_f64 v[48:49], v[4:5], v[10:11], v[156:157]
	v_fma_f64 v[10:11], v[2:3], v[10:11], -v[12:13]
	v_add_f64 v[12:13], v[38:39], v[167:168]
	v_add_f64 v[38:39], v[40:41], v[44:45]
	ds_load_b128 v[2:5], v1 offset:1728
	v_fma_f64 v[44:45], v[8:9], v[14:15], v[46:47]
	v_fma_f64 v[14:15], v[6:7], v[14:15], -v[16:17]
	ds_load_b128 v[6:9], v1 offset:1744
	s_waitcnt vmcnt(4) lgkmcnt(1)
	v_mul_f64 v[40:41], v[2:3], v[20:21]
	v_mul_f64 v[20:21], v[4:5], v[20:21]
	v_add_f64 v[10:11], v[12:13], v[10:11]
	v_add_f64 v[12:13], v[38:39], v[48:49]
	s_waitcnt vmcnt(3) lgkmcnt(0)
	v_mul_f64 v[16:17], v[6:7], v[24:25]
	v_mul_f64 v[24:25], v[8:9], v[24:25]
	v_fma_f64 v[38:39], v[4:5], v[18:19], v[40:41]
	v_fma_f64 v[18:19], v[2:3], v[18:19], -v[20:21]
	ds_load_b128 v[2:5], v1 offset:1760
	v_add_f64 v[10:11], v[10:11], v[14:15]
	v_add_f64 v[12:13], v[12:13], v[44:45]
	v_fma_f64 v[16:17], v[8:9], v[22:23], v[16:17]
	v_fma_f64 v[22:23], v[6:7], v[22:23], -v[24:25]
	ds_load_b128 v[6:9], v1 offset:1776
	s_waitcnt vmcnt(2) lgkmcnt(1)
	v_mul_f64 v[14:15], v[2:3], v[28:29]
	v_mul_f64 v[20:21], v[4:5], v[28:29]
	s_waitcnt vmcnt(1) lgkmcnt(0)
	v_mul_f64 v[24:25], v[8:9], v[32:33]
	v_add_f64 v[10:11], v[10:11], v[18:19]
	v_add_f64 v[12:13], v[12:13], v[38:39]
	v_mul_f64 v[18:19], v[6:7], v[32:33]
	v_fma_f64 v[4:5], v[4:5], v[26:27], v[14:15]
	v_fma_f64 v[1:2], v[2:3], v[26:27], -v[20:21]
	v_fma_f64 v[6:7], v[6:7], v[30:31], -v[24:25]
	v_add_f64 v[10:11], v[10:11], v[22:23]
	v_add_f64 v[12:13], v[12:13], v[16:17]
	v_fma_f64 v[8:9], v[8:9], v[30:31], v[18:19]
	s_delay_alu instid0(VALU_DEP_3) | instskip(NEXT) | instid1(VALU_DEP_3)
	v_add_f64 v[1:2], v[10:11], v[1:2]
	v_add_f64 v[3:4], v[12:13], v[4:5]
	s_delay_alu instid0(VALU_DEP_2) | instskip(NEXT) | instid1(VALU_DEP_2)
	v_add_f64 v[1:2], v[1:2], v[6:7]
	v_add_f64 v[3:4], v[3:4], v[8:9]
	s_waitcnt vmcnt(0)
	s_delay_alu instid0(VALU_DEP_2) | instskip(NEXT) | instid1(VALU_DEP_2)
	v_add_f64 v[1:2], v[34:35], -v[1:2]
	v_add_f64 v[3:4], v[36:37], -v[3:4]
	scratch_store_b128 off, v[1:4], off offset:432
	v_cmpx_lt_u32_e32 26, v154
	s_cbranch_execz .LBB55_297
; %bb.296:
	scratch_load_b128 v[1:4], v254, off
	v_mov_b32_e32 v5, 0
	s_delay_alu instid0(VALU_DEP_1)
	v_mov_b32_e32 v6, v5
	v_mov_b32_e32 v7, v5
	;; [unrolled: 1-line block ×3, first 2 shown]
	scratch_store_b128 off, v[5:8], off offset:416
	s_waitcnt vmcnt(0)
	ds_store_b128 v210, v[1:4]
.LBB55_297:
	s_or_b32 exec_lo, exec_lo, s2
	s_waitcnt lgkmcnt(0)
	s_waitcnt_vscnt null, 0x0
	s_barrier
	buffer_gl0_inv
	s_clause 0x7
	scratch_load_b128 v[2:5], off, off offset:432
	scratch_load_b128 v[6:9], off, off offset:448
	;; [unrolled: 1-line block ×8, first 2 shown]
	v_mov_b32_e32 v1, 0
	s_clause 0x1
	scratch_load_b128 v[34:37], off, off offset:560
	scratch_load_b128 v[171:174], off, off offset:576
	s_mov_b32 s2, exec_lo
	ds_load_b128 v[38:41], v1 offset:1328
	ds_load_b128 v[167:170], v1 offset:1344
	s_waitcnt vmcnt(9) lgkmcnt(1)
	v_mul_f64 v[44:45], v[40:41], v[4:5]
	v_mul_f64 v[4:5], v[38:39], v[4:5]
	s_waitcnt vmcnt(8) lgkmcnt(0)
	v_mul_f64 v[46:47], v[167:168], v[8:9]
	v_mul_f64 v[8:9], v[169:170], v[8:9]
	s_delay_alu instid0(VALU_DEP_4) | instskip(NEXT) | instid1(VALU_DEP_4)
	v_fma_f64 v[44:45], v[38:39], v[2:3], -v[44:45]
	v_fma_f64 v[48:49], v[40:41], v[2:3], v[4:5]
	ds_load_b128 v[2:5], v1 offset:1360
	scratch_load_b128 v[38:41], off, off offset:592
	v_fma_f64 v[46:47], v[169:170], v[6:7], v[46:47]
	v_fma_f64 v[175:176], v[167:168], v[6:7], -v[8:9]
	scratch_load_b128 v[167:170], off, off offset:608
	ds_load_b128 v[6:9], v1 offset:1376
	s_waitcnt vmcnt(9) lgkmcnt(1)
	v_mul_f64 v[156:157], v[2:3], v[12:13]
	v_mul_f64 v[12:13], v[4:5], v[12:13]
	s_waitcnt vmcnt(8) lgkmcnt(0)
	v_mul_f64 v[177:178], v[6:7], v[16:17]
	v_mul_f64 v[16:17], v[8:9], v[16:17]
	v_add_f64 v[44:45], v[44:45], 0
	v_add_f64 v[48:49], v[48:49], 0
	v_fma_f64 v[156:157], v[4:5], v[10:11], v[156:157]
	v_fma_f64 v[179:180], v[2:3], v[10:11], -v[12:13]
	ds_load_b128 v[2:5], v1 offset:1392
	scratch_load_b128 v[10:13], off, off offset:624
	v_add_f64 v[44:45], v[44:45], v[175:176]
	v_add_f64 v[46:47], v[48:49], v[46:47]
	v_fma_f64 v[175:176], v[8:9], v[14:15], v[177:178]
	v_fma_f64 v[177:178], v[6:7], v[14:15], -v[16:17]
	scratch_load_b128 v[14:17], off, off offset:640
	ds_load_b128 v[6:9], v1 offset:1408
	s_waitcnt vmcnt(9) lgkmcnt(1)
	v_mul_f64 v[48:49], v[2:3], v[20:21]
	v_mul_f64 v[20:21], v[4:5], v[20:21]
	v_add_f64 v[44:45], v[44:45], v[179:180]
	v_add_f64 v[46:47], v[46:47], v[156:157]
	s_waitcnt vmcnt(8) lgkmcnt(0)
	v_mul_f64 v[156:157], v[6:7], v[24:25]
	v_mul_f64 v[24:25], v[8:9], v[24:25]
	v_fma_f64 v[48:49], v[4:5], v[18:19], v[48:49]
	v_fma_f64 v[179:180], v[2:3], v[18:19], -v[20:21]
	ds_load_b128 v[2:5], v1 offset:1424
	scratch_load_b128 v[18:21], off, off offset:656
	v_add_f64 v[44:45], v[44:45], v[177:178]
	v_add_f64 v[46:47], v[46:47], v[175:176]
	v_fma_f64 v[156:157], v[8:9], v[22:23], v[156:157]
	v_fma_f64 v[177:178], v[6:7], v[22:23], -v[24:25]
	scratch_load_b128 v[22:25], off, off offset:672
	ds_load_b128 v[6:9], v1 offset:1440
	s_waitcnt vmcnt(9) lgkmcnt(1)
	v_mul_f64 v[175:176], v[2:3], v[28:29]
	v_mul_f64 v[28:29], v[4:5], v[28:29]
	v_add_f64 v[44:45], v[44:45], v[179:180]
	v_add_f64 v[46:47], v[46:47], v[48:49]
	s_waitcnt vmcnt(8) lgkmcnt(0)
	v_mul_f64 v[48:49], v[6:7], v[32:33]
	v_mul_f64 v[32:33], v[8:9], v[32:33]
	;; [unrolled: 18-line block ×5, first 2 shown]
	v_fma_f64 v[175:176], v[4:5], v[10:11], v[175:176]
	v_fma_f64 v[179:180], v[2:3], v[10:11], -v[12:13]
	ds_load_b128 v[2:5], v1 offset:1552
	scratch_load_b128 v[10:13], off, off offset:784
	v_add_f64 v[44:45], v[44:45], v[177:178]
	v_add_f64 v[46:47], v[46:47], v[156:157]
	v_fma_f64 v[48:49], v[8:9], v[14:15], v[48:49]
	v_fma_f64 v[177:178], v[6:7], v[14:15], -v[16:17]
	ds_load_b128 v[6:9], v1 offset:1568
	s_waitcnt vmcnt(8) lgkmcnt(1)
	v_mul_f64 v[156:157], v[2:3], v[20:21]
	v_mul_f64 v[20:21], v[4:5], v[20:21]
	scratch_load_b128 v[14:17], off, off offset:800
	v_add_f64 v[44:45], v[44:45], v[179:180]
	v_add_f64 v[46:47], v[46:47], v[175:176]
	s_waitcnt vmcnt(8) lgkmcnt(0)
	v_mul_f64 v[175:176], v[6:7], v[24:25]
	v_mul_f64 v[24:25], v[8:9], v[24:25]
	v_fma_f64 v[156:157], v[4:5], v[18:19], v[156:157]
	v_fma_f64 v[179:180], v[2:3], v[18:19], -v[20:21]
	scratch_load_b128 v[18:21], off, off offset:816
	ds_load_b128 v[2:5], v1 offset:1584
	v_add_f64 v[44:45], v[44:45], v[177:178]
	v_add_f64 v[46:47], v[46:47], v[48:49]
	v_fma_f64 v[175:176], v[8:9], v[22:23], v[175:176]
	v_fma_f64 v[177:178], v[6:7], v[22:23], -v[24:25]
	ds_load_b128 v[6:9], v1 offset:1600
	s_waitcnt vmcnt(8) lgkmcnt(1)
	v_mul_f64 v[48:49], v[2:3], v[28:29]
	v_mul_f64 v[28:29], v[4:5], v[28:29]
	scratch_load_b128 v[22:25], off, off offset:832
	v_add_f64 v[44:45], v[44:45], v[179:180]
	v_add_f64 v[46:47], v[46:47], v[156:157]
	s_waitcnt vmcnt(8) lgkmcnt(0)
	v_mul_f64 v[156:157], v[6:7], v[32:33]
	v_mul_f64 v[32:33], v[8:9], v[32:33]
	v_fma_f64 v[48:49], v[4:5], v[26:27], v[48:49]
	v_fma_f64 v[179:180], v[2:3], v[26:27], -v[28:29]
	scratch_load_b128 v[26:29], off, off offset:848
	ds_load_b128 v[2:5], v1 offset:1616
	;; [unrolled: 18-line block ×3, first 2 shown]
	v_add_f64 v[44:45], v[44:45], v[177:178]
	v_add_f64 v[46:47], v[46:47], v[156:157]
	v_fma_f64 v[48:49], v[8:9], v[171:172], v[48:49]
	v_fma_f64 v[171:172], v[6:7], v[171:172], -v[173:174]
	ds_load_b128 v[6:9], v1 offset:1664
	s_waitcnt vmcnt(8) lgkmcnt(1)
	v_mul_f64 v[156:157], v[2:3], v[40:41]
	v_mul_f64 v[40:41], v[4:5], v[40:41]
	s_waitcnt vmcnt(7) lgkmcnt(0)
	v_mul_f64 v[173:174], v[6:7], v[169:170]
	v_mul_f64 v[169:170], v[8:9], v[169:170]
	v_add_f64 v[44:45], v[44:45], v[179:180]
	v_add_f64 v[46:47], v[46:47], v[175:176]
	v_fma_f64 v[156:157], v[4:5], v[38:39], v[156:157]
	v_fma_f64 v[38:39], v[2:3], v[38:39], -v[40:41]
	ds_load_b128 v[2:5], v1 offset:1680
	v_add_f64 v[40:41], v[44:45], v[171:172]
	v_add_f64 v[44:45], v[46:47], v[48:49]
	v_fma_f64 v[48:49], v[8:9], v[167:168], v[173:174]
	v_fma_f64 v[167:168], v[6:7], v[167:168], -v[169:170]
	ds_load_b128 v[6:9], v1 offset:1696
	v_add_f64 v[169:170], v[40:41], v[38:39]
	v_add_f64 v[44:45], v[44:45], v[156:157]
	scratch_load_b128 v[38:41], off, off offset:416
	s_waitcnt vmcnt(7) lgkmcnt(1)
	v_mul_f64 v[46:47], v[2:3], v[12:13]
	v_mul_f64 v[12:13], v[4:5], v[12:13]
	s_waitcnt vmcnt(6) lgkmcnt(0)
	v_mul_f64 v[156:157], v[6:7], v[16:17]
	v_mul_f64 v[16:17], v[8:9], v[16:17]
	v_add_f64 v[44:45], v[44:45], v[48:49]
	v_fma_f64 v[46:47], v[4:5], v[10:11], v[46:47]
	v_fma_f64 v[10:11], v[2:3], v[10:11], -v[12:13]
	v_add_f64 v[12:13], v[169:170], v[167:168]
	ds_load_b128 v[2:5], v1 offset:1712
	v_fma_f64 v[156:157], v[8:9], v[14:15], v[156:157]
	v_fma_f64 v[14:15], v[6:7], v[14:15], -v[16:17]
	ds_load_b128 v[6:9], v1 offset:1728
	s_waitcnt vmcnt(5) lgkmcnt(1)
	v_mul_f64 v[48:49], v[2:3], v[20:21]
	v_mul_f64 v[20:21], v[4:5], v[20:21]
	s_waitcnt vmcnt(4) lgkmcnt(0)
	v_mul_f64 v[16:17], v[6:7], v[24:25]
	v_mul_f64 v[24:25], v[8:9], v[24:25]
	v_add_f64 v[10:11], v[12:13], v[10:11]
	v_add_f64 v[12:13], v[44:45], v[46:47]
	v_fma_f64 v[44:45], v[4:5], v[18:19], v[48:49]
	v_fma_f64 v[18:19], v[2:3], v[18:19], -v[20:21]
	ds_load_b128 v[2:5], v1 offset:1744
	v_fma_f64 v[16:17], v[8:9], v[22:23], v[16:17]
	v_fma_f64 v[22:23], v[6:7], v[22:23], -v[24:25]
	ds_load_b128 v[6:9], v1 offset:1760
	v_add_f64 v[10:11], v[10:11], v[14:15]
	v_add_f64 v[12:13], v[12:13], v[156:157]
	s_waitcnt vmcnt(3) lgkmcnt(1)
	v_mul_f64 v[14:15], v[2:3], v[28:29]
	v_mul_f64 v[20:21], v[4:5], v[28:29]
	s_waitcnt vmcnt(2) lgkmcnt(0)
	v_mul_f64 v[24:25], v[8:9], v[32:33]
	v_add_f64 v[10:11], v[10:11], v[18:19]
	v_add_f64 v[12:13], v[12:13], v[44:45]
	v_mul_f64 v[18:19], v[6:7], v[32:33]
	v_fma_f64 v[14:15], v[4:5], v[26:27], v[14:15]
	v_fma_f64 v[20:21], v[2:3], v[26:27], -v[20:21]
	ds_load_b128 v[2:5], v1 offset:1776
	v_fma_f64 v[6:7], v[6:7], v[30:31], -v[24:25]
	v_add_f64 v[10:11], v[10:11], v[22:23]
	v_add_f64 v[12:13], v[12:13], v[16:17]
	s_waitcnt vmcnt(1) lgkmcnt(0)
	v_mul_f64 v[16:17], v[2:3], v[36:37]
	v_mul_f64 v[22:23], v[4:5], v[36:37]
	v_fma_f64 v[8:9], v[8:9], v[30:31], v[18:19]
	v_add_f64 v[10:11], v[10:11], v[20:21]
	v_add_f64 v[12:13], v[12:13], v[14:15]
	v_fma_f64 v[4:5], v[4:5], v[34:35], v[16:17]
	v_fma_f64 v[2:3], v[2:3], v[34:35], -v[22:23]
	s_delay_alu instid0(VALU_DEP_4) | instskip(NEXT) | instid1(VALU_DEP_4)
	v_add_f64 v[6:7], v[10:11], v[6:7]
	v_add_f64 v[8:9], v[12:13], v[8:9]
	s_delay_alu instid0(VALU_DEP_2) | instskip(NEXT) | instid1(VALU_DEP_2)
	v_add_f64 v[2:3], v[6:7], v[2:3]
	v_add_f64 v[4:5], v[8:9], v[4:5]
	s_waitcnt vmcnt(0)
	s_delay_alu instid0(VALU_DEP_2) | instskip(NEXT) | instid1(VALU_DEP_2)
	v_add_f64 v[2:3], v[38:39], -v[2:3]
	v_add_f64 v[4:5], v[40:41], -v[4:5]
	scratch_store_b128 off, v[2:5], off offset:416
	v_cmpx_lt_u32_e32 25, v154
	s_cbranch_execz .LBB55_299
; %bb.298:
	scratch_load_b128 v[5:8], v211, off
	v_mov_b32_e32 v2, v1
	v_mov_b32_e32 v3, v1
	;; [unrolled: 1-line block ×3, first 2 shown]
	scratch_store_b128 off, v[1:4], off offset:400
	s_waitcnt vmcnt(0)
	ds_store_b128 v210, v[5:8]
.LBB55_299:
	s_or_b32 exec_lo, exec_lo, s2
	s_waitcnt lgkmcnt(0)
	s_waitcnt_vscnt null, 0x0
	s_barrier
	buffer_gl0_inv
	s_clause 0x7
	scratch_load_b128 v[2:5], off, off offset:416
	scratch_load_b128 v[6:9], off, off offset:432
	;; [unrolled: 1-line block ×8, first 2 shown]
	ds_load_b128 v[38:41], v1 offset:1312
	ds_load_b128 v[167:170], v1 offset:1328
	s_clause 0x1
	scratch_load_b128 v[34:37], off, off offset:544
	scratch_load_b128 v[171:174], off, off offset:560
	s_mov_b32 s2, exec_lo
	s_waitcnt vmcnt(9) lgkmcnt(1)
	v_mul_f64 v[44:45], v[40:41], v[4:5]
	v_mul_f64 v[4:5], v[38:39], v[4:5]
	s_waitcnt vmcnt(8) lgkmcnt(0)
	v_mul_f64 v[46:47], v[167:168], v[8:9]
	v_mul_f64 v[8:9], v[169:170], v[8:9]
	s_delay_alu instid0(VALU_DEP_4) | instskip(NEXT) | instid1(VALU_DEP_4)
	v_fma_f64 v[44:45], v[38:39], v[2:3], -v[44:45]
	v_fma_f64 v[48:49], v[40:41], v[2:3], v[4:5]
	ds_load_b128 v[2:5], v1 offset:1344
	scratch_load_b128 v[38:41], off, off offset:576
	v_fma_f64 v[46:47], v[169:170], v[6:7], v[46:47]
	v_fma_f64 v[175:176], v[167:168], v[6:7], -v[8:9]
	scratch_load_b128 v[167:170], off, off offset:592
	ds_load_b128 v[6:9], v1 offset:1360
	s_waitcnt vmcnt(9) lgkmcnt(1)
	v_mul_f64 v[156:157], v[2:3], v[12:13]
	v_mul_f64 v[12:13], v[4:5], v[12:13]
	s_waitcnt vmcnt(8) lgkmcnt(0)
	v_mul_f64 v[177:178], v[6:7], v[16:17]
	v_mul_f64 v[16:17], v[8:9], v[16:17]
	v_add_f64 v[44:45], v[44:45], 0
	v_add_f64 v[48:49], v[48:49], 0
	v_fma_f64 v[156:157], v[4:5], v[10:11], v[156:157]
	v_fma_f64 v[179:180], v[2:3], v[10:11], -v[12:13]
	scratch_load_b128 v[10:13], off, off offset:608
	ds_load_b128 v[2:5], v1 offset:1376
	v_add_f64 v[44:45], v[44:45], v[175:176]
	v_add_f64 v[46:47], v[48:49], v[46:47]
	v_fma_f64 v[175:176], v[8:9], v[14:15], v[177:178]
	v_fma_f64 v[177:178], v[6:7], v[14:15], -v[16:17]
	ds_load_b128 v[6:9], v1 offset:1392
	scratch_load_b128 v[14:17], off, off offset:624
	s_waitcnt vmcnt(9) lgkmcnt(1)
	v_mul_f64 v[48:49], v[2:3], v[20:21]
	v_mul_f64 v[20:21], v[4:5], v[20:21]
	v_add_f64 v[44:45], v[44:45], v[179:180]
	v_add_f64 v[46:47], v[46:47], v[156:157]
	s_waitcnt vmcnt(8) lgkmcnt(0)
	v_mul_f64 v[156:157], v[6:7], v[24:25]
	v_mul_f64 v[24:25], v[8:9], v[24:25]
	v_fma_f64 v[48:49], v[4:5], v[18:19], v[48:49]
	v_fma_f64 v[179:180], v[2:3], v[18:19], -v[20:21]
	ds_load_b128 v[2:5], v1 offset:1408
	scratch_load_b128 v[18:21], off, off offset:640
	v_add_f64 v[44:45], v[44:45], v[177:178]
	v_add_f64 v[46:47], v[46:47], v[175:176]
	v_fma_f64 v[156:157], v[8:9], v[22:23], v[156:157]
	v_fma_f64 v[177:178], v[6:7], v[22:23], -v[24:25]
	scratch_load_b128 v[22:25], off, off offset:656
	ds_load_b128 v[6:9], v1 offset:1424
	s_waitcnt vmcnt(9) lgkmcnt(1)
	v_mul_f64 v[175:176], v[2:3], v[28:29]
	v_mul_f64 v[28:29], v[4:5], v[28:29]
	v_add_f64 v[44:45], v[44:45], v[179:180]
	v_add_f64 v[46:47], v[46:47], v[48:49]
	s_waitcnt vmcnt(8) lgkmcnt(0)
	v_mul_f64 v[48:49], v[6:7], v[32:33]
	v_mul_f64 v[32:33], v[8:9], v[32:33]
	v_fma_f64 v[175:176], v[4:5], v[26:27], v[175:176]
	v_fma_f64 v[179:180], v[2:3], v[26:27], -v[28:29]
	ds_load_b128 v[2:5], v1 offset:1440
	scratch_load_b128 v[26:29], off, off offset:672
	v_add_f64 v[44:45], v[44:45], v[177:178]
	v_add_f64 v[46:47], v[46:47], v[156:157]
	v_fma_f64 v[48:49], v[8:9], v[30:31], v[48:49]
	v_fma_f64 v[177:178], v[6:7], v[30:31], -v[32:33]
	scratch_load_b128 v[30:33], off, off offset:688
	ds_load_b128 v[6:9], v1 offset:1456
	;; [unrolled: 18-line block ×3, first 2 shown]
	s_waitcnt vmcnt(9) lgkmcnt(1)
	v_mul_f64 v[48:49], v[2:3], v[40:41]
	v_mul_f64 v[40:41], v[4:5], v[40:41]
	v_add_f64 v[44:45], v[44:45], v[179:180]
	v_add_f64 v[46:47], v[46:47], v[156:157]
	s_waitcnt vmcnt(8) lgkmcnt(0)
	v_mul_f64 v[156:157], v[6:7], v[169:170]
	v_mul_f64 v[169:170], v[8:9], v[169:170]
	v_fma_f64 v[48:49], v[4:5], v[38:39], v[48:49]
	v_fma_f64 v[179:180], v[2:3], v[38:39], -v[40:41]
	ds_load_b128 v[2:5], v1 offset:1504
	scratch_load_b128 v[38:41], off, off offset:736
	v_add_f64 v[44:45], v[44:45], v[177:178]
	v_add_f64 v[46:47], v[46:47], v[175:176]
	v_fma_f64 v[156:157], v[8:9], v[167:168], v[156:157]
	v_fma_f64 v[177:178], v[6:7], v[167:168], -v[169:170]
	ds_load_b128 v[6:9], v1 offset:1520
	s_waitcnt vmcnt(8) lgkmcnt(1)
	v_mul_f64 v[175:176], v[2:3], v[12:13]
	v_mul_f64 v[12:13], v[4:5], v[12:13]
	scratch_load_b128 v[167:170], off, off offset:752
	v_add_f64 v[44:45], v[44:45], v[179:180]
	v_add_f64 v[46:47], v[46:47], v[48:49]
	s_waitcnt vmcnt(8) lgkmcnt(0)
	v_mul_f64 v[48:49], v[6:7], v[16:17]
	v_mul_f64 v[16:17], v[8:9], v[16:17]
	v_fma_f64 v[175:176], v[4:5], v[10:11], v[175:176]
	v_fma_f64 v[179:180], v[2:3], v[10:11], -v[12:13]
	scratch_load_b128 v[10:13], off, off offset:768
	ds_load_b128 v[2:5], v1 offset:1536
	v_add_f64 v[44:45], v[44:45], v[177:178]
	v_add_f64 v[46:47], v[46:47], v[156:157]
	v_fma_f64 v[48:49], v[8:9], v[14:15], v[48:49]
	v_fma_f64 v[177:178], v[6:7], v[14:15], -v[16:17]
	ds_load_b128 v[6:9], v1 offset:1552
	s_waitcnt vmcnt(8) lgkmcnt(1)
	v_mul_f64 v[156:157], v[2:3], v[20:21]
	v_mul_f64 v[20:21], v[4:5], v[20:21]
	scratch_load_b128 v[14:17], off, off offset:784
	v_add_f64 v[44:45], v[44:45], v[179:180]
	v_add_f64 v[46:47], v[46:47], v[175:176]
	s_waitcnt vmcnt(8) lgkmcnt(0)
	v_mul_f64 v[175:176], v[6:7], v[24:25]
	v_mul_f64 v[24:25], v[8:9], v[24:25]
	v_fma_f64 v[156:157], v[4:5], v[18:19], v[156:157]
	v_fma_f64 v[179:180], v[2:3], v[18:19], -v[20:21]
	scratch_load_b128 v[18:21], off, off offset:800
	ds_load_b128 v[2:5], v1 offset:1568
	;; [unrolled: 18-line block ×4, first 2 shown]
	v_add_f64 v[44:45], v[44:45], v[177:178]
	v_add_f64 v[46:47], v[46:47], v[156:157]
	v_fma_f64 v[48:49], v[8:9], v[171:172], v[48:49]
	v_fma_f64 v[177:178], v[6:7], v[171:172], -v[173:174]
	ds_load_b128 v[6:9], v1 offset:1648
	s_waitcnt vmcnt(8) lgkmcnt(1)
	v_mul_f64 v[156:157], v[2:3], v[40:41]
	v_mul_f64 v[40:41], v[4:5], v[40:41]
	scratch_load_b128 v[171:174], off, off offset:880
	v_add_f64 v[44:45], v[44:45], v[179:180]
	v_add_f64 v[46:47], v[46:47], v[175:176]
	v_fma_f64 v[156:157], v[4:5], v[38:39], v[156:157]
	v_fma_f64 v[38:39], v[2:3], v[38:39], -v[40:41]
	ds_load_b128 v[2:5], v1 offset:1664
	v_add_f64 v[40:41], v[44:45], v[177:178]
	v_add_f64 v[44:45], v[46:47], v[48:49]
	s_waitcnt vmcnt(7) lgkmcnt(0)
	v_mul_f64 v[46:47], v[2:3], v[12:13]
	v_mul_f64 v[12:13], v[4:5], v[12:13]
	s_delay_alu instid0(VALU_DEP_4) | instskip(NEXT) | instid1(VALU_DEP_4)
	v_add_f64 v[38:39], v[40:41], v[38:39]
	v_add_f64 v[40:41], v[44:45], v[156:157]
	s_delay_alu instid0(VALU_DEP_4) | instskip(NEXT) | instid1(VALU_DEP_4)
	v_fma_f64 v[46:47], v[4:5], v[10:11], v[46:47]
	v_fma_f64 v[156:157], v[2:3], v[10:11], -v[12:13]
	scratch_load_b128 v[10:13], off, off offset:400
	v_mul_f64 v[175:176], v[6:7], v[169:170]
	v_mul_f64 v[169:170], v[8:9], v[169:170]
	ds_load_b128 v[2:5], v1 offset:1696
	v_fma_f64 v[48:49], v[8:9], v[167:168], v[175:176]
	v_fma_f64 v[167:168], v[6:7], v[167:168], -v[169:170]
	ds_load_b128 v[6:9], v1 offset:1680
	s_waitcnt vmcnt(7) lgkmcnt(0)
	v_mul_f64 v[44:45], v[6:7], v[16:17]
	v_mul_f64 v[16:17], v[8:9], v[16:17]
	v_add_f64 v[40:41], v[40:41], v[48:49]
	v_add_f64 v[38:39], v[38:39], v[167:168]
	s_waitcnt vmcnt(6)
	v_mul_f64 v[48:49], v[2:3], v[20:21]
	v_mul_f64 v[20:21], v[4:5], v[20:21]
	v_fma_f64 v[44:45], v[8:9], v[14:15], v[44:45]
	v_fma_f64 v[14:15], v[6:7], v[14:15], -v[16:17]
	ds_load_b128 v[6:9], v1 offset:1712
	v_add_f64 v[16:17], v[38:39], v[156:157]
	v_add_f64 v[38:39], v[40:41], v[46:47]
	v_fma_f64 v[46:47], v[4:5], v[18:19], v[48:49]
	v_fma_f64 v[18:19], v[2:3], v[18:19], -v[20:21]
	ds_load_b128 v[2:5], v1 offset:1728
	s_waitcnt vmcnt(5) lgkmcnt(1)
	v_mul_f64 v[40:41], v[6:7], v[24:25]
	v_mul_f64 v[24:25], v[8:9], v[24:25]
	s_waitcnt vmcnt(4) lgkmcnt(0)
	v_mul_f64 v[20:21], v[2:3], v[28:29]
	v_mul_f64 v[28:29], v[4:5], v[28:29]
	v_add_f64 v[14:15], v[16:17], v[14:15]
	v_add_f64 v[16:17], v[38:39], v[44:45]
	v_fma_f64 v[38:39], v[8:9], v[22:23], v[40:41]
	v_fma_f64 v[22:23], v[6:7], v[22:23], -v[24:25]
	ds_load_b128 v[6:9], v1 offset:1744
	v_fma_f64 v[20:21], v[4:5], v[26:27], v[20:21]
	v_fma_f64 v[26:27], v[2:3], v[26:27], -v[28:29]
	ds_load_b128 v[2:5], v1 offset:1760
	s_waitcnt vmcnt(3) lgkmcnt(1)
	v_mul_f64 v[24:25], v[8:9], v[32:33]
	v_add_f64 v[14:15], v[14:15], v[18:19]
	v_add_f64 v[16:17], v[16:17], v[46:47]
	v_mul_f64 v[18:19], v[6:7], v[32:33]
	s_waitcnt vmcnt(2) lgkmcnt(0)
	v_mul_f64 v[28:29], v[4:5], v[36:37]
	v_fma_f64 v[24:25], v[6:7], v[30:31], -v[24:25]
	v_add_f64 v[14:15], v[14:15], v[22:23]
	v_add_f64 v[16:17], v[16:17], v[38:39]
	v_mul_f64 v[22:23], v[2:3], v[36:37]
	v_fma_f64 v[18:19], v[8:9], v[30:31], v[18:19]
	ds_load_b128 v[6:9], v1 offset:1776
	v_fma_f64 v[1:2], v[2:3], v[34:35], -v[28:29]
	v_add_f64 v[14:15], v[14:15], v[26:27]
	v_add_f64 v[16:17], v[16:17], v[20:21]
	s_waitcnt vmcnt(1) lgkmcnt(0)
	v_mul_f64 v[20:21], v[6:7], v[173:174]
	v_mul_f64 v[26:27], v[8:9], v[173:174]
	v_fma_f64 v[4:5], v[4:5], v[34:35], v[22:23]
	v_add_f64 v[14:15], v[14:15], v[24:25]
	v_add_f64 v[16:17], v[16:17], v[18:19]
	v_fma_f64 v[8:9], v[8:9], v[171:172], v[20:21]
	v_fma_f64 v[6:7], v[6:7], v[171:172], -v[26:27]
	s_delay_alu instid0(VALU_DEP_4) | instskip(NEXT) | instid1(VALU_DEP_4)
	v_add_f64 v[1:2], v[14:15], v[1:2]
	v_add_f64 v[3:4], v[16:17], v[4:5]
	s_delay_alu instid0(VALU_DEP_2) | instskip(NEXT) | instid1(VALU_DEP_2)
	v_add_f64 v[1:2], v[1:2], v[6:7]
	v_add_f64 v[3:4], v[3:4], v[8:9]
	s_waitcnt vmcnt(0)
	s_delay_alu instid0(VALU_DEP_2) | instskip(NEXT) | instid1(VALU_DEP_2)
	v_add_f64 v[1:2], v[10:11], -v[1:2]
	v_add_f64 v[3:4], v[12:13], -v[3:4]
	scratch_store_b128 off, v[1:4], off offset:400
	v_cmpx_lt_u32_e32 24, v154
	s_cbranch_execz .LBB55_301
; %bb.300:
	scratch_load_b128 v[1:4], v186, off
	v_mov_b32_e32 v5, 0
	s_delay_alu instid0(VALU_DEP_1)
	v_mov_b32_e32 v6, v5
	v_mov_b32_e32 v7, v5
	;; [unrolled: 1-line block ×3, first 2 shown]
	scratch_store_b128 off, v[5:8], off offset:384
	s_waitcnt vmcnt(0)
	ds_store_b128 v210, v[1:4]
.LBB55_301:
	s_or_b32 exec_lo, exec_lo, s2
	s_waitcnt lgkmcnt(0)
	s_waitcnt_vscnt null, 0x0
	s_barrier
	buffer_gl0_inv
	s_clause 0x7
	scratch_load_b128 v[2:5], off, off offset:400
	scratch_load_b128 v[6:9], off, off offset:416
	;; [unrolled: 1-line block ×8, first 2 shown]
	v_mov_b32_e32 v1, 0
	s_clause 0x1
	scratch_load_b128 v[34:37], off, off offset:528
	scratch_load_b128 v[171:174], off, off offset:544
	s_mov_b32 s2, exec_lo
	ds_load_b128 v[38:41], v1 offset:1296
	ds_load_b128 v[167:170], v1 offset:1312
	s_waitcnt vmcnt(9) lgkmcnt(1)
	v_mul_f64 v[44:45], v[40:41], v[4:5]
	v_mul_f64 v[4:5], v[38:39], v[4:5]
	s_waitcnt vmcnt(8) lgkmcnt(0)
	v_mul_f64 v[46:47], v[167:168], v[8:9]
	v_mul_f64 v[8:9], v[169:170], v[8:9]
	s_delay_alu instid0(VALU_DEP_4) | instskip(NEXT) | instid1(VALU_DEP_4)
	v_fma_f64 v[44:45], v[38:39], v[2:3], -v[44:45]
	v_fma_f64 v[48:49], v[40:41], v[2:3], v[4:5]
	ds_load_b128 v[2:5], v1 offset:1328
	scratch_load_b128 v[38:41], off, off offset:560
	v_fma_f64 v[46:47], v[169:170], v[6:7], v[46:47]
	v_fma_f64 v[175:176], v[167:168], v[6:7], -v[8:9]
	scratch_load_b128 v[167:170], off, off offset:576
	ds_load_b128 v[6:9], v1 offset:1344
	s_waitcnt vmcnt(9) lgkmcnt(1)
	v_mul_f64 v[156:157], v[2:3], v[12:13]
	v_mul_f64 v[12:13], v[4:5], v[12:13]
	s_waitcnt vmcnt(8) lgkmcnt(0)
	v_mul_f64 v[177:178], v[6:7], v[16:17]
	v_mul_f64 v[16:17], v[8:9], v[16:17]
	v_add_f64 v[44:45], v[44:45], 0
	v_add_f64 v[48:49], v[48:49], 0
	v_fma_f64 v[156:157], v[4:5], v[10:11], v[156:157]
	v_fma_f64 v[179:180], v[2:3], v[10:11], -v[12:13]
	ds_load_b128 v[2:5], v1 offset:1360
	scratch_load_b128 v[10:13], off, off offset:592
	v_add_f64 v[44:45], v[44:45], v[175:176]
	v_add_f64 v[46:47], v[48:49], v[46:47]
	v_fma_f64 v[175:176], v[8:9], v[14:15], v[177:178]
	v_fma_f64 v[177:178], v[6:7], v[14:15], -v[16:17]
	scratch_load_b128 v[14:17], off, off offset:608
	ds_load_b128 v[6:9], v1 offset:1376
	s_waitcnt vmcnt(9) lgkmcnt(1)
	v_mul_f64 v[48:49], v[2:3], v[20:21]
	v_mul_f64 v[20:21], v[4:5], v[20:21]
	v_add_f64 v[44:45], v[44:45], v[179:180]
	v_add_f64 v[46:47], v[46:47], v[156:157]
	s_waitcnt vmcnt(8) lgkmcnt(0)
	v_mul_f64 v[156:157], v[6:7], v[24:25]
	v_mul_f64 v[24:25], v[8:9], v[24:25]
	v_fma_f64 v[48:49], v[4:5], v[18:19], v[48:49]
	v_fma_f64 v[179:180], v[2:3], v[18:19], -v[20:21]
	ds_load_b128 v[2:5], v1 offset:1392
	scratch_load_b128 v[18:21], off, off offset:624
	v_add_f64 v[44:45], v[44:45], v[177:178]
	v_add_f64 v[46:47], v[46:47], v[175:176]
	v_fma_f64 v[156:157], v[8:9], v[22:23], v[156:157]
	v_fma_f64 v[177:178], v[6:7], v[22:23], -v[24:25]
	scratch_load_b128 v[22:25], off, off offset:640
	ds_load_b128 v[6:9], v1 offset:1408
	s_waitcnt vmcnt(9) lgkmcnt(1)
	v_mul_f64 v[175:176], v[2:3], v[28:29]
	v_mul_f64 v[28:29], v[4:5], v[28:29]
	v_add_f64 v[44:45], v[44:45], v[179:180]
	v_add_f64 v[46:47], v[46:47], v[48:49]
	s_waitcnt vmcnt(8) lgkmcnt(0)
	v_mul_f64 v[48:49], v[6:7], v[32:33]
	v_mul_f64 v[32:33], v[8:9], v[32:33]
	;; [unrolled: 18-line block ×6, first 2 shown]
	v_fma_f64 v[156:157], v[4:5], v[18:19], v[156:157]
	v_fma_f64 v[179:180], v[2:3], v[18:19], -v[20:21]
	ds_load_b128 v[2:5], v1 offset:1552
	scratch_load_b128 v[18:21], off, off offset:784
	v_add_f64 v[44:45], v[44:45], v[177:178]
	v_add_f64 v[46:47], v[46:47], v[48:49]
	v_fma_f64 v[175:176], v[8:9], v[22:23], v[175:176]
	v_fma_f64 v[177:178], v[6:7], v[22:23], -v[24:25]
	ds_load_b128 v[6:9], v1 offset:1568
	s_waitcnt vmcnt(8) lgkmcnt(1)
	v_mul_f64 v[48:49], v[2:3], v[28:29]
	v_mul_f64 v[28:29], v[4:5], v[28:29]
	scratch_load_b128 v[22:25], off, off offset:800
	v_add_f64 v[44:45], v[44:45], v[179:180]
	v_add_f64 v[46:47], v[46:47], v[156:157]
	s_waitcnt vmcnt(8) lgkmcnt(0)
	v_mul_f64 v[156:157], v[6:7], v[32:33]
	v_mul_f64 v[32:33], v[8:9], v[32:33]
	v_fma_f64 v[48:49], v[4:5], v[26:27], v[48:49]
	v_fma_f64 v[179:180], v[2:3], v[26:27], -v[28:29]
	scratch_load_b128 v[26:29], off, off offset:816
	ds_load_b128 v[2:5], v1 offset:1584
	v_add_f64 v[44:45], v[44:45], v[177:178]
	v_add_f64 v[46:47], v[46:47], v[175:176]
	v_fma_f64 v[156:157], v[8:9], v[30:31], v[156:157]
	v_fma_f64 v[177:178], v[6:7], v[30:31], -v[32:33]
	ds_load_b128 v[6:9], v1 offset:1600
	s_waitcnt vmcnt(8) lgkmcnt(1)
	v_mul_f64 v[175:176], v[2:3], v[36:37]
	v_mul_f64 v[36:37], v[4:5], v[36:37]
	scratch_load_b128 v[30:33], off, off offset:832
	v_add_f64 v[44:45], v[44:45], v[179:180]
	v_add_f64 v[46:47], v[46:47], v[48:49]
	s_waitcnt vmcnt(8) lgkmcnt(0)
	v_mul_f64 v[48:49], v[6:7], v[173:174]
	v_mul_f64 v[173:174], v[8:9], v[173:174]
	v_fma_f64 v[175:176], v[4:5], v[34:35], v[175:176]
	v_fma_f64 v[179:180], v[2:3], v[34:35], -v[36:37]
	scratch_load_b128 v[34:37], off, off offset:848
	ds_load_b128 v[2:5], v1 offset:1616
	;; [unrolled: 18-line block ×3, first 2 shown]
	v_add_f64 v[44:45], v[44:45], v[177:178]
	v_add_f64 v[46:47], v[46:47], v[48:49]
	v_fma_f64 v[175:176], v[8:9], v[167:168], v[175:176]
	v_fma_f64 v[167:168], v[6:7], v[167:168], -v[169:170]
	ds_load_b128 v[6:9], v1 offset:1664
	s_waitcnt vmcnt(8) lgkmcnt(1)
	v_mul_f64 v[48:49], v[2:3], v[12:13]
	v_mul_f64 v[12:13], v[4:5], v[12:13]
	v_add_f64 v[44:45], v[44:45], v[179:180]
	v_add_f64 v[46:47], v[46:47], v[156:157]
	s_waitcnt vmcnt(7) lgkmcnt(0)
	v_mul_f64 v[156:157], v[6:7], v[16:17]
	v_mul_f64 v[16:17], v[8:9], v[16:17]
	v_fma_f64 v[48:49], v[4:5], v[10:11], v[48:49]
	v_fma_f64 v[10:11], v[2:3], v[10:11], -v[12:13]
	ds_load_b128 v[2:5], v1 offset:1680
	v_add_f64 v[12:13], v[44:45], v[167:168]
	v_add_f64 v[44:45], v[46:47], v[175:176]
	v_fma_f64 v[156:157], v[8:9], v[14:15], v[156:157]
	v_fma_f64 v[14:15], v[6:7], v[14:15], -v[16:17]
	ds_load_b128 v[6:9], v1 offset:1696
	v_add_f64 v[16:17], v[12:13], v[10:11]
	v_add_f64 v[44:45], v[44:45], v[48:49]
	scratch_load_b128 v[10:13], off, off offset:384
	s_waitcnt vmcnt(7) lgkmcnt(1)
	v_mul_f64 v[46:47], v[2:3], v[20:21]
	v_mul_f64 v[20:21], v[4:5], v[20:21]
	s_waitcnt vmcnt(6) lgkmcnt(0)
	v_mul_f64 v[48:49], v[6:7], v[24:25]
	v_mul_f64 v[24:25], v[8:9], v[24:25]
	v_add_f64 v[14:15], v[16:17], v[14:15]
	v_add_f64 v[16:17], v[44:45], v[156:157]
	v_fma_f64 v[46:47], v[4:5], v[18:19], v[46:47]
	v_fma_f64 v[18:19], v[2:3], v[18:19], -v[20:21]
	ds_load_b128 v[2:5], v1 offset:1712
	v_fma_f64 v[44:45], v[8:9], v[22:23], v[48:49]
	v_fma_f64 v[22:23], v[6:7], v[22:23], -v[24:25]
	ds_load_b128 v[6:9], v1 offset:1728
	s_waitcnt vmcnt(5) lgkmcnt(1)
	v_mul_f64 v[20:21], v[2:3], v[28:29]
	v_mul_f64 v[28:29], v[4:5], v[28:29]
	s_waitcnt vmcnt(4) lgkmcnt(0)
	v_mul_f64 v[24:25], v[8:9], v[32:33]
	v_add_f64 v[16:17], v[16:17], v[46:47]
	v_add_f64 v[14:15], v[14:15], v[18:19]
	v_mul_f64 v[18:19], v[6:7], v[32:33]
	v_fma_f64 v[20:21], v[4:5], v[26:27], v[20:21]
	v_fma_f64 v[26:27], v[2:3], v[26:27], -v[28:29]
	ds_load_b128 v[2:5], v1 offset:1744
	v_fma_f64 v[24:25], v[6:7], v[30:31], -v[24:25]
	v_add_f64 v[16:17], v[16:17], v[44:45]
	v_add_f64 v[14:15], v[14:15], v[22:23]
	v_fma_f64 v[18:19], v[8:9], v[30:31], v[18:19]
	ds_load_b128 v[6:9], v1 offset:1760
	s_waitcnt vmcnt(3) lgkmcnt(1)
	v_mul_f64 v[22:23], v[2:3], v[36:37]
	v_mul_f64 v[28:29], v[4:5], v[36:37]
	v_add_f64 v[16:17], v[16:17], v[20:21]
	v_add_f64 v[14:15], v[14:15], v[26:27]
	s_waitcnt vmcnt(2) lgkmcnt(0)
	v_mul_f64 v[20:21], v[6:7], v[173:174]
	v_mul_f64 v[26:27], v[8:9], v[173:174]
	v_fma_f64 v[22:23], v[4:5], v[34:35], v[22:23]
	v_fma_f64 v[28:29], v[2:3], v[34:35], -v[28:29]
	ds_load_b128 v[2:5], v1 offset:1776
	v_add_f64 v[16:17], v[16:17], v[18:19]
	v_add_f64 v[14:15], v[14:15], v[24:25]
	s_waitcnt vmcnt(1) lgkmcnt(0)
	v_mul_f64 v[18:19], v[2:3], v[40:41]
	v_mul_f64 v[24:25], v[4:5], v[40:41]
	v_fma_f64 v[8:9], v[8:9], v[171:172], v[20:21]
	v_fma_f64 v[6:7], v[6:7], v[171:172], -v[26:27]
	v_add_f64 v[16:17], v[16:17], v[22:23]
	v_add_f64 v[14:15], v[14:15], v[28:29]
	v_fma_f64 v[4:5], v[4:5], v[38:39], v[18:19]
	v_fma_f64 v[2:3], v[2:3], v[38:39], -v[24:25]
	s_delay_alu instid0(VALU_DEP_4) | instskip(NEXT) | instid1(VALU_DEP_4)
	v_add_f64 v[8:9], v[16:17], v[8:9]
	v_add_f64 v[6:7], v[14:15], v[6:7]
	s_delay_alu instid0(VALU_DEP_2) | instskip(NEXT) | instid1(VALU_DEP_2)
	v_add_f64 v[4:5], v[8:9], v[4:5]
	v_add_f64 v[2:3], v[6:7], v[2:3]
	s_waitcnt vmcnt(0)
	s_delay_alu instid0(VALU_DEP_2) | instskip(NEXT) | instid1(VALU_DEP_2)
	v_add_f64 v[4:5], v[12:13], -v[4:5]
	v_add_f64 v[2:3], v[10:11], -v[2:3]
	scratch_store_b128 off, v[2:5], off offset:384
	v_cmpx_lt_u32_e32 23, v154
	s_cbranch_execz .LBB55_303
; %bb.302:
	scratch_load_b128 v[5:8], v188, off
	v_mov_b32_e32 v2, v1
	v_mov_b32_e32 v3, v1
	;; [unrolled: 1-line block ×3, first 2 shown]
	scratch_store_b128 off, v[1:4], off offset:368
	s_waitcnt vmcnt(0)
	ds_store_b128 v210, v[5:8]
.LBB55_303:
	s_or_b32 exec_lo, exec_lo, s2
	s_waitcnt lgkmcnt(0)
	s_waitcnt_vscnt null, 0x0
	s_barrier
	buffer_gl0_inv
	s_clause 0x7
	scratch_load_b128 v[2:5], off, off offset:384
	scratch_load_b128 v[6:9], off, off offset:400
	scratch_load_b128 v[10:13], off, off offset:416
	scratch_load_b128 v[14:17], off, off offset:432
	scratch_load_b128 v[18:21], off, off offset:448
	scratch_load_b128 v[22:25], off, off offset:464
	scratch_load_b128 v[26:29], off, off offset:480
	scratch_load_b128 v[30:33], off, off offset:496
	ds_load_b128 v[38:41], v1 offset:1280
	ds_load_b128 v[167:170], v1 offset:1296
	s_clause 0x1
	scratch_load_b128 v[34:37], off, off offset:512
	scratch_load_b128 v[171:174], off, off offset:528
	s_mov_b32 s2, exec_lo
	s_waitcnt vmcnt(9) lgkmcnt(1)
	v_mul_f64 v[44:45], v[40:41], v[4:5]
	v_mul_f64 v[4:5], v[38:39], v[4:5]
	s_waitcnt vmcnt(8) lgkmcnt(0)
	v_mul_f64 v[46:47], v[167:168], v[8:9]
	v_mul_f64 v[8:9], v[169:170], v[8:9]
	s_delay_alu instid0(VALU_DEP_4) | instskip(NEXT) | instid1(VALU_DEP_4)
	v_fma_f64 v[44:45], v[38:39], v[2:3], -v[44:45]
	v_fma_f64 v[48:49], v[40:41], v[2:3], v[4:5]
	ds_load_b128 v[2:5], v1 offset:1312
	scratch_load_b128 v[38:41], off, off offset:544
	v_fma_f64 v[46:47], v[169:170], v[6:7], v[46:47]
	v_fma_f64 v[175:176], v[167:168], v[6:7], -v[8:9]
	scratch_load_b128 v[167:170], off, off offset:560
	ds_load_b128 v[6:9], v1 offset:1328
	s_waitcnt vmcnt(9) lgkmcnt(1)
	v_mul_f64 v[156:157], v[2:3], v[12:13]
	v_mul_f64 v[12:13], v[4:5], v[12:13]
	s_waitcnt vmcnt(8) lgkmcnt(0)
	v_mul_f64 v[177:178], v[6:7], v[16:17]
	v_mul_f64 v[16:17], v[8:9], v[16:17]
	v_add_f64 v[44:45], v[44:45], 0
	v_add_f64 v[48:49], v[48:49], 0
	v_fma_f64 v[156:157], v[4:5], v[10:11], v[156:157]
	v_fma_f64 v[179:180], v[2:3], v[10:11], -v[12:13]
	ds_load_b128 v[2:5], v1 offset:1344
	scratch_load_b128 v[10:13], off, off offset:576
	v_add_f64 v[44:45], v[44:45], v[175:176]
	v_add_f64 v[46:47], v[48:49], v[46:47]
	v_fma_f64 v[175:176], v[8:9], v[14:15], v[177:178]
	v_fma_f64 v[177:178], v[6:7], v[14:15], -v[16:17]
	scratch_load_b128 v[14:17], off, off offset:592
	ds_load_b128 v[6:9], v1 offset:1360
	s_waitcnt vmcnt(9) lgkmcnt(1)
	v_mul_f64 v[48:49], v[2:3], v[20:21]
	v_mul_f64 v[20:21], v[4:5], v[20:21]
	v_add_f64 v[44:45], v[44:45], v[179:180]
	v_add_f64 v[46:47], v[46:47], v[156:157]
	s_waitcnt vmcnt(8) lgkmcnt(0)
	v_mul_f64 v[156:157], v[6:7], v[24:25]
	v_mul_f64 v[24:25], v[8:9], v[24:25]
	v_fma_f64 v[48:49], v[4:5], v[18:19], v[48:49]
	v_fma_f64 v[179:180], v[2:3], v[18:19], -v[20:21]
	ds_load_b128 v[2:5], v1 offset:1376
	scratch_load_b128 v[18:21], off, off offset:608
	v_add_f64 v[44:45], v[44:45], v[177:178]
	v_add_f64 v[46:47], v[46:47], v[175:176]
	v_fma_f64 v[156:157], v[8:9], v[22:23], v[156:157]
	v_fma_f64 v[177:178], v[6:7], v[22:23], -v[24:25]
	scratch_load_b128 v[22:25], off, off offset:624
	ds_load_b128 v[6:9], v1 offset:1392
	s_waitcnt vmcnt(9) lgkmcnt(1)
	v_mul_f64 v[175:176], v[2:3], v[28:29]
	v_mul_f64 v[28:29], v[4:5], v[28:29]
	v_add_f64 v[44:45], v[44:45], v[179:180]
	v_add_f64 v[46:47], v[46:47], v[48:49]
	s_waitcnt vmcnt(8) lgkmcnt(0)
	v_mul_f64 v[48:49], v[6:7], v[32:33]
	v_mul_f64 v[32:33], v[8:9], v[32:33]
	;; [unrolled: 18-line block ×6, first 2 shown]
	v_fma_f64 v[156:157], v[4:5], v[18:19], v[156:157]
	v_fma_f64 v[179:180], v[2:3], v[18:19], -v[20:21]
	ds_load_b128 v[2:5], v1 offset:1536
	scratch_load_b128 v[18:21], off, off offset:768
	v_add_f64 v[44:45], v[44:45], v[177:178]
	v_add_f64 v[46:47], v[46:47], v[48:49]
	v_fma_f64 v[175:176], v[8:9], v[22:23], v[175:176]
	v_fma_f64 v[177:178], v[6:7], v[22:23], -v[24:25]
	ds_load_b128 v[6:9], v1 offset:1552
	s_waitcnt vmcnt(8) lgkmcnt(1)
	v_mul_f64 v[48:49], v[2:3], v[28:29]
	v_mul_f64 v[28:29], v[4:5], v[28:29]
	scratch_load_b128 v[22:25], off, off offset:784
	v_add_f64 v[44:45], v[44:45], v[179:180]
	v_add_f64 v[46:47], v[46:47], v[156:157]
	s_waitcnt vmcnt(8) lgkmcnt(0)
	v_mul_f64 v[156:157], v[6:7], v[32:33]
	v_mul_f64 v[32:33], v[8:9], v[32:33]
	v_fma_f64 v[48:49], v[4:5], v[26:27], v[48:49]
	v_fma_f64 v[179:180], v[2:3], v[26:27], -v[28:29]
	ds_load_b128 v[2:5], v1 offset:1568
	scratch_load_b128 v[26:29], off, off offset:800
	v_add_f64 v[44:45], v[44:45], v[177:178]
	v_add_f64 v[46:47], v[46:47], v[175:176]
	v_fma_f64 v[156:157], v[8:9], v[30:31], v[156:157]
	v_fma_f64 v[177:178], v[6:7], v[30:31], -v[32:33]
	ds_load_b128 v[6:9], v1 offset:1584
	s_waitcnt vmcnt(8) lgkmcnt(1)
	v_mul_f64 v[175:176], v[2:3], v[36:37]
	v_mul_f64 v[36:37], v[4:5], v[36:37]
	scratch_load_b128 v[30:33], off, off offset:816
	v_add_f64 v[44:45], v[44:45], v[179:180]
	v_add_f64 v[46:47], v[46:47], v[48:49]
	s_waitcnt vmcnt(8) lgkmcnt(0)
	v_mul_f64 v[48:49], v[6:7], v[173:174]
	v_mul_f64 v[173:174], v[8:9], v[173:174]
	v_fma_f64 v[175:176], v[4:5], v[34:35], v[175:176]
	v_fma_f64 v[179:180], v[2:3], v[34:35], -v[36:37]
	scratch_load_b128 v[34:37], off, off offset:832
	ds_load_b128 v[2:5], v1 offset:1600
	v_add_f64 v[44:45], v[44:45], v[177:178]
	v_add_f64 v[46:47], v[46:47], v[156:157]
	v_fma_f64 v[48:49], v[8:9], v[171:172], v[48:49]
	v_fma_f64 v[177:178], v[6:7], v[171:172], -v[173:174]
	ds_load_b128 v[6:9], v1 offset:1616
	s_waitcnt vmcnt(8) lgkmcnt(1)
	v_mul_f64 v[156:157], v[2:3], v[40:41]
	v_mul_f64 v[40:41], v[4:5], v[40:41]
	scratch_load_b128 v[171:174], off, off offset:848
	v_add_f64 v[44:45], v[44:45], v[179:180]
	v_add_f64 v[46:47], v[46:47], v[175:176]
	s_waitcnt vmcnt(8) lgkmcnt(0)
	v_mul_f64 v[175:176], v[6:7], v[169:170]
	v_mul_f64 v[169:170], v[8:9], v[169:170]
	v_fma_f64 v[156:157], v[4:5], v[38:39], v[156:157]
	v_fma_f64 v[179:180], v[2:3], v[38:39], -v[40:41]
	scratch_load_b128 v[38:41], off, off offset:864
	ds_load_b128 v[2:5], v1 offset:1632
	v_add_f64 v[44:45], v[44:45], v[177:178]
	v_add_f64 v[46:47], v[46:47], v[48:49]
	v_fma_f64 v[175:176], v[8:9], v[167:168], v[175:176]
	v_fma_f64 v[177:178], v[6:7], v[167:168], -v[169:170]
	ds_load_b128 v[6:9], v1 offset:1648
	s_waitcnt vmcnt(8) lgkmcnt(1)
	v_mul_f64 v[48:49], v[2:3], v[12:13]
	v_mul_f64 v[12:13], v[4:5], v[12:13]
	scratch_load_b128 v[167:170], off, off offset:880
	v_add_f64 v[44:45], v[44:45], v[179:180]
	v_add_f64 v[46:47], v[46:47], v[156:157]
	s_waitcnt vmcnt(8) lgkmcnt(0)
	v_mul_f64 v[156:157], v[6:7], v[16:17]
	v_mul_f64 v[16:17], v[8:9], v[16:17]
	v_fma_f64 v[48:49], v[4:5], v[10:11], v[48:49]
	v_fma_f64 v[10:11], v[2:3], v[10:11], -v[12:13]
	ds_load_b128 v[2:5], v1 offset:1664
	v_add_f64 v[12:13], v[44:45], v[177:178]
	v_add_f64 v[44:45], v[46:47], v[175:176]
	v_fma_f64 v[156:157], v[8:9], v[14:15], v[156:157]
	v_fma_f64 v[14:15], v[6:7], v[14:15], -v[16:17]
	ds_load_b128 v[6:9], v1 offset:1680
	s_waitcnt vmcnt(7) lgkmcnt(1)
	v_mul_f64 v[46:47], v[2:3], v[20:21]
	v_mul_f64 v[20:21], v[4:5], v[20:21]
	v_add_f64 v[10:11], v[12:13], v[10:11]
	v_add_f64 v[12:13], v[44:45], v[48:49]
	s_delay_alu instid0(VALU_DEP_4) | instskip(NEXT) | instid1(VALU_DEP_4)
	v_fma_f64 v[44:45], v[4:5], v[18:19], v[46:47]
	v_fma_f64 v[18:19], v[2:3], v[18:19], -v[20:21]
	ds_load_b128 v[2:5], v1 offset:1696
	v_add_f64 v[14:15], v[10:11], v[14:15]
	v_add_f64 v[20:21], v[12:13], v[156:157]
	scratch_load_b128 v[10:13], off, off offset:368
	s_waitcnt vmcnt(7) lgkmcnt(1)
	v_mul_f64 v[16:17], v[6:7], v[24:25]
	v_mul_f64 v[24:25], v[8:9], v[24:25]
	v_add_f64 v[14:15], v[14:15], v[18:19]
	v_add_f64 v[18:19], v[20:21], v[44:45]
	s_delay_alu instid0(VALU_DEP_4) | instskip(NEXT) | instid1(VALU_DEP_4)
	v_fma_f64 v[16:17], v[8:9], v[22:23], v[16:17]
	v_fma_f64 v[22:23], v[6:7], v[22:23], -v[24:25]
	ds_load_b128 v[6:9], v1 offset:1712
	s_waitcnt vmcnt(6) lgkmcnt(1)
	v_mul_f64 v[46:47], v[2:3], v[28:29]
	v_mul_f64 v[28:29], v[4:5], v[28:29]
	s_waitcnt vmcnt(5) lgkmcnt(0)
	v_mul_f64 v[20:21], v[6:7], v[32:33]
	v_mul_f64 v[24:25], v[8:9], v[32:33]
	v_add_f64 v[16:17], v[18:19], v[16:17]
	v_add_f64 v[14:15], v[14:15], v[22:23]
	v_fma_f64 v[32:33], v[4:5], v[26:27], v[46:47]
	v_fma_f64 v[26:27], v[2:3], v[26:27], -v[28:29]
	ds_load_b128 v[2:5], v1 offset:1728
	v_fma_f64 v[20:21], v[8:9], v[30:31], v[20:21]
	v_fma_f64 v[24:25], v[6:7], v[30:31], -v[24:25]
	ds_load_b128 v[6:9], v1 offset:1744
	s_waitcnt vmcnt(4) lgkmcnt(1)
	v_mul_f64 v[18:19], v[2:3], v[36:37]
	v_mul_f64 v[22:23], v[4:5], v[36:37]
	v_add_f64 v[16:17], v[16:17], v[32:33]
	v_add_f64 v[14:15], v[14:15], v[26:27]
	s_waitcnt vmcnt(3) lgkmcnt(0)
	v_mul_f64 v[26:27], v[6:7], v[173:174]
	v_mul_f64 v[28:29], v[8:9], v[173:174]
	v_fma_f64 v[18:19], v[4:5], v[34:35], v[18:19]
	v_fma_f64 v[22:23], v[2:3], v[34:35], -v[22:23]
	ds_load_b128 v[2:5], v1 offset:1760
	v_add_f64 v[16:17], v[16:17], v[20:21]
	v_add_f64 v[14:15], v[14:15], v[24:25]
	v_fma_f64 v[26:27], v[8:9], v[171:172], v[26:27]
	v_fma_f64 v[28:29], v[6:7], v[171:172], -v[28:29]
	ds_load_b128 v[6:9], v1 offset:1776
	s_waitcnt vmcnt(2) lgkmcnt(1)
	v_mul_f64 v[20:21], v[2:3], v[40:41]
	v_mul_f64 v[24:25], v[4:5], v[40:41]
	v_add_f64 v[16:17], v[16:17], v[18:19]
	v_add_f64 v[14:15], v[14:15], v[22:23]
	s_waitcnt vmcnt(1) lgkmcnt(0)
	v_mul_f64 v[18:19], v[6:7], v[169:170]
	v_mul_f64 v[22:23], v[8:9], v[169:170]
	v_fma_f64 v[4:5], v[4:5], v[38:39], v[20:21]
	v_fma_f64 v[1:2], v[2:3], v[38:39], -v[24:25]
	v_add_f64 v[16:17], v[16:17], v[26:27]
	v_add_f64 v[14:15], v[14:15], v[28:29]
	v_fma_f64 v[8:9], v[8:9], v[167:168], v[18:19]
	v_fma_f64 v[6:7], v[6:7], v[167:168], -v[22:23]
	s_delay_alu instid0(VALU_DEP_4) | instskip(NEXT) | instid1(VALU_DEP_4)
	v_add_f64 v[3:4], v[16:17], v[4:5]
	v_add_f64 v[1:2], v[14:15], v[1:2]
	s_delay_alu instid0(VALU_DEP_2) | instskip(NEXT) | instid1(VALU_DEP_2)
	v_add_f64 v[3:4], v[3:4], v[8:9]
	v_add_f64 v[1:2], v[1:2], v[6:7]
	s_waitcnt vmcnt(0)
	s_delay_alu instid0(VALU_DEP_2) | instskip(NEXT) | instid1(VALU_DEP_2)
	v_add_f64 v[3:4], v[12:13], -v[3:4]
	v_add_f64 v[1:2], v[10:11], -v[1:2]
	scratch_store_b128 off, v[1:4], off offset:368
	v_cmpx_lt_u32_e32 22, v154
	s_cbranch_execz .LBB55_305
; %bb.304:
	scratch_load_b128 v[1:4], v187, off
	v_mov_b32_e32 v5, 0
	s_delay_alu instid0(VALU_DEP_1)
	v_mov_b32_e32 v6, v5
	v_mov_b32_e32 v7, v5
	;; [unrolled: 1-line block ×3, first 2 shown]
	scratch_store_b128 off, v[5:8], off offset:352
	s_waitcnt vmcnt(0)
	ds_store_b128 v210, v[1:4]
.LBB55_305:
	s_or_b32 exec_lo, exec_lo, s2
	s_waitcnt lgkmcnt(0)
	s_waitcnt_vscnt null, 0x0
	s_barrier
	buffer_gl0_inv
	s_clause 0x7
	scratch_load_b128 v[2:5], off, off offset:368
	scratch_load_b128 v[6:9], off, off offset:384
	;; [unrolled: 1-line block ×8, first 2 shown]
	v_mov_b32_e32 v1, 0
	s_clause 0x1
	scratch_load_b128 v[34:37], off, off offset:496
	scratch_load_b128 v[171:174], off, off offset:512
	s_mov_b32 s2, exec_lo
	ds_load_b128 v[38:41], v1 offset:1264
	ds_load_b128 v[167:170], v1 offset:1280
	s_waitcnt vmcnt(9) lgkmcnt(1)
	v_mul_f64 v[44:45], v[40:41], v[4:5]
	v_mul_f64 v[4:5], v[38:39], v[4:5]
	s_waitcnt vmcnt(8) lgkmcnt(0)
	v_mul_f64 v[46:47], v[167:168], v[8:9]
	v_mul_f64 v[8:9], v[169:170], v[8:9]
	s_delay_alu instid0(VALU_DEP_4) | instskip(NEXT) | instid1(VALU_DEP_4)
	v_fma_f64 v[44:45], v[38:39], v[2:3], -v[44:45]
	v_fma_f64 v[48:49], v[40:41], v[2:3], v[4:5]
	ds_load_b128 v[2:5], v1 offset:1296
	scratch_load_b128 v[38:41], off, off offset:528
	v_fma_f64 v[46:47], v[169:170], v[6:7], v[46:47]
	v_fma_f64 v[175:176], v[167:168], v[6:7], -v[8:9]
	scratch_load_b128 v[167:170], off, off offset:544
	ds_load_b128 v[6:9], v1 offset:1312
	s_waitcnt vmcnt(9) lgkmcnt(1)
	v_mul_f64 v[156:157], v[2:3], v[12:13]
	v_mul_f64 v[12:13], v[4:5], v[12:13]
	s_waitcnt vmcnt(8) lgkmcnt(0)
	v_mul_f64 v[177:178], v[6:7], v[16:17]
	v_mul_f64 v[16:17], v[8:9], v[16:17]
	v_add_f64 v[44:45], v[44:45], 0
	v_add_f64 v[48:49], v[48:49], 0
	v_fma_f64 v[156:157], v[4:5], v[10:11], v[156:157]
	v_fma_f64 v[179:180], v[2:3], v[10:11], -v[12:13]
	ds_load_b128 v[2:5], v1 offset:1328
	scratch_load_b128 v[10:13], off, off offset:560
	v_add_f64 v[44:45], v[44:45], v[175:176]
	v_add_f64 v[46:47], v[48:49], v[46:47]
	v_fma_f64 v[175:176], v[8:9], v[14:15], v[177:178]
	v_fma_f64 v[177:178], v[6:7], v[14:15], -v[16:17]
	scratch_load_b128 v[14:17], off, off offset:576
	ds_load_b128 v[6:9], v1 offset:1344
	s_waitcnt vmcnt(9) lgkmcnt(1)
	v_mul_f64 v[48:49], v[2:3], v[20:21]
	v_mul_f64 v[20:21], v[4:5], v[20:21]
	v_add_f64 v[44:45], v[44:45], v[179:180]
	v_add_f64 v[46:47], v[46:47], v[156:157]
	s_waitcnt vmcnt(8) lgkmcnt(0)
	v_mul_f64 v[156:157], v[6:7], v[24:25]
	v_mul_f64 v[24:25], v[8:9], v[24:25]
	v_fma_f64 v[48:49], v[4:5], v[18:19], v[48:49]
	v_fma_f64 v[179:180], v[2:3], v[18:19], -v[20:21]
	ds_load_b128 v[2:5], v1 offset:1360
	scratch_load_b128 v[18:21], off, off offset:592
	v_add_f64 v[44:45], v[44:45], v[177:178]
	v_add_f64 v[46:47], v[46:47], v[175:176]
	v_fma_f64 v[156:157], v[8:9], v[22:23], v[156:157]
	v_fma_f64 v[177:178], v[6:7], v[22:23], -v[24:25]
	scratch_load_b128 v[22:25], off, off offset:608
	ds_load_b128 v[6:9], v1 offset:1376
	s_waitcnt vmcnt(9) lgkmcnt(1)
	v_mul_f64 v[175:176], v[2:3], v[28:29]
	v_mul_f64 v[28:29], v[4:5], v[28:29]
	v_add_f64 v[44:45], v[44:45], v[179:180]
	v_add_f64 v[46:47], v[46:47], v[48:49]
	s_waitcnt vmcnt(8) lgkmcnt(0)
	v_mul_f64 v[48:49], v[6:7], v[32:33]
	v_mul_f64 v[32:33], v[8:9], v[32:33]
	;; [unrolled: 18-line block ×7, first 2 shown]
	v_fma_f64 v[48:49], v[4:5], v[26:27], v[48:49]
	v_fma_f64 v[179:180], v[2:3], v[26:27], -v[28:29]
	ds_load_b128 v[2:5], v1 offset:1552
	scratch_load_b128 v[26:29], off, off offset:784
	v_add_f64 v[44:45], v[44:45], v[177:178]
	v_add_f64 v[46:47], v[46:47], v[175:176]
	v_fma_f64 v[156:157], v[8:9], v[30:31], v[156:157]
	v_fma_f64 v[177:178], v[6:7], v[30:31], -v[32:33]
	ds_load_b128 v[6:9], v1 offset:1568
	s_waitcnt vmcnt(8) lgkmcnt(1)
	v_mul_f64 v[175:176], v[2:3], v[36:37]
	v_mul_f64 v[36:37], v[4:5], v[36:37]
	scratch_load_b128 v[30:33], off, off offset:800
	v_add_f64 v[44:45], v[44:45], v[179:180]
	v_add_f64 v[46:47], v[46:47], v[48:49]
	s_waitcnt vmcnt(8) lgkmcnt(0)
	v_mul_f64 v[48:49], v[6:7], v[173:174]
	v_mul_f64 v[173:174], v[8:9], v[173:174]
	v_fma_f64 v[175:176], v[4:5], v[34:35], v[175:176]
	v_fma_f64 v[179:180], v[2:3], v[34:35], -v[36:37]
	scratch_load_b128 v[34:37], off, off offset:816
	ds_load_b128 v[2:5], v1 offset:1584
	v_add_f64 v[44:45], v[44:45], v[177:178]
	v_add_f64 v[46:47], v[46:47], v[156:157]
	v_fma_f64 v[48:49], v[8:9], v[171:172], v[48:49]
	v_fma_f64 v[177:178], v[6:7], v[171:172], -v[173:174]
	ds_load_b128 v[6:9], v1 offset:1600
	s_waitcnt vmcnt(8) lgkmcnt(1)
	v_mul_f64 v[156:157], v[2:3], v[40:41]
	v_mul_f64 v[40:41], v[4:5], v[40:41]
	scratch_load_b128 v[171:174], off, off offset:832
	v_add_f64 v[44:45], v[44:45], v[179:180]
	v_add_f64 v[46:47], v[46:47], v[175:176]
	s_waitcnt vmcnt(8) lgkmcnt(0)
	v_mul_f64 v[175:176], v[6:7], v[169:170]
	v_mul_f64 v[169:170], v[8:9], v[169:170]
	v_fma_f64 v[156:157], v[4:5], v[38:39], v[156:157]
	v_fma_f64 v[179:180], v[2:3], v[38:39], -v[40:41]
	scratch_load_b128 v[38:41], off, off offset:848
	ds_load_b128 v[2:5], v1 offset:1616
	;; [unrolled: 18-line block ×3, first 2 shown]
	v_add_f64 v[44:45], v[44:45], v[177:178]
	v_add_f64 v[46:47], v[46:47], v[175:176]
	v_fma_f64 v[156:157], v[8:9], v[14:15], v[156:157]
	v_fma_f64 v[14:15], v[6:7], v[14:15], -v[16:17]
	ds_load_b128 v[6:9], v1 offset:1664
	s_waitcnt vmcnt(8) lgkmcnt(1)
	v_mul_f64 v[175:176], v[2:3], v[20:21]
	v_mul_f64 v[20:21], v[4:5], v[20:21]
	v_add_f64 v[16:17], v[44:45], v[179:180]
	v_add_f64 v[44:45], v[46:47], v[48:49]
	s_waitcnt vmcnt(7) lgkmcnt(0)
	v_mul_f64 v[46:47], v[6:7], v[24:25]
	v_mul_f64 v[24:25], v[8:9], v[24:25]
	v_fma_f64 v[48:49], v[4:5], v[18:19], v[175:176]
	v_fma_f64 v[18:19], v[2:3], v[18:19], -v[20:21]
	ds_load_b128 v[2:5], v1 offset:1680
	v_add_f64 v[14:15], v[16:17], v[14:15]
	v_add_f64 v[16:17], v[44:45], v[156:157]
	v_fma_f64 v[44:45], v[8:9], v[22:23], v[46:47]
	v_fma_f64 v[22:23], v[6:7], v[22:23], -v[24:25]
	ds_load_b128 v[6:9], v1 offset:1696
	s_waitcnt vmcnt(5) lgkmcnt(0)
	v_mul_f64 v[46:47], v[6:7], v[32:33]
	v_mul_f64 v[32:33], v[8:9], v[32:33]
	v_add_f64 v[18:19], v[14:15], v[18:19]
	v_add_f64 v[24:25], v[16:17], v[48:49]
	scratch_load_b128 v[14:17], off, off offset:352
	v_mul_f64 v[20:21], v[2:3], v[28:29]
	v_mul_f64 v[28:29], v[4:5], v[28:29]
	v_add_f64 v[18:19], v[18:19], v[22:23]
	v_add_f64 v[22:23], v[24:25], v[44:45]
	s_delay_alu instid0(VALU_DEP_4) | instskip(NEXT) | instid1(VALU_DEP_4)
	v_fma_f64 v[20:21], v[4:5], v[26:27], v[20:21]
	v_fma_f64 v[26:27], v[2:3], v[26:27], -v[28:29]
	ds_load_b128 v[2:5], v1 offset:1712
	s_waitcnt vmcnt(5) lgkmcnt(0)
	v_mul_f64 v[24:25], v[2:3], v[36:37]
	v_mul_f64 v[28:29], v[4:5], v[36:37]
	v_fma_f64 v[36:37], v[8:9], v[30:31], v[46:47]
	v_fma_f64 v[30:31], v[6:7], v[30:31], -v[32:33]
	ds_load_b128 v[6:9], v1 offset:1728
	v_add_f64 v[20:21], v[22:23], v[20:21]
	v_add_f64 v[18:19], v[18:19], v[26:27]
	v_fma_f64 v[24:25], v[4:5], v[34:35], v[24:25]
	v_fma_f64 v[28:29], v[2:3], v[34:35], -v[28:29]
	ds_load_b128 v[2:5], v1 offset:1744
	s_waitcnt vmcnt(4) lgkmcnt(1)
	v_mul_f64 v[22:23], v[6:7], v[173:174]
	v_mul_f64 v[26:27], v[8:9], v[173:174]
	v_add_f64 v[20:21], v[20:21], v[36:37]
	v_add_f64 v[18:19], v[18:19], v[30:31]
	s_waitcnt vmcnt(3) lgkmcnt(0)
	v_mul_f64 v[30:31], v[2:3], v[40:41]
	v_mul_f64 v[32:33], v[4:5], v[40:41]
	v_fma_f64 v[22:23], v[8:9], v[171:172], v[22:23]
	v_fma_f64 v[26:27], v[6:7], v[171:172], -v[26:27]
	ds_load_b128 v[6:9], v1 offset:1760
	v_add_f64 v[20:21], v[20:21], v[24:25]
	v_add_f64 v[18:19], v[18:19], v[28:29]
	v_fma_f64 v[30:31], v[4:5], v[38:39], v[30:31]
	v_fma_f64 v[32:33], v[2:3], v[38:39], -v[32:33]
	ds_load_b128 v[2:5], v1 offset:1776
	s_waitcnt vmcnt(2) lgkmcnt(1)
	v_mul_f64 v[24:25], v[6:7], v[169:170]
	v_mul_f64 v[28:29], v[8:9], v[169:170]
	v_add_f64 v[20:21], v[20:21], v[22:23]
	v_add_f64 v[18:19], v[18:19], v[26:27]
	s_waitcnt vmcnt(1) lgkmcnt(0)
	v_mul_f64 v[22:23], v[2:3], v[12:13]
	v_mul_f64 v[12:13], v[4:5], v[12:13]
	v_fma_f64 v[8:9], v[8:9], v[167:168], v[24:25]
	v_fma_f64 v[6:7], v[6:7], v[167:168], -v[28:29]
	v_add_f64 v[20:21], v[20:21], v[30:31]
	v_add_f64 v[18:19], v[18:19], v[32:33]
	v_fma_f64 v[4:5], v[4:5], v[10:11], v[22:23]
	v_fma_f64 v[2:3], v[2:3], v[10:11], -v[12:13]
	s_delay_alu instid0(VALU_DEP_4) | instskip(NEXT) | instid1(VALU_DEP_4)
	v_add_f64 v[8:9], v[20:21], v[8:9]
	v_add_f64 v[6:7], v[18:19], v[6:7]
	s_delay_alu instid0(VALU_DEP_2) | instskip(NEXT) | instid1(VALU_DEP_2)
	v_add_f64 v[4:5], v[8:9], v[4:5]
	v_add_f64 v[2:3], v[6:7], v[2:3]
	s_waitcnt vmcnt(0)
	s_delay_alu instid0(VALU_DEP_2) | instskip(NEXT) | instid1(VALU_DEP_2)
	v_add_f64 v[4:5], v[16:17], -v[4:5]
	v_add_f64 v[2:3], v[14:15], -v[2:3]
	scratch_store_b128 off, v[2:5], off offset:352
	v_cmpx_lt_u32_e32 21, v154
	s_cbranch_execz .LBB55_307
; %bb.306:
	scratch_load_b128 v[5:8], v189, off
	v_mov_b32_e32 v2, v1
	v_mov_b32_e32 v3, v1
	;; [unrolled: 1-line block ×3, first 2 shown]
	scratch_store_b128 off, v[1:4], off offset:336
	s_waitcnt vmcnt(0)
	ds_store_b128 v210, v[5:8]
.LBB55_307:
	s_or_b32 exec_lo, exec_lo, s2
	s_waitcnt lgkmcnt(0)
	s_waitcnt_vscnt null, 0x0
	s_barrier
	buffer_gl0_inv
	s_clause 0x7
	scratch_load_b128 v[2:5], off, off offset:352
	scratch_load_b128 v[6:9], off, off offset:368
	;; [unrolled: 1-line block ×8, first 2 shown]
	ds_load_b128 v[38:41], v1 offset:1248
	ds_load_b128 v[167:170], v1 offset:1264
	s_clause 0x1
	scratch_load_b128 v[34:37], off, off offset:480
	scratch_load_b128 v[171:174], off, off offset:496
	s_mov_b32 s2, exec_lo
	s_waitcnt vmcnt(9) lgkmcnt(1)
	v_mul_f64 v[44:45], v[40:41], v[4:5]
	v_mul_f64 v[4:5], v[38:39], v[4:5]
	s_waitcnt vmcnt(8) lgkmcnt(0)
	v_mul_f64 v[46:47], v[167:168], v[8:9]
	v_mul_f64 v[8:9], v[169:170], v[8:9]
	s_delay_alu instid0(VALU_DEP_4) | instskip(NEXT) | instid1(VALU_DEP_4)
	v_fma_f64 v[44:45], v[38:39], v[2:3], -v[44:45]
	v_fma_f64 v[48:49], v[40:41], v[2:3], v[4:5]
	ds_load_b128 v[2:5], v1 offset:1280
	scratch_load_b128 v[38:41], off, off offset:512
	v_fma_f64 v[46:47], v[169:170], v[6:7], v[46:47]
	v_fma_f64 v[175:176], v[167:168], v[6:7], -v[8:9]
	scratch_load_b128 v[167:170], off, off offset:528
	ds_load_b128 v[6:9], v1 offset:1296
	s_waitcnt vmcnt(9) lgkmcnt(1)
	v_mul_f64 v[156:157], v[2:3], v[12:13]
	v_mul_f64 v[12:13], v[4:5], v[12:13]
	s_waitcnt vmcnt(8) lgkmcnt(0)
	v_mul_f64 v[177:178], v[6:7], v[16:17]
	v_mul_f64 v[16:17], v[8:9], v[16:17]
	v_add_f64 v[44:45], v[44:45], 0
	v_add_f64 v[48:49], v[48:49], 0
	v_fma_f64 v[156:157], v[4:5], v[10:11], v[156:157]
	v_fma_f64 v[179:180], v[2:3], v[10:11], -v[12:13]
	ds_load_b128 v[2:5], v1 offset:1312
	scratch_load_b128 v[10:13], off, off offset:544
	v_add_f64 v[44:45], v[44:45], v[175:176]
	v_add_f64 v[46:47], v[48:49], v[46:47]
	v_fma_f64 v[175:176], v[8:9], v[14:15], v[177:178]
	v_fma_f64 v[177:178], v[6:7], v[14:15], -v[16:17]
	scratch_load_b128 v[14:17], off, off offset:560
	ds_load_b128 v[6:9], v1 offset:1328
	s_waitcnt vmcnt(9) lgkmcnt(1)
	v_mul_f64 v[48:49], v[2:3], v[20:21]
	v_mul_f64 v[20:21], v[4:5], v[20:21]
	v_add_f64 v[44:45], v[44:45], v[179:180]
	v_add_f64 v[46:47], v[46:47], v[156:157]
	s_waitcnt vmcnt(8) lgkmcnt(0)
	v_mul_f64 v[156:157], v[6:7], v[24:25]
	v_mul_f64 v[24:25], v[8:9], v[24:25]
	v_fma_f64 v[48:49], v[4:5], v[18:19], v[48:49]
	v_fma_f64 v[179:180], v[2:3], v[18:19], -v[20:21]
	ds_load_b128 v[2:5], v1 offset:1344
	scratch_load_b128 v[18:21], off, off offset:576
	v_add_f64 v[44:45], v[44:45], v[177:178]
	v_add_f64 v[46:47], v[46:47], v[175:176]
	v_fma_f64 v[156:157], v[8:9], v[22:23], v[156:157]
	v_fma_f64 v[177:178], v[6:7], v[22:23], -v[24:25]
	scratch_load_b128 v[22:25], off, off offset:592
	ds_load_b128 v[6:9], v1 offset:1360
	s_waitcnt vmcnt(9) lgkmcnt(1)
	v_mul_f64 v[175:176], v[2:3], v[28:29]
	v_mul_f64 v[28:29], v[4:5], v[28:29]
	v_add_f64 v[44:45], v[44:45], v[179:180]
	v_add_f64 v[46:47], v[46:47], v[48:49]
	s_waitcnt vmcnt(8) lgkmcnt(0)
	v_mul_f64 v[48:49], v[6:7], v[32:33]
	v_mul_f64 v[32:33], v[8:9], v[32:33]
	;; [unrolled: 18-line block ×7, first 2 shown]
	v_fma_f64 v[48:49], v[4:5], v[26:27], v[48:49]
	v_fma_f64 v[179:180], v[2:3], v[26:27], -v[28:29]
	ds_load_b128 v[2:5], v1 offset:1536
	scratch_load_b128 v[26:29], off, off offset:768
	v_add_f64 v[44:45], v[44:45], v[177:178]
	v_add_f64 v[46:47], v[46:47], v[175:176]
	v_fma_f64 v[156:157], v[8:9], v[30:31], v[156:157]
	v_fma_f64 v[177:178], v[6:7], v[30:31], -v[32:33]
	ds_load_b128 v[6:9], v1 offset:1552
	s_waitcnt vmcnt(8) lgkmcnt(1)
	v_mul_f64 v[175:176], v[2:3], v[36:37]
	v_mul_f64 v[36:37], v[4:5], v[36:37]
	scratch_load_b128 v[30:33], off, off offset:784
	v_add_f64 v[44:45], v[44:45], v[179:180]
	v_add_f64 v[46:47], v[46:47], v[48:49]
	s_waitcnt vmcnt(8) lgkmcnt(0)
	v_mul_f64 v[48:49], v[6:7], v[173:174]
	v_mul_f64 v[173:174], v[8:9], v[173:174]
	v_fma_f64 v[175:176], v[4:5], v[34:35], v[175:176]
	v_fma_f64 v[179:180], v[2:3], v[34:35], -v[36:37]
	ds_load_b128 v[2:5], v1 offset:1568
	scratch_load_b128 v[34:37], off, off offset:800
	v_add_f64 v[44:45], v[44:45], v[177:178]
	v_add_f64 v[46:47], v[46:47], v[156:157]
	v_fma_f64 v[48:49], v[8:9], v[171:172], v[48:49]
	v_fma_f64 v[177:178], v[6:7], v[171:172], -v[173:174]
	ds_load_b128 v[6:9], v1 offset:1584
	s_waitcnt vmcnt(8) lgkmcnt(1)
	v_mul_f64 v[156:157], v[2:3], v[40:41]
	v_mul_f64 v[40:41], v[4:5], v[40:41]
	scratch_load_b128 v[171:174], off, off offset:816
	v_add_f64 v[44:45], v[44:45], v[179:180]
	v_add_f64 v[46:47], v[46:47], v[175:176]
	s_waitcnt vmcnt(8) lgkmcnt(0)
	v_mul_f64 v[175:176], v[6:7], v[169:170]
	v_mul_f64 v[169:170], v[8:9], v[169:170]
	v_fma_f64 v[156:157], v[4:5], v[38:39], v[156:157]
	v_fma_f64 v[179:180], v[2:3], v[38:39], -v[40:41]
	scratch_load_b128 v[38:41], off, off offset:832
	ds_load_b128 v[2:5], v1 offset:1600
	v_add_f64 v[44:45], v[44:45], v[177:178]
	v_add_f64 v[46:47], v[46:47], v[48:49]
	v_fma_f64 v[175:176], v[8:9], v[167:168], v[175:176]
	v_fma_f64 v[177:178], v[6:7], v[167:168], -v[169:170]
	ds_load_b128 v[6:9], v1 offset:1616
	s_waitcnt vmcnt(8) lgkmcnt(1)
	v_mul_f64 v[48:49], v[2:3], v[12:13]
	v_mul_f64 v[12:13], v[4:5], v[12:13]
	scratch_load_b128 v[167:170], off, off offset:848
	v_add_f64 v[44:45], v[44:45], v[179:180]
	v_add_f64 v[46:47], v[46:47], v[156:157]
	s_waitcnt vmcnt(8) lgkmcnt(0)
	v_mul_f64 v[156:157], v[6:7], v[16:17]
	v_mul_f64 v[16:17], v[8:9], v[16:17]
	v_fma_f64 v[48:49], v[4:5], v[10:11], v[48:49]
	v_fma_f64 v[179:180], v[2:3], v[10:11], -v[12:13]
	scratch_load_b128 v[10:13], off, off offset:864
	ds_load_b128 v[2:5], v1 offset:1632
	v_add_f64 v[44:45], v[44:45], v[177:178]
	v_add_f64 v[46:47], v[46:47], v[175:176]
	v_fma_f64 v[156:157], v[8:9], v[14:15], v[156:157]
	v_fma_f64 v[177:178], v[6:7], v[14:15], -v[16:17]
	ds_load_b128 v[6:9], v1 offset:1648
	s_waitcnt vmcnt(8) lgkmcnt(1)
	v_mul_f64 v[175:176], v[2:3], v[20:21]
	v_mul_f64 v[20:21], v[4:5], v[20:21]
	scratch_load_b128 v[14:17], off, off offset:880
	v_add_f64 v[44:45], v[44:45], v[179:180]
	v_add_f64 v[46:47], v[46:47], v[48:49]
	s_waitcnt vmcnt(8) lgkmcnt(0)
	v_mul_f64 v[48:49], v[6:7], v[24:25]
	v_mul_f64 v[24:25], v[8:9], v[24:25]
	v_fma_f64 v[175:176], v[4:5], v[18:19], v[175:176]
	v_fma_f64 v[18:19], v[2:3], v[18:19], -v[20:21]
	ds_load_b128 v[2:5], v1 offset:1664
	v_add_f64 v[20:21], v[44:45], v[177:178]
	v_add_f64 v[44:45], v[46:47], v[156:157]
	v_fma_f64 v[48:49], v[8:9], v[22:23], v[48:49]
	v_fma_f64 v[22:23], v[6:7], v[22:23], -v[24:25]
	ds_load_b128 v[6:9], v1 offset:1680
	s_waitcnt vmcnt(7) lgkmcnt(1)
	v_mul_f64 v[46:47], v[2:3], v[28:29]
	v_mul_f64 v[28:29], v[4:5], v[28:29]
	v_add_f64 v[18:19], v[20:21], v[18:19]
	v_add_f64 v[20:21], v[44:45], v[175:176]
	s_delay_alu instid0(VALU_DEP_4) | instskip(NEXT) | instid1(VALU_DEP_4)
	v_fma_f64 v[44:45], v[4:5], v[26:27], v[46:47]
	v_fma_f64 v[26:27], v[2:3], v[26:27], -v[28:29]
	ds_load_b128 v[2:5], v1 offset:1696
	v_add_f64 v[22:23], v[18:19], v[22:23]
	v_add_f64 v[28:29], v[20:21], v[48:49]
	scratch_load_b128 v[18:21], off, off offset:336
	s_waitcnt vmcnt(7) lgkmcnt(1)
	v_mul_f64 v[24:25], v[6:7], v[32:33]
	v_mul_f64 v[32:33], v[8:9], v[32:33]
	v_add_f64 v[22:23], v[22:23], v[26:27]
	v_add_f64 v[26:27], v[28:29], v[44:45]
	s_delay_alu instid0(VALU_DEP_4) | instskip(NEXT) | instid1(VALU_DEP_4)
	v_fma_f64 v[24:25], v[8:9], v[30:31], v[24:25]
	v_fma_f64 v[30:31], v[6:7], v[30:31], -v[32:33]
	ds_load_b128 v[6:9], v1 offset:1712
	s_waitcnt vmcnt(6) lgkmcnt(1)
	v_mul_f64 v[46:47], v[2:3], v[36:37]
	v_mul_f64 v[36:37], v[4:5], v[36:37]
	s_waitcnt vmcnt(5) lgkmcnt(0)
	v_mul_f64 v[28:29], v[6:7], v[173:174]
	v_mul_f64 v[32:33], v[8:9], v[173:174]
	v_add_f64 v[24:25], v[26:27], v[24:25]
	v_add_f64 v[22:23], v[22:23], v[30:31]
	v_fma_f64 v[44:45], v[4:5], v[34:35], v[46:47]
	v_fma_f64 v[34:35], v[2:3], v[34:35], -v[36:37]
	ds_load_b128 v[2:5], v1 offset:1728
	v_fma_f64 v[28:29], v[8:9], v[171:172], v[28:29]
	v_fma_f64 v[32:33], v[6:7], v[171:172], -v[32:33]
	ds_load_b128 v[6:9], v1 offset:1744
	s_waitcnt vmcnt(4) lgkmcnt(1)
	v_mul_f64 v[26:27], v[2:3], v[40:41]
	v_mul_f64 v[30:31], v[4:5], v[40:41]
	v_add_f64 v[24:25], v[24:25], v[44:45]
	v_add_f64 v[22:23], v[22:23], v[34:35]
	s_waitcnt vmcnt(3) lgkmcnt(0)
	v_mul_f64 v[34:35], v[6:7], v[169:170]
	v_mul_f64 v[36:37], v[8:9], v[169:170]
	v_fma_f64 v[26:27], v[4:5], v[38:39], v[26:27]
	v_fma_f64 v[30:31], v[2:3], v[38:39], -v[30:31]
	ds_load_b128 v[2:5], v1 offset:1760
	v_add_f64 v[24:25], v[24:25], v[28:29]
	v_add_f64 v[22:23], v[22:23], v[32:33]
	v_fma_f64 v[32:33], v[8:9], v[167:168], v[34:35]
	v_fma_f64 v[34:35], v[6:7], v[167:168], -v[36:37]
	ds_load_b128 v[6:9], v1 offset:1776
	s_waitcnt vmcnt(2) lgkmcnt(1)
	v_mul_f64 v[28:29], v[2:3], v[12:13]
	v_mul_f64 v[12:13], v[4:5], v[12:13]
	v_add_f64 v[24:25], v[24:25], v[26:27]
	v_add_f64 v[22:23], v[22:23], v[30:31]
	s_waitcnt vmcnt(1) lgkmcnt(0)
	v_mul_f64 v[26:27], v[6:7], v[16:17]
	v_mul_f64 v[16:17], v[8:9], v[16:17]
	v_fma_f64 v[4:5], v[4:5], v[10:11], v[28:29]
	v_fma_f64 v[1:2], v[2:3], v[10:11], -v[12:13]
	v_add_f64 v[12:13], v[24:25], v[32:33]
	v_add_f64 v[10:11], v[22:23], v[34:35]
	v_fma_f64 v[8:9], v[8:9], v[14:15], v[26:27]
	v_fma_f64 v[6:7], v[6:7], v[14:15], -v[16:17]
	s_delay_alu instid0(VALU_DEP_4) | instskip(NEXT) | instid1(VALU_DEP_4)
	v_add_f64 v[3:4], v[12:13], v[4:5]
	v_add_f64 v[1:2], v[10:11], v[1:2]
	s_delay_alu instid0(VALU_DEP_2) | instskip(NEXT) | instid1(VALU_DEP_2)
	v_add_f64 v[3:4], v[3:4], v[8:9]
	v_add_f64 v[1:2], v[1:2], v[6:7]
	s_waitcnt vmcnt(0)
	s_delay_alu instid0(VALU_DEP_2) | instskip(NEXT) | instid1(VALU_DEP_2)
	v_add_f64 v[3:4], v[20:21], -v[3:4]
	v_add_f64 v[1:2], v[18:19], -v[1:2]
	scratch_store_b128 off, v[1:4], off offset:336
	v_cmpx_lt_u32_e32 20, v154
	s_cbranch_execz .LBB55_309
; %bb.308:
	scratch_load_b128 v[1:4], v190, off
	v_mov_b32_e32 v5, 0
	s_delay_alu instid0(VALU_DEP_1)
	v_mov_b32_e32 v6, v5
	v_mov_b32_e32 v7, v5
	;; [unrolled: 1-line block ×3, first 2 shown]
	scratch_store_b128 off, v[5:8], off offset:320
	s_waitcnt vmcnt(0)
	ds_store_b128 v210, v[1:4]
.LBB55_309:
	s_or_b32 exec_lo, exec_lo, s2
	s_waitcnt lgkmcnt(0)
	s_waitcnt_vscnt null, 0x0
	s_barrier
	buffer_gl0_inv
	s_clause 0x7
	scratch_load_b128 v[2:5], off, off offset:336
	scratch_load_b128 v[6:9], off, off offset:352
	;; [unrolled: 1-line block ×8, first 2 shown]
	v_mov_b32_e32 v1, 0
	s_clause 0x1
	scratch_load_b128 v[34:37], off, off offset:464
	scratch_load_b128 v[171:174], off, off offset:480
	s_mov_b32 s2, exec_lo
	ds_load_b128 v[38:41], v1 offset:1232
	ds_load_b128 v[167:170], v1 offset:1248
	s_waitcnt vmcnt(9) lgkmcnt(1)
	v_mul_f64 v[44:45], v[40:41], v[4:5]
	v_mul_f64 v[4:5], v[38:39], v[4:5]
	s_waitcnt vmcnt(8) lgkmcnt(0)
	v_mul_f64 v[46:47], v[167:168], v[8:9]
	v_mul_f64 v[8:9], v[169:170], v[8:9]
	s_delay_alu instid0(VALU_DEP_4) | instskip(NEXT) | instid1(VALU_DEP_4)
	v_fma_f64 v[44:45], v[38:39], v[2:3], -v[44:45]
	v_fma_f64 v[48:49], v[40:41], v[2:3], v[4:5]
	ds_load_b128 v[2:5], v1 offset:1264
	scratch_load_b128 v[38:41], off, off offset:496
	v_fma_f64 v[46:47], v[169:170], v[6:7], v[46:47]
	v_fma_f64 v[175:176], v[167:168], v[6:7], -v[8:9]
	scratch_load_b128 v[167:170], off, off offset:512
	ds_load_b128 v[6:9], v1 offset:1280
	s_waitcnt vmcnt(9) lgkmcnt(1)
	v_mul_f64 v[156:157], v[2:3], v[12:13]
	v_mul_f64 v[12:13], v[4:5], v[12:13]
	s_waitcnt vmcnt(8) lgkmcnt(0)
	v_mul_f64 v[177:178], v[6:7], v[16:17]
	v_mul_f64 v[16:17], v[8:9], v[16:17]
	v_add_f64 v[44:45], v[44:45], 0
	v_add_f64 v[48:49], v[48:49], 0
	v_fma_f64 v[156:157], v[4:5], v[10:11], v[156:157]
	v_fma_f64 v[179:180], v[2:3], v[10:11], -v[12:13]
	ds_load_b128 v[2:5], v1 offset:1296
	scratch_load_b128 v[10:13], off, off offset:528
	v_add_f64 v[44:45], v[44:45], v[175:176]
	v_add_f64 v[46:47], v[48:49], v[46:47]
	v_fma_f64 v[175:176], v[8:9], v[14:15], v[177:178]
	v_fma_f64 v[177:178], v[6:7], v[14:15], -v[16:17]
	scratch_load_b128 v[14:17], off, off offset:544
	ds_load_b128 v[6:9], v1 offset:1312
	s_waitcnt vmcnt(9) lgkmcnt(1)
	v_mul_f64 v[48:49], v[2:3], v[20:21]
	v_mul_f64 v[20:21], v[4:5], v[20:21]
	v_add_f64 v[44:45], v[44:45], v[179:180]
	v_add_f64 v[46:47], v[46:47], v[156:157]
	s_waitcnt vmcnt(8) lgkmcnt(0)
	v_mul_f64 v[156:157], v[6:7], v[24:25]
	v_mul_f64 v[24:25], v[8:9], v[24:25]
	v_fma_f64 v[48:49], v[4:5], v[18:19], v[48:49]
	v_fma_f64 v[179:180], v[2:3], v[18:19], -v[20:21]
	ds_load_b128 v[2:5], v1 offset:1328
	scratch_load_b128 v[18:21], off, off offset:560
	v_add_f64 v[44:45], v[44:45], v[177:178]
	v_add_f64 v[46:47], v[46:47], v[175:176]
	v_fma_f64 v[156:157], v[8:9], v[22:23], v[156:157]
	v_fma_f64 v[177:178], v[6:7], v[22:23], -v[24:25]
	scratch_load_b128 v[22:25], off, off offset:576
	ds_load_b128 v[6:9], v1 offset:1344
	s_waitcnt vmcnt(9) lgkmcnt(1)
	v_mul_f64 v[175:176], v[2:3], v[28:29]
	v_mul_f64 v[28:29], v[4:5], v[28:29]
	v_add_f64 v[44:45], v[44:45], v[179:180]
	v_add_f64 v[46:47], v[46:47], v[48:49]
	s_waitcnt vmcnt(8) lgkmcnt(0)
	v_mul_f64 v[48:49], v[6:7], v[32:33]
	v_mul_f64 v[32:33], v[8:9], v[32:33]
	;; [unrolled: 18-line block ×8, first 2 shown]
	v_fma_f64 v[175:176], v[4:5], v[34:35], v[175:176]
	v_fma_f64 v[179:180], v[2:3], v[34:35], -v[36:37]
	ds_load_b128 v[2:5], v1 offset:1552
	scratch_load_b128 v[34:37], off, off offset:784
	v_add_f64 v[44:45], v[44:45], v[177:178]
	v_add_f64 v[46:47], v[46:47], v[156:157]
	v_fma_f64 v[48:49], v[8:9], v[171:172], v[48:49]
	v_fma_f64 v[177:178], v[6:7], v[171:172], -v[173:174]
	ds_load_b128 v[6:9], v1 offset:1568
	s_waitcnt vmcnt(8) lgkmcnt(1)
	v_mul_f64 v[156:157], v[2:3], v[40:41]
	v_mul_f64 v[40:41], v[4:5], v[40:41]
	scratch_load_b128 v[171:174], off, off offset:800
	v_add_f64 v[44:45], v[44:45], v[179:180]
	v_add_f64 v[46:47], v[46:47], v[175:176]
	s_waitcnt vmcnt(8) lgkmcnt(0)
	v_mul_f64 v[175:176], v[6:7], v[169:170]
	v_mul_f64 v[169:170], v[8:9], v[169:170]
	v_fma_f64 v[156:157], v[4:5], v[38:39], v[156:157]
	v_fma_f64 v[179:180], v[2:3], v[38:39], -v[40:41]
	scratch_load_b128 v[38:41], off, off offset:816
	ds_load_b128 v[2:5], v1 offset:1584
	v_add_f64 v[44:45], v[44:45], v[177:178]
	v_add_f64 v[46:47], v[46:47], v[48:49]
	v_fma_f64 v[175:176], v[8:9], v[167:168], v[175:176]
	v_fma_f64 v[177:178], v[6:7], v[167:168], -v[169:170]
	ds_load_b128 v[6:9], v1 offset:1600
	s_waitcnt vmcnt(8) lgkmcnt(1)
	v_mul_f64 v[48:49], v[2:3], v[12:13]
	v_mul_f64 v[12:13], v[4:5], v[12:13]
	scratch_load_b128 v[167:170], off, off offset:832
	v_add_f64 v[44:45], v[44:45], v[179:180]
	v_add_f64 v[46:47], v[46:47], v[156:157]
	s_waitcnt vmcnt(8) lgkmcnt(0)
	v_mul_f64 v[156:157], v[6:7], v[16:17]
	v_mul_f64 v[16:17], v[8:9], v[16:17]
	v_fma_f64 v[48:49], v[4:5], v[10:11], v[48:49]
	v_fma_f64 v[179:180], v[2:3], v[10:11], -v[12:13]
	scratch_load_b128 v[10:13], off, off offset:848
	ds_load_b128 v[2:5], v1 offset:1616
	;; [unrolled: 18-line block ×3, first 2 shown]
	v_add_f64 v[44:45], v[44:45], v[177:178]
	v_add_f64 v[46:47], v[46:47], v[156:157]
	v_fma_f64 v[48:49], v[8:9], v[22:23], v[48:49]
	v_fma_f64 v[22:23], v[6:7], v[22:23], -v[24:25]
	ds_load_b128 v[6:9], v1 offset:1664
	s_waitcnt vmcnt(8) lgkmcnt(1)
	v_mul_f64 v[156:157], v[2:3], v[28:29]
	v_mul_f64 v[28:29], v[4:5], v[28:29]
	v_add_f64 v[24:25], v[44:45], v[179:180]
	v_add_f64 v[44:45], v[46:47], v[175:176]
	s_waitcnt vmcnt(7) lgkmcnt(0)
	v_mul_f64 v[46:47], v[6:7], v[32:33]
	v_mul_f64 v[32:33], v[8:9], v[32:33]
	v_fma_f64 v[156:157], v[4:5], v[26:27], v[156:157]
	v_fma_f64 v[26:27], v[2:3], v[26:27], -v[28:29]
	ds_load_b128 v[2:5], v1 offset:1680
	v_add_f64 v[22:23], v[24:25], v[22:23]
	v_add_f64 v[24:25], v[44:45], v[48:49]
	v_fma_f64 v[44:45], v[8:9], v[30:31], v[46:47]
	v_fma_f64 v[30:31], v[6:7], v[30:31], -v[32:33]
	ds_load_b128 v[6:9], v1 offset:1696
	s_waitcnt vmcnt(5) lgkmcnt(0)
	v_mul_f64 v[46:47], v[6:7], v[173:174]
	v_mul_f64 v[48:49], v[8:9], v[173:174]
	v_add_f64 v[26:27], v[22:23], v[26:27]
	v_add_f64 v[32:33], v[24:25], v[156:157]
	scratch_load_b128 v[22:25], off, off offset:320
	v_mul_f64 v[28:29], v[2:3], v[36:37]
	v_mul_f64 v[36:37], v[4:5], v[36:37]
	v_add_f64 v[26:27], v[26:27], v[30:31]
	v_add_f64 v[30:31], v[32:33], v[44:45]
	v_fma_f64 v[44:45], v[6:7], v[171:172], -v[48:49]
	v_fma_f64 v[28:29], v[4:5], v[34:35], v[28:29]
	v_fma_f64 v[34:35], v[2:3], v[34:35], -v[36:37]
	ds_load_b128 v[2:5], v1 offset:1712
	s_waitcnt vmcnt(5) lgkmcnt(0)
	v_mul_f64 v[32:33], v[2:3], v[40:41]
	v_mul_f64 v[36:37], v[4:5], v[40:41]
	v_fma_f64 v[40:41], v[8:9], v[171:172], v[46:47]
	ds_load_b128 v[6:9], v1 offset:1728
	v_add_f64 v[28:29], v[30:31], v[28:29]
	v_add_f64 v[26:27], v[26:27], v[34:35]
	v_fma_f64 v[32:33], v[4:5], v[38:39], v[32:33]
	v_fma_f64 v[36:37], v[2:3], v[38:39], -v[36:37]
	ds_load_b128 v[2:5], v1 offset:1744
	s_waitcnt vmcnt(4) lgkmcnt(1)
	v_mul_f64 v[30:31], v[6:7], v[169:170]
	v_mul_f64 v[34:35], v[8:9], v[169:170]
	v_add_f64 v[28:29], v[28:29], v[40:41]
	v_add_f64 v[26:27], v[26:27], v[44:45]
	s_waitcnt vmcnt(3) lgkmcnt(0)
	v_mul_f64 v[38:39], v[2:3], v[12:13]
	v_mul_f64 v[12:13], v[4:5], v[12:13]
	v_fma_f64 v[30:31], v[8:9], v[167:168], v[30:31]
	v_fma_f64 v[34:35], v[6:7], v[167:168], -v[34:35]
	ds_load_b128 v[6:9], v1 offset:1760
	v_add_f64 v[28:29], v[28:29], v[32:33]
	v_add_f64 v[26:27], v[26:27], v[36:37]
	v_fma_f64 v[36:37], v[4:5], v[10:11], v[38:39]
	v_fma_f64 v[10:11], v[2:3], v[10:11], -v[12:13]
	ds_load_b128 v[2:5], v1 offset:1776
	s_waitcnt vmcnt(2) lgkmcnt(1)
	v_mul_f64 v[32:33], v[6:7], v[16:17]
	v_mul_f64 v[16:17], v[8:9], v[16:17]
	v_add_f64 v[12:13], v[26:27], v[34:35]
	v_add_f64 v[26:27], v[28:29], v[30:31]
	s_waitcnt vmcnt(1) lgkmcnt(0)
	v_mul_f64 v[28:29], v[2:3], v[20:21]
	v_mul_f64 v[20:21], v[4:5], v[20:21]
	v_fma_f64 v[8:9], v[8:9], v[14:15], v[32:33]
	v_fma_f64 v[6:7], v[6:7], v[14:15], -v[16:17]
	v_add_f64 v[10:11], v[12:13], v[10:11]
	v_add_f64 v[12:13], v[26:27], v[36:37]
	v_fma_f64 v[4:5], v[4:5], v[18:19], v[28:29]
	v_fma_f64 v[2:3], v[2:3], v[18:19], -v[20:21]
	s_delay_alu instid0(VALU_DEP_4) | instskip(NEXT) | instid1(VALU_DEP_4)
	v_add_f64 v[6:7], v[10:11], v[6:7]
	v_add_f64 v[8:9], v[12:13], v[8:9]
	s_delay_alu instid0(VALU_DEP_2) | instskip(NEXT) | instid1(VALU_DEP_2)
	v_add_f64 v[2:3], v[6:7], v[2:3]
	v_add_f64 v[4:5], v[8:9], v[4:5]
	s_waitcnt vmcnt(0)
	s_delay_alu instid0(VALU_DEP_2) | instskip(NEXT) | instid1(VALU_DEP_2)
	v_add_f64 v[2:3], v[22:23], -v[2:3]
	v_add_f64 v[4:5], v[24:25], -v[4:5]
	scratch_store_b128 off, v[2:5], off offset:320
	v_cmpx_lt_u32_e32 19, v154
	s_cbranch_execz .LBB55_311
; %bb.310:
	scratch_load_b128 v[5:8], v191, off
	v_mov_b32_e32 v2, v1
	v_mov_b32_e32 v3, v1
	;; [unrolled: 1-line block ×3, first 2 shown]
	scratch_store_b128 off, v[1:4], off offset:304
	s_waitcnt vmcnt(0)
	ds_store_b128 v210, v[5:8]
.LBB55_311:
	s_or_b32 exec_lo, exec_lo, s2
	s_waitcnt lgkmcnt(0)
	s_waitcnt_vscnt null, 0x0
	s_barrier
	buffer_gl0_inv
	s_clause 0x7
	scratch_load_b128 v[2:5], off, off offset:320
	scratch_load_b128 v[6:9], off, off offset:336
	;; [unrolled: 1-line block ×8, first 2 shown]
	ds_load_b128 v[38:41], v1 offset:1216
	ds_load_b128 v[167:170], v1 offset:1232
	s_clause 0x1
	scratch_load_b128 v[34:37], off, off offset:448
	scratch_load_b128 v[171:174], off, off offset:464
	s_mov_b32 s2, exec_lo
	s_waitcnt vmcnt(9) lgkmcnt(1)
	v_mul_f64 v[44:45], v[40:41], v[4:5]
	v_mul_f64 v[4:5], v[38:39], v[4:5]
	s_waitcnt vmcnt(8) lgkmcnt(0)
	v_mul_f64 v[46:47], v[167:168], v[8:9]
	v_mul_f64 v[8:9], v[169:170], v[8:9]
	s_delay_alu instid0(VALU_DEP_4) | instskip(NEXT) | instid1(VALU_DEP_4)
	v_fma_f64 v[44:45], v[38:39], v[2:3], -v[44:45]
	v_fma_f64 v[48:49], v[40:41], v[2:3], v[4:5]
	ds_load_b128 v[2:5], v1 offset:1248
	scratch_load_b128 v[38:41], off, off offset:480
	v_fma_f64 v[46:47], v[169:170], v[6:7], v[46:47]
	v_fma_f64 v[175:176], v[167:168], v[6:7], -v[8:9]
	scratch_load_b128 v[167:170], off, off offset:496
	ds_load_b128 v[6:9], v1 offset:1264
	s_waitcnt vmcnt(9) lgkmcnt(1)
	v_mul_f64 v[156:157], v[2:3], v[12:13]
	v_mul_f64 v[12:13], v[4:5], v[12:13]
	s_waitcnt vmcnt(8) lgkmcnt(0)
	v_mul_f64 v[177:178], v[6:7], v[16:17]
	v_mul_f64 v[16:17], v[8:9], v[16:17]
	v_add_f64 v[44:45], v[44:45], 0
	v_add_f64 v[48:49], v[48:49], 0
	v_fma_f64 v[156:157], v[4:5], v[10:11], v[156:157]
	v_fma_f64 v[179:180], v[2:3], v[10:11], -v[12:13]
	ds_load_b128 v[2:5], v1 offset:1280
	scratch_load_b128 v[10:13], off, off offset:512
	v_add_f64 v[44:45], v[44:45], v[175:176]
	v_add_f64 v[46:47], v[48:49], v[46:47]
	v_fma_f64 v[175:176], v[8:9], v[14:15], v[177:178]
	v_fma_f64 v[177:178], v[6:7], v[14:15], -v[16:17]
	scratch_load_b128 v[14:17], off, off offset:528
	ds_load_b128 v[6:9], v1 offset:1296
	s_waitcnt vmcnt(9) lgkmcnt(1)
	v_mul_f64 v[48:49], v[2:3], v[20:21]
	v_mul_f64 v[20:21], v[4:5], v[20:21]
	v_add_f64 v[44:45], v[44:45], v[179:180]
	v_add_f64 v[46:47], v[46:47], v[156:157]
	s_waitcnt vmcnt(8) lgkmcnt(0)
	v_mul_f64 v[156:157], v[6:7], v[24:25]
	v_mul_f64 v[24:25], v[8:9], v[24:25]
	v_fma_f64 v[48:49], v[4:5], v[18:19], v[48:49]
	v_fma_f64 v[179:180], v[2:3], v[18:19], -v[20:21]
	ds_load_b128 v[2:5], v1 offset:1312
	scratch_load_b128 v[18:21], off, off offset:544
	v_add_f64 v[44:45], v[44:45], v[177:178]
	v_add_f64 v[46:47], v[46:47], v[175:176]
	v_fma_f64 v[156:157], v[8:9], v[22:23], v[156:157]
	v_fma_f64 v[177:178], v[6:7], v[22:23], -v[24:25]
	scratch_load_b128 v[22:25], off, off offset:560
	ds_load_b128 v[6:9], v1 offset:1328
	s_waitcnt vmcnt(9) lgkmcnt(1)
	v_mul_f64 v[175:176], v[2:3], v[28:29]
	v_mul_f64 v[28:29], v[4:5], v[28:29]
	v_add_f64 v[44:45], v[44:45], v[179:180]
	v_add_f64 v[46:47], v[46:47], v[48:49]
	s_waitcnt vmcnt(8) lgkmcnt(0)
	v_mul_f64 v[48:49], v[6:7], v[32:33]
	v_mul_f64 v[32:33], v[8:9], v[32:33]
	v_fma_f64 v[175:176], v[4:5], v[26:27], v[175:176]
	v_fma_f64 v[179:180], v[2:3], v[26:27], -v[28:29]
	ds_load_b128 v[2:5], v1 offset:1344
	scratch_load_b128 v[26:29], off, off offset:576
	v_add_f64 v[44:45], v[44:45], v[177:178]
	v_add_f64 v[46:47], v[46:47], v[156:157]
	v_fma_f64 v[48:49], v[8:9], v[30:31], v[48:49]
	v_fma_f64 v[177:178], v[6:7], v[30:31], -v[32:33]
	scratch_load_b128 v[30:33], off, off offset:592
	ds_load_b128 v[6:9], v1 offset:1360
	s_waitcnt vmcnt(9) lgkmcnt(1)
	v_mul_f64 v[156:157], v[2:3], v[36:37]
	v_mul_f64 v[36:37], v[4:5], v[36:37]
	v_add_f64 v[44:45], v[44:45], v[179:180]
	v_add_f64 v[46:47], v[46:47], v[175:176]
	s_waitcnt vmcnt(8) lgkmcnt(0)
	v_mul_f64 v[175:176], v[6:7], v[173:174]
	v_mul_f64 v[173:174], v[8:9], v[173:174]
	v_fma_f64 v[156:157], v[4:5], v[34:35], v[156:157]
	v_fma_f64 v[179:180], v[2:3], v[34:35], -v[36:37]
	ds_load_b128 v[2:5], v1 offset:1376
	scratch_load_b128 v[34:37], off, off offset:608
	v_add_f64 v[44:45], v[44:45], v[177:178]
	v_add_f64 v[46:47], v[46:47], v[48:49]
	v_fma_f64 v[175:176], v[8:9], v[171:172], v[175:176]
	v_fma_f64 v[177:178], v[6:7], v[171:172], -v[173:174]
	scratch_load_b128 v[171:174], off, off offset:624
	ds_load_b128 v[6:9], v1 offset:1392
	s_waitcnt vmcnt(9) lgkmcnt(1)
	v_mul_f64 v[48:49], v[2:3], v[40:41]
	v_mul_f64 v[40:41], v[4:5], v[40:41]
	v_add_f64 v[44:45], v[44:45], v[179:180]
	v_add_f64 v[46:47], v[46:47], v[156:157]
	s_waitcnt vmcnt(8) lgkmcnt(0)
	v_mul_f64 v[156:157], v[6:7], v[169:170]
	v_mul_f64 v[169:170], v[8:9], v[169:170]
	v_fma_f64 v[48:49], v[4:5], v[38:39], v[48:49]
	v_fma_f64 v[179:180], v[2:3], v[38:39], -v[40:41]
	ds_load_b128 v[2:5], v1 offset:1408
	scratch_load_b128 v[38:41], off, off offset:640
	v_add_f64 v[44:45], v[44:45], v[177:178]
	v_add_f64 v[46:47], v[46:47], v[175:176]
	v_fma_f64 v[156:157], v[8:9], v[167:168], v[156:157]
	v_fma_f64 v[177:178], v[6:7], v[167:168], -v[169:170]
	scratch_load_b128 v[167:170], off, off offset:656
	ds_load_b128 v[6:9], v1 offset:1424
	s_waitcnt vmcnt(9) lgkmcnt(1)
	v_mul_f64 v[175:176], v[2:3], v[12:13]
	v_mul_f64 v[12:13], v[4:5], v[12:13]
	v_add_f64 v[44:45], v[44:45], v[179:180]
	v_add_f64 v[46:47], v[46:47], v[48:49]
	s_waitcnt vmcnt(8) lgkmcnt(0)
	v_mul_f64 v[48:49], v[6:7], v[16:17]
	v_mul_f64 v[16:17], v[8:9], v[16:17]
	v_fma_f64 v[175:176], v[4:5], v[10:11], v[175:176]
	v_fma_f64 v[179:180], v[2:3], v[10:11], -v[12:13]
	ds_load_b128 v[2:5], v1 offset:1440
	scratch_load_b128 v[10:13], off, off offset:672
	v_add_f64 v[44:45], v[44:45], v[177:178]
	v_add_f64 v[46:47], v[46:47], v[156:157]
	v_fma_f64 v[48:49], v[8:9], v[14:15], v[48:49]
	v_fma_f64 v[177:178], v[6:7], v[14:15], -v[16:17]
	scratch_load_b128 v[14:17], off, off offset:688
	ds_load_b128 v[6:9], v1 offset:1456
	s_waitcnt vmcnt(9) lgkmcnt(1)
	v_mul_f64 v[156:157], v[2:3], v[20:21]
	v_mul_f64 v[20:21], v[4:5], v[20:21]
	v_add_f64 v[44:45], v[44:45], v[179:180]
	v_add_f64 v[46:47], v[46:47], v[175:176]
	s_waitcnt vmcnt(8) lgkmcnt(0)
	v_mul_f64 v[175:176], v[6:7], v[24:25]
	v_mul_f64 v[24:25], v[8:9], v[24:25]
	v_fma_f64 v[156:157], v[4:5], v[18:19], v[156:157]
	v_fma_f64 v[179:180], v[2:3], v[18:19], -v[20:21]
	ds_load_b128 v[2:5], v1 offset:1472
	scratch_load_b128 v[18:21], off, off offset:704
	v_add_f64 v[44:45], v[44:45], v[177:178]
	v_add_f64 v[46:47], v[46:47], v[48:49]
	v_fma_f64 v[175:176], v[8:9], v[22:23], v[175:176]
	v_fma_f64 v[177:178], v[6:7], v[22:23], -v[24:25]
	scratch_load_b128 v[22:25], off, off offset:720
	ds_load_b128 v[6:9], v1 offset:1488
	s_waitcnt vmcnt(9) lgkmcnt(1)
	v_mul_f64 v[48:49], v[2:3], v[28:29]
	v_mul_f64 v[28:29], v[4:5], v[28:29]
	v_add_f64 v[44:45], v[44:45], v[179:180]
	v_add_f64 v[46:47], v[46:47], v[156:157]
	s_waitcnt vmcnt(8) lgkmcnt(0)
	v_mul_f64 v[156:157], v[6:7], v[32:33]
	v_mul_f64 v[32:33], v[8:9], v[32:33]
	v_fma_f64 v[48:49], v[4:5], v[26:27], v[48:49]
	v_fma_f64 v[179:180], v[2:3], v[26:27], -v[28:29]
	ds_load_b128 v[2:5], v1 offset:1504
	scratch_load_b128 v[26:29], off, off offset:736
	v_add_f64 v[44:45], v[44:45], v[177:178]
	v_add_f64 v[46:47], v[46:47], v[175:176]
	v_fma_f64 v[156:157], v[8:9], v[30:31], v[156:157]
	v_fma_f64 v[177:178], v[6:7], v[30:31], -v[32:33]
	scratch_load_b128 v[30:33], off, off offset:752
	ds_load_b128 v[6:9], v1 offset:1520
	s_waitcnt vmcnt(9) lgkmcnt(1)
	v_mul_f64 v[175:176], v[2:3], v[36:37]
	v_mul_f64 v[36:37], v[4:5], v[36:37]
	v_add_f64 v[44:45], v[44:45], v[179:180]
	v_add_f64 v[46:47], v[46:47], v[48:49]
	s_waitcnt vmcnt(8) lgkmcnt(0)
	v_mul_f64 v[48:49], v[6:7], v[173:174]
	v_mul_f64 v[173:174], v[8:9], v[173:174]
	v_fma_f64 v[175:176], v[4:5], v[34:35], v[175:176]
	v_fma_f64 v[179:180], v[2:3], v[34:35], -v[36:37]
	ds_load_b128 v[2:5], v1 offset:1536
	scratch_load_b128 v[34:37], off, off offset:768
	v_add_f64 v[44:45], v[44:45], v[177:178]
	v_add_f64 v[46:47], v[46:47], v[156:157]
	v_fma_f64 v[48:49], v[8:9], v[171:172], v[48:49]
	v_fma_f64 v[177:178], v[6:7], v[171:172], -v[173:174]
	ds_load_b128 v[6:9], v1 offset:1552
	s_waitcnt vmcnt(8) lgkmcnt(1)
	v_mul_f64 v[156:157], v[2:3], v[40:41]
	v_mul_f64 v[40:41], v[4:5], v[40:41]
	scratch_load_b128 v[171:174], off, off offset:784
	v_add_f64 v[44:45], v[44:45], v[179:180]
	v_add_f64 v[46:47], v[46:47], v[175:176]
	s_waitcnt vmcnt(8) lgkmcnt(0)
	v_mul_f64 v[175:176], v[6:7], v[169:170]
	v_mul_f64 v[169:170], v[8:9], v[169:170]
	v_fma_f64 v[156:157], v[4:5], v[38:39], v[156:157]
	v_fma_f64 v[179:180], v[2:3], v[38:39], -v[40:41]
	ds_load_b128 v[2:5], v1 offset:1568
	scratch_load_b128 v[38:41], off, off offset:800
	v_add_f64 v[44:45], v[44:45], v[177:178]
	v_add_f64 v[46:47], v[46:47], v[48:49]
	v_fma_f64 v[175:176], v[8:9], v[167:168], v[175:176]
	v_fma_f64 v[177:178], v[6:7], v[167:168], -v[169:170]
	ds_load_b128 v[6:9], v1 offset:1584
	s_waitcnt vmcnt(8) lgkmcnt(1)
	v_mul_f64 v[48:49], v[2:3], v[12:13]
	v_mul_f64 v[12:13], v[4:5], v[12:13]
	scratch_load_b128 v[167:170], off, off offset:816
	v_add_f64 v[44:45], v[44:45], v[179:180]
	v_add_f64 v[46:47], v[46:47], v[156:157]
	s_waitcnt vmcnt(8) lgkmcnt(0)
	v_mul_f64 v[156:157], v[6:7], v[16:17]
	v_mul_f64 v[16:17], v[8:9], v[16:17]
	v_fma_f64 v[48:49], v[4:5], v[10:11], v[48:49]
	v_fma_f64 v[179:180], v[2:3], v[10:11], -v[12:13]
	scratch_load_b128 v[10:13], off, off offset:832
	ds_load_b128 v[2:5], v1 offset:1600
	v_add_f64 v[44:45], v[44:45], v[177:178]
	v_add_f64 v[46:47], v[46:47], v[175:176]
	v_fma_f64 v[156:157], v[8:9], v[14:15], v[156:157]
	v_fma_f64 v[177:178], v[6:7], v[14:15], -v[16:17]
	ds_load_b128 v[6:9], v1 offset:1616
	s_waitcnt vmcnt(8) lgkmcnt(1)
	v_mul_f64 v[175:176], v[2:3], v[20:21]
	v_mul_f64 v[20:21], v[4:5], v[20:21]
	scratch_load_b128 v[14:17], off, off offset:848
	v_add_f64 v[44:45], v[44:45], v[179:180]
	v_add_f64 v[46:47], v[46:47], v[48:49]
	s_waitcnt vmcnt(8) lgkmcnt(0)
	v_mul_f64 v[48:49], v[6:7], v[24:25]
	v_mul_f64 v[24:25], v[8:9], v[24:25]
	v_fma_f64 v[175:176], v[4:5], v[18:19], v[175:176]
	v_fma_f64 v[179:180], v[2:3], v[18:19], -v[20:21]
	scratch_load_b128 v[18:21], off, off offset:864
	ds_load_b128 v[2:5], v1 offset:1632
	v_add_f64 v[44:45], v[44:45], v[177:178]
	v_add_f64 v[46:47], v[46:47], v[156:157]
	v_fma_f64 v[48:49], v[8:9], v[22:23], v[48:49]
	v_fma_f64 v[177:178], v[6:7], v[22:23], -v[24:25]
	ds_load_b128 v[6:9], v1 offset:1648
	s_waitcnt vmcnt(8) lgkmcnt(1)
	v_mul_f64 v[156:157], v[2:3], v[28:29]
	v_mul_f64 v[28:29], v[4:5], v[28:29]
	scratch_load_b128 v[22:25], off, off offset:880
	v_add_f64 v[44:45], v[44:45], v[179:180]
	v_add_f64 v[46:47], v[46:47], v[175:176]
	s_waitcnt vmcnt(8) lgkmcnt(0)
	v_mul_f64 v[175:176], v[6:7], v[32:33]
	v_mul_f64 v[32:33], v[8:9], v[32:33]
	v_fma_f64 v[156:157], v[4:5], v[26:27], v[156:157]
	v_fma_f64 v[26:27], v[2:3], v[26:27], -v[28:29]
	ds_load_b128 v[2:5], v1 offset:1664
	v_add_f64 v[28:29], v[44:45], v[177:178]
	v_add_f64 v[44:45], v[46:47], v[48:49]
	v_fma_f64 v[48:49], v[8:9], v[30:31], v[175:176]
	v_fma_f64 v[30:31], v[6:7], v[30:31], -v[32:33]
	ds_load_b128 v[6:9], v1 offset:1680
	s_waitcnt vmcnt(7) lgkmcnt(1)
	v_mul_f64 v[46:47], v[2:3], v[36:37]
	v_mul_f64 v[36:37], v[4:5], v[36:37]
	v_add_f64 v[26:27], v[28:29], v[26:27]
	v_add_f64 v[28:29], v[44:45], v[156:157]
	s_delay_alu instid0(VALU_DEP_4) | instskip(NEXT) | instid1(VALU_DEP_4)
	v_fma_f64 v[46:47], v[4:5], v[34:35], v[46:47]
	v_fma_f64 v[34:35], v[2:3], v[34:35], -v[36:37]
	ds_load_b128 v[2:5], v1 offset:1696
	v_add_f64 v[30:31], v[26:27], v[30:31]
	v_add_f64 v[36:37], v[28:29], v[48:49]
	scratch_load_b128 v[26:29], off, off offset:304
	s_waitcnt vmcnt(7) lgkmcnt(1)
	v_mul_f64 v[32:33], v[6:7], v[173:174]
	v_mul_f64 v[44:45], v[8:9], v[173:174]
	v_add_f64 v[30:31], v[30:31], v[34:35]
	v_add_f64 v[34:35], v[36:37], v[46:47]
	s_delay_alu instid0(VALU_DEP_4) | instskip(NEXT) | instid1(VALU_DEP_4)
	v_fma_f64 v[32:33], v[8:9], v[171:172], v[32:33]
	v_fma_f64 v[44:45], v[6:7], v[171:172], -v[44:45]
	ds_load_b128 v[6:9], v1 offset:1712
	s_waitcnt vmcnt(6) lgkmcnt(1)
	v_mul_f64 v[48:49], v[2:3], v[40:41]
	v_mul_f64 v[40:41], v[4:5], v[40:41]
	s_waitcnt vmcnt(5) lgkmcnt(0)
	v_mul_f64 v[36:37], v[6:7], v[169:170]
	v_mul_f64 v[46:47], v[8:9], v[169:170]
	v_add_f64 v[32:33], v[34:35], v[32:33]
	v_add_f64 v[30:31], v[30:31], v[44:45]
	v_fma_f64 v[48:49], v[4:5], v[38:39], v[48:49]
	v_fma_f64 v[38:39], v[2:3], v[38:39], -v[40:41]
	ds_load_b128 v[2:5], v1 offset:1728
	v_fma_f64 v[36:37], v[8:9], v[167:168], v[36:37]
	v_fma_f64 v[40:41], v[6:7], v[167:168], -v[46:47]
	ds_load_b128 v[6:9], v1 offset:1744
	s_waitcnt vmcnt(4) lgkmcnt(1)
	v_mul_f64 v[34:35], v[2:3], v[12:13]
	v_mul_f64 v[12:13], v[4:5], v[12:13]
	v_add_f64 v[32:33], v[32:33], v[48:49]
	v_add_f64 v[30:31], v[30:31], v[38:39]
	s_waitcnt vmcnt(3) lgkmcnt(0)
	v_mul_f64 v[38:39], v[6:7], v[16:17]
	v_mul_f64 v[16:17], v[8:9], v[16:17]
	v_fma_f64 v[34:35], v[4:5], v[10:11], v[34:35]
	v_fma_f64 v[10:11], v[2:3], v[10:11], -v[12:13]
	ds_load_b128 v[2:5], v1 offset:1760
	v_add_f64 v[12:13], v[30:31], v[40:41]
	v_add_f64 v[30:31], v[32:33], v[36:37]
	v_fma_f64 v[36:37], v[8:9], v[14:15], v[38:39]
	v_fma_f64 v[14:15], v[6:7], v[14:15], -v[16:17]
	ds_load_b128 v[6:9], v1 offset:1776
	s_waitcnt vmcnt(2) lgkmcnt(1)
	v_mul_f64 v[32:33], v[2:3], v[20:21]
	v_mul_f64 v[20:21], v[4:5], v[20:21]
	s_waitcnt vmcnt(1) lgkmcnt(0)
	v_mul_f64 v[16:17], v[6:7], v[24:25]
	v_mul_f64 v[24:25], v[8:9], v[24:25]
	v_add_f64 v[10:11], v[12:13], v[10:11]
	v_add_f64 v[12:13], v[30:31], v[34:35]
	v_fma_f64 v[4:5], v[4:5], v[18:19], v[32:33]
	v_fma_f64 v[1:2], v[2:3], v[18:19], -v[20:21]
	v_fma_f64 v[8:9], v[8:9], v[22:23], v[16:17]
	v_fma_f64 v[6:7], v[6:7], v[22:23], -v[24:25]
	v_add_f64 v[10:11], v[10:11], v[14:15]
	v_add_f64 v[12:13], v[12:13], v[36:37]
	s_delay_alu instid0(VALU_DEP_2) | instskip(NEXT) | instid1(VALU_DEP_2)
	v_add_f64 v[1:2], v[10:11], v[1:2]
	v_add_f64 v[3:4], v[12:13], v[4:5]
	s_delay_alu instid0(VALU_DEP_2) | instskip(NEXT) | instid1(VALU_DEP_2)
	v_add_f64 v[1:2], v[1:2], v[6:7]
	v_add_f64 v[3:4], v[3:4], v[8:9]
	s_waitcnt vmcnt(0)
	s_delay_alu instid0(VALU_DEP_2) | instskip(NEXT) | instid1(VALU_DEP_2)
	v_add_f64 v[1:2], v[26:27], -v[1:2]
	v_add_f64 v[3:4], v[28:29], -v[3:4]
	scratch_store_b128 off, v[1:4], off offset:304
	v_cmpx_lt_u32_e32 18, v154
	s_cbranch_execz .LBB55_313
; %bb.312:
	scratch_load_b128 v[1:4], v192, off
	v_mov_b32_e32 v5, 0
	s_delay_alu instid0(VALU_DEP_1)
	v_mov_b32_e32 v6, v5
	v_mov_b32_e32 v7, v5
	;; [unrolled: 1-line block ×3, first 2 shown]
	scratch_store_b128 off, v[5:8], off offset:288
	s_waitcnt vmcnt(0)
	ds_store_b128 v210, v[1:4]
.LBB55_313:
	s_or_b32 exec_lo, exec_lo, s2
	s_waitcnt lgkmcnt(0)
	s_waitcnt_vscnt null, 0x0
	s_barrier
	buffer_gl0_inv
	s_clause 0x7
	scratch_load_b128 v[2:5], off, off offset:304
	scratch_load_b128 v[6:9], off, off offset:320
	;; [unrolled: 1-line block ×8, first 2 shown]
	v_mov_b32_e32 v1, 0
	s_clause 0x1
	scratch_load_b128 v[34:37], off, off offset:432
	scratch_load_b128 v[171:174], off, off offset:448
	s_mov_b32 s2, exec_lo
	ds_load_b128 v[38:41], v1 offset:1200
	ds_load_b128 v[167:170], v1 offset:1216
	s_waitcnt vmcnt(9) lgkmcnt(1)
	v_mul_f64 v[44:45], v[40:41], v[4:5]
	v_mul_f64 v[4:5], v[38:39], v[4:5]
	s_waitcnt vmcnt(8) lgkmcnt(0)
	v_mul_f64 v[46:47], v[167:168], v[8:9]
	v_mul_f64 v[8:9], v[169:170], v[8:9]
	s_delay_alu instid0(VALU_DEP_4) | instskip(NEXT) | instid1(VALU_DEP_4)
	v_fma_f64 v[44:45], v[38:39], v[2:3], -v[44:45]
	v_fma_f64 v[48:49], v[40:41], v[2:3], v[4:5]
	ds_load_b128 v[2:5], v1 offset:1232
	scratch_load_b128 v[38:41], off, off offset:464
	v_fma_f64 v[46:47], v[169:170], v[6:7], v[46:47]
	v_fma_f64 v[175:176], v[167:168], v[6:7], -v[8:9]
	scratch_load_b128 v[167:170], off, off offset:480
	ds_load_b128 v[6:9], v1 offset:1248
	s_waitcnt vmcnt(9) lgkmcnt(1)
	v_mul_f64 v[156:157], v[2:3], v[12:13]
	v_mul_f64 v[12:13], v[4:5], v[12:13]
	s_waitcnt vmcnt(8) lgkmcnt(0)
	v_mul_f64 v[177:178], v[6:7], v[16:17]
	v_mul_f64 v[16:17], v[8:9], v[16:17]
	v_add_f64 v[44:45], v[44:45], 0
	v_add_f64 v[48:49], v[48:49], 0
	v_fma_f64 v[156:157], v[4:5], v[10:11], v[156:157]
	v_fma_f64 v[179:180], v[2:3], v[10:11], -v[12:13]
	ds_load_b128 v[2:5], v1 offset:1264
	scratch_load_b128 v[10:13], off, off offset:496
	v_add_f64 v[44:45], v[44:45], v[175:176]
	v_add_f64 v[46:47], v[48:49], v[46:47]
	v_fma_f64 v[175:176], v[8:9], v[14:15], v[177:178]
	v_fma_f64 v[177:178], v[6:7], v[14:15], -v[16:17]
	scratch_load_b128 v[14:17], off, off offset:512
	ds_load_b128 v[6:9], v1 offset:1280
	s_waitcnt vmcnt(9) lgkmcnt(1)
	v_mul_f64 v[48:49], v[2:3], v[20:21]
	v_mul_f64 v[20:21], v[4:5], v[20:21]
	v_add_f64 v[44:45], v[44:45], v[179:180]
	v_add_f64 v[46:47], v[46:47], v[156:157]
	s_waitcnt vmcnt(8) lgkmcnt(0)
	v_mul_f64 v[156:157], v[6:7], v[24:25]
	v_mul_f64 v[24:25], v[8:9], v[24:25]
	v_fma_f64 v[48:49], v[4:5], v[18:19], v[48:49]
	v_fma_f64 v[179:180], v[2:3], v[18:19], -v[20:21]
	ds_load_b128 v[2:5], v1 offset:1296
	scratch_load_b128 v[18:21], off, off offset:528
	v_add_f64 v[44:45], v[44:45], v[177:178]
	v_add_f64 v[46:47], v[46:47], v[175:176]
	v_fma_f64 v[156:157], v[8:9], v[22:23], v[156:157]
	v_fma_f64 v[177:178], v[6:7], v[22:23], -v[24:25]
	scratch_load_b128 v[22:25], off, off offset:544
	ds_load_b128 v[6:9], v1 offset:1312
	s_waitcnt vmcnt(9) lgkmcnt(1)
	v_mul_f64 v[175:176], v[2:3], v[28:29]
	v_mul_f64 v[28:29], v[4:5], v[28:29]
	v_add_f64 v[44:45], v[44:45], v[179:180]
	v_add_f64 v[46:47], v[46:47], v[48:49]
	s_waitcnt vmcnt(8) lgkmcnt(0)
	v_mul_f64 v[48:49], v[6:7], v[32:33]
	v_mul_f64 v[32:33], v[8:9], v[32:33]
	;; [unrolled: 18-line block ×8, first 2 shown]
	v_fma_f64 v[175:176], v[4:5], v[34:35], v[175:176]
	v_fma_f64 v[179:180], v[2:3], v[34:35], -v[36:37]
	ds_load_b128 v[2:5], v1 offset:1520
	scratch_load_b128 v[34:37], off, off offset:752
	v_add_f64 v[44:45], v[44:45], v[177:178]
	v_add_f64 v[46:47], v[46:47], v[156:157]
	v_fma_f64 v[48:49], v[8:9], v[171:172], v[48:49]
	v_fma_f64 v[177:178], v[6:7], v[171:172], -v[173:174]
	ds_load_b128 v[6:9], v1 offset:1536
	s_waitcnt vmcnt(8) lgkmcnt(1)
	v_mul_f64 v[156:157], v[2:3], v[40:41]
	v_mul_f64 v[40:41], v[4:5], v[40:41]
	scratch_load_b128 v[171:174], off, off offset:768
	v_add_f64 v[44:45], v[44:45], v[179:180]
	v_add_f64 v[46:47], v[46:47], v[175:176]
	s_waitcnt vmcnt(8) lgkmcnt(0)
	v_mul_f64 v[175:176], v[6:7], v[169:170]
	v_mul_f64 v[169:170], v[8:9], v[169:170]
	v_fma_f64 v[156:157], v[4:5], v[38:39], v[156:157]
	v_fma_f64 v[179:180], v[2:3], v[38:39], -v[40:41]
	ds_load_b128 v[2:5], v1 offset:1552
	scratch_load_b128 v[38:41], off, off offset:784
	v_add_f64 v[44:45], v[44:45], v[177:178]
	v_add_f64 v[46:47], v[46:47], v[48:49]
	v_fma_f64 v[175:176], v[8:9], v[167:168], v[175:176]
	v_fma_f64 v[177:178], v[6:7], v[167:168], -v[169:170]
	ds_load_b128 v[6:9], v1 offset:1568
	s_waitcnt vmcnt(8) lgkmcnt(1)
	v_mul_f64 v[48:49], v[2:3], v[12:13]
	v_mul_f64 v[12:13], v[4:5], v[12:13]
	scratch_load_b128 v[167:170], off, off offset:800
	v_add_f64 v[44:45], v[44:45], v[179:180]
	v_add_f64 v[46:47], v[46:47], v[156:157]
	s_waitcnt vmcnt(8) lgkmcnt(0)
	v_mul_f64 v[156:157], v[6:7], v[16:17]
	v_mul_f64 v[16:17], v[8:9], v[16:17]
	v_fma_f64 v[48:49], v[4:5], v[10:11], v[48:49]
	v_fma_f64 v[179:180], v[2:3], v[10:11], -v[12:13]
	scratch_load_b128 v[10:13], off, off offset:816
	ds_load_b128 v[2:5], v1 offset:1584
	v_add_f64 v[44:45], v[44:45], v[177:178]
	v_add_f64 v[46:47], v[46:47], v[175:176]
	v_fma_f64 v[156:157], v[8:9], v[14:15], v[156:157]
	v_fma_f64 v[177:178], v[6:7], v[14:15], -v[16:17]
	ds_load_b128 v[6:9], v1 offset:1600
	s_waitcnt vmcnt(8) lgkmcnt(1)
	v_mul_f64 v[175:176], v[2:3], v[20:21]
	v_mul_f64 v[20:21], v[4:5], v[20:21]
	scratch_load_b128 v[14:17], off, off offset:832
	v_add_f64 v[44:45], v[44:45], v[179:180]
	v_add_f64 v[46:47], v[46:47], v[48:49]
	s_waitcnt vmcnt(8) lgkmcnt(0)
	v_mul_f64 v[48:49], v[6:7], v[24:25]
	v_mul_f64 v[24:25], v[8:9], v[24:25]
	v_fma_f64 v[175:176], v[4:5], v[18:19], v[175:176]
	v_fma_f64 v[179:180], v[2:3], v[18:19], -v[20:21]
	scratch_load_b128 v[18:21], off, off offset:848
	ds_load_b128 v[2:5], v1 offset:1616
	;; [unrolled: 18-line block ×3, first 2 shown]
	v_add_f64 v[44:45], v[44:45], v[177:178]
	v_add_f64 v[46:47], v[46:47], v[48:49]
	v_fma_f64 v[175:176], v[8:9], v[30:31], v[175:176]
	v_fma_f64 v[30:31], v[6:7], v[30:31], -v[32:33]
	ds_load_b128 v[6:9], v1 offset:1664
	s_waitcnt vmcnt(8) lgkmcnt(1)
	v_mul_f64 v[48:49], v[2:3], v[36:37]
	v_mul_f64 v[36:37], v[4:5], v[36:37]
	v_add_f64 v[32:33], v[44:45], v[179:180]
	v_add_f64 v[44:45], v[46:47], v[156:157]
	s_delay_alu instid0(VALU_DEP_4) | instskip(NEXT) | instid1(VALU_DEP_4)
	v_fma_f64 v[48:49], v[4:5], v[34:35], v[48:49]
	v_fma_f64 v[34:35], v[2:3], v[34:35], -v[36:37]
	ds_load_b128 v[2:5], v1 offset:1680
	v_add_f64 v[30:31], v[32:33], v[30:31]
	v_add_f64 v[32:33], v[44:45], v[175:176]
	s_delay_alu instid0(VALU_DEP_2) | instskip(NEXT) | instid1(VALU_DEP_2)
	v_add_f64 v[34:35], v[30:31], v[34:35]
	v_add_f64 v[48:49], v[32:33], v[48:49]
	scratch_load_b128 v[30:33], off, off offset:288
	s_waitcnt vmcnt(8) lgkmcnt(1)
	v_mul_f64 v[46:47], v[6:7], v[173:174]
	v_mul_f64 v[156:157], v[8:9], v[173:174]
	s_delay_alu instid0(VALU_DEP_2) | instskip(NEXT) | instid1(VALU_DEP_2)
	v_fma_f64 v[44:45], v[8:9], v[171:172], v[46:47]
	v_fma_f64 v[46:47], v[6:7], v[171:172], -v[156:157]
	ds_load_b128 v[6:9], v1 offset:1696
	s_waitcnt vmcnt(7) lgkmcnt(1)
	v_mul_f64 v[36:37], v[2:3], v[40:41]
	v_mul_f64 v[40:41], v[4:5], v[40:41]
	s_waitcnt vmcnt(6) lgkmcnt(0)
	v_mul_f64 v[156:157], v[6:7], v[169:170]
	v_mul_f64 v[169:170], v[8:9], v[169:170]
	v_add_f64 v[34:35], v[34:35], v[46:47]
	v_fma_f64 v[36:37], v[4:5], v[38:39], v[36:37]
	v_fma_f64 v[38:39], v[2:3], v[38:39], -v[40:41]
	v_add_f64 v[40:41], v[48:49], v[44:45]
	ds_load_b128 v[2:5], v1 offset:1712
	v_fma_f64 v[46:47], v[8:9], v[167:168], v[156:157]
	v_fma_f64 v[48:49], v[6:7], v[167:168], -v[169:170]
	ds_load_b128 v[6:9], v1 offset:1728
	s_waitcnt vmcnt(5) lgkmcnt(1)
	v_mul_f64 v[44:45], v[2:3], v[12:13]
	v_mul_f64 v[12:13], v[4:5], v[12:13]
	v_add_f64 v[34:35], v[34:35], v[38:39]
	v_add_f64 v[36:37], v[40:41], v[36:37]
	s_waitcnt vmcnt(4) lgkmcnt(0)
	v_mul_f64 v[38:39], v[6:7], v[16:17]
	v_mul_f64 v[16:17], v[8:9], v[16:17]
	v_fma_f64 v[40:41], v[4:5], v[10:11], v[44:45]
	v_fma_f64 v[10:11], v[2:3], v[10:11], -v[12:13]
	ds_load_b128 v[2:5], v1 offset:1744
	v_add_f64 v[12:13], v[34:35], v[48:49]
	v_add_f64 v[34:35], v[36:37], v[46:47]
	v_fma_f64 v[38:39], v[8:9], v[14:15], v[38:39]
	v_fma_f64 v[14:15], v[6:7], v[14:15], -v[16:17]
	ds_load_b128 v[6:9], v1 offset:1760
	s_waitcnt vmcnt(3) lgkmcnt(1)
	v_mul_f64 v[36:37], v[2:3], v[20:21]
	v_mul_f64 v[20:21], v[4:5], v[20:21]
	s_waitcnt vmcnt(2) lgkmcnt(0)
	v_mul_f64 v[16:17], v[6:7], v[24:25]
	v_mul_f64 v[24:25], v[8:9], v[24:25]
	v_add_f64 v[10:11], v[12:13], v[10:11]
	v_add_f64 v[12:13], v[34:35], v[40:41]
	v_fma_f64 v[34:35], v[4:5], v[18:19], v[36:37]
	v_fma_f64 v[18:19], v[2:3], v[18:19], -v[20:21]
	ds_load_b128 v[2:5], v1 offset:1776
	v_fma_f64 v[8:9], v[8:9], v[22:23], v[16:17]
	v_fma_f64 v[6:7], v[6:7], v[22:23], -v[24:25]
	s_waitcnt vmcnt(1) lgkmcnt(0)
	v_mul_f64 v[20:21], v[4:5], v[28:29]
	v_add_f64 v[10:11], v[10:11], v[14:15]
	v_add_f64 v[12:13], v[12:13], v[38:39]
	v_mul_f64 v[14:15], v[2:3], v[28:29]
	s_delay_alu instid0(VALU_DEP_4) | instskip(NEXT) | instid1(VALU_DEP_4)
	v_fma_f64 v[2:3], v[2:3], v[26:27], -v[20:21]
	v_add_f64 v[10:11], v[10:11], v[18:19]
	s_delay_alu instid0(VALU_DEP_4) | instskip(NEXT) | instid1(VALU_DEP_4)
	v_add_f64 v[12:13], v[12:13], v[34:35]
	v_fma_f64 v[4:5], v[4:5], v[26:27], v[14:15]
	s_delay_alu instid0(VALU_DEP_3) | instskip(NEXT) | instid1(VALU_DEP_3)
	v_add_f64 v[6:7], v[10:11], v[6:7]
	v_add_f64 v[8:9], v[12:13], v[8:9]
	s_delay_alu instid0(VALU_DEP_2) | instskip(NEXT) | instid1(VALU_DEP_2)
	v_add_f64 v[2:3], v[6:7], v[2:3]
	v_add_f64 v[4:5], v[8:9], v[4:5]
	s_waitcnt vmcnt(0)
	s_delay_alu instid0(VALU_DEP_2) | instskip(NEXT) | instid1(VALU_DEP_2)
	v_add_f64 v[2:3], v[30:31], -v[2:3]
	v_add_f64 v[4:5], v[32:33], -v[4:5]
	scratch_store_b128 off, v[2:5], off offset:288
	v_cmpx_lt_u32_e32 17, v154
	s_cbranch_execz .LBB55_315
; %bb.314:
	scratch_load_b128 v[5:8], v193, off
	v_mov_b32_e32 v2, v1
	v_mov_b32_e32 v3, v1
	;; [unrolled: 1-line block ×3, first 2 shown]
	scratch_store_b128 off, v[1:4], off offset:272
	s_waitcnt vmcnt(0)
	ds_store_b128 v210, v[5:8]
.LBB55_315:
	s_or_b32 exec_lo, exec_lo, s2
	s_waitcnt lgkmcnt(0)
	s_waitcnt_vscnt null, 0x0
	s_barrier
	buffer_gl0_inv
	s_clause 0x7
	scratch_load_b128 v[2:5], off, off offset:288
	scratch_load_b128 v[6:9], off, off offset:304
	;; [unrolled: 1-line block ×8, first 2 shown]
	ds_load_b128 v[38:41], v1 offset:1184
	ds_load_b128 v[167:170], v1 offset:1200
	s_clause 0x1
	scratch_load_b128 v[34:37], off, off offset:416
	scratch_load_b128 v[171:174], off, off offset:432
	s_mov_b32 s2, exec_lo
	s_waitcnt vmcnt(9) lgkmcnt(1)
	v_mul_f64 v[44:45], v[40:41], v[4:5]
	v_mul_f64 v[4:5], v[38:39], v[4:5]
	s_waitcnt vmcnt(8) lgkmcnt(0)
	v_mul_f64 v[46:47], v[167:168], v[8:9]
	v_mul_f64 v[8:9], v[169:170], v[8:9]
	s_delay_alu instid0(VALU_DEP_4) | instskip(NEXT) | instid1(VALU_DEP_4)
	v_fma_f64 v[44:45], v[38:39], v[2:3], -v[44:45]
	v_fma_f64 v[48:49], v[40:41], v[2:3], v[4:5]
	ds_load_b128 v[2:5], v1 offset:1216
	scratch_load_b128 v[38:41], off, off offset:448
	v_fma_f64 v[46:47], v[169:170], v[6:7], v[46:47]
	v_fma_f64 v[175:176], v[167:168], v[6:7], -v[8:9]
	scratch_load_b128 v[167:170], off, off offset:464
	ds_load_b128 v[6:9], v1 offset:1232
	s_waitcnt vmcnt(9) lgkmcnt(1)
	v_mul_f64 v[156:157], v[2:3], v[12:13]
	v_mul_f64 v[12:13], v[4:5], v[12:13]
	s_waitcnt vmcnt(8) lgkmcnt(0)
	v_mul_f64 v[177:178], v[6:7], v[16:17]
	v_mul_f64 v[16:17], v[8:9], v[16:17]
	v_add_f64 v[44:45], v[44:45], 0
	v_add_f64 v[48:49], v[48:49], 0
	v_fma_f64 v[156:157], v[4:5], v[10:11], v[156:157]
	v_fma_f64 v[179:180], v[2:3], v[10:11], -v[12:13]
	ds_load_b128 v[2:5], v1 offset:1248
	scratch_load_b128 v[10:13], off, off offset:480
	v_add_f64 v[44:45], v[44:45], v[175:176]
	v_add_f64 v[46:47], v[48:49], v[46:47]
	v_fma_f64 v[175:176], v[8:9], v[14:15], v[177:178]
	v_fma_f64 v[177:178], v[6:7], v[14:15], -v[16:17]
	scratch_load_b128 v[14:17], off, off offset:496
	ds_load_b128 v[6:9], v1 offset:1264
	s_waitcnt vmcnt(9) lgkmcnt(1)
	v_mul_f64 v[48:49], v[2:3], v[20:21]
	v_mul_f64 v[20:21], v[4:5], v[20:21]
	v_add_f64 v[44:45], v[44:45], v[179:180]
	v_add_f64 v[46:47], v[46:47], v[156:157]
	s_waitcnt vmcnt(8) lgkmcnt(0)
	v_mul_f64 v[156:157], v[6:7], v[24:25]
	v_mul_f64 v[24:25], v[8:9], v[24:25]
	v_fma_f64 v[48:49], v[4:5], v[18:19], v[48:49]
	v_fma_f64 v[179:180], v[2:3], v[18:19], -v[20:21]
	ds_load_b128 v[2:5], v1 offset:1280
	scratch_load_b128 v[18:21], off, off offset:512
	v_add_f64 v[44:45], v[44:45], v[177:178]
	v_add_f64 v[46:47], v[46:47], v[175:176]
	v_fma_f64 v[156:157], v[8:9], v[22:23], v[156:157]
	v_fma_f64 v[177:178], v[6:7], v[22:23], -v[24:25]
	scratch_load_b128 v[22:25], off, off offset:528
	ds_load_b128 v[6:9], v1 offset:1296
	s_waitcnt vmcnt(9) lgkmcnt(1)
	v_mul_f64 v[175:176], v[2:3], v[28:29]
	v_mul_f64 v[28:29], v[4:5], v[28:29]
	v_add_f64 v[44:45], v[44:45], v[179:180]
	v_add_f64 v[46:47], v[46:47], v[48:49]
	s_waitcnt vmcnt(8) lgkmcnt(0)
	v_mul_f64 v[48:49], v[6:7], v[32:33]
	v_mul_f64 v[32:33], v[8:9], v[32:33]
	;; [unrolled: 18-line block ×9, first 2 shown]
	v_fma_f64 v[156:157], v[4:5], v[38:39], v[156:157]
	v_fma_f64 v[179:180], v[2:3], v[38:39], -v[40:41]
	ds_load_b128 v[2:5], v1 offset:1536
	scratch_load_b128 v[38:41], off, off offset:768
	v_add_f64 v[44:45], v[44:45], v[177:178]
	v_add_f64 v[46:47], v[46:47], v[48:49]
	v_fma_f64 v[175:176], v[8:9], v[167:168], v[175:176]
	v_fma_f64 v[177:178], v[6:7], v[167:168], -v[169:170]
	ds_load_b128 v[6:9], v1 offset:1552
	s_waitcnt vmcnt(8) lgkmcnt(1)
	v_mul_f64 v[48:49], v[2:3], v[12:13]
	v_mul_f64 v[12:13], v[4:5], v[12:13]
	scratch_load_b128 v[167:170], off, off offset:784
	v_add_f64 v[44:45], v[44:45], v[179:180]
	v_add_f64 v[46:47], v[46:47], v[156:157]
	s_waitcnt vmcnt(8) lgkmcnt(0)
	v_mul_f64 v[156:157], v[6:7], v[16:17]
	v_mul_f64 v[16:17], v[8:9], v[16:17]
	v_fma_f64 v[48:49], v[4:5], v[10:11], v[48:49]
	v_fma_f64 v[179:180], v[2:3], v[10:11], -v[12:13]
	ds_load_b128 v[2:5], v1 offset:1568
	scratch_load_b128 v[10:13], off, off offset:800
	v_add_f64 v[44:45], v[44:45], v[177:178]
	v_add_f64 v[46:47], v[46:47], v[175:176]
	v_fma_f64 v[156:157], v[8:9], v[14:15], v[156:157]
	v_fma_f64 v[177:178], v[6:7], v[14:15], -v[16:17]
	ds_load_b128 v[6:9], v1 offset:1584
	s_waitcnt vmcnt(8) lgkmcnt(1)
	v_mul_f64 v[175:176], v[2:3], v[20:21]
	v_mul_f64 v[20:21], v[4:5], v[20:21]
	scratch_load_b128 v[14:17], off, off offset:816
	v_add_f64 v[44:45], v[44:45], v[179:180]
	v_add_f64 v[46:47], v[46:47], v[48:49]
	s_waitcnt vmcnt(8) lgkmcnt(0)
	v_mul_f64 v[48:49], v[6:7], v[24:25]
	v_mul_f64 v[24:25], v[8:9], v[24:25]
	v_fma_f64 v[175:176], v[4:5], v[18:19], v[175:176]
	v_fma_f64 v[179:180], v[2:3], v[18:19], -v[20:21]
	scratch_load_b128 v[18:21], off, off offset:832
	ds_load_b128 v[2:5], v1 offset:1600
	v_add_f64 v[44:45], v[44:45], v[177:178]
	v_add_f64 v[46:47], v[46:47], v[156:157]
	v_fma_f64 v[48:49], v[8:9], v[22:23], v[48:49]
	v_fma_f64 v[177:178], v[6:7], v[22:23], -v[24:25]
	ds_load_b128 v[6:9], v1 offset:1616
	s_waitcnt vmcnt(8) lgkmcnt(1)
	v_mul_f64 v[156:157], v[2:3], v[28:29]
	v_mul_f64 v[28:29], v[4:5], v[28:29]
	scratch_load_b128 v[22:25], off, off offset:848
	v_add_f64 v[44:45], v[44:45], v[179:180]
	v_add_f64 v[46:47], v[46:47], v[175:176]
	s_waitcnt vmcnt(8) lgkmcnt(0)
	v_mul_f64 v[175:176], v[6:7], v[32:33]
	v_mul_f64 v[32:33], v[8:9], v[32:33]
	v_fma_f64 v[156:157], v[4:5], v[26:27], v[156:157]
	v_fma_f64 v[179:180], v[2:3], v[26:27], -v[28:29]
	scratch_load_b128 v[26:29], off, off offset:864
	ds_load_b128 v[2:5], v1 offset:1632
	v_add_f64 v[44:45], v[44:45], v[177:178]
	v_add_f64 v[46:47], v[46:47], v[48:49]
	v_fma_f64 v[175:176], v[8:9], v[30:31], v[175:176]
	v_fma_f64 v[177:178], v[6:7], v[30:31], -v[32:33]
	ds_load_b128 v[6:9], v1 offset:1648
	s_waitcnt vmcnt(8) lgkmcnt(1)
	v_mul_f64 v[48:49], v[2:3], v[36:37]
	v_mul_f64 v[36:37], v[4:5], v[36:37]
	scratch_load_b128 v[30:33], off, off offset:880
	v_add_f64 v[44:45], v[44:45], v[179:180]
	v_add_f64 v[46:47], v[46:47], v[156:157]
	s_waitcnt vmcnt(8) lgkmcnt(0)
	v_mul_f64 v[156:157], v[6:7], v[173:174]
	v_mul_f64 v[173:174], v[8:9], v[173:174]
	v_fma_f64 v[48:49], v[4:5], v[34:35], v[48:49]
	v_fma_f64 v[34:35], v[2:3], v[34:35], -v[36:37]
	ds_load_b128 v[2:5], v1 offset:1664
	v_add_f64 v[36:37], v[44:45], v[177:178]
	v_add_f64 v[44:45], v[46:47], v[175:176]
	v_fma_f64 v[156:157], v[8:9], v[171:172], v[156:157]
	v_fma_f64 v[171:172], v[6:7], v[171:172], -v[173:174]
	ds_load_b128 v[6:9], v1 offset:1680
	s_waitcnt vmcnt(7) lgkmcnt(1)
	v_mul_f64 v[46:47], v[2:3], v[40:41]
	v_mul_f64 v[40:41], v[4:5], v[40:41]
	v_add_f64 v[34:35], v[36:37], v[34:35]
	v_add_f64 v[36:37], v[44:45], v[48:49]
	s_delay_alu instid0(VALU_DEP_4) | instskip(NEXT) | instid1(VALU_DEP_4)
	v_fma_f64 v[46:47], v[4:5], v[38:39], v[46:47]
	v_fma_f64 v[38:39], v[2:3], v[38:39], -v[40:41]
	ds_load_b128 v[2:5], v1 offset:1696
	v_add_f64 v[40:41], v[34:35], v[171:172]
	v_add_f64 v[156:157], v[36:37], v[156:157]
	scratch_load_b128 v[34:37], off, off offset:272
	s_waitcnt vmcnt(7) lgkmcnt(1)
	v_mul_f64 v[44:45], v[6:7], v[169:170]
	v_mul_f64 v[48:49], v[8:9], v[169:170]
	v_add_f64 v[38:39], v[40:41], v[38:39]
	v_add_f64 v[40:41], v[156:157], v[46:47]
	s_delay_alu instid0(VALU_DEP_4) | instskip(NEXT) | instid1(VALU_DEP_4)
	v_fma_f64 v[44:45], v[8:9], v[167:168], v[44:45]
	v_fma_f64 v[48:49], v[6:7], v[167:168], -v[48:49]
	ds_load_b128 v[6:9], v1 offset:1712
	s_waitcnt vmcnt(6) lgkmcnt(1)
	v_mul_f64 v[169:170], v[2:3], v[12:13]
	v_mul_f64 v[12:13], v[4:5], v[12:13]
	s_waitcnt vmcnt(5) lgkmcnt(0)
	v_mul_f64 v[46:47], v[6:7], v[16:17]
	v_mul_f64 v[16:17], v[8:9], v[16:17]
	s_delay_alu instid0(VALU_DEP_4) | instskip(NEXT) | instid1(VALU_DEP_4)
	v_fma_f64 v[156:157], v[4:5], v[10:11], v[169:170]
	v_fma_f64 v[10:11], v[2:3], v[10:11], -v[12:13]
	v_add_f64 v[12:13], v[38:39], v[48:49]
	v_add_f64 v[38:39], v[40:41], v[44:45]
	ds_load_b128 v[2:5], v1 offset:1728
	v_fma_f64 v[44:45], v[8:9], v[14:15], v[46:47]
	v_fma_f64 v[14:15], v[6:7], v[14:15], -v[16:17]
	ds_load_b128 v[6:9], v1 offset:1744
	s_waitcnt vmcnt(4) lgkmcnt(1)
	v_mul_f64 v[40:41], v[2:3], v[20:21]
	v_mul_f64 v[20:21], v[4:5], v[20:21]
	v_add_f64 v[10:11], v[12:13], v[10:11]
	v_add_f64 v[12:13], v[38:39], v[156:157]
	s_waitcnt vmcnt(3) lgkmcnt(0)
	v_mul_f64 v[16:17], v[6:7], v[24:25]
	v_mul_f64 v[24:25], v[8:9], v[24:25]
	v_fma_f64 v[38:39], v[4:5], v[18:19], v[40:41]
	v_fma_f64 v[18:19], v[2:3], v[18:19], -v[20:21]
	ds_load_b128 v[2:5], v1 offset:1760
	v_add_f64 v[10:11], v[10:11], v[14:15]
	v_add_f64 v[12:13], v[12:13], v[44:45]
	v_fma_f64 v[16:17], v[8:9], v[22:23], v[16:17]
	v_fma_f64 v[22:23], v[6:7], v[22:23], -v[24:25]
	ds_load_b128 v[6:9], v1 offset:1776
	s_waitcnt vmcnt(2) lgkmcnt(1)
	v_mul_f64 v[14:15], v[2:3], v[28:29]
	v_mul_f64 v[20:21], v[4:5], v[28:29]
	s_waitcnt vmcnt(1) lgkmcnt(0)
	v_mul_f64 v[24:25], v[8:9], v[32:33]
	v_add_f64 v[10:11], v[10:11], v[18:19]
	v_add_f64 v[12:13], v[12:13], v[38:39]
	v_mul_f64 v[18:19], v[6:7], v[32:33]
	v_fma_f64 v[4:5], v[4:5], v[26:27], v[14:15]
	v_fma_f64 v[1:2], v[2:3], v[26:27], -v[20:21]
	v_fma_f64 v[6:7], v[6:7], v[30:31], -v[24:25]
	v_add_f64 v[10:11], v[10:11], v[22:23]
	v_add_f64 v[12:13], v[12:13], v[16:17]
	v_fma_f64 v[8:9], v[8:9], v[30:31], v[18:19]
	s_delay_alu instid0(VALU_DEP_3) | instskip(NEXT) | instid1(VALU_DEP_3)
	v_add_f64 v[1:2], v[10:11], v[1:2]
	v_add_f64 v[3:4], v[12:13], v[4:5]
	s_delay_alu instid0(VALU_DEP_2) | instskip(NEXT) | instid1(VALU_DEP_2)
	v_add_f64 v[1:2], v[1:2], v[6:7]
	v_add_f64 v[3:4], v[3:4], v[8:9]
	s_waitcnt vmcnt(0)
	s_delay_alu instid0(VALU_DEP_2) | instskip(NEXT) | instid1(VALU_DEP_2)
	v_add_f64 v[1:2], v[34:35], -v[1:2]
	v_add_f64 v[3:4], v[36:37], -v[3:4]
	scratch_store_b128 off, v[1:4], off offset:272
	v_cmpx_lt_u32_e32 16, v154
	s_cbranch_execz .LBB55_317
; %bb.316:
	scratch_load_b128 v[1:4], v194, off
	v_mov_b32_e32 v5, 0
	s_delay_alu instid0(VALU_DEP_1)
	v_mov_b32_e32 v6, v5
	v_mov_b32_e32 v7, v5
	;; [unrolled: 1-line block ×3, first 2 shown]
	scratch_store_b128 off, v[5:8], off offset:256
	s_waitcnt vmcnt(0)
	ds_store_b128 v210, v[1:4]
.LBB55_317:
	s_or_b32 exec_lo, exec_lo, s2
	s_waitcnt lgkmcnt(0)
	s_waitcnt_vscnt null, 0x0
	s_barrier
	buffer_gl0_inv
	s_clause 0x7
	scratch_load_b128 v[2:5], off, off offset:272
	scratch_load_b128 v[6:9], off, off offset:288
	;; [unrolled: 1-line block ×8, first 2 shown]
	v_mov_b32_e32 v1, 0
	s_clause 0x1
	scratch_load_b128 v[34:37], off, off offset:400
	scratch_load_b128 v[171:174], off, off offset:416
	s_mov_b32 s2, exec_lo
	ds_load_b128 v[38:41], v1 offset:1168
	ds_load_b128 v[167:170], v1 offset:1184
	s_waitcnt vmcnt(9) lgkmcnt(1)
	v_mul_f64 v[44:45], v[40:41], v[4:5]
	v_mul_f64 v[4:5], v[38:39], v[4:5]
	s_waitcnt vmcnt(8) lgkmcnt(0)
	v_mul_f64 v[46:47], v[167:168], v[8:9]
	v_mul_f64 v[8:9], v[169:170], v[8:9]
	s_delay_alu instid0(VALU_DEP_4) | instskip(NEXT) | instid1(VALU_DEP_4)
	v_fma_f64 v[44:45], v[38:39], v[2:3], -v[44:45]
	v_fma_f64 v[48:49], v[40:41], v[2:3], v[4:5]
	ds_load_b128 v[2:5], v1 offset:1200
	scratch_load_b128 v[38:41], off, off offset:432
	v_fma_f64 v[46:47], v[169:170], v[6:7], v[46:47]
	v_fma_f64 v[175:176], v[167:168], v[6:7], -v[8:9]
	scratch_load_b128 v[167:170], off, off offset:448
	ds_load_b128 v[6:9], v1 offset:1216
	s_waitcnt vmcnt(9) lgkmcnt(1)
	v_mul_f64 v[156:157], v[2:3], v[12:13]
	v_mul_f64 v[12:13], v[4:5], v[12:13]
	s_waitcnt vmcnt(8) lgkmcnt(0)
	v_mul_f64 v[177:178], v[6:7], v[16:17]
	v_mul_f64 v[16:17], v[8:9], v[16:17]
	v_add_f64 v[44:45], v[44:45], 0
	v_add_f64 v[48:49], v[48:49], 0
	v_fma_f64 v[156:157], v[4:5], v[10:11], v[156:157]
	v_fma_f64 v[179:180], v[2:3], v[10:11], -v[12:13]
	ds_load_b128 v[2:5], v1 offset:1232
	scratch_load_b128 v[10:13], off, off offset:464
	v_add_f64 v[44:45], v[44:45], v[175:176]
	v_add_f64 v[46:47], v[48:49], v[46:47]
	v_fma_f64 v[175:176], v[8:9], v[14:15], v[177:178]
	v_fma_f64 v[177:178], v[6:7], v[14:15], -v[16:17]
	scratch_load_b128 v[14:17], off, off offset:480
	ds_load_b128 v[6:9], v1 offset:1248
	s_waitcnt vmcnt(9) lgkmcnt(1)
	v_mul_f64 v[48:49], v[2:3], v[20:21]
	v_mul_f64 v[20:21], v[4:5], v[20:21]
	v_add_f64 v[44:45], v[44:45], v[179:180]
	v_add_f64 v[46:47], v[46:47], v[156:157]
	s_waitcnt vmcnt(8) lgkmcnt(0)
	v_mul_f64 v[156:157], v[6:7], v[24:25]
	v_mul_f64 v[24:25], v[8:9], v[24:25]
	v_fma_f64 v[48:49], v[4:5], v[18:19], v[48:49]
	v_fma_f64 v[179:180], v[2:3], v[18:19], -v[20:21]
	ds_load_b128 v[2:5], v1 offset:1264
	scratch_load_b128 v[18:21], off, off offset:496
	v_add_f64 v[44:45], v[44:45], v[177:178]
	v_add_f64 v[46:47], v[46:47], v[175:176]
	v_fma_f64 v[156:157], v[8:9], v[22:23], v[156:157]
	v_fma_f64 v[177:178], v[6:7], v[22:23], -v[24:25]
	scratch_load_b128 v[22:25], off, off offset:512
	ds_load_b128 v[6:9], v1 offset:1280
	s_waitcnt vmcnt(9) lgkmcnt(1)
	v_mul_f64 v[175:176], v[2:3], v[28:29]
	v_mul_f64 v[28:29], v[4:5], v[28:29]
	v_add_f64 v[44:45], v[44:45], v[179:180]
	v_add_f64 v[46:47], v[46:47], v[48:49]
	s_waitcnt vmcnt(8) lgkmcnt(0)
	v_mul_f64 v[48:49], v[6:7], v[32:33]
	v_mul_f64 v[32:33], v[8:9], v[32:33]
	;; [unrolled: 18-line block ×10, first 2 shown]
	v_fma_f64 v[48:49], v[4:5], v[10:11], v[48:49]
	v_fma_f64 v[179:180], v[2:3], v[10:11], -v[12:13]
	ds_load_b128 v[2:5], v1 offset:1552
	scratch_load_b128 v[10:13], off, off offset:784
	v_add_f64 v[44:45], v[44:45], v[177:178]
	v_add_f64 v[46:47], v[46:47], v[175:176]
	v_fma_f64 v[156:157], v[8:9], v[14:15], v[156:157]
	v_fma_f64 v[177:178], v[6:7], v[14:15], -v[16:17]
	ds_load_b128 v[6:9], v1 offset:1568
	s_waitcnt vmcnt(8) lgkmcnt(1)
	v_mul_f64 v[175:176], v[2:3], v[20:21]
	v_mul_f64 v[20:21], v[4:5], v[20:21]
	scratch_load_b128 v[14:17], off, off offset:800
	v_add_f64 v[44:45], v[44:45], v[179:180]
	v_add_f64 v[46:47], v[46:47], v[48:49]
	s_waitcnt vmcnt(8) lgkmcnt(0)
	v_mul_f64 v[48:49], v[6:7], v[24:25]
	v_mul_f64 v[24:25], v[8:9], v[24:25]
	v_fma_f64 v[175:176], v[4:5], v[18:19], v[175:176]
	v_fma_f64 v[179:180], v[2:3], v[18:19], -v[20:21]
	scratch_load_b128 v[18:21], off, off offset:816
	ds_load_b128 v[2:5], v1 offset:1584
	v_add_f64 v[44:45], v[44:45], v[177:178]
	v_add_f64 v[46:47], v[46:47], v[156:157]
	v_fma_f64 v[48:49], v[8:9], v[22:23], v[48:49]
	v_fma_f64 v[177:178], v[6:7], v[22:23], -v[24:25]
	ds_load_b128 v[6:9], v1 offset:1600
	s_waitcnt vmcnt(8) lgkmcnt(1)
	v_mul_f64 v[156:157], v[2:3], v[28:29]
	v_mul_f64 v[28:29], v[4:5], v[28:29]
	scratch_load_b128 v[22:25], off, off offset:832
	v_add_f64 v[44:45], v[44:45], v[179:180]
	v_add_f64 v[46:47], v[46:47], v[175:176]
	s_waitcnt vmcnt(8) lgkmcnt(0)
	v_mul_f64 v[175:176], v[6:7], v[32:33]
	v_mul_f64 v[32:33], v[8:9], v[32:33]
	v_fma_f64 v[156:157], v[4:5], v[26:27], v[156:157]
	v_fma_f64 v[179:180], v[2:3], v[26:27], -v[28:29]
	scratch_load_b128 v[26:29], off, off offset:848
	ds_load_b128 v[2:5], v1 offset:1616
	;; [unrolled: 18-line block ×3, first 2 shown]
	v_add_f64 v[44:45], v[44:45], v[177:178]
	v_add_f64 v[46:47], v[46:47], v[175:176]
	v_fma_f64 v[156:157], v[8:9], v[171:172], v[156:157]
	v_fma_f64 v[171:172], v[6:7], v[171:172], -v[173:174]
	ds_load_b128 v[6:9], v1 offset:1664
	s_waitcnt vmcnt(8) lgkmcnt(1)
	v_mul_f64 v[175:176], v[2:3], v[40:41]
	v_mul_f64 v[40:41], v[4:5], v[40:41]
	v_add_f64 v[44:45], v[44:45], v[179:180]
	v_add_f64 v[46:47], v[46:47], v[48:49]
	s_waitcnt vmcnt(7) lgkmcnt(0)
	v_mul_f64 v[48:49], v[6:7], v[169:170]
	v_mul_f64 v[169:170], v[8:9], v[169:170]
	v_fma_f64 v[173:174], v[4:5], v[38:39], v[175:176]
	v_fma_f64 v[38:39], v[2:3], v[38:39], -v[40:41]
	ds_load_b128 v[2:5], v1 offset:1680
	v_add_f64 v[40:41], v[44:45], v[171:172]
	v_add_f64 v[44:45], v[46:47], v[156:157]
	v_fma_f64 v[48:49], v[8:9], v[167:168], v[48:49]
	v_fma_f64 v[156:157], v[6:7], v[167:168], -v[169:170]
	ds_load_b128 v[6:9], v1 offset:1696
	s_waitcnt vmcnt(5) lgkmcnt(0)
	v_mul_f64 v[169:170], v[6:7], v[16:17]
	v_mul_f64 v[16:17], v[8:9], v[16:17]
	v_add_f64 v[167:168], v[40:41], v[38:39]
	v_add_f64 v[44:45], v[44:45], v[173:174]
	scratch_load_b128 v[38:41], off, off offset:256
	v_mul_f64 v[46:47], v[2:3], v[12:13]
	v_mul_f64 v[12:13], v[4:5], v[12:13]
	v_add_f64 v[44:45], v[44:45], v[48:49]
	s_delay_alu instid0(VALU_DEP_3) | instskip(NEXT) | instid1(VALU_DEP_3)
	v_fma_f64 v[46:47], v[4:5], v[10:11], v[46:47]
	v_fma_f64 v[10:11], v[2:3], v[10:11], -v[12:13]
	v_add_f64 v[12:13], v[167:168], v[156:157]
	ds_load_b128 v[2:5], v1 offset:1712
	v_fma_f64 v[156:157], v[8:9], v[14:15], v[169:170]
	v_fma_f64 v[14:15], v[6:7], v[14:15], -v[16:17]
	ds_load_b128 v[6:9], v1 offset:1728
	s_waitcnt vmcnt(5) lgkmcnt(1)
	v_mul_f64 v[48:49], v[2:3], v[20:21]
	v_mul_f64 v[20:21], v[4:5], v[20:21]
	s_waitcnt vmcnt(4) lgkmcnt(0)
	v_mul_f64 v[16:17], v[6:7], v[24:25]
	v_mul_f64 v[24:25], v[8:9], v[24:25]
	v_add_f64 v[10:11], v[12:13], v[10:11]
	v_add_f64 v[12:13], v[44:45], v[46:47]
	v_fma_f64 v[44:45], v[4:5], v[18:19], v[48:49]
	v_fma_f64 v[18:19], v[2:3], v[18:19], -v[20:21]
	ds_load_b128 v[2:5], v1 offset:1744
	v_fma_f64 v[16:17], v[8:9], v[22:23], v[16:17]
	v_fma_f64 v[22:23], v[6:7], v[22:23], -v[24:25]
	ds_load_b128 v[6:9], v1 offset:1760
	v_add_f64 v[10:11], v[10:11], v[14:15]
	v_add_f64 v[12:13], v[12:13], v[156:157]
	s_waitcnt vmcnt(3) lgkmcnt(1)
	v_mul_f64 v[14:15], v[2:3], v[28:29]
	v_mul_f64 v[20:21], v[4:5], v[28:29]
	s_waitcnt vmcnt(2) lgkmcnt(0)
	v_mul_f64 v[24:25], v[8:9], v[32:33]
	v_add_f64 v[10:11], v[10:11], v[18:19]
	v_add_f64 v[12:13], v[12:13], v[44:45]
	v_mul_f64 v[18:19], v[6:7], v[32:33]
	v_fma_f64 v[14:15], v[4:5], v[26:27], v[14:15]
	v_fma_f64 v[20:21], v[2:3], v[26:27], -v[20:21]
	ds_load_b128 v[2:5], v1 offset:1776
	v_fma_f64 v[6:7], v[6:7], v[30:31], -v[24:25]
	v_add_f64 v[10:11], v[10:11], v[22:23]
	v_add_f64 v[12:13], v[12:13], v[16:17]
	s_waitcnt vmcnt(1) lgkmcnt(0)
	v_mul_f64 v[16:17], v[2:3], v[36:37]
	v_mul_f64 v[22:23], v[4:5], v[36:37]
	v_fma_f64 v[8:9], v[8:9], v[30:31], v[18:19]
	v_add_f64 v[10:11], v[10:11], v[20:21]
	v_add_f64 v[12:13], v[12:13], v[14:15]
	v_fma_f64 v[4:5], v[4:5], v[34:35], v[16:17]
	v_fma_f64 v[2:3], v[2:3], v[34:35], -v[22:23]
	s_delay_alu instid0(VALU_DEP_4) | instskip(NEXT) | instid1(VALU_DEP_4)
	v_add_f64 v[6:7], v[10:11], v[6:7]
	v_add_f64 v[8:9], v[12:13], v[8:9]
	s_delay_alu instid0(VALU_DEP_2) | instskip(NEXT) | instid1(VALU_DEP_2)
	v_add_f64 v[2:3], v[6:7], v[2:3]
	v_add_f64 v[4:5], v[8:9], v[4:5]
	s_waitcnt vmcnt(0)
	s_delay_alu instid0(VALU_DEP_2) | instskip(NEXT) | instid1(VALU_DEP_2)
	v_add_f64 v[2:3], v[38:39], -v[2:3]
	v_add_f64 v[4:5], v[40:41], -v[4:5]
	scratch_store_b128 off, v[2:5], off offset:256
	v_cmpx_lt_u32_e32 15, v154
	s_cbranch_execz .LBB55_319
; %bb.318:
	scratch_load_b128 v[5:8], v195, off
	v_mov_b32_e32 v2, v1
	v_mov_b32_e32 v3, v1
	;; [unrolled: 1-line block ×3, first 2 shown]
	scratch_store_b128 off, v[1:4], off offset:240
	s_waitcnt vmcnt(0)
	ds_store_b128 v210, v[5:8]
.LBB55_319:
	s_or_b32 exec_lo, exec_lo, s2
	s_waitcnt lgkmcnt(0)
	s_waitcnt_vscnt null, 0x0
	s_barrier
	buffer_gl0_inv
	s_clause 0x7
	scratch_load_b128 v[2:5], off, off offset:256
	scratch_load_b128 v[6:9], off, off offset:272
	scratch_load_b128 v[10:13], off, off offset:288
	scratch_load_b128 v[14:17], off, off offset:304
	scratch_load_b128 v[18:21], off, off offset:320
	scratch_load_b128 v[22:25], off, off offset:336
	scratch_load_b128 v[26:29], off, off offset:352
	scratch_load_b128 v[30:33], off, off offset:368
	ds_load_b128 v[38:41], v1 offset:1152
	ds_load_b128 v[167:170], v1 offset:1168
	s_clause 0x1
	scratch_load_b128 v[34:37], off, off offset:384
	scratch_load_b128 v[171:174], off, off offset:400
	s_mov_b32 s2, exec_lo
	s_waitcnt vmcnt(9) lgkmcnt(1)
	v_mul_f64 v[44:45], v[40:41], v[4:5]
	v_mul_f64 v[4:5], v[38:39], v[4:5]
	s_waitcnt vmcnt(8) lgkmcnt(0)
	v_mul_f64 v[46:47], v[167:168], v[8:9]
	v_mul_f64 v[8:9], v[169:170], v[8:9]
	s_delay_alu instid0(VALU_DEP_4) | instskip(NEXT) | instid1(VALU_DEP_4)
	v_fma_f64 v[44:45], v[38:39], v[2:3], -v[44:45]
	v_fma_f64 v[48:49], v[40:41], v[2:3], v[4:5]
	ds_load_b128 v[2:5], v1 offset:1184
	scratch_load_b128 v[38:41], off, off offset:416
	v_fma_f64 v[46:47], v[169:170], v[6:7], v[46:47]
	v_fma_f64 v[175:176], v[167:168], v[6:7], -v[8:9]
	scratch_load_b128 v[167:170], off, off offset:432
	ds_load_b128 v[6:9], v1 offset:1200
	s_waitcnt vmcnt(9) lgkmcnt(1)
	v_mul_f64 v[156:157], v[2:3], v[12:13]
	v_mul_f64 v[12:13], v[4:5], v[12:13]
	s_waitcnt vmcnt(8) lgkmcnt(0)
	v_mul_f64 v[177:178], v[6:7], v[16:17]
	v_mul_f64 v[16:17], v[8:9], v[16:17]
	v_add_f64 v[44:45], v[44:45], 0
	v_add_f64 v[48:49], v[48:49], 0
	v_fma_f64 v[156:157], v[4:5], v[10:11], v[156:157]
	v_fma_f64 v[179:180], v[2:3], v[10:11], -v[12:13]
	ds_load_b128 v[2:5], v1 offset:1216
	scratch_load_b128 v[10:13], off, off offset:448
	v_add_f64 v[44:45], v[44:45], v[175:176]
	v_add_f64 v[46:47], v[48:49], v[46:47]
	v_fma_f64 v[175:176], v[8:9], v[14:15], v[177:178]
	v_fma_f64 v[177:178], v[6:7], v[14:15], -v[16:17]
	scratch_load_b128 v[14:17], off, off offset:464
	ds_load_b128 v[6:9], v1 offset:1232
	s_waitcnt vmcnt(9) lgkmcnt(1)
	v_mul_f64 v[48:49], v[2:3], v[20:21]
	v_mul_f64 v[20:21], v[4:5], v[20:21]
	v_add_f64 v[44:45], v[44:45], v[179:180]
	v_add_f64 v[46:47], v[46:47], v[156:157]
	s_waitcnt vmcnt(8) lgkmcnt(0)
	v_mul_f64 v[156:157], v[6:7], v[24:25]
	v_mul_f64 v[24:25], v[8:9], v[24:25]
	v_fma_f64 v[48:49], v[4:5], v[18:19], v[48:49]
	v_fma_f64 v[179:180], v[2:3], v[18:19], -v[20:21]
	ds_load_b128 v[2:5], v1 offset:1248
	scratch_load_b128 v[18:21], off, off offset:480
	v_add_f64 v[44:45], v[44:45], v[177:178]
	v_add_f64 v[46:47], v[46:47], v[175:176]
	v_fma_f64 v[156:157], v[8:9], v[22:23], v[156:157]
	v_fma_f64 v[177:178], v[6:7], v[22:23], -v[24:25]
	scratch_load_b128 v[22:25], off, off offset:496
	ds_load_b128 v[6:9], v1 offset:1264
	s_waitcnt vmcnt(9) lgkmcnt(1)
	v_mul_f64 v[175:176], v[2:3], v[28:29]
	v_mul_f64 v[28:29], v[4:5], v[28:29]
	v_add_f64 v[44:45], v[44:45], v[179:180]
	v_add_f64 v[46:47], v[46:47], v[48:49]
	s_waitcnt vmcnt(8) lgkmcnt(0)
	v_mul_f64 v[48:49], v[6:7], v[32:33]
	v_mul_f64 v[32:33], v[8:9], v[32:33]
	;; [unrolled: 18-line block ×10, first 2 shown]
	v_fma_f64 v[48:49], v[4:5], v[10:11], v[48:49]
	v_fma_f64 v[179:180], v[2:3], v[10:11], -v[12:13]
	ds_load_b128 v[2:5], v1 offset:1536
	scratch_load_b128 v[10:13], off, off offset:768
	v_add_f64 v[44:45], v[44:45], v[177:178]
	v_add_f64 v[46:47], v[46:47], v[175:176]
	v_fma_f64 v[156:157], v[8:9], v[14:15], v[156:157]
	v_fma_f64 v[177:178], v[6:7], v[14:15], -v[16:17]
	ds_load_b128 v[6:9], v1 offset:1552
	s_waitcnt vmcnt(8) lgkmcnt(1)
	v_mul_f64 v[175:176], v[2:3], v[20:21]
	v_mul_f64 v[20:21], v[4:5], v[20:21]
	scratch_load_b128 v[14:17], off, off offset:784
	v_add_f64 v[44:45], v[44:45], v[179:180]
	v_add_f64 v[46:47], v[46:47], v[48:49]
	s_waitcnt vmcnt(8) lgkmcnt(0)
	v_mul_f64 v[48:49], v[6:7], v[24:25]
	v_mul_f64 v[24:25], v[8:9], v[24:25]
	v_fma_f64 v[175:176], v[4:5], v[18:19], v[175:176]
	v_fma_f64 v[179:180], v[2:3], v[18:19], -v[20:21]
	ds_load_b128 v[2:5], v1 offset:1568
	scratch_load_b128 v[18:21], off, off offset:800
	v_add_f64 v[44:45], v[44:45], v[177:178]
	v_add_f64 v[46:47], v[46:47], v[156:157]
	v_fma_f64 v[48:49], v[8:9], v[22:23], v[48:49]
	v_fma_f64 v[177:178], v[6:7], v[22:23], -v[24:25]
	ds_load_b128 v[6:9], v1 offset:1584
	s_waitcnt vmcnt(8) lgkmcnt(1)
	v_mul_f64 v[156:157], v[2:3], v[28:29]
	v_mul_f64 v[28:29], v[4:5], v[28:29]
	scratch_load_b128 v[22:25], off, off offset:816
	v_add_f64 v[44:45], v[44:45], v[179:180]
	v_add_f64 v[46:47], v[46:47], v[175:176]
	s_waitcnt vmcnt(8) lgkmcnt(0)
	v_mul_f64 v[175:176], v[6:7], v[32:33]
	v_mul_f64 v[32:33], v[8:9], v[32:33]
	v_fma_f64 v[156:157], v[4:5], v[26:27], v[156:157]
	v_fma_f64 v[179:180], v[2:3], v[26:27], -v[28:29]
	scratch_load_b128 v[26:29], off, off offset:832
	ds_load_b128 v[2:5], v1 offset:1600
	v_add_f64 v[44:45], v[44:45], v[177:178]
	v_add_f64 v[46:47], v[46:47], v[48:49]
	v_fma_f64 v[175:176], v[8:9], v[30:31], v[175:176]
	v_fma_f64 v[177:178], v[6:7], v[30:31], -v[32:33]
	ds_load_b128 v[6:9], v1 offset:1616
	s_waitcnt vmcnt(8) lgkmcnt(1)
	v_mul_f64 v[48:49], v[2:3], v[36:37]
	v_mul_f64 v[36:37], v[4:5], v[36:37]
	scratch_load_b128 v[30:33], off, off offset:848
	v_add_f64 v[44:45], v[44:45], v[179:180]
	v_add_f64 v[46:47], v[46:47], v[156:157]
	s_waitcnt vmcnt(8) lgkmcnt(0)
	v_mul_f64 v[156:157], v[6:7], v[173:174]
	v_mul_f64 v[173:174], v[8:9], v[173:174]
	v_fma_f64 v[48:49], v[4:5], v[34:35], v[48:49]
	v_fma_f64 v[179:180], v[2:3], v[34:35], -v[36:37]
	scratch_load_b128 v[34:37], off, off offset:864
	ds_load_b128 v[2:5], v1 offset:1632
	v_add_f64 v[44:45], v[44:45], v[177:178]
	v_add_f64 v[46:47], v[46:47], v[175:176]
	v_fma_f64 v[156:157], v[8:9], v[171:172], v[156:157]
	v_fma_f64 v[177:178], v[6:7], v[171:172], -v[173:174]
	ds_load_b128 v[6:9], v1 offset:1648
	s_waitcnt vmcnt(8) lgkmcnt(1)
	v_mul_f64 v[175:176], v[2:3], v[40:41]
	v_mul_f64 v[40:41], v[4:5], v[40:41]
	scratch_load_b128 v[171:174], off, off offset:880
	v_add_f64 v[44:45], v[44:45], v[179:180]
	v_add_f64 v[46:47], v[46:47], v[48:49]
	s_waitcnt vmcnt(8) lgkmcnt(0)
	v_mul_f64 v[48:49], v[6:7], v[169:170]
	v_mul_f64 v[169:170], v[8:9], v[169:170]
	v_fma_f64 v[175:176], v[4:5], v[38:39], v[175:176]
	v_fma_f64 v[38:39], v[2:3], v[38:39], -v[40:41]
	ds_load_b128 v[2:5], v1 offset:1664
	v_add_f64 v[40:41], v[44:45], v[177:178]
	v_add_f64 v[44:45], v[46:47], v[156:157]
	v_fma_f64 v[48:49], v[8:9], v[167:168], v[48:49]
	v_fma_f64 v[156:157], v[6:7], v[167:168], -v[169:170]
	ds_load_b128 v[6:9], v1 offset:1680
	s_waitcnt vmcnt(7) lgkmcnt(1)
	v_mul_f64 v[46:47], v[2:3], v[12:13]
	v_mul_f64 v[12:13], v[4:5], v[12:13]
	v_add_f64 v[38:39], v[40:41], v[38:39]
	v_add_f64 v[40:41], v[44:45], v[175:176]
	s_delay_alu instid0(VALU_DEP_4) | instskip(NEXT) | instid1(VALU_DEP_4)
	v_fma_f64 v[46:47], v[4:5], v[10:11], v[46:47]
	v_fma_f64 v[167:168], v[2:3], v[10:11], -v[12:13]
	scratch_load_b128 v[10:13], off, off offset:240
	s_waitcnt vmcnt(7) lgkmcnt(0)
	v_mul_f64 v[44:45], v[6:7], v[16:17]
	v_mul_f64 v[16:17], v[8:9], v[16:17]
	ds_load_b128 v[2:5], v1 offset:1696
	v_add_f64 v[38:39], v[38:39], v[156:157]
	v_add_f64 v[40:41], v[40:41], v[48:49]
	v_fma_f64 v[44:45], v[8:9], v[14:15], v[44:45]
	v_fma_f64 v[14:15], v[6:7], v[14:15], -v[16:17]
	ds_load_b128 v[6:9], v1 offset:1712
	s_waitcnt vmcnt(6) lgkmcnt(1)
	v_mul_f64 v[48:49], v[2:3], v[20:21]
	v_mul_f64 v[20:21], v[4:5], v[20:21]
	v_add_f64 v[16:17], v[38:39], v[167:168]
	v_add_f64 v[38:39], v[40:41], v[46:47]
	s_waitcnt vmcnt(5) lgkmcnt(0)
	v_mul_f64 v[40:41], v[6:7], v[24:25]
	v_mul_f64 v[24:25], v[8:9], v[24:25]
	v_fma_f64 v[46:47], v[4:5], v[18:19], v[48:49]
	v_fma_f64 v[18:19], v[2:3], v[18:19], -v[20:21]
	ds_load_b128 v[2:5], v1 offset:1728
	v_add_f64 v[14:15], v[16:17], v[14:15]
	v_add_f64 v[16:17], v[38:39], v[44:45]
	v_fma_f64 v[38:39], v[8:9], v[22:23], v[40:41]
	v_fma_f64 v[22:23], v[6:7], v[22:23], -v[24:25]
	ds_load_b128 v[6:9], v1 offset:1744
	s_waitcnt vmcnt(4) lgkmcnt(1)
	v_mul_f64 v[20:21], v[2:3], v[28:29]
	v_mul_f64 v[28:29], v[4:5], v[28:29]
	s_waitcnt vmcnt(3) lgkmcnt(0)
	v_mul_f64 v[24:25], v[8:9], v[32:33]
	v_add_f64 v[14:15], v[14:15], v[18:19]
	v_add_f64 v[16:17], v[16:17], v[46:47]
	v_mul_f64 v[18:19], v[6:7], v[32:33]
	v_fma_f64 v[20:21], v[4:5], v[26:27], v[20:21]
	v_fma_f64 v[26:27], v[2:3], v[26:27], -v[28:29]
	ds_load_b128 v[2:5], v1 offset:1760
	v_fma_f64 v[24:25], v[6:7], v[30:31], -v[24:25]
	v_add_f64 v[14:15], v[14:15], v[22:23]
	v_add_f64 v[16:17], v[16:17], v[38:39]
	v_fma_f64 v[18:19], v[8:9], v[30:31], v[18:19]
	ds_load_b128 v[6:9], v1 offset:1776
	s_waitcnt vmcnt(2) lgkmcnt(1)
	v_mul_f64 v[22:23], v[2:3], v[36:37]
	v_mul_f64 v[28:29], v[4:5], v[36:37]
	v_add_f64 v[14:15], v[14:15], v[26:27]
	v_add_f64 v[16:17], v[16:17], v[20:21]
	s_waitcnt vmcnt(1) lgkmcnt(0)
	v_mul_f64 v[20:21], v[6:7], v[173:174]
	v_mul_f64 v[26:27], v[8:9], v[173:174]
	v_fma_f64 v[4:5], v[4:5], v[34:35], v[22:23]
	v_fma_f64 v[1:2], v[2:3], v[34:35], -v[28:29]
	v_add_f64 v[14:15], v[14:15], v[24:25]
	v_add_f64 v[16:17], v[16:17], v[18:19]
	v_fma_f64 v[8:9], v[8:9], v[171:172], v[20:21]
	v_fma_f64 v[6:7], v[6:7], v[171:172], -v[26:27]
	s_delay_alu instid0(VALU_DEP_4) | instskip(NEXT) | instid1(VALU_DEP_4)
	v_add_f64 v[1:2], v[14:15], v[1:2]
	v_add_f64 v[3:4], v[16:17], v[4:5]
	s_delay_alu instid0(VALU_DEP_2) | instskip(NEXT) | instid1(VALU_DEP_2)
	v_add_f64 v[1:2], v[1:2], v[6:7]
	v_add_f64 v[3:4], v[3:4], v[8:9]
	s_waitcnt vmcnt(0)
	s_delay_alu instid0(VALU_DEP_2) | instskip(NEXT) | instid1(VALU_DEP_2)
	v_add_f64 v[1:2], v[10:11], -v[1:2]
	v_add_f64 v[3:4], v[12:13], -v[3:4]
	scratch_store_b128 off, v[1:4], off offset:240
	v_cmpx_lt_u32_e32 14, v154
	s_cbranch_execz .LBB55_321
; %bb.320:
	scratch_load_b128 v[1:4], v196, off
	v_mov_b32_e32 v5, 0
	s_delay_alu instid0(VALU_DEP_1)
	v_mov_b32_e32 v6, v5
	v_mov_b32_e32 v7, v5
	;; [unrolled: 1-line block ×3, first 2 shown]
	scratch_store_b128 off, v[5:8], off offset:224
	s_waitcnt vmcnt(0)
	ds_store_b128 v210, v[1:4]
.LBB55_321:
	s_or_b32 exec_lo, exec_lo, s2
	s_waitcnt lgkmcnt(0)
	s_waitcnt_vscnt null, 0x0
	s_barrier
	buffer_gl0_inv
	s_clause 0x7
	scratch_load_b128 v[2:5], off, off offset:240
	scratch_load_b128 v[6:9], off, off offset:256
	;; [unrolled: 1-line block ×8, first 2 shown]
	v_mov_b32_e32 v1, 0
	s_clause 0x1
	scratch_load_b128 v[34:37], off, off offset:368
	scratch_load_b128 v[171:174], off, off offset:384
	s_mov_b32 s2, exec_lo
	ds_load_b128 v[38:41], v1 offset:1136
	ds_load_b128 v[167:170], v1 offset:1152
	s_waitcnt vmcnt(9) lgkmcnt(1)
	v_mul_f64 v[44:45], v[40:41], v[4:5]
	v_mul_f64 v[4:5], v[38:39], v[4:5]
	s_waitcnt vmcnt(8) lgkmcnt(0)
	v_mul_f64 v[46:47], v[167:168], v[8:9]
	v_mul_f64 v[8:9], v[169:170], v[8:9]
	s_delay_alu instid0(VALU_DEP_4) | instskip(NEXT) | instid1(VALU_DEP_4)
	v_fma_f64 v[44:45], v[38:39], v[2:3], -v[44:45]
	v_fma_f64 v[48:49], v[40:41], v[2:3], v[4:5]
	ds_load_b128 v[2:5], v1 offset:1168
	scratch_load_b128 v[38:41], off, off offset:400
	v_fma_f64 v[46:47], v[169:170], v[6:7], v[46:47]
	v_fma_f64 v[175:176], v[167:168], v[6:7], -v[8:9]
	scratch_load_b128 v[167:170], off, off offset:416
	ds_load_b128 v[6:9], v1 offset:1184
	s_waitcnt vmcnt(9) lgkmcnt(1)
	v_mul_f64 v[156:157], v[2:3], v[12:13]
	v_mul_f64 v[12:13], v[4:5], v[12:13]
	s_waitcnt vmcnt(8) lgkmcnt(0)
	v_mul_f64 v[177:178], v[6:7], v[16:17]
	v_mul_f64 v[16:17], v[8:9], v[16:17]
	v_add_f64 v[44:45], v[44:45], 0
	v_add_f64 v[48:49], v[48:49], 0
	v_fma_f64 v[156:157], v[4:5], v[10:11], v[156:157]
	v_fma_f64 v[179:180], v[2:3], v[10:11], -v[12:13]
	ds_load_b128 v[2:5], v1 offset:1200
	scratch_load_b128 v[10:13], off, off offset:432
	v_add_f64 v[44:45], v[44:45], v[175:176]
	v_add_f64 v[46:47], v[48:49], v[46:47]
	v_fma_f64 v[175:176], v[8:9], v[14:15], v[177:178]
	v_fma_f64 v[177:178], v[6:7], v[14:15], -v[16:17]
	scratch_load_b128 v[14:17], off, off offset:448
	ds_load_b128 v[6:9], v1 offset:1216
	s_waitcnt vmcnt(9) lgkmcnt(1)
	v_mul_f64 v[48:49], v[2:3], v[20:21]
	v_mul_f64 v[20:21], v[4:5], v[20:21]
	v_add_f64 v[44:45], v[44:45], v[179:180]
	v_add_f64 v[46:47], v[46:47], v[156:157]
	s_waitcnt vmcnt(8) lgkmcnt(0)
	v_mul_f64 v[156:157], v[6:7], v[24:25]
	v_mul_f64 v[24:25], v[8:9], v[24:25]
	v_fma_f64 v[48:49], v[4:5], v[18:19], v[48:49]
	v_fma_f64 v[179:180], v[2:3], v[18:19], -v[20:21]
	ds_load_b128 v[2:5], v1 offset:1232
	scratch_load_b128 v[18:21], off, off offset:464
	v_add_f64 v[44:45], v[44:45], v[177:178]
	v_add_f64 v[46:47], v[46:47], v[175:176]
	v_fma_f64 v[156:157], v[8:9], v[22:23], v[156:157]
	v_fma_f64 v[177:178], v[6:7], v[22:23], -v[24:25]
	scratch_load_b128 v[22:25], off, off offset:480
	ds_load_b128 v[6:9], v1 offset:1248
	s_waitcnt vmcnt(9) lgkmcnt(1)
	v_mul_f64 v[175:176], v[2:3], v[28:29]
	v_mul_f64 v[28:29], v[4:5], v[28:29]
	v_add_f64 v[44:45], v[44:45], v[179:180]
	v_add_f64 v[46:47], v[46:47], v[48:49]
	s_waitcnt vmcnt(8) lgkmcnt(0)
	v_mul_f64 v[48:49], v[6:7], v[32:33]
	v_mul_f64 v[32:33], v[8:9], v[32:33]
	;; [unrolled: 18-line block ×11, first 2 shown]
	v_fma_f64 v[175:176], v[4:5], v[18:19], v[175:176]
	v_fma_f64 v[179:180], v[2:3], v[18:19], -v[20:21]
	ds_load_b128 v[2:5], v1 offset:1552
	scratch_load_b128 v[18:21], off, off offset:784
	v_add_f64 v[44:45], v[44:45], v[177:178]
	v_add_f64 v[46:47], v[46:47], v[156:157]
	v_fma_f64 v[48:49], v[8:9], v[22:23], v[48:49]
	v_fma_f64 v[177:178], v[6:7], v[22:23], -v[24:25]
	ds_load_b128 v[6:9], v1 offset:1568
	s_waitcnt vmcnt(8) lgkmcnt(1)
	v_mul_f64 v[156:157], v[2:3], v[28:29]
	v_mul_f64 v[28:29], v[4:5], v[28:29]
	scratch_load_b128 v[22:25], off, off offset:800
	v_add_f64 v[44:45], v[44:45], v[179:180]
	v_add_f64 v[46:47], v[46:47], v[175:176]
	s_waitcnt vmcnt(8) lgkmcnt(0)
	v_mul_f64 v[175:176], v[6:7], v[32:33]
	v_mul_f64 v[32:33], v[8:9], v[32:33]
	v_fma_f64 v[156:157], v[4:5], v[26:27], v[156:157]
	v_fma_f64 v[179:180], v[2:3], v[26:27], -v[28:29]
	scratch_load_b128 v[26:29], off, off offset:816
	ds_load_b128 v[2:5], v1 offset:1584
	v_add_f64 v[44:45], v[44:45], v[177:178]
	v_add_f64 v[46:47], v[46:47], v[48:49]
	v_fma_f64 v[175:176], v[8:9], v[30:31], v[175:176]
	v_fma_f64 v[177:178], v[6:7], v[30:31], -v[32:33]
	ds_load_b128 v[6:9], v1 offset:1600
	s_waitcnt vmcnt(8) lgkmcnt(1)
	v_mul_f64 v[48:49], v[2:3], v[36:37]
	v_mul_f64 v[36:37], v[4:5], v[36:37]
	scratch_load_b128 v[30:33], off, off offset:832
	v_add_f64 v[44:45], v[44:45], v[179:180]
	v_add_f64 v[46:47], v[46:47], v[156:157]
	s_waitcnt vmcnt(8) lgkmcnt(0)
	v_mul_f64 v[156:157], v[6:7], v[173:174]
	v_mul_f64 v[173:174], v[8:9], v[173:174]
	v_fma_f64 v[48:49], v[4:5], v[34:35], v[48:49]
	v_fma_f64 v[179:180], v[2:3], v[34:35], -v[36:37]
	scratch_load_b128 v[34:37], off, off offset:848
	ds_load_b128 v[2:5], v1 offset:1616
	;; [unrolled: 18-line block ×3, first 2 shown]
	v_add_f64 v[44:45], v[44:45], v[177:178]
	v_add_f64 v[46:47], v[46:47], v[156:157]
	v_fma_f64 v[48:49], v[8:9], v[167:168], v[48:49]
	v_fma_f64 v[167:168], v[6:7], v[167:168], -v[169:170]
	ds_load_b128 v[6:9], v1 offset:1664
	s_waitcnt vmcnt(8) lgkmcnt(1)
	v_mul_f64 v[156:157], v[2:3], v[12:13]
	v_mul_f64 v[12:13], v[4:5], v[12:13]
	s_waitcnt vmcnt(7) lgkmcnt(0)
	v_mul_f64 v[169:170], v[6:7], v[16:17]
	v_mul_f64 v[16:17], v[8:9], v[16:17]
	v_add_f64 v[44:45], v[44:45], v[179:180]
	v_add_f64 v[46:47], v[46:47], v[175:176]
	v_fma_f64 v[156:157], v[4:5], v[10:11], v[156:157]
	v_fma_f64 v[10:11], v[2:3], v[10:11], -v[12:13]
	ds_load_b128 v[2:5], v1 offset:1680
	v_add_f64 v[12:13], v[44:45], v[167:168]
	v_add_f64 v[44:45], v[46:47], v[48:49]
	v_fma_f64 v[48:49], v[8:9], v[14:15], v[169:170]
	v_fma_f64 v[14:15], v[6:7], v[14:15], -v[16:17]
	ds_load_b128 v[6:9], v1 offset:1696
	v_add_f64 v[16:17], v[12:13], v[10:11]
	v_add_f64 v[44:45], v[44:45], v[156:157]
	scratch_load_b128 v[10:13], off, off offset:224
	s_waitcnt vmcnt(7) lgkmcnt(1)
	v_mul_f64 v[46:47], v[2:3], v[20:21]
	v_mul_f64 v[20:21], v[4:5], v[20:21]
	s_waitcnt vmcnt(6) lgkmcnt(0)
	v_mul_f64 v[156:157], v[6:7], v[24:25]
	v_mul_f64 v[24:25], v[8:9], v[24:25]
	v_add_f64 v[14:15], v[16:17], v[14:15]
	v_add_f64 v[16:17], v[44:45], v[48:49]
	v_fma_f64 v[46:47], v[4:5], v[18:19], v[46:47]
	v_fma_f64 v[18:19], v[2:3], v[18:19], -v[20:21]
	ds_load_b128 v[2:5], v1 offset:1712
	v_fma_f64 v[44:45], v[8:9], v[22:23], v[156:157]
	v_fma_f64 v[22:23], v[6:7], v[22:23], -v[24:25]
	ds_load_b128 v[6:9], v1 offset:1728
	s_waitcnt vmcnt(5) lgkmcnt(1)
	v_mul_f64 v[20:21], v[2:3], v[28:29]
	v_mul_f64 v[28:29], v[4:5], v[28:29]
	s_waitcnt vmcnt(4) lgkmcnt(0)
	v_mul_f64 v[24:25], v[8:9], v[32:33]
	v_add_f64 v[16:17], v[16:17], v[46:47]
	v_add_f64 v[14:15], v[14:15], v[18:19]
	v_mul_f64 v[18:19], v[6:7], v[32:33]
	v_fma_f64 v[20:21], v[4:5], v[26:27], v[20:21]
	v_fma_f64 v[26:27], v[2:3], v[26:27], -v[28:29]
	ds_load_b128 v[2:5], v1 offset:1744
	v_fma_f64 v[24:25], v[6:7], v[30:31], -v[24:25]
	v_add_f64 v[16:17], v[16:17], v[44:45]
	v_add_f64 v[14:15], v[14:15], v[22:23]
	v_fma_f64 v[18:19], v[8:9], v[30:31], v[18:19]
	ds_load_b128 v[6:9], v1 offset:1760
	s_waitcnt vmcnt(3) lgkmcnt(1)
	v_mul_f64 v[22:23], v[2:3], v[36:37]
	v_mul_f64 v[28:29], v[4:5], v[36:37]
	v_add_f64 v[16:17], v[16:17], v[20:21]
	v_add_f64 v[14:15], v[14:15], v[26:27]
	s_waitcnt vmcnt(2) lgkmcnt(0)
	v_mul_f64 v[20:21], v[6:7], v[173:174]
	v_mul_f64 v[26:27], v[8:9], v[173:174]
	v_fma_f64 v[22:23], v[4:5], v[34:35], v[22:23]
	v_fma_f64 v[28:29], v[2:3], v[34:35], -v[28:29]
	ds_load_b128 v[2:5], v1 offset:1776
	v_add_f64 v[16:17], v[16:17], v[18:19]
	v_add_f64 v[14:15], v[14:15], v[24:25]
	s_waitcnt vmcnt(1) lgkmcnt(0)
	v_mul_f64 v[18:19], v[2:3], v[40:41]
	v_mul_f64 v[24:25], v[4:5], v[40:41]
	v_fma_f64 v[8:9], v[8:9], v[171:172], v[20:21]
	v_fma_f64 v[6:7], v[6:7], v[171:172], -v[26:27]
	v_add_f64 v[16:17], v[16:17], v[22:23]
	v_add_f64 v[14:15], v[14:15], v[28:29]
	v_fma_f64 v[4:5], v[4:5], v[38:39], v[18:19]
	v_fma_f64 v[2:3], v[2:3], v[38:39], -v[24:25]
	s_delay_alu instid0(VALU_DEP_4) | instskip(NEXT) | instid1(VALU_DEP_4)
	v_add_f64 v[8:9], v[16:17], v[8:9]
	v_add_f64 v[6:7], v[14:15], v[6:7]
	s_delay_alu instid0(VALU_DEP_2) | instskip(NEXT) | instid1(VALU_DEP_2)
	v_add_f64 v[4:5], v[8:9], v[4:5]
	v_add_f64 v[2:3], v[6:7], v[2:3]
	s_waitcnt vmcnt(0)
	s_delay_alu instid0(VALU_DEP_2) | instskip(NEXT) | instid1(VALU_DEP_2)
	v_add_f64 v[4:5], v[12:13], -v[4:5]
	v_add_f64 v[2:3], v[10:11], -v[2:3]
	scratch_store_b128 off, v[2:5], off offset:224
	v_cmpx_lt_u32_e32 13, v154
	s_cbranch_execz .LBB55_323
; %bb.322:
	scratch_load_b128 v[5:8], v197, off
	v_mov_b32_e32 v2, v1
	v_mov_b32_e32 v3, v1
	;; [unrolled: 1-line block ×3, first 2 shown]
	scratch_store_b128 off, v[1:4], off offset:208
	s_waitcnt vmcnt(0)
	ds_store_b128 v210, v[5:8]
.LBB55_323:
	s_or_b32 exec_lo, exec_lo, s2
	s_waitcnt lgkmcnt(0)
	s_waitcnt_vscnt null, 0x0
	s_barrier
	buffer_gl0_inv
	s_clause 0x7
	scratch_load_b128 v[2:5], off, off offset:224
	scratch_load_b128 v[6:9], off, off offset:240
	;; [unrolled: 1-line block ×8, first 2 shown]
	ds_load_b128 v[38:41], v1 offset:1120
	ds_load_b128 v[167:170], v1 offset:1136
	s_clause 0x1
	scratch_load_b128 v[34:37], off, off offset:352
	scratch_load_b128 v[171:174], off, off offset:368
	s_mov_b32 s2, exec_lo
	s_waitcnt vmcnt(9) lgkmcnt(1)
	v_mul_f64 v[44:45], v[40:41], v[4:5]
	v_mul_f64 v[4:5], v[38:39], v[4:5]
	s_waitcnt vmcnt(8) lgkmcnt(0)
	v_mul_f64 v[46:47], v[167:168], v[8:9]
	v_mul_f64 v[8:9], v[169:170], v[8:9]
	s_delay_alu instid0(VALU_DEP_4) | instskip(NEXT) | instid1(VALU_DEP_4)
	v_fma_f64 v[44:45], v[38:39], v[2:3], -v[44:45]
	v_fma_f64 v[48:49], v[40:41], v[2:3], v[4:5]
	ds_load_b128 v[2:5], v1 offset:1152
	scratch_load_b128 v[38:41], off, off offset:384
	v_fma_f64 v[46:47], v[169:170], v[6:7], v[46:47]
	v_fma_f64 v[175:176], v[167:168], v[6:7], -v[8:9]
	scratch_load_b128 v[167:170], off, off offset:400
	ds_load_b128 v[6:9], v1 offset:1168
	s_waitcnt vmcnt(9) lgkmcnt(1)
	v_mul_f64 v[156:157], v[2:3], v[12:13]
	v_mul_f64 v[12:13], v[4:5], v[12:13]
	s_waitcnt vmcnt(8) lgkmcnt(0)
	v_mul_f64 v[177:178], v[6:7], v[16:17]
	v_mul_f64 v[16:17], v[8:9], v[16:17]
	v_add_f64 v[44:45], v[44:45], 0
	v_add_f64 v[48:49], v[48:49], 0
	v_fma_f64 v[156:157], v[4:5], v[10:11], v[156:157]
	v_fma_f64 v[179:180], v[2:3], v[10:11], -v[12:13]
	ds_load_b128 v[2:5], v1 offset:1184
	scratch_load_b128 v[10:13], off, off offset:416
	v_add_f64 v[44:45], v[44:45], v[175:176]
	v_add_f64 v[46:47], v[48:49], v[46:47]
	v_fma_f64 v[175:176], v[8:9], v[14:15], v[177:178]
	v_fma_f64 v[177:178], v[6:7], v[14:15], -v[16:17]
	scratch_load_b128 v[14:17], off, off offset:432
	ds_load_b128 v[6:9], v1 offset:1200
	s_waitcnt vmcnt(9) lgkmcnt(1)
	v_mul_f64 v[48:49], v[2:3], v[20:21]
	v_mul_f64 v[20:21], v[4:5], v[20:21]
	v_add_f64 v[44:45], v[44:45], v[179:180]
	v_add_f64 v[46:47], v[46:47], v[156:157]
	s_waitcnt vmcnt(8) lgkmcnt(0)
	v_mul_f64 v[156:157], v[6:7], v[24:25]
	v_mul_f64 v[24:25], v[8:9], v[24:25]
	v_fma_f64 v[48:49], v[4:5], v[18:19], v[48:49]
	v_fma_f64 v[179:180], v[2:3], v[18:19], -v[20:21]
	ds_load_b128 v[2:5], v1 offset:1216
	scratch_load_b128 v[18:21], off, off offset:448
	v_add_f64 v[44:45], v[44:45], v[177:178]
	v_add_f64 v[46:47], v[46:47], v[175:176]
	v_fma_f64 v[156:157], v[8:9], v[22:23], v[156:157]
	v_fma_f64 v[177:178], v[6:7], v[22:23], -v[24:25]
	scratch_load_b128 v[22:25], off, off offset:464
	ds_load_b128 v[6:9], v1 offset:1232
	s_waitcnt vmcnt(9) lgkmcnt(1)
	v_mul_f64 v[175:176], v[2:3], v[28:29]
	v_mul_f64 v[28:29], v[4:5], v[28:29]
	v_add_f64 v[44:45], v[44:45], v[179:180]
	v_add_f64 v[46:47], v[46:47], v[48:49]
	s_waitcnt vmcnt(8) lgkmcnt(0)
	v_mul_f64 v[48:49], v[6:7], v[32:33]
	v_mul_f64 v[32:33], v[8:9], v[32:33]
	;; [unrolled: 18-line block ×11, first 2 shown]
	v_fma_f64 v[175:176], v[4:5], v[18:19], v[175:176]
	v_fma_f64 v[179:180], v[2:3], v[18:19], -v[20:21]
	ds_load_b128 v[2:5], v1 offset:1536
	scratch_load_b128 v[18:21], off, off offset:768
	v_add_f64 v[44:45], v[44:45], v[177:178]
	v_add_f64 v[46:47], v[46:47], v[156:157]
	v_fma_f64 v[48:49], v[8:9], v[22:23], v[48:49]
	v_fma_f64 v[177:178], v[6:7], v[22:23], -v[24:25]
	ds_load_b128 v[6:9], v1 offset:1552
	s_waitcnt vmcnt(8) lgkmcnt(1)
	v_mul_f64 v[156:157], v[2:3], v[28:29]
	v_mul_f64 v[28:29], v[4:5], v[28:29]
	scratch_load_b128 v[22:25], off, off offset:784
	v_add_f64 v[44:45], v[44:45], v[179:180]
	v_add_f64 v[46:47], v[46:47], v[175:176]
	s_waitcnt vmcnt(8) lgkmcnt(0)
	v_mul_f64 v[175:176], v[6:7], v[32:33]
	v_mul_f64 v[32:33], v[8:9], v[32:33]
	v_fma_f64 v[156:157], v[4:5], v[26:27], v[156:157]
	v_fma_f64 v[179:180], v[2:3], v[26:27], -v[28:29]
	ds_load_b128 v[2:5], v1 offset:1568
	scratch_load_b128 v[26:29], off, off offset:800
	v_add_f64 v[44:45], v[44:45], v[177:178]
	v_add_f64 v[46:47], v[46:47], v[48:49]
	v_fma_f64 v[175:176], v[8:9], v[30:31], v[175:176]
	v_fma_f64 v[177:178], v[6:7], v[30:31], -v[32:33]
	ds_load_b128 v[6:9], v1 offset:1584
	s_waitcnt vmcnt(8) lgkmcnt(1)
	v_mul_f64 v[48:49], v[2:3], v[36:37]
	v_mul_f64 v[36:37], v[4:5], v[36:37]
	scratch_load_b128 v[30:33], off, off offset:816
	v_add_f64 v[44:45], v[44:45], v[179:180]
	v_add_f64 v[46:47], v[46:47], v[156:157]
	s_waitcnt vmcnt(8) lgkmcnt(0)
	v_mul_f64 v[156:157], v[6:7], v[173:174]
	v_mul_f64 v[173:174], v[8:9], v[173:174]
	v_fma_f64 v[48:49], v[4:5], v[34:35], v[48:49]
	v_fma_f64 v[179:180], v[2:3], v[34:35], -v[36:37]
	scratch_load_b128 v[34:37], off, off offset:832
	ds_load_b128 v[2:5], v1 offset:1600
	v_add_f64 v[44:45], v[44:45], v[177:178]
	v_add_f64 v[46:47], v[46:47], v[175:176]
	v_fma_f64 v[156:157], v[8:9], v[171:172], v[156:157]
	v_fma_f64 v[177:178], v[6:7], v[171:172], -v[173:174]
	ds_load_b128 v[6:9], v1 offset:1616
	s_waitcnt vmcnt(8) lgkmcnt(1)
	v_mul_f64 v[175:176], v[2:3], v[40:41]
	v_mul_f64 v[40:41], v[4:5], v[40:41]
	scratch_load_b128 v[171:174], off, off offset:848
	v_add_f64 v[44:45], v[44:45], v[179:180]
	v_add_f64 v[46:47], v[46:47], v[48:49]
	s_waitcnt vmcnt(8) lgkmcnt(0)
	v_mul_f64 v[48:49], v[6:7], v[169:170]
	v_mul_f64 v[169:170], v[8:9], v[169:170]
	v_fma_f64 v[175:176], v[4:5], v[38:39], v[175:176]
	v_fma_f64 v[179:180], v[2:3], v[38:39], -v[40:41]
	scratch_load_b128 v[38:41], off, off offset:864
	ds_load_b128 v[2:5], v1 offset:1632
	v_add_f64 v[44:45], v[44:45], v[177:178]
	v_add_f64 v[46:47], v[46:47], v[156:157]
	v_fma_f64 v[48:49], v[8:9], v[167:168], v[48:49]
	v_fma_f64 v[177:178], v[6:7], v[167:168], -v[169:170]
	ds_load_b128 v[6:9], v1 offset:1648
	s_waitcnt vmcnt(8) lgkmcnt(1)
	v_mul_f64 v[156:157], v[2:3], v[12:13]
	v_mul_f64 v[12:13], v[4:5], v[12:13]
	scratch_load_b128 v[167:170], off, off offset:880
	v_add_f64 v[44:45], v[44:45], v[179:180]
	v_add_f64 v[46:47], v[46:47], v[175:176]
	s_waitcnt vmcnt(8) lgkmcnt(0)
	v_mul_f64 v[175:176], v[6:7], v[16:17]
	v_mul_f64 v[16:17], v[8:9], v[16:17]
	v_fma_f64 v[156:157], v[4:5], v[10:11], v[156:157]
	v_fma_f64 v[10:11], v[2:3], v[10:11], -v[12:13]
	ds_load_b128 v[2:5], v1 offset:1664
	v_add_f64 v[12:13], v[44:45], v[177:178]
	v_add_f64 v[44:45], v[46:47], v[48:49]
	v_fma_f64 v[48:49], v[8:9], v[14:15], v[175:176]
	v_fma_f64 v[14:15], v[6:7], v[14:15], -v[16:17]
	ds_load_b128 v[6:9], v1 offset:1680
	s_waitcnt vmcnt(7) lgkmcnt(1)
	v_mul_f64 v[46:47], v[2:3], v[20:21]
	v_mul_f64 v[20:21], v[4:5], v[20:21]
	v_add_f64 v[10:11], v[12:13], v[10:11]
	v_add_f64 v[12:13], v[44:45], v[156:157]
	s_delay_alu instid0(VALU_DEP_4) | instskip(NEXT) | instid1(VALU_DEP_4)
	v_fma_f64 v[44:45], v[4:5], v[18:19], v[46:47]
	v_fma_f64 v[18:19], v[2:3], v[18:19], -v[20:21]
	ds_load_b128 v[2:5], v1 offset:1696
	v_add_f64 v[14:15], v[10:11], v[14:15]
	v_add_f64 v[20:21], v[12:13], v[48:49]
	scratch_load_b128 v[10:13], off, off offset:208
	s_waitcnt vmcnt(7) lgkmcnt(1)
	v_mul_f64 v[16:17], v[6:7], v[24:25]
	v_mul_f64 v[24:25], v[8:9], v[24:25]
	v_add_f64 v[14:15], v[14:15], v[18:19]
	v_add_f64 v[18:19], v[20:21], v[44:45]
	s_delay_alu instid0(VALU_DEP_4) | instskip(NEXT) | instid1(VALU_DEP_4)
	v_fma_f64 v[16:17], v[8:9], v[22:23], v[16:17]
	v_fma_f64 v[22:23], v[6:7], v[22:23], -v[24:25]
	ds_load_b128 v[6:9], v1 offset:1712
	s_waitcnt vmcnt(6) lgkmcnt(1)
	v_mul_f64 v[46:47], v[2:3], v[28:29]
	v_mul_f64 v[28:29], v[4:5], v[28:29]
	s_waitcnt vmcnt(5) lgkmcnt(0)
	v_mul_f64 v[20:21], v[6:7], v[32:33]
	v_mul_f64 v[24:25], v[8:9], v[32:33]
	v_add_f64 v[16:17], v[18:19], v[16:17]
	v_add_f64 v[14:15], v[14:15], v[22:23]
	v_fma_f64 v[32:33], v[4:5], v[26:27], v[46:47]
	v_fma_f64 v[26:27], v[2:3], v[26:27], -v[28:29]
	ds_load_b128 v[2:5], v1 offset:1728
	v_fma_f64 v[20:21], v[8:9], v[30:31], v[20:21]
	v_fma_f64 v[24:25], v[6:7], v[30:31], -v[24:25]
	ds_load_b128 v[6:9], v1 offset:1744
	s_waitcnt vmcnt(4) lgkmcnt(1)
	v_mul_f64 v[18:19], v[2:3], v[36:37]
	v_mul_f64 v[22:23], v[4:5], v[36:37]
	v_add_f64 v[16:17], v[16:17], v[32:33]
	v_add_f64 v[14:15], v[14:15], v[26:27]
	s_waitcnt vmcnt(3) lgkmcnt(0)
	v_mul_f64 v[26:27], v[6:7], v[173:174]
	v_mul_f64 v[28:29], v[8:9], v[173:174]
	v_fma_f64 v[18:19], v[4:5], v[34:35], v[18:19]
	v_fma_f64 v[22:23], v[2:3], v[34:35], -v[22:23]
	ds_load_b128 v[2:5], v1 offset:1760
	v_add_f64 v[16:17], v[16:17], v[20:21]
	v_add_f64 v[14:15], v[14:15], v[24:25]
	v_fma_f64 v[26:27], v[8:9], v[171:172], v[26:27]
	v_fma_f64 v[28:29], v[6:7], v[171:172], -v[28:29]
	ds_load_b128 v[6:9], v1 offset:1776
	s_waitcnt vmcnt(2) lgkmcnt(1)
	v_mul_f64 v[20:21], v[2:3], v[40:41]
	v_mul_f64 v[24:25], v[4:5], v[40:41]
	v_add_f64 v[16:17], v[16:17], v[18:19]
	v_add_f64 v[14:15], v[14:15], v[22:23]
	s_waitcnt vmcnt(1) lgkmcnt(0)
	v_mul_f64 v[18:19], v[6:7], v[169:170]
	v_mul_f64 v[22:23], v[8:9], v[169:170]
	v_fma_f64 v[4:5], v[4:5], v[38:39], v[20:21]
	v_fma_f64 v[1:2], v[2:3], v[38:39], -v[24:25]
	v_add_f64 v[16:17], v[16:17], v[26:27]
	v_add_f64 v[14:15], v[14:15], v[28:29]
	v_fma_f64 v[8:9], v[8:9], v[167:168], v[18:19]
	v_fma_f64 v[6:7], v[6:7], v[167:168], -v[22:23]
	s_delay_alu instid0(VALU_DEP_4) | instskip(NEXT) | instid1(VALU_DEP_4)
	v_add_f64 v[3:4], v[16:17], v[4:5]
	v_add_f64 v[1:2], v[14:15], v[1:2]
	s_delay_alu instid0(VALU_DEP_2) | instskip(NEXT) | instid1(VALU_DEP_2)
	v_add_f64 v[3:4], v[3:4], v[8:9]
	v_add_f64 v[1:2], v[1:2], v[6:7]
	s_waitcnt vmcnt(0)
	s_delay_alu instid0(VALU_DEP_2) | instskip(NEXT) | instid1(VALU_DEP_2)
	v_add_f64 v[3:4], v[12:13], -v[3:4]
	v_add_f64 v[1:2], v[10:11], -v[1:2]
	scratch_store_b128 off, v[1:4], off offset:208
	v_cmpx_lt_u32_e32 12, v154
	s_cbranch_execz .LBB55_325
; %bb.324:
	scratch_load_b128 v[1:4], v198, off
	v_mov_b32_e32 v5, 0
	s_delay_alu instid0(VALU_DEP_1)
	v_mov_b32_e32 v6, v5
	v_mov_b32_e32 v7, v5
	;; [unrolled: 1-line block ×3, first 2 shown]
	scratch_store_b128 off, v[5:8], off offset:192
	s_waitcnt vmcnt(0)
	ds_store_b128 v210, v[1:4]
.LBB55_325:
	s_or_b32 exec_lo, exec_lo, s2
	s_waitcnt lgkmcnt(0)
	s_waitcnt_vscnt null, 0x0
	s_barrier
	buffer_gl0_inv
	s_clause 0x7
	scratch_load_b128 v[2:5], off, off offset:208
	scratch_load_b128 v[6:9], off, off offset:224
	scratch_load_b128 v[10:13], off, off offset:240
	scratch_load_b128 v[14:17], off, off offset:256
	scratch_load_b128 v[18:21], off, off offset:272
	scratch_load_b128 v[22:25], off, off offset:288
	scratch_load_b128 v[26:29], off, off offset:304
	scratch_load_b128 v[30:33], off, off offset:320
	v_mov_b32_e32 v1, 0
	s_clause 0x1
	scratch_load_b128 v[34:37], off, off offset:336
	scratch_load_b128 v[171:174], off, off offset:352
	s_mov_b32 s2, exec_lo
	ds_load_b128 v[38:41], v1 offset:1104
	ds_load_b128 v[167:170], v1 offset:1120
	s_waitcnt vmcnt(9) lgkmcnt(1)
	v_mul_f64 v[44:45], v[40:41], v[4:5]
	v_mul_f64 v[4:5], v[38:39], v[4:5]
	s_waitcnt vmcnt(8) lgkmcnt(0)
	v_mul_f64 v[46:47], v[167:168], v[8:9]
	v_mul_f64 v[8:9], v[169:170], v[8:9]
	s_delay_alu instid0(VALU_DEP_4) | instskip(NEXT) | instid1(VALU_DEP_4)
	v_fma_f64 v[44:45], v[38:39], v[2:3], -v[44:45]
	v_fma_f64 v[48:49], v[40:41], v[2:3], v[4:5]
	ds_load_b128 v[2:5], v1 offset:1136
	scratch_load_b128 v[38:41], off, off offset:368
	v_fma_f64 v[46:47], v[169:170], v[6:7], v[46:47]
	v_fma_f64 v[175:176], v[167:168], v[6:7], -v[8:9]
	scratch_load_b128 v[167:170], off, off offset:384
	ds_load_b128 v[6:9], v1 offset:1152
	s_waitcnt vmcnt(9) lgkmcnt(1)
	v_mul_f64 v[156:157], v[2:3], v[12:13]
	v_mul_f64 v[12:13], v[4:5], v[12:13]
	s_waitcnt vmcnt(8) lgkmcnt(0)
	v_mul_f64 v[177:178], v[6:7], v[16:17]
	v_mul_f64 v[16:17], v[8:9], v[16:17]
	v_add_f64 v[44:45], v[44:45], 0
	v_add_f64 v[48:49], v[48:49], 0
	v_fma_f64 v[156:157], v[4:5], v[10:11], v[156:157]
	v_fma_f64 v[179:180], v[2:3], v[10:11], -v[12:13]
	ds_load_b128 v[2:5], v1 offset:1168
	scratch_load_b128 v[10:13], off, off offset:400
	v_add_f64 v[44:45], v[44:45], v[175:176]
	v_add_f64 v[46:47], v[48:49], v[46:47]
	v_fma_f64 v[175:176], v[8:9], v[14:15], v[177:178]
	v_fma_f64 v[177:178], v[6:7], v[14:15], -v[16:17]
	scratch_load_b128 v[14:17], off, off offset:416
	ds_load_b128 v[6:9], v1 offset:1184
	s_waitcnt vmcnt(9) lgkmcnt(1)
	v_mul_f64 v[48:49], v[2:3], v[20:21]
	v_mul_f64 v[20:21], v[4:5], v[20:21]
	v_add_f64 v[44:45], v[44:45], v[179:180]
	v_add_f64 v[46:47], v[46:47], v[156:157]
	s_waitcnt vmcnt(8) lgkmcnt(0)
	v_mul_f64 v[156:157], v[6:7], v[24:25]
	v_mul_f64 v[24:25], v[8:9], v[24:25]
	v_fma_f64 v[48:49], v[4:5], v[18:19], v[48:49]
	v_fma_f64 v[179:180], v[2:3], v[18:19], -v[20:21]
	ds_load_b128 v[2:5], v1 offset:1200
	scratch_load_b128 v[18:21], off, off offset:432
	v_add_f64 v[44:45], v[44:45], v[177:178]
	v_add_f64 v[46:47], v[46:47], v[175:176]
	v_fma_f64 v[156:157], v[8:9], v[22:23], v[156:157]
	v_fma_f64 v[177:178], v[6:7], v[22:23], -v[24:25]
	scratch_load_b128 v[22:25], off, off offset:448
	ds_load_b128 v[6:9], v1 offset:1216
	s_waitcnt vmcnt(9) lgkmcnt(1)
	v_mul_f64 v[175:176], v[2:3], v[28:29]
	v_mul_f64 v[28:29], v[4:5], v[28:29]
	v_add_f64 v[44:45], v[44:45], v[179:180]
	v_add_f64 v[46:47], v[46:47], v[48:49]
	s_waitcnt vmcnt(8) lgkmcnt(0)
	v_mul_f64 v[48:49], v[6:7], v[32:33]
	v_mul_f64 v[32:33], v[8:9], v[32:33]
	;; [unrolled: 18-line block ×12, first 2 shown]
	v_fma_f64 v[156:157], v[4:5], v[26:27], v[156:157]
	v_fma_f64 v[179:180], v[2:3], v[26:27], -v[28:29]
	ds_load_b128 v[2:5], v1 offset:1552
	scratch_load_b128 v[26:29], off, off offset:784
	v_add_f64 v[44:45], v[44:45], v[177:178]
	v_add_f64 v[46:47], v[46:47], v[48:49]
	v_fma_f64 v[175:176], v[8:9], v[30:31], v[175:176]
	v_fma_f64 v[177:178], v[6:7], v[30:31], -v[32:33]
	ds_load_b128 v[6:9], v1 offset:1568
	s_waitcnt vmcnt(8) lgkmcnt(1)
	v_mul_f64 v[48:49], v[2:3], v[36:37]
	v_mul_f64 v[36:37], v[4:5], v[36:37]
	scratch_load_b128 v[30:33], off, off offset:800
	v_add_f64 v[44:45], v[44:45], v[179:180]
	v_add_f64 v[46:47], v[46:47], v[156:157]
	s_waitcnt vmcnt(8) lgkmcnt(0)
	v_mul_f64 v[156:157], v[6:7], v[173:174]
	v_mul_f64 v[173:174], v[8:9], v[173:174]
	v_fma_f64 v[48:49], v[4:5], v[34:35], v[48:49]
	v_fma_f64 v[179:180], v[2:3], v[34:35], -v[36:37]
	scratch_load_b128 v[34:37], off, off offset:816
	ds_load_b128 v[2:5], v1 offset:1584
	v_add_f64 v[44:45], v[44:45], v[177:178]
	v_add_f64 v[46:47], v[46:47], v[175:176]
	v_fma_f64 v[156:157], v[8:9], v[171:172], v[156:157]
	v_fma_f64 v[177:178], v[6:7], v[171:172], -v[173:174]
	ds_load_b128 v[6:9], v1 offset:1600
	s_waitcnt vmcnt(8) lgkmcnt(1)
	v_mul_f64 v[175:176], v[2:3], v[40:41]
	v_mul_f64 v[40:41], v[4:5], v[40:41]
	scratch_load_b128 v[171:174], off, off offset:832
	v_add_f64 v[44:45], v[44:45], v[179:180]
	v_add_f64 v[46:47], v[46:47], v[48:49]
	s_waitcnt vmcnt(8) lgkmcnt(0)
	v_mul_f64 v[48:49], v[6:7], v[169:170]
	v_mul_f64 v[169:170], v[8:9], v[169:170]
	v_fma_f64 v[175:176], v[4:5], v[38:39], v[175:176]
	v_fma_f64 v[179:180], v[2:3], v[38:39], -v[40:41]
	scratch_load_b128 v[38:41], off, off offset:848
	ds_load_b128 v[2:5], v1 offset:1616
	;; [unrolled: 18-line block ×3, first 2 shown]
	v_add_f64 v[44:45], v[44:45], v[177:178]
	v_add_f64 v[46:47], v[46:47], v[48:49]
	v_fma_f64 v[175:176], v[8:9], v[14:15], v[175:176]
	v_fma_f64 v[14:15], v[6:7], v[14:15], -v[16:17]
	ds_load_b128 v[6:9], v1 offset:1664
	s_waitcnt vmcnt(8) lgkmcnt(1)
	v_mul_f64 v[48:49], v[2:3], v[20:21]
	v_mul_f64 v[20:21], v[4:5], v[20:21]
	v_add_f64 v[16:17], v[44:45], v[179:180]
	v_add_f64 v[44:45], v[46:47], v[156:157]
	s_waitcnt vmcnt(7) lgkmcnt(0)
	v_mul_f64 v[46:47], v[6:7], v[24:25]
	v_mul_f64 v[24:25], v[8:9], v[24:25]
	v_fma_f64 v[48:49], v[4:5], v[18:19], v[48:49]
	v_fma_f64 v[18:19], v[2:3], v[18:19], -v[20:21]
	ds_load_b128 v[2:5], v1 offset:1680
	v_add_f64 v[14:15], v[16:17], v[14:15]
	v_add_f64 v[16:17], v[44:45], v[175:176]
	v_fma_f64 v[44:45], v[8:9], v[22:23], v[46:47]
	v_fma_f64 v[22:23], v[6:7], v[22:23], -v[24:25]
	ds_load_b128 v[6:9], v1 offset:1696
	s_waitcnt vmcnt(5) lgkmcnt(0)
	v_mul_f64 v[46:47], v[6:7], v[32:33]
	v_mul_f64 v[32:33], v[8:9], v[32:33]
	v_add_f64 v[18:19], v[14:15], v[18:19]
	v_add_f64 v[24:25], v[16:17], v[48:49]
	scratch_load_b128 v[14:17], off, off offset:192
	v_mul_f64 v[20:21], v[2:3], v[28:29]
	v_mul_f64 v[28:29], v[4:5], v[28:29]
	v_add_f64 v[18:19], v[18:19], v[22:23]
	v_add_f64 v[22:23], v[24:25], v[44:45]
	s_delay_alu instid0(VALU_DEP_4) | instskip(NEXT) | instid1(VALU_DEP_4)
	v_fma_f64 v[20:21], v[4:5], v[26:27], v[20:21]
	v_fma_f64 v[26:27], v[2:3], v[26:27], -v[28:29]
	ds_load_b128 v[2:5], v1 offset:1712
	s_waitcnt vmcnt(5) lgkmcnt(0)
	v_mul_f64 v[24:25], v[2:3], v[36:37]
	v_mul_f64 v[28:29], v[4:5], v[36:37]
	v_fma_f64 v[36:37], v[8:9], v[30:31], v[46:47]
	v_fma_f64 v[30:31], v[6:7], v[30:31], -v[32:33]
	ds_load_b128 v[6:9], v1 offset:1728
	v_add_f64 v[20:21], v[22:23], v[20:21]
	v_add_f64 v[18:19], v[18:19], v[26:27]
	v_fma_f64 v[24:25], v[4:5], v[34:35], v[24:25]
	v_fma_f64 v[28:29], v[2:3], v[34:35], -v[28:29]
	ds_load_b128 v[2:5], v1 offset:1744
	s_waitcnt vmcnt(4) lgkmcnt(1)
	v_mul_f64 v[22:23], v[6:7], v[173:174]
	v_mul_f64 v[26:27], v[8:9], v[173:174]
	v_add_f64 v[20:21], v[20:21], v[36:37]
	v_add_f64 v[18:19], v[18:19], v[30:31]
	s_waitcnt vmcnt(3) lgkmcnt(0)
	v_mul_f64 v[30:31], v[2:3], v[40:41]
	v_mul_f64 v[32:33], v[4:5], v[40:41]
	v_fma_f64 v[22:23], v[8:9], v[171:172], v[22:23]
	v_fma_f64 v[26:27], v[6:7], v[171:172], -v[26:27]
	ds_load_b128 v[6:9], v1 offset:1760
	v_add_f64 v[20:21], v[20:21], v[24:25]
	v_add_f64 v[18:19], v[18:19], v[28:29]
	v_fma_f64 v[30:31], v[4:5], v[38:39], v[30:31]
	v_fma_f64 v[32:33], v[2:3], v[38:39], -v[32:33]
	ds_load_b128 v[2:5], v1 offset:1776
	s_waitcnt vmcnt(2) lgkmcnt(1)
	v_mul_f64 v[24:25], v[6:7], v[169:170]
	v_mul_f64 v[28:29], v[8:9], v[169:170]
	v_add_f64 v[20:21], v[20:21], v[22:23]
	v_add_f64 v[18:19], v[18:19], v[26:27]
	s_waitcnt vmcnt(1) lgkmcnt(0)
	v_mul_f64 v[22:23], v[2:3], v[12:13]
	v_mul_f64 v[12:13], v[4:5], v[12:13]
	v_fma_f64 v[8:9], v[8:9], v[167:168], v[24:25]
	v_fma_f64 v[6:7], v[6:7], v[167:168], -v[28:29]
	v_add_f64 v[20:21], v[20:21], v[30:31]
	v_add_f64 v[18:19], v[18:19], v[32:33]
	v_fma_f64 v[4:5], v[4:5], v[10:11], v[22:23]
	v_fma_f64 v[2:3], v[2:3], v[10:11], -v[12:13]
	s_delay_alu instid0(VALU_DEP_4) | instskip(NEXT) | instid1(VALU_DEP_4)
	v_add_f64 v[8:9], v[20:21], v[8:9]
	v_add_f64 v[6:7], v[18:19], v[6:7]
	s_delay_alu instid0(VALU_DEP_2) | instskip(NEXT) | instid1(VALU_DEP_2)
	v_add_f64 v[4:5], v[8:9], v[4:5]
	v_add_f64 v[2:3], v[6:7], v[2:3]
	s_waitcnt vmcnt(0)
	s_delay_alu instid0(VALU_DEP_2) | instskip(NEXT) | instid1(VALU_DEP_2)
	v_add_f64 v[4:5], v[16:17], -v[4:5]
	v_add_f64 v[2:3], v[14:15], -v[2:3]
	scratch_store_b128 off, v[2:5], off offset:192
	v_cmpx_lt_u32_e32 11, v154
	s_cbranch_execz .LBB55_327
; %bb.326:
	scratch_load_b128 v[5:8], v199, off
	v_mov_b32_e32 v2, v1
	v_mov_b32_e32 v3, v1
	;; [unrolled: 1-line block ×3, first 2 shown]
	scratch_store_b128 off, v[1:4], off offset:176
	s_waitcnt vmcnt(0)
	ds_store_b128 v210, v[5:8]
.LBB55_327:
	s_or_b32 exec_lo, exec_lo, s2
	s_waitcnt lgkmcnt(0)
	s_waitcnt_vscnt null, 0x0
	s_barrier
	buffer_gl0_inv
	s_clause 0x7
	scratch_load_b128 v[2:5], off, off offset:192
	scratch_load_b128 v[6:9], off, off offset:208
	;; [unrolled: 1-line block ×8, first 2 shown]
	ds_load_b128 v[38:41], v1 offset:1088
	ds_load_b128 v[167:170], v1 offset:1104
	s_clause 0x1
	scratch_load_b128 v[34:37], off, off offset:320
	scratch_load_b128 v[171:174], off, off offset:336
	s_mov_b32 s2, exec_lo
	s_waitcnt vmcnt(9) lgkmcnt(1)
	v_mul_f64 v[44:45], v[40:41], v[4:5]
	v_mul_f64 v[4:5], v[38:39], v[4:5]
	s_waitcnt vmcnt(8) lgkmcnt(0)
	v_mul_f64 v[46:47], v[167:168], v[8:9]
	v_mul_f64 v[8:9], v[169:170], v[8:9]
	s_delay_alu instid0(VALU_DEP_4) | instskip(NEXT) | instid1(VALU_DEP_4)
	v_fma_f64 v[44:45], v[38:39], v[2:3], -v[44:45]
	v_fma_f64 v[48:49], v[40:41], v[2:3], v[4:5]
	ds_load_b128 v[2:5], v1 offset:1120
	scratch_load_b128 v[38:41], off, off offset:352
	v_fma_f64 v[46:47], v[169:170], v[6:7], v[46:47]
	v_fma_f64 v[175:176], v[167:168], v[6:7], -v[8:9]
	scratch_load_b128 v[167:170], off, off offset:368
	ds_load_b128 v[6:9], v1 offset:1136
	s_waitcnt vmcnt(9) lgkmcnt(1)
	v_mul_f64 v[156:157], v[2:3], v[12:13]
	v_mul_f64 v[12:13], v[4:5], v[12:13]
	s_waitcnt vmcnt(8) lgkmcnt(0)
	v_mul_f64 v[177:178], v[6:7], v[16:17]
	v_mul_f64 v[16:17], v[8:9], v[16:17]
	v_add_f64 v[44:45], v[44:45], 0
	v_add_f64 v[48:49], v[48:49], 0
	v_fma_f64 v[156:157], v[4:5], v[10:11], v[156:157]
	v_fma_f64 v[179:180], v[2:3], v[10:11], -v[12:13]
	ds_load_b128 v[2:5], v1 offset:1152
	scratch_load_b128 v[10:13], off, off offset:384
	v_add_f64 v[44:45], v[44:45], v[175:176]
	v_add_f64 v[46:47], v[48:49], v[46:47]
	v_fma_f64 v[175:176], v[8:9], v[14:15], v[177:178]
	v_fma_f64 v[177:178], v[6:7], v[14:15], -v[16:17]
	scratch_load_b128 v[14:17], off, off offset:400
	ds_load_b128 v[6:9], v1 offset:1168
	s_waitcnt vmcnt(9) lgkmcnt(1)
	v_mul_f64 v[48:49], v[2:3], v[20:21]
	v_mul_f64 v[20:21], v[4:5], v[20:21]
	v_add_f64 v[44:45], v[44:45], v[179:180]
	v_add_f64 v[46:47], v[46:47], v[156:157]
	s_waitcnt vmcnt(8) lgkmcnt(0)
	v_mul_f64 v[156:157], v[6:7], v[24:25]
	v_mul_f64 v[24:25], v[8:9], v[24:25]
	v_fma_f64 v[48:49], v[4:5], v[18:19], v[48:49]
	v_fma_f64 v[179:180], v[2:3], v[18:19], -v[20:21]
	ds_load_b128 v[2:5], v1 offset:1184
	scratch_load_b128 v[18:21], off, off offset:416
	v_add_f64 v[44:45], v[44:45], v[177:178]
	v_add_f64 v[46:47], v[46:47], v[175:176]
	v_fma_f64 v[156:157], v[8:9], v[22:23], v[156:157]
	v_fma_f64 v[177:178], v[6:7], v[22:23], -v[24:25]
	scratch_load_b128 v[22:25], off, off offset:432
	ds_load_b128 v[6:9], v1 offset:1200
	s_waitcnt vmcnt(9) lgkmcnt(1)
	v_mul_f64 v[175:176], v[2:3], v[28:29]
	v_mul_f64 v[28:29], v[4:5], v[28:29]
	v_add_f64 v[44:45], v[44:45], v[179:180]
	v_add_f64 v[46:47], v[46:47], v[48:49]
	s_waitcnt vmcnt(8) lgkmcnt(0)
	v_mul_f64 v[48:49], v[6:7], v[32:33]
	v_mul_f64 v[32:33], v[8:9], v[32:33]
	;; [unrolled: 18-line block ×12, first 2 shown]
	v_fma_f64 v[156:157], v[4:5], v[26:27], v[156:157]
	v_fma_f64 v[179:180], v[2:3], v[26:27], -v[28:29]
	ds_load_b128 v[2:5], v1 offset:1536
	scratch_load_b128 v[26:29], off, off offset:768
	v_add_f64 v[44:45], v[44:45], v[177:178]
	v_add_f64 v[46:47], v[46:47], v[48:49]
	v_fma_f64 v[175:176], v[8:9], v[30:31], v[175:176]
	v_fma_f64 v[177:178], v[6:7], v[30:31], -v[32:33]
	ds_load_b128 v[6:9], v1 offset:1552
	s_waitcnt vmcnt(8) lgkmcnt(1)
	v_mul_f64 v[48:49], v[2:3], v[36:37]
	v_mul_f64 v[36:37], v[4:5], v[36:37]
	scratch_load_b128 v[30:33], off, off offset:784
	v_add_f64 v[44:45], v[44:45], v[179:180]
	v_add_f64 v[46:47], v[46:47], v[156:157]
	s_waitcnt vmcnt(8) lgkmcnt(0)
	v_mul_f64 v[156:157], v[6:7], v[173:174]
	v_mul_f64 v[173:174], v[8:9], v[173:174]
	v_fma_f64 v[48:49], v[4:5], v[34:35], v[48:49]
	v_fma_f64 v[179:180], v[2:3], v[34:35], -v[36:37]
	ds_load_b128 v[2:5], v1 offset:1568
	scratch_load_b128 v[34:37], off, off offset:800
	v_add_f64 v[44:45], v[44:45], v[177:178]
	v_add_f64 v[46:47], v[46:47], v[175:176]
	v_fma_f64 v[156:157], v[8:9], v[171:172], v[156:157]
	v_fma_f64 v[177:178], v[6:7], v[171:172], -v[173:174]
	ds_load_b128 v[6:9], v1 offset:1584
	s_waitcnt vmcnt(8) lgkmcnt(1)
	v_mul_f64 v[175:176], v[2:3], v[40:41]
	v_mul_f64 v[40:41], v[4:5], v[40:41]
	scratch_load_b128 v[171:174], off, off offset:816
	v_add_f64 v[44:45], v[44:45], v[179:180]
	v_add_f64 v[46:47], v[46:47], v[48:49]
	s_waitcnt vmcnt(8) lgkmcnt(0)
	v_mul_f64 v[48:49], v[6:7], v[169:170]
	v_mul_f64 v[169:170], v[8:9], v[169:170]
	v_fma_f64 v[175:176], v[4:5], v[38:39], v[175:176]
	v_fma_f64 v[179:180], v[2:3], v[38:39], -v[40:41]
	scratch_load_b128 v[38:41], off, off offset:832
	ds_load_b128 v[2:5], v1 offset:1600
	v_add_f64 v[44:45], v[44:45], v[177:178]
	v_add_f64 v[46:47], v[46:47], v[156:157]
	v_fma_f64 v[48:49], v[8:9], v[167:168], v[48:49]
	v_fma_f64 v[177:178], v[6:7], v[167:168], -v[169:170]
	ds_load_b128 v[6:9], v1 offset:1616
	s_waitcnt vmcnt(8) lgkmcnt(1)
	v_mul_f64 v[156:157], v[2:3], v[12:13]
	v_mul_f64 v[12:13], v[4:5], v[12:13]
	scratch_load_b128 v[167:170], off, off offset:848
	v_add_f64 v[44:45], v[44:45], v[179:180]
	v_add_f64 v[46:47], v[46:47], v[175:176]
	s_waitcnt vmcnt(8) lgkmcnt(0)
	v_mul_f64 v[175:176], v[6:7], v[16:17]
	v_mul_f64 v[16:17], v[8:9], v[16:17]
	v_fma_f64 v[156:157], v[4:5], v[10:11], v[156:157]
	v_fma_f64 v[179:180], v[2:3], v[10:11], -v[12:13]
	scratch_load_b128 v[10:13], off, off offset:864
	ds_load_b128 v[2:5], v1 offset:1632
	v_add_f64 v[44:45], v[44:45], v[177:178]
	v_add_f64 v[46:47], v[46:47], v[48:49]
	v_fma_f64 v[175:176], v[8:9], v[14:15], v[175:176]
	v_fma_f64 v[177:178], v[6:7], v[14:15], -v[16:17]
	ds_load_b128 v[6:9], v1 offset:1648
	s_waitcnt vmcnt(8) lgkmcnt(1)
	v_mul_f64 v[48:49], v[2:3], v[20:21]
	v_mul_f64 v[20:21], v[4:5], v[20:21]
	scratch_load_b128 v[14:17], off, off offset:880
	v_add_f64 v[44:45], v[44:45], v[179:180]
	v_add_f64 v[46:47], v[46:47], v[156:157]
	s_waitcnt vmcnt(8) lgkmcnt(0)
	v_mul_f64 v[156:157], v[6:7], v[24:25]
	v_mul_f64 v[24:25], v[8:9], v[24:25]
	v_fma_f64 v[48:49], v[4:5], v[18:19], v[48:49]
	v_fma_f64 v[18:19], v[2:3], v[18:19], -v[20:21]
	ds_load_b128 v[2:5], v1 offset:1664
	v_add_f64 v[20:21], v[44:45], v[177:178]
	v_add_f64 v[44:45], v[46:47], v[175:176]
	v_fma_f64 v[156:157], v[8:9], v[22:23], v[156:157]
	v_fma_f64 v[22:23], v[6:7], v[22:23], -v[24:25]
	ds_load_b128 v[6:9], v1 offset:1680
	s_waitcnt vmcnt(7) lgkmcnt(1)
	v_mul_f64 v[46:47], v[2:3], v[28:29]
	v_mul_f64 v[28:29], v[4:5], v[28:29]
	v_add_f64 v[18:19], v[20:21], v[18:19]
	v_add_f64 v[20:21], v[44:45], v[48:49]
	s_delay_alu instid0(VALU_DEP_4) | instskip(NEXT) | instid1(VALU_DEP_4)
	v_fma_f64 v[44:45], v[4:5], v[26:27], v[46:47]
	v_fma_f64 v[26:27], v[2:3], v[26:27], -v[28:29]
	ds_load_b128 v[2:5], v1 offset:1696
	v_add_f64 v[22:23], v[18:19], v[22:23]
	v_add_f64 v[28:29], v[20:21], v[156:157]
	scratch_load_b128 v[18:21], off, off offset:176
	s_waitcnt vmcnt(7) lgkmcnt(1)
	v_mul_f64 v[24:25], v[6:7], v[32:33]
	v_mul_f64 v[32:33], v[8:9], v[32:33]
	v_add_f64 v[22:23], v[22:23], v[26:27]
	v_add_f64 v[26:27], v[28:29], v[44:45]
	s_delay_alu instid0(VALU_DEP_4) | instskip(NEXT) | instid1(VALU_DEP_4)
	v_fma_f64 v[24:25], v[8:9], v[30:31], v[24:25]
	v_fma_f64 v[30:31], v[6:7], v[30:31], -v[32:33]
	ds_load_b128 v[6:9], v1 offset:1712
	s_waitcnt vmcnt(6) lgkmcnt(1)
	v_mul_f64 v[46:47], v[2:3], v[36:37]
	v_mul_f64 v[36:37], v[4:5], v[36:37]
	s_waitcnt vmcnt(5) lgkmcnt(0)
	v_mul_f64 v[28:29], v[6:7], v[173:174]
	v_mul_f64 v[32:33], v[8:9], v[173:174]
	v_add_f64 v[24:25], v[26:27], v[24:25]
	v_add_f64 v[22:23], v[22:23], v[30:31]
	v_fma_f64 v[44:45], v[4:5], v[34:35], v[46:47]
	v_fma_f64 v[34:35], v[2:3], v[34:35], -v[36:37]
	ds_load_b128 v[2:5], v1 offset:1728
	v_fma_f64 v[28:29], v[8:9], v[171:172], v[28:29]
	v_fma_f64 v[32:33], v[6:7], v[171:172], -v[32:33]
	ds_load_b128 v[6:9], v1 offset:1744
	s_waitcnt vmcnt(4) lgkmcnt(1)
	v_mul_f64 v[26:27], v[2:3], v[40:41]
	v_mul_f64 v[30:31], v[4:5], v[40:41]
	v_add_f64 v[24:25], v[24:25], v[44:45]
	v_add_f64 v[22:23], v[22:23], v[34:35]
	s_waitcnt vmcnt(3) lgkmcnt(0)
	v_mul_f64 v[34:35], v[6:7], v[169:170]
	v_mul_f64 v[36:37], v[8:9], v[169:170]
	v_fma_f64 v[26:27], v[4:5], v[38:39], v[26:27]
	v_fma_f64 v[30:31], v[2:3], v[38:39], -v[30:31]
	ds_load_b128 v[2:5], v1 offset:1760
	v_add_f64 v[24:25], v[24:25], v[28:29]
	v_add_f64 v[22:23], v[22:23], v[32:33]
	v_fma_f64 v[32:33], v[8:9], v[167:168], v[34:35]
	v_fma_f64 v[34:35], v[6:7], v[167:168], -v[36:37]
	ds_load_b128 v[6:9], v1 offset:1776
	s_waitcnt vmcnt(2) lgkmcnt(1)
	v_mul_f64 v[28:29], v[2:3], v[12:13]
	v_mul_f64 v[12:13], v[4:5], v[12:13]
	v_add_f64 v[24:25], v[24:25], v[26:27]
	v_add_f64 v[22:23], v[22:23], v[30:31]
	s_waitcnt vmcnt(1) lgkmcnt(0)
	v_mul_f64 v[26:27], v[6:7], v[16:17]
	v_mul_f64 v[16:17], v[8:9], v[16:17]
	v_fma_f64 v[4:5], v[4:5], v[10:11], v[28:29]
	v_fma_f64 v[1:2], v[2:3], v[10:11], -v[12:13]
	v_add_f64 v[12:13], v[24:25], v[32:33]
	v_add_f64 v[10:11], v[22:23], v[34:35]
	v_fma_f64 v[8:9], v[8:9], v[14:15], v[26:27]
	v_fma_f64 v[6:7], v[6:7], v[14:15], -v[16:17]
	s_delay_alu instid0(VALU_DEP_4) | instskip(NEXT) | instid1(VALU_DEP_4)
	v_add_f64 v[3:4], v[12:13], v[4:5]
	v_add_f64 v[1:2], v[10:11], v[1:2]
	s_delay_alu instid0(VALU_DEP_2) | instskip(NEXT) | instid1(VALU_DEP_2)
	v_add_f64 v[3:4], v[3:4], v[8:9]
	v_add_f64 v[1:2], v[1:2], v[6:7]
	s_waitcnt vmcnt(0)
	s_delay_alu instid0(VALU_DEP_2) | instskip(NEXT) | instid1(VALU_DEP_2)
	v_add_f64 v[3:4], v[20:21], -v[3:4]
	v_add_f64 v[1:2], v[18:19], -v[1:2]
	scratch_store_b128 off, v[1:4], off offset:176
	v_cmpx_lt_u32_e32 10, v154
	s_cbranch_execz .LBB55_329
; %bb.328:
	scratch_load_b128 v[1:4], v200, off
	v_mov_b32_e32 v5, 0
	s_delay_alu instid0(VALU_DEP_1)
	v_mov_b32_e32 v6, v5
	v_mov_b32_e32 v7, v5
	;; [unrolled: 1-line block ×3, first 2 shown]
	scratch_store_b128 off, v[5:8], off offset:160
	s_waitcnt vmcnt(0)
	ds_store_b128 v210, v[1:4]
.LBB55_329:
	s_or_b32 exec_lo, exec_lo, s2
	s_waitcnt lgkmcnt(0)
	s_waitcnt_vscnt null, 0x0
	s_barrier
	buffer_gl0_inv
	s_clause 0x7
	scratch_load_b128 v[2:5], off, off offset:176
	scratch_load_b128 v[6:9], off, off offset:192
	scratch_load_b128 v[10:13], off, off offset:208
	scratch_load_b128 v[14:17], off, off offset:224
	scratch_load_b128 v[18:21], off, off offset:240
	scratch_load_b128 v[22:25], off, off offset:256
	scratch_load_b128 v[26:29], off, off offset:272
	scratch_load_b128 v[30:33], off, off offset:288
	v_mov_b32_e32 v1, 0
	s_clause 0x1
	scratch_load_b128 v[34:37], off, off offset:304
	scratch_load_b128 v[171:174], off, off offset:320
	s_mov_b32 s2, exec_lo
	ds_load_b128 v[38:41], v1 offset:1072
	ds_load_b128 v[167:170], v1 offset:1088
	s_waitcnt vmcnt(9) lgkmcnt(1)
	v_mul_f64 v[44:45], v[40:41], v[4:5]
	v_mul_f64 v[4:5], v[38:39], v[4:5]
	s_waitcnt vmcnt(8) lgkmcnt(0)
	v_mul_f64 v[46:47], v[167:168], v[8:9]
	v_mul_f64 v[8:9], v[169:170], v[8:9]
	s_delay_alu instid0(VALU_DEP_4) | instskip(NEXT) | instid1(VALU_DEP_4)
	v_fma_f64 v[44:45], v[38:39], v[2:3], -v[44:45]
	v_fma_f64 v[48:49], v[40:41], v[2:3], v[4:5]
	ds_load_b128 v[2:5], v1 offset:1104
	scratch_load_b128 v[38:41], off, off offset:336
	v_fma_f64 v[46:47], v[169:170], v[6:7], v[46:47]
	v_fma_f64 v[175:176], v[167:168], v[6:7], -v[8:9]
	scratch_load_b128 v[167:170], off, off offset:352
	ds_load_b128 v[6:9], v1 offset:1120
	s_waitcnt vmcnt(9) lgkmcnt(1)
	v_mul_f64 v[156:157], v[2:3], v[12:13]
	v_mul_f64 v[12:13], v[4:5], v[12:13]
	s_waitcnt vmcnt(8) lgkmcnt(0)
	v_mul_f64 v[177:178], v[6:7], v[16:17]
	v_mul_f64 v[16:17], v[8:9], v[16:17]
	v_add_f64 v[44:45], v[44:45], 0
	v_add_f64 v[48:49], v[48:49], 0
	v_fma_f64 v[156:157], v[4:5], v[10:11], v[156:157]
	v_fma_f64 v[179:180], v[2:3], v[10:11], -v[12:13]
	ds_load_b128 v[2:5], v1 offset:1136
	scratch_load_b128 v[10:13], off, off offset:368
	v_add_f64 v[44:45], v[44:45], v[175:176]
	v_add_f64 v[46:47], v[48:49], v[46:47]
	v_fma_f64 v[175:176], v[8:9], v[14:15], v[177:178]
	v_fma_f64 v[177:178], v[6:7], v[14:15], -v[16:17]
	scratch_load_b128 v[14:17], off, off offset:384
	ds_load_b128 v[6:9], v1 offset:1152
	s_waitcnt vmcnt(9) lgkmcnt(1)
	v_mul_f64 v[48:49], v[2:3], v[20:21]
	v_mul_f64 v[20:21], v[4:5], v[20:21]
	v_add_f64 v[44:45], v[44:45], v[179:180]
	v_add_f64 v[46:47], v[46:47], v[156:157]
	s_waitcnt vmcnt(8) lgkmcnt(0)
	v_mul_f64 v[156:157], v[6:7], v[24:25]
	v_mul_f64 v[24:25], v[8:9], v[24:25]
	v_fma_f64 v[48:49], v[4:5], v[18:19], v[48:49]
	v_fma_f64 v[179:180], v[2:3], v[18:19], -v[20:21]
	ds_load_b128 v[2:5], v1 offset:1168
	scratch_load_b128 v[18:21], off, off offset:400
	v_add_f64 v[44:45], v[44:45], v[177:178]
	v_add_f64 v[46:47], v[46:47], v[175:176]
	v_fma_f64 v[156:157], v[8:9], v[22:23], v[156:157]
	v_fma_f64 v[177:178], v[6:7], v[22:23], -v[24:25]
	scratch_load_b128 v[22:25], off, off offset:416
	ds_load_b128 v[6:9], v1 offset:1184
	s_waitcnt vmcnt(9) lgkmcnt(1)
	v_mul_f64 v[175:176], v[2:3], v[28:29]
	v_mul_f64 v[28:29], v[4:5], v[28:29]
	v_add_f64 v[44:45], v[44:45], v[179:180]
	v_add_f64 v[46:47], v[46:47], v[48:49]
	s_waitcnt vmcnt(8) lgkmcnt(0)
	v_mul_f64 v[48:49], v[6:7], v[32:33]
	v_mul_f64 v[32:33], v[8:9], v[32:33]
	;; [unrolled: 18-line block ×13, first 2 shown]
	v_fma_f64 v[48:49], v[4:5], v[34:35], v[48:49]
	v_fma_f64 v[179:180], v[2:3], v[34:35], -v[36:37]
	ds_load_b128 v[2:5], v1 offset:1552
	scratch_load_b128 v[34:37], off, off offset:784
	v_add_f64 v[44:45], v[44:45], v[177:178]
	v_add_f64 v[46:47], v[46:47], v[175:176]
	v_fma_f64 v[156:157], v[8:9], v[171:172], v[156:157]
	v_fma_f64 v[177:178], v[6:7], v[171:172], -v[173:174]
	ds_load_b128 v[6:9], v1 offset:1568
	s_waitcnt vmcnt(8) lgkmcnt(1)
	v_mul_f64 v[175:176], v[2:3], v[40:41]
	v_mul_f64 v[40:41], v[4:5], v[40:41]
	scratch_load_b128 v[171:174], off, off offset:800
	v_add_f64 v[44:45], v[44:45], v[179:180]
	v_add_f64 v[46:47], v[46:47], v[48:49]
	s_waitcnt vmcnt(8) lgkmcnt(0)
	v_mul_f64 v[48:49], v[6:7], v[169:170]
	v_mul_f64 v[169:170], v[8:9], v[169:170]
	v_fma_f64 v[175:176], v[4:5], v[38:39], v[175:176]
	v_fma_f64 v[179:180], v[2:3], v[38:39], -v[40:41]
	scratch_load_b128 v[38:41], off, off offset:816
	ds_load_b128 v[2:5], v1 offset:1584
	v_add_f64 v[44:45], v[44:45], v[177:178]
	v_add_f64 v[46:47], v[46:47], v[156:157]
	v_fma_f64 v[48:49], v[8:9], v[167:168], v[48:49]
	v_fma_f64 v[177:178], v[6:7], v[167:168], -v[169:170]
	ds_load_b128 v[6:9], v1 offset:1600
	s_waitcnt vmcnt(8) lgkmcnt(1)
	v_mul_f64 v[156:157], v[2:3], v[12:13]
	v_mul_f64 v[12:13], v[4:5], v[12:13]
	scratch_load_b128 v[167:170], off, off offset:832
	v_add_f64 v[44:45], v[44:45], v[179:180]
	v_add_f64 v[46:47], v[46:47], v[175:176]
	s_waitcnt vmcnt(8) lgkmcnt(0)
	v_mul_f64 v[175:176], v[6:7], v[16:17]
	v_mul_f64 v[16:17], v[8:9], v[16:17]
	v_fma_f64 v[156:157], v[4:5], v[10:11], v[156:157]
	v_fma_f64 v[179:180], v[2:3], v[10:11], -v[12:13]
	scratch_load_b128 v[10:13], off, off offset:848
	ds_load_b128 v[2:5], v1 offset:1616
	;; [unrolled: 18-line block ×3, first 2 shown]
	v_add_f64 v[44:45], v[44:45], v[177:178]
	v_add_f64 v[46:47], v[46:47], v[175:176]
	v_fma_f64 v[156:157], v[8:9], v[22:23], v[156:157]
	v_fma_f64 v[22:23], v[6:7], v[22:23], -v[24:25]
	ds_load_b128 v[6:9], v1 offset:1664
	s_waitcnt vmcnt(8) lgkmcnt(1)
	v_mul_f64 v[175:176], v[2:3], v[28:29]
	v_mul_f64 v[28:29], v[4:5], v[28:29]
	v_add_f64 v[24:25], v[44:45], v[179:180]
	v_add_f64 v[44:45], v[46:47], v[48:49]
	s_waitcnt vmcnt(7) lgkmcnt(0)
	v_mul_f64 v[46:47], v[6:7], v[32:33]
	v_mul_f64 v[32:33], v[8:9], v[32:33]
	v_fma_f64 v[48:49], v[4:5], v[26:27], v[175:176]
	v_fma_f64 v[26:27], v[2:3], v[26:27], -v[28:29]
	ds_load_b128 v[2:5], v1 offset:1680
	v_add_f64 v[22:23], v[24:25], v[22:23]
	v_add_f64 v[24:25], v[44:45], v[156:157]
	v_fma_f64 v[44:45], v[8:9], v[30:31], v[46:47]
	v_fma_f64 v[30:31], v[6:7], v[30:31], -v[32:33]
	ds_load_b128 v[6:9], v1 offset:1696
	s_waitcnt vmcnt(5) lgkmcnt(0)
	v_mul_f64 v[46:47], v[6:7], v[173:174]
	v_add_f64 v[26:27], v[22:23], v[26:27]
	v_add_f64 v[32:33], v[24:25], v[48:49]
	scratch_load_b128 v[22:25], off, off offset:160
	v_mul_f64 v[28:29], v[2:3], v[36:37]
	v_mul_f64 v[36:37], v[4:5], v[36:37]
	;; [unrolled: 1-line block ×3, first 2 shown]
	v_add_f64 v[26:27], v[26:27], v[30:31]
	v_add_f64 v[30:31], v[32:33], v[44:45]
	v_fma_f64 v[28:29], v[4:5], v[34:35], v[28:29]
	v_fma_f64 v[34:35], v[2:3], v[34:35], -v[36:37]
	ds_load_b128 v[2:5], v1 offset:1712
	v_fma_f64 v[44:45], v[6:7], v[171:172], -v[48:49]
	s_waitcnt vmcnt(5) lgkmcnt(0)
	v_mul_f64 v[32:33], v[2:3], v[40:41]
	v_mul_f64 v[36:37], v[4:5], v[40:41]
	v_fma_f64 v[40:41], v[8:9], v[171:172], v[46:47]
	ds_load_b128 v[6:9], v1 offset:1728
	v_add_f64 v[28:29], v[30:31], v[28:29]
	v_add_f64 v[26:27], v[26:27], v[34:35]
	v_fma_f64 v[32:33], v[4:5], v[38:39], v[32:33]
	v_fma_f64 v[36:37], v[2:3], v[38:39], -v[36:37]
	ds_load_b128 v[2:5], v1 offset:1744
	s_waitcnt vmcnt(4) lgkmcnt(1)
	v_mul_f64 v[30:31], v[6:7], v[169:170]
	v_mul_f64 v[34:35], v[8:9], v[169:170]
	v_add_f64 v[28:29], v[28:29], v[40:41]
	v_add_f64 v[26:27], v[26:27], v[44:45]
	s_waitcnt vmcnt(3) lgkmcnt(0)
	v_mul_f64 v[38:39], v[2:3], v[12:13]
	v_mul_f64 v[12:13], v[4:5], v[12:13]
	v_fma_f64 v[30:31], v[8:9], v[167:168], v[30:31]
	v_fma_f64 v[34:35], v[6:7], v[167:168], -v[34:35]
	ds_load_b128 v[6:9], v1 offset:1760
	v_add_f64 v[28:29], v[28:29], v[32:33]
	v_add_f64 v[26:27], v[26:27], v[36:37]
	v_fma_f64 v[36:37], v[4:5], v[10:11], v[38:39]
	v_fma_f64 v[10:11], v[2:3], v[10:11], -v[12:13]
	ds_load_b128 v[2:5], v1 offset:1776
	s_waitcnt vmcnt(2) lgkmcnt(1)
	v_mul_f64 v[32:33], v[6:7], v[16:17]
	v_mul_f64 v[16:17], v[8:9], v[16:17]
	v_add_f64 v[12:13], v[26:27], v[34:35]
	v_add_f64 v[26:27], v[28:29], v[30:31]
	s_waitcnt vmcnt(1) lgkmcnt(0)
	v_mul_f64 v[28:29], v[2:3], v[20:21]
	v_mul_f64 v[20:21], v[4:5], v[20:21]
	v_fma_f64 v[8:9], v[8:9], v[14:15], v[32:33]
	v_fma_f64 v[6:7], v[6:7], v[14:15], -v[16:17]
	v_add_f64 v[10:11], v[12:13], v[10:11]
	v_add_f64 v[12:13], v[26:27], v[36:37]
	v_fma_f64 v[4:5], v[4:5], v[18:19], v[28:29]
	v_fma_f64 v[2:3], v[2:3], v[18:19], -v[20:21]
	s_delay_alu instid0(VALU_DEP_4) | instskip(NEXT) | instid1(VALU_DEP_4)
	v_add_f64 v[6:7], v[10:11], v[6:7]
	v_add_f64 v[8:9], v[12:13], v[8:9]
	s_delay_alu instid0(VALU_DEP_2) | instskip(NEXT) | instid1(VALU_DEP_2)
	v_add_f64 v[2:3], v[6:7], v[2:3]
	v_add_f64 v[4:5], v[8:9], v[4:5]
	s_waitcnt vmcnt(0)
	s_delay_alu instid0(VALU_DEP_2) | instskip(NEXT) | instid1(VALU_DEP_2)
	v_add_f64 v[2:3], v[22:23], -v[2:3]
	v_add_f64 v[4:5], v[24:25], -v[4:5]
	scratch_store_b128 off, v[2:5], off offset:160
	v_cmpx_lt_u32_e32 9, v154
	s_cbranch_execz .LBB55_331
; %bb.330:
	scratch_load_b128 v[5:8], v201, off
	v_mov_b32_e32 v2, v1
	v_mov_b32_e32 v3, v1
	;; [unrolled: 1-line block ×3, first 2 shown]
	scratch_store_b128 off, v[1:4], off offset:144
	s_waitcnt vmcnt(0)
	ds_store_b128 v210, v[5:8]
.LBB55_331:
	s_or_b32 exec_lo, exec_lo, s2
	s_waitcnt lgkmcnt(0)
	s_waitcnt_vscnt null, 0x0
	s_barrier
	buffer_gl0_inv
	s_clause 0x7
	scratch_load_b128 v[2:5], off, off offset:160
	scratch_load_b128 v[6:9], off, off offset:176
	;; [unrolled: 1-line block ×8, first 2 shown]
	ds_load_b128 v[38:41], v1 offset:1056
	ds_load_b128 v[167:170], v1 offset:1072
	s_clause 0x1
	scratch_load_b128 v[34:37], off, off offset:288
	scratch_load_b128 v[171:174], off, off offset:304
	s_mov_b32 s2, exec_lo
	s_waitcnt vmcnt(9) lgkmcnt(1)
	v_mul_f64 v[44:45], v[40:41], v[4:5]
	v_mul_f64 v[4:5], v[38:39], v[4:5]
	s_waitcnt vmcnt(8) lgkmcnt(0)
	v_mul_f64 v[46:47], v[167:168], v[8:9]
	v_mul_f64 v[8:9], v[169:170], v[8:9]
	s_delay_alu instid0(VALU_DEP_4) | instskip(NEXT) | instid1(VALU_DEP_4)
	v_fma_f64 v[44:45], v[38:39], v[2:3], -v[44:45]
	v_fma_f64 v[48:49], v[40:41], v[2:3], v[4:5]
	ds_load_b128 v[2:5], v1 offset:1088
	scratch_load_b128 v[38:41], off, off offset:320
	v_fma_f64 v[46:47], v[169:170], v[6:7], v[46:47]
	v_fma_f64 v[175:176], v[167:168], v[6:7], -v[8:9]
	scratch_load_b128 v[167:170], off, off offset:336
	ds_load_b128 v[6:9], v1 offset:1104
	s_waitcnt vmcnt(9) lgkmcnt(1)
	v_mul_f64 v[156:157], v[2:3], v[12:13]
	v_mul_f64 v[12:13], v[4:5], v[12:13]
	s_waitcnt vmcnt(8) lgkmcnt(0)
	v_mul_f64 v[177:178], v[6:7], v[16:17]
	v_mul_f64 v[16:17], v[8:9], v[16:17]
	v_add_f64 v[44:45], v[44:45], 0
	v_add_f64 v[48:49], v[48:49], 0
	v_fma_f64 v[156:157], v[4:5], v[10:11], v[156:157]
	v_fma_f64 v[179:180], v[2:3], v[10:11], -v[12:13]
	ds_load_b128 v[2:5], v1 offset:1120
	scratch_load_b128 v[10:13], off, off offset:352
	v_add_f64 v[44:45], v[44:45], v[175:176]
	v_add_f64 v[46:47], v[48:49], v[46:47]
	v_fma_f64 v[175:176], v[8:9], v[14:15], v[177:178]
	v_fma_f64 v[177:178], v[6:7], v[14:15], -v[16:17]
	scratch_load_b128 v[14:17], off, off offset:368
	ds_load_b128 v[6:9], v1 offset:1136
	s_waitcnt vmcnt(9) lgkmcnt(1)
	v_mul_f64 v[48:49], v[2:3], v[20:21]
	v_mul_f64 v[20:21], v[4:5], v[20:21]
	v_add_f64 v[44:45], v[44:45], v[179:180]
	v_add_f64 v[46:47], v[46:47], v[156:157]
	s_waitcnt vmcnt(8) lgkmcnt(0)
	v_mul_f64 v[156:157], v[6:7], v[24:25]
	v_mul_f64 v[24:25], v[8:9], v[24:25]
	v_fma_f64 v[48:49], v[4:5], v[18:19], v[48:49]
	v_fma_f64 v[179:180], v[2:3], v[18:19], -v[20:21]
	ds_load_b128 v[2:5], v1 offset:1152
	scratch_load_b128 v[18:21], off, off offset:384
	v_add_f64 v[44:45], v[44:45], v[177:178]
	v_add_f64 v[46:47], v[46:47], v[175:176]
	v_fma_f64 v[156:157], v[8:9], v[22:23], v[156:157]
	v_fma_f64 v[177:178], v[6:7], v[22:23], -v[24:25]
	scratch_load_b128 v[22:25], off, off offset:400
	ds_load_b128 v[6:9], v1 offset:1168
	s_waitcnt vmcnt(9) lgkmcnt(1)
	v_mul_f64 v[175:176], v[2:3], v[28:29]
	v_mul_f64 v[28:29], v[4:5], v[28:29]
	v_add_f64 v[44:45], v[44:45], v[179:180]
	v_add_f64 v[46:47], v[46:47], v[48:49]
	s_waitcnt vmcnt(8) lgkmcnt(0)
	v_mul_f64 v[48:49], v[6:7], v[32:33]
	v_mul_f64 v[32:33], v[8:9], v[32:33]
	;; [unrolled: 18-line block ×13, first 2 shown]
	v_fma_f64 v[48:49], v[4:5], v[34:35], v[48:49]
	v_fma_f64 v[179:180], v[2:3], v[34:35], -v[36:37]
	ds_load_b128 v[2:5], v1 offset:1536
	scratch_load_b128 v[34:37], off, off offset:768
	v_add_f64 v[44:45], v[44:45], v[177:178]
	v_add_f64 v[46:47], v[46:47], v[175:176]
	v_fma_f64 v[156:157], v[8:9], v[171:172], v[156:157]
	v_fma_f64 v[177:178], v[6:7], v[171:172], -v[173:174]
	ds_load_b128 v[6:9], v1 offset:1552
	s_waitcnt vmcnt(8) lgkmcnt(1)
	v_mul_f64 v[175:176], v[2:3], v[40:41]
	v_mul_f64 v[40:41], v[4:5], v[40:41]
	scratch_load_b128 v[171:174], off, off offset:784
	v_add_f64 v[44:45], v[44:45], v[179:180]
	v_add_f64 v[46:47], v[46:47], v[48:49]
	s_waitcnt vmcnt(8) lgkmcnt(0)
	v_mul_f64 v[48:49], v[6:7], v[169:170]
	v_mul_f64 v[169:170], v[8:9], v[169:170]
	v_fma_f64 v[175:176], v[4:5], v[38:39], v[175:176]
	v_fma_f64 v[179:180], v[2:3], v[38:39], -v[40:41]
	ds_load_b128 v[2:5], v1 offset:1568
	scratch_load_b128 v[38:41], off, off offset:800
	v_add_f64 v[44:45], v[44:45], v[177:178]
	v_add_f64 v[46:47], v[46:47], v[156:157]
	v_fma_f64 v[48:49], v[8:9], v[167:168], v[48:49]
	v_fma_f64 v[177:178], v[6:7], v[167:168], -v[169:170]
	ds_load_b128 v[6:9], v1 offset:1584
	s_waitcnt vmcnt(8) lgkmcnt(1)
	v_mul_f64 v[156:157], v[2:3], v[12:13]
	v_mul_f64 v[12:13], v[4:5], v[12:13]
	scratch_load_b128 v[167:170], off, off offset:816
	v_add_f64 v[44:45], v[44:45], v[179:180]
	v_add_f64 v[46:47], v[46:47], v[175:176]
	s_waitcnt vmcnt(8) lgkmcnt(0)
	v_mul_f64 v[175:176], v[6:7], v[16:17]
	v_mul_f64 v[16:17], v[8:9], v[16:17]
	v_fma_f64 v[156:157], v[4:5], v[10:11], v[156:157]
	v_fma_f64 v[179:180], v[2:3], v[10:11], -v[12:13]
	scratch_load_b128 v[10:13], off, off offset:832
	ds_load_b128 v[2:5], v1 offset:1600
	v_add_f64 v[44:45], v[44:45], v[177:178]
	v_add_f64 v[46:47], v[46:47], v[48:49]
	v_fma_f64 v[175:176], v[8:9], v[14:15], v[175:176]
	v_fma_f64 v[177:178], v[6:7], v[14:15], -v[16:17]
	ds_load_b128 v[6:9], v1 offset:1616
	s_waitcnt vmcnt(8) lgkmcnt(1)
	v_mul_f64 v[48:49], v[2:3], v[20:21]
	v_mul_f64 v[20:21], v[4:5], v[20:21]
	scratch_load_b128 v[14:17], off, off offset:848
	v_add_f64 v[44:45], v[44:45], v[179:180]
	v_add_f64 v[46:47], v[46:47], v[156:157]
	s_waitcnt vmcnt(8) lgkmcnt(0)
	v_mul_f64 v[156:157], v[6:7], v[24:25]
	v_mul_f64 v[24:25], v[8:9], v[24:25]
	v_fma_f64 v[48:49], v[4:5], v[18:19], v[48:49]
	v_fma_f64 v[179:180], v[2:3], v[18:19], -v[20:21]
	scratch_load_b128 v[18:21], off, off offset:864
	ds_load_b128 v[2:5], v1 offset:1632
	v_add_f64 v[44:45], v[44:45], v[177:178]
	v_add_f64 v[46:47], v[46:47], v[175:176]
	v_fma_f64 v[156:157], v[8:9], v[22:23], v[156:157]
	v_fma_f64 v[177:178], v[6:7], v[22:23], -v[24:25]
	ds_load_b128 v[6:9], v1 offset:1648
	s_waitcnt vmcnt(8) lgkmcnt(1)
	v_mul_f64 v[175:176], v[2:3], v[28:29]
	v_mul_f64 v[28:29], v[4:5], v[28:29]
	scratch_load_b128 v[22:25], off, off offset:880
	v_add_f64 v[44:45], v[44:45], v[179:180]
	v_add_f64 v[46:47], v[46:47], v[48:49]
	s_waitcnt vmcnt(8) lgkmcnt(0)
	v_mul_f64 v[48:49], v[6:7], v[32:33]
	v_mul_f64 v[32:33], v[8:9], v[32:33]
	v_fma_f64 v[175:176], v[4:5], v[26:27], v[175:176]
	v_fma_f64 v[26:27], v[2:3], v[26:27], -v[28:29]
	ds_load_b128 v[2:5], v1 offset:1664
	v_add_f64 v[28:29], v[44:45], v[177:178]
	v_add_f64 v[44:45], v[46:47], v[156:157]
	v_fma_f64 v[48:49], v[8:9], v[30:31], v[48:49]
	v_fma_f64 v[30:31], v[6:7], v[30:31], -v[32:33]
	ds_load_b128 v[6:9], v1 offset:1680
	s_waitcnt vmcnt(7) lgkmcnt(1)
	v_mul_f64 v[46:47], v[2:3], v[36:37]
	v_mul_f64 v[36:37], v[4:5], v[36:37]
	v_add_f64 v[26:27], v[28:29], v[26:27]
	v_add_f64 v[28:29], v[44:45], v[175:176]
	s_delay_alu instid0(VALU_DEP_4) | instskip(NEXT) | instid1(VALU_DEP_4)
	v_fma_f64 v[46:47], v[4:5], v[34:35], v[46:47]
	v_fma_f64 v[34:35], v[2:3], v[34:35], -v[36:37]
	ds_load_b128 v[2:5], v1 offset:1696
	v_add_f64 v[30:31], v[26:27], v[30:31]
	v_add_f64 v[36:37], v[28:29], v[48:49]
	scratch_load_b128 v[26:29], off, off offset:144
	s_waitcnt vmcnt(7) lgkmcnt(1)
	v_mul_f64 v[32:33], v[6:7], v[173:174]
	v_mul_f64 v[44:45], v[8:9], v[173:174]
	v_add_f64 v[30:31], v[30:31], v[34:35]
	v_add_f64 v[34:35], v[36:37], v[46:47]
	s_delay_alu instid0(VALU_DEP_4) | instskip(NEXT) | instid1(VALU_DEP_4)
	v_fma_f64 v[32:33], v[8:9], v[171:172], v[32:33]
	v_fma_f64 v[44:45], v[6:7], v[171:172], -v[44:45]
	ds_load_b128 v[6:9], v1 offset:1712
	s_waitcnt vmcnt(6) lgkmcnt(1)
	v_mul_f64 v[48:49], v[2:3], v[40:41]
	v_mul_f64 v[40:41], v[4:5], v[40:41]
	s_waitcnt vmcnt(5) lgkmcnt(0)
	v_mul_f64 v[36:37], v[6:7], v[169:170]
	v_mul_f64 v[46:47], v[8:9], v[169:170]
	v_add_f64 v[32:33], v[34:35], v[32:33]
	v_add_f64 v[30:31], v[30:31], v[44:45]
	v_fma_f64 v[48:49], v[4:5], v[38:39], v[48:49]
	v_fma_f64 v[38:39], v[2:3], v[38:39], -v[40:41]
	ds_load_b128 v[2:5], v1 offset:1728
	v_fma_f64 v[36:37], v[8:9], v[167:168], v[36:37]
	v_fma_f64 v[40:41], v[6:7], v[167:168], -v[46:47]
	ds_load_b128 v[6:9], v1 offset:1744
	s_waitcnt vmcnt(4) lgkmcnt(1)
	v_mul_f64 v[34:35], v[2:3], v[12:13]
	v_mul_f64 v[12:13], v[4:5], v[12:13]
	v_add_f64 v[32:33], v[32:33], v[48:49]
	v_add_f64 v[30:31], v[30:31], v[38:39]
	s_waitcnt vmcnt(3) lgkmcnt(0)
	v_mul_f64 v[38:39], v[6:7], v[16:17]
	v_mul_f64 v[16:17], v[8:9], v[16:17]
	v_fma_f64 v[34:35], v[4:5], v[10:11], v[34:35]
	v_fma_f64 v[10:11], v[2:3], v[10:11], -v[12:13]
	ds_load_b128 v[2:5], v1 offset:1760
	v_add_f64 v[12:13], v[30:31], v[40:41]
	v_add_f64 v[30:31], v[32:33], v[36:37]
	v_fma_f64 v[36:37], v[8:9], v[14:15], v[38:39]
	v_fma_f64 v[14:15], v[6:7], v[14:15], -v[16:17]
	ds_load_b128 v[6:9], v1 offset:1776
	s_waitcnt vmcnt(2) lgkmcnt(1)
	v_mul_f64 v[32:33], v[2:3], v[20:21]
	v_mul_f64 v[20:21], v[4:5], v[20:21]
	s_waitcnt vmcnt(1) lgkmcnt(0)
	v_mul_f64 v[16:17], v[6:7], v[24:25]
	v_mul_f64 v[24:25], v[8:9], v[24:25]
	v_add_f64 v[10:11], v[12:13], v[10:11]
	v_add_f64 v[12:13], v[30:31], v[34:35]
	v_fma_f64 v[4:5], v[4:5], v[18:19], v[32:33]
	v_fma_f64 v[1:2], v[2:3], v[18:19], -v[20:21]
	v_fma_f64 v[8:9], v[8:9], v[22:23], v[16:17]
	v_fma_f64 v[6:7], v[6:7], v[22:23], -v[24:25]
	v_add_f64 v[10:11], v[10:11], v[14:15]
	v_add_f64 v[12:13], v[12:13], v[36:37]
	s_delay_alu instid0(VALU_DEP_2) | instskip(NEXT) | instid1(VALU_DEP_2)
	v_add_f64 v[1:2], v[10:11], v[1:2]
	v_add_f64 v[3:4], v[12:13], v[4:5]
	s_delay_alu instid0(VALU_DEP_2) | instskip(NEXT) | instid1(VALU_DEP_2)
	v_add_f64 v[1:2], v[1:2], v[6:7]
	v_add_f64 v[3:4], v[3:4], v[8:9]
	s_waitcnt vmcnt(0)
	s_delay_alu instid0(VALU_DEP_2) | instskip(NEXT) | instid1(VALU_DEP_2)
	v_add_f64 v[1:2], v[26:27], -v[1:2]
	v_add_f64 v[3:4], v[28:29], -v[3:4]
	scratch_store_b128 off, v[1:4], off offset:144
	v_cmpx_lt_u32_e32 8, v154
	s_cbranch_execz .LBB55_333
; %bb.332:
	scratch_load_b128 v[1:4], v202, off
	v_mov_b32_e32 v5, 0
	s_delay_alu instid0(VALU_DEP_1)
	v_mov_b32_e32 v6, v5
	v_mov_b32_e32 v7, v5
	;; [unrolled: 1-line block ×3, first 2 shown]
	scratch_store_b128 off, v[5:8], off offset:128
	s_waitcnt vmcnt(0)
	ds_store_b128 v210, v[1:4]
.LBB55_333:
	s_or_b32 exec_lo, exec_lo, s2
	s_waitcnt lgkmcnt(0)
	s_waitcnt_vscnt null, 0x0
	s_barrier
	buffer_gl0_inv
	s_clause 0x7
	scratch_load_b128 v[2:5], off, off offset:144
	scratch_load_b128 v[6:9], off, off offset:160
	;; [unrolled: 1-line block ×8, first 2 shown]
	v_mov_b32_e32 v1, 0
	s_clause 0x1
	scratch_load_b128 v[34:37], off, off offset:272
	scratch_load_b128 v[171:174], off, off offset:288
	s_mov_b32 s2, exec_lo
	ds_load_b128 v[38:41], v1 offset:1040
	ds_load_b128 v[167:170], v1 offset:1056
	s_waitcnt vmcnt(9) lgkmcnt(1)
	v_mul_f64 v[44:45], v[40:41], v[4:5]
	v_mul_f64 v[4:5], v[38:39], v[4:5]
	s_waitcnt vmcnt(8) lgkmcnt(0)
	v_mul_f64 v[46:47], v[167:168], v[8:9]
	v_mul_f64 v[8:9], v[169:170], v[8:9]
	s_delay_alu instid0(VALU_DEP_4) | instskip(NEXT) | instid1(VALU_DEP_4)
	v_fma_f64 v[44:45], v[38:39], v[2:3], -v[44:45]
	v_fma_f64 v[48:49], v[40:41], v[2:3], v[4:5]
	ds_load_b128 v[2:5], v1 offset:1072
	scratch_load_b128 v[38:41], off, off offset:304
	v_fma_f64 v[46:47], v[169:170], v[6:7], v[46:47]
	v_fma_f64 v[175:176], v[167:168], v[6:7], -v[8:9]
	scratch_load_b128 v[167:170], off, off offset:320
	ds_load_b128 v[6:9], v1 offset:1088
	s_waitcnt vmcnt(9) lgkmcnt(1)
	v_mul_f64 v[156:157], v[2:3], v[12:13]
	v_mul_f64 v[12:13], v[4:5], v[12:13]
	s_waitcnt vmcnt(8) lgkmcnt(0)
	v_mul_f64 v[177:178], v[6:7], v[16:17]
	v_mul_f64 v[16:17], v[8:9], v[16:17]
	v_add_f64 v[44:45], v[44:45], 0
	v_add_f64 v[48:49], v[48:49], 0
	v_fma_f64 v[156:157], v[4:5], v[10:11], v[156:157]
	v_fma_f64 v[179:180], v[2:3], v[10:11], -v[12:13]
	ds_load_b128 v[2:5], v1 offset:1104
	scratch_load_b128 v[10:13], off, off offset:336
	v_add_f64 v[44:45], v[44:45], v[175:176]
	v_add_f64 v[46:47], v[48:49], v[46:47]
	v_fma_f64 v[175:176], v[8:9], v[14:15], v[177:178]
	v_fma_f64 v[177:178], v[6:7], v[14:15], -v[16:17]
	scratch_load_b128 v[14:17], off, off offset:352
	ds_load_b128 v[6:9], v1 offset:1120
	s_waitcnt vmcnt(9) lgkmcnt(1)
	v_mul_f64 v[48:49], v[2:3], v[20:21]
	v_mul_f64 v[20:21], v[4:5], v[20:21]
	v_add_f64 v[44:45], v[44:45], v[179:180]
	v_add_f64 v[46:47], v[46:47], v[156:157]
	s_waitcnt vmcnt(8) lgkmcnt(0)
	v_mul_f64 v[156:157], v[6:7], v[24:25]
	v_mul_f64 v[24:25], v[8:9], v[24:25]
	v_fma_f64 v[48:49], v[4:5], v[18:19], v[48:49]
	v_fma_f64 v[179:180], v[2:3], v[18:19], -v[20:21]
	ds_load_b128 v[2:5], v1 offset:1136
	scratch_load_b128 v[18:21], off, off offset:368
	v_add_f64 v[44:45], v[44:45], v[177:178]
	v_add_f64 v[46:47], v[46:47], v[175:176]
	v_fma_f64 v[156:157], v[8:9], v[22:23], v[156:157]
	v_fma_f64 v[177:178], v[6:7], v[22:23], -v[24:25]
	scratch_load_b128 v[22:25], off, off offset:384
	ds_load_b128 v[6:9], v1 offset:1152
	s_waitcnt vmcnt(9) lgkmcnt(1)
	v_mul_f64 v[175:176], v[2:3], v[28:29]
	v_mul_f64 v[28:29], v[4:5], v[28:29]
	v_add_f64 v[44:45], v[44:45], v[179:180]
	v_add_f64 v[46:47], v[46:47], v[48:49]
	s_waitcnt vmcnt(8) lgkmcnt(0)
	v_mul_f64 v[48:49], v[6:7], v[32:33]
	v_mul_f64 v[32:33], v[8:9], v[32:33]
	;; [unrolled: 18-line block ×13, first 2 shown]
	v_fma_f64 v[48:49], v[4:5], v[34:35], v[48:49]
	v_fma_f64 v[179:180], v[2:3], v[34:35], -v[36:37]
	ds_load_b128 v[2:5], v1 offset:1520
	scratch_load_b128 v[34:37], off, off offset:752
	v_add_f64 v[44:45], v[44:45], v[177:178]
	v_add_f64 v[46:47], v[46:47], v[175:176]
	v_fma_f64 v[156:157], v[8:9], v[171:172], v[156:157]
	v_fma_f64 v[177:178], v[6:7], v[171:172], -v[173:174]
	ds_load_b128 v[6:9], v1 offset:1536
	s_waitcnt vmcnt(8) lgkmcnt(1)
	v_mul_f64 v[175:176], v[2:3], v[40:41]
	v_mul_f64 v[40:41], v[4:5], v[40:41]
	scratch_load_b128 v[171:174], off, off offset:768
	v_add_f64 v[44:45], v[44:45], v[179:180]
	v_add_f64 v[46:47], v[46:47], v[48:49]
	s_waitcnt vmcnt(8) lgkmcnt(0)
	v_mul_f64 v[48:49], v[6:7], v[169:170]
	v_mul_f64 v[169:170], v[8:9], v[169:170]
	v_fma_f64 v[175:176], v[4:5], v[38:39], v[175:176]
	v_fma_f64 v[179:180], v[2:3], v[38:39], -v[40:41]
	ds_load_b128 v[2:5], v1 offset:1552
	scratch_load_b128 v[38:41], off, off offset:784
	v_add_f64 v[44:45], v[44:45], v[177:178]
	v_add_f64 v[46:47], v[46:47], v[156:157]
	v_fma_f64 v[48:49], v[8:9], v[167:168], v[48:49]
	v_fma_f64 v[177:178], v[6:7], v[167:168], -v[169:170]
	ds_load_b128 v[6:9], v1 offset:1568
	s_waitcnt vmcnt(8) lgkmcnt(1)
	v_mul_f64 v[156:157], v[2:3], v[12:13]
	v_mul_f64 v[12:13], v[4:5], v[12:13]
	scratch_load_b128 v[167:170], off, off offset:800
	v_add_f64 v[44:45], v[44:45], v[179:180]
	v_add_f64 v[46:47], v[46:47], v[175:176]
	s_waitcnt vmcnt(8) lgkmcnt(0)
	v_mul_f64 v[175:176], v[6:7], v[16:17]
	v_mul_f64 v[16:17], v[8:9], v[16:17]
	v_fma_f64 v[156:157], v[4:5], v[10:11], v[156:157]
	v_fma_f64 v[179:180], v[2:3], v[10:11], -v[12:13]
	scratch_load_b128 v[10:13], off, off offset:816
	ds_load_b128 v[2:5], v1 offset:1584
	v_add_f64 v[44:45], v[44:45], v[177:178]
	v_add_f64 v[46:47], v[46:47], v[48:49]
	v_fma_f64 v[175:176], v[8:9], v[14:15], v[175:176]
	v_fma_f64 v[177:178], v[6:7], v[14:15], -v[16:17]
	ds_load_b128 v[6:9], v1 offset:1600
	s_waitcnt vmcnt(8) lgkmcnt(1)
	v_mul_f64 v[48:49], v[2:3], v[20:21]
	v_mul_f64 v[20:21], v[4:5], v[20:21]
	scratch_load_b128 v[14:17], off, off offset:832
	v_add_f64 v[44:45], v[44:45], v[179:180]
	v_add_f64 v[46:47], v[46:47], v[156:157]
	s_waitcnt vmcnt(8) lgkmcnt(0)
	v_mul_f64 v[156:157], v[6:7], v[24:25]
	v_mul_f64 v[24:25], v[8:9], v[24:25]
	v_fma_f64 v[48:49], v[4:5], v[18:19], v[48:49]
	v_fma_f64 v[179:180], v[2:3], v[18:19], -v[20:21]
	scratch_load_b128 v[18:21], off, off offset:848
	ds_load_b128 v[2:5], v1 offset:1616
	;; [unrolled: 18-line block ×3, first 2 shown]
	v_add_f64 v[44:45], v[44:45], v[177:178]
	v_add_f64 v[46:47], v[46:47], v[156:157]
	v_fma_f64 v[48:49], v[8:9], v[30:31], v[48:49]
	v_fma_f64 v[30:31], v[6:7], v[30:31], -v[32:33]
	ds_load_b128 v[6:9], v1 offset:1664
	s_waitcnt vmcnt(8) lgkmcnt(1)
	v_mul_f64 v[156:157], v[2:3], v[36:37]
	v_mul_f64 v[36:37], v[4:5], v[36:37]
	v_add_f64 v[32:33], v[44:45], v[179:180]
	v_add_f64 v[44:45], v[46:47], v[175:176]
	s_delay_alu instid0(VALU_DEP_4) | instskip(NEXT) | instid1(VALU_DEP_4)
	v_fma_f64 v[156:157], v[4:5], v[34:35], v[156:157]
	v_fma_f64 v[34:35], v[2:3], v[34:35], -v[36:37]
	ds_load_b128 v[2:5], v1 offset:1680
	v_add_f64 v[30:31], v[32:33], v[30:31]
	v_add_f64 v[32:33], v[44:45], v[48:49]
	s_delay_alu instid0(VALU_DEP_2) | instskip(NEXT) | instid1(VALU_DEP_2)
	v_add_f64 v[34:35], v[30:31], v[34:35]
	v_add_f64 v[48:49], v[32:33], v[156:157]
	scratch_load_b128 v[30:33], off, off offset:128
	s_waitcnt vmcnt(8) lgkmcnt(1)
	v_mul_f64 v[46:47], v[6:7], v[173:174]
	v_mul_f64 v[173:174], v[8:9], v[173:174]
	s_delay_alu instid0(VALU_DEP_2) | instskip(NEXT) | instid1(VALU_DEP_2)
	v_fma_f64 v[44:45], v[8:9], v[171:172], v[46:47]
	v_fma_f64 v[46:47], v[6:7], v[171:172], -v[173:174]
	ds_load_b128 v[6:9], v1 offset:1696
	s_waitcnt vmcnt(7) lgkmcnt(1)
	v_mul_f64 v[36:37], v[2:3], v[40:41]
	v_mul_f64 v[40:41], v[4:5], v[40:41]
	s_waitcnt vmcnt(6) lgkmcnt(0)
	v_mul_f64 v[156:157], v[6:7], v[169:170]
	v_mul_f64 v[169:170], v[8:9], v[169:170]
	v_add_f64 v[34:35], v[34:35], v[46:47]
	v_fma_f64 v[36:37], v[4:5], v[38:39], v[36:37]
	v_fma_f64 v[38:39], v[2:3], v[38:39], -v[40:41]
	v_add_f64 v[40:41], v[48:49], v[44:45]
	ds_load_b128 v[2:5], v1 offset:1712
	v_fma_f64 v[46:47], v[8:9], v[167:168], v[156:157]
	v_fma_f64 v[48:49], v[6:7], v[167:168], -v[169:170]
	ds_load_b128 v[6:9], v1 offset:1728
	s_waitcnt vmcnt(5) lgkmcnt(1)
	v_mul_f64 v[44:45], v[2:3], v[12:13]
	v_mul_f64 v[12:13], v[4:5], v[12:13]
	v_add_f64 v[34:35], v[34:35], v[38:39]
	v_add_f64 v[36:37], v[40:41], v[36:37]
	s_waitcnt vmcnt(4) lgkmcnt(0)
	v_mul_f64 v[38:39], v[6:7], v[16:17]
	v_mul_f64 v[16:17], v[8:9], v[16:17]
	v_fma_f64 v[40:41], v[4:5], v[10:11], v[44:45]
	v_fma_f64 v[10:11], v[2:3], v[10:11], -v[12:13]
	ds_load_b128 v[2:5], v1 offset:1744
	v_add_f64 v[12:13], v[34:35], v[48:49]
	v_add_f64 v[34:35], v[36:37], v[46:47]
	v_fma_f64 v[38:39], v[8:9], v[14:15], v[38:39]
	v_fma_f64 v[14:15], v[6:7], v[14:15], -v[16:17]
	ds_load_b128 v[6:9], v1 offset:1760
	s_waitcnt vmcnt(3) lgkmcnt(1)
	v_mul_f64 v[36:37], v[2:3], v[20:21]
	v_mul_f64 v[20:21], v[4:5], v[20:21]
	s_waitcnt vmcnt(2) lgkmcnt(0)
	v_mul_f64 v[16:17], v[6:7], v[24:25]
	v_mul_f64 v[24:25], v[8:9], v[24:25]
	v_add_f64 v[10:11], v[12:13], v[10:11]
	v_add_f64 v[12:13], v[34:35], v[40:41]
	v_fma_f64 v[34:35], v[4:5], v[18:19], v[36:37]
	v_fma_f64 v[18:19], v[2:3], v[18:19], -v[20:21]
	ds_load_b128 v[2:5], v1 offset:1776
	v_fma_f64 v[8:9], v[8:9], v[22:23], v[16:17]
	v_fma_f64 v[6:7], v[6:7], v[22:23], -v[24:25]
	s_waitcnt vmcnt(1) lgkmcnt(0)
	v_mul_f64 v[20:21], v[4:5], v[28:29]
	v_add_f64 v[10:11], v[10:11], v[14:15]
	v_add_f64 v[12:13], v[12:13], v[38:39]
	v_mul_f64 v[14:15], v[2:3], v[28:29]
	s_delay_alu instid0(VALU_DEP_4) | instskip(NEXT) | instid1(VALU_DEP_4)
	v_fma_f64 v[2:3], v[2:3], v[26:27], -v[20:21]
	v_add_f64 v[10:11], v[10:11], v[18:19]
	s_delay_alu instid0(VALU_DEP_4) | instskip(NEXT) | instid1(VALU_DEP_4)
	v_add_f64 v[12:13], v[12:13], v[34:35]
	v_fma_f64 v[4:5], v[4:5], v[26:27], v[14:15]
	s_delay_alu instid0(VALU_DEP_3) | instskip(NEXT) | instid1(VALU_DEP_3)
	v_add_f64 v[6:7], v[10:11], v[6:7]
	v_add_f64 v[8:9], v[12:13], v[8:9]
	s_delay_alu instid0(VALU_DEP_2) | instskip(NEXT) | instid1(VALU_DEP_2)
	v_add_f64 v[2:3], v[6:7], v[2:3]
	v_add_f64 v[4:5], v[8:9], v[4:5]
	s_waitcnt vmcnt(0)
	s_delay_alu instid0(VALU_DEP_2) | instskip(NEXT) | instid1(VALU_DEP_2)
	v_add_f64 v[2:3], v[30:31], -v[2:3]
	v_add_f64 v[4:5], v[32:33], -v[4:5]
	scratch_store_b128 off, v[2:5], off offset:128
	v_cmpx_lt_u32_e32 7, v154
	s_cbranch_execz .LBB55_335
; %bb.334:
	scratch_load_b128 v[5:8], v203, off
	v_mov_b32_e32 v2, v1
	v_mov_b32_e32 v3, v1
	;; [unrolled: 1-line block ×3, first 2 shown]
	scratch_store_b128 off, v[1:4], off offset:112
	s_waitcnt vmcnt(0)
	ds_store_b128 v210, v[5:8]
.LBB55_335:
	s_or_b32 exec_lo, exec_lo, s2
	s_waitcnt lgkmcnt(0)
	s_waitcnt_vscnt null, 0x0
	s_barrier
	buffer_gl0_inv
	s_clause 0x7
	scratch_load_b128 v[2:5], off, off offset:128
	scratch_load_b128 v[6:9], off, off offset:144
	;; [unrolled: 1-line block ×8, first 2 shown]
	ds_load_b128 v[38:41], v1 offset:1024
	ds_load_b128 v[167:170], v1 offset:1040
	s_clause 0x1
	scratch_load_b128 v[34:37], off, off offset:256
	scratch_load_b128 v[171:174], off, off offset:272
	s_mov_b32 s2, exec_lo
	s_waitcnt vmcnt(9) lgkmcnt(1)
	v_mul_f64 v[44:45], v[40:41], v[4:5]
	v_mul_f64 v[4:5], v[38:39], v[4:5]
	s_waitcnt vmcnt(8) lgkmcnt(0)
	v_mul_f64 v[46:47], v[167:168], v[8:9]
	v_mul_f64 v[8:9], v[169:170], v[8:9]
	s_delay_alu instid0(VALU_DEP_4) | instskip(NEXT) | instid1(VALU_DEP_4)
	v_fma_f64 v[44:45], v[38:39], v[2:3], -v[44:45]
	v_fma_f64 v[48:49], v[40:41], v[2:3], v[4:5]
	ds_load_b128 v[2:5], v1 offset:1056
	scratch_load_b128 v[38:41], off, off offset:288
	v_fma_f64 v[46:47], v[169:170], v[6:7], v[46:47]
	v_fma_f64 v[175:176], v[167:168], v[6:7], -v[8:9]
	scratch_load_b128 v[167:170], off, off offset:304
	ds_load_b128 v[6:9], v1 offset:1072
	s_waitcnt vmcnt(9) lgkmcnt(1)
	v_mul_f64 v[156:157], v[2:3], v[12:13]
	v_mul_f64 v[12:13], v[4:5], v[12:13]
	s_waitcnt vmcnt(8) lgkmcnt(0)
	v_mul_f64 v[177:178], v[6:7], v[16:17]
	v_mul_f64 v[16:17], v[8:9], v[16:17]
	v_add_f64 v[44:45], v[44:45], 0
	v_add_f64 v[48:49], v[48:49], 0
	v_fma_f64 v[156:157], v[4:5], v[10:11], v[156:157]
	v_fma_f64 v[179:180], v[2:3], v[10:11], -v[12:13]
	ds_load_b128 v[2:5], v1 offset:1088
	scratch_load_b128 v[10:13], off, off offset:320
	v_add_f64 v[44:45], v[44:45], v[175:176]
	v_add_f64 v[46:47], v[48:49], v[46:47]
	v_fma_f64 v[175:176], v[8:9], v[14:15], v[177:178]
	v_fma_f64 v[177:178], v[6:7], v[14:15], -v[16:17]
	scratch_load_b128 v[14:17], off, off offset:336
	ds_load_b128 v[6:9], v1 offset:1104
	s_waitcnt vmcnt(9) lgkmcnt(1)
	v_mul_f64 v[48:49], v[2:3], v[20:21]
	v_mul_f64 v[20:21], v[4:5], v[20:21]
	v_add_f64 v[44:45], v[44:45], v[179:180]
	v_add_f64 v[46:47], v[46:47], v[156:157]
	s_waitcnt vmcnt(8) lgkmcnt(0)
	v_mul_f64 v[156:157], v[6:7], v[24:25]
	v_mul_f64 v[24:25], v[8:9], v[24:25]
	v_fma_f64 v[48:49], v[4:5], v[18:19], v[48:49]
	v_fma_f64 v[179:180], v[2:3], v[18:19], -v[20:21]
	ds_load_b128 v[2:5], v1 offset:1120
	scratch_load_b128 v[18:21], off, off offset:352
	v_add_f64 v[44:45], v[44:45], v[177:178]
	v_add_f64 v[46:47], v[46:47], v[175:176]
	v_fma_f64 v[156:157], v[8:9], v[22:23], v[156:157]
	v_fma_f64 v[177:178], v[6:7], v[22:23], -v[24:25]
	scratch_load_b128 v[22:25], off, off offset:368
	ds_load_b128 v[6:9], v1 offset:1136
	s_waitcnt vmcnt(9) lgkmcnt(1)
	v_mul_f64 v[175:176], v[2:3], v[28:29]
	v_mul_f64 v[28:29], v[4:5], v[28:29]
	v_add_f64 v[44:45], v[44:45], v[179:180]
	v_add_f64 v[46:47], v[46:47], v[48:49]
	s_waitcnt vmcnt(8) lgkmcnt(0)
	v_mul_f64 v[48:49], v[6:7], v[32:33]
	v_mul_f64 v[32:33], v[8:9], v[32:33]
	;; [unrolled: 18-line block ×14, first 2 shown]
	v_fma_f64 v[175:176], v[4:5], v[38:39], v[175:176]
	v_fma_f64 v[179:180], v[2:3], v[38:39], -v[40:41]
	ds_load_b128 v[2:5], v1 offset:1536
	scratch_load_b128 v[38:41], off, off offset:768
	v_add_f64 v[44:45], v[44:45], v[177:178]
	v_add_f64 v[46:47], v[46:47], v[156:157]
	v_fma_f64 v[48:49], v[8:9], v[167:168], v[48:49]
	v_fma_f64 v[177:178], v[6:7], v[167:168], -v[169:170]
	ds_load_b128 v[6:9], v1 offset:1552
	s_waitcnt vmcnt(8) lgkmcnt(1)
	v_mul_f64 v[156:157], v[2:3], v[12:13]
	v_mul_f64 v[12:13], v[4:5], v[12:13]
	scratch_load_b128 v[167:170], off, off offset:784
	v_add_f64 v[44:45], v[44:45], v[179:180]
	v_add_f64 v[46:47], v[46:47], v[175:176]
	s_waitcnt vmcnt(8) lgkmcnt(0)
	v_mul_f64 v[175:176], v[6:7], v[16:17]
	v_mul_f64 v[16:17], v[8:9], v[16:17]
	v_fma_f64 v[156:157], v[4:5], v[10:11], v[156:157]
	v_fma_f64 v[179:180], v[2:3], v[10:11], -v[12:13]
	ds_load_b128 v[2:5], v1 offset:1568
	scratch_load_b128 v[10:13], off, off offset:800
	v_add_f64 v[44:45], v[44:45], v[177:178]
	v_add_f64 v[46:47], v[46:47], v[48:49]
	v_fma_f64 v[175:176], v[8:9], v[14:15], v[175:176]
	v_fma_f64 v[177:178], v[6:7], v[14:15], -v[16:17]
	ds_load_b128 v[6:9], v1 offset:1584
	s_waitcnt vmcnt(8) lgkmcnt(1)
	v_mul_f64 v[48:49], v[2:3], v[20:21]
	v_mul_f64 v[20:21], v[4:5], v[20:21]
	scratch_load_b128 v[14:17], off, off offset:816
	v_add_f64 v[44:45], v[44:45], v[179:180]
	v_add_f64 v[46:47], v[46:47], v[156:157]
	s_waitcnt vmcnt(8) lgkmcnt(0)
	v_mul_f64 v[156:157], v[6:7], v[24:25]
	v_mul_f64 v[24:25], v[8:9], v[24:25]
	v_fma_f64 v[48:49], v[4:5], v[18:19], v[48:49]
	v_fma_f64 v[179:180], v[2:3], v[18:19], -v[20:21]
	scratch_load_b128 v[18:21], off, off offset:832
	ds_load_b128 v[2:5], v1 offset:1600
	v_add_f64 v[44:45], v[44:45], v[177:178]
	v_add_f64 v[46:47], v[46:47], v[175:176]
	v_fma_f64 v[156:157], v[8:9], v[22:23], v[156:157]
	v_fma_f64 v[177:178], v[6:7], v[22:23], -v[24:25]
	ds_load_b128 v[6:9], v1 offset:1616
	s_waitcnt vmcnt(8) lgkmcnt(1)
	v_mul_f64 v[175:176], v[2:3], v[28:29]
	v_mul_f64 v[28:29], v[4:5], v[28:29]
	scratch_load_b128 v[22:25], off, off offset:848
	v_add_f64 v[44:45], v[44:45], v[179:180]
	v_add_f64 v[46:47], v[46:47], v[48:49]
	s_waitcnt vmcnt(8) lgkmcnt(0)
	v_mul_f64 v[48:49], v[6:7], v[32:33]
	v_mul_f64 v[32:33], v[8:9], v[32:33]
	v_fma_f64 v[175:176], v[4:5], v[26:27], v[175:176]
	v_fma_f64 v[179:180], v[2:3], v[26:27], -v[28:29]
	scratch_load_b128 v[26:29], off, off offset:864
	ds_load_b128 v[2:5], v1 offset:1632
	v_add_f64 v[44:45], v[44:45], v[177:178]
	v_add_f64 v[46:47], v[46:47], v[156:157]
	v_fma_f64 v[48:49], v[8:9], v[30:31], v[48:49]
	v_fma_f64 v[177:178], v[6:7], v[30:31], -v[32:33]
	ds_load_b128 v[6:9], v1 offset:1648
	s_waitcnt vmcnt(8) lgkmcnt(1)
	v_mul_f64 v[156:157], v[2:3], v[36:37]
	v_mul_f64 v[36:37], v[4:5], v[36:37]
	scratch_load_b128 v[30:33], off, off offset:880
	v_add_f64 v[44:45], v[44:45], v[179:180]
	v_add_f64 v[46:47], v[46:47], v[175:176]
	s_waitcnt vmcnt(8) lgkmcnt(0)
	v_mul_f64 v[175:176], v[6:7], v[173:174]
	v_mul_f64 v[173:174], v[8:9], v[173:174]
	v_fma_f64 v[156:157], v[4:5], v[34:35], v[156:157]
	v_fma_f64 v[34:35], v[2:3], v[34:35], -v[36:37]
	ds_load_b128 v[2:5], v1 offset:1664
	v_add_f64 v[36:37], v[44:45], v[177:178]
	v_add_f64 v[44:45], v[46:47], v[48:49]
	v_fma_f64 v[48:49], v[8:9], v[171:172], v[175:176]
	v_fma_f64 v[171:172], v[6:7], v[171:172], -v[173:174]
	ds_load_b128 v[6:9], v1 offset:1680
	s_waitcnt vmcnt(7) lgkmcnt(1)
	v_mul_f64 v[46:47], v[2:3], v[40:41]
	v_mul_f64 v[40:41], v[4:5], v[40:41]
	v_add_f64 v[34:35], v[36:37], v[34:35]
	v_add_f64 v[36:37], v[44:45], v[156:157]
	s_delay_alu instid0(VALU_DEP_4) | instskip(NEXT) | instid1(VALU_DEP_4)
	v_fma_f64 v[46:47], v[4:5], v[38:39], v[46:47]
	v_fma_f64 v[38:39], v[2:3], v[38:39], -v[40:41]
	ds_load_b128 v[2:5], v1 offset:1696
	v_add_f64 v[40:41], v[34:35], v[171:172]
	v_add_f64 v[48:49], v[36:37], v[48:49]
	scratch_load_b128 v[34:37], off, off offset:112
	s_waitcnt vmcnt(7) lgkmcnt(1)
	v_mul_f64 v[44:45], v[6:7], v[169:170]
	v_mul_f64 v[156:157], v[8:9], v[169:170]
	v_add_f64 v[38:39], v[40:41], v[38:39]
	v_add_f64 v[40:41], v[48:49], v[46:47]
	s_delay_alu instid0(VALU_DEP_4) | instskip(NEXT) | instid1(VALU_DEP_4)
	v_fma_f64 v[44:45], v[8:9], v[167:168], v[44:45]
	v_fma_f64 v[156:157], v[6:7], v[167:168], -v[156:157]
	ds_load_b128 v[6:9], v1 offset:1712
	s_waitcnt vmcnt(6) lgkmcnt(1)
	v_mul_f64 v[169:170], v[2:3], v[12:13]
	v_mul_f64 v[12:13], v[4:5], v[12:13]
	s_waitcnt vmcnt(5) lgkmcnt(0)
	v_mul_f64 v[46:47], v[6:7], v[16:17]
	v_mul_f64 v[16:17], v[8:9], v[16:17]
	s_delay_alu instid0(VALU_DEP_4) | instskip(NEXT) | instid1(VALU_DEP_4)
	v_fma_f64 v[48:49], v[4:5], v[10:11], v[169:170]
	v_fma_f64 v[10:11], v[2:3], v[10:11], -v[12:13]
	v_add_f64 v[12:13], v[38:39], v[156:157]
	v_add_f64 v[38:39], v[40:41], v[44:45]
	ds_load_b128 v[2:5], v1 offset:1728
	v_fma_f64 v[44:45], v[8:9], v[14:15], v[46:47]
	v_fma_f64 v[14:15], v[6:7], v[14:15], -v[16:17]
	ds_load_b128 v[6:9], v1 offset:1744
	s_waitcnt vmcnt(4) lgkmcnt(1)
	v_mul_f64 v[40:41], v[2:3], v[20:21]
	v_mul_f64 v[20:21], v[4:5], v[20:21]
	v_add_f64 v[10:11], v[12:13], v[10:11]
	v_add_f64 v[12:13], v[38:39], v[48:49]
	s_waitcnt vmcnt(3) lgkmcnt(0)
	v_mul_f64 v[16:17], v[6:7], v[24:25]
	v_mul_f64 v[24:25], v[8:9], v[24:25]
	v_fma_f64 v[38:39], v[4:5], v[18:19], v[40:41]
	v_fma_f64 v[18:19], v[2:3], v[18:19], -v[20:21]
	ds_load_b128 v[2:5], v1 offset:1760
	v_add_f64 v[10:11], v[10:11], v[14:15]
	v_add_f64 v[12:13], v[12:13], v[44:45]
	v_fma_f64 v[16:17], v[8:9], v[22:23], v[16:17]
	v_fma_f64 v[22:23], v[6:7], v[22:23], -v[24:25]
	ds_load_b128 v[6:9], v1 offset:1776
	s_waitcnt vmcnt(2) lgkmcnt(1)
	v_mul_f64 v[14:15], v[2:3], v[28:29]
	v_mul_f64 v[20:21], v[4:5], v[28:29]
	s_waitcnt vmcnt(1) lgkmcnt(0)
	v_mul_f64 v[24:25], v[8:9], v[32:33]
	v_add_f64 v[10:11], v[10:11], v[18:19]
	v_add_f64 v[12:13], v[12:13], v[38:39]
	v_mul_f64 v[18:19], v[6:7], v[32:33]
	v_fma_f64 v[4:5], v[4:5], v[26:27], v[14:15]
	v_fma_f64 v[1:2], v[2:3], v[26:27], -v[20:21]
	v_fma_f64 v[6:7], v[6:7], v[30:31], -v[24:25]
	v_add_f64 v[10:11], v[10:11], v[22:23]
	v_add_f64 v[12:13], v[12:13], v[16:17]
	v_fma_f64 v[8:9], v[8:9], v[30:31], v[18:19]
	s_delay_alu instid0(VALU_DEP_3) | instskip(NEXT) | instid1(VALU_DEP_3)
	v_add_f64 v[1:2], v[10:11], v[1:2]
	v_add_f64 v[3:4], v[12:13], v[4:5]
	s_delay_alu instid0(VALU_DEP_2) | instskip(NEXT) | instid1(VALU_DEP_2)
	v_add_f64 v[1:2], v[1:2], v[6:7]
	v_add_f64 v[3:4], v[3:4], v[8:9]
	s_waitcnt vmcnt(0)
	s_delay_alu instid0(VALU_DEP_2) | instskip(NEXT) | instid1(VALU_DEP_2)
	v_add_f64 v[1:2], v[34:35], -v[1:2]
	v_add_f64 v[3:4], v[36:37], -v[3:4]
	scratch_store_b128 off, v[1:4], off offset:112
	v_cmpx_lt_u32_e32 6, v154
	s_cbranch_execz .LBB55_337
; %bb.336:
	scratch_load_b128 v[1:4], v204, off
	v_mov_b32_e32 v5, 0
	s_delay_alu instid0(VALU_DEP_1)
	v_mov_b32_e32 v6, v5
	v_mov_b32_e32 v7, v5
	;; [unrolled: 1-line block ×3, first 2 shown]
	scratch_store_b128 off, v[5:8], off offset:96
	s_waitcnt vmcnt(0)
	ds_store_b128 v210, v[1:4]
.LBB55_337:
	s_or_b32 exec_lo, exec_lo, s2
	s_waitcnt lgkmcnt(0)
	s_waitcnt_vscnt null, 0x0
	s_barrier
	buffer_gl0_inv
	s_clause 0x7
	scratch_load_b128 v[2:5], off, off offset:112
	scratch_load_b128 v[6:9], off, off offset:128
	;; [unrolled: 1-line block ×8, first 2 shown]
	v_mov_b32_e32 v1, 0
	s_clause 0x1
	scratch_load_b128 v[34:37], off, off offset:240
	scratch_load_b128 v[171:174], off, off offset:256
	s_mov_b32 s2, exec_lo
	ds_load_b128 v[38:41], v1 offset:1008
	ds_load_b128 v[167:170], v1 offset:1024
	s_waitcnt vmcnt(9) lgkmcnt(1)
	v_mul_f64 v[44:45], v[40:41], v[4:5]
	v_mul_f64 v[4:5], v[38:39], v[4:5]
	s_waitcnt vmcnt(8) lgkmcnt(0)
	v_mul_f64 v[46:47], v[167:168], v[8:9]
	v_mul_f64 v[8:9], v[169:170], v[8:9]
	s_delay_alu instid0(VALU_DEP_4) | instskip(NEXT) | instid1(VALU_DEP_4)
	v_fma_f64 v[44:45], v[38:39], v[2:3], -v[44:45]
	v_fma_f64 v[48:49], v[40:41], v[2:3], v[4:5]
	ds_load_b128 v[2:5], v1 offset:1040
	scratch_load_b128 v[38:41], off, off offset:272
	v_fma_f64 v[46:47], v[169:170], v[6:7], v[46:47]
	v_fma_f64 v[175:176], v[167:168], v[6:7], -v[8:9]
	scratch_load_b128 v[167:170], off, off offset:288
	ds_load_b128 v[6:9], v1 offset:1056
	s_waitcnt vmcnt(9) lgkmcnt(1)
	v_mul_f64 v[156:157], v[2:3], v[12:13]
	v_mul_f64 v[12:13], v[4:5], v[12:13]
	s_waitcnt vmcnt(8) lgkmcnt(0)
	v_mul_f64 v[177:178], v[6:7], v[16:17]
	v_mul_f64 v[16:17], v[8:9], v[16:17]
	v_add_f64 v[44:45], v[44:45], 0
	v_add_f64 v[48:49], v[48:49], 0
	v_fma_f64 v[156:157], v[4:5], v[10:11], v[156:157]
	v_fma_f64 v[179:180], v[2:3], v[10:11], -v[12:13]
	ds_load_b128 v[2:5], v1 offset:1072
	scratch_load_b128 v[10:13], off, off offset:304
	v_add_f64 v[44:45], v[44:45], v[175:176]
	v_add_f64 v[46:47], v[48:49], v[46:47]
	v_fma_f64 v[175:176], v[8:9], v[14:15], v[177:178]
	v_fma_f64 v[177:178], v[6:7], v[14:15], -v[16:17]
	scratch_load_b128 v[14:17], off, off offset:320
	ds_load_b128 v[6:9], v1 offset:1088
	s_waitcnt vmcnt(9) lgkmcnt(1)
	v_mul_f64 v[48:49], v[2:3], v[20:21]
	v_mul_f64 v[20:21], v[4:5], v[20:21]
	v_add_f64 v[44:45], v[44:45], v[179:180]
	v_add_f64 v[46:47], v[46:47], v[156:157]
	s_waitcnt vmcnt(8) lgkmcnt(0)
	v_mul_f64 v[156:157], v[6:7], v[24:25]
	v_mul_f64 v[24:25], v[8:9], v[24:25]
	v_fma_f64 v[48:49], v[4:5], v[18:19], v[48:49]
	v_fma_f64 v[179:180], v[2:3], v[18:19], -v[20:21]
	ds_load_b128 v[2:5], v1 offset:1104
	scratch_load_b128 v[18:21], off, off offset:336
	v_add_f64 v[44:45], v[44:45], v[177:178]
	v_add_f64 v[46:47], v[46:47], v[175:176]
	v_fma_f64 v[156:157], v[8:9], v[22:23], v[156:157]
	v_fma_f64 v[177:178], v[6:7], v[22:23], -v[24:25]
	scratch_load_b128 v[22:25], off, off offset:352
	ds_load_b128 v[6:9], v1 offset:1120
	s_waitcnt vmcnt(9) lgkmcnt(1)
	v_mul_f64 v[175:176], v[2:3], v[28:29]
	v_mul_f64 v[28:29], v[4:5], v[28:29]
	v_add_f64 v[44:45], v[44:45], v[179:180]
	v_add_f64 v[46:47], v[46:47], v[48:49]
	s_waitcnt vmcnt(8) lgkmcnt(0)
	v_mul_f64 v[48:49], v[6:7], v[32:33]
	v_mul_f64 v[32:33], v[8:9], v[32:33]
	;; [unrolled: 18-line block ×15, first 2 shown]
	v_fma_f64 v[156:157], v[4:5], v[10:11], v[156:157]
	v_fma_f64 v[179:180], v[2:3], v[10:11], -v[12:13]
	ds_load_b128 v[2:5], v1 offset:1552
	scratch_load_b128 v[10:13], off, off offset:784
	v_add_f64 v[44:45], v[44:45], v[177:178]
	v_add_f64 v[46:47], v[46:47], v[48:49]
	v_fma_f64 v[175:176], v[8:9], v[14:15], v[175:176]
	v_fma_f64 v[177:178], v[6:7], v[14:15], -v[16:17]
	ds_load_b128 v[6:9], v1 offset:1568
	s_waitcnt vmcnt(8) lgkmcnt(1)
	v_mul_f64 v[48:49], v[2:3], v[20:21]
	v_mul_f64 v[20:21], v[4:5], v[20:21]
	scratch_load_b128 v[14:17], off, off offset:800
	v_add_f64 v[44:45], v[44:45], v[179:180]
	v_add_f64 v[46:47], v[46:47], v[156:157]
	s_waitcnt vmcnt(8) lgkmcnt(0)
	v_mul_f64 v[156:157], v[6:7], v[24:25]
	v_mul_f64 v[24:25], v[8:9], v[24:25]
	v_fma_f64 v[48:49], v[4:5], v[18:19], v[48:49]
	v_fma_f64 v[179:180], v[2:3], v[18:19], -v[20:21]
	scratch_load_b128 v[18:21], off, off offset:816
	ds_load_b128 v[2:5], v1 offset:1584
	v_add_f64 v[44:45], v[44:45], v[177:178]
	v_add_f64 v[46:47], v[46:47], v[175:176]
	v_fma_f64 v[156:157], v[8:9], v[22:23], v[156:157]
	v_fma_f64 v[177:178], v[6:7], v[22:23], -v[24:25]
	ds_load_b128 v[6:9], v1 offset:1600
	s_waitcnt vmcnt(8) lgkmcnt(1)
	v_mul_f64 v[175:176], v[2:3], v[28:29]
	v_mul_f64 v[28:29], v[4:5], v[28:29]
	scratch_load_b128 v[22:25], off, off offset:832
	v_add_f64 v[44:45], v[44:45], v[179:180]
	v_add_f64 v[46:47], v[46:47], v[48:49]
	s_waitcnt vmcnt(8) lgkmcnt(0)
	v_mul_f64 v[48:49], v[6:7], v[32:33]
	v_mul_f64 v[32:33], v[8:9], v[32:33]
	v_fma_f64 v[175:176], v[4:5], v[26:27], v[175:176]
	v_fma_f64 v[179:180], v[2:3], v[26:27], -v[28:29]
	scratch_load_b128 v[26:29], off, off offset:848
	ds_load_b128 v[2:5], v1 offset:1616
	;; [unrolled: 18-line block ×3, first 2 shown]
	v_add_f64 v[44:45], v[44:45], v[177:178]
	v_add_f64 v[46:47], v[46:47], v[48:49]
	v_fma_f64 v[175:176], v[8:9], v[171:172], v[175:176]
	v_fma_f64 v[171:172], v[6:7], v[171:172], -v[173:174]
	ds_load_b128 v[6:9], v1 offset:1664
	s_waitcnt vmcnt(8) lgkmcnt(1)
	v_mul_f64 v[48:49], v[2:3], v[40:41]
	v_mul_f64 v[40:41], v[4:5], v[40:41]
	v_add_f64 v[44:45], v[44:45], v[179:180]
	v_add_f64 v[46:47], v[46:47], v[156:157]
	s_waitcnt vmcnt(7) lgkmcnt(0)
	v_mul_f64 v[156:157], v[6:7], v[169:170]
	v_mul_f64 v[169:170], v[8:9], v[169:170]
	v_fma_f64 v[48:49], v[4:5], v[38:39], v[48:49]
	v_fma_f64 v[38:39], v[2:3], v[38:39], -v[40:41]
	ds_load_b128 v[2:5], v1 offset:1680
	v_add_f64 v[40:41], v[44:45], v[171:172]
	v_add_f64 v[44:45], v[46:47], v[175:176]
	v_fma_f64 v[156:157], v[8:9], v[167:168], v[156:157]
	v_fma_f64 v[167:168], v[6:7], v[167:168], -v[169:170]
	ds_load_b128 v[6:9], v1 offset:1696
	v_add_f64 v[169:170], v[40:41], v[38:39]
	v_add_f64 v[44:45], v[44:45], v[48:49]
	scratch_load_b128 v[38:41], off, off offset:96
	s_waitcnt vmcnt(7) lgkmcnt(1)
	v_mul_f64 v[46:47], v[2:3], v[12:13]
	v_mul_f64 v[12:13], v[4:5], v[12:13]
	s_waitcnt vmcnt(6) lgkmcnt(0)
	v_mul_f64 v[48:49], v[6:7], v[16:17]
	v_mul_f64 v[16:17], v[8:9], v[16:17]
	v_add_f64 v[44:45], v[44:45], v[156:157]
	v_fma_f64 v[46:47], v[4:5], v[10:11], v[46:47]
	v_fma_f64 v[10:11], v[2:3], v[10:11], -v[12:13]
	v_add_f64 v[12:13], v[169:170], v[167:168]
	ds_load_b128 v[2:5], v1 offset:1712
	v_fma_f64 v[48:49], v[8:9], v[14:15], v[48:49]
	v_fma_f64 v[14:15], v[6:7], v[14:15], -v[16:17]
	ds_load_b128 v[6:9], v1 offset:1728
	s_waitcnt vmcnt(5) lgkmcnt(1)
	v_mul_f64 v[156:157], v[2:3], v[20:21]
	v_mul_f64 v[20:21], v[4:5], v[20:21]
	s_waitcnt vmcnt(4) lgkmcnt(0)
	v_mul_f64 v[16:17], v[6:7], v[24:25]
	v_mul_f64 v[24:25], v[8:9], v[24:25]
	v_add_f64 v[10:11], v[12:13], v[10:11]
	v_add_f64 v[12:13], v[44:45], v[46:47]
	v_fma_f64 v[44:45], v[4:5], v[18:19], v[156:157]
	v_fma_f64 v[18:19], v[2:3], v[18:19], -v[20:21]
	ds_load_b128 v[2:5], v1 offset:1744
	v_fma_f64 v[16:17], v[8:9], v[22:23], v[16:17]
	v_fma_f64 v[22:23], v[6:7], v[22:23], -v[24:25]
	ds_load_b128 v[6:9], v1 offset:1760
	v_add_f64 v[10:11], v[10:11], v[14:15]
	v_add_f64 v[12:13], v[12:13], v[48:49]
	s_waitcnt vmcnt(3) lgkmcnt(1)
	v_mul_f64 v[14:15], v[2:3], v[28:29]
	v_mul_f64 v[20:21], v[4:5], v[28:29]
	s_waitcnt vmcnt(2) lgkmcnt(0)
	v_mul_f64 v[24:25], v[8:9], v[32:33]
	v_add_f64 v[10:11], v[10:11], v[18:19]
	v_add_f64 v[12:13], v[12:13], v[44:45]
	v_mul_f64 v[18:19], v[6:7], v[32:33]
	v_fma_f64 v[14:15], v[4:5], v[26:27], v[14:15]
	v_fma_f64 v[20:21], v[2:3], v[26:27], -v[20:21]
	ds_load_b128 v[2:5], v1 offset:1776
	v_fma_f64 v[6:7], v[6:7], v[30:31], -v[24:25]
	v_add_f64 v[10:11], v[10:11], v[22:23]
	v_add_f64 v[12:13], v[12:13], v[16:17]
	s_waitcnt vmcnt(1) lgkmcnt(0)
	v_mul_f64 v[16:17], v[2:3], v[36:37]
	v_mul_f64 v[22:23], v[4:5], v[36:37]
	v_fma_f64 v[8:9], v[8:9], v[30:31], v[18:19]
	v_add_f64 v[10:11], v[10:11], v[20:21]
	v_add_f64 v[12:13], v[12:13], v[14:15]
	v_fma_f64 v[4:5], v[4:5], v[34:35], v[16:17]
	v_fma_f64 v[2:3], v[2:3], v[34:35], -v[22:23]
	s_delay_alu instid0(VALU_DEP_4) | instskip(NEXT) | instid1(VALU_DEP_4)
	v_add_f64 v[6:7], v[10:11], v[6:7]
	v_add_f64 v[8:9], v[12:13], v[8:9]
	s_delay_alu instid0(VALU_DEP_2) | instskip(NEXT) | instid1(VALU_DEP_2)
	v_add_f64 v[2:3], v[6:7], v[2:3]
	v_add_f64 v[4:5], v[8:9], v[4:5]
	s_waitcnt vmcnt(0)
	s_delay_alu instid0(VALU_DEP_2) | instskip(NEXT) | instid1(VALU_DEP_2)
	v_add_f64 v[2:3], v[38:39], -v[2:3]
	v_add_f64 v[4:5], v[40:41], -v[4:5]
	scratch_store_b128 off, v[2:5], off offset:96
	v_cmpx_lt_u32_e32 5, v154
	s_cbranch_execz .LBB55_339
; %bb.338:
	scratch_load_b128 v[5:8], v205, off
	v_mov_b32_e32 v2, v1
	v_mov_b32_e32 v3, v1
	;; [unrolled: 1-line block ×3, first 2 shown]
	scratch_store_b128 off, v[1:4], off offset:80
	s_waitcnt vmcnt(0)
	ds_store_b128 v210, v[5:8]
.LBB55_339:
	s_or_b32 exec_lo, exec_lo, s2
	s_waitcnt lgkmcnt(0)
	s_waitcnt_vscnt null, 0x0
	s_barrier
	buffer_gl0_inv
	s_clause 0x7
	scratch_load_b128 v[2:5], off, off offset:96
	scratch_load_b128 v[6:9], off, off offset:112
	;; [unrolled: 1-line block ×8, first 2 shown]
	ds_load_b128 v[38:41], v1 offset:992
	ds_load_b128 v[167:170], v1 offset:1008
	s_clause 0x1
	scratch_load_b128 v[34:37], off, off offset:224
	scratch_load_b128 v[171:174], off, off offset:240
	s_mov_b32 s2, exec_lo
	s_waitcnt vmcnt(9) lgkmcnt(1)
	v_mul_f64 v[44:45], v[40:41], v[4:5]
	v_mul_f64 v[4:5], v[38:39], v[4:5]
	s_waitcnt vmcnt(8) lgkmcnt(0)
	v_mul_f64 v[46:47], v[167:168], v[8:9]
	v_mul_f64 v[8:9], v[169:170], v[8:9]
	s_delay_alu instid0(VALU_DEP_4) | instskip(NEXT) | instid1(VALU_DEP_4)
	v_fma_f64 v[44:45], v[38:39], v[2:3], -v[44:45]
	v_fma_f64 v[48:49], v[40:41], v[2:3], v[4:5]
	ds_load_b128 v[2:5], v1 offset:1024
	scratch_load_b128 v[38:41], off, off offset:256
	v_fma_f64 v[46:47], v[169:170], v[6:7], v[46:47]
	v_fma_f64 v[175:176], v[167:168], v[6:7], -v[8:9]
	scratch_load_b128 v[167:170], off, off offset:272
	ds_load_b128 v[6:9], v1 offset:1040
	s_waitcnt vmcnt(9) lgkmcnt(1)
	v_mul_f64 v[156:157], v[2:3], v[12:13]
	v_mul_f64 v[12:13], v[4:5], v[12:13]
	s_waitcnt vmcnt(8) lgkmcnt(0)
	v_mul_f64 v[177:178], v[6:7], v[16:17]
	v_mul_f64 v[16:17], v[8:9], v[16:17]
	v_add_f64 v[44:45], v[44:45], 0
	v_add_f64 v[48:49], v[48:49], 0
	v_fma_f64 v[156:157], v[4:5], v[10:11], v[156:157]
	v_fma_f64 v[179:180], v[2:3], v[10:11], -v[12:13]
	ds_load_b128 v[2:5], v1 offset:1056
	scratch_load_b128 v[10:13], off, off offset:288
	v_add_f64 v[44:45], v[44:45], v[175:176]
	v_add_f64 v[46:47], v[48:49], v[46:47]
	v_fma_f64 v[175:176], v[8:9], v[14:15], v[177:178]
	v_fma_f64 v[177:178], v[6:7], v[14:15], -v[16:17]
	scratch_load_b128 v[14:17], off, off offset:304
	ds_load_b128 v[6:9], v1 offset:1072
	s_waitcnt vmcnt(9) lgkmcnt(1)
	v_mul_f64 v[48:49], v[2:3], v[20:21]
	v_mul_f64 v[20:21], v[4:5], v[20:21]
	v_add_f64 v[44:45], v[44:45], v[179:180]
	v_add_f64 v[46:47], v[46:47], v[156:157]
	s_waitcnt vmcnt(8) lgkmcnt(0)
	v_mul_f64 v[156:157], v[6:7], v[24:25]
	v_mul_f64 v[24:25], v[8:9], v[24:25]
	v_fma_f64 v[48:49], v[4:5], v[18:19], v[48:49]
	v_fma_f64 v[179:180], v[2:3], v[18:19], -v[20:21]
	ds_load_b128 v[2:5], v1 offset:1088
	scratch_load_b128 v[18:21], off, off offset:320
	v_add_f64 v[44:45], v[44:45], v[177:178]
	v_add_f64 v[46:47], v[46:47], v[175:176]
	v_fma_f64 v[156:157], v[8:9], v[22:23], v[156:157]
	v_fma_f64 v[177:178], v[6:7], v[22:23], -v[24:25]
	scratch_load_b128 v[22:25], off, off offset:336
	ds_load_b128 v[6:9], v1 offset:1104
	s_waitcnt vmcnt(9) lgkmcnt(1)
	v_mul_f64 v[175:176], v[2:3], v[28:29]
	v_mul_f64 v[28:29], v[4:5], v[28:29]
	v_add_f64 v[44:45], v[44:45], v[179:180]
	v_add_f64 v[46:47], v[46:47], v[48:49]
	s_waitcnt vmcnt(8) lgkmcnt(0)
	v_mul_f64 v[48:49], v[6:7], v[32:33]
	v_mul_f64 v[32:33], v[8:9], v[32:33]
	;; [unrolled: 18-line block ×10, first 2 shown]
	v_fma_f64 v[48:49], v[4:5], v[10:11], v[48:49]
	v_fma_f64 v[179:180], v[2:3], v[10:11], -v[12:13]
	scratch_load_b128 v[10:13], off, off offset:608
	ds_load_b128 v[2:5], v1 offset:1376
	v_add_f64 v[44:45], v[44:45], v[177:178]
	v_add_f64 v[46:47], v[46:47], v[175:176]
	v_fma_f64 v[156:157], v[8:9], v[14:15], v[156:157]
	v_fma_f64 v[177:178], v[6:7], v[14:15], -v[16:17]
	ds_load_b128 v[6:9], v1 offset:1392
	s_waitcnt vmcnt(8) lgkmcnt(1)
	v_mul_f64 v[175:176], v[2:3], v[20:21]
	v_mul_f64 v[20:21], v[4:5], v[20:21]
	scratch_load_b128 v[14:17], off, off offset:624
	v_add_f64 v[44:45], v[44:45], v[179:180]
	v_add_f64 v[46:47], v[46:47], v[48:49]
	s_waitcnt vmcnt(8) lgkmcnt(0)
	v_mul_f64 v[48:49], v[6:7], v[24:25]
	v_mul_f64 v[24:25], v[8:9], v[24:25]
	v_fma_f64 v[175:176], v[4:5], v[18:19], v[175:176]
	v_fma_f64 v[179:180], v[2:3], v[18:19], -v[20:21]
	ds_load_b128 v[2:5], v1 offset:1408
	scratch_load_b128 v[18:21], off, off offset:640
	v_add_f64 v[44:45], v[44:45], v[177:178]
	v_add_f64 v[46:47], v[46:47], v[156:157]
	v_fma_f64 v[48:49], v[8:9], v[22:23], v[48:49]
	v_fma_f64 v[177:178], v[6:7], v[22:23], -v[24:25]
	scratch_load_b128 v[22:25], off, off offset:656
	ds_load_b128 v[6:9], v1 offset:1424
	s_waitcnt vmcnt(9) lgkmcnt(1)
	v_mul_f64 v[156:157], v[2:3], v[28:29]
	v_mul_f64 v[28:29], v[4:5], v[28:29]
	v_add_f64 v[44:45], v[44:45], v[179:180]
	v_add_f64 v[46:47], v[46:47], v[175:176]
	s_waitcnt vmcnt(8) lgkmcnt(0)
	v_mul_f64 v[175:176], v[6:7], v[32:33]
	v_mul_f64 v[32:33], v[8:9], v[32:33]
	v_fma_f64 v[156:157], v[4:5], v[26:27], v[156:157]
	v_fma_f64 v[179:180], v[2:3], v[26:27], -v[28:29]
	ds_load_b128 v[2:5], v1 offset:1440
	scratch_load_b128 v[26:29], off, off offset:672
	v_add_f64 v[44:45], v[44:45], v[177:178]
	v_add_f64 v[46:47], v[46:47], v[48:49]
	v_fma_f64 v[175:176], v[8:9], v[30:31], v[175:176]
	v_fma_f64 v[177:178], v[6:7], v[30:31], -v[32:33]
	scratch_load_b128 v[30:33], off, off offset:688
	ds_load_b128 v[6:9], v1 offset:1456
	s_waitcnt vmcnt(9) lgkmcnt(1)
	v_mul_f64 v[48:49], v[2:3], v[36:37]
	v_mul_f64 v[36:37], v[4:5], v[36:37]
	;; [unrolled: 18-line block ×3, first 2 shown]
	v_add_f64 v[44:45], v[44:45], v[179:180]
	v_add_f64 v[46:47], v[46:47], v[48:49]
	s_waitcnt vmcnt(8) lgkmcnt(0)
	v_mul_f64 v[48:49], v[6:7], v[169:170]
	v_mul_f64 v[169:170], v[8:9], v[169:170]
	v_fma_f64 v[175:176], v[4:5], v[38:39], v[175:176]
	v_fma_f64 v[179:180], v[2:3], v[38:39], -v[40:41]
	ds_load_b128 v[2:5], v1 offset:1504
	scratch_load_b128 v[38:41], off, off offset:736
	v_add_f64 v[44:45], v[44:45], v[177:178]
	v_add_f64 v[46:47], v[46:47], v[156:157]
	v_fma_f64 v[48:49], v[8:9], v[167:168], v[48:49]
	v_fma_f64 v[177:178], v[6:7], v[167:168], -v[169:170]
	ds_load_b128 v[6:9], v1 offset:1520
	s_waitcnt vmcnt(8) lgkmcnt(1)
	v_mul_f64 v[156:157], v[2:3], v[12:13]
	v_mul_f64 v[12:13], v[4:5], v[12:13]
	scratch_load_b128 v[167:170], off, off offset:752
	v_add_f64 v[44:45], v[44:45], v[179:180]
	v_add_f64 v[46:47], v[46:47], v[175:176]
	s_waitcnt vmcnt(8) lgkmcnt(0)
	v_mul_f64 v[175:176], v[6:7], v[16:17]
	v_mul_f64 v[16:17], v[8:9], v[16:17]
	v_fma_f64 v[156:157], v[4:5], v[10:11], v[156:157]
	v_fma_f64 v[179:180], v[2:3], v[10:11], -v[12:13]
	scratch_load_b128 v[10:13], off, off offset:768
	ds_load_b128 v[2:5], v1 offset:1536
	v_add_f64 v[44:45], v[44:45], v[177:178]
	v_add_f64 v[46:47], v[46:47], v[48:49]
	v_fma_f64 v[175:176], v[8:9], v[14:15], v[175:176]
	v_fma_f64 v[177:178], v[6:7], v[14:15], -v[16:17]
	ds_load_b128 v[6:9], v1 offset:1552
	s_waitcnt vmcnt(8) lgkmcnt(1)
	v_mul_f64 v[48:49], v[2:3], v[20:21]
	v_mul_f64 v[20:21], v[4:5], v[20:21]
	scratch_load_b128 v[14:17], off, off offset:784
	v_add_f64 v[44:45], v[44:45], v[179:180]
	v_add_f64 v[46:47], v[46:47], v[156:157]
	s_waitcnt vmcnt(8) lgkmcnt(0)
	v_mul_f64 v[156:157], v[6:7], v[24:25]
	v_mul_f64 v[24:25], v[8:9], v[24:25]
	v_fma_f64 v[48:49], v[4:5], v[18:19], v[48:49]
	v_fma_f64 v[179:180], v[2:3], v[18:19], -v[20:21]
	scratch_load_b128 v[18:21], off, off offset:800
	ds_load_b128 v[2:5], v1 offset:1568
	;; [unrolled: 18-line block ×4, first 2 shown]
	v_add_f64 v[44:45], v[44:45], v[177:178]
	v_add_f64 v[46:47], v[46:47], v[48:49]
	v_fma_f64 v[175:176], v[8:9], v[171:172], v[175:176]
	v_fma_f64 v[177:178], v[6:7], v[171:172], -v[173:174]
	ds_load_b128 v[6:9], v1 offset:1648
	s_waitcnt vmcnt(8) lgkmcnt(1)
	v_mul_f64 v[48:49], v[2:3], v[40:41]
	v_mul_f64 v[40:41], v[4:5], v[40:41]
	scratch_load_b128 v[171:174], off, off offset:880
	v_add_f64 v[44:45], v[44:45], v[179:180]
	v_add_f64 v[46:47], v[46:47], v[156:157]
	v_fma_f64 v[48:49], v[4:5], v[38:39], v[48:49]
	v_fma_f64 v[38:39], v[2:3], v[38:39], -v[40:41]
	ds_load_b128 v[2:5], v1 offset:1664
	v_add_f64 v[40:41], v[44:45], v[177:178]
	v_add_f64 v[44:45], v[46:47], v[175:176]
	s_waitcnt vmcnt(7) lgkmcnt(0)
	v_mul_f64 v[46:47], v[2:3], v[12:13]
	v_mul_f64 v[12:13], v[4:5], v[12:13]
	s_delay_alu instid0(VALU_DEP_4) | instskip(NEXT) | instid1(VALU_DEP_4)
	v_add_f64 v[38:39], v[40:41], v[38:39]
	v_add_f64 v[40:41], v[44:45], v[48:49]
	s_delay_alu instid0(VALU_DEP_4) | instskip(NEXT) | instid1(VALU_DEP_4)
	v_fma_f64 v[46:47], v[4:5], v[10:11], v[46:47]
	v_fma_f64 v[48:49], v[2:3], v[10:11], -v[12:13]
	scratch_load_b128 v[10:13], off, off offset:80
	v_mul_f64 v[156:157], v[6:7], v[169:170]
	v_mul_f64 v[169:170], v[8:9], v[169:170]
	ds_load_b128 v[2:5], v1 offset:1696
	v_fma_f64 v[156:157], v[8:9], v[167:168], v[156:157]
	v_fma_f64 v[167:168], v[6:7], v[167:168], -v[169:170]
	ds_load_b128 v[6:9], v1 offset:1680
	s_waitcnt vmcnt(7) lgkmcnt(0)
	v_mul_f64 v[44:45], v[6:7], v[16:17]
	v_mul_f64 v[16:17], v[8:9], v[16:17]
	v_add_f64 v[40:41], v[40:41], v[156:157]
	v_add_f64 v[38:39], v[38:39], v[167:168]
	s_waitcnt vmcnt(6)
	v_mul_f64 v[156:157], v[2:3], v[20:21]
	v_mul_f64 v[20:21], v[4:5], v[20:21]
	v_fma_f64 v[44:45], v[8:9], v[14:15], v[44:45]
	v_fma_f64 v[14:15], v[6:7], v[14:15], -v[16:17]
	ds_load_b128 v[6:9], v1 offset:1712
	v_add_f64 v[16:17], v[38:39], v[48:49]
	v_add_f64 v[38:39], v[40:41], v[46:47]
	v_fma_f64 v[46:47], v[4:5], v[18:19], v[156:157]
	v_fma_f64 v[18:19], v[2:3], v[18:19], -v[20:21]
	ds_load_b128 v[2:5], v1 offset:1728
	s_waitcnt vmcnt(5) lgkmcnt(1)
	v_mul_f64 v[40:41], v[6:7], v[24:25]
	v_mul_f64 v[24:25], v[8:9], v[24:25]
	s_waitcnt vmcnt(4) lgkmcnt(0)
	v_mul_f64 v[20:21], v[2:3], v[28:29]
	v_mul_f64 v[28:29], v[4:5], v[28:29]
	v_add_f64 v[14:15], v[16:17], v[14:15]
	v_add_f64 v[16:17], v[38:39], v[44:45]
	v_fma_f64 v[38:39], v[8:9], v[22:23], v[40:41]
	v_fma_f64 v[22:23], v[6:7], v[22:23], -v[24:25]
	ds_load_b128 v[6:9], v1 offset:1744
	v_fma_f64 v[20:21], v[4:5], v[26:27], v[20:21]
	v_fma_f64 v[26:27], v[2:3], v[26:27], -v[28:29]
	ds_load_b128 v[2:5], v1 offset:1760
	s_waitcnt vmcnt(3) lgkmcnt(1)
	v_mul_f64 v[24:25], v[8:9], v[32:33]
	v_add_f64 v[14:15], v[14:15], v[18:19]
	v_add_f64 v[16:17], v[16:17], v[46:47]
	v_mul_f64 v[18:19], v[6:7], v[32:33]
	s_waitcnt vmcnt(2) lgkmcnt(0)
	v_mul_f64 v[28:29], v[4:5], v[36:37]
	v_fma_f64 v[24:25], v[6:7], v[30:31], -v[24:25]
	v_add_f64 v[14:15], v[14:15], v[22:23]
	v_add_f64 v[16:17], v[16:17], v[38:39]
	v_mul_f64 v[22:23], v[2:3], v[36:37]
	v_fma_f64 v[18:19], v[8:9], v[30:31], v[18:19]
	ds_load_b128 v[6:9], v1 offset:1776
	v_fma_f64 v[1:2], v[2:3], v[34:35], -v[28:29]
	v_add_f64 v[14:15], v[14:15], v[26:27]
	v_add_f64 v[16:17], v[16:17], v[20:21]
	s_waitcnt vmcnt(1) lgkmcnt(0)
	v_mul_f64 v[20:21], v[6:7], v[173:174]
	v_mul_f64 v[26:27], v[8:9], v[173:174]
	v_fma_f64 v[4:5], v[4:5], v[34:35], v[22:23]
	v_add_f64 v[14:15], v[14:15], v[24:25]
	v_add_f64 v[16:17], v[16:17], v[18:19]
	v_fma_f64 v[8:9], v[8:9], v[171:172], v[20:21]
	v_fma_f64 v[6:7], v[6:7], v[171:172], -v[26:27]
	s_delay_alu instid0(VALU_DEP_4) | instskip(NEXT) | instid1(VALU_DEP_4)
	v_add_f64 v[1:2], v[14:15], v[1:2]
	v_add_f64 v[3:4], v[16:17], v[4:5]
	s_delay_alu instid0(VALU_DEP_2) | instskip(NEXT) | instid1(VALU_DEP_2)
	v_add_f64 v[1:2], v[1:2], v[6:7]
	v_add_f64 v[3:4], v[3:4], v[8:9]
	s_waitcnt vmcnt(0)
	s_delay_alu instid0(VALU_DEP_2) | instskip(NEXT) | instid1(VALU_DEP_2)
	v_add_f64 v[1:2], v[10:11], -v[1:2]
	v_add_f64 v[3:4], v[12:13], -v[3:4]
	scratch_store_b128 off, v[1:4], off offset:80
	v_cmpx_lt_u32_e32 4, v154
	s_cbranch_execz .LBB55_341
; %bb.340:
	scratch_load_b128 v[1:4], v206, off
	v_mov_b32_e32 v5, 0
	s_delay_alu instid0(VALU_DEP_1)
	v_mov_b32_e32 v6, v5
	v_mov_b32_e32 v7, v5
	;; [unrolled: 1-line block ×3, first 2 shown]
	scratch_store_b128 off, v[5:8], off offset:64
	s_waitcnt vmcnt(0)
	ds_store_b128 v210, v[1:4]
.LBB55_341:
	s_or_b32 exec_lo, exec_lo, s2
	s_waitcnt lgkmcnt(0)
	s_waitcnt_vscnt null, 0x0
	s_barrier
	buffer_gl0_inv
	s_clause 0x7
	scratch_load_b128 v[2:5], off, off offset:80
	scratch_load_b128 v[6:9], off, off offset:96
	;; [unrolled: 1-line block ×8, first 2 shown]
	v_mov_b32_e32 v1, 0
	s_clause 0x1
	scratch_load_b128 v[34:37], off, off offset:208
	scratch_load_b128 v[171:174], off, off offset:224
	s_mov_b32 s2, exec_lo
	ds_load_b128 v[38:41], v1 offset:976
	ds_load_b128 v[167:170], v1 offset:992
	s_waitcnt vmcnt(9) lgkmcnt(1)
	v_mul_f64 v[44:45], v[40:41], v[4:5]
	v_mul_f64 v[4:5], v[38:39], v[4:5]
	s_waitcnt vmcnt(8) lgkmcnt(0)
	v_mul_f64 v[46:47], v[167:168], v[8:9]
	v_mul_f64 v[8:9], v[169:170], v[8:9]
	s_delay_alu instid0(VALU_DEP_4) | instskip(NEXT) | instid1(VALU_DEP_4)
	v_fma_f64 v[44:45], v[38:39], v[2:3], -v[44:45]
	v_fma_f64 v[48:49], v[40:41], v[2:3], v[4:5]
	ds_load_b128 v[2:5], v1 offset:1008
	scratch_load_b128 v[38:41], off, off offset:240
	v_fma_f64 v[46:47], v[169:170], v[6:7], v[46:47]
	v_fma_f64 v[175:176], v[167:168], v[6:7], -v[8:9]
	scratch_load_b128 v[167:170], off, off offset:256
	ds_load_b128 v[6:9], v1 offset:1024
	s_waitcnt vmcnt(9) lgkmcnt(1)
	v_mul_f64 v[156:157], v[2:3], v[12:13]
	v_mul_f64 v[12:13], v[4:5], v[12:13]
	s_waitcnt vmcnt(8) lgkmcnt(0)
	v_mul_f64 v[177:178], v[6:7], v[16:17]
	v_mul_f64 v[16:17], v[8:9], v[16:17]
	v_add_f64 v[44:45], v[44:45], 0
	v_add_f64 v[48:49], v[48:49], 0
	v_fma_f64 v[156:157], v[4:5], v[10:11], v[156:157]
	v_fma_f64 v[179:180], v[2:3], v[10:11], -v[12:13]
	ds_load_b128 v[2:5], v1 offset:1040
	scratch_load_b128 v[10:13], off, off offset:272
	v_add_f64 v[44:45], v[44:45], v[175:176]
	v_add_f64 v[46:47], v[48:49], v[46:47]
	v_fma_f64 v[175:176], v[8:9], v[14:15], v[177:178]
	v_fma_f64 v[177:178], v[6:7], v[14:15], -v[16:17]
	scratch_load_b128 v[14:17], off, off offset:288
	ds_load_b128 v[6:9], v1 offset:1056
	s_waitcnt vmcnt(9) lgkmcnt(1)
	v_mul_f64 v[48:49], v[2:3], v[20:21]
	v_mul_f64 v[20:21], v[4:5], v[20:21]
	v_add_f64 v[44:45], v[44:45], v[179:180]
	v_add_f64 v[46:47], v[46:47], v[156:157]
	s_waitcnt vmcnt(8) lgkmcnt(0)
	v_mul_f64 v[156:157], v[6:7], v[24:25]
	v_mul_f64 v[24:25], v[8:9], v[24:25]
	v_fma_f64 v[48:49], v[4:5], v[18:19], v[48:49]
	v_fma_f64 v[179:180], v[2:3], v[18:19], -v[20:21]
	ds_load_b128 v[2:5], v1 offset:1072
	scratch_load_b128 v[18:21], off, off offset:304
	v_add_f64 v[44:45], v[44:45], v[177:178]
	v_add_f64 v[46:47], v[46:47], v[175:176]
	v_fma_f64 v[156:157], v[8:9], v[22:23], v[156:157]
	v_fma_f64 v[177:178], v[6:7], v[22:23], -v[24:25]
	scratch_load_b128 v[22:25], off, off offset:320
	ds_load_b128 v[6:9], v1 offset:1088
	s_waitcnt vmcnt(9) lgkmcnt(1)
	v_mul_f64 v[175:176], v[2:3], v[28:29]
	v_mul_f64 v[28:29], v[4:5], v[28:29]
	v_add_f64 v[44:45], v[44:45], v[179:180]
	v_add_f64 v[46:47], v[46:47], v[48:49]
	s_waitcnt vmcnt(8) lgkmcnt(0)
	v_mul_f64 v[48:49], v[6:7], v[32:33]
	v_mul_f64 v[32:33], v[8:9], v[32:33]
	;; [unrolled: 18-line block ×16, first 2 shown]
	v_fma_f64 v[48:49], v[4:5], v[18:19], v[48:49]
	v_fma_f64 v[179:180], v[2:3], v[18:19], -v[20:21]
	ds_load_b128 v[2:5], v1 offset:1552
	scratch_load_b128 v[18:21], off, off offset:784
	v_add_f64 v[44:45], v[44:45], v[177:178]
	v_add_f64 v[46:47], v[46:47], v[175:176]
	v_fma_f64 v[156:157], v[8:9], v[22:23], v[156:157]
	v_fma_f64 v[177:178], v[6:7], v[22:23], -v[24:25]
	ds_load_b128 v[6:9], v1 offset:1568
	s_waitcnt vmcnt(8) lgkmcnt(1)
	v_mul_f64 v[175:176], v[2:3], v[28:29]
	v_mul_f64 v[28:29], v[4:5], v[28:29]
	scratch_load_b128 v[22:25], off, off offset:800
	v_add_f64 v[44:45], v[44:45], v[179:180]
	v_add_f64 v[46:47], v[46:47], v[48:49]
	s_waitcnt vmcnt(8) lgkmcnt(0)
	v_mul_f64 v[48:49], v[6:7], v[32:33]
	v_mul_f64 v[32:33], v[8:9], v[32:33]
	v_fma_f64 v[175:176], v[4:5], v[26:27], v[175:176]
	v_fma_f64 v[179:180], v[2:3], v[26:27], -v[28:29]
	scratch_load_b128 v[26:29], off, off offset:816
	ds_load_b128 v[2:5], v1 offset:1584
	v_add_f64 v[44:45], v[44:45], v[177:178]
	v_add_f64 v[46:47], v[46:47], v[156:157]
	v_fma_f64 v[48:49], v[8:9], v[30:31], v[48:49]
	v_fma_f64 v[177:178], v[6:7], v[30:31], -v[32:33]
	ds_load_b128 v[6:9], v1 offset:1600
	s_waitcnt vmcnt(8) lgkmcnt(1)
	v_mul_f64 v[156:157], v[2:3], v[36:37]
	v_mul_f64 v[36:37], v[4:5], v[36:37]
	scratch_load_b128 v[30:33], off, off offset:832
	v_add_f64 v[44:45], v[44:45], v[179:180]
	v_add_f64 v[46:47], v[46:47], v[175:176]
	s_waitcnt vmcnt(8) lgkmcnt(0)
	v_mul_f64 v[175:176], v[6:7], v[173:174]
	v_mul_f64 v[173:174], v[8:9], v[173:174]
	v_fma_f64 v[156:157], v[4:5], v[34:35], v[156:157]
	v_fma_f64 v[179:180], v[2:3], v[34:35], -v[36:37]
	scratch_load_b128 v[34:37], off, off offset:848
	ds_load_b128 v[2:5], v1 offset:1616
	;; [unrolled: 18-line block ×3, first 2 shown]
	v_add_f64 v[44:45], v[44:45], v[177:178]
	v_add_f64 v[46:47], v[46:47], v[175:176]
	v_fma_f64 v[156:157], v[8:9], v[167:168], v[156:157]
	v_fma_f64 v[167:168], v[6:7], v[167:168], -v[169:170]
	ds_load_b128 v[6:9], v1 offset:1664
	s_waitcnt vmcnt(8) lgkmcnt(1)
	v_mul_f64 v[175:176], v[2:3], v[12:13]
	v_mul_f64 v[12:13], v[4:5], v[12:13]
	v_add_f64 v[44:45], v[44:45], v[179:180]
	v_add_f64 v[46:47], v[46:47], v[48:49]
	s_waitcnt vmcnt(7) lgkmcnt(0)
	v_mul_f64 v[48:49], v[6:7], v[16:17]
	v_mul_f64 v[16:17], v[8:9], v[16:17]
	v_fma_f64 v[169:170], v[4:5], v[10:11], v[175:176]
	v_fma_f64 v[10:11], v[2:3], v[10:11], -v[12:13]
	ds_load_b128 v[2:5], v1 offset:1680
	v_add_f64 v[12:13], v[44:45], v[167:168]
	v_add_f64 v[44:45], v[46:47], v[156:157]
	v_fma_f64 v[48:49], v[8:9], v[14:15], v[48:49]
	v_fma_f64 v[14:15], v[6:7], v[14:15], -v[16:17]
	ds_load_b128 v[6:9], v1 offset:1696
	s_waitcnt vmcnt(5) lgkmcnt(0)
	v_mul_f64 v[156:157], v[6:7], v[24:25]
	v_mul_f64 v[24:25], v[8:9], v[24:25]
	v_add_f64 v[16:17], v[12:13], v[10:11]
	v_add_f64 v[44:45], v[44:45], v[169:170]
	scratch_load_b128 v[10:13], off, off offset:64
	v_mul_f64 v[46:47], v[2:3], v[20:21]
	v_mul_f64 v[20:21], v[4:5], v[20:21]
	v_add_f64 v[14:15], v[16:17], v[14:15]
	v_add_f64 v[16:17], v[44:45], v[48:49]
	v_fma_f64 v[44:45], v[8:9], v[22:23], v[156:157]
	v_fma_f64 v[46:47], v[4:5], v[18:19], v[46:47]
	v_fma_f64 v[18:19], v[2:3], v[18:19], -v[20:21]
	ds_load_b128 v[2:5], v1 offset:1712
	v_fma_f64 v[22:23], v[6:7], v[22:23], -v[24:25]
	ds_load_b128 v[6:9], v1 offset:1728
	s_waitcnt vmcnt(5) lgkmcnt(1)
	v_mul_f64 v[20:21], v[2:3], v[28:29]
	v_mul_f64 v[28:29], v[4:5], v[28:29]
	s_waitcnt vmcnt(4) lgkmcnt(0)
	v_mul_f64 v[24:25], v[8:9], v[32:33]
	v_add_f64 v[16:17], v[16:17], v[46:47]
	v_add_f64 v[14:15], v[14:15], v[18:19]
	v_mul_f64 v[18:19], v[6:7], v[32:33]
	v_fma_f64 v[20:21], v[4:5], v[26:27], v[20:21]
	v_fma_f64 v[26:27], v[2:3], v[26:27], -v[28:29]
	ds_load_b128 v[2:5], v1 offset:1744
	v_fma_f64 v[24:25], v[6:7], v[30:31], -v[24:25]
	v_add_f64 v[16:17], v[16:17], v[44:45]
	v_add_f64 v[14:15], v[14:15], v[22:23]
	v_fma_f64 v[18:19], v[8:9], v[30:31], v[18:19]
	ds_load_b128 v[6:9], v1 offset:1760
	s_waitcnt vmcnt(3) lgkmcnt(1)
	v_mul_f64 v[22:23], v[2:3], v[36:37]
	v_mul_f64 v[28:29], v[4:5], v[36:37]
	v_add_f64 v[16:17], v[16:17], v[20:21]
	v_add_f64 v[14:15], v[14:15], v[26:27]
	s_waitcnt vmcnt(2) lgkmcnt(0)
	v_mul_f64 v[20:21], v[6:7], v[173:174]
	v_mul_f64 v[26:27], v[8:9], v[173:174]
	v_fma_f64 v[22:23], v[4:5], v[34:35], v[22:23]
	v_fma_f64 v[28:29], v[2:3], v[34:35], -v[28:29]
	ds_load_b128 v[2:5], v1 offset:1776
	v_add_f64 v[16:17], v[16:17], v[18:19]
	v_add_f64 v[14:15], v[14:15], v[24:25]
	s_waitcnt vmcnt(1) lgkmcnt(0)
	v_mul_f64 v[18:19], v[2:3], v[40:41]
	v_mul_f64 v[24:25], v[4:5], v[40:41]
	v_fma_f64 v[8:9], v[8:9], v[171:172], v[20:21]
	v_fma_f64 v[6:7], v[6:7], v[171:172], -v[26:27]
	v_add_f64 v[16:17], v[16:17], v[22:23]
	v_add_f64 v[14:15], v[14:15], v[28:29]
	v_fma_f64 v[4:5], v[4:5], v[38:39], v[18:19]
	v_fma_f64 v[2:3], v[2:3], v[38:39], -v[24:25]
	s_delay_alu instid0(VALU_DEP_4) | instskip(NEXT) | instid1(VALU_DEP_4)
	v_add_f64 v[8:9], v[16:17], v[8:9]
	v_add_f64 v[6:7], v[14:15], v[6:7]
	s_delay_alu instid0(VALU_DEP_2) | instskip(NEXT) | instid1(VALU_DEP_2)
	v_add_f64 v[4:5], v[8:9], v[4:5]
	v_add_f64 v[2:3], v[6:7], v[2:3]
	s_waitcnt vmcnt(0)
	s_delay_alu instid0(VALU_DEP_2) | instskip(NEXT) | instid1(VALU_DEP_2)
	v_add_f64 v[4:5], v[12:13], -v[4:5]
	v_add_f64 v[2:3], v[10:11], -v[2:3]
	scratch_store_b128 off, v[2:5], off offset:64
	v_cmpx_lt_u32_e32 3, v154
	s_cbranch_execz .LBB55_343
; %bb.342:
	scratch_load_b128 v[5:8], v207, off
	v_mov_b32_e32 v2, v1
	v_mov_b32_e32 v3, v1
	;; [unrolled: 1-line block ×3, first 2 shown]
	scratch_store_b128 off, v[1:4], off offset:48
	s_waitcnt vmcnt(0)
	ds_store_b128 v210, v[5:8]
.LBB55_343:
	s_or_b32 exec_lo, exec_lo, s2
	s_waitcnt lgkmcnt(0)
	s_waitcnt_vscnt null, 0x0
	s_barrier
	buffer_gl0_inv
	s_clause 0x7
	scratch_load_b128 v[2:5], off, off offset:64
	scratch_load_b128 v[6:9], off, off offset:80
	scratch_load_b128 v[10:13], off, off offset:96
	scratch_load_b128 v[14:17], off, off offset:112
	scratch_load_b128 v[18:21], off, off offset:128
	scratch_load_b128 v[22:25], off, off offset:144
	scratch_load_b128 v[26:29], off, off offset:160
	scratch_load_b128 v[30:33], off, off offset:176
	ds_load_b128 v[38:41], v1 offset:960
	ds_load_b128 v[167:170], v1 offset:976
	s_clause 0x1
	scratch_load_b128 v[34:37], off, off offset:192
	scratch_load_b128 v[171:174], off, off offset:208
	s_mov_b32 s2, exec_lo
	s_waitcnt vmcnt(9) lgkmcnt(1)
	v_mul_f64 v[44:45], v[40:41], v[4:5]
	v_mul_f64 v[4:5], v[38:39], v[4:5]
	s_waitcnt vmcnt(8) lgkmcnt(0)
	v_mul_f64 v[46:47], v[167:168], v[8:9]
	v_mul_f64 v[8:9], v[169:170], v[8:9]
	s_delay_alu instid0(VALU_DEP_4) | instskip(NEXT) | instid1(VALU_DEP_4)
	v_fma_f64 v[44:45], v[38:39], v[2:3], -v[44:45]
	v_fma_f64 v[48:49], v[40:41], v[2:3], v[4:5]
	ds_load_b128 v[2:5], v1 offset:992
	scratch_load_b128 v[38:41], off, off offset:224
	v_fma_f64 v[46:47], v[169:170], v[6:7], v[46:47]
	v_fma_f64 v[175:176], v[167:168], v[6:7], -v[8:9]
	scratch_load_b128 v[167:170], off, off offset:240
	ds_load_b128 v[6:9], v1 offset:1008
	s_waitcnt vmcnt(9) lgkmcnt(1)
	v_mul_f64 v[156:157], v[2:3], v[12:13]
	v_mul_f64 v[12:13], v[4:5], v[12:13]
	s_waitcnt vmcnt(8) lgkmcnt(0)
	v_mul_f64 v[177:178], v[6:7], v[16:17]
	v_mul_f64 v[16:17], v[8:9], v[16:17]
	v_add_f64 v[44:45], v[44:45], 0
	v_add_f64 v[48:49], v[48:49], 0
	v_fma_f64 v[156:157], v[4:5], v[10:11], v[156:157]
	v_fma_f64 v[179:180], v[2:3], v[10:11], -v[12:13]
	ds_load_b128 v[2:5], v1 offset:1024
	scratch_load_b128 v[10:13], off, off offset:256
	v_add_f64 v[44:45], v[44:45], v[175:176]
	v_add_f64 v[46:47], v[48:49], v[46:47]
	v_fma_f64 v[175:176], v[8:9], v[14:15], v[177:178]
	v_fma_f64 v[177:178], v[6:7], v[14:15], -v[16:17]
	scratch_load_b128 v[14:17], off, off offset:272
	ds_load_b128 v[6:9], v1 offset:1040
	s_waitcnt vmcnt(9) lgkmcnt(1)
	v_mul_f64 v[48:49], v[2:3], v[20:21]
	v_mul_f64 v[20:21], v[4:5], v[20:21]
	v_add_f64 v[44:45], v[44:45], v[179:180]
	v_add_f64 v[46:47], v[46:47], v[156:157]
	s_waitcnt vmcnt(8) lgkmcnt(0)
	v_mul_f64 v[156:157], v[6:7], v[24:25]
	v_mul_f64 v[24:25], v[8:9], v[24:25]
	v_fma_f64 v[48:49], v[4:5], v[18:19], v[48:49]
	v_fma_f64 v[179:180], v[2:3], v[18:19], -v[20:21]
	ds_load_b128 v[2:5], v1 offset:1056
	scratch_load_b128 v[18:21], off, off offset:288
	v_add_f64 v[44:45], v[44:45], v[177:178]
	v_add_f64 v[46:47], v[46:47], v[175:176]
	v_fma_f64 v[156:157], v[8:9], v[22:23], v[156:157]
	v_fma_f64 v[177:178], v[6:7], v[22:23], -v[24:25]
	scratch_load_b128 v[22:25], off, off offset:304
	ds_load_b128 v[6:9], v1 offset:1072
	s_waitcnt vmcnt(9) lgkmcnt(1)
	v_mul_f64 v[175:176], v[2:3], v[28:29]
	v_mul_f64 v[28:29], v[4:5], v[28:29]
	v_add_f64 v[44:45], v[44:45], v[179:180]
	v_add_f64 v[46:47], v[46:47], v[48:49]
	s_waitcnt vmcnt(8) lgkmcnt(0)
	v_mul_f64 v[48:49], v[6:7], v[32:33]
	v_mul_f64 v[32:33], v[8:9], v[32:33]
	;; [unrolled: 18-line block ×16, first 2 shown]
	v_fma_f64 v[48:49], v[4:5], v[18:19], v[48:49]
	v_fma_f64 v[179:180], v[2:3], v[18:19], -v[20:21]
	ds_load_b128 v[2:5], v1 offset:1536
	scratch_load_b128 v[18:21], off, off offset:768
	v_add_f64 v[44:45], v[44:45], v[177:178]
	v_add_f64 v[46:47], v[46:47], v[175:176]
	v_fma_f64 v[156:157], v[8:9], v[22:23], v[156:157]
	v_fma_f64 v[177:178], v[6:7], v[22:23], -v[24:25]
	ds_load_b128 v[6:9], v1 offset:1552
	s_waitcnt vmcnt(8) lgkmcnt(1)
	v_mul_f64 v[175:176], v[2:3], v[28:29]
	v_mul_f64 v[28:29], v[4:5], v[28:29]
	scratch_load_b128 v[22:25], off, off offset:784
	v_add_f64 v[44:45], v[44:45], v[179:180]
	v_add_f64 v[46:47], v[46:47], v[48:49]
	s_waitcnt vmcnt(8) lgkmcnt(0)
	v_mul_f64 v[48:49], v[6:7], v[32:33]
	v_mul_f64 v[32:33], v[8:9], v[32:33]
	v_fma_f64 v[175:176], v[4:5], v[26:27], v[175:176]
	v_fma_f64 v[179:180], v[2:3], v[26:27], -v[28:29]
	ds_load_b128 v[2:5], v1 offset:1568
	scratch_load_b128 v[26:29], off, off offset:800
	v_add_f64 v[44:45], v[44:45], v[177:178]
	v_add_f64 v[46:47], v[46:47], v[156:157]
	v_fma_f64 v[48:49], v[8:9], v[30:31], v[48:49]
	v_fma_f64 v[177:178], v[6:7], v[30:31], -v[32:33]
	ds_load_b128 v[6:9], v1 offset:1584
	s_waitcnt vmcnt(8) lgkmcnt(1)
	v_mul_f64 v[156:157], v[2:3], v[36:37]
	v_mul_f64 v[36:37], v[4:5], v[36:37]
	scratch_load_b128 v[30:33], off, off offset:816
	v_add_f64 v[44:45], v[44:45], v[179:180]
	v_add_f64 v[46:47], v[46:47], v[175:176]
	s_waitcnt vmcnt(8) lgkmcnt(0)
	v_mul_f64 v[175:176], v[6:7], v[173:174]
	v_mul_f64 v[173:174], v[8:9], v[173:174]
	v_fma_f64 v[156:157], v[4:5], v[34:35], v[156:157]
	v_fma_f64 v[179:180], v[2:3], v[34:35], -v[36:37]
	scratch_load_b128 v[34:37], off, off offset:832
	ds_load_b128 v[2:5], v1 offset:1600
	v_add_f64 v[44:45], v[44:45], v[177:178]
	v_add_f64 v[46:47], v[46:47], v[48:49]
	v_fma_f64 v[175:176], v[8:9], v[171:172], v[175:176]
	v_fma_f64 v[177:178], v[6:7], v[171:172], -v[173:174]
	ds_load_b128 v[6:9], v1 offset:1616
	s_waitcnt vmcnt(8) lgkmcnt(1)
	v_mul_f64 v[48:49], v[2:3], v[40:41]
	v_mul_f64 v[40:41], v[4:5], v[40:41]
	scratch_load_b128 v[171:174], off, off offset:848
	v_add_f64 v[44:45], v[44:45], v[179:180]
	v_add_f64 v[46:47], v[46:47], v[156:157]
	s_waitcnt vmcnt(8) lgkmcnt(0)
	v_mul_f64 v[156:157], v[6:7], v[169:170]
	v_mul_f64 v[169:170], v[8:9], v[169:170]
	v_fma_f64 v[48:49], v[4:5], v[38:39], v[48:49]
	v_fma_f64 v[179:180], v[2:3], v[38:39], -v[40:41]
	scratch_load_b128 v[38:41], off, off offset:864
	ds_load_b128 v[2:5], v1 offset:1632
	v_add_f64 v[44:45], v[44:45], v[177:178]
	v_add_f64 v[46:47], v[46:47], v[175:176]
	v_fma_f64 v[156:157], v[8:9], v[167:168], v[156:157]
	v_fma_f64 v[177:178], v[6:7], v[167:168], -v[169:170]
	ds_load_b128 v[6:9], v1 offset:1648
	s_waitcnt vmcnt(8) lgkmcnt(1)
	v_mul_f64 v[175:176], v[2:3], v[12:13]
	v_mul_f64 v[12:13], v[4:5], v[12:13]
	scratch_load_b128 v[167:170], off, off offset:880
	v_add_f64 v[44:45], v[44:45], v[179:180]
	v_add_f64 v[46:47], v[46:47], v[48:49]
	s_waitcnt vmcnt(8) lgkmcnt(0)
	v_mul_f64 v[48:49], v[6:7], v[16:17]
	v_mul_f64 v[16:17], v[8:9], v[16:17]
	v_fma_f64 v[175:176], v[4:5], v[10:11], v[175:176]
	v_fma_f64 v[10:11], v[2:3], v[10:11], -v[12:13]
	ds_load_b128 v[2:5], v1 offset:1664
	v_add_f64 v[12:13], v[44:45], v[177:178]
	v_add_f64 v[44:45], v[46:47], v[156:157]
	v_fma_f64 v[48:49], v[8:9], v[14:15], v[48:49]
	v_fma_f64 v[14:15], v[6:7], v[14:15], -v[16:17]
	ds_load_b128 v[6:9], v1 offset:1680
	s_waitcnt vmcnt(7) lgkmcnt(1)
	v_mul_f64 v[46:47], v[2:3], v[20:21]
	v_mul_f64 v[20:21], v[4:5], v[20:21]
	v_add_f64 v[10:11], v[12:13], v[10:11]
	v_add_f64 v[12:13], v[44:45], v[175:176]
	s_delay_alu instid0(VALU_DEP_4) | instskip(NEXT) | instid1(VALU_DEP_4)
	v_fma_f64 v[44:45], v[4:5], v[18:19], v[46:47]
	v_fma_f64 v[18:19], v[2:3], v[18:19], -v[20:21]
	ds_load_b128 v[2:5], v1 offset:1696
	v_add_f64 v[14:15], v[10:11], v[14:15]
	v_add_f64 v[20:21], v[12:13], v[48:49]
	scratch_load_b128 v[10:13], off, off offset:48
	s_waitcnt vmcnt(7) lgkmcnt(1)
	v_mul_f64 v[16:17], v[6:7], v[24:25]
	v_mul_f64 v[24:25], v[8:9], v[24:25]
	v_add_f64 v[14:15], v[14:15], v[18:19]
	v_add_f64 v[18:19], v[20:21], v[44:45]
	s_delay_alu instid0(VALU_DEP_4) | instskip(NEXT) | instid1(VALU_DEP_4)
	v_fma_f64 v[16:17], v[8:9], v[22:23], v[16:17]
	v_fma_f64 v[22:23], v[6:7], v[22:23], -v[24:25]
	ds_load_b128 v[6:9], v1 offset:1712
	s_waitcnt vmcnt(6) lgkmcnt(1)
	v_mul_f64 v[46:47], v[2:3], v[28:29]
	v_mul_f64 v[28:29], v[4:5], v[28:29]
	s_waitcnt vmcnt(5) lgkmcnt(0)
	v_mul_f64 v[20:21], v[6:7], v[32:33]
	v_mul_f64 v[24:25], v[8:9], v[32:33]
	v_add_f64 v[16:17], v[18:19], v[16:17]
	v_add_f64 v[14:15], v[14:15], v[22:23]
	v_fma_f64 v[32:33], v[4:5], v[26:27], v[46:47]
	v_fma_f64 v[26:27], v[2:3], v[26:27], -v[28:29]
	ds_load_b128 v[2:5], v1 offset:1728
	v_fma_f64 v[20:21], v[8:9], v[30:31], v[20:21]
	v_fma_f64 v[24:25], v[6:7], v[30:31], -v[24:25]
	ds_load_b128 v[6:9], v1 offset:1744
	s_waitcnt vmcnt(4) lgkmcnt(1)
	v_mul_f64 v[18:19], v[2:3], v[36:37]
	v_mul_f64 v[22:23], v[4:5], v[36:37]
	v_add_f64 v[16:17], v[16:17], v[32:33]
	v_add_f64 v[14:15], v[14:15], v[26:27]
	s_waitcnt vmcnt(3) lgkmcnt(0)
	v_mul_f64 v[26:27], v[6:7], v[173:174]
	v_mul_f64 v[28:29], v[8:9], v[173:174]
	v_fma_f64 v[18:19], v[4:5], v[34:35], v[18:19]
	v_fma_f64 v[22:23], v[2:3], v[34:35], -v[22:23]
	ds_load_b128 v[2:5], v1 offset:1760
	v_add_f64 v[16:17], v[16:17], v[20:21]
	v_add_f64 v[14:15], v[14:15], v[24:25]
	v_fma_f64 v[26:27], v[8:9], v[171:172], v[26:27]
	v_fma_f64 v[28:29], v[6:7], v[171:172], -v[28:29]
	ds_load_b128 v[6:9], v1 offset:1776
	s_waitcnt vmcnt(2) lgkmcnt(1)
	v_mul_f64 v[20:21], v[2:3], v[40:41]
	v_mul_f64 v[24:25], v[4:5], v[40:41]
	v_add_f64 v[16:17], v[16:17], v[18:19]
	v_add_f64 v[14:15], v[14:15], v[22:23]
	s_waitcnt vmcnt(1) lgkmcnt(0)
	v_mul_f64 v[18:19], v[6:7], v[169:170]
	v_mul_f64 v[22:23], v[8:9], v[169:170]
	v_fma_f64 v[4:5], v[4:5], v[38:39], v[20:21]
	v_fma_f64 v[1:2], v[2:3], v[38:39], -v[24:25]
	v_add_f64 v[16:17], v[16:17], v[26:27]
	v_add_f64 v[14:15], v[14:15], v[28:29]
	v_fma_f64 v[8:9], v[8:9], v[167:168], v[18:19]
	v_fma_f64 v[6:7], v[6:7], v[167:168], -v[22:23]
	s_delay_alu instid0(VALU_DEP_4) | instskip(NEXT) | instid1(VALU_DEP_4)
	v_add_f64 v[3:4], v[16:17], v[4:5]
	v_add_f64 v[1:2], v[14:15], v[1:2]
	s_delay_alu instid0(VALU_DEP_2) | instskip(NEXT) | instid1(VALU_DEP_2)
	v_add_f64 v[3:4], v[3:4], v[8:9]
	v_add_f64 v[1:2], v[1:2], v[6:7]
	s_waitcnt vmcnt(0)
	s_delay_alu instid0(VALU_DEP_2) | instskip(NEXT) | instid1(VALU_DEP_2)
	v_add_f64 v[3:4], v[12:13], -v[3:4]
	v_add_f64 v[1:2], v[10:11], -v[1:2]
	scratch_store_b128 off, v[1:4], off offset:48
	v_cmpx_lt_u32_e32 2, v154
	s_cbranch_execz .LBB55_345
; %bb.344:
	scratch_load_b128 v[1:4], v208, off
	v_mov_b32_e32 v5, 0
	s_delay_alu instid0(VALU_DEP_1)
	v_mov_b32_e32 v6, v5
	v_mov_b32_e32 v7, v5
	;; [unrolled: 1-line block ×3, first 2 shown]
	scratch_store_b128 off, v[5:8], off offset:32
	s_waitcnt vmcnt(0)
	ds_store_b128 v210, v[1:4]
.LBB55_345:
	s_or_b32 exec_lo, exec_lo, s2
	s_waitcnt lgkmcnt(0)
	s_waitcnt_vscnt null, 0x0
	s_barrier
	buffer_gl0_inv
	s_clause 0x7
	scratch_load_b128 v[2:5], off, off offset:48
	scratch_load_b128 v[6:9], off, off offset:64
	scratch_load_b128 v[10:13], off, off offset:80
	scratch_load_b128 v[14:17], off, off offset:96
	scratch_load_b128 v[18:21], off, off offset:112
	scratch_load_b128 v[22:25], off, off offset:128
	scratch_load_b128 v[26:29], off, off offset:144
	scratch_load_b128 v[30:33], off, off offset:160
	v_mov_b32_e32 v1, 0
	s_clause 0x1
	scratch_load_b128 v[34:37], off, off offset:176
	scratch_load_b128 v[171:174], off, off offset:192
	s_mov_b32 s2, exec_lo
	ds_load_b128 v[38:41], v1 offset:944
	ds_load_b128 v[167:170], v1 offset:960
	s_waitcnt vmcnt(9) lgkmcnt(1)
	v_mul_f64 v[44:45], v[40:41], v[4:5]
	v_mul_f64 v[4:5], v[38:39], v[4:5]
	s_waitcnt vmcnt(8) lgkmcnt(0)
	v_mul_f64 v[46:47], v[167:168], v[8:9]
	v_mul_f64 v[8:9], v[169:170], v[8:9]
	s_delay_alu instid0(VALU_DEP_4) | instskip(NEXT) | instid1(VALU_DEP_4)
	v_fma_f64 v[44:45], v[38:39], v[2:3], -v[44:45]
	v_fma_f64 v[48:49], v[40:41], v[2:3], v[4:5]
	ds_load_b128 v[2:5], v1 offset:976
	scratch_load_b128 v[38:41], off, off offset:208
	v_fma_f64 v[46:47], v[169:170], v[6:7], v[46:47]
	v_fma_f64 v[175:176], v[167:168], v[6:7], -v[8:9]
	scratch_load_b128 v[167:170], off, off offset:224
	ds_load_b128 v[6:9], v1 offset:992
	s_waitcnt vmcnt(9) lgkmcnt(1)
	v_mul_f64 v[156:157], v[2:3], v[12:13]
	v_mul_f64 v[12:13], v[4:5], v[12:13]
	s_waitcnt vmcnt(8) lgkmcnt(0)
	v_mul_f64 v[177:178], v[6:7], v[16:17]
	v_mul_f64 v[16:17], v[8:9], v[16:17]
	v_add_f64 v[44:45], v[44:45], 0
	v_add_f64 v[48:49], v[48:49], 0
	v_fma_f64 v[156:157], v[4:5], v[10:11], v[156:157]
	v_fma_f64 v[179:180], v[2:3], v[10:11], -v[12:13]
	ds_load_b128 v[2:5], v1 offset:1008
	scratch_load_b128 v[10:13], off, off offset:240
	v_add_f64 v[44:45], v[44:45], v[175:176]
	v_add_f64 v[46:47], v[48:49], v[46:47]
	v_fma_f64 v[175:176], v[8:9], v[14:15], v[177:178]
	v_fma_f64 v[177:178], v[6:7], v[14:15], -v[16:17]
	scratch_load_b128 v[14:17], off, off offset:256
	ds_load_b128 v[6:9], v1 offset:1024
	s_waitcnt vmcnt(9) lgkmcnt(1)
	v_mul_f64 v[48:49], v[2:3], v[20:21]
	v_mul_f64 v[20:21], v[4:5], v[20:21]
	v_add_f64 v[44:45], v[44:45], v[179:180]
	v_add_f64 v[46:47], v[46:47], v[156:157]
	s_waitcnt vmcnt(8) lgkmcnt(0)
	v_mul_f64 v[156:157], v[6:7], v[24:25]
	v_mul_f64 v[24:25], v[8:9], v[24:25]
	v_fma_f64 v[48:49], v[4:5], v[18:19], v[48:49]
	v_fma_f64 v[179:180], v[2:3], v[18:19], -v[20:21]
	ds_load_b128 v[2:5], v1 offset:1040
	scratch_load_b128 v[18:21], off, off offset:272
	v_add_f64 v[44:45], v[44:45], v[177:178]
	v_add_f64 v[46:47], v[46:47], v[175:176]
	v_fma_f64 v[156:157], v[8:9], v[22:23], v[156:157]
	v_fma_f64 v[177:178], v[6:7], v[22:23], -v[24:25]
	scratch_load_b128 v[22:25], off, off offset:288
	ds_load_b128 v[6:9], v1 offset:1056
	s_waitcnt vmcnt(9) lgkmcnt(1)
	v_mul_f64 v[175:176], v[2:3], v[28:29]
	v_mul_f64 v[28:29], v[4:5], v[28:29]
	v_add_f64 v[44:45], v[44:45], v[179:180]
	v_add_f64 v[46:47], v[46:47], v[48:49]
	s_waitcnt vmcnt(8) lgkmcnt(0)
	v_mul_f64 v[48:49], v[6:7], v[32:33]
	v_mul_f64 v[32:33], v[8:9], v[32:33]
	;; [unrolled: 18-line block ×17, first 2 shown]
	v_fma_f64 v[175:176], v[4:5], v[26:27], v[175:176]
	v_fma_f64 v[179:180], v[2:3], v[26:27], -v[28:29]
	ds_load_b128 v[2:5], v1 offset:1552
	scratch_load_b128 v[26:29], off, off offset:784
	v_add_f64 v[44:45], v[44:45], v[177:178]
	v_add_f64 v[46:47], v[46:47], v[156:157]
	v_fma_f64 v[48:49], v[8:9], v[30:31], v[48:49]
	v_fma_f64 v[177:178], v[6:7], v[30:31], -v[32:33]
	ds_load_b128 v[6:9], v1 offset:1568
	s_waitcnt vmcnt(8) lgkmcnt(1)
	v_mul_f64 v[156:157], v[2:3], v[36:37]
	v_mul_f64 v[36:37], v[4:5], v[36:37]
	scratch_load_b128 v[30:33], off, off offset:800
	v_add_f64 v[44:45], v[44:45], v[179:180]
	v_add_f64 v[46:47], v[46:47], v[175:176]
	s_waitcnt vmcnt(8) lgkmcnt(0)
	v_mul_f64 v[175:176], v[6:7], v[173:174]
	v_mul_f64 v[173:174], v[8:9], v[173:174]
	v_fma_f64 v[156:157], v[4:5], v[34:35], v[156:157]
	v_fma_f64 v[179:180], v[2:3], v[34:35], -v[36:37]
	scratch_load_b128 v[34:37], off, off offset:816
	ds_load_b128 v[2:5], v1 offset:1584
	v_add_f64 v[44:45], v[44:45], v[177:178]
	v_add_f64 v[46:47], v[46:47], v[48:49]
	v_fma_f64 v[175:176], v[8:9], v[171:172], v[175:176]
	v_fma_f64 v[177:178], v[6:7], v[171:172], -v[173:174]
	ds_load_b128 v[6:9], v1 offset:1600
	s_waitcnt vmcnt(8) lgkmcnt(1)
	v_mul_f64 v[48:49], v[2:3], v[40:41]
	v_mul_f64 v[40:41], v[4:5], v[40:41]
	scratch_load_b128 v[171:174], off, off offset:832
	v_add_f64 v[44:45], v[44:45], v[179:180]
	v_add_f64 v[46:47], v[46:47], v[156:157]
	s_waitcnt vmcnt(8) lgkmcnt(0)
	v_mul_f64 v[156:157], v[6:7], v[169:170]
	v_mul_f64 v[169:170], v[8:9], v[169:170]
	v_fma_f64 v[48:49], v[4:5], v[38:39], v[48:49]
	v_fma_f64 v[179:180], v[2:3], v[38:39], -v[40:41]
	scratch_load_b128 v[38:41], off, off offset:848
	ds_load_b128 v[2:5], v1 offset:1616
	;; [unrolled: 18-line block ×3, first 2 shown]
	v_add_f64 v[44:45], v[44:45], v[177:178]
	v_add_f64 v[46:47], v[46:47], v[156:157]
	v_fma_f64 v[48:49], v[8:9], v[14:15], v[48:49]
	v_fma_f64 v[14:15], v[6:7], v[14:15], -v[16:17]
	ds_load_b128 v[6:9], v1 offset:1664
	s_waitcnt vmcnt(8) lgkmcnt(1)
	v_mul_f64 v[156:157], v[2:3], v[20:21]
	v_mul_f64 v[20:21], v[4:5], v[20:21]
	v_add_f64 v[16:17], v[44:45], v[179:180]
	v_add_f64 v[44:45], v[46:47], v[175:176]
	s_waitcnt vmcnt(7) lgkmcnt(0)
	v_mul_f64 v[46:47], v[6:7], v[24:25]
	v_mul_f64 v[24:25], v[8:9], v[24:25]
	v_fma_f64 v[156:157], v[4:5], v[18:19], v[156:157]
	v_fma_f64 v[18:19], v[2:3], v[18:19], -v[20:21]
	ds_load_b128 v[2:5], v1 offset:1680
	v_add_f64 v[14:15], v[16:17], v[14:15]
	v_add_f64 v[16:17], v[44:45], v[48:49]
	v_fma_f64 v[44:45], v[8:9], v[22:23], v[46:47]
	v_fma_f64 v[22:23], v[6:7], v[22:23], -v[24:25]
	ds_load_b128 v[6:9], v1 offset:1696
	s_waitcnt vmcnt(5) lgkmcnt(0)
	v_mul_f64 v[46:47], v[6:7], v[32:33]
	v_mul_f64 v[32:33], v[8:9], v[32:33]
	v_add_f64 v[18:19], v[14:15], v[18:19]
	v_add_f64 v[24:25], v[16:17], v[156:157]
	scratch_load_b128 v[14:17], off, off offset:32
	v_mul_f64 v[20:21], v[2:3], v[28:29]
	v_mul_f64 v[28:29], v[4:5], v[28:29]
	v_add_f64 v[18:19], v[18:19], v[22:23]
	v_add_f64 v[22:23], v[24:25], v[44:45]
	s_delay_alu instid0(VALU_DEP_4) | instskip(NEXT) | instid1(VALU_DEP_4)
	v_fma_f64 v[20:21], v[4:5], v[26:27], v[20:21]
	v_fma_f64 v[26:27], v[2:3], v[26:27], -v[28:29]
	ds_load_b128 v[2:5], v1 offset:1712
	s_waitcnt vmcnt(5) lgkmcnt(0)
	v_mul_f64 v[24:25], v[2:3], v[36:37]
	v_mul_f64 v[28:29], v[4:5], v[36:37]
	v_fma_f64 v[36:37], v[8:9], v[30:31], v[46:47]
	v_fma_f64 v[30:31], v[6:7], v[30:31], -v[32:33]
	ds_load_b128 v[6:9], v1 offset:1728
	v_add_f64 v[20:21], v[22:23], v[20:21]
	v_add_f64 v[18:19], v[18:19], v[26:27]
	v_fma_f64 v[24:25], v[4:5], v[34:35], v[24:25]
	v_fma_f64 v[28:29], v[2:3], v[34:35], -v[28:29]
	ds_load_b128 v[2:5], v1 offset:1744
	s_waitcnt vmcnt(4) lgkmcnt(1)
	v_mul_f64 v[22:23], v[6:7], v[173:174]
	v_mul_f64 v[26:27], v[8:9], v[173:174]
	v_add_f64 v[20:21], v[20:21], v[36:37]
	v_add_f64 v[18:19], v[18:19], v[30:31]
	s_waitcnt vmcnt(3) lgkmcnt(0)
	v_mul_f64 v[30:31], v[2:3], v[40:41]
	v_mul_f64 v[32:33], v[4:5], v[40:41]
	v_fma_f64 v[22:23], v[8:9], v[171:172], v[22:23]
	v_fma_f64 v[26:27], v[6:7], v[171:172], -v[26:27]
	ds_load_b128 v[6:9], v1 offset:1760
	v_add_f64 v[20:21], v[20:21], v[24:25]
	v_add_f64 v[18:19], v[18:19], v[28:29]
	v_fma_f64 v[30:31], v[4:5], v[38:39], v[30:31]
	v_fma_f64 v[32:33], v[2:3], v[38:39], -v[32:33]
	ds_load_b128 v[2:5], v1 offset:1776
	s_waitcnt vmcnt(2) lgkmcnt(1)
	v_mul_f64 v[24:25], v[6:7], v[169:170]
	v_mul_f64 v[28:29], v[8:9], v[169:170]
	v_add_f64 v[20:21], v[20:21], v[22:23]
	v_add_f64 v[18:19], v[18:19], v[26:27]
	s_waitcnt vmcnt(1) lgkmcnt(0)
	v_mul_f64 v[22:23], v[2:3], v[12:13]
	v_mul_f64 v[12:13], v[4:5], v[12:13]
	v_fma_f64 v[8:9], v[8:9], v[167:168], v[24:25]
	v_fma_f64 v[6:7], v[6:7], v[167:168], -v[28:29]
	v_add_f64 v[20:21], v[20:21], v[30:31]
	v_add_f64 v[18:19], v[18:19], v[32:33]
	v_fma_f64 v[4:5], v[4:5], v[10:11], v[22:23]
	v_fma_f64 v[2:3], v[2:3], v[10:11], -v[12:13]
	s_delay_alu instid0(VALU_DEP_4) | instskip(NEXT) | instid1(VALU_DEP_4)
	v_add_f64 v[8:9], v[20:21], v[8:9]
	v_add_f64 v[6:7], v[18:19], v[6:7]
	s_delay_alu instid0(VALU_DEP_2) | instskip(NEXT) | instid1(VALU_DEP_2)
	v_add_f64 v[4:5], v[8:9], v[4:5]
	v_add_f64 v[2:3], v[6:7], v[2:3]
	s_waitcnt vmcnt(0)
	s_delay_alu instid0(VALU_DEP_2) | instskip(NEXT) | instid1(VALU_DEP_2)
	v_add_f64 v[4:5], v[16:17], -v[4:5]
	v_add_f64 v[2:3], v[14:15], -v[2:3]
	scratch_store_b128 off, v[2:5], off offset:32
	v_cmpx_lt_u32_e32 1, v154
	s_cbranch_execz .LBB55_347
; %bb.346:
	scratch_load_b128 v[5:8], v209, off
	v_mov_b32_e32 v2, v1
	v_mov_b32_e32 v3, v1
	;; [unrolled: 1-line block ×3, first 2 shown]
	scratch_store_b128 off, v[1:4], off offset:16
	s_waitcnt vmcnt(0)
	ds_store_b128 v210, v[5:8]
.LBB55_347:
	s_or_b32 exec_lo, exec_lo, s2
	s_waitcnt lgkmcnt(0)
	s_waitcnt_vscnt null, 0x0
	s_barrier
	buffer_gl0_inv
	s_clause 0x7
	scratch_load_b128 v[2:5], off, off offset:32
	scratch_load_b128 v[6:9], off, off offset:48
	;; [unrolled: 1-line block ×8, first 2 shown]
	ds_load_b128 v[38:41], v1 offset:928
	ds_load_b128 v[167:170], v1 offset:944
	s_clause 0x1
	scratch_load_b128 v[34:37], off, off offset:160
	scratch_load_b128 v[171:174], off, off offset:176
	s_mov_b32 s2, exec_lo
	s_waitcnt vmcnt(9) lgkmcnt(1)
	v_mul_f64 v[44:45], v[40:41], v[4:5]
	v_mul_f64 v[4:5], v[38:39], v[4:5]
	s_waitcnt vmcnt(8) lgkmcnt(0)
	v_mul_f64 v[46:47], v[167:168], v[8:9]
	v_mul_f64 v[8:9], v[169:170], v[8:9]
	s_delay_alu instid0(VALU_DEP_4) | instskip(NEXT) | instid1(VALU_DEP_4)
	v_fma_f64 v[44:45], v[38:39], v[2:3], -v[44:45]
	v_fma_f64 v[48:49], v[40:41], v[2:3], v[4:5]
	ds_load_b128 v[2:5], v1 offset:960
	scratch_load_b128 v[38:41], off, off offset:192
	v_fma_f64 v[46:47], v[169:170], v[6:7], v[46:47]
	v_fma_f64 v[175:176], v[167:168], v[6:7], -v[8:9]
	scratch_load_b128 v[167:170], off, off offset:208
	ds_load_b128 v[6:9], v1 offset:976
	s_waitcnt vmcnt(9) lgkmcnt(1)
	v_mul_f64 v[156:157], v[2:3], v[12:13]
	v_mul_f64 v[12:13], v[4:5], v[12:13]
	s_waitcnt vmcnt(8) lgkmcnt(0)
	v_mul_f64 v[177:178], v[6:7], v[16:17]
	v_mul_f64 v[16:17], v[8:9], v[16:17]
	v_add_f64 v[44:45], v[44:45], 0
	v_add_f64 v[48:49], v[48:49], 0
	v_fma_f64 v[156:157], v[4:5], v[10:11], v[156:157]
	v_fma_f64 v[179:180], v[2:3], v[10:11], -v[12:13]
	ds_load_b128 v[2:5], v1 offset:992
	scratch_load_b128 v[10:13], off, off offset:224
	v_add_f64 v[44:45], v[44:45], v[175:176]
	v_add_f64 v[46:47], v[48:49], v[46:47]
	v_fma_f64 v[175:176], v[8:9], v[14:15], v[177:178]
	v_fma_f64 v[177:178], v[6:7], v[14:15], -v[16:17]
	scratch_load_b128 v[14:17], off, off offset:240
	ds_load_b128 v[6:9], v1 offset:1008
	s_waitcnt vmcnt(9) lgkmcnt(1)
	v_mul_f64 v[48:49], v[2:3], v[20:21]
	v_mul_f64 v[20:21], v[4:5], v[20:21]
	v_add_f64 v[44:45], v[44:45], v[179:180]
	v_add_f64 v[46:47], v[46:47], v[156:157]
	s_waitcnt vmcnt(8) lgkmcnt(0)
	v_mul_f64 v[156:157], v[6:7], v[24:25]
	v_mul_f64 v[24:25], v[8:9], v[24:25]
	v_fma_f64 v[48:49], v[4:5], v[18:19], v[48:49]
	v_fma_f64 v[179:180], v[2:3], v[18:19], -v[20:21]
	ds_load_b128 v[2:5], v1 offset:1024
	scratch_load_b128 v[18:21], off, off offset:256
	v_add_f64 v[44:45], v[44:45], v[177:178]
	v_add_f64 v[46:47], v[46:47], v[175:176]
	v_fma_f64 v[156:157], v[8:9], v[22:23], v[156:157]
	v_fma_f64 v[177:178], v[6:7], v[22:23], -v[24:25]
	scratch_load_b128 v[22:25], off, off offset:272
	ds_load_b128 v[6:9], v1 offset:1040
	s_waitcnt vmcnt(9) lgkmcnt(1)
	v_mul_f64 v[175:176], v[2:3], v[28:29]
	v_mul_f64 v[28:29], v[4:5], v[28:29]
	v_add_f64 v[44:45], v[44:45], v[179:180]
	v_add_f64 v[46:47], v[46:47], v[48:49]
	s_waitcnt vmcnt(8) lgkmcnt(0)
	v_mul_f64 v[48:49], v[6:7], v[32:33]
	v_mul_f64 v[32:33], v[8:9], v[32:33]
	;; [unrolled: 18-line block ×17, first 2 shown]
	v_fma_f64 v[175:176], v[4:5], v[26:27], v[175:176]
	v_fma_f64 v[179:180], v[2:3], v[26:27], -v[28:29]
	ds_load_b128 v[2:5], v1 offset:1536
	scratch_load_b128 v[26:29], off, off offset:768
	v_add_f64 v[44:45], v[44:45], v[177:178]
	v_add_f64 v[46:47], v[46:47], v[156:157]
	v_fma_f64 v[48:49], v[8:9], v[30:31], v[48:49]
	v_fma_f64 v[177:178], v[6:7], v[30:31], -v[32:33]
	ds_load_b128 v[6:9], v1 offset:1552
	s_waitcnt vmcnt(8) lgkmcnt(1)
	v_mul_f64 v[156:157], v[2:3], v[36:37]
	v_mul_f64 v[36:37], v[4:5], v[36:37]
	scratch_load_b128 v[30:33], off, off offset:784
	v_add_f64 v[44:45], v[44:45], v[179:180]
	v_add_f64 v[46:47], v[46:47], v[175:176]
	s_waitcnt vmcnt(8) lgkmcnt(0)
	v_mul_f64 v[175:176], v[6:7], v[173:174]
	v_mul_f64 v[173:174], v[8:9], v[173:174]
	v_fma_f64 v[156:157], v[4:5], v[34:35], v[156:157]
	v_fma_f64 v[179:180], v[2:3], v[34:35], -v[36:37]
	ds_load_b128 v[2:5], v1 offset:1568
	scratch_load_b128 v[34:37], off, off offset:800
	v_add_f64 v[44:45], v[44:45], v[177:178]
	v_add_f64 v[46:47], v[46:47], v[48:49]
	v_fma_f64 v[175:176], v[8:9], v[171:172], v[175:176]
	v_fma_f64 v[177:178], v[6:7], v[171:172], -v[173:174]
	ds_load_b128 v[6:9], v1 offset:1584
	s_waitcnt vmcnt(8) lgkmcnt(1)
	v_mul_f64 v[48:49], v[2:3], v[40:41]
	v_mul_f64 v[40:41], v[4:5], v[40:41]
	scratch_load_b128 v[171:174], off, off offset:816
	v_add_f64 v[44:45], v[44:45], v[179:180]
	v_add_f64 v[46:47], v[46:47], v[156:157]
	s_waitcnt vmcnt(8) lgkmcnt(0)
	v_mul_f64 v[156:157], v[6:7], v[169:170]
	v_mul_f64 v[169:170], v[8:9], v[169:170]
	v_fma_f64 v[48:49], v[4:5], v[38:39], v[48:49]
	v_fma_f64 v[179:180], v[2:3], v[38:39], -v[40:41]
	scratch_load_b128 v[38:41], off, off offset:832
	ds_load_b128 v[2:5], v1 offset:1600
	v_add_f64 v[44:45], v[44:45], v[177:178]
	v_add_f64 v[46:47], v[46:47], v[175:176]
	v_fma_f64 v[156:157], v[8:9], v[167:168], v[156:157]
	v_fma_f64 v[177:178], v[6:7], v[167:168], -v[169:170]
	ds_load_b128 v[6:9], v1 offset:1616
	s_waitcnt vmcnt(8) lgkmcnt(1)
	v_mul_f64 v[175:176], v[2:3], v[12:13]
	v_mul_f64 v[12:13], v[4:5], v[12:13]
	scratch_load_b128 v[167:170], off, off offset:848
	v_add_f64 v[44:45], v[44:45], v[179:180]
	v_add_f64 v[46:47], v[46:47], v[48:49]
	s_waitcnt vmcnt(8) lgkmcnt(0)
	v_mul_f64 v[48:49], v[6:7], v[16:17]
	v_mul_f64 v[16:17], v[8:9], v[16:17]
	v_fma_f64 v[175:176], v[4:5], v[10:11], v[175:176]
	v_fma_f64 v[179:180], v[2:3], v[10:11], -v[12:13]
	scratch_load_b128 v[10:13], off, off offset:864
	ds_load_b128 v[2:5], v1 offset:1632
	v_add_f64 v[44:45], v[44:45], v[177:178]
	v_add_f64 v[46:47], v[46:47], v[156:157]
	v_fma_f64 v[48:49], v[8:9], v[14:15], v[48:49]
	v_fma_f64 v[177:178], v[6:7], v[14:15], -v[16:17]
	ds_load_b128 v[6:9], v1 offset:1648
	s_waitcnt vmcnt(8) lgkmcnt(1)
	v_mul_f64 v[156:157], v[2:3], v[20:21]
	v_mul_f64 v[20:21], v[4:5], v[20:21]
	scratch_load_b128 v[14:17], off, off offset:880
	v_add_f64 v[44:45], v[44:45], v[179:180]
	v_add_f64 v[46:47], v[46:47], v[175:176]
	s_waitcnt vmcnt(8) lgkmcnt(0)
	v_mul_f64 v[175:176], v[6:7], v[24:25]
	v_mul_f64 v[24:25], v[8:9], v[24:25]
	v_fma_f64 v[156:157], v[4:5], v[18:19], v[156:157]
	v_fma_f64 v[18:19], v[2:3], v[18:19], -v[20:21]
	ds_load_b128 v[2:5], v1 offset:1664
	v_add_f64 v[20:21], v[44:45], v[177:178]
	v_add_f64 v[44:45], v[46:47], v[48:49]
	v_fma_f64 v[48:49], v[8:9], v[22:23], v[175:176]
	v_fma_f64 v[22:23], v[6:7], v[22:23], -v[24:25]
	ds_load_b128 v[6:9], v1 offset:1680
	s_waitcnt vmcnt(7) lgkmcnt(1)
	v_mul_f64 v[46:47], v[2:3], v[28:29]
	v_mul_f64 v[28:29], v[4:5], v[28:29]
	v_add_f64 v[18:19], v[20:21], v[18:19]
	v_add_f64 v[20:21], v[44:45], v[156:157]
	s_delay_alu instid0(VALU_DEP_4) | instskip(NEXT) | instid1(VALU_DEP_4)
	v_fma_f64 v[44:45], v[4:5], v[26:27], v[46:47]
	v_fma_f64 v[26:27], v[2:3], v[26:27], -v[28:29]
	ds_load_b128 v[2:5], v1 offset:1696
	v_add_f64 v[22:23], v[18:19], v[22:23]
	v_add_f64 v[28:29], v[20:21], v[48:49]
	scratch_load_b128 v[18:21], off, off offset:16
	s_waitcnt vmcnt(7) lgkmcnt(1)
	v_mul_f64 v[24:25], v[6:7], v[32:33]
	v_mul_f64 v[32:33], v[8:9], v[32:33]
	v_add_f64 v[22:23], v[22:23], v[26:27]
	v_add_f64 v[26:27], v[28:29], v[44:45]
	s_delay_alu instid0(VALU_DEP_4) | instskip(NEXT) | instid1(VALU_DEP_4)
	v_fma_f64 v[24:25], v[8:9], v[30:31], v[24:25]
	v_fma_f64 v[30:31], v[6:7], v[30:31], -v[32:33]
	ds_load_b128 v[6:9], v1 offset:1712
	s_waitcnt vmcnt(6) lgkmcnt(1)
	v_mul_f64 v[46:47], v[2:3], v[36:37]
	v_mul_f64 v[36:37], v[4:5], v[36:37]
	s_waitcnt vmcnt(5) lgkmcnt(0)
	v_mul_f64 v[28:29], v[6:7], v[173:174]
	v_mul_f64 v[32:33], v[8:9], v[173:174]
	v_add_f64 v[24:25], v[26:27], v[24:25]
	v_add_f64 v[22:23], v[22:23], v[30:31]
	v_fma_f64 v[44:45], v[4:5], v[34:35], v[46:47]
	v_fma_f64 v[34:35], v[2:3], v[34:35], -v[36:37]
	ds_load_b128 v[2:5], v1 offset:1728
	v_fma_f64 v[28:29], v[8:9], v[171:172], v[28:29]
	v_fma_f64 v[32:33], v[6:7], v[171:172], -v[32:33]
	ds_load_b128 v[6:9], v1 offset:1744
	s_waitcnt vmcnt(4) lgkmcnt(1)
	v_mul_f64 v[26:27], v[2:3], v[40:41]
	v_mul_f64 v[30:31], v[4:5], v[40:41]
	v_add_f64 v[24:25], v[24:25], v[44:45]
	v_add_f64 v[22:23], v[22:23], v[34:35]
	s_waitcnt vmcnt(3) lgkmcnt(0)
	v_mul_f64 v[34:35], v[6:7], v[169:170]
	v_mul_f64 v[36:37], v[8:9], v[169:170]
	v_fma_f64 v[26:27], v[4:5], v[38:39], v[26:27]
	v_fma_f64 v[30:31], v[2:3], v[38:39], -v[30:31]
	ds_load_b128 v[2:5], v1 offset:1760
	v_add_f64 v[24:25], v[24:25], v[28:29]
	v_add_f64 v[22:23], v[22:23], v[32:33]
	v_fma_f64 v[32:33], v[8:9], v[167:168], v[34:35]
	v_fma_f64 v[34:35], v[6:7], v[167:168], -v[36:37]
	ds_load_b128 v[6:9], v1 offset:1776
	s_waitcnt vmcnt(2) lgkmcnt(1)
	v_mul_f64 v[28:29], v[2:3], v[12:13]
	v_mul_f64 v[12:13], v[4:5], v[12:13]
	v_add_f64 v[24:25], v[24:25], v[26:27]
	v_add_f64 v[22:23], v[22:23], v[30:31]
	s_waitcnt vmcnt(1) lgkmcnt(0)
	v_mul_f64 v[26:27], v[6:7], v[16:17]
	v_mul_f64 v[16:17], v[8:9], v[16:17]
	v_fma_f64 v[4:5], v[4:5], v[10:11], v[28:29]
	v_fma_f64 v[1:2], v[2:3], v[10:11], -v[12:13]
	v_add_f64 v[12:13], v[24:25], v[32:33]
	v_add_f64 v[10:11], v[22:23], v[34:35]
	v_fma_f64 v[8:9], v[8:9], v[14:15], v[26:27]
	v_fma_f64 v[6:7], v[6:7], v[14:15], -v[16:17]
	s_delay_alu instid0(VALU_DEP_4) | instskip(NEXT) | instid1(VALU_DEP_4)
	v_add_f64 v[3:4], v[12:13], v[4:5]
	v_add_f64 v[1:2], v[10:11], v[1:2]
	s_delay_alu instid0(VALU_DEP_2) | instskip(NEXT) | instid1(VALU_DEP_2)
	v_add_f64 v[3:4], v[3:4], v[8:9]
	v_add_f64 v[1:2], v[1:2], v[6:7]
	s_waitcnt vmcnt(0)
	s_delay_alu instid0(VALU_DEP_2) | instskip(NEXT) | instid1(VALU_DEP_2)
	v_add_f64 v[3:4], v[20:21], -v[3:4]
	v_add_f64 v[1:2], v[18:19], -v[1:2]
	scratch_store_b128 off, v[1:4], off offset:16
	v_cmpx_ne_u32_e32 0, v154
	s_cbranch_execz .LBB55_349
; %bb.348:
	scratch_load_b128 v[1:4], off, off
	v_mov_b32_e32 v5, 0
	s_delay_alu instid0(VALU_DEP_1)
	v_mov_b32_e32 v6, v5
	v_mov_b32_e32 v7, v5
	;; [unrolled: 1-line block ×3, first 2 shown]
	scratch_store_b128 off, v[5:8], off
	s_waitcnt vmcnt(0)
	ds_store_b128 v210, v[1:4]
.LBB55_349:
	s_or_b32 exec_lo, exec_lo, s2
	s_waitcnt lgkmcnt(0)
	s_waitcnt_vscnt null, 0x0
	s_barrier
	buffer_gl0_inv
	s_clause 0x7
	scratch_load_b128 v[1:4], off, off offset:16
	scratch_load_b128 v[5:8], off, off offset:32
	;; [unrolled: 1-line block ×8, first 2 shown]
	v_mov_b32_e32 v41, 0
	s_and_b32 vcc_lo, exec_lo, s20
	ds_load_b128 v[37:40], v41 offset:912
	s_clause 0x1
	scratch_load_b128 v[33:36], off, off offset:144
	scratch_load_b128 v[167:170], off, off
	ds_load_b128 v[171:174], v41 offset:928
	scratch_load_b128 v[175:178], off, off offset:160
	ds_load_b128 v[179:182], v41 offset:960
	s_waitcnt vmcnt(10) lgkmcnt(2)
	v_mul_f64 v[44:45], v[39:40], v[3:4]
	v_mul_f64 v[3:4], v[37:38], v[3:4]
	s_delay_alu instid0(VALU_DEP_2) | instskip(NEXT) | instid1(VALU_DEP_2)
	v_fma_f64 v[44:45], v[37:38], v[1:2], -v[44:45]
	v_fma_f64 v[48:49], v[39:40], v[1:2], v[3:4]
	ds_load_b128 v[1:4], v41 offset:944
	s_waitcnt vmcnt(9) lgkmcnt(2)
	v_mul_f64 v[46:47], v[171:172], v[7:8]
	v_mul_f64 v[7:8], v[173:174], v[7:8]
	scratch_load_b128 v[37:40], off, off offset:176
	s_waitcnt vmcnt(9) lgkmcnt(0)
	v_mul_f64 v[156:157], v[1:2], v[11:12]
	v_mul_f64 v[11:12], v[3:4], v[11:12]
	v_add_f64 v[44:45], v[44:45], 0
	v_add_f64 v[48:49], v[48:49], 0
	v_fma_f64 v[46:47], v[173:174], v[5:6], v[46:47]
	v_fma_f64 v[171:172], v[171:172], v[5:6], -v[7:8]
	scratch_load_b128 v[5:8], off, off offset:192
	v_fma_f64 v[156:157], v[3:4], v[9:10], v[156:157]
	v_fma_f64 v[214:215], v[1:2], v[9:10], -v[11:12]
	scratch_load_b128 v[9:12], off, off offset:208
	ds_load_b128 v[1:4], v41 offset:976
	s_waitcnt vmcnt(10)
	v_mul_f64 v[183:184], v[179:180], v[15:16]
	v_mul_f64 v[15:16], v[181:182], v[15:16]
	v_add_f64 v[46:47], v[48:49], v[46:47]
	v_add_f64 v[44:45], v[44:45], v[171:172]
	ds_load_b128 v[171:174], v41 offset:992
	s_waitcnt vmcnt(9) lgkmcnt(1)
	v_mul_f64 v[48:49], v[1:2], v[19:20]
	v_mul_f64 v[19:20], v[3:4], v[19:20]
	v_fma_f64 v[181:182], v[181:182], v[13:14], v[183:184]
	v_fma_f64 v[179:180], v[179:180], v[13:14], -v[15:16]
	scratch_load_b128 v[13:16], off, off offset:224
	v_add_f64 v[46:47], v[46:47], v[156:157]
	v_add_f64 v[44:45], v[44:45], v[214:215]
	v_fma_f64 v[48:49], v[3:4], v[17:18], v[48:49]
	v_fma_f64 v[183:184], v[1:2], v[17:18], -v[19:20]
	scratch_load_b128 v[17:20], off, off offset:240
	ds_load_b128 v[1:4], v41 offset:1008
	s_waitcnt vmcnt(10) lgkmcnt(1)
	v_mul_f64 v[156:157], v[171:172], v[23:24]
	v_mul_f64 v[23:24], v[173:174], v[23:24]
	s_waitcnt vmcnt(9) lgkmcnt(0)
	v_mul_f64 v[214:215], v[1:2], v[27:28]
	v_mul_f64 v[27:28], v[3:4], v[27:28]
	v_add_f64 v[46:47], v[46:47], v[181:182]
	v_add_f64 v[44:45], v[44:45], v[179:180]
	ds_load_b128 v[179:182], v41 offset:1024
	v_fma_f64 v[156:157], v[173:174], v[21:22], v[156:157]
	v_fma_f64 v[171:172], v[171:172], v[21:22], -v[23:24]
	scratch_load_b128 v[21:24], off, off offset:256
	v_add_f64 v[46:47], v[46:47], v[48:49]
	v_add_f64 v[44:45], v[44:45], v[183:184]
	v_fma_f64 v[183:184], v[3:4], v[25:26], v[214:215]
	v_fma_f64 v[214:215], v[1:2], v[25:26], -v[27:28]
	scratch_load_b128 v[25:28], off, off offset:272
	ds_load_b128 v[1:4], v41 offset:1040
	s_waitcnt vmcnt(10) lgkmcnt(1)
	v_mul_f64 v[48:49], v[179:180], v[31:32]
	v_mul_f64 v[31:32], v[181:182], v[31:32]
	v_add_f64 v[46:47], v[46:47], v[156:157]
	v_add_f64 v[44:45], v[44:45], v[171:172]
	s_waitcnt vmcnt(9) lgkmcnt(0)
	v_mul_f64 v[156:157], v[1:2], v[35:36]
	v_mul_f64 v[35:36], v[3:4], v[35:36]
	ds_load_b128 v[171:174], v41 offset:1056
	v_fma_f64 v[48:49], v[181:182], v[29:30], v[48:49]
	v_fma_f64 v[179:180], v[179:180], v[29:30], -v[31:32]
	scratch_load_b128 v[29:32], off, off offset:288
	v_add_f64 v[46:47], v[46:47], v[183:184]
	v_add_f64 v[44:45], v[44:45], v[214:215]
	v_fma_f64 v[156:157], v[3:4], v[33:34], v[156:157]
	v_fma_f64 v[214:215], v[1:2], v[33:34], -v[35:36]
	scratch_load_b128 v[33:36], off, off offset:304
	ds_load_b128 v[1:4], v41 offset:1072
	s_waitcnt vmcnt(9) lgkmcnt(1)
	v_mul_f64 v[181:182], v[171:172], v[177:178]
	v_mul_f64 v[183:184], v[173:174], v[177:178]
	v_add_f64 v[46:47], v[46:47], v[48:49]
	v_add_f64 v[44:45], v[44:45], v[179:180]
	ds_load_b128 v[177:180], v41 offset:1088
	v_fma_f64 v[181:182], v[173:174], v[175:176], v[181:182]
	v_fma_f64 v[175:176], v[171:172], v[175:176], -v[183:184]
	scratch_load_b128 v[171:174], off, off offset:320
	s_waitcnt vmcnt(9) lgkmcnt(1)
	v_mul_f64 v[48:49], v[1:2], v[39:40]
	v_mul_f64 v[39:40], v[3:4], v[39:40]
	v_add_f64 v[46:47], v[46:47], v[156:157]
	v_add_f64 v[44:45], v[44:45], v[214:215]
	s_delay_alu instid0(VALU_DEP_4) | instskip(NEXT) | instid1(VALU_DEP_4)
	v_fma_f64 v[48:49], v[3:4], v[37:38], v[48:49]
	v_fma_f64 v[214:215], v[1:2], v[37:38], -v[39:40]
	scratch_load_b128 v[37:40], off, off offset:336
	ds_load_b128 v[1:4], v41 offset:1104
	s_waitcnt vmcnt(9) lgkmcnt(1)
	v_mul_f64 v[156:157], v[177:178], v[7:8]
	v_mul_f64 v[7:8], v[179:180], v[7:8]
	v_add_f64 v[46:47], v[46:47], v[181:182]
	v_add_f64 v[44:45], v[44:45], v[175:176]
	ds_load_b128 v[181:184], v41 offset:1120
	s_waitcnt vmcnt(8) lgkmcnt(1)
	v_mul_f64 v[175:176], v[1:2], v[11:12]
	v_mul_f64 v[11:12], v[3:4], v[11:12]
	v_fma_f64 v[156:157], v[179:180], v[5:6], v[156:157]
	v_fma_f64 v[177:178], v[177:178], v[5:6], -v[7:8]
	scratch_load_b128 v[5:8], off, off offset:352
	v_add_f64 v[46:47], v[46:47], v[48:49]
	v_add_f64 v[44:45], v[44:45], v[214:215]
	v_fma_f64 v[179:180], v[3:4], v[9:10], v[175:176]
	v_fma_f64 v[214:215], v[1:2], v[9:10], -v[11:12]
	scratch_load_b128 v[9:12], off, off offset:368
	ds_load_b128 v[1:4], v41 offset:1136
	s_waitcnt vmcnt(9) lgkmcnt(1)
	v_mul_f64 v[48:49], v[181:182], v[15:16]
	v_mul_f64 v[15:16], v[183:184], v[15:16]
	v_add_f64 v[46:47], v[46:47], v[156:157]
	v_add_f64 v[44:45], v[44:45], v[177:178]
	s_waitcnt vmcnt(8) lgkmcnt(0)
	v_mul_f64 v[156:157], v[1:2], v[19:20]
	v_mul_f64 v[19:20], v[3:4], v[19:20]
	ds_load_b128 v[175:178], v41 offset:1152
	v_fma_f64 v[48:49], v[183:184], v[13:14], v[48:49]
	v_fma_f64 v[181:182], v[181:182], v[13:14], -v[15:16]
	scratch_load_b128 v[13:16], off, off offset:384
	v_add_f64 v[46:47], v[46:47], v[179:180]
	v_add_f64 v[44:45], v[44:45], v[214:215]
	v_fma_f64 v[156:157], v[3:4], v[17:18], v[156:157]
	v_fma_f64 v[214:215], v[1:2], v[17:18], -v[19:20]
	scratch_load_b128 v[17:20], off, off offset:400
	ds_load_b128 v[1:4], v41 offset:1168
	s_waitcnt vmcnt(9) lgkmcnt(1)
	v_mul_f64 v[183:184], v[175:176], v[23:24]
	v_mul_f64 v[23:24], v[177:178], v[23:24]
	v_add_f64 v[46:47], v[46:47], v[48:49]
	v_add_f64 v[44:45], v[44:45], v[181:182]
	s_waitcnt vmcnt(8) lgkmcnt(0)
	v_mul_f64 v[48:49], v[1:2], v[27:28]
	v_mul_f64 v[27:28], v[3:4], v[27:28]
	ds_load_b128 v[179:182], v41 offset:1184
	v_fma_f64 v[177:178], v[177:178], v[21:22], v[183:184]
	v_fma_f64 v[175:176], v[175:176], v[21:22], -v[23:24]
	scratch_load_b128 v[21:24], off, off offset:416
	v_add_f64 v[46:47], v[46:47], v[156:157]
	v_add_f64 v[44:45], v[44:45], v[214:215]
	v_fma_f64 v[48:49], v[3:4], v[25:26], v[48:49]
	v_fma_f64 v[183:184], v[1:2], v[25:26], -v[27:28]
	scratch_load_b128 v[25:28], off, off offset:432
	ds_load_b128 v[1:4], v41 offset:1200
	s_waitcnt vmcnt(9) lgkmcnt(1)
	v_mul_f64 v[156:157], v[179:180], v[31:32]
	v_mul_f64 v[31:32], v[181:182], v[31:32]
	s_waitcnt vmcnt(8) lgkmcnt(0)
	v_mul_f64 v[214:215], v[1:2], v[35:36]
	v_mul_f64 v[35:36], v[3:4], v[35:36]
	v_add_f64 v[46:47], v[46:47], v[177:178]
	v_add_f64 v[44:45], v[44:45], v[175:176]
	ds_load_b128 v[175:178], v41 offset:1216
	v_fma_f64 v[156:157], v[181:182], v[29:30], v[156:157]
	v_fma_f64 v[179:180], v[179:180], v[29:30], -v[31:32]
	scratch_load_b128 v[29:32], off, off offset:448
	v_add_f64 v[46:47], v[46:47], v[48:49]
	v_add_f64 v[44:45], v[44:45], v[183:184]
	v_fma_f64 v[183:184], v[3:4], v[33:34], v[214:215]
	v_fma_f64 v[214:215], v[1:2], v[33:34], -v[35:36]
	scratch_load_b128 v[33:36], off, off offset:464
	ds_load_b128 v[1:4], v41 offset:1232
	s_waitcnt vmcnt(9) lgkmcnt(1)
	v_mul_f64 v[48:49], v[175:176], v[173:174]
	v_mul_f64 v[173:174], v[177:178], v[173:174]
	v_add_f64 v[46:47], v[46:47], v[156:157]
	v_add_f64 v[44:45], v[44:45], v[179:180]
	s_waitcnt vmcnt(8) lgkmcnt(0)
	v_mul_f64 v[156:157], v[1:2], v[39:40]
	v_mul_f64 v[39:40], v[3:4], v[39:40]
	ds_load_b128 v[179:182], v41 offset:1248
	v_fma_f64 v[48:49], v[177:178], v[171:172], v[48:49]
	v_fma_f64 v[175:176], v[175:176], v[171:172], -v[173:174]
	scratch_load_b128 v[171:174], off, off offset:480
	v_add_f64 v[46:47], v[46:47], v[183:184]
	v_add_f64 v[44:45], v[44:45], v[214:215]
	v_fma_f64 v[156:157], v[3:4], v[37:38], v[156:157]
	v_fma_f64 v[214:215], v[1:2], v[37:38], -v[39:40]
	scratch_load_b128 v[37:40], off, off offset:496
	ds_load_b128 v[1:4], v41 offset:1264
	s_waitcnt vmcnt(9) lgkmcnt(1)
	v_mul_f64 v[183:184], v[179:180], v[7:8]
	v_mul_f64 v[7:8], v[181:182], v[7:8]
	v_add_f64 v[46:47], v[46:47], v[48:49]
	v_add_f64 v[44:45], v[44:45], v[175:176]
	s_waitcnt vmcnt(8) lgkmcnt(0)
	v_mul_f64 v[48:49], v[1:2], v[11:12]
	v_mul_f64 v[11:12], v[3:4], v[11:12]
	ds_load_b128 v[175:178], v41 offset:1280
	v_fma_f64 v[181:182], v[181:182], v[5:6], v[183:184]
	v_fma_f64 v[179:180], v[179:180], v[5:6], -v[7:8]
	scratch_load_b128 v[5:8], off, off offset:512
	v_add_f64 v[46:47], v[46:47], v[156:157]
	v_add_f64 v[44:45], v[44:45], v[214:215]
	v_fma_f64 v[48:49], v[3:4], v[9:10], v[48:49]
	v_fma_f64 v[183:184], v[1:2], v[9:10], -v[11:12]
	scratch_load_b128 v[9:12], off, off offset:528
	ds_load_b128 v[1:4], v41 offset:1296
	s_waitcnt vmcnt(9) lgkmcnt(1)
	v_mul_f64 v[156:157], v[175:176], v[15:16]
	v_mul_f64 v[15:16], v[177:178], v[15:16]
	s_waitcnt vmcnt(8) lgkmcnt(0)
	v_mul_f64 v[214:215], v[1:2], v[19:20]
	v_mul_f64 v[19:20], v[3:4], v[19:20]
	v_add_f64 v[46:47], v[46:47], v[181:182]
	v_add_f64 v[44:45], v[44:45], v[179:180]
	ds_load_b128 v[179:182], v41 offset:1312
	v_fma_f64 v[156:157], v[177:178], v[13:14], v[156:157]
	v_fma_f64 v[175:176], v[175:176], v[13:14], -v[15:16]
	scratch_load_b128 v[13:16], off, off offset:544
	v_add_f64 v[46:47], v[46:47], v[48:49]
	v_add_f64 v[44:45], v[44:45], v[183:184]
	v_fma_f64 v[183:184], v[3:4], v[17:18], v[214:215]
	v_fma_f64 v[214:215], v[1:2], v[17:18], -v[19:20]
	scratch_load_b128 v[17:20], off, off offset:560
	ds_load_b128 v[1:4], v41 offset:1328
	s_waitcnt vmcnt(9) lgkmcnt(1)
	v_mul_f64 v[48:49], v[179:180], v[23:24]
	v_mul_f64 v[23:24], v[181:182], v[23:24]
	v_add_f64 v[46:47], v[46:47], v[156:157]
	v_add_f64 v[44:45], v[44:45], v[175:176]
	s_waitcnt vmcnt(8) lgkmcnt(0)
	v_mul_f64 v[156:157], v[1:2], v[27:28]
	v_mul_f64 v[27:28], v[3:4], v[27:28]
	ds_load_b128 v[175:178], v41 offset:1344
	v_fma_f64 v[48:49], v[181:182], v[21:22], v[48:49]
	v_fma_f64 v[179:180], v[179:180], v[21:22], -v[23:24]
	scratch_load_b128 v[21:24], off, off offset:576
	v_add_f64 v[46:47], v[46:47], v[183:184]
	v_add_f64 v[44:45], v[44:45], v[214:215]
	v_fma_f64 v[156:157], v[3:4], v[25:26], v[156:157]
	v_fma_f64 v[214:215], v[1:2], v[25:26], -v[27:28]
	scratch_load_b128 v[25:28], off, off offset:592
	ds_load_b128 v[1:4], v41 offset:1360
	s_waitcnt vmcnt(9) lgkmcnt(1)
	v_mul_f64 v[183:184], v[175:176], v[31:32]
	v_mul_f64 v[31:32], v[177:178], v[31:32]
	v_add_f64 v[46:47], v[46:47], v[48:49]
	v_add_f64 v[44:45], v[44:45], v[179:180]
	s_waitcnt vmcnt(8) lgkmcnt(0)
	v_mul_f64 v[48:49], v[1:2], v[35:36]
	v_mul_f64 v[35:36], v[3:4], v[35:36]
	ds_load_b128 v[179:182], v41 offset:1376
	v_fma_f64 v[177:178], v[177:178], v[29:30], v[183:184]
	v_fma_f64 v[175:176], v[175:176], v[29:30], -v[31:32]
	scratch_load_b128 v[29:32], off, off offset:608
	v_add_f64 v[46:47], v[46:47], v[156:157]
	v_add_f64 v[44:45], v[44:45], v[214:215]
	v_fma_f64 v[48:49], v[3:4], v[33:34], v[48:49]
	v_fma_f64 v[214:215], v[1:2], v[33:34], -v[35:36]
	scratch_load_b128 v[33:36], off, off offset:624
	ds_load_b128 v[1:4], v41 offset:1392
	s_waitcnt vmcnt(9) lgkmcnt(1)
	v_mul_f64 v[156:157], v[179:180], v[173:174]
	v_mul_f64 v[183:184], v[181:182], v[173:174]
	s_waitcnt vmcnt(8) lgkmcnt(0)
	v_mul_f64 v[216:217], v[1:2], v[39:40]
	v_mul_f64 v[39:40], v[3:4], v[39:40]
	v_add_f64 v[46:47], v[46:47], v[177:178]
	v_add_f64 v[44:45], v[44:45], v[175:176]
	ds_load_b128 v[173:176], v41 offset:1408
	v_fma_f64 v[156:157], v[181:182], v[171:172], v[156:157]
	v_fma_f64 v[171:172], v[179:180], v[171:172], -v[183:184]
	scratch_load_b128 v[177:180], off, off offset:640
	ds_load_b128 v[181:184], v41 offset:1440
	v_add_f64 v[46:47], v[46:47], v[48:49]
	v_add_f64 v[44:45], v[44:45], v[214:215]
	v_fma_f64 v[214:215], v[3:4], v[37:38], v[216:217]
	v_fma_f64 v[216:217], v[1:2], v[37:38], -v[39:40]
	ds_load_b128 v[1:4], v41 offset:1424
	s_waitcnt vmcnt(8) lgkmcnt(2)
	v_mul_f64 v[48:49], v[173:174], v[7:8]
	v_mul_f64 v[7:8], v[175:176], v[7:8]
	scratch_load_b128 v[37:40], off, off offset:656
	v_add_f64 v[46:47], v[46:47], v[156:157]
	v_add_f64 v[44:45], v[44:45], v[171:172]
	s_waitcnt vmcnt(8) lgkmcnt(0)
	v_mul_f64 v[156:157], v[1:2], v[11:12]
	v_mul_f64 v[11:12], v[3:4], v[11:12]
	v_fma_f64 v[48:49], v[175:176], v[5:6], v[48:49]
	v_fma_f64 v[171:172], v[173:174], v[5:6], -v[7:8]
	scratch_load_b128 v[5:8], off, off offset:672
	v_add_f64 v[46:47], v[46:47], v[214:215]
	v_add_f64 v[44:45], v[44:45], v[216:217]
	v_fma_f64 v[156:157], v[3:4], v[9:10], v[156:157]
	v_fma_f64 v[214:215], v[1:2], v[9:10], -v[11:12]
	scratch_load_b128 v[9:12], off, off offset:688
	ds_load_b128 v[1:4], v41 offset:1456
	s_waitcnt vmcnt(9)
	v_mul_f64 v[175:176], v[181:182], v[15:16]
	v_mul_f64 v[15:16], v[183:184], v[15:16]
	v_add_f64 v[46:47], v[46:47], v[48:49]
	v_add_f64 v[44:45], v[44:45], v[171:172]
	s_waitcnt vmcnt(8) lgkmcnt(0)
	v_mul_f64 v[48:49], v[1:2], v[19:20]
	v_mul_f64 v[19:20], v[3:4], v[19:20]
	ds_load_b128 v[171:174], v41 offset:1472
	v_fma_f64 v[175:176], v[183:184], v[13:14], v[175:176]
	v_fma_f64 v[181:182], v[181:182], v[13:14], -v[15:16]
	scratch_load_b128 v[13:16], off, off offset:704
	v_add_f64 v[46:47], v[46:47], v[156:157]
	v_add_f64 v[44:45], v[44:45], v[214:215]
	v_fma_f64 v[48:49], v[3:4], v[17:18], v[48:49]
	v_fma_f64 v[214:215], v[1:2], v[17:18], -v[19:20]
	scratch_load_b128 v[17:20], off, off offset:720
	ds_load_b128 v[1:4], v41 offset:1488
	s_waitcnt vmcnt(9) lgkmcnt(1)
	v_mul_f64 v[156:157], v[171:172], v[23:24]
	v_mul_f64 v[23:24], v[173:174], v[23:24]
	v_add_f64 v[46:47], v[46:47], v[175:176]
	v_add_f64 v[44:45], v[44:45], v[181:182]
	s_waitcnt vmcnt(8) lgkmcnt(0)
	v_mul_f64 v[175:176], v[1:2], v[27:28]
	v_mul_f64 v[27:28], v[3:4], v[27:28]
	ds_load_b128 v[181:184], v41 offset:1504
	v_fma_f64 v[156:157], v[173:174], v[21:22], v[156:157]
	v_fma_f64 v[171:172], v[171:172], v[21:22], -v[23:24]
	scratch_load_b128 v[21:24], off, off offset:736
	v_add_f64 v[46:47], v[46:47], v[48:49]
	v_add_f64 v[44:45], v[44:45], v[214:215]
	v_fma_f64 v[175:176], v[3:4], v[25:26], v[175:176]
	v_fma_f64 v[214:215], v[1:2], v[25:26], -v[27:28]
	scratch_load_b128 v[25:28], off, off offset:752
	ds_load_b128 v[1:4], v41 offset:1520
	s_waitcnt vmcnt(9) lgkmcnt(1)
	;; [unrolled: 18-line block ×4, first 2 shown]
	v_mul_f64 v[156:157], v[179:180], v[7:8]
	v_mul_f64 v[7:8], v[181:182], v[7:8]
	s_waitcnt vmcnt(8) lgkmcnt(0)
	v_mul_f64 v[214:215], v[1:2], v[11:12]
	v_mul_f64 v[11:12], v[3:4], v[11:12]
	v_add_f64 v[46:47], v[46:47], v[175:176]
	v_add_f64 v[44:45], v[44:45], v[177:178]
	ds_load_b128 v[175:178], v41 offset:1600
	v_fma_f64 v[156:157], v[181:182], v[5:6], v[156:157]
	v_fma_f64 v[179:180], v[179:180], v[5:6], -v[7:8]
	scratch_load_b128 v[5:8], off, off offset:832
	v_add_f64 v[46:47], v[46:47], v[48:49]
	v_add_f64 v[44:45], v[44:45], v[183:184]
	v_fma_f64 v[183:184], v[3:4], v[9:10], v[214:215]
	v_fma_f64 v[214:215], v[1:2], v[9:10], -v[11:12]
	scratch_load_b128 v[9:12], off, off offset:848
	ds_load_b128 v[1:4], v41 offset:1616
	s_waitcnt vmcnt(9) lgkmcnt(1)
	v_mul_f64 v[48:49], v[175:176], v[15:16]
	v_mul_f64 v[15:16], v[177:178], v[15:16]
	v_add_f64 v[46:47], v[46:47], v[156:157]
	v_add_f64 v[44:45], v[44:45], v[179:180]
	s_waitcnt vmcnt(8) lgkmcnt(0)
	v_mul_f64 v[156:157], v[1:2], v[19:20]
	v_mul_f64 v[19:20], v[3:4], v[19:20]
	ds_load_b128 v[179:182], v41 offset:1632
	v_fma_f64 v[48:49], v[177:178], v[13:14], v[48:49]
	v_fma_f64 v[175:176], v[175:176], v[13:14], -v[15:16]
	scratch_load_b128 v[13:16], off, off offset:864
	v_add_f64 v[46:47], v[46:47], v[183:184]
	v_add_f64 v[44:45], v[44:45], v[214:215]
	v_fma_f64 v[156:157], v[3:4], v[17:18], v[156:157]
	v_fma_f64 v[214:215], v[1:2], v[17:18], -v[19:20]
	scratch_load_b128 v[17:20], off, off offset:880
	ds_load_b128 v[1:4], v41 offset:1648
	s_waitcnt vmcnt(9) lgkmcnt(1)
	v_mul_f64 v[183:184], v[179:180], v[23:24]
	v_mul_f64 v[23:24], v[181:182], v[23:24]
	v_add_f64 v[46:47], v[46:47], v[48:49]
	v_add_f64 v[44:45], v[44:45], v[175:176]
	s_waitcnt vmcnt(8) lgkmcnt(0)
	v_mul_f64 v[48:49], v[1:2], v[27:28]
	v_mul_f64 v[27:28], v[3:4], v[27:28]
	ds_load_b128 v[175:178], v41 offset:1664
	v_fma_f64 v[181:182], v[181:182], v[21:22], v[183:184]
	v_fma_f64 v[21:22], v[179:180], v[21:22], -v[23:24]
	v_add_f64 v[23:24], v[44:45], v[214:215]
	v_add_f64 v[44:45], v[46:47], v[156:157]
	s_waitcnt vmcnt(7) lgkmcnt(0)
	v_mul_f64 v[46:47], v[175:176], v[31:32]
	v_mul_f64 v[31:32], v[177:178], v[31:32]
	v_fma_f64 v[48:49], v[3:4], v[25:26], v[48:49]
	v_fma_f64 v[25:26], v[1:2], v[25:26], -v[27:28]
	v_add_f64 v[27:28], v[23:24], v[21:22]
	v_add_f64 v[44:45], v[44:45], v[181:182]
	ds_load_b128 v[1:4], v41 offset:1680
	ds_load_b128 v[21:24], v41 offset:1696
	v_fma_f64 v[46:47], v[177:178], v[29:30], v[46:47]
	v_fma_f64 v[29:30], v[175:176], v[29:30], -v[31:32]
	s_waitcnt vmcnt(6) lgkmcnt(1)
	v_mul_f64 v[156:157], v[1:2], v[35:36]
	v_mul_f64 v[35:36], v[3:4], v[35:36]
	s_waitcnt vmcnt(5) lgkmcnt(0)
	v_mul_f64 v[31:32], v[21:22], v[173:174]
	v_add_f64 v[25:26], v[27:28], v[25:26]
	v_add_f64 v[27:28], v[44:45], v[48:49]
	v_mul_f64 v[44:45], v[23:24], v[173:174]
	v_fma_f64 v[48:49], v[3:4], v[33:34], v[156:157]
	v_fma_f64 v[33:34], v[1:2], v[33:34], -v[35:36]
	v_fma_f64 v[23:24], v[23:24], v[171:172], v[31:32]
	v_add_f64 v[29:30], v[25:26], v[29:30]
	v_add_f64 v[35:36], v[27:28], v[46:47]
	ds_load_b128 v[1:4], v41 offset:1712
	ds_load_b128 v[25:28], v41 offset:1728
	v_fma_f64 v[21:22], v[21:22], v[171:172], -v[44:45]
	s_waitcnt vmcnt(4) lgkmcnt(1)
	v_mul_f64 v[46:47], v[1:2], v[39:40]
	v_mul_f64 v[39:40], v[3:4], v[39:40]
	v_add_f64 v[29:30], v[29:30], v[33:34]
	v_add_f64 v[31:32], v[35:36], v[48:49]
	s_waitcnt vmcnt(3) lgkmcnt(0)
	v_mul_f64 v[33:34], v[25:26], v[7:8]
	v_mul_f64 v[7:8], v[27:28], v[7:8]
	v_fma_f64 v[35:36], v[3:4], v[37:38], v[46:47]
	v_fma_f64 v[37:38], v[1:2], v[37:38], -v[39:40]
	v_add_f64 v[29:30], v[29:30], v[21:22]
	v_add_f64 v[31:32], v[31:32], v[23:24]
	ds_load_b128 v[1:4], v41 offset:1744
	ds_load_b128 v[21:24], v41 offset:1760
	v_fma_f64 v[27:28], v[27:28], v[5:6], v[33:34]
	v_fma_f64 v[5:6], v[25:26], v[5:6], -v[7:8]
	s_waitcnt vmcnt(2) lgkmcnt(1)
	v_mul_f64 v[39:40], v[1:2], v[11:12]
	v_mul_f64 v[11:12], v[3:4], v[11:12]
	v_add_f64 v[7:8], v[29:30], v[37:38]
	v_add_f64 v[25:26], v[31:32], v[35:36]
	s_waitcnt vmcnt(1) lgkmcnt(0)
	v_mul_f64 v[29:30], v[21:22], v[15:16]
	v_mul_f64 v[15:16], v[23:24], v[15:16]
	v_fma_f64 v[31:32], v[3:4], v[9:10], v[39:40]
	v_fma_f64 v[9:10], v[1:2], v[9:10], -v[11:12]
	ds_load_b128 v[1:4], v41 offset:1776
	v_add_f64 v[5:6], v[7:8], v[5:6]
	v_add_f64 v[7:8], v[25:26], v[27:28]
	v_fma_f64 v[23:24], v[23:24], v[13:14], v[29:30]
	v_fma_f64 v[13:14], v[21:22], v[13:14], -v[15:16]
	s_waitcnt vmcnt(0) lgkmcnt(0)
	v_mul_f64 v[11:12], v[1:2], v[19:20]
	v_mul_f64 v[19:20], v[3:4], v[19:20]
	v_add_f64 v[5:6], v[5:6], v[9:10]
	v_add_f64 v[7:8], v[7:8], v[31:32]
	s_delay_alu instid0(VALU_DEP_4) | instskip(NEXT) | instid1(VALU_DEP_4)
	v_fma_f64 v[3:4], v[3:4], v[17:18], v[11:12]
	v_fma_f64 v[1:2], v[1:2], v[17:18], -v[19:20]
	s_delay_alu instid0(VALU_DEP_4) | instskip(NEXT) | instid1(VALU_DEP_4)
	v_add_f64 v[5:6], v[5:6], v[13:14]
	v_add_f64 v[7:8], v[7:8], v[23:24]
	s_delay_alu instid0(VALU_DEP_2) | instskip(NEXT) | instid1(VALU_DEP_2)
	v_add_f64 v[1:2], v[5:6], v[1:2]
	v_add_f64 v[3:4], v[7:8], v[3:4]
	s_delay_alu instid0(VALU_DEP_2) | instskip(NEXT) | instid1(VALU_DEP_2)
	v_add_f64 v[1:2], v[167:168], -v[1:2]
	v_add_f64 v[3:4], v[169:170], -v[3:4]
	scratch_store_b128 off, v[1:4], off
	s_cbranch_vccz .LBB55_461
; %bb.350:
	v_dual_mov_b32 v1, s16 :: v_dual_mov_b32 v2, s17
	s_load_b64 s[0:1], s[0:1], 0x4
	flat_load_b32 v1, v[1:2] offset:216
	v_bfe_u32 v2, v0, 10, 10
	v_bfe_u32 v0, v0, 20, 10
	s_waitcnt lgkmcnt(0)
	s_lshr_b32 s0, s0, 16
	s_delay_alu instid0(VALU_DEP_2) | instskip(SKIP_1) | instid1(SALU_CYCLE_1)
	v_mul_u32_u24_e32 v2, s1, v2
	s_mul_i32 s0, s0, s1
	v_mul_u32_u24_e32 v3, s0, v154
	s_mov_b32 s0, exec_lo
	s_delay_alu instid0(VALU_DEP_1) | instskip(NEXT) | instid1(VALU_DEP_1)
	v_add3_u32 v0, v3, v2, v0
	v_lshl_add_u32 v0, v0, 4, 0x708
	s_waitcnt vmcnt(0)
	v_cmpx_ne_u32_e32 55, v1
	s_cbranch_execz .LBB55_352
; %bb.351:
	v_lshl_add_u32 v9, v1, 4, 0
	s_clause 0x1
	scratch_load_b128 v[1:4], v155, off
	scratch_load_b128 v[5:8], v9, off offset:-16
	s_waitcnt vmcnt(1)
	ds_store_2addr_b64 v0, v[1:2], v[3:4] offset1:1
	s_waitcnt vmcnt(0)
	s_clause 0x1
	scratch_store_b128 v155, v[5:8], off
	scratch_store_b128 v9, v[1:4], off offset:-16
.LBB55_352:
	s_or_b32 exec_lo, exec_lo, s0
	v_dual_mov_b32 v1, s16 :: v_dual_mov_b32 v2, s17
	flat_load_b32 v1, v[1:2] offset:212
	s_waitcnt vmcnt(0) lgkmcnt(0)
	v_cmp_ne_u32_e32 vcc_lo, 54, v1
	s_mov_b32 s0, exec_lo
	v_dual_mov_b32 v10, v242 :: v_dual_mov_b32 v11, v243
	v_dual_mov_b32 v12, v244 :: v_dual_mov_b32 v13, v238
	;; [unrolled: 1-line block ×7, first 2 shown]
	s_and_b32 s1, s0, vcc_lo
	s_delay_alu instid0(SALU_CYCLE_1)
	s_mov_b32 exec_lo, s1
	s_cbranch_execz .LBB55_354
; %bb.353:
	v_lshl_add_u32 v9, v1, 4, 0
	s_clause 0x1
	scratch_load_b128 v[1:4], v162, off
	scratch_load_b128 v[5:8], v9, off offset:-16
	s_waitcnt vmcnt(1)
	ds_store_2addr_b64 v0, v[1:2], v[3:4] offset1:1
	s_waitcnt vmcnt(0)
	s_clause 0x1
	scratch_store_b128 v162, v[5:8], off
	scratch_store_b128 v9, v[1:4], off offset:-16
.LBB55_354:
	s_or_b32 exec_lo, exec_lo, s0
	v_dual_mov_b32 v1, s16 :: v_dual_mov_b32 v2, s17
	s_mov_b32 s0, exec_lo
	flat_load_b32 v1, v[1:2] offset:208
	s_waitcnt vmcnt(0) lgkmcnt(0)
	v_cmpx_ne_u32_e32 53, v1
	s_cbranch_execz .LBB55_356
; %bb.355:
	v_lshl_add_u32 v9, v1, 4, 0
	s_clause 0x1
	scratch_load_b128 v[1:4], v163, off
	scratch_load_b128 v[5:8], v9, off offset:-16
	s_waitcnt vmcnt(1)
	ds_store_2addr_b64 v0, v[1:2], v[3:4] offset1:1
	s_waitcnt vmcnt(0)
	s_clause 0x1
	scratch_store_b128 v163, v[5:8], off
	scratch_store_b128 v9, v[1:4], off offset:-16
.LBB55_356:
	s_or_b32 exec_lo, exec_lo, s0
	v_dual_mov_b32 v1, s16 :: v_dual_mov_b32 v2, s17
	s_mov_b32 s0, exec_lo
	flat_load_b32 v1, v[1:2] offset:204
	s_waitcnt vmcnt(0) lgkmcnt(0)
	v_cmpx_ne_u32_e32 52, v1
	s_cbranch_execz .LBB55_358
; %bb.357:
	v_lshl_add_u32 v9, v1, 4, 0
	s_clause 0x1
	scratch_load_b128 v[1:4], v164, off
	scratch_load_b128 v[5:8], v9, off offset:-16
	s_waitcnt vmcnt(1)
	ds_store_2addr_b64 v0, v[1:2], v[3:4] offset1:1
	s_waitcnt vmcnt(0)
	s_clause 0x1
	scratch_store_b128 v164, v[5:8], off
	scratch_store_b128 v9, v[1:4], off offset:-16
.LBB55_358:
	s_or_b32 exec_lo, exec_lo, s0
	v_dual_mov_b32 v1, s16 :: v_dual_mov_b32 v2, s17
	s_mov_b32 s0, exec_lo
	flat_load_b32 v1, v[1:2] offset:200
	s_waitcnt vmcnt(0) lgkmcnt(0)
	v_cmpx_ne_u32_e32 51, v1
	s_cbranch_execz .LBB55_360
; %bb.359:
	v_lshl_add_u32 v9, v1, 4, 0
	s_clause 0x1
	scratch_load_b128 v[1:4], v165, off
	scratch_load_b128 v[5:8], v9, off offset:-16
	s_waitcnt vmcnt(1)
	ds_store_2addr_b64 v0, v[1:2], v[3:4] offset1:1
	s_waitcnt vmcnt(0)
	s_clause 0x1
	scratch_store_b128 v165, v[5:8], off
	scratch_store_b128 v9, v[1:4], off offset:-16
.LBB55_360:
	s_or_b32 exec_lo, exec_lo, s0
	v_dual_mov_b32 v1, s16 :: v_dual_mov_b32 v2, s17
	s_mov_b32 s0, exec_lo
	flat_load_b32 v1, v[1:2] offset:196
	s_waitcnt vmcnt(0) lgkmcnt(0)
	v_cmpx_ne_u32_e32 50, v1
	s_cbranch_execz .LBB55_362
; %bb.361:
	v_lshl_add_u32 v9, v1, 4, 0
	s_clause 0x1
	scratch_load_b128 v[1:4], v166, off
	scratch_load_b128 v[5:8], v9, off offset:-16
	s_waitcnt vmcnt(1)
	ds_store_2addr_b64 v0, v[1:2], v[3:4] offset1:1
	s_waitcnt vmcnt(0)
	s_clause 0x1
	scratch_store_b128 v166, v[5:8], off
	scratch_store_b128 v9, v[1:4], off offset:-16
.LBB55_362:
	s_or_b32 exec_lo, exec_lo, s0
	v_dual_mov_b32 v1, s16 :: v_dual_mov_b32 v2, s17
	s_mov_b32 s0, exec_lo
	flat_load_b32 v1, v[1:2] offset:192
	s_waitcnt vmcnt(0) lgkmcnt(0)
	v_cmpx_ne_u32_e32 49, v1
	s_cbranch_execz .LBB55_364
; %bb.363:
	v_lshl_add_u32 v9, v1, 4, 0
	s_clause 0x1
	scratch_load_b128 v[1:4], v10, off
	scratch_load_b128 v[5:8], v9, off offset:-16
	s_waitcnt vmcnt(1)
	ds_store_2addr_b64 v0, v[1:2], v[3:4] offset1:1
	s_waitcnt vmcnt(0)
	s_clause 0x1
	scratch_store_b128 v10, v[5:8], off
	scratch_store_b128 v9, v[1:4], off offset:-16
.LBB55_364:
	s_or_b32 exec_lo, exec_lo, s0
	v_dual_mov_b32 v1, s16 :: v_dual_mov_b32 v2, s17
	s_mov_b32 s0, exec_lo
	flat_load_b32 v1, v[1:2] offset:188
	s_waitcnt vmcnt(0) lgkmcnt(0)
	v_cmpx_ne_u32_e32 48, v1
	s_cbranch_execz .LBB55_366
; %bb.365:
	v_lshl_add_u32 v9, v1, 4, 0
	s_clause 0x1
	scratch_load_b128 v[1:4], v12, off
	scratch_load_b128 v[5:8], v9, off offset:-16
	s_waitcnt vmcnt(1)
	ds_store_2addr_b64 v0, v[1:2], v[3:4] offset1:1
	s_waitcnt vmcnt(0)
	s_clause 0x1
	scratch_store_b128 v12, v[5:8], off
	scratch_store_b128 v9, v[1:4], off offset:-16
.LBB55_366:
	s_or_b32 exec_lo, exec_lo, s0
	v_dual_mov_b32 v1, s16 :: v_dual_mov_b32 v2, s17
	s_mov_b32 s0, exec_lo
	flat_load_b32 v1, v[1:2] offset:184
	s_waitcnt vmcnt(0) lgkmcnt(0)
	v_cmpx_ne_u32_e32 47, v1
	s_cbranch_execz .LBB55_368
; %bb.367:
	v_lshl_add_u32 v9, v1, 4, 0
	s_clause 0x1
	scratch_load_b128 v[1:4], v11, off
	scratch_load_b128 v[5:8], v9, off offset:-16
	s_waitcnt vmcnt(1)
	ds_store_2addr_b64 v0, v[1:2], v[3:4] offset1:1
	s_waitcnt vmcnt(0)
	s_clause 0x1
	scratch_store_b128 v11, v[5:8], off
	scratch_store_b128 v9, v[1:4], off offset:-16
.LBB55_368:
	s_or_b32 exec_lo, exec_lo, s0
	v_dual_mov_b32 v1, s16 :: v_dual_mov_b32 v2, s17
	s_mov_b32 s0, exec_lo
	flat_load_b32 v1, v[1:2] offset:180
	s_waitcnt vmcnt(0) lgkmcnt(0)
	v_cmpx_ne_u32_e32 46, v1
	s_cbranch_execz .LBB55_370
; %bb.369:
	v_lshl_add_u32 v9, v1, 4, 0
	s_clause 0x1
	scratch_load_b128 v[1:4], v13, off
	scratch_load_b128 v[5:8], v9, off offset:-16
	s_waitcnt vmcnt(1)
	ds_store_2addr_b64 v0, v[1:2], v[3:4] offset1:1
	s_waitcnt vmcnt(0)
	s_clause 0x1
	scratch_store_b128 v13, v[5:8], off
	scratch_store_b128 v9, v[1:4], off offset:-16
.LBB55_370:
	s_or_b32 exec_lo, exec_lo, s0
	v_dual_mov_b32 v1, s16 :: v_dual_mov_b32 v2, s17
	s_mov_b32 s0, exec_lo
	flat_load_b32 v1, v[1:2] offset:176
	s_waitcnt vmcnt(0) lgkmcnt(0)
	v_cmpx_ne_u32_e32 45, v1
	s_cbranch_execz .LBB55_372
; %bb.371:
	v_lshl_add_u32 v9, v1, 4, 0
	s_clause 0x1
	scratch_load_b128 v[1:4], v14, off
	scratch_load_b128 v[5:8], v9, off offset:-16
	s_waitcnt vmcnt(1)
	ds_store_2addr_b64 v0, v[1:2], v[3:4] offset1:1
	s_waitcnt vmcnt(0)
	s_clause 0x1
	scratch_store_b128 v14, v[5:8], off
	scratch_store_b128 v9, v[1:4], off offset:-16
.LBB55_372:
	s_or_b32 exec_lo, exec_lo, s0
	v_dual_mov_b32 v1, s16 :: v_dual_mov_b32 v2, s17
	s_mov_b32 s0, exec_lo
	flat_load_b32 v1, v[1:2] offset:172
	s_waitcnt vmcnt(0) lgkmcnt(0)
	v_cmpx_ne_u32_e32 44, v1
	s_cbranch_execz .LBB55_374
; %bb.373:
	v_lshl_add_u32 v9, v1, 4, 0
	s_clause 0x1
	scratch_load_b128 v[1:4], v16, off
	scratch_load_b128 v[5:8], v9, off offset:-16
	s_waitcnt vmcnt(1)
	ds_store_2addr_b64 v0, v[1:2], v[3:4] offset1:1
	s_waitcnt vmcnt(0)
	s_clause 0x1
	scratch_store_b128 v16, v[5:8], off
	scratch_store_b128 v9, v[1:4], off offset:-16
.LBB55_374:
	s_or_b32 exec_lo, exec_lo, s0
	v_dual_mov_b32 v1, s16 :: v_dual_mov_b32 v2, s17
	s_mov_b32 s0, exec_lo
	flat_load_b32 v1, v[1:2] offset:168
	s_waitcnt vmcnt(0) lgkmcnt(0)
	v_cmpx_ne_u32_e32 43, v1
	s_cbranch_execz .LBB55_376
; %bb.375:
	v_lshl_add_u32 v9, v1, 4, 0
	s_clause 0x1
	scratch_load_b128 v[1:4], v15, off
	scratch_load_b128 v[5:8], v9, off offset:-16
	s_waitcnt vmcnt(1)
	ds_store_2addr_b64 v0, v[1:2], v[3:4] offset1:1
	s_waitcnt vmcnt(0)
	s_clause 0x1
	scratch_store_b128 v15, v[5:8], off
	scratch_store_b128 v9, v[1:4], off offset:-16
.LBB55_376:
	s_or_b32 exec_lo, exec_lo, s0
	v_dual_mov_b32 v1, s16 :: v_dual_mov_b32 v2, s17
	s_mov_b32 s0, exec_lo
	flat_load_b32 v1, v[1:2] offset:164
	s_waitcnt vmcnt(0) lgkmcnt(0)
	v_cmpx_ne_u32_e32 42, v1
	s_cbranch_execz .LBB55_378
; %bb.377:
	v_lshl_add_u32 v9, v1, 4, 0
	s_clause 0x1
	scratch_load_b128 v[1:4], v17, off
	scratch_load_b128 v[5:8], v9, off offset:-16
	s_waitcnt vmcnt(1)
	ds_store_2addr_b64 v0, v[1:2], v[3:4] offset1:1
	s_waitcnt vmcnt(0)
	s_clause 0x1
	scratch_store_b128 v17, v[5:8], off
	scratch_store_b128 v9, v[1:4], off offset:-16
.LBB55_378:
	s_or_b32 exec_lo, exec_lo, s0
	v_dual_mov_b32 v1, s16 :: v_dual_mov_b32 v2, s17
	s_mov_b32 s0, exec_lo
	flat_load_b32 v1, v[1:2] offset:160
	s_waitcnt vmcnt(0) lgkmcnt(0)
	v_cmpx_ne_u32_e32 41, v1
	s_cbranch_execz .LBB55_380
; %bb.379:
	v_lshl_add_u32 v9, v1, 4, 0
	s_clause 0x1
	scratch_load_b128 v[1:4], v18, off
	scratch_load_b128 v[5:8], v9, off offset:-16
	s_waitcnt vmcnt(1)
	ds_store_2addr_b64 v0, v[1:2], v[3:4] offset1:1
	s_waitcnt vmcnt(0)
	s_clause 0x1
	scratch_store_b128 v18, v[5:8], off
	scratch_store_b128 v9, v[1:4], off offset:-16
.LBB55_380:
	s_or_b32 exec_lo, exec_lo, s0
	v_dual_mov_b32 v1, s16 :: v_dual_mov_b32 v2, s17
	s_mov_b32 s0, exec_lo
	flat_load_b32 v1, v[1:2] offset:156
	s_waitcnt vmcnt(0) lgkmcnt(0)
	v_cmpx_ne_u32_e32 40, v1
	s_cbranch_execz .LBB55_382
; %bb.381:
	v_lshl_add_u32 v9, v1, 4, 0
	s_clause 0x1
	scratch_load_b128 v[1:4], v20, off
	scratch_load_b128 v[5:8], v9, off offset:-16
	s_waitcnt vmcnt(1)
	ds_store_2addr_b64 v0, v[1:2], v[3:4] offset1:1
	s_waitcnt vmcnt(0)
	s_clause 0x1
	scratch_store_b128 v20, v[5:8], off
	scratch_store_b128 v9, v[1:4], off offset:-16
.LBB55_382:
	s_or_b32 exec_lo, exec_lo, s0
	v_dual_mov_b32 v1, s16 :: v_dual_mov_b32 v2, s17
	s_mov_b32 s0, exec_lo
	flat_load_b32 v1, v[1:2] offset:152
	s_waitcnt vmcnt(0) lgkmcnt(0)
	v_cmpx_ne_u32_e32 39, v1
	s_cbranch_execz .LBB55_384
; %bb.383:
	v_lshl_add_u32 v9, v1, 4, 0
	s_clause 0x1
	scratch_load_b128 v[1:4], v19, off
	scratch_load_b128 v[5:8], v9, off offset:-16
	s_waitcnt vmcnt(1)
	ds_store_2addr_b64 v0, v[1:2], v[3:4] offset1:1
	s_waitcnt vmcnt(0)
	s_clause 0x1
	scratch_store_b128 v19, v[5:8], off
	scratch_store_b128 v9, v[1:4], off offset:-16
.LBB55_384:
	s_or_b32 exec_lo, exec_lo, s0
	v_dual_mov_b32 v1, s16 :: v_dual_mov_b32 v2, s17
	s_mov_b32 s0, exec_lo
	flat_load_b32 v1, v[1:2] offset:148
	s_waitcnt vmcnt(0) lgkmcnt(0)
	v_cmpx_ne_u32_e32 38, v1
	s_cbranch_execz .LBB55_386
; %bb.385:
	v_lshl_add_u32 v9, v1, 4, 0
	s_clause 0x1
	scratch_load_b128 v[1:4], v21, off
	scratch_load_b128 v[5:8], v9, off offset:-16
	s_waitcnt vmcnt(1)
	ds_store_2addr_b64 v0, v[1:2], v[3:4] offset1:1
	s_waitcnt vmcnt(0)
	s_clause 0x1
	scratch_store_b128 v21, v[5:8], off
	scratch_store_b128 v9, v[1:4], off offset:-16
.LBB55_386:
	s_or_b32 exec_lo, exec_lo, s0
	v_dual_mov_b32 v1, s16 :: v_dual_mov_b32 v2, s17
	s_mov_b32 s0, exec_lo
	flat_load_b32 v1, v[1:2] offset:144
	s_waitcnt vmcnt(0) lgkmcnt(0)
	v_cmpx_ne_u32_e32 37, v1
	s_cbranch_execz .LBB55_388
; %bb.387:
	v_lshl_add_u32 v9, v1, 4, 0
	s_clause 0x1
	scratch_load_b128 v[1:4], v22, off
	scratch_load_b128 v[5:8], v9, off offset:-16
	s_waitcnt vmcnt(1)
	ds_store_2addr_b64 v0, v[1:2], v[3:4] offset1:1
	s_waitcnt vmcnt(0)
	s_clause 0x1
	scratch_store_b128 v22, v[5:8], off
	scratch_store_b128 v9, v[1:4], off offset:-16
.LBB55_388:
	s_or_b32 exec_lo, exec_lo, s0
	v_dual_mov_b32 v1, s16 :: v_dual_mov_b32 v2, s17
	s_mov_b32 s0, exec_lo
	flat_load_b32 v1, v[1:2] offset:140
	s_waitcnt vmcnt(0) lgkmcnt(0)
	v_cmpx_ne_u32_e32 36, v1
	s_cbranch_execz .LBB55_390
; %bb.389:
	scratch_load_b32 v10, off, off offset:896 ; 4-byte Folded Reload
	v_lshl_add_u32 v9, v1, 4, 0
	s_waitcnt vmcnt(0)
	s_clause 0x1
	scratch_load_b128 v[1:4], v10, off
	scratch_load_b128 v[5:8], v9, off offset:-16
	s_waitcnt vmcnt(1)
	ds_store_2addr_b64 v0, v[1:2], v[3:4] offset1:1
	s_waitcnt vmcnt(0)
	s_clause 0x1
	scratch_store_b128 v10, v[5:8], off
	scratch_store_b128 v9, v[1:4], off offset:-16
.LBB55_390:
	s_or_b32 exec_lo, exec_lo, s0
	v_dual_mov_b32 v1, s16 :: v_dual_mov_b32 v2, s17
	s_mov_b32 s0, exec_lo
	flat_load_b32 v1, v[1:2] offset:136
	s_waitcnt vmcnt(0) lgkmcnt(0)
	v_cmpx_ne_u32_e32 35, v1
	s_cbranch_execz .LBB55_392
; %bb.391:
	v_lshl_add_u32 v9, v1, 4, 0
	s_clause 0x1
	scratch_load_b128 v[1:4], v23, off
	scratch_load_b128 v[5:8], v9, off offset:-16
	s_waitcnt vmcnt(1)
	ds_store_2addr_b64 v0, v[1:2], v[3:4] offset1:1
	s_waitcnt vmcnt(0)
	s_clause 0x1
	scratch_store_b128 v23, v[5:8], off
	scratch_store_b128 v9, v[1:4], off offset:-16
.LBB55_392:
	s_or_b32 exec_lo, exec_lo, s0
	v_dual_mov_b32 v1, s16 :: v_dual_mov_b32 v2, s17
	s_mov_b32 s0, exec_lo
	flat_load_b32 v1, v[1:2] offset:132
	s_waitcnt vmcnt(0) lgkmcnt(0)
	v_cmpx_ne_u32_e32 34, v1
	s_cbranch_execz .LBB55_394
; %bb.393:
	scratch_load_b32 v10, off, off offset:900 ; 4-byte Folded Reload
	v_lshl_add_u32 v9, v1, 4, 0
	s_waitcnt vmcnt(0)
	s_clause 0x1
	scratch_load_b128 v[1:4], v10, off
	scratch_load_b128 v[5:8], v9, off offset:-16
	s_waitcnt vmcnt(1)
	ds_store_2addr_b64 v0, v[1:2], v[3:4] offset1:1
	s_waitcnt vmcnt(0)
	s_clause 0x1
	scratch_store_b128 v10, v[5:8], off
	scratch_store_b128 v9, v[1:4], off offset:-16
.LBB55_394:
	s_or_b32 exec_lo, exec_lo, s0
	v_dual_mov_b32 v1, s16 :: v_dual_mov_b32 v2, s17
	s_mov_b32 s0, exec_lo
	flat_load_b32 v1, v[1:2] offset:128
	s_waitcnt vmcnt(0) lgkmcnt(0)
	v_cmpx_ne_u32_e32 33, v1
	s_cbranch_execz .LBB55_396
; %bb.395:
	v_lshl_add_u32 v9, v1, 4, 0
	s_clause 0x1
	scratch_load_b128 v[1:4], v212, off
	scratch_load_b128 v[5:8], v9, off offset:-16
	s_waitcnt vmcnt(1)
	ds_store_2addr_b64 v0, v[1:2], v[3:4] offset1:1
	s_waitcnt vmcnt(0)
	s_clause 0x1
	scratch_store_b128 v212, v[5:8], off
	scratch_store_b128 v9, v[1:4], off offset:-16
.LBB55_396:
	s_or_b32 exec_lo, exec_lo, s0
	v_dual_mov_b32 v1, s16 :: v_dual_mov_b32 v2, s17
	s_mov_b32 s0, exec_lo
	flat_load_b32 v1, v[1:2] offset:124
	s_waitcnt vmcnt(0) lgkmcnt(0)
	v_cmpx_ne_u32_e32 32, v1
	s_cbranch_execz .LBB55_398
; %bb.397:
	v_lshl_add_u32 v9, v1, 4, 0
	s_clause 0x1
	scratch_load_b128 v[1:4], v159, off
	scratch_load_b128 v[5:8], v9, off offset:-16
	s_waitcnt vmcnt(1)
	ds_store_2addr_b64 v0, v[1:2], v[3:4] offset1:1
	s_waitcnt vmcnt(0)
	s_clause 0x1
	scratch_store_b128 v159, v[5:8], off
	scratch_store_b128 v9, v[1:4], off offset:-16
.LBB55_398:
	;; [unrolled: 19-line block ×32, first 2 shown]
	s_or_b32 exec_lo, exec_lo, s0
	v_dual_mov_b32 v1, s16 :: v_dual_mov_b32 v2, s17
	s_mov_b32 s0, exec_lo
	flat_load_b32 v1, v[1:2]
	s_waitcnt vmcnt(0) lgkmcnt(0)
	v_cmpx_ne_u32_e32 1, v1
	s_cbranch_execz .LBB55_460
; %bb.459:
	v_lshl_add_u32 v9, v1, 4, 0
	scratch_load_b128 v[1:4], off, off
	scratch_load_b128 v[5:8], v9, off offset:-16
	s_waitcnt vmcnt(1)
	ds_store_2addr_b64 v0, v[1:2], v[3:4] offset1:1
	s_waitcnt vmcnt(0)
	scratch_store_b128 off, v[5:8], off
	scratch_store_b128 v9, v[1:4], off offset:-16
.LBB55_460:
	s_or_b32 exec_lo, exec_lo, s0
.LBB55_461:
	scratch_load_b128 v[0:3], off, off
	s_clause 0x14
	scratch_load_b128 v[4:7], v209, off
	scratch_load_b128 v[8:11], v208, off
	;; [unrolled: 1-line block ×21, first 2 shown]
	s_waitcnt vmcnt(21)
	global_store_b128 v[42:43], v[0:3], off
	s_clause 0x1
	scratch_load_b128 v[0:3], v187, off
	scratch_load_b128 v[40:43], v188, off
	scratch_load_b64 v[44:45], off, off offset:912 ; 8-byte Folded Reload
	s_waitcnt vmcnt(0)
	global_store_b128 v[44:45], v[4:7], off
	s_clause 0x1
	scratch_load_b128 v[4:7], v186, off
	scratch_load_b128 v[183:186], v211, off
	scratch_load_b64 v[44:45], off, off offset:904 ; 8-byte Folded Reload
	s_waitcnt vmcnt(0)
	global_store_b128 v[44:45], v[8:11], off
	s_clause 0x1
	scratch_load_b128 v[8:11], v254, off
	scratch_load_b128 v[44:47], v255, off
	global_store_b128 v[50:51], v[12:15], off
	s_clause 0x1
	scratch_load_b128 v[12:15], v161, off
	scratch_load_b128 v[187:190], v160, off
	scratch_load_b64 v[48:49], off, off offset:920 ; 8-byte Folded Reload
	s_waitcnt vmcnt(0)
	global_store_b128 v[48:49], v[16:19], off
	s_clause 0x1
	scratch_load_b128 v[16:19], v213, off
	scratch_load_b128 v[48:51], v159, off
	global_store_b128 v[54:55], v[20:23], off
	scratch_load_b128 v[20:23], v212, off
	scratch_load_b32 v54, off, off offset:900 ; 4-byte Folded Reload
	global_store_b128 v[52:53], v[24:27], off
	s_waitcnt vmcnt(0)
	s_clause 0x1
	scratch_load_b128 v[208:211], v54, off
	scratch_load_b128 v[24:27], v232, off
	scratch_load_b32 v52, off, off offset:896 ; 4-byte Folded Reload
	global_store_b128 v[56:57], v[28:31], off
	s_waitcnt vmcnt(0)
	s_clause 0x2
	scratch_load_b128 v[52:55], v52, off
	scratch_load_b128 v[28:31], v231, off
	;; [unrolled: 1-line block ×3, first 2 shown]
	global_store_b128 v[58:59], v[32:35], off
	s_clause 0x1
	scratch_load_b128 v[32:35], v236, off
	scratch_load_b128 v[56:59], v237, off
	global_store_b128 v[60:61], v[36:39], off
	s_clause 0x1
	scratch_load_b128 v[36:39], v235, off
	scratch_load_b128 v[234:237], v234, off
	;; [unrolled: 4-line block ×9, first 2 shown]
	s_clause 0x11
	global_store_b128 v[76:77], v[214:217], off
	global_store_b128 v[78:79], v[192:195], off
	;; [unrolled: 1-line block ×18, first 2 shown]
	s_waitcnt vmcnt(20)
	global_store_b128 v[114:115], v[52:55], off
	s_waitcnt vmcnt(19)
	global_store_b128 v[116:117], v[28:31], off
	;; [unrolled: 2-line block ×21, first 2 shown]
	s_endpgm
	.section	.rodata,"a",@progbits
	.p2align	6, 0x0
	.amdhsa_kernel _ZN9rocsolver6v33100L18getri_kernel_smallILi56E19rocblas_complex_numIdEPS3_EEvT1_iilPiilS6_bb
		.amdhsa_group_segment_fixed_size 2824
		.amdhsa_private_segment_fixed_size 944
		.amdhsa_kernarg_size 60
		.amdhsa_user_sgpr_count 15
		.amdhsa_user_sgpr_dispatch_ptr 1
		.amdhsa_user_sgpr_queue_ptr 0
		.amdhsa_user_sgpr_kernarg_segment_ptr 1
		.amdhsa_user_sgpr_dispatch_id 0
		.amdhsa_user_sgpr_private_segment_size 0
		.amdhsa_wavefront_size32 1
		.amdhsa_uses_dynamic_stack 0
		.amdhsa_enable_private_segment 1
		.amdhsa_system_sgpr_workgroup_id_x 1
		.amdhsa_system_sgpr_workgroup_id_y 0
		.amdhsa_system_sgpr_workgroup_id_z 0
		.amdhsa_system_sgpr_workgroup_info 0
		.amdhsa_system_vgpr_workitem_id 2
		.amdhsa_next_free_vgpr 256
		.amdhsa_next_free_sgpr 62
		.amdhsa_reserve_vcc 1
		.amdhsa_float_round_mode_32 0
		.amdhsa_float_round_mode_16_64 0
		.amdhsa_float_denorm_mode_32 3
		.amdhsa_float_denorm_mode_16_64 3
		.amdhsa_dx10_clamp 1
		.amdhsa_ieee_mode 1
		.amdhsa_fp16_overflow 0
		.amdhsa_workgroup_processor_mode 1
		.amdhsa_memory_ordered 1
		.amdhsa_forward_progress 0
		.amdhsa_shared_vgpr_count 0
		.amdhsa_exception_fp_ieee_invalid_op 0
		.amdhsa_exception_fp_denorm_src 0
		.amdhsa_exception_fp_ieee_div_zero 0
		.amdhsa_exception_fp_ieee_overflow 0
		.amdhsa_exception_fp_ieee_underflow 0
		.amdhsa_exception_fp_ieee_inexact 0
		.amdhsa_exception_int_div_zero 0
	.end_amdhsa_kernel
	.section	.text._ZN9rocsolver6v33100L18getri_kernel_smallILi56E19rocblas_complex_numIdEPS3_EEvT1_iilPiilS6_bb,"axG",@progbits,_ZN9rocsolver6v33100L18getri_kernel_smallILi56E19rocblas_complex_numIdEPS3_EEvT1_iilPiilS6_bb,comdat
.Lfunc_end55:
	.size	_ZN9rocsolver6v33100L18getri_kernel_smallILi56E19rocblas_complex_numIdEPS3_EEvT1_iilPiilS6_bb, .Lfunc_end55-_ZN9rocsolver6v33100L18getri_kernel_smallILi56E19rocblas_complex_numIdEPS3_EEvT1_iilPiilS6_bb
                                        ; -- End function
	.section	.AMDGPU.csdata,"",@progbits
; Kernel info:
; codeLenInByte = 139728
; NumSgprs: 64
; NumVgprs: 256
; ScratchSize: 944
; MemoryBound: 0
; FloatMode: 240
; IeeeMode: 1
; LDSByteSize: 2824 bytes/workgroup (compile time only)
; SGPRBlocks: 7
; VGPRBlocks: 31
; NumSGPRsForWavesPerEU: 64
; NumVGPRsForWavesPerEU: 256
; Occupancy: 5
; WaveLimiterHint : 1
; COMPUTE_PGM_RSRC2:SCRATCH_EN: 1
; COMPUTE_PGM_RSRC2:USER_SGPR: 15
; COMPUTE_PGM_RSRC2:TRAP_HANDLER: 0
; COMPUTE_PGM_RSRC2:TGID_X_EN: 1
; COMPUTE_PGM_RSRC2:TGID_Y_EN: 0
; COMPUTE_PGM_RSRC2:TGID_Z_EN: 0
; COMPUTE_PGM_RSRC2:TIDIG_COMP_CNT: 2
	.section	.text._ZN9rocsolver6v33100L18getri_kernel_smallILi57E19rocblas_complex_numIdEPS3_EEvT1_iilPiilS6_bb,"axG",@progbits,_ZN9rocsolver6v33100L18getri_kernel_smallILi57E19rocblas_complex_numIdEPS3_EEvT1_iilPiilS6_bb,comdat
	.globl	_ZN9rocsolver6v33100L18getri_kernel_smallILi57E19rocblas_complex_numIdEPS3_EEvT1_iilPiilS6_bb ; -- Begin function _ZN9rocsolver6v33100L18getri_kernel_smallILi57E19rocblas_complex_numIdEPS3_EEvT1_iilPiilS6_bb
	.p2align	8
	.type	_ZN9rocsolver6v33100L18getri_kernel_smallILi57E19rocblas_complex_numIdEPS3_EEvT1_iilPiilS6_bb,@function
_ZN9rocsolver6v33100L18getri_kernel_smallILi57E19rocblas_complex_numIdEPS3_EEvT1_iilPiilS6_bb: ; @_ZN9rocsolver6v33100L18getri_kernel_smallILi57E19rocblas_complex_numIdEPS3_EEvT1_iilPiilS6_bb
; %bb.0:
	v_and_b32_e32 v156, 0x3ff, v0
	s_mov_b32 s4, exec_lo
	s_delay_alu instid0(VALU_DEP_1)
	v_cmpx_gt_u32_e32 57, v156
	s_cbranch_execz .LBB56_242
; %bb.1:
	s_mov_b32 s18, s15
	s_clause 0x2
	s_load_b32 s21, s[2:3], 0x38
	s_load_b128 s[12:15], s[2:3], 0x10
	s_load_b128 s[4:7], s[2:3], 0x28
                                        ; implicit-def: $sgpr16_sgpr17
	s_waitcnt lgkmcnt(0)
	s_bitcmp1_b32 s21, 8
	s_cselect_b32 s20, -1, 0
	s_bfe_u32 s8, s21, 0x10008
	s_ashr_i32 s19, s18, 31
	s_cmp_eq_u32 s8, 0
	s_cbranch_scc1 .LBB56_3
; %bb.2:
	s_load_b32 s8, s[2:3], 0x20
	s_mul_i32 s5, s18, s5
	s_mul_hi_u32 s9, s18, s4
	s_mul_i32 s10, s19, s4
	s_add_i32 s5, s9, s5
	s_mul_i32 s4, s18, s4
	s_add_i32 s5, s5, s10
	s_delay_alu instid0(SALU_CYCLE_1)
	s_lshl_b64 s[4:5], s[4:5], 2
	s_waitcnt lgkmcnt(0)
	s_ashr_i32 s9, s8, 31
	s_add_u32 s10, s14, s4
	s_addc_u32 s11, s15, s5
	s_lshl_b64 s[4:5], s[8:9], 2
	s_delay_alu instid0(SALU_CYCLE_1)
	s_add_u32 s16, s10, s4
	s_addc_u32 s17, s11, s5
.LBB56_3:
	s_load_b128 s[8:11], s[2:3], 0x0
	s_mul_i32 s2, s18, s13
	s_mul_hi_u32 s3, s18, s12
	s_mul_i32 s4, s19, s12
	s_add_i32 s3, s3, s2
	s_mul_i32 s2, s18, s12
	s_add_i32 s3, s3, s4
	v_lshlrev_b32_e32 v13, 4, v156
	s_lshl_b64 s[2:3], s[2:3], 4
	s_movk_i32 s12, 0xd0
	s_movk_i32 s13, 0xe0
	;; [unrolled: 1-line block ×11, first 2 shown]
	s_waitcnt lgkmcnt(0)
	v_add3_u32 v5, s11, s11, v156
	s_ashr_i32 s5, s10, 31
	s_mov_b32 s4, s10
	s_add_u32 s8, s8, s2
	s_addc_u32 s9, s9, s3
	v_add_nc_u32_e32 v7, s11, v5
	s_lshl_b64 s[2:3], s[4:5], 4
	v_ashrrev_i32_e32 v6, 31, v5
	s_add_u32 s2, s8, s2
	s_addc_u32 s3, s9, s3
	v_add_co_u32 v42, s8, s2, v13
	v_add_nc_u32_e32 v9, s11, v7
	s_mov_b32 s4, s11
	s_ashr_i32 s5, s11, 31
	v_add_co_ci_u32_e64 v43, null, s3, 0, s8
	v_ashrrev_i32_e32 v8, 31, v7
	v_lshlrev_b64 v[5:6], 4, v[5:6]
	s_lshl_b64 s[4:5], s[4:5], 4
	v_ashrrev_i32_e32 v10, 31, v9
	v_add_co_u32 v44, vcc_lo, v42, s4
	v_add_nc_u32_e32 v11, s11, v9
	v_add_co_ci_u32_e32 v45, vcc_lo, s5, v43, vcc_lo
	v_lshlrev_b64 v[7:8], 4, v[7:8]
	v_add_co_u32 v46, vcc_lo, s2, v5
	v_add_co_ci_u32_e32 v47, vcc_lo, s3, v6, vcc_lo
	v_lshlrev_b64 v[5:6], 4, v[9:10]
	v_ashrrev_i32_e32 v12, 31, v11
	v_add_nc_u32_e32 v9, s11, v11
	v_add_co_u32 v48, vcc_lo, s2, v7
	v_add_co_ci_u32_e32 v49, vcc_lo, s3, v8, vcc_lo
	s_delay_alu instid0(VALU_DEP_4) | instskip(NEXT) | instid1(VALU_DEP_4)
	v_lshlrev_b64 v[7:8], 4, v[11:12]
	v_ashrrev_i32_e32 v10, 31, v9
	v_add_nc_u32_e32 v11, s11, v9
	v_add_co_u32 v50, vcc_lo, s2, v5
	v_add_co_ci_u32_e32 v51, vcc_lo, s3, v6, vcc_lo
	s_delay_alu instid0(VALU_DEP_4) | instskip(NEXT) | instid1(VALU_DEP_4)
	v_lshlrev_b64 v[5:6], 4, v[9:10]
	v_ashrrev_i32_e32 v12, 31, v11
	v_add_nc_u32_e32 v9, s11, v11
	v_add_co_u32 v52, vcc_lo, s2, v7
	v_add_co_ci_u32_e32 v53, vcc_lo, s3, v8, vcc_lo
	s_delay_alu instid0(VALU_DEP_4) | instskip(NEXT) | instid1(VALU_DEP_4)
	v_lshlrev_b64 v[7:8], 4, v[11:12]
	v_ashrrev_i32_e32 v10, 31, v9
	v_add_nc_u32_e32 v11, s11, v9
	v_add_co_u32 v54, vcc_lo, s2, v5
	v_add_co_ci_u32_e32 v55, vcc_lo, s3, v6, vcc_lo
	s_delay_alu instid0(VALU_DEP_4) | instskip(NEXT) | instid1(VALU_DEP_4)
	v_lshlrev_b64 v[5:6], 4, v[9:10]
	v_add_nc_u32_e32 v9, s11, v11
	v_ashrrev_i32_e32 v12, 31, v11
	v_add_co_u32 v56, vcc_lo, s2, v7
	v_add_co_ci_u32_e32 v57, vcc_lo, s3, v8, vcc_lo
	s_delay_alu instid0(VALU_DEP_4) | instskip(SKIP_3) | instid1(VALU_DEP_4)
	v_add_nc_u32_e32 v16, s11, v9
	v_ashrrev_i32_e32 v10, 31, v9
	v_lshlrev_b64 v[14:15], 4, v[11:12]
	v_add_co_u32 v58, vcc_lo, s2, v5
	v_add_nc_u32_e32 v20, s11, v16
	v_ashrrev_i32_e32 v17, 31, v16
	v_lshlrev_b64 v[18:19], 4, v[9:10]
	v_add_co_ci_u32_e32 v59, vcc_lo, s3, v6, vcc_lo
	s_delay_alu instid0(VALU_DEP_4) | instskip(SKIP_3) | instid1(VALU_DEP_4)
	v_add_nc_u32_e32 v28, s11, v20
	v_ashrrev_i32_e32 v21, 31, v20
	v_add_co_u32 v70, vcc_lo, s2, v14
	v_lshlrev_b64 v[26:27], 4, v[16:17]
	v_add_nc_u32_e32 v32, s11, v28
	v_ashrrev_i32_e32 v29, 31, v28
	v_add_co_ci_u32_e32 v71, vcc_lo, s3, v15, vcc_lo
	v_add_co_u32 v60, vcc_lo, s2, v18
	v_lshlrev_b64 v[30:31], 4, v[20:21]
	v_add_nc_u32_e32 v36, s11, v32
	s_clause 0x1
	global_load_b128 v[1:4], v13, s[2:3]
	global_load_b128 v[5:8], v[44:45], off
	v_add_co_ci_u32_e32 v61, vcc_lo, s3, v19, vcc_lo
	s_clause 0x2
	global_load_b128 v[9:12], v[46:47], off
	global_load_b128 v[14:17], v[48:49], off
	;; [unrolled: 1-line block ×3, first 2 shown]
	v_add_co_u32 v72, vcc_lo, s2, v26
	v_lshlrev_b64 v[34:35], 4, v[28:29]
	v_add_co_ci_u32_e32 v73, vcc_lo, s3, v27, vcc_lo
	v_ashrrev_i32_e32 v33, 31, v32
	v_add_co_u32 v62, vcc_lo, s2, v30
	v_ashrrev_i32_e32 v37, 31, v36
	v_add_co_ci_u32_e32 v63, vcc_lo, s3, v31, vcc_lo
	v_add_co_u32 v66, vcc_lo, s2, v34
	global_load_b128 v[22:25], v[52:53], off
	v_lshlrev_b64 v[38:39], 4, v[32:33]
	v_add_nc_u32_e32 v40, s11, v36
	s_clause 0x1
	global_load_b128 v[26:29], v[54:55], off
	global_load_b128 v[30:33], v[56:57], off
	v_add_co_ci_u32_e32 v67, vcc_lo, s3, v35, vcc_lo
	v_lshlrev_b64 v[68:69], 4, v[36:37]
	global_load_b128 v[34:37], v[58:59], off
	v_ashrrev_i32_e32 v41, 31, v40
	v_add_nc_u32_e32 v74, s11, v40
	v_add_co_u32 v64, vcc_lo, s2, v38
	v_add_co_ci_u32_e32 v65, vcc_lo, s3, v39, vcc_lo
	s_delay_alu instid0(VALU_DEP_4)
	v_lshlrev_b64 v[76:77], 4, v[40:41]
	s_clause 0x2
	global_load_b128 v[38:41], v[70:71], off
	global_load_b128 v[134:137], v[60:61], off
	;; [unrolled: 1-line block ×3, first 2 shown]
	v_add_nc_u32_e32 v78, s11, v74
	v_ashrrev_i32_e32 v75, 31, v74
	v_add_co_u32 v68, vcc_lo, s2, v68
	v_add_co_ci_u32_e32 v69, vcc_lo, s3, v69, vcc_lo
	s_delay_alu instid0(VALU_DEP_4) | instskip(NEXT) | instid1(VALU_DEP_4)
	v_add_nc_u32_e32 v82, s11, v78
	v_lshlrev_b64 v[80:81], 4, v[74:75]
	s_clause 0x1
	global_load_b128 v[142:145], v[62:63], off
	global_load_b128 v[146:149], v[66:67], off
	v_add_co_u32 v74, vcc_lo, s2, v76
	v_ashrrev_i32_e32 v83, 31, v82
	v_add_nc_u32_e32 v84, s11, v82
	v_add_co_ci_u32_e32 v75, vcc_lo, s3, v77, vcc_lo
	v_add_co_u32 v76, vcc_lo, s2, v80
	v_add_co_ci_u32_e32 v77, vcc_lo, s3, v81, vcc_lo
	v_lshlrev_b64 v[80:81], 4, v[82:83]
	v_add_nc_u32_e32 v82, s11, v84
	v_ashrrev_i32_e32 v79, 31, v78
	global_load_b128 v[150:153], v[64:65], off
	v_ashrrev_i32_e32 v85, 31, v84
	s_clause 0x1
	global_load_b128 v[157:160], v[68:69], off
	global_load_b128 v[161:164], v[74:75], off
	v_add_nc_u32_e32 v86, s11, v82
	v_lshlrev_b64 v[78:79], 4, v[78:79]
	v_ashrrev_i32_e32 v83, 31, v82
	v_lshlrev_b64 v[84:85], 4, v[84:85]
	global_load_b128 v[165:168], v[76:77], off
	v_add_nc_u32_e32 v90, s11, v86
	v_ashrrev_i32_e32 v87, 31, v86
	v_add_co_u32 v78, vcc_lo, s2, v78
	v_add_co_ci_u32_e32 v79, vcc_lo, s3, v79, vcc_lo
	s_delay_alu instid0(VALU_DEP_4)
	v_add_nc_u32_e32 v92, s11, v90
	v_add_co_u32 v80, vcc_lo, s2, v80
	v_lshlrev_b64 v[88:89], 4, v[82:83]
	v_add_co_ci_u32_e32 v81, vcc_lo, s3, v81, vcc_lo
	v_add_co_u32 v82, vcc_lo, s2, v84
	v_ashrrev_i32_e32 v91, 31, v90
	v_add_nc_u32_e32 v94, s11, v92
	v_add_co_ci_u32_e32 v83, vcc_lo, s3, v85, vcc_lo
	v_lshlrev_b64 v[86:87], 4, v[86:87]
	v_add_co_u32 v84, vcc_lo, s2, v88
	v_ashrrev_i32_e32 v93, 31, v92
	v_add_co_ci_u32_e32 v85, vcc_lo, s3, v89, vcc_lo
	v_lshlrev_b64 v[88:89], 4, v[90:91]
	v_ashrrev_i32_e32 v95, 31, v94
	v_add_co_u32 v86, vcc_lo, s2, v86
	v_lshlrev_b64 v[90:91], 4, v[92:93]
	v_add_co_ci_u32_e32 v87, vcc_lo, s3, v87, vcc_lo
	v_add_co_u32 v88, vcc_lo, s2, v88
	v_lshlrev_b64 v[92:93], 4, v[94:95]
	v_add_co_ci_u32_e32 v89, vcc_lo, s3, v89, vcc_lo
	v_add_co_u32 v90, vcc_lo, s2, v90
	s_clause 0x1
	global_load_b128 v[169:172], v[78:79], off
	global_load_b128 v[173:176], v[80:81], off
	v_add_co_ci_u32_e32 v91, vcc_lo, s3, v91, vcc_lo
	s_clause 0x2
	global_load_b128 v[177:180], v[82:83], off
	global_load_b128 v[181:184], v[84:85], off
	;; [unrolled: 1-line block ×3, first 2 shown]
	v_add_co_u32 v92, vcc_lo, s2, v92
	v_add_co_ci_u32_e32 v93, vcc_lo, s3, v93, vcc_lo
	s_clause 0x2
	global_load_b128 v[189:192], v[88:89], off
	global_load_b128 v[193:196], v[90:91], off
	;; [unrolled: 1-line block ×3, first 2 shown]
	v_add_nc_u32_e32 v96, s11, v94
	s_movk_i32 s4, 0x70
	s_movk_i32 s5, 0x80
	;; [unrolled: 1-line block ×4, first 2 shown]
	v_ashrrev_i32_e32 v97, 31, v96
	s_movk_i32 s10, 0xb0
	s_movk_i32 s29, 0x180
	;; [unrolled: 1-line block ×4, first 2 shown]
	v_lshlrev_b64 v[94:95], 4, v[96:97]
	v_add_nc_u32_e32 v96, s11, v96
	s_movk_i32 s33, 0x1b0
	s_movk_i32 s34, 0x1c0
	;; [unrolled: 1-line block ×4, first 2 shown]
	v_add_nc_u32_e32 v98, s11, v96
	v_ashrrev_i32_e32 v97, 31, v96
	v_add_co_u32 v94, vcc_lo, s2, v94
	v_add_co_ci_u32_e32 v95, vcc_lo, s3, v95, vcc_lo
	s_delay_alu instid0(VALU_DEP_4)
	v_add_nc_u32_e32 v100, s11, v98
	v_ashrrev_i32_e32 v99, 31, v98
	v_lshlrev_b64 v[96:97], 4, v[96:97]
	global_load_b128 v[201:204], v[94:95], off
	s_movk_i32 s37, 0x1f0
	v_add_nc_u32_e32 v102, s11, v100
	v_ashrrev_i32_e32 v101, 31, v100
	v_lshlrev_b64 v[98:99], 4, v[98:99]
	v_add_co_u32 v96, vcc_lo, s2, v96
	s_delay_alu instid0(VALU_DEP_4) | instskip(SKIP_3) | instid1(VALU_DEP_4)
	v_add_nc_u32_e32 v104, s11, v102
	v_ashrrev_i32_e32 v103, 31, v102
	v_lshlrev_b64 v[100:101], 4, v[100:101]
	v_add_co_ci_u32_e32 v97, vcc_lo, s3, v97, vcc_lo
	v_add_nc_u32_e32 v106, s11, v104
	v_ashrrev_i32_e32 v105, 31, v104
	v_add_co_u32 v98, vcc_lo, s2, v98
	v_lshlrev_b64 v[102:103], 4, v[102:103]
	s_delay_alu instid0(VALU_DEP_4) | instskip(SKIP_3) | instid1(VALU_DEP_4)
	v_add_nc_u32_e32 v108, s11, v106
	v_ashrrev_i32_e32 v107, 31, v106
	v_add_co_ci_u32_e32 v99, vcc_lo, s3, v99, vcc_lo
	v_add_co_u32 v100, vcc_lo, s2, v100
	v_add_nc_u32_e32 v110, s11, v108
	v_lshlrev_b64 v[104:105], 4, v[104:105]
	v_ashrrev_i32_e32 v109, 31, v108
	v_add_co_ci_u32_e32 v101, vcc_lo, s3, v101, vcc_lo
	s_delay_alu instid0(VALU_DEP_4) | instskip(SKIP_3) | instid1(VALU_DEP_4)
	v_add_nc_u32_e32 v112, s11, v110
	v_add_co_u32 v102, vcc_lo, s2, v102
	v_lshlrev_b64 v[106:107], 4, v[106:107]
	v_ashrrev_i32_e32 v111, 31, v110
	v_add_nc_u32_e32 v114, s11, v112
	v_add_co_ci_u32_e32 v103, vcc_lo, s3, v103, vcc_lo
	v_add_co_u32 v104, vcc_lo, s2, v104
	s_delay_alu instid0(VALU_DEP_3) | instskip(SKIP_3) | instid1(VALU_DEP_4)
	v_add_nc_u32_e32 v116, s11, v114
	v_lshlrev_b64 v[108:109], 4, v[108:109]
	v_ashrrev_i32_e32 v113, 31, v112
	v_add_co_ci_u32_e32 v105, vcc_lo, s3, v105, vcc_lo
	v_add_nc_u32_e32 v118, s11, v116
	v_add_co_u32 v106, vcc_lo, s2, v106
	v_lshlrev_b64 v[110:111], 4, v[110:111]
	v_ashrrev_i32_e32 v115, 31, v114
	s_delay_alu instid0(VALU_DEP_4) | instskip(SKIP_2) | instid1(VALU_DEP_3)
	v_add_nc_u32_e32 v120, s11, v118
	v_add_co_ci_u32_e32 v107, vcc_lo, s3, v107, vcc_lo
	v_add_co_u32 v108, vcc_lo, s2, v108
	v_add_nc_u32_e32 v122, s11, v120
	v_lshlrev_b64 v[112:113], 4, v[112:113]
	v_ashrrev_i32_e32 v117, 31, v116
	v_add_co_ci_u32_e32 v109, vcc_lo, s3, v109, vcc_lo
	v_add_co_u32 v110, vcc_lo, s2, v110
	v_lshlrev_b64 v[114:115], 4, v[114:115]
	v_add_nc_u32_e32 v124, s11, v122
	v_ashrrev_i32_e32 v119, 31, v118
	v_add_co_ci_u32_e32 v111, vcc_lo, s3, v111, vcc_lo
	v_add_co_u32 v112, vcc_lo, s2, v112
	v_lshlrev_b64 v[116:117], 4, v[116:117]
	v_ashrrev_i32_e32 v121, 31, v120
	v_add_co_ci_u32_e32 v113, vcc_lo, s3, v113, vcc_lo
	v_add_nc_u32_e32 v126, s11, v124
	v_add_co_u32 v114, vcc_lo, s2, v114
	v_lshlrev_b64 v[118:119], 4, v[118:119]
	v_ashrrev_i32_e32 v123, 31, v122
	v_add_co_ci_u32_e32 v115, vcc_lo, s3, v115, vcc_lo
	v_add_co_u32 v116, vcc_lo, s2, v116
	v_lshlrev_b64 v[120:121], 4, v[120:121]
	v_ashrrev_i32_e32 v125, 31, v124
	v_add_nc_u32_e32 v128, s11, v126
	v_add_co_ci_u32_e32 v117, vcc_lo, s3, v117, vcc_lo
	v_add_co_u32 v118, vcc_lo, s2, v118
	v_lshlrev_b64 v[122:123], 4, v[122:123]
	v_ashrrev_i32_e32 v127, 31, v126
	v_add_co_ci_u32_e32 v119, vcc_lo, s3, v119, vcc_lo
	v_add_co_u32 v120, vcc_lo, s2, v120
	v_lshlrev_b64 v[124:125], 4, v[124:125]
	v_add_nc_u32_e32 v130, s11, v128
	v_add_co_ci_u32_e32 v121, vcc_lo, s3, v121, vcc_lo
	v_ashrrev_i32_e32 v129, 31, v128
	v_add_co_u32 v122, vcc_lo, s2, v122
	v_lshlrev_b64 v[126:127], 4, v[126:127]
	v_add_co_ci_u32_e32 v123, vcc_lo, s3, v123, vcc_lo
	v_add_nc_u32_e32 v132, s11, v130
	s_clause 0x9
	global_load_b128 v[205:208], v[96:97], off
	global_load_b128 v[213:216], v[98:99], off
	;; [unrolled: 1-line block ×10, first 2 shown]
	v_add_co_u32 v124, vcc_lo, s2, v124
	v_add_co_ci_u32_e32 v125, vcc_lo, s3, v125, vcc_lo
	v_ashrrev_i32_e32 v131, 31, v130
	v_add_co_u32 v126, vcc_lo, s2, v126
	v_add_nc_u32_e32 v154, s11, v132
	v_add_co_ci_u32_e32 v127, vcc_lo, s3, v127, vcc_lo
	v_ashrrev_i32_e32 v133, 31, v132
	v_lshlrev_b64 v[130:131], 4, v[130:131]
	s_delay_alu instid0(VALU_DEP_4)
	v_ashrrev_i32_e32 v155, 31, v154
	s_movk_i32 s38, 0x200
	s_movk_i32 s39, 0x210
	;; [unrolled: 1-line block ×16, first 2 shown]
	s_waitcnt vmcnt(36)
	scratch_store_b128 off, v[1:4], off
	s_waitcnt vmcnt(35)
	scratch_store_b128 off, v[5:8], off offset:16
	s_clause 0x1
	global_load_b128 v[1:4], v[116:117], off
	global_load_b128 v[5:8], v[118:119], off
	s_movk_i32 s54, 0x300
	s_movk_i32 s55, 0x310
	s_waitcnt vmcnt(36)
	scratch_store_b128 off, v[9:12], off offset:32
	s_waitcnt vmcnt(35)
	scratch_store_b128 off, v[14:17], off offset:48
	;; [unrolled: 2-line block ×3, first 2 shown]
	v_lshlrev_b64 v[18:19], 4, v[128:129]
	s_clause 0x1
	global_load_b128 v[9:12], v[120:121], off
	global_load_b128 v[14:17], v[122:123], off
	s_movk_i32 s56, 0x320
	s_movk_i32 s57, 0x330
	;; [unrolled: 1-line block ×4, first 2 shown]
	v_add_co_u32 v128, vcc_lo, s2, v18
	v_add_co_ci_u32_e32 v129, vcc_lo, s3, v19, vcc_lo
	v_add_co_u32 v130, vcc_lo, s2, v130
	v_add_co_ci_u32_e32 v131, vcc_lo, s3, v131, vcc_lo
	s_waitcnt vmcnt(35)
	scratch_store_b128 off, v[22:25], off offset:80
	s_waitcnt vmcnt(34)
	scratch_store_b128 off, v[26:29], off offset:96
	;; [unrolled: 2-line block ×3, first 2 shown]
	s_clause 0x1
	global_load_b128 v[18:21], v[124:125], off
	global_load_b128 v[22:25], v[126:127], off
	v_lshlrev_b64 v[26:27], 4, v[132:133]
	s_movk_i32 s60, 0x360
	s_waitcnt vmcnt(34)
	scratch_store_b128 off, v[34:37], off offset:128
	v_add_nc_u32_e32 v34, s11, v154
	v_lshlrev_b64 v[36:37], 4, v[154:155]
	s_waitcnt vmcnt(33)
	scratch_store_b128 off, v[38:41], off offset:144
	s_waitcnt vmcnt(32)
	scratch_store_b128 off, v[134:137], off offset:160
	v_add_nc_u32_e32 v154, s11, v34
	v_add_co_u32 v132, vcc_lo, s2, v26
	v_add_co_ci_u32_e32 v133, vcc_lo, s3, v27, vcc_lo
	s_clause 0x1
	global_load_b128 v[26:29], v[128:129], off
	global_load_b128 v[30:33], v[130:131], off
	v_ashrrev_i32_e32 v155, 31, v154
	s_waitcnt vmcnt(33)
	scratch_store_b128 off, v[138:141], off offset:176
	v_add_nc_u32_e32 v138, s11, v154
	v_ashrrev_i32_e32 v35, 31, v34
	s_waitcnt vmcnt(32)
	scratch_store_b128 off, v[142:145], off offset:192
	s_waitcnt vmcnt(31)
	scratch_store_b128 off, v[146:149], off offset:208
	v_lshlrev_b64 v[140:141], 4, v[154:155]
	v_add_co_u32 v134, vcc_lo, s2, v36
	v_add_nc_u32_e32 v154, s11, v138
	v_lshlrev_b64 v[34:35], 4, v[34:35]
	v_ashrrev_i32_e32 v139, 31, v138
	v_add_co_ci_u32_e32 v135, vcc_lo, s3, v37, vcc_lo
	s_delay_alu instid0(VALU_DEP_4) | instskip(SKIP_3) | instid1(VALU_DEP_4)
	v_add_nc_u32_e32 v144, s11, v154
	v_ashrrev_i32_e32 v155, 31, v154
	v_add_co_u32 v136, vcc_lo, s2, v34
	v_lshlrev_b64 v[142:143], 4, v[138:139]
	v_add_nc_u32_e32 v148, s11, v144
	v_add_co_ci_u32_e32 v137, vcc_lo, s3, v35, vcc_lo
	v_add_co_u32 v138, vcc_lo, s2, v140
	v_lshlrev_b64 v[146:147], 4, v[154:155]
	v_add_co_ci_u32_e32 v139, vcc_lo, s3, v141, vcc_lo
	s_clause 0x1
	global_load_b128 v[34:37], v[132:133], off
	global_load_b128 v[38:41], v[134:135], off
	s_waitcnt vmcnt(32)
	scratch_store_b128 off, v[150:153], off offset:224
	v_add_co_u32 v140, vcc_lo, s2, v142
	v_ashrrev_i32_e32 v149, 31, v148
	v_add_nc_u32_e32 v150, s11, v148
	v_add_co_ci_u32_e32 v141, vcc_lo, s3, v143, vcc_lo
	v_ashrrev_i32_e32 v145, 31, v144
	v_add_co_u32 v142, vcc_lo, s2, v146
	v_add_co_ci_u32_e32 v143, vcc_lo, s3, v147, vcc_lo
	v_lshlrev_b64 v[146:147], 4, v[148:149]
	v_add_nc_u32_e32 v148, s11, v150
	v_lshlrev_b64 v[144:145], 4, v[144:145]
	v_ashrrev_i32_e32 v151, 31, v150
	s_waitcnt vmcnt(31)
	scratch_store_b128 off, v[157:160], off offset:240
	s_waitcnt vmcnt(30)
	scratch_store_b128 off, v[161:164], off offset:256
	s_clause 0x1
	global_load_b128 v[157:160], v[136:137], off
	global_load_b128 v[161:164], v[138:139], off
	v_add_nc_u32_e32 v152, s11, v148
	v_ashrrev_i32_e32 v149, 31, v148
	v_add_co_u32 v144, vcc_lo, s2, v144
	v_lshlrev_b64 v[150:151], 4, v[150:151]
	s_delay_alu instid0(VALU_DEP_4)
	v_add_nc_u32_e32 v209, s11, v152
	v_add_co_ci_u32_e32 v145, vcc_lo, s3, v145, vcc_lo
	v_add_co_u32 v146, vcc_lo, s2, v146
	v_lshlrev_b64 v[154:155], 4, v[148:149]
	v_ashrrev_i32_e32 v153, 31, v152
	v_add_co_ci_u32_e32 v147, vcc_lo, s3, v147, vcc_lo
	v_add_co_u32 v148, vcc_lo, s2, v150
	v_ashrrev_i32_e32 v210, 31, v209
	v_add_co_ci_u32_e32 v149, vcc_lo, s3, v151, vcc_lo
	v_lshlrev_b64 v[152:153], 4, v[152:153]
	v_add_co_u32 v150, vcc_lo, s2, v154
	v_add_co_ci_u32_e32 v151, vcc_lo, s3, v155, vcc_lo
	v_lshlrev_b64 v[154:155], 4, v[209:210]
	s_delay_alu instid0(VALU_DEP_4)
	v_add_co_u32 v152, vcc_lo, s2, v152
	v_add_co_ci_u32_e32 v153, vcc_lo, s3, v153, vcc_lo
	s_waitcnt vmcnt(31)
	scratch_store_b128 off, v[165:168], off offset:272
	s_waitcnt vmcnt(30)
	scratch_store_b128 off, v[169:172], off offset:288
	;; [unrolled: 2-line block ×3, first 2 shown]
	v_add_co_u32 v154, vcc_lo, s2, v154
	s_clause 0x1
	global_load_b128 v[249:252], v[140:141], off
	global_load_b128 v[165:168], v[142:143], off
	s_waitcnt vmcnt(30)
	scratch_store_b128 off, v[177:180], off offset:320
	s_waitcnt vmcnt(29)
	scratch_store_b128 off, v[181:184], off offset:336
	;; [unrolled: 2-line block ×3, first 2 shown]
	s_clause 0x1
	global_load_b128 v[169:172], v[144:145], off
	global_load_b128 v[173:176], v[146:147], off
	v_add_co_ci_u32_e32 v155, vcc_lo, s3, v155, vcc_lo
	s_waitcnt vmcnt(29)
	scratch_store_b128 off, v[189:192], off offset:368
	global_load_b128 v[177:180], v[148:149], off
	s_waitcnt vmcnt(29)
	scratch_store_b128 off, v[193:196], off offset:384
	s_waitcnt vmcnt(28)
	scratch_store_b128 off, v[197:200], off offset:400
	s_clause 0x2
	global_load_b128 v[181:184], v[150:151], off
	global_load_b128 v[185:188], v[152:153], off
	;; [unrolled: 1-line block ×3, first 2 shown]
	s_movk_i32 s2, 0x50
	s_movk_i32 s3, 0x60
	;; [unrolled: 1-line block ×5, first 2 shown]
	v_add_nc_u32_e64 v212, 0, 16
	v_add_nc_u32_e64 v211, 0, 32
	;; [unrolled: 1-line block ×5, first 2 shown]
	s_waitcnt vmcnt(30)
	scratch_store_b128 off, v[201:204], off offset:416
	v_add_nc_u32_e64 v204, s8, 0
	v_add_nc_u32_e64 v203, s9, 0
	;; [unrolled: 1-line block ×14, first 2 shown]
	s_bitcmp0_b32 s21, 0
	s_waitcnt vmcnt(29)
	scratch_store_b128 off, v[205:208], off offset:432
	s_waitcnt vmcnt(28)
	scratch_store_b128 off, v[213:216], off offset:448
	;; [unrolled: 2-line block ×3, first 2 shown]
	v_add_nc_u32_e64 v208, s2, 0
	v_add_nc_u32_e64 v207, s3, 0
	v_add_nc_u32_e64 v206, s4, 0
	v_add_nc_u32_e64 v205, s5, 0
	s_waitcnt vmcnt(26)
	scratch_store_b128 off, v[221:224], off offset:480
	s_waitcnt vmcnt(25)
	scratch_store_b128 off, v[225:228], off offset:496
	;; [unrolled: 2-line block ×4, first 2 shown]
	v_add_nc_u32_e64 v232, s29, 0
	v_add_nc_u32_e64 v231, s30, 0
	;; [unrolled: 1-line block ×5, first 2 shown]
	s_waitcnt vmcnt(22)
	scratch_store_b128 off, v[237:240], off offset:544
	s_waitcnt vmcnt(21)
	scratch_store_b128 off, v[241:244], off offset:560
	v_add_nc_u32_e64 v227, s35, 0
	v_add_nc_u32_e64 v226, s36, 0
	;; [unrolled: 1-line block ×8, first 2 shown]
	s_waitcnt vmcnt(20)
	scratch_store_b128 off, v[245:248], off offset:576
	v_add_nc_u32_e64 v219, s43, 0
	v_add_nc_u32_e64 v218, s44, 0
	;; [unrolled: 1-line block ×6, first 2 shown]
	s_mov_b32 s3, -1
	s_waitcnt vmcnt(19)
	scratch_store_b128 off, v[1:4], off offset:592
	s_waitcnt vmcnt(18)
	scratch_store_b128 off, v[5:8], off offset:608
	;; [unrolled: 2-line block ×17, first 2 shown]
	v_add_nc_u32_e64 v174, s49, 0
	v_add_nc_u32_e64 v173, s50, 0
	;; [unrolled: 1-line block ×14, first 2 shown]
	s_waitcnt vmcnt(2)
	scratch_store_b128 off, v[181:184], off offset:864
	s_waitcnt vmcnt(1)
	scratch_store_b128 off, v[185:188], off offset:880
	;; [unrolled: 2-line block ×3, first 2 shown]
	s_cbranch_scc1 .LBB56_240
; %bb.4:
	v_cmp_eq_u32_e64 s2, 0, v156
	s_delay_alu instid0(VALU_DEP_1)
	s_and_saveexec_b32 s3, s2
	s_cbranch_execz .LBB56_6
; %bb.5:
	v_mov_b32_e32 v1, 0
	ds_store_b32 v1, v1 offset:1824
.LBB56_6:
	s_or_b32 exec_lo, exec_lo, s3
	s_waitcnt lgkmcnt(0)
	s_waitcnt_vscnt null, 0x0
	s_barrier
	buffer_gl0_inv
	scratch_load_b128 v[1:4], v13, off
	s_waitcnt vmcnt(0)
	v_cmp_eq_f64_e32 vcc_lo, 0, v[1:2]
	v_cmp_eq_f64_e64 s3, 0, v[3:4]
	s_delay_alu instid0(VALU_DEP_1) | instskip(NEXT) | instid1(SALU_CYCLE_1)
	s_and_b32 s3, vcc_lo, s3
	s_and_saveexec_b32 s4, s3
	s_cbranch_execz .LBB56_10
; %bb.7:
	v_mov_b32_e32 v1, 0
	s_mov_b32 s5, 0
	ds_load_b32 v2, v1 offset:1824
	s_waitcnt lgkmcnt(0)
	v_readfirstlane_b32 s3, v2
	v_add_nc_u32_e32 v2, 1, v156
	s_delay_alu instid0(VALU_DEP_2) | instskip(NEXT) | instid1(VALU_DEP_1)
	s_cmp_eq_u32 s3, 0
	v_cmp_gt_i32_e32 vcc_lo, s3, v2
	s_cselect_b32 s8, -1, 0
	s_delay_alu instid0(SALU_CYCLE_1) | instskip(NEXT) | instid1(SALU_CYCLE_1)
	s_or_b32 s8, s8, vcc_lo
	s_and_b32 exec_lo, exec_lo, s8
	s_cbranch_execz .LBB56_10
; %bb.8:
	v_mov_b32_e32 v3, s3
.LBB56_9:                               ; =>This Inner Loop Header: Depth=1
	ds_cmpstore_rtn_b32 v3, v1, v2, v3 offset:1824
	s_waitcnt lgkmcnt(0)
	v_cmp_ne_u32_e32 vcc_lo, 0, v3
	v_cmp_le_i32_e64 s3, v3, v2
	s_delay_alu instid0(VALU_DEP_1) | instskip(NEXT) | instid1(SALU_CYCLE_1)
	s_and_b32 s3, vcc_lo, s3
	s_and_b32 s3, exec_lo, s3
	s_delay_alu instid0(SALU_CYCLE_1) | instskip(NEXT) | instid1(SALU_CYCLE_1)
	s_or_b32 s5, s3, s5
	s_and_not1_b32 exec_lo, exec_lo, s5
	s_cbranch_execnz .LBB56_9
.LBB56_10:
	s_or_b32 exec_lo, exec_lo, s4
	v_mov_b32_e32 v1, 0
	s_barrier
	buffer_gl0_inv
	ds_load_b32 v2, v1 offset:1824
	s_and_saveexec_b32 s3, s2
	s_cbranch_execz .LBB56_12
; %bb.11:
	s_lshl_b64 s[4:5], s[18:19], 2
	s_delay_alu instid0(SALU_CYCLE_1)
	s_add_u32 s4, s6, s4
	s_addc_u32 s5, s7, s5
	s_waitcnt lgkmcnt(0)
	global_store_b32 v1, v2, s[4:5]
.LBB56_12:
	s_or_b32 exec_lo, exec_lo, s3
	s_waitcnt lgkmcnt(0)
	v_cmp_ne_u32_e32 vcc_lo, 0, v2
	s_mov_b32 s3, 0
	s_cbranch_vccnz .LBB56_240
; %bb.13:
	v_add_nc_u32_e32 v14, 0, v13
                                        ; implicit-def: $vgpr9_vgpr10
	scratch_load_b128 v[1:4], v14, off
	s_waitcnt vmcnt(0)
	v_mov_b32_e32 v5, v1
	v_cmp_gt_f64_e32 vcc_lo, 0, v[1:2]
	v_xor_b32_e32 v6, 0x80000000, v2
	v_xor_b32_e32 v7, 0x80000000, v4
	s_delay_alu instid0(VALU_DEP_2) | instskip(SKIP_1) | instid1(VALU_DEP_3)
	v_cndmask_b32_e32 v6, v2, v6, vcc_lo
	v_cmp_gt_f64_e32 vcc_lo, 0, v[3:4]
	v_dual_cndmask_b32 v8, v4, v7 :: v_dual_mov_b32 v7, v3
	s_delay_alu instid0(VALU_DEP_1) | instskip(SKIP_1) | instid1(SALU_CYCLE_1)
	v_cmp_ngt_f64_e32 vcc_lo, v[5:6], v[7:8]
                                        ; implicit-def: $vgpr5_vgpr6
	s_and_saveexec_b32 s3, vcc_lo
	s_xor_b32 s3, exec_lo, s3
	s_cbranch_execz .LBB56_15
; %bb.14:
	v_div_scale_f64 v[5:6], null, v[3:4], v[3:4], v[1:2]
	v_div_scale_f64 v[11:12], vcc_lo, v[1:2], v[3:4], v[1:2]
	s_delay_alu instid0(VALU_DEP_2) | instskip(SKIP_2) | instid1(VALU_DEP_1)
	v_rcp_f64_e32 v[7:8], v[5:6]
	s_waitcnt_depctr 0xfff
	v_fma_f64 v[9:10], -v[5:6], v[7:8], 1.0
	v_fma_f64 v[7:8], v[7:8], v[9:10], v[7:8]
	s_delay_alu instid0(VALU_DEP_1) | instskip(NEXT) | instid1(VALU_DEP_1)
	v_fma_f64 v[9:10], -v[5:6], v[7:8], 1.0
	v_fma_f64 v[7:8], v[7:8], v[9:10], v[7:8]
	s_delay_alu instid0(VALU_DEP_1) | instskip(NEXT) | instid1(VALU_DEP_1)
	v_mul_f64 v[9:10], v[11:12], v[7:8]
	v_fma_f64 v[5:6], -v[5:6], v[9:10], v[11:12]
	s_delay_alu instid0(VALU_DEP_1) | instskip(NEXT) | instid1(VALU_DEP_1)
	v_div_fmas_f64 v[5:6], v[5:6], v[7:8], v[9:10]
	v_div_fixup_f64 v[5:6], v[5:6], v[3:4], v[1:2]
	s_delay_alu instid0(VALU_DEP_1) | instskip(NEXT) | instid1(VALU_DEP_1)
	v_fma_f64 v[1:2], v[1:2], v[5:6], v[3:4]
	v_div_scale_f64 v[3:4], null, v[1:2], v[1:2], 1.0
	v_div_scale_f64 v[11:12], vcc_lo, 1.0, v[1:2], 1.0
	s_delay_alu instid0(VALU_DEP_2) | instskip(SKIP_2) | instid1(VALU_DEP_1)
	v_rcp_f64_e32 v[7:8], v[3:4]
	s_waitcnt_depctr 0xfff
	v_fma_f64 v[9:10], -v[3:4], v[7:8], 1.0
	v_fma_f64 v[7:8], v[7:8], v[9:10], v[7:8]
	s_delay_alu instid0(VALU_DEP_1) | instskip(NEXT) | instid1(VALU_DEP_1)
	v_fma_f64 v[9:10], -v[3:4], v[7:8], 1.0
	v_fma_f64 v[7:8], v[7:8], v[9:10], v[7:8]
	s_delay_alu instid0(VALU_DEP_1) | instskip(NEXT) | instid1(VALU_DEP_1)
	v_mul_f64 v[9:10], v[11:12], v[7:8]
	v_fma_f64 v[3:4], -v[3:4], v[9:10], v[11:12]
	s_delay_alu instid0(VALU_DEP_1) | instskip(NEXT) | instid1(VALU_DEP_1)
	v_div_fmas_f64 v[3:4], v[3:4], v[7:8], v[9:10]
	v_div_fixup_f64 v[7:8], v[3:4], v[1:2], 1.0
                                        ; implicit-def: $vgpr1_vgpr2
	s_delay_alu instid0(VALU_DEP_1) | instskip(SKIP_1) | instid1(VALU_DEP_2)
	v_mul_f64 v[5:6], v[5:6], v[7:8]
	v_xor_b32_e32 v8, 0x80000000, v8
	v_xor_b32_e32 v10, 0x80000000, v6
	s_delay_alu instid0(VALU_DEP_3)
	v_mov_b32_e32 v9, v5
.LBB56_15:
	s_and_not1_saveexec_b32 s3, s3
	s_cbranch_execz .LBB56_17
; %bb.16:
	v_div_scale_f64 v[5:6], null, v[1:2], v[1:2], v[3:4]
	v_div_scale_f64 v[11:12], vcc_lo, v[3:4], v[1:2], v[3:4]
	s_delay_alu instid0(VALU_DEP_2) | instskip(SKIP_2) | instid1(VALU_DEP_1)
	v_rcp_f64_e32 v[7:8], v[5:6]
	s_waitcnt_depctr 0xfff
	v_fma_f64 v[9:10], -v[5:6], v[7:8], 1.0
	v_fma_f64 v[7:8], v[7:8], v[9:10], v[7:8]
	s_delay_alu instid0(VALU_DEP_1) | instskip(NEXT) | instid1(VALU_DEP_1)
	v_fma_f64 v[9:10], -v[5:6], v[7:8], 1.0
	v_fma_f64 v[7:8], v[7:8], v[9:10], v[7:8]
	s_delay_alu instid0(VALU_DEP_1) | instskip(NEXT) | instid1(VALU_DEP_1)
	v_mul_f64 v[9:10], v[11:12], v[7:8]
	v_fma_f64 v[5:6], -v[5:6], v[9:10], v[11:12]
	s_delay_alu instid0(VALU_DEP_1) | instskip(NEXT) | instid1(VALU_DEP_1)
	v_div_fmas_f64 v[5:6], v[5:6], v[7:8], v[9:10]
	v_div_fixup_f64 v[7:8], v[5:6], v[1:2], v[3:4]
	s_delay_alu instid0(VALU_DEP_1) | instskip(NEXT) | instid1(VALU_DEP_1)
	v_fma_f64 v[1:2], v[3:4], v[7:8], v[1:2]
	v_div_scale_f64 v[3:4], null, v[1:2], v[1:2], 1.0
	s_delay_alu instid0(VALU_DEP_1) | instskip(SKIP_2) | instid1(VALU_DEP_1)
	v_rcp_f64_e32 v[5:6], v[3:4]
	s_waitcnt_depctr 0xfff
	v_fma_f64 v[9:10], -v[3:4], v[5:6], 1.0
	v_fma_f64 v[5:6], v[5:6], v[9:10], v[5:6]
	s_delay_alu instid0(VALU_DEP_1) | instskip(NEXT) | instid1(VALU_DEP_1)
	v_fma_f64 v[9:10], -v[3:4], v[5:6], 1.0
	v_fma_f64 v[5:6], v[5:6], v[9:10], v[5:6]
	v_div_scale_f64 v[9:10], vcc_lo, 1.0, v[1:2], 1.0
	s_delay_alu instid0(VALU_DEP_1) | instskip(NEXT) | instid1(VALU_DEP_1)
	v_mul_f64 v[11:12], v[9:10], v[5:6]
	v_fma_f64 v[3:4], -v[3:4], v[11:12], v[9:10]
	s_delay_alu instid0(VALU_DEP_1) | instskip(NEXT) | instid1(VALU_DEP_1)
	v_div_fmas_f64 v[3:4], v[3:4], v[5:6], v[11:12]
	v_div_fixup_f64 v[5:6], v[3:4], v[1:2], 1.0
	s_delay_alu instid0(VALU_DEP_1)
	v_mul_f64 v[7:8], v[7:8], -v[5:6]
	v_xor_b32_e32 v10, 0x80000000, v6
	v_mov_b32_e32 v9, v5
.LBB56_17:
	s_or_b32 exec_lo, exec_lo, s3
	scratch_store_b128 v14, v[5:8], off
	scratch_load_b128 v[1:4], v212, off
	v_xor_b32_e32 v12, 0x80000000, v8
	v_mov_b32_e32 v11, v7
	v_add_nc_u32_e32 v5, 0x390, v13
	ds_store_b128 v13, v[9:12]
	s_waitcnt vmcnt(0)
	ds_store_b128 v13, v[1:4] offset:912
	s_waitcnt lgkmcnt(0)
	s_waitcnt_vscnt null, 0x0
	s_barrier
	buffer_gl0_inv
	s_and_saveexec_b32 s3, s2
	s_cbranch_execz .LBB56_19
; %bb.18:
	scratch_load_b128 v[1:4], v14, off
	ds_load_b128 v[6:9], v5
	v_mov_b32_e32 v10, 0
	ds_load_b128 v[15:18], v10 offset:16
	s_waitcnt vmcnt(0) lgkmcnt(1)
	v_mul_f64 v[10:11], v[6:7], v[3:4]
	v_mul_f64 v[3:4], v[8:9], v[3:4]
	s_delay_alu instid0(VALU_DEP_2) | instskip(NEXT) | instid1(VALU_DEP_2)
	v_fma_f64 v[8:9], v[8:9], v[1:2], v[10:11]
	v_fma_f64 v[1:2], v[6:7], v[1:2], -v[3:4]
	s_delay_alu instid0(VALU_DEP_2) | instskip(NEXT) | instid1(VALU_DEP_2)
	v_add_f64 v[3:4], v[8:9], 0
	v_add_f64 v[1:2], v[1:2], 0
	s_waitcnt lgkmcnt(0)
	s_delay_alu instid0(VALU_DEP_2) | instskip(NEXT) | instid1(VALU_DEP_2)
	v_mul_f64 v[6:7], v[3:4], v[17:18]
	v_mul_f64 v[8:9], v[1:2], v[17:18]
	s_delay_alu instid0(VALU_DEP_2) | instskip(NEXT) | instid1(VALU_DEP_2)
	v_fma_f64 v[1:2], v[1:2], v[15:16], -v[6:7]
	v_fma_f64 v[3:4], v[3:4], v[15:16], v[8:9]
	scratch_store_b128 off, v[1:4], off offset:16
.LBB56_19:
	s_or_b32 exec_lo, exec_lo, s3
	s_waitcnt_vscnt null, 0x0
	s_barrier
	buffer_gl0_inv
	scratch_load_b128 v[1:4], v211, off
	s_mov_b32 s3, exec_lo
	s_waitcnt vmcnt(0)
	ds_store_b128 v5, v[1:4]
	s_waitcnt lgkmcnt(0)
	s_barrier
	buffer_gl0_inv
	v_cmpx_gt_u32_e32 2, v156
	s_cbranch_execz .LBB56_23
; %bb.20:
	scratch_load_b128 v[1:4], v14, off
	ds_load_b128 v[6:9], v5
	s_waitcnt vmcnt(0) lgkmcnt(0)
	v_mul_f64 v[10:11], v[8:9], v[3:4]
	v_mul_f64 v[3:4], v[6:7], v[3:4]
	s_delay_alu instid0(VALU_DEP_2) | instskip(NEXT) | instid1(VALU_DEP_2)
	v_fma_f64 v[6:7], v[6:7], v[1:2], -v[10:11]
	v_fma_f64 v[3:4], v[8:9], v[1:2], v[3:4]
	s_delay_alu instid0(VALU_DEP_2) | instskip(NEXT) | instid1(VALU_DEP_2)
	v_add_f64 v[1:2], v[6:7], 0
	v_add_f64 v[3:4], v[3:4], 0
	s_and_saveexec_b32 s4, s2
	s_cbranch_execz .LBB56_22
; %bb.21:
	scratch_load_b128 v[6:9], off, off offset:16
	v_mov_b32_e32 v10, 0
	ds_load_b128 v[15:18], v10 offset:928
	s_waitcnt vmcnt(0) lgkmcnt(0)
	v_mul_f64 v[10:11], v[15:16], v[8:9]
	v_mul_f64 v[8:9], v[17:18], v[8:9]
	s_delay_alu instid0(VALU_DEP_2) | instskip(NEXT) | instid1(VALU_DEP_2)
	v_fma_f64 v[10:11], v[17:18], v[6:7], v[10:11]
	v_fma_f64 v[6:7], v[15:16], v[6:7], -v[8:9]
	s_delay_alu instid0(VALU_DEP_2) | instskip(NEXT) | instid1(VALU_DEP_2)
	v_add_f64 v[3:4], v[3:4], v[10:11]
	v_add_f64 v[1:2], v[1:2], v[6:7]
.LBB56_22:
	s_or_b32 exec_lo, exec_lo, s4
	v_mov_b32_e32 v6, 0
	ds_load_b128 v[6:9], v6 offset:32
	s_waitcnt lgkmcnt(0)
	v_mul_f64 v[10:11], v[3:4], v[8:9]
	v_mul_f64 v[8:9], v[1:2], v[8:9]
	s_delay_alu instid0(VALU_DEP_2) | instskip(NEXT) | instid1(VALU_DEP_2)
	v_fma_f64 v[1:2], v[1:2], v[6:7], -v[10:11]
	v_fma_f64 v[3:4], v[3:4], v[6:7], v[8:9]
	scratch_store_b128 off, v[1:4], off offset:32
.LBB56_23:
	s_or_b32 exec_lo, exec_lo, s3
	s_waitcnt_vscnt null, 0x0
	s_barrier
	buffer_gl0_inv
	scratch_load_b128 v[1:4], v210, off
	v_add_nc_u32_e32 v6, -1, v156
	s_mov_b32 s2, exec_lo
	s_waitcnt vmcnt(0)
	ds_store_b128 v5, v[1:4]
	s_waitcnt lgkmcnt(0)
	s_barrier
	buffer_gl0_inv
	v_cmpx_gt_u32_e32 3, v156
	s_cbranch_execz .LBB56_27
; %bb.24:
	v_dual_mov_b32 v1, 0 :: v_dual_add_nc_u32 v8, 0x390, v13
	v_dual_mov_b32 v2, 0 :: v_dual_add_nc_u32 v7, -1, v156
	v_or_b32_e32 v9, 8, v14
	s_mov_b32 s3, 0
	s_delay_alu instid0(VALU_DEP_2)
	v_dual_mov_b32 v4, v2 :: v_dual_mov_b32 v3, v1
	.p2align	6
.LBB56_25:                              ; =>This Inner Loop Header: Depth=1
	scratch_load_b128 v[15:18], v9, off offset:-8
	ds_load_b128 v[19:22], v8
	v_add_nc_u32_e32 v7, 1, v7
	v_add_nc_u32_e32 v8, 16, v8
	;; [unrolled: 1-line block ×3, first 2 shown]
	s_delay_alu instid0(VALU_DEP_3) | instskip(SKIP_4) | instid1(VALU_DEP_2)
	v_cmp_lt_u32_e32 vcc_lo, 1, v7
	s_or_b32 s3, vcc_lo, s3
	s_waitcnt vmcnt(0) lgkmcnt(0)
	v_mul_f64 v[10:11], v[21:22], v[17:18]
	v_mul_f64 v[17:18], v[19:20], v[17:18]
	v_fma_f64 v[10:11], v[19:20], v[15:16], -v[10:11]
	s_delay_alu instid0(VALU_DEP_2) | instskip(NEXT) | instid1(VALU_DEP_2)
	v_fma_f64 v[15:16], v[21:22], v[15:16], v[17:18]
	v_add_f64 v[3:4], v[3:4], v[10:11]
	s_delay_alu instid0(VALU_DEP_2)
	v_add_f64 v[1:2], v[1:2], v[15:16]
	s_and_not1_b32 exec_lo, exec_lo, s3
	s_cbranch_execnz .LBB56_25
; %bb.26:
	s_or_b32 exec_lo, exec_lo, s3
	v_mov_b32_e32 v7, 0
	ds_load_b128 v[7:10], v7 offset:48
	s_waitcnt lgkmcnt(0)
	v_mul_f64 v[11:12], v[1:2], v[9:10]
	v_mul_f64 v[15:16], v[3:4], v[9:10]
	s_delay_alu instid0(VALU_DEP_2) | instskip(NEXT) | instid1(VALU_DEP_2)
	v_fma_f64 v[9:10], v[3:4], v[7:8], -v[11:12]
	v_fma_f64 v[11:12], v[1:2], v[7:8], v[15:16]
	scratch_store_b128 off, v[9:12], off offset:48
.LBB56_27:
	s_or_b32 exec_lo, exec_lo, s2
	s_waitcnt_vscnt null, 0x0
	s_barrier
	buffer_gl0_inv
	scratch_load_b128 v[1:4], v209, off
	s_mov_b32 s2, exec_lo
	s_waitcnt vmcnt(0)
	ds_store_b128 v5, v[1:4]
	s_waitcnt lgkmcnt(0)
	s_barrier
	buffer_gl0_inv
	v_cmpx_gt_u32_e32 4, v156
	s_cbranch_execz .LBB56_31
; %bb.28:
	v_dual_mov_b32 v1, 0 :: v_dual_add_nc_u32 v8, 0x390, v13
	v_dual_mov_b32 v2, 0 :: v_dual_add_nc_u32 v7, -1, v156
	v_or_b32_e32 v9, 8, v14
	s_mov_b32 s3, 0
	s_delay_alu instid0(VALU_DEP_2)
	v_dual_mov_b32 v4, v2 :: v_dual_mov_b32 v3, v1
	.p2align	6
.LBB56_29:                              ; =>This Inner Loop Header: Depth=1
	scratch_load_b128 v[15:18], v9, off offset:-8
	ds_load_b128 v[19:22], v8
	v_add_nc_u32_e32 v7, 1, v7
	v_add_nc_u32_e32 v8, 16, v8
	;; [unrolled: 1-line block ×3, first 2 shown]
	s_delay_alu instid0(VALU_DEP_3) | instskip(SKIP_4) | instid1(VALU_DEP_2)
	v_cmp_lt_u32_e32 vcc_lo, 2, v7
	s_or_b32 s3, vcc_lo, s3
	s_waitcnt vmcnt(0) lgkmcnt(0)
	v_mul_f64 v[10:11], v[21:22], v[17:18]
	v_mul_f64 v[17:18], v[19:20], v[17:18]
	v_fma_f64 v[10:11], v[19:20], v[15:16], -v[10:11]
	s_delay_alu instid0(VALU_DEP_2) | instskip(NEXT) | instid1(VALU_DEP_2)
	v_fma_f64 v[15:16], v[21:22], v[15:16], v[17:18]
	v_add_f64 v[3:4], v[3:4], v[10:11]
	s_delay_alu instid0(VALU_DEP_2)
	v_add_f64 v[1:2], v[1:2], v[15:16]
	s_and_not1_b32 exec_lo, exec_lo, s3
	s_cbranch_execnz .LBB56_29
; %bb.30:
	s_or_b32 exec_lo, exec_lo, s3
	v_mov_b32_e32 v7, 0
	ds_load_b128 v[7:10], v7 offset:64
	s_waitcnt lgkmcnt(0)
	v_mul_f64 v[11:12], v[1:2], v[9:10]
	v_mul_f64 v[15:16], v[3:4], v[9:10]
	s_delay_alu instid0(VALU_DEP_2) | instskip(NEXT) | instid1(VALU_DEP_2)
	v_fma_f64 v[9:10], v[3:4], v[7:8], -v[11:12]
	v_fma_f64 v[11:12], v[1:2], v[7:8], v[15:16]
	scratch_store_b128 off, v[9:12], off offset:64
.LBB56_31:
	s_or_b32 exec_lo, exec_lo, s2
	s_waitcnt_vscnt null, 0x0
	s_barrier
	buffer_gl0_inv
	scratch_load_b128 v[1:4], v208, off
	s_mov_b32 s2, exec_lo
	s_waitcnt vmcnt(0)
	ds_store_b128 v5, v[1:4]
	s_waitcnt lgkmcnt(0)
	s_barrier
	buffer_gl0_inv
	v_cmpx_gt_u32_e32 5, v156
	s_cbranch_execz .LBB56_35
; %bb.32:
	v_dual_mov_b32 v1, 0 :: v_dual_add_nc_u32 v8, 0x390, v13
	v_dual_mov_b32 v2, 0 :: v_dual_add_nc_u32 v7, -1, v156
	v_or_b32_e32 v9, 8, v14
	s_mov_b32 s3, 0
	s_delay_alu instid0(VALU_DEP_2)
	v_dual_mov_b32 v4, v2 :: v_dual_mov_b32 v3, v1
	.p2align	6
.LBB56_33:                              ; =>This Inner Loop Header: Depth=1
	scratch_load_b128 v[15:18], v9, off offset:-8
	ds_load_b128 v[19:22], v8
	v_add_nc_u32_e32 v7, 1, v7
	v_add_nc_u32_e32 v8, 16, v8
	;; [unrolled: 1-line block ×3, first 2 shown]
	s_delay_alu instid0(VALU_DEP_3) | instskip(SKIP_4) | instid1(VALU_DEP_2)
	v_cmp_lt_u32_e32 vcc_lo, 3, v7
	s_or_b32 s3, vcc_lo, s3
	s_waitcnt vmcnt(0) lgkmcnt(0)
	v_mul_f64 v[10:11], v[21:22], v[17:18]
	v_mul_f64 v[17:18], v[19:20], v[17:18]
	v_fma_f64 v[10:11], v[19:20], v[15:16], -v[10:11]
	s_delay_alu instid0(VALU_DEP_2) | instskip(NEXT) | instid1(VALU_DEP_2)
	v_fma_f64 v[15:16], v[21:22], v[15:16], v[17:18]
	v_add_f64 v[3:4], v[3:4], v[10:11]
	s_delay_alu instid0(VALU_DEP_2)
	v_add_f64 v[1:2], v[1:2], v[15:16]
	s_and_not1_b32 exec_lo, exec_lo, s3
	s_cbranch_execnz .LBB56_33
; %bb.34:
	s_or_b32 exec_lo, exec_lo, s3
	v_mov_b32_e32 v7, 0
	ds_load_b128 v[7:10], v7 offset:80
	s_waitcnt lgkmcnt(0)
	v_mul_f64 v[11:12], v[1:2], v[9:10]
	v_mul_f64 v[15:16], v[3:4], v[9:10]
	s_delay_alu instid0(VALU_DEP_2) | instskip(NEXT) | instid1(VALU_DEP_2)
	v_fma_f64 v[9:10], v[3:4], v[7:8], -v[11:12]
	v_fma_f64 v[11:12], v[1:2], v[7:8], v[15:16]
	scratch_store_b128 off, v[9:12], off offset:80
.LBB56_35:
	s_or_b32 exec_lo, exec_lo, s2
	s_waitcnt_vscnt null, 0x0
	s_barrier
	buffer_gl0_inv
	scratch_load_b128 v[1:4], v207, off
	s_mov_b32 s2, exec_lo
	s_waitcnt vmcnt(0)
	ds_store_b128 v5, v[1:4]
	s_waitcnt lgkmcnt(0)
	s_barrier
	buffer_gl0_inv
	v_cmpx_gt_u32_e32 6, v156
	s_cbranch_execz .LBB56_39
; %bb.36:
	v_dual_mov_b32 v1, 0 :: v_dual_add_nc_u32 v8, 0x390, v13
	v_dual_mov_b32 v2, 0 :: v_dual_add_nc_u32 v7, -1, v156
	v_or_b32_e32 v9, 8, v14
	s_mov_b32 s3, 0
	s_delay_alu instid0(VALU_DEP_2)
	v_dual_mov_b32 v4, v2 :: v_dual_mov_b32 v3, v1
	.p2align	6
.LBB56_37:                              ; =>This Inner Loop Header: Depth=1
	scratch_load_b128 v[15:18], v9, off offset:-8
	ds_load_b128 v[19:22], v8
	v_add_nc_u32_e32 v7, 1, v7
	v_add_nc_u32_e32 v8, 16, v8
	;; [unrolled: 1-line block ×3, first 2 shown]
	s_delay_alu instid0(VALU_DEP_3) | instskip(SKIP_4) | instid1(VALU_DEP_2)
	v_cmp_lt_u32_e32 vcc_lo, 4, v7
	s_or_b32 s3, vcc_lo, s3
	s_waitcnt vmcnt(0) lgkmcnt(0)
	v_mul_f64 v[10:11], v[21:22], v[17:18]
	v_mul_f64 v[17:18], v[19:20], v[17:18]
	v_fma_f64 v[10:11], v[19:20], v[15:16], -v[10:11]
	s_delay_alu instid0(VALU_DEP_2) | instskip(NEXT) | instid1(VALU_DEP_2)
	v_fma_f64 v[15:16], v[21:22], v[15:16], v[17:18]
	v_add_f64 v[3:4], v[3:4], v[10:11]
	s_delay_alu instid0(VALU_DEP_2)
	v_add_f64 v[1:2], v[1:2], v[15:16]
	s_and_not1_b32 exec_lo, exec_lo, s3
	s_cbranch_execnz .LBB56_37
; %bb.38:
	s_or_b32 exec_lo, exec_lo, s3
	v_mov_b32_e32 v7, 0
	ds_load_b128 v[7:10], v7 offset:96
	s_waitcnt lgkmcnt(0)
	v_mul_f64 v[11:12], v[1:2], v[9:10]
	v_mul_f64 v[15:16], v[3:4], v[9:10]
	s_delay_alu instid0(VALU_DEP_2) | instskip(NEXT) | instid1(VALU_DEP_2)
	v_fma_f64 v[9:10], v[3:4], v[7:8], -v[11:12]
	v_fma_f64 v[11:12], v[1:2], v[7:8], v[15:16]
	scratch_store_b128 off, v[9:12], off offset:96
.LBB56_39:
	s_or_b32 exec_lo, exec_lo, s2
	s_waitcnt_vscnt null, 0x0
	s_barrier
	buffer_gl0_inv
	scratch_load_b128 v[1:4], v206, off
	s_mov_b32 s2, exec_lo
	s_waitcnt vmcnt(0)
	ds_store_b128 v5, v[1:4]
	s_waitcnt lgkmcnt(0)
	s_barrier
	buffer_gl0_inv
	v_cmpx_gt_u32_e32 7, v156
	s_cbranch_execz .LBB56_43
; %bb.40:
	v_dual_mov_b32 v1, 0 :: v_dual_add_nc_u32 v8, 0x390, v13
	v_dual_mov_b32 v2, 0 :: v_dual_add_nc_u32 v7, -1, v156
	v_or_b32_e32 v9, 8, v14
	s_mov_b32 s3, 0
	s_delay_alu instid0(VALU_DEP_2)
	v_dual_mov_b32 v4, v2 :: v_dual_mov_b32 v3, v1
	.p2align	6
.LBB56_41:                              ; =>This Inner Loop Header: Depth=1
	scratch_load_b128 v[15:18], v9, off offset:-8
	ds_load_b128 v[19:22], v8
	v_add_nc_u32_e32 v7, 1, v7
	v_add_nc_u32_e32 v8, 16, v8
	v_add_nc_u32_e32 v9, 16, v9
	s_delay_alu instid0(VALU_DEP_3) | instskip(SKIP_4) | instid1(VALU_DEP_2)
	v_cmp_lt_u32_e32 vcc_lo, 5, v7
	s_or_b32 s3, vcc_lo, s3
	s_waitcnt vmcnt(0) lgkmcnt(0)
	v_mul_f64 v[10:11], v[21:22], v[17:18]
	v_mul_f64 v[17:18], v[19:20], v[17:18]
	v_fma_f64 v[10:11], v[19:20], v[15:16], -v[10:11]
	s_delay_alu instid0(VALU_DEP_2) | instskip(NEXT) | instid1(VALU_DEP_2)
	v_fma_f64 v[15:16], v[21:22], v[15:16], v[17:18]
	v_add_f64 v[3:4], v[3:4], v[10:11]
	s_delay_alu instid0(VALU_DEP_2)
	v_add_f64 v[1:2], v[1:2], v[15:16]
	s_and_not1_b32 exec_lo, exec_lo, s3
	s_cbranch_execnz .LBB56_41
; %bb.42:
	s_or_b32 exec_lo, exec_lo, s3
	v_mov_b32_e32 v7, 0
	ds_load_b128 v[7:10], v7 offset:112
	s_waitcnt lgkmcnt(0)
	v_mul_f64 v[11:12], v[1:2], v[9:10]
	v_mul_f64 v[15:16], v[3:4], v[9:10]
	s_delay_alu instid0(VALU_DEP_2) | instskip(NEXT) | instid1(VALU_DEP_2)
	v_fma_f64 v[9:10], v[3:4], v[7:8], -v[11:12]
	v_fma_f64 v[11:12], v[1:2], v[7:8], v[15:16]
	scratch_store_b128 off, v[9:12], off offset:112
.LBB56_43:
	s_or_b32 exec_lo, exec_lo, s2
	s_waitcnt_vscnt null, 0x0
	s_barrier
	buffer_gl0_inv
	scratch_load_b128 v[1:4], v205, off
	s_mov_b32 s2, exec_lo
	s_waitcnt vmcnt(0)
	ds_store_b128 v5, v[1:4]
	s_waitcnt lgkmcnt(0)
	s_barrier
	buffer_gl0_inv
	v_cmpx_gt_u32_e32 8, v156
	s_cbranch_execz .LBB56_47
; %bb.44:
	v_dual_mov_b32 v1, 0 :: v_dual_add_nc_u32 v8, 0x390, v13
	v_dual_mov_b32 v2, 0 :: v_dual_add_nc_u32 v7, -1, v156
	v_or_b32_e32 v9, 8, v14
	s_mov_b32 s3, 0
	s_delay_alu instid0(VALU_DEP_2)
	v_dual_mov_b32 v4, v2 :: v_dual_mov_b32 v3, v1
	.p2align	6
.LBB56_45:                              ; =>This Inner Loop Header: Depth=1
	scratch_load_b128 v[15:18], v9, off offset:-8
	ds_load_b128 v[19:22], v8
	v_add_nc_u32_e32 v7, 1, v7
	v_add_nc_u32_e32 v8, 16, v8
	;; [unrolled: 1-line block ×3, first 2 shown]
	s_delay_alu instid0(VALU_DEP_3) | instskip(SKIP_4) | instid1(VALU_DEP_2)
	v_cmp_lt_u32_e32 vcc_lo, 6, v7
	s_or_b32 s3, vcc_lo, s3
	s_waitcnt vmcnt(0) lgkmcnt(0)
	v_mul_f64 v[10:11], v[21:22], v[17:18]
	v_mul_f64 v[17:18], v[19:20], v[17:18]
	v_fma_f64 v[10:11], v[19:20], v[15:16], -v[10:11]
	s_delay_alu instid0(VALU_DEP_2) | instskip(NEXT) | instid1(VALU_DEP_2)
	v_fma_f64 v[15:16], v[21:22], v[15:16], v[17:18]
	v_add_f64 v[3:4], v[3:4], v[10:11]
	s_delay_alu instid0(VALU_DEP_2)
	v_add_f64 v[1:2], v[1:2], v[15:16]
	s_and_not1_b32 exec_lo, exec_lo, s3
	s_cbranch_execnz .LBB56_45
; %bb.46:
	s_or_b32 exec_lo, exec_lo, s3
	v_mov_b32_e32 v7, 0
	ds_load_b128 v[7:10], v7 offset:128
	s_waitcnt lgkmcnt(0)
	v_mul_f64 v[11:12], v[1:2], v[9:10]
	v_mul_f64 v[15:16], v[3:4], v[9:10]
	s_delay_alu instid0(VALU_DEP_2) | instskip(NEXT) | instid1(VALU_DEP_2)
	v_fma_f64 v[9:10], v[3:4], v[7:8], -v[11:12]
	v_fma_f64 v[11:12], v[1:2], v[7:8], v[15:16]
	scratch_store_b128 off, v[9:12], off offset:128
.LBB56_47:
	s_or_b32 exec_lo, exec_lo, s2
	s_waitcnt_vscnt null, 0x0
	s_barrier
	buffer_gl0_inv
	scratch_load_b128 v[1:4], v204, off
	s_mov_b32 s2, exec_lo
	s_waitcnt vmcnt(0)
	ds_store_b128 v5, v[1:4]
	s_waitcnt lgkmcnt(0)
	s_barrier
	buffer_gl0_inv
	v_cmpx_gt_u32_e32 9, v156
	s_cbranch_execz .LBB56_51
; %bb.48:
	v_dual_mov_b32 v1, 0 :: v_dual_add_nc_u32 v8, 0x390, v13
	v_dual_mov_b32 v2, 0 :: v_dual_add_nc_u32 v7, -1, v156
	v_or_b32_e32 v9, 8, v14
	s_mov_b32 s3, 0
	s_delay_alu instid0(VALU_DEP_2)
	v_dual_mov_b32 v4, v2 :: v_dual_mov_b32 v3, v1
	.p2align	6
.LBB56_49:                              ; =>This Inner Loop Header: Depth=1
	scratch_load_b128 v[15:18], v9, off offset:-8
	ds_load_b128 v[19:22], v8
	v_add_nc_u32_e32 v7, 1, v7
	v_add_nc_u32_e32 v8, 16, v8
	;; [unrolled: 1-line block ×3, first 2 shown]
	s_delay_alu instid0(VALU_DEP_3) | instskip(SKIP_4) | instid1(VALU_DEP_2)
	v_cmp_lt_u32_e32 vcc_lo, 7, v7
	s_or_b32 s3, vcc_lo, s3
	s_waitcnt vmcnt(0) lgkmcnt(0)
	v_mul_f64 v[10:11], v[21:22], v[17:18]
	v_mul_f64 v[17:18], v[19:20], v[17:18]
	v_fma_f64 v[10:11], v[19:20], v[15:16], -v[10:11]
	s_delay_alu instid0(VALU_DEP_2) | instskip(NEXT) | instid1(VALU_DEP_2)
	v_fma_f64 v[15:16], v[21:22], v[15:16], v[17:18]
	v_add_f64 v[3:4], v[3:4], v[10:11]
	s_delay_alu instid0(VALU_DEP_2)
	v_add_f64 v[1:2], v[1:2], v[15:16]
	s_and_not1_b32 exec_lo, exec_lo, s3
	s_cbranch_execnz .LBB56_49
; %bb.50:
	s_or_b32 exec_lo, exec_lo, s3
	v_mov_b32_e32 v7, 0
	ds_load_b128 v[7:10], v7 offset:144
	s_waitcnt lgkmcnt(0)
	v_mul_f64 v[11:12], v[1:2], v[9:10]
	v_mul_f64 v[15:16], v[3:4], v[9:10]
	s_delay_alu instid0(VALU_DEP_2) | instskip(NEXT) | instid1(VALU_DEP_2)
	v_fma_f64 v[9:10], v[3:4], v[7:8], -v[11:12]
	v_fma_f64 v[11:12], v[1:2], v[7:8], v[15:16]
	scratch_store_b128 off, v[9:12], off offset:144
.LBB56_51:
	s_or_b32 exec_lo, exec_lo, s2
	s_waitcnt_vscnt null, 0x0
	s_barrier
	buffer_gl0_inv
	scratch_load_b128 v[1:4], v203, off
	s_mov_b32 s2, exec_lo
	s_waitcnt vmcnt(0)
	ds_store_b128 v5, v[1:4]
	s_waitcnt lgkmcnt(0)
	s_barrier
	buffer_gl0_inv
	v_cmpx_gt_u32_e32 10, v156
	s_cbranch_execz .LBB56_55
; %bb.52:
	v_dual_mov_b32 v1, 0 :: v_dual_add_nc_u32 v8, 0x390, v13
	v_dual_mov_b32 v2, 0 :: v_dual_add_nc_u32 v7, -1, v156
	v_or_b32_e32 v9, 8, v14
	s_mov_b32 s3, 0
	s_delay_alu instid0(VALU_DEP_2)
	v_dual_mov_b32 v4, v2 :: v_dual_mov_b32 v3, v1
	.p2align	6
.LBB56_53:                              ; =>This Inner Loop Header: Depth=1
	scratch_load_b128 v[15:18], v9, off offset:-8
	ds_load_b128 v[19:22], v8
	v_add_nc_u32_e32 v7, 1, v7
	v_add_nc_u32_e32 v8, 16, v8
	v_add_nc_u32_e32 v9, 16, v9
	s_delay_alu instid0(VALU_DEP_3) | instskip(SKIP_4) | instid1(VALU_DEP_2)
	v_cmp_lt_u32_e32 vcc_lo, 8, v7
	s_or_b32 s3, vcc_lo, s3
	s_waitcnt vmcnt(0) lgkmcnt(0)
	v_mul_f64 v[10:11], v[21:22], v[17:18]
	v_mul_f64 v[17:18], v[19:20], v[17:18]
	v_fma_f64 v[10:11], v[19:20], v[15:16], -v[10:11]
	s_delay_alu instid0(VALU_DEP_2) | instskip(NEXT) | instid1(VALU_DEP_2)
	v_fma_f64 v[15:16], v[21:22], v[15:16], v[17:18]
	v_add_f64 v[3:4], v[3:4], v[10:11]
	s_delay_alu instid0(VALU_DEP_2)
	v_add_f64 v[1:2], v[1:2], v[15:16]
	s_and_not1_b32 exec_lo, exec_lo, s3
	s_cbranch_execnz .LBB56_53
; %bb.54:
	s_or_b32 exec_lo, exec_lo, s3
	v_mov_b32_e32 v7, 0
	ds_load_b128 v[7:10], v7 offset:160
	s_waitcnt lgkmcnt(0)
	v_mul_f64 v[11:12], v[1:2], v[9:10]
	v_mul_f64 v[15:16], v[3:4], v[9:10]
	s_delay_alu instid0(VALU_DEP_2) | instskip(NEXT) | instid1(VALU_DEP_2)
	v_fma_f64 v[9:10], v[3:4], v[7:8], -v[11:12]
	v_fma_f64 v[11:12], v[1:2], v[7:8], v[15:16]
	scratch_store_b128 off, v[9:12], off offset:160
.LBB56_55:
	s_or_b32 exec_lo, exec_lo, s2
	s_waitcnt_vscnt null, 0x0
	s_barrier
	buffer_gl0_inv
	scratch_load_b128 v[1:4], v202, off
	s_mov_b32 s2, exec_lo
	s_waitcnt vmcnt(0)
	ds_store_b128 v5, v[1:4]
	s_waitcnt lgkmcnt(0)
	s_barrier
	buffer_gl0_inv
	v_cmpx_gt_u32_e32 11, v156
	s_cbranch_execz .LBB56_59
; %bb.56:
	v_dual_mov_b32 v1, 0 :: v_dual_add_nc_u32 v8, 0x390, v13
	v_dual_mov_b32 v2, 0 :: v_dual_add_nc_u32 v7, -1, v156
	v_or_b32_e32 v9, 8, v14
	s_mov_b32 s3, 0
	s_delay_alu instid0(VALU_DEP_2)
	v_dual_mov_b32 v4, v2 :: v_dual_mov_b32 v3, v1
	.p2align	6
.LBB56_57:                              ; =>This Inner Loop Header: Depth=1
	scratch_load_b128 v[15:18], v9, off offset:-8
	ds_load_b128 v[19:22], v8
	v_add_nc_u32_e32 v7, 1, v7
	v_add_nc_u32_e32 v8, 16, v8
	;; [unrolled: 1-line block ×3, first 2 shown]
	s_delay_alu instid0(VALU_DEP_3) | instskip(SKIP_4) | instid1(VALU_DEP_2)
	v_cmp_lt_u32_e32 vcc_lo, 9, v7
	s_or_b32 s3, vcc_lo, s3
	s_waitcnt vmcnt(0) lgkmcnt(0)
	v_mul_f64 v[10:11], v[21:22], v[17:18]
	v_mul_f64 v[17:18], v[19:20], v[17:18]
	v_fma_f64 v[10:11], v[19:20], v[15:16], -v[10:11]
	s_delay_alu instid0(VALU_DEP_2) | instskip(NEXT) | instid1(VALU_DEP_2)
	v_fma_f64 v[15:16], v[21:22], v[15:16], v[17:18]
	v_add_f64 v[3:4], v[3:4], v[10:11]
	s_delay_alu instid0(VALU_DEP_2)
	v_add_f64 v[1:2], v[1:2], v[15:16]
	s_and_not1_b32 exec_lo, exec_lo, s3
	s_cbranch_execnz .LBB56_57
; %bb.58:
	s_or_b32 exec_lo, exec_lo, s3
	v_mov_b32_e32 v7, 0
	ds_load_b128 v[7:10], v7 offset:176
	s_waitcnt lgkmcnt(0)
	v_mul_f64 v[11:12], v[1:2], v[9:10]
	v_mul_f64 v[15:16], v[3:4], v[9:10]
	s_delay_alu instid0(VALU_DEP_2) | instskip(NEXT) | instid1(VALU_DEP_2)
	v_fma_f64 v[9:10], v[3:4], v[7:8], -v[11:12]
	v_fma_f64 v[11:12], v[1:2], v[7:8], v[15:16]
	scratch_store_b128 off, v[9:12], off offset:176
.LBB56_59:
	s_or_b32 exec_lo, exec_lo, s2
	s_waitcnt_vscnt null, 0x0
	s_barrier
	buffer_gl0_inv
	scratch_load_b128 v[1:4], v201, off
	s_mov_b32 s2, exec_lo
	s_waitcnt vmcnt(0)
	ds_store_b128 v5, v[1:4]
	s_waitcnt lgkmcnt(0)
	s_barrier
	buffer_gl0_inv
	v_cmpx_gt_u32_e32 12, v156
	s_cbranch_execz .LBB56_63
; %bb.60:
	v_dual_mov_b32 v1, 0 :: v_dual_add_nc_u32 v8, 0x390, v13
	v_dual_mov_b32 v2, 0 :: v_dual_add_nc_u32 v7, -1, v156
	v_or_b32_e32 v9, 8, v14
	s_mov_b32 s3, 0
	s_delay_alu instid0(VALU_DEP_2)
	v_dual_mov_b32 v4, v2 :: v_dual_mov_b32 v3, v1
	.p2align	6
.LBB56_61:                              ; =>This Inner Loop Header: Depth=1
	scratch_load_b128 v[15:18], v9, off offset:-8
	ds_load_b128 v[19:22], v8
	v_add_nc_u32_e32 v7, 1, v7
	v_add_nc_u32_e32 v8, 16, v8
	;; [unrolled: 1-line block ×3, first 2 shown]
	s_delay_alu instid0(VALU_DEP_3) | instskip(SKIP_4) | instid1(VALU_DEP_2)
	v_cmp_lt_u32_e32 vcc_lo, 10, v7
	s_or_b32 s3, vcc_lo, s3
	s_waitcnt vmcnt(0) lgkmcnt(0)
	v_mul_f64 v[10:11], v[21:22], v[17:18]
	v_mul_f64 v[17:18], v[19:20], v[17:18]
	v_fma_f64 v[10:11], v[19:20], v[15:16], -v[10:11]
	s_delay_alu instid0(VALU_DEP_2) | instskip(NEXT) | instid1(VALU_DEP_2)
	v_fma_f64 v[15:16], v[21:22], v[15:16], v[17:18]
	v_add_f64 v[3:4], v[3:4], v[10:11]
	s_delay_alu instid0(VALU_DEP_2)
	v_add_f64 v[1:2], v[1:2], v[15:16]
	s_and_not1_b32 exec_lo, exec_lo, s3
	s_cbranch_execnz .LBB56_61
; %bb.62:
	s_or_b32 exec_lo, exec_lo, s3
	v_mov_b32_e32 v7, 0
	ds_load_b128 v[7:10], v7 offset:192
	s_waitcnt lgkmcnt(0)
	v_mul_f64 v[11:12], v[1:2], v[9:10]
	v_mul_f64 v[15:16], v[3:4], v[9:10]
	s_delay_alu instid0(VALU_DEP_2) | instskip(NEXT) | instid1(VALU_DEP_2)
	v_fma_f64 v[9:10], v[3:4], v[7:8], -v[11:12]
	v_fma_f64 v[11:12], v[1:2], v[7:8], v[15:16]
	scratch_store_b128 off, v[9:12], off offset:192
.LBB56_63:
	s_or_b32 exec_lo, exec_lo, s2
	s_waitcnt_vscnt null, 0x0
	s_barrier
	buffer_gl0_inv
	scratch_load_b128 v[1:4], v200, off
	s_mov_b32 s2, exec_lo
	s_waitcnt vmcnt(0)
	ds_store_b128 v5, v[1:4]
	s_waitcnt lgkmcnt(0)
	s_barrier
	buffer_gl0_inv
	v_cmpx_gt_u32_e32 13, v156
	s_cbranch_execz .LBB56_67
; %bb.64:
	v_dual_mov_b32 v1, 0 :: v_dual_add_nc_u32 v8, 0x390, v13
	v_dual_mov_b32 v2, 0 :: v_dual_add_nc_u32 v7, -1, v156
	v_or_b32_e32 v9, 8, v14
	s_mov_b32 s3, 0
	s_delay_alu instid0(VALU_DEP_2)
	v_dual_mov_b32 v4, v2 :: v_dual_mov_b32 v3, v1
	.p2align	6
.LBB56_65:                              ; =>This Inner Loop Header: Depth=1
	scratch_load_b128 v[15:18], v9, off offset:-8
	ds_load_b128 v[19:22], v8
	v_add_nc_u32_e32 v7, 1, v7
	v_add_nc_u32_e32 v8, 16, v8
	;; [unrolled: 1-line block ×3, first 2 shown]
	s_delay_alu instid0(VALU_DEP_3) | instskip(SKIP_4) | instid1(VALU_DEP_2)
	v_cmp_lt_u32_e32 vcc_lo, 11, v7
	s_or_b32 s3, vcc_lo, s3
	s_waitcnt vmcnt(0) lgkmcnt(0)
	v_mul_f64 v[10:11], v[21:22], v[17:18]
	v_mul_f64 v[17:18], v[19:20], v[17:18]
	v_fma_f64 v[10:11], v[19:20], v[15:16], -v[10:11]
	s_delay_alu instid0(VALU_DEP_2) | instskip(NEXT) | instid1(VALU_DEP_2)
	v_fma_f64 v[15:16], v[21:22], v[15:16], v[17:18]
	v_add_f64 v[3:4], v[3:4], v[10:11]
	s_delay_alu instid0(VALU_DEP_2)
	v_add_f64 v[1:2], v[1:2], v[15:16]
	s_and_not1_b32 exec_lo, exec_lo, s3
	s_cbranch_execnz .LBB56_65
; %bb.66:
	s_or_b32 exec_lo, exec_lo, s3
	v_mov_b32_e32 v7, 0
	ds_load_b128 v[7:10], v7 offset:208
	s_waitcnt lgkmcnt(0)
	v_mul_f64 v[11:12], v[1:2], v[9:10]
	v_mul_f64 v[15:16], v[3:4], v[9:10]
	s_delay_alu instid0(VALU_DEP_2) | instskip(NEXT) | instid1(VALU_DEP_2)
	v_fma_f64 v[9:10], v[3:4], v[7:8], -v[11:12]
	v_fma_f64 v[11:12], v[1:2], v[7:8], v[15:16]
	scratch_store_b128 off, v[9:12], off offset:208
.LBB56_67:
	s_or_b32 exec_lo, exec_lo, s2
	s_waitcnt_vscnt null, 0x0
	s_barrier
	buffer_gl0_inv
	scratch_load_b128 v[1:4], v199, off
	s_mov_b32 s2, exec_lo
	s_waitcnt vmcnt(0)
	ds_store_b128 v5, v[1:4]
	s_waitcnt lgkmcnt(0)
	s_barrier
	buffer_gl0_inv
	v_cmpx_gt_u32_e32 14, v156
	s_cbranch_execz .LBB56_71
; %bb.68:
	v_dual_mov_b32 v1, 0 :: v_dual_add_nc_u32 v8, 0x390, v13
	v_dual_mov_b32 v2, 0 :: v_dual_add_nc_u32 v7, -1, v156
	v_or_b32_e32 v9, 8, v14
	s_mov_b32 s3, 0
	s_delay_alu instid0(VALU_DEP_2)
	v_dual_mov_b32 v4, v2 :: v_dual_mov_b32 v3, v1
	.p2align	6
.LBB56_69:                              ; =>This Inner Loop Header: Depth=1
	scratch_load_b128 v[15:18], v9, off offset:-8
	ds_load_b128 v[19:22], v8
	v_add_nc_u32_e32 v7, 1, v7
	v_add_nc_u32_e32 v8, 16, v8
	v_add_nc_u32_e32 v9, 16, v9
	s_delay_alu instid0(VALU_DEP_3) | instskip(SKIP_4) | instid1(VALU_DEP_2)
	v_cmp_lt_u32_e32 vcc_lo, 12, v7
	s_or_b32 s3, vcc_lo, s3
	s_waitcnt vmcnt(0) lgkmcnt(0)
	v_mul_f64 v[10:11], v[21:22], v[17:18]
	v_mul_f64 v[17:18], v[19:20], v[17:18]
	v_fma_f64 v[10:11], v[19:20], v[15:16], -v[10:11]
	s_delay_alu instid0(VALU_DEP_2) | instskip(NEXT) | instid1(VALU_DEP_2)
	v_fma_f64 v[15:16], v[21:22], v[15:16], v[17:18]
	v_add_f64 v[3:4], v[3:4], v[10:11]
	s_delay_alu instid0(VALU_DEP_2)
	v_add_f64 v[1:2], v[1:2], v[15:16]
	s_and_not1_b32 exec_lo, exec_lo, s3
	s_cbranch_execnz .LBB56_69
; %bb.70:
	s_or_b32 exec_lo, exec_lo, s3
	v_mov_b32_e32 v7, 0
	ds_load_b128 v[7:10], v7 offset:224
	s_waitcnt lgkmcnt(0)
	v_mul_f64 v[11:12], v[1:2], v[9:10]
	v_mul_f64 v[15:16], v[3:4], v[9:10]
	s_delay_alu instid0(VALU_DEP_2) | instskip(NEXT) | instid1(VALU_DEP_2)
	v_fma_f64 v[9:10], v[3:4], v[7:8], -v[11:12]
	v_fma_f64 v[11:12], v[1:2], v[7:8], v[15:16]
	scratch_store_b128 off, v[9:12], off offset:224
.LBB56_71:
	s_or_b32 exec_lo, exec_lo, s2
	s_waitcnt_vscnt null, 0x0
	s_barrier
	buffer_gl0_inv
	scratch_load_b128 v[1:4], v198, off
	s_mov_b32 s2, exec_lo
	s_waitcnt vmcnt(0)
	ds_store_b128 v5, v[1:4]
	s_waitcnt lgkmcnt(0)
	s_barrier
	buffer_gl0_inv
	v_cmpx_gt_u32_e32 15, v156
	s_cbranch_execz .LBB56_75
; %bb.72:
	v_dual_mov_b32 v1, 0 :: v_dual_add_nc_u32 v8, 0x390, v13
	v_dual_mov_b32 v2, 0 :: v_dual_add_nc_u32 v7, -1, v156
	v_or_b32_e32 v9, 8, v14
	s_mov_b32 s3, 0
	s_delay_alu instid0(VALU_DEP_2)
	v_dual_mov_b32 v4, v2 :: v_dual_mov_b32 v3, v1
	.p2align	6
.LBB56_73:                              ; =>This Inner Loop Header: Depth=1
	scratch_load_b128 v[15:18], v9, off offset:-8
	ds_load_b128 v[19:22], v8
	v_add_nc_u32_e32 v7, 1, v7
	v_add_nc_u32_e32 v8, 16, v8
	;; [unrolled: 1-line block ×3, first 2 shown]
	s_delay_alu instid0(VALU_DEP_3) | instskip(SKIP_4) | instid1(VALU_DEP_2)
	v_cmp_lt_u32_e32 vcc_lo, 13, v7
	s_or_b32 s3, vcc_lo, s3
	s_waitcnt vmcnt(0) lgkmcnt(0)
	v_mul_f64 v[10:11], v[21:22], v[17:18]
	v_mul_f64 v[17:18], v[19:20], v[17:18]
	v_fma_f64 v[10:11], v[19:20], v[15:16], -v[10:11]
	s_delay_alu instid0(VALU_DEP_2) | instskip(NEXT) | instid1(VALU_DEP_2)
	v_fma_f64 v[15:16], v[21:22], v[15:16], v[17:18]
	v_add_f64 v[3:4], v[3:4], v[10:11]
	s_delay_alu instid0(VALU_DEP_2)
	v_add_f64 v[1:2], v[1:2], v[15:16]
	s_and_not1_b32 exec_lo, exec_lo, s3
	s_cbranch_execnz .LBB56_73
; %bb.74:
	s_or_b32 exec_lo, exec_lo, s3
	v_mov_b32_e32 v7, 0
	ds_load_b128 v[7:10], v7 offset:240
	s_waitcnt lgkmcnt(0)
	v_mul_f64 v[11:12], v[1:2], v[9:10]
	v_mul_f64 v[15:16], v[3:4], v[9:10]
	s_delay_alu instid0(VALU_DEP_2) | instskip(NEXT) | instid1(VALU_DEP_2)
	v_fma_f64 v[9:10], v[3:4], v[7:8], -v[11:12]
	v_fma_f64 v[11:12], v[1:2], v[7:8], v[15:16]
	scratch_store_b128 off, v[9:12], off offset:240
.LBB56_75:
	s_or_b32 exec_lo, exec_lo, s2
	s_waitcnt_vscnt null, 0x0
	s_barrier
	buffer_gl0_inv
	scratch_load_b128 v[1:4], v197, off
	s_mov_b32 s2, exec_lo
	s_waitcnt vmcnt(0)
	ds_store_b128 v5, v[1:4]
	s_waitcnt lgkmcnt(0)
	s_barrier
	buffer_gl0_inv
	v_cmpx_gt_u32_e32 16, v156
	s_cbranch_execz .LBB56_79
; %bb.76:
	v_dual_mov_b32 v1, 0 :: v_dual_add_nc_u32 v8, 0x390, v13
	v_dual_mov_b32 v2, 0 :: v_dual_add_nc_u32 v7, -1, v156
	v_or_b32_e32 v9, 8, v14
	s_mov_b32 s3, 0
	s_delay_alu instid0(VALU_DEP_2)
	v_dual_mov_b32 v4, v2 :: v_dual_mov_b32 v3, v1
	.p2align	6
.LBB56_77:                              ; =>This Inner Loop Header: Depth=1
	scratch_load_b128 v[15:18], v9, off offset:-8
	ds_load_b128 v[19:22], v8
	v_add_nc_u32_e32 v7, 1, v7
	v_add_nc_u32_e32 v8, 16, v8
	;; [unrolled: 1-line block ×3, first 2 shown]
	s_delay_alu instid0(VALU_DEP_3) | instskip(SKIP_4) | instid1(VALU_DEP_2)
	v_cmp_lt_u32_e32 vcc_lo, 14, v7
	s_or_b32 s3, vcc_lo, s3
	s_waitcnt vmcnt(0) lgkmcnt(0)
	v_mul_f64 v[10:11], v[21:22], v[17:18]
	v_mul_f64 v[17:18], v[19:20], v[17:18]
	v_fma_f64 v[10:11], v[19:20], v[15:16], -v[10:11]
	s_delay_alu instid0(VALU_DEP_2) | instskip(NEXT) | instid1(VALU_DEP_2)
	v_fma_f64 v[15:16], v[21:22], v[15:16], v[17:18]
	v_add_f64 v[3:4], v[3:4], v[10:11]
	s_delay_alu instid0(VALU_DEP_2)
	v_add_f64 v[1:2], v[1:2], v[15:16]
	s_and_not1_b32 exec_lo, exec_lo, s3
	s_cbranch_execnz .LBB56_77
; %bb.78:
	s_or_b32 exec_lo, exec_lo, s3
	v_mov_b32_e32 v7, 0
	ds_load_b128 v[7:10], v7 offset:256
	s_waitcnt lgkmcnt(0)
	v_mul_f64 v[11:12], v[1:2], v[9:10]
	v_mul_f64 v[15:16], v[3:4], v[9:10]
	s_delay_alu instid0(VALU_DEP_2) | instskip(NEXT) | instid1(VALU_DEP_2)
	v_fma_f64 v[9:10], v[3:4], v[7:8], -v[11:12]
	v_fma_f64 v[11:12], v[1:2], v[7:8], v[15:16]
	scratch_store_b128 off, v[9:12], off offset:256
.LBB56_79:
	s_or_b32 exec_lo, exec_lo, s2
	s_waitcnt_vscnt null, 0x0
	s_barrier
	buffer_gl0_inv
	scratch_load_b128 v[1:4], v196, off
	s_mov_b32 s2, exec_lo
	s_waitcnt vmcnt(0)
	ds_store_b128 v5, v[1:4]
	s_waitcnt lgkmcnt(0)
	s_barrier
	buffer_gl0_inv
	v_cmpx_gt_u32_e32 17, v156
	s_cbranch_execz .LBB56_83
; %bb.80:
	v_dual_mov_b32 v1, 0 :: v_dual_add_nc_u32 v8, 0x390, v13
	v_dual_mov_b32 v2, 0 :: v_dual_add_nc_u32 v7, -1, v156
	v_or_b32_e32 v9, 8, v14
	s_mov_b32 s3, 0
	s_delay_alu instid0(VALU_DEP_2)
	v_dual_mov_b32 v4, v2 :: v_dual_mov_b32 v3, v1
	.p2align	6
.LBB56_81:                              ; =>This Inner Loop Header: Depth=1
	scratch_load_b128 v[15:18], v9, off offset:-8
	ds_load_b128 v[19:22], v8
	v_add_nc_u32_e32 v7, 1, v7
	v_add_nc_u32_e32 v8, 16, v8
	;; [unrolled: 1-line block ×3, first 2 shown]
	s_delay_alu instid0(VALU_DEP_3) | instskip(SKIP_4) | instid1(VALU_DEP_2)
	v_cmp_lt_u32_e32 vcc_lo, 15, v7
	s_or_b32 s3, vcc_lo, s3
	s_waitcnt vmcnt(0) lgkmcnt(0)
	v_mul_f64 v[10:11], v[21:22], v[17:18]
	v_mul_f64 v[17:18], v[19:20], v[17:18]
	v_fma_f64 v[10:11], v[19:20], v[15:16], -v[10:11]
	s_delay_alu instid0(VALU_DEP_2) | instskip(NEXT) | instid1(VALU_DEP_2)
	v_fma_f64 v[15:16], v[21:22], v[15:16], v[17:18]
	v_add_f64 v[3:4], v[3:4], v[10:11]
	s_delay_alu instid0(VALU_DEP_2)
	v_add_f64 v[1:2], v[1:2], v[15:16]
	s_and_not1_b32 exec_lo, exec_lo, s3
	s_cbranch_execnz .LBB56_81
; %bb.82:
	s_or_b32 exec_lo, exec_lo, s3
	v_mov_b32_e32 v7, 0
	ds_load_b128 v[7:10], v7 offset:272
	s_waitcnt lgkmcnt(0)
	v_mul_f64 v[11:12], v[1:2], v[9:10]
	v_mul_f64 v[15:16], v[3:4], v[9:10]
	s_delay_alu instid0(VALU_DEP_2) | instskip(NEXT) | instid1(VALU_DEP_2)
	v_fma_f64 v[9:10], v[3:4], v[7:8], -v[11:12]
	v_fma_f64 v[11:12], v[1:2], v[7:8], v[15:16]
	scratch_store_b128 off, v[9:12], off offset:272
.LBB56_83:
	s_or_b32 exec_lo, exec_lo, s2
	s_waitcnt_vscnt null, 0x0
	s_barrier
	buffer_gl0_inv
	scratch_load_b128 v[1:4], v195, off
	s_mov_b32 s2, exec_lo
	s_waitcnt vmcnt(0)
	ds_store_b128 v5, v[1:4]
	s_waitcnt lgkmcnt(0)
	s_barrier
	buffer_gl0_inv
	v_cmpx_gt_u32_e32 18, v156
	s_cbranch_execz .LBB56_87
; %bb.84:
	v_dual_mov_b32 v1, 0 :: v_dual_add_nc_u32 v8, 0x390, v13
	v_dual_mov_b32 v2, 0 :: v_dual_add_nc_u32 v7, -1, v156
	v_or_b32_e32 v9, 8, v14
	s_mov_b32 s3, 0
	s_delay_alu instid0(VALU_DEP_2)
	v_dual_mov_b32 v4, v2 :: v_dual_mov_b32 v3, v1
	.p2align	6
.LBB56_85:                              ; =>This Inner Loop Header: Depth=1
	scratch_load_b128 v[15:18], v9, off offset:-8
	ds_load_b128 v[19:22], v8
	v_add_nc_u32_e32 v7, 1, v7
	v_add_nc_u32_e32 v8, 16, v8
	;; [unrolled: 1-line block ×3, first 2 shown]
	s_delay_alu instid0(VALU_DEP_3) | instskip(SKIP_4) | instid1(VALU_DEP_2)
	v_cmp_lt_u32_e32 vcc_lo, 16, v7
	s_or_b32 s3, vcc_lo, s3
	s_waitcnt vmcnt(0) lgkmcnt(0)
	v_mul_f64 v[10:11], v[21:22], v[17:18]
	v_mul_f64 v[17:18], v[19:20], v[17:18]
	v_fma_f64 v[10:11], v[19:20], v[15:16], -v[10:11]
	s_delay_alu instid0(VALU_DEP_2) | instskip(NEXT) | instid1(VALU_DEP_2)
	v_fma_f64 v[15:16], v[21:22], v[15:16], v[17:18]
	v_add_f64 v[3:4], v[3:4], v[10:11]
	s_delay_alu instid0(VALU_DEP_2)
	v_add_f64 v[1:2], v[1:2], v[15:16]
	s_and_not1_b32 exec_lo, exec_lo, s3
	s_cbranch_execnz .LBB56_85
; %bb.86:
	s_or_b32 exec_lo, exec_lo, s3
	v_mov_b32_e32 v7, 0
	ds_load_b128 v[7:10], v7 offset:288
	s_waitcnt lgkmcnt(0)
	v_mul_f64 v[11:12], v[1:2], v[9:10]
	v_mul_f64 v[15:16], v[3:4], v[9:10]
	s_delay_alu instid0(VALU_DEP_2) | instskip(NEXT) | instid1(VALU_DEP_2)
	v_fma_f64 v[9:10], v[3:4], v[7:8], -v[11:12]
	v_fma_f64 v[11:12], v[1:2], v[7:8], v[15:16]
	scratch_store_b128 off, v[9:12], off offset:288
.LBB56_87:
	s_or_b32 exec_lo, exec_lo, s2
	s_waitcnt_vscnt null, 0x0
	s_barrier
	buffer_gl0_inv
	scratch_load_b128 v[1:4], v194, off
	s_mov_b32 s2, exec_lo
	s_waitcnt vmcnt(0)
	ds_store_b128 v5, v[1:4]
	s_waitcnt lgkmcnt(0)
	s_barrier
	buffer_gl0_inv
	v_cmpx_gt_u32_e32 19, v156
	s_cbranch_execz .LBB56_91
; %bb.88:
	v_dual_mov_b32 v1, 0 :: v_dual_add_nc_u32 v8, 0x390, v13
	v_dual_mov_b32 v2, 0 :: v_dual_add_nc_u32 v7, -1, v156
	v_or_b32_e32 v9, 8, v14
	s_mov_b32 s3, 0
	s_delay_alu instid0(VALU_DEP_2)
	v_dual_mov_b32 v4, v2 :: v_dual_mov_b32 v3, v1
	.p2align	6
.LBB56_89:                              ; =>This Inner Loop Header: Depth=1
	scratch_load_b128 v[15:18], v9, off offset:-8
	ds_load_b128 v[19:22], v8
	v_add_nc_u32_e32 v7, 1, v7
	v_add_nc_u32_e32 v8, 16, v8
	;; [unrolled: 1-line block ×3, first 2 shown]
	s_delay_alu instid0(VALU_DEP_3) | instskip(SKIP_4) | instid1(VALU_DEP_2)
	v_cmp_lt_u32_e32 vcc_lo, 17, v7
	s_or_b32 s3, vcc_lo, s3
	s_waitcnt vmcnt(0) lgkmcnt(0)
	v_mul_f64 v[10:11], v[21:22], v[17:18]
	v_mul_f64 v[17:18], v[19:20], v[17:18]
	v_fma_f64 v[10:11], v[19:20], v[15:16], -v[10:11]
	s_delay_alu instid0(VALU_DEP_2) | instskip(NEXT) | instid1(VALU_DEP_2)
	v_fma_f64 v[15:16], v[21:22], v[15:16], v[17:18]
	v_add_f64 v[3:4], v[3:4], v[10:11]
	s_delay_alu instid0(VALU_DEP_2)
	v_add_f64 v[1:2], v[1:2], v[15:16]
	s_and_not1_b32 exec_lo, exec_lo, s3
	s_cbranch_execnz .LBB56_89
; %bb.90:
	s_or_b32 exec_lo, exec_lo, s3
	v_mov_b32_e32 v7, 0
	ds_load_b128 v[7:10], v7 offset:304
	s_waitcnt lgkmcnt(0)
	v_mul_f64 v[11:12], v[1:2], v[9:10]
	v_mul_f64 v[15:16], v[3:4], v[9:10]
	s_delay_alu instid0(VALU_DEP_2) | instskip(NEXT) | instid1(VALU_DEP_2)
	v_fma_f64 v[9:10], v[3:4], v[7:8], -v[11:12]
	v_fma_f64 v[11:12], v[1:2], v[7:8], v[15:16]
	scratch_store_b128 off, v[9:12], off offset:304
.LBB56_91:
	s_or_b32 exec_lo, exec_lo, s2
	s_waitcnt_vscnt null, 0x0
	s_barrier
	buffer_gl0_inv
	scratch_load_b128 v[1:4], v193, off
	s_mov_b32 s2, exec_lo
	s_waitcnt vmcnt(0)
	ds_store_b128 v5, v[1:4]
	s_waitcnt lgkmcnt(0)
	s_barrier
	buffer_gl0_inv
	v_cmpx_gt_u32_e32 20, v156
	s_cbranch_execz .LBB56_95
; %bb.92:
	v_dual_mov_b32 v1, 0 :: v_dual_add_nc_u32 v8, 0x390, v13
	v_dual_mov_b32 v2, 0 :: v_dual_add_nc_u32 v7, -1, v156
	v_or_b32_e32 v9, 8, v14
	s_mov_b32 s3, 0
	s_delay_alu instid0(VALU_DEP_2)
	v_dual_mov_b32 v4, v2 :: v_dual_mov_b32 v3, v1
	.p2align	6
.LBB56_93:                              ; =>This Inner Loop Header: Depth=1
	scratch_load_b128 v[15:18], v9, off offset:-8
	ds_load_b128 v[19:22], v8
	v_add_nc_u32_e32 v7, 1, v7
	v_add_nc_u32_e32 v8, 16, v8
	;; [unrolled: 1-line block ×3, first 2 shown]
	s_delay_alu instid0(VALU_DEP_3) | instskip(SKIP_4) | instid1(VALU_DEP_2)
	v_cmp_lt_u32_e32 vcc_lo, 18, v7
	s_or_b32 s3, vcc_lo, s3
	s_waitcnt vmcnt(0) lgkmcnt(0)
	v_mul_f64 v[10:11], v[21:22], v[17:18]
	v_mul_f64 v[17:18], v[19:20], v[17:18]
	v_fma_f64 v[10:11], v[19:20], v[15:16], -v[10:11]
	s_delay_alu instid0(VALU_DEP_2) | instskip(NEXT) | instid1(VALU_DEP_2)
	v_fma_f64 v[15:16], v[21:22], v[15:16], v[17:18]
	v_add_f64 v[3:4], v[3:4], v[10:11]
	s_delay_alu instid0(VALU_DEP_2)
	v_add_f64 v[1:2], v[1:2], v[15:16]
	s_and_not1_b32 exec_lo, exec_lo, s3
	s_cbranch_execnz .LBB56_93
; %bb.94:
	s_or_b32 exec_lo, exec_lo, s3
	v_mov_b32_e32 v7, 0
	ds_load_b128 v[7:10], v7 offset:320
	s_waitcnt lgkmcnt(0)
	v_mul_f64 v[11:12], v[1:2], v[9:10]
	v_mul_f64 v[15:16], v[3:4], v[9:10]
	s_delay_alu instid0(VALU_DEP_2) | instskip(NEXT) | instid1(VALU_DEP_2)
	v_fma_f64 v[9:10], v[3:4], v[7:8], -v[11:12]
	v_fma_f64 v[11:12], v[1:2], v[7:8], v[15:16]
	scratch_store_b128 off, v[9:12], off offset:320
.LBB56_95:
	s_or_b32 exec_lo, exec_lo, s2
	s_waitcnt_vscnt null, 0x0
	s_barrier
	buffer_gl0_inv
	scratch_load_b128 v[1:4], v255, off
	s_mov_b32 s2, exec_lo
	s_waitcnt vmcnt(0)
	ds_store_b128 v5, v[1:4]
	s_waitcnt lgkmcnt(0)
	s_barrier
	buffer_gl0_inv
	v_cmpx_gt_u32_e32 21, v156
	s_cbranch_execz .LBB56_99
; %bb.96:
	v_dual_mov_b32 v1, 0 :: v_dual_add_nc_u32 v8, 0x390, v13
	v_dual_mov_b32 v2, 0 :: v_dual_add_nc_u32 v7, -1, v156
	v_or_b32_e32 v9, 8, v14
	s_mov_b32 s3, 0
	s_delay_alu instid0(VALU_DEP_2)
	v_dual_mov_b32 v4, v2 :: v_dual_mov_b32 v3, v1
	.p2align	6
.LBB56_97:                              ; =>This Inner Loop Header: Depth=1
	scratch_load_b128 v[15:18], v9, off offset:-8
	ds_load_b128 v[19:22], v8
	v_add_nc_u32_e32 v7, 1, v7
	v_add_nc_u32_e32 v8, 16, v8
	;; [unrolled: 1-line block ×3, first 2 shown]
	s_delay_alu instid0(VALU_DEP_3) | instskip(SKIP_4) | instid1(VALU_DEP_2)
	v_cmp_lt_u32_e32 vcc_lo, 19, v7
	s_or_b32 s3, vcc_lo, s3
	s_waitcnt vmcnt(0) lgkmcnt(0)
	v_mul_f64 v[10:11], v[21:22], v[17:18]
	v_mul_f64 v[17:18], v[19:20], v[17:18]
	v_fma_f64 v[10:11], v[19:20], v[15:16], -v[10:11]
	s_delay_alu instid0(VALU_DEP_2) | instskip(NEXT) | instid1(VALU_DEP_2)
	v_fma_f64 v[15:16], v[21:22], v[15:16], v[17:18]
	v_add_f64 v[3:4], v[3:4], v[10:11]
	s_delay_alu instid0(VALU_DEP_2)
	v_add_f64 v[1:2], v[1:2], v[15:16]
	s_and_not1_b32 exec_lo, exec_lo, s3
	s_cbranch_execnz .LBB56_97
; %bb.98:
	s_or_b32 exec_lo, exec_lo, s3
	v_mov_b32_e32 v7, 0
	ds_load_b128 v[7:10], v7 offset:336
	s_waitcnt lgkmcnt(0)
	v_mul_f64 v[11:12], v[1:2], v[9:10]
	v_mul_f64 v[15:16], v[3:4], v[9:10]
	s_delay_alu instid0(VALU_DEP_2) | instskip(NEXT) | instid1(VALU_DEP_2)
	v_fma_f64 v[9:10], v[3:4], v[7:8], -v[11:12]
	v_fma_f64 v[11:12], v[1:2], v[7:8], v[15:16]
	scratch_store_b128 off, v[9:12], off offset:336
.LBB56_99:
	s_or_b32 exec_lo, exec_lo, s2
	s_waitcnt_vscnt null, 0x0
	s_barrier
	buffer_gl0_inv
	scratch_load_b128 v[1:4], v254, off
	s_mov_b32 s2, exec_lo
	s_waitcnt vmcnt(0)
	ds_store_b128 v5, v[1:4]
	s_waitcnt lgkmcnt(0)
	s_barrier
	buffer_gl0_inv
	v_cmpx_gt_u32_e32 22, v156
	s_cbranch_execz .LBB56_103
; %bb.100:
	v_dual_mov_b32 v1, 0 :: v_dual_add_nc_u32 v8, 0x390, v13
	v_dual_mov_b32 v2, 0 :: v_dual_add_nc_u32 v7, -1, v156
	v_or_b32_e32 v9, 8, v14
	s_mov_b32 s3, 0
	s_delay_alu instid0(VALU_DEP_2)
	v_dual_mov_b32 v4, v2 :: v_dual_mov_b32 v3, v1
	.p2align	6
.LBB56_101:                             ; =>This Inner Loop Header: Depth=1
	scratch_load_b128 v[15:18], v9, off offset:-8
	ds_load_b128 v[19:22], v8
	v_add_nc_u32_e32 v7, 1, v7
	v_add_nc_u32_e32 v8, 16, v8
	v_add_nc_u32_e32 v9, 16, v9
	s_delay_alu instid0(VALU_DEP_3) | instskip(SKIP_4) | instid1(VALU_DEP_2)
	v_cmp_lt_u32_e32 vcc_lo, 20, v7
	s_or_b32 s3, vcc_lo, s3
	s_waitcnt vmcnt(0) lgkmcnt(0)
	v_mul_f64 v[10:11], v[21:22], v[17:18]
	v_mul_f64 v[17:18], v[19:20], v[17:18]
	v_fma_f64 v[10:11], v[19:20], v[15:16], -v[10:11]
	s_delay_alu instid0(VALU_DEP_2) | instskip(NEXT) | instid1(VALU_DEP_2)
	v_fma_f64 v[15:16], v[21:22], v[15:16], v[17:18]
	v_add_f64 v[3:4], v[3:4], v[10:11]
	s_delay_alu instid0(VALU_DEP_2)
	v_add_f64 v[1:2], v[1:2], v[15:16]
	s_and_not1_b32 exec_lo, exec_lo, s3
	s_cbranch_execnz .LBB56_101
; %bb.102:
	s_or_b32 exec_lo, exec_lo, s3
	v_mov_b32_e32 v7, 0
	ds_load_b128 v[7:10], v7 offset:352
	s_waitcnt lgkmcnt(0)
	v_mul_f64 v[11:12], v[1:2], v[9:10]
	v_mul_f64 v[15:16], v[3:4], v[9:10]
	s_delay_alu instid0(VALU_DEP_2) | instskip(NEXT) | instid1(VALU_DEP_2)
	v_fma_f64 v[9:10], v[3:4], v[7:8], -v[11:12]
	v_fma_f64 v[11:12], v[1:2], v[7:8], v[15:16]
	scratch_store_b128 off, v[9:12], off offset:352
.LBB56_103:
	s_or_b32 exec_lo, exec_lo, s2
	s_waitcnt_vscnt null, 0x0
	s_barrier
	buffer_gl0_inv
	scratch_load_b128 v[1:4], v253, off
	s_mov_b32 s2, exec_lo
	s_waitcnt vmcnt(0)
	ds_store_b128 v5, v[1:4]
	s_waitcnt lgkmcnt(0)
	s_barrier
	buffer_gl0_inv
	v_cmpx_gt_u32_e32 23, v156
	s_cbranch_execz .LBB56_107
; %bb.104:
	v_dual_mov_b32 v1, 0 :: v_dual_add_nc_u32 v8, 0x390, v13
	v_dual_mov_b32 v2, 0 :: v_dual_add_nc_u32 v7, -1, v156
	v_or_b32_e32 v9, 8, v14
	s_mov_b32 s3, 0
	s_delay_alu instid0(VALU_DEP_2)
	v_dual_mov_b32 v4, v2 :: v_dual_mov_b32 v3, v1
	.p2align	6
.LBB56_105:                             ; =>This Inner Loop Header: Depth=1
	scratch_load_b128 v[15:18], v9, off offset:-8
	ds_load_b128 v[19:22], v8
	v_add_nc_u32_e32 v7, 1, v7
	v_add_nc_u32_e32 v8, 16, v8
	;; [unrolled: 1-line block ×3, first 2 shown]
	s_delay_alu instid0(VALU_DEP_3) | instskip(SKIP_4) | instid1(VALU_DEP_2)
	v_cmp_lt_u32_e32 vcc_lo, 21, v7
	s_or_b32 s3, vcc_lo, s3
	s_waitcnt vmcnt(0) lgkmcnt(0)
	v_mul_f64 v[10:11], v[21:22], v[17:18]
	v_mul_f64 v[17:18], v[19:20], v[17:18]
	v_fma_f64 v[10:11], v[19:20], v[15:16], -v[10:11]
	s_delay_alu instid0(VALU_DEP_2) | instskip(NEXT) | instid1(VALU_DEP_2)
	v_fma_f64 v[15:16], v[21:22], v[15:16], v[17:18]
	v_add_f64 v[3:4], v[3:4], v[10:11]
	s_delay_alu instid0(VALU_DEP_2)
	v_add_f64 v[1:2], v[1:2], v[15:16]
	s_and_not1_b32 exec_lo, exec_lo, s3
	s_cbranch_execnz .LBB56_105
; %bb.106:
	s_or_b32 exec_lo, exec_lo, s3
	v_mov_b32_e32 v7, 0
	ds_load_b128 v[7:10], v7 offset:368
	s_waitcnt lgkmcnt(0)
	v_mul_f64 v[11:12], v[1:2], v[9:10]
	v_mul_f64 v[15:16], v[3:4], v[9:10]
	s_delay_alu instid0(VALU_DEP_2) | instskip(NEXT) | instid1(VALU_DEP_2)
	v_fma_f64 v[9:10], v[3:4], v[7:8], -v[11:12]
	v_fma_f64 v[11:12], v[1:2], v[7:8], v[15:16]
	scratch_store_b128 off, v[9:12], off offset:368
.LBB56_107:
	s_or_b32 exec_lo, exec_lo, s2
	s_waitcnt_vscnt null, 0x0
	s_barrier
	buffer_gl0_inv
	scratch_load_b128 v[1:4], v232, off
	s_mov_b32 s2, exec_lo
	s_waitcnt vmcnt(0)
	ds_store_b128 v5, v[1:4]
	s_waitcnt lgkmcnt(0)
	s_barrier
	buffer_gl0_inv
	v_cmpx_gt_u32_e32 24, v156
	s_cbranch_execz .LBB56_111
; %bb.108:
	v_dual_mov_b32 v1, 0 :: v_dual_add_nc_u32 v8, 0x390, v13
	v_dual_mov_b32 v2, 0 :: v_dual_add_nc_u32 v7, -1, v156
	v_or_b32_e32 v9, 8, v14
	s_mov_b32 s3, 0
	s_delay_alu instid0(VALU_DEP_2)
	v_dual_mov_b32 v4, v2 :: v_dual_mov_b32 v3, v1
	.p2align	6
.LBB56_109:                             ; =>This Inner Loop Header: Depth=1
	scratch_load_b128 v[15:18], v9, off offset:-8
	ds_load_b128 v[19:22], v8
	v_add_nc_u32_e32 v7, 1, v7
	v_add_nc_u32_e32 v8, 16, v8
	;; [unrolled: 1-line block ×3, first 2 shown]
	s_delay_alu instid0(VALU_DEP_3) | instskip(SKIP_4) | instid1(VALU_DEP_2)
	v_cmp_lt_u32_e32 vcc_lo, 22, v7
	s_or_b32 s3, vcc_lo, s3
	s_waitcnt vmcnt(0) lgkmcnt(0)
	v_mul_f64 v[10:11], v[21:22], v[17:18]
	v_mul_f64 v[17:18], v[19:20], v[17:18]
	v_fma_f64 v[10:11], v[19:20], v[15:16], -v[10:11]
	s_delay_alu instid0(VALU_DEP_2) | instskip(NEXT) | instid1(VALU_DEP_2)
	v_fma_f64 v[15:16], v[21:22], v[15:16], v[17:18]
	v_add_f64 v[3:4], v[3:4], v[10:11]
	s_delay_alu instid0(VALU_DEP_2)
	v_add_f64 v[1:2], v[1:2], v[15:16]
	s_and_not1_b32 exec_lo, exec_lo, s3
	s_cbranch_execnz .LBB56_109
; %bb.110:
	s_or_b32 exec_lo, exec_lo, s3
	v_mov_b32_e32 v7, 0
	ds_load_b128 v[7:10], v7 offset:384
	s_waitcnt lgkmcnt(0)
	v_mul_f64 v[11:12], v[1:2], v[9:10]
	v_mul_f64 v[15:16], v[3:4], v[9:10]
	s_delay_alu instid0(VALU_DEP_2) | instskip(NEXT) | instid1(VALU_DEP_2)
	v_fma_f64 v[9:10], v[3:4], v[7:8], -v[11:12]
	v_fma_f64 v[11:12], v[1:2], v[7:8], v[15:16]
	scratch_store_b128 off, v[9:12], off offset:384
.LBB56_111:
	s_or_b32 exec_lo, exec_lo, s2
	s_waitcnt_vscnt null, 0x0
	s_barrier
	buffer_gl0_inv
	scratch_load_b128 v[1:4], v231, off
	s_mov_b32 s2, exec_lo
	s_waitcnt vmcnt(0)
	ds_store_b128 v5, v[1:4]
	s_waitcnt lgkmcnt(0)
	s_barrier
	buffer_gl0_inv
	v_cmpx_gt_u32_e32 25, v156
	s_cbranch_execz .LBB56_115
; %bb.112:
	v_dual_mov_b32 v1, 0 :: v_dual_add_nc_u32 v8, 0x390, v13
	v_dual_mov_b32 v2, 0 :: v_dual_add_nc_u32 v7, -1, v156
	v_or_b32_e32 v9, 8, v14
	s_mov_b32 s3, 0
	s_delay_alu instid0(VALU_DEP_2)
	v_dual_mov_b32 v4, v2 :: v_dual_mov_b32 v3, v1
	.p2align	6
.LBB56_113:                             ; =>This Inner Loop Header: Depth=1
	scratch_load_b128 v[15:18], v9, off offset:-8
	ds_load_b128 v[19:22], v8
	v_add_nc_u32_e32 v7, 1, v7
	v_add_nc_u32_e32 v8, 16, v8
	;; [unrolled: 1-line block ×3, first 2 shown]
	s_delay_alu instid0(VALU_DEP_3) | instskip(SKIP_4) | instid1(VALU_DEP_2)
	v_cmp_lt_u32_e32 vcc_lo, 23, v7
	s_or_b32 s3, vcc_lo, s3
	s_waitcnt vmcnt(0) lgkmcnt(0)
	v_mul_f64 v[10:11], v[21:22], v[17:18]
	v_mul_f64 v[17:18], v[19:20], v[17:18]
	v_fma_f64 v[10:11], v[19:20], v[15:16], -v[10:11]
	s_delay_alu instid0(VALU_DEP_2) | instskip(NEXT) | instid1(VALU_DEP_2)
	v_fma_f64 v[15:16], v[21:22], v[15:16], v[17:18]
	v_add_f64 v[3:4], v[3:4], v[10:11]
	s_delay_alu instid0(VALU_DEP_2)
	v_add_f64 v[1:2], v[1:2], v[15:16]
	s_and_not1_b32 exec_lo, exec_lo, s3
	s_cbranch_execnz .LBB56_113
; %bb.114:
	s_or_b32 exec_lo, exec_lo, s3
	v_mov_b32_e32 v7, 0
	ds_load_b128 v[7:10], v7 offset:400
	s_waitcnt lgkmcnt(0)
	v_mul_f64 v[11:12], v[1:2], v[9:10]
	v_mul_f64 v[15:16], v[3:4], v[9:10]
	s_delay_alu instid0(VALU_DEP_2) | instskip(NEXT) | instid1(VALU_DEP_2)
	v_fma_f64 v[9:10], v[3:4], v[7:8], -v[11:12]
	v_fma_f64 v[11:12], v[1:2], v[7:8], v[15:16]
	scratch_store_b128 off, v[9:12], off offset:400
.LBB56_115:
	s_or_b32 exec_lo, exec_lo, s2
	s_waitcnt_vscnt null, 0x0
	s_barrier
	buffer_gl0_inv
	scratch_load_b128 v[1:4], v230, off
	s_mov_b32 s2, exec_lo
	s_waitcnt vmcnt(0)
	ds_store_b128 v5, v[1:4]
	s_waitcnt lgkmcnt(0)
	s_barrier
	buffer_gl0_inv
	v_cmpx_gt_u32_e32 26, v156
	s_cbranch_execz .LBB56_119
; %bb.116:
	v_dual_mov_b32 v1, 0 :: v_dual_add_nc_u32 v8, 0x390, v13
	v_dual_mov_b32 v2, 0 :: v_dual_add_nc_u32 v7, -1, v156
	v_or_b32_e32 v9, 8, v14
	s_mov_b32 s3, 0
	s_delay_alu instid0(VALU_DEP_2)
	v_dual_mov_b32 v4, v2 :: v_dual_mov_b32 v3, v1
	.p2align	6
.LBB56_117:                             ; =>This Inner Loop Header: Depth=1
	scratch_load_b128 v[15:18], v9, off offset:-8
	ds_load_b128 v[19:22], v8
	v_add_nc_u32_e32 v7, 1, v7
	v_add_nc_u32_e32 v8, 16, v8
	;; [unrolled: 1-line block ×3, first 2 shown]
	s_delay_alu instid0(VALU_DEP_3) | instskip(SKIP_4) | instid1(VALU_DEP_2)
	v_cmp_lt_u32_e32 vcc_lo, 24, v7
	s_or_b32 s3, vcc_lo, s3
	s_waitcnt vmcnt(0) lgkmcnt(0)
	v_mul_f64 v[10:11], v[21:22], v[17:18]
	v_mul_f64 v[17:18], v[19:20], v[17:18]
	v_fma_f64 v[10:11], v[19:20], v[15:16], -v[10:11]
	s_delay_alu instid0(VALU_DEP_2) | instskip(NEXT) | instid1(VALU_DEP_2)
	v_fma_f64 v[15:16], v[21:22], v[15:16], v[17:18]
	v_add_f64 v[3:4], v[3:4], v[10:11]
	s_delay_alu instid0(VALU_DEP_2)
	v_add_f64 v[1:2], v[1:2], v[15:16]
	s_and_not1_b32 exec_lo, exec_lo, s3
	s_cbranch_execnz .LBB56_117
; %bb.118:
	s_or_b32 exec_lo, exec_lo, s3
	v_mov_b32_e32 v7, 0
	ds_load_b128 v[7:10], v7 offset:416
	s_waitcnt lgkmcnt(0)
	v_mul_f64 v[11:12], v[1:2], v[9:10]
	v_mul_f64 v[15:16], v[3:4], v[9:10]
	s_delay_alu instid0(VALU_DEP_2) | instskip(NEXT) | instid1(VALU_DEP_2)
	v_fma_f64 v[9:10], v[3:4], v[7:8], -v[11:12]
	v_fma_f64 v[11:12], v[1:2], v[7:8], v[15:16]
	scratch_store_b128 off, v[9:12], off offset:416
.LBB56_119:
	s_or_b32 exec_lo, exec_lo, s2
	s_waitcnt_vscnt null, 0x0
	s_barrier
	buffer_gl0_inv
	scratch_load_b128 v[1:4], v229, off
	s_mov_b32 s2, exec_lo
	s_waitcnt vmcnt(0)
	ds_store_b128 v5, v[1:4]
	s_waitcnt lgkmcnt(0)
	s_barrier
	buffer_gl0_inv
	v_cmpx_gt_u32_e32 27, v156
	s_cbranch_execz .LBB56_123
; %bb.120:
	v_dual_mov_b32 v1, 0 :: v_dual_add_nc_u32 v8, 0x390, v13
	v_dual_mov_b32 v2, 0 :: v_dual_add_nc_u32 v7, -1, v156
	v_or_b32_e32 v9, 8, v14
	s_mov_b32 s3, 0
	s_delay_alu instid0(VALU_DEP_2)
	v_dual_mov_b32 v4, v2 :: v_dual_mov_b32 v3, v1
	.p2align	6
.LBB56_121:                             ; =>This Inner Loop Header: Depth=1
	scratch_load_b128 v[15:18], v9, off offset:-8
	ds_load_b128 v[19:22], v8
	v_add_nc_u32_e32 v7, 1, v7
	v_add_nc_u32_e32 v8, 16, v8
	;; [unrolled: 1-line block ×3, first 2 shown]
	s_delay_alu instid0(VALU_DEP_3) | instskip(SKIP_4) | instid1(VALU_DEP_2)
	v_cmp_lt_u32_e32 vcc_lo, 25, v7
	s_or_b32 s3, vcc_lo, s3
	s_waitcnt vmcnt(0) lgkmcnt(0)
	v_mul_f64 v[10:11], v[21:22], v[17:18]
	v_mul_f64 v[17:18], v[19:20], v[17:18]
	v_fma_f64 v[10:11], v[19:20], v[15:16], -v[10:11]
	s_delay_alu instid0(VALU_DEP_2) | instskip(NEXT) | instid1(VALU_DEP_2)
	v_fma_f64 v[15:16], v[21:22], v[15:16], v[17:18]
	v_add_f64 v[3:4], v[3:4], v[10:11]
	s_delay_alu instid0(VALU_DEP_2)
	v_add_f64 v[1:2], v[1:2], v[15:16]
	s_and_not1_b32 exec_lo, exec_lo, s3
	s_cbranch_execnz .LBB56_121
; %bb.122:
	s_or_b32 exec_lo, exec_lo, s3
	v_mov_b32_e32 v7, 0
	ds_load_b128 v[7:10], v7 offset:432
	s_waitcnt lgkmcnt(0)
	v_mul_f64 v[11:12], v[1:2], v[9:10]
	v_mul_f64 v[15:16], v[3:4], v[9:10]
	s_delay_alu instid0(VALU_DEP_2) | instskip(NEXT) | instid1(VALU_DEP_2)
	v_fma_f64 v[9:10], v[3:4], v[7:8], -v[11:12]
	v_fma_f64 v[11:12], v[1:2], v[7:8], v[15:16]
	scratch_store_b128 off, v[9:12], off offset:432
.LBB56_123:
	s_or_b32 exec_lo, exec_lo, s2
	s_waitcnt_vscnt null, 0x0
	s_barrier
	buffer_gl0_inv
	scratch_load_b128 v[1:4], v228, off
	s_mov_b32 s2, exec_lo
	s_waitcnt vmcnt(0)
	ds_store_b128 v5, v[1:4]
	s_waitcnt lgkmcnt(0)
	s_barrier
	buffer_gl0_inv
	v_cmpx_gt_u32_e32 28, v156
	s_cbranch_execz .LBB56_127
; %bb.124:
	v_dual_mov_b32 v1, 0 :: v_dual_add_nc_u32 v8, 0x390, v13
	v_dual_mov_b32 v2, 0 :: v_dual_add_nc_u32 v7, -1, v156
	v_or_b32_e32 v9, 8, v14
	s_mov_b32 s3, 0
	s_delay_alu instid0(VALU_DEP_2)
	v_dual_mov_b32 v4, v2 :: v_dual_mov_b32 v3, v1
	.p2align	6
.LBB56_125:                             ; =>This Inner Loop Header: Depth=1
	scratch_load_b128 v[15:18], v9, off offset:-8
	ds_load_b128 v[19:22], v8
	v_add_nc_u32_e32 v7, 1, v7
	v_add_nc_u32_e32 v8, 16, v8
	;; [unrolled: 1-line block ×3, first 2 shown]
	s_delay_alu instid0(VALU_DEP_3) | instskip(SKIP_4) | instid1(VALU_DEP_2)
	v_cmp_lt_u32_e32 vcc_lo, 26, v7
	s_or_b32 s3, vcc_lo, s3
	s_waitcnt vmcnt(0) lgkmcnt(0)
	v_mul_f64 v[10:11], v[21:22], v[17:18]
	v_mul_f64 v[17:18], v[19:20], v[17:18]
	v_fma_f64 v[10:11], v[19:20], v[15:16], -v[10:11]
	s_delay_alu instid0(VALU_DEP_2) | instskip(NEXT) | instid1(VALU_DEP_2)
	v_fma_f64 v[15:16], v[21:22], v[15:16], v[17:18]
	v_add_f64 v[3:4], v[3:4], v[10:11]
	s_delay_alu instid0(VALU_DEP_2)
	v_add_f64 v[1:2], v[1:2], v[15:16]
	s_and_not1_b32 exec_lo, exec_lo, s3
	s_cbranch_execnz .LBB56_125
; %bb.126:
	s_or_b32 exec_lo, exec_lo, s3
	v_mov_b32_e32 v7, 0
	ds_load_b128 v[7:10], v7 offset:448
	s_waitcnt lgkmcnt(0)
	v_mul_f64 v[11:12], v[1:2], v[9:10]
	v_mul_f64 v[15:16], v[3:4], v[9:10]
	s_delay_alu instid0(VALU_DEP_2) | instskip(NEXT) | instid1(VALU_DEP_2)
	v_fma_f64 v[9:10], v[3:4], v[7:8], -v[11:12]
	v_fma_f64 v[11:12], v[1:2], v[7:8], v[15:16]
	scratch_store_b128 off, v[9:12], off offset:448
.LBB56_127:
	s_or_b32 exec_lo, exec_lo, s2
	s_waitcnt_vscnt null, 0x0
	s_barrier
	buffer_gl0_inv
	scratch_load_b128 v[1:4], v227, off
	s_mov_b32 s2, exec_lo
	s_waitcnt vmcnt(0)
	ds_store_b128 v5, v[1:4]
	s_waitcnt lgkmcnt(0)
	s_barrier
	buffer_gl0_inv
	v_cmpx_gt_u32_e32 29, v156
	s_cbranch_execz .LBB56_131
; %bb.128:
	v_dual_mov_b32 v1, 0 :: v_dual_add_nc_u32 v8, 0x390, v13
	v_dual_mov_b32 v2, 0 :: v_dual_add_nc_u32 v7, -1, v156
	v_or_b32_e32 v9, 8, v14
	s_mov_b32 s3, 0
	s_delay_alu instid0(VALU_DEP_2)
	v_dual_mov_b32 v4, v2 :: v_dual_mov_b32 v3, v1
	.p2align	6
.LBB56_129:                             ; =>This Inner Loop Header: Depth=1
	scratch_load_b128 v[15:18], v9, off offset:-8
	ds_load_b128 v[19:22], v8
	v_add_nc_u32_e32 v7, 1, v7
	v_add_nc_u32_e32 v8, 16, v8
	;; [unrolled: 1-line block ×3, first 2 shown]
	s_delay_alu instid0(VALU_DEP_3) | instskip(SKIP_4) | instid1(VALU_DEP_2)
	v_cmp_lt_u32_e32 vcc_lo, 27, v7
	s_or_b32 s3, vcc_lo, s3
	s_waitcnt vmcnt(0) lgkmcnt(0)
	v_mul_f64 v[10:11], v[21:22], v[17:18]
	v_mul_f64 v[17:18], v[19:20], v[17:18]
	v_fma_f64 v[10:11], v[19:20], v[15:16], -v[10:11]
	s_delay_alu instid0(VALU_DEP_2) | instskip(NEXT) | instid1(VALU_DEP_2)
	v_fma_f64 v[15:16], v[21:22], v[15:16], v[17:18]
	v_add_f64 v[3:4], v[3:4], v[10:11]
	s_delay_alu instid0(VALU_DEP_2)
	v_add_f64 v[1:2], v[1:2], v[15:16]
	s_and_not1_b32 exec_lo, exec_lo, s3
	s_cbranch_execnz .LBB56_129
; %bb.130:
	s_or_b32 exec_lo, exec_lo, s3
	v_mov_b32_e32 v7, 0
	ds_load_b128 v[7:10], v7 offset:464
	s_waitcnt lgkmcnt(0)
	v_mul_f64 v[11:12], v[1:2], v[9:10]
	v_mul_f64 v[15:16], v[3:4], v[9:10]
	s_delay_alu instid0(VALU_DEP_2) | instskip(NEXT) | instid1(VALU_DEP_2)
	v_fma_f64 v[9:10], v[3:4], v[7:8], -v[11:12]
	v_fma_f64 v[11:12], v[1:2], v[7:8], v[15:16]
	scratch_store_b128 off, v[9:12], off offset:464
.LBB56_131:
	s_or_b32 exec_lo, exec_lo, s2
	s_waitcnt_vscnt null, 0x0
	s_barrier
	buffer_gl0_inv
	scratch_load_b128 v[1:4], v226, off
	s_mov_b32 s2, exec_lo
	s_waitcnt vmcnt(0)
	ds_store_b128 v5, v[1:4]
	s_waitcnt lgkmcnt(0)
	s_barrier
	buffer_gl0_inv
	v_cmpx_gt_u32_e32 30, v156
	s_cbranch_execz .LBB56_135
; %bb.132:
	v_dual_mov_b32 v1, 0 :: v_dual_add_nc_u32 v8, 0x390, v13
	v_dual_mov_b32 v2, 0 :: v_dual_add_nc_u32 v7, -1, v156
	v_or_b32_e32 v9, 8, v14
	s_mov_b32 s3, 0
	s_delay_alu instid0(VALU_DEP_2)
	v_dual_mov_b32 v4, v2 :: v_dual_mov_b32 v3, v1
	.p2align	6
.LBB56_133:                             ; =>This Inner Loop Header: Depth=1
	scratch_load_b128 v[15:18], v9, off offset:-8
	ds_load_b128 v[19:22], v8
	v_add_nc_u32_e32 v7, 1, v7
	v_add_nc_u32_e32 v8, 16, v8
	;; [unrolled: 1-line block ×3, first 2 shown]
	s_delay_alu instid0(VALU_DEP_3) | instskip(SKIP_4) | instid1(VALU_DEP_2)
	v_cmp_lt_u32_e32 vcc_lo, 28, v7
	s_or_b32 s3, vcc_lo, s3
	s_waitcnt vmcnt(0) lgkmcnt(0)
	v_mul_f64 v[10:11], v[21:22], v[17:18]
	v_mul_f64 v[17:18], v[19:20], v[17:18]
	v_fma_f64 v[10:11], v[19:20], v[15:16], -v[10:11]
	s_delay_alu instid0(VALU_DEP_2) | instskip(NEXT) | instid1(VALU_DEP_2)
	v_fma_f64 v[15:16], v[21:22], v[15:16], v[17:18]
	v_add_f64 v[3:4], v[3:4], v[10:11]
	s_delay_alu instid0(VALU_DEP_2)
	v_add_f64 v[1:2], v[1:2], v[15:16]
	s_and_not1_b32 exec_lo, exec_lo, s3
	s_cbranch_execnz .LBB56_133
; %bb.134:
	s_or_b32 exec_lo, exec_lo, s3
	v_mov_b32_e32 v7, 0
	ds_load_b128 v[7:10], v7 offset:480
	s_waitcnt lgkmcnt(0)
	v_mul_f64 v[11:12], v[1:2], v[9:10]
	v_mul_f64 v[15:16], v[3:4], v[9:10]
	s_delay_alu instid0(VALU_DEP_2) | instskip(NEXT) | instid1(VALU_DEP_2)
	v_fma_f64 v[9:10], v[3:4], v[7:8], -v[11:12]
	v_fma_f64 v[11:12], v[1:2], v[7:8], v[15:16]
	scratch_store_b128 off, v[9:12], off offset:480
.LBB56_135:
	s_or_b32 exec_lo, exec_lo, s2
	s_waitcnt_vscnt null, 0x0
	s_barrier
	buffer_gl0_inv
	scratch_load_b128 v[1:4], v225, off
	s_mov_b32 s2, exec_lo
	s_waitcnt vmcnt(0)
	ds_store_b128 v5, v[1:4]
	s_waitcnt lgkmcnt(0)
	s_barrier
	buffer_gl0_inv
	v_cmpx_gt_u32_e32 31, v156
	s_cbranch_execz .LBB56_139
; %bb.136:
	v_dual_mov_b32 v1, 0 :: v_dual_add_nc_u32 v8, 0x390, v13
	v_dual_mov_b32 v2, 0 :: v_dual_add_nc_u32 v7, -1, v156
	v_or_b32_e32 v9, 8, v14
	s_mov_b32 s3, 0
	s_delay_alu instid0(VALU_DEP_2)
	v_dual_mov_b32 v4, v2 :: v_dual_mov_b32 v3, v1
	.p2align	6
.LBB56_137:                             ; =>This Inner Loop Header: Depth=1
	scratch_load_b128 v[15:18], v9, off offset:-8
	ds_load_b128 v[19:22], v8
	v_add_nc_u32_e32 v7, 1, v7
	v_add_nc_u32_e32 v8, 16, v8
	;; [unrolled: 1-line block ×3, first 2 shown]
	s_delay_alu instid0(VALU_DEP_3) | instskip(SKIP_4) | instid1(VALU_DEP_2)
	v_cmp_lt_u32_e32 vcc_lo, 29, v7
	s_or_b32 s3, vcc_lo, s3
	s_waitcnt vmcnt(0) lgkmcnt(0)
	v_mul_f64 v[10:11], v[21:22], v[17:18]
	v_mul_f64 v[17:18], v[19:20], v[17:18]
	v_fma_f64 v[10:11], v[19:20], v[15:16], -v[10:11]
	s_delay_alu instid0(VALU_DEP_2) | instskip(NEXT) | instid1(VALU_DEP_2)
	v_fma_f64 v[15:16], v[21:22], v[15:16], v[17:18]
	v_add_f64 v[3:4], v[3:4], v[10:11]
	s_delay_alu instid0(VALU_DEP_2)
	v_add_f64 v[1:2], v[1:2], v[15:16]
	s_and_not1_b32 exec_lo, exec_lo, s3
	s_cbranch_execnz .LBB56_137
; %bb.138:
	s_or_b32 exec_lo, exec_lo, s3
	v_mov_b32_e32 v7, 0
	ds_load_b128 v[7:10], v7 offset:496
	s_waitcnt lgkmcnt(0)
	v_mul_f64 v[11:12], v[1:2], v[9:10]
	v_mul_f64 v[15:16], v[3:4], v[9:10]
	s_delay_alu instid0(VALU_DEP_2) | instskip(NEXT) | instid1(VALU_DEP_2)
	v_fma_f64 v[9:10], v[3:4], v[7:8], -v[11:12]
	v_fma_f64 v[11:12], v[1:2], v[7:8], v[15:16]
	scratch_store_b128 off, v[9:12], off offset:496
.LBB56_139:
	s_or_b32 exec_lo, exec_lo, s2
	s_waitcnt_vscnt null, 0x0
	s_barrier
	buffer_gl0_inv
	scratch_load_b128 v[1:4], v224, off
	s_mov_b32 s2, exec_lo
	s_waitcnt vmcnt(0)
	ds_store_b128 v5, v[1:4]
	s_waitcnt lgkmcnt(0)
	s_barrier
	buffer_gl0_inv
	v_cmpx_gt_u32_e32 32, v156
	s_cbranch_execz .LBB56_143
; %bb.140:
	v_dual_mov_b32 v1, 0 :: v_dual_add_nc_u32 v8, 0x390, v13
	v_dual_mov_b32 v2, 0 :: v_dual_add_nc_u32 v7, -1, v156
	v_or_b32_e32 v9, 8, v14
	s_mov_b32 s3, 0
	s_delay_alu instid0(VALU_DEP_2)
	v_dual_mov_b32 v4, v2 :: v_dual_mov_b32 v3, v1
	.p2align	6
.LBB56_141:                             ; =>This Inner Loop Header: Depth=1
	scratch_load_b128 v[15:18], v9, off offset:-8
	ds_load_b128 v[19:22], v8
	v_add_nc_u32_e32 v7, 1, v7
	v_add_nc_u32_e32 v8, 16, v8
	;; [unrolled: 1-line block ×3, first 2 shown]
	s_delay_alu instid0(VALU_DEP_3) | instskip(SKIP_4) | instid1(VALU_DEP_2)
	v_cmp_lt_u32_e32 vcc_lo, 30, v7
	s_or_b32 s3, vcc_lo, s3
	s_waitcnt vmcnt(0) lgkmcnt(0)
	v_mul_f64 v[10:11], v[21:22], v[17:18]
	v_mul_f64 v[17:18], v[19:20], v[17:18]
	v_fma_f64 v[10:11], v[19:20], v[15:16], -v[10:11]
	s_delay_alu instid0(VALU_DEP_2) | instskip(NEXT) | instid1(VALU_DEP_2)
	v_fma_f64 v[15:16], v[21:22], v[15:16], v[17:18]
	v_add_f64 v[3:4], v[3:4], v[10:11]
	s_delay_alu instid0(VALU_DEP_2)
	v_add_f64 v[1:2], v[1:2], v[15:16]
	s_and_not1_b32 exec_lo, exec_lo, s3
	s_cbranch_execnz .LBB56_141
; %bb.142:
	s_or_b32 exec_lo, exec_lo, s3
	v_mov_b32_e32 v7, 0
	ds_load_b128 v[7:10], v7 offset:512
	s_waitcnt lgkmcnt(0)
	v_mul_f64 v[11:12], v[1:2], v[9:10]
	v_mul_f64 v[15:16], v[3:4], v[9:10]
	s_delay_alu instid0(VALU_DEP_2) | instskip(NEXT) | instid1(VALU_DEP_2)
	v_fma_f64 v[9:10], v[3:4], v[7:8], -v[11:12]
	v_fma_f64 v[11:12], v[1:2], v[7:8], v[15:16]
	scratch_store_b128 off, v[9:12], off offset:512
.LBB56_143:
	s_or_b32 exec_lo, exec_lo, s2
	s_waitcnt_vscnt null, 0x0
	s_barrier
	buffer_gl0_inv
	scratch_load_b128 v[1:4], v223, off
	s_mov_b32 s2, exec_lo
	s_waitcnt vmcnt(0)
	ds_store_b128 v5, v[1:4]
	s_waitcnt lgkmcnt(0)
	s_barrier
	buffer_gl0_inv
	v_cmpx_gt_u32_e32 33, v156
	s_cbranch_execz .LBB56_147
; %bb.144:
	v_dual_mov_b32 v1, 0 :: v_dual_add_nc_u32 v8, 0x390, v13
	v_dual_mov_b32 v2, 0 :: v_dual_add_nc_u32 v7, -1, v156
	v_or_b32_e32 v9, 8, v14
	s_mov_b32 s3, 0
	s_delay_alu instid0(VALU_DEP_2)
	v_dual_mov_b32 v4, v2 :: v_dual_mov_b32 v3, v1
	.p2align	6
.LBB56_145:                             ; =>This Inner Loop Header: Depth=1
	scratch_load_b128 v[15:18], v9, off offset:-8
	ds_load_b128 v[19:22], v8
	v_add_nc_u32_e32 v7, 1, v7
	v_add_nc_u32_e32 v8, 16, v8
	;; [unrolled: 1-line block ×3, first 2 shown]
	s_delay_alu instid0(VALU_DEP_3) | instskip(SKIP_4) | instid1(VALU_DEP_2)
	v_cmp_lt_u32_e32 vcc_lo, 31, v7
	s_or_b32 s3, vcc_lo, s3
	s_waitcnt vmcnt(0) lgkmcnt(0)
	v_mul_f64 v[10:11], v[21:22], v[17:18]
	v_mul_f64 v[17:18], v[19:20], v[17:18]
	v_fma_f64 v[10:11], v[19:20], v[15:16], -v[10:11]
	s_delay_alu instid0(VALU_DEP_2) | instskip(NEXT) | instid1(VALU_DEP_2)
	v_fma_f64 v[15:16], v[21:22], v[15:16], v[17:18]
	v_add_f64 v[3:4], v[3:4], v[10:11]
	s_delay_alu instid0(VALU_DEP_2)
	v_add_f64 v[1:2], v[1:2], v[15:16]
	s_and_not1_b32 exec_lo, exec_lo, s3
	s_cbranch_execnz .LBB56_145
; %bb.146:
	s_or_b32 exec_lo, exec_lo, s3
	v_mov_b32_e32 v7, 0
	ds_load_b128 v[7:10], v7 offset:528
	s_waitcnt lgkmcnt(0)
	v_mul_f64 v[11:12], v[1:2], v[9:10]
	v_mul_f64 v[15:16], v[3:4], v[9:10]
	s_delay_alu instid0(VALU_DEP_2) | instskip(NEXT) | instid1(VALU_DEP_2)
	v_fma_f64 v[9:10], v[3:4], v[7:8], -v[11:12]
	v_fma_f64 v[11:12], v[1:2], v[7:8], v[15:16]
	scratch_store_b128 off, v[9:12], off offset:528
.LBB56_147:
	s_or_b32 exec_lo, exec_lo, s2
	s_waitcnt_vscnt null, 0x0
	s_barrier
	buffer_gl0_inv
	scratch_load_b128 v[1:4], v222, off
	s_mov_b32 s2, exec_lo
	s_waitcnt vmcnt(0)
	ds_store_b128 v5, v[1:4]
	s_waitcnt lgkmcnt(0)
	s_barrier
	buffer_gl0_inv
	v_cmpx_gt_u32_e32 34, v156
	s_cbranch_execz .LBB56_151
; %bb.148:
	v_dual_mov_b32 v1, 0 :: v_dual_add_nc_u32 v8, 0x390, v13
	v_dual_mov_b32 v2, 0 :: v_dual_add_nc_u32 v7, -1, v156
	v_or_b32_e32 v9, 8, v14
	s_mov_b32 s3, 0
	s_delay_alu instid0(VALU_DEP_2)
	v_dual_mov_b32 v4, v2 :: v_dual_mov_b32 v3, v1
	.p2align	6
.LBB56_149:                             ; =>This Inner Loop Header: Depth=1
	scratch_load_b128 v[15:18], v9, off offset:-8
	ds_load_b128 v[19:22], v8
	v_add_nc_u32_e32 v7, 1, v7
	v_add_nc_u32_e32 v8, 16, v8
	;; [unrolled: 1-line block ×3, first 2 shown]
	s_delay_alu instid0(VALU_DEP_3) | instskip(SKIP_4) | instid1(VALU_DEP_2)
	v_cmp_lt_u32_e32 vcc_lo, 32, v7
	s_or_b32 s3, vcc_lo, s3
	s_waitcnt vmcnt(0) lgkmcnt(0)
	v_mul_f64 v[10:11], v[21:22], v[17:18]
	v_mul_f64 v[17:18], v[19:20], v[17:18]
	v_fma_f64 v[10:11], v[19:20], v[15:16], -v[10:11]
	s_delay_alu instid0(VALU_DEP_2) | instskip(NEXT) | instid1(VALU_DEP_2)
	v_fma_f64 v[15:16], v[21:22], v[15:16], v[17:18]
	v_add_f64 v[3:4], v[3:4], v[10:11]
	s_delay_alu instid0(VALU_DEP_2)
	v_add_f64 v[1:2], v[1:2], v[15:16]
	s_and_not1_b32 exec_lo, exec_lo, s3
	s_cbranch_execnz .LBB56_149
; %bb.150:
	s_or_b32 exec_lo, exec_lo, s3
	v_mov_b32_e32 v7, 0
	ds_load_b128 v[7:10], v7 offset:544
	s_waitcnt lgkmcnt(0)
	v_mul_f64 v[11:12], v[1:2], v[9:10]
	v_mul_f64 v[15:16], v[3:4], v[9:10]
	s_delay_alu instid0(VALU_DEP_2) | instskip(NEXT) | instid1(VALU_DEP_2)
	v_fma_f64 v[9:10], v[3:4], v[7:8], -v[11:12]
	v_fma_f64 v[11:12], v[1:2], v[7:8], v[15:16]
	scratch_store_b128 off, v[9:12], off offset:544
.LBB56_151:
	s_or_b32 exec_lo, exec_lo, s2
	s_waitcnt_vscnt null, 0x0
	s_barrier
	buffer_gl0_inv
	scratch_load_b128 v[1:4], v221, off
	s_mov_b32 s2, exec_lo
	s_waitcnt vmcnt(0)
	ds_store_b128 v5, v[1:4]
	s_waitcnt lgkmcnt(0)
	s_barrier
	buffer_gl0_inv
	v_cmpx_gt_u32_e32 35, v156
	s_cbranch_execz .LBB56_155
; %bb.152:
	v_dual_mov_b32 v1, 0 :: v_dual_add_nc_u32 v8, 0x390, v13
	v_dual_mov_b32 v2, 0 :: v_dual_add_nc_u32 v7, -1, v156
	v_or_b32_e32 v9, 8, v14
	s_mov_b32 s3, 0
	s_delay_alu instid0(VALU_DEP_2)
	v_dual_mov_b32 v4, v2 :: v_dual_mov_b32 v3, v1
	.p2align	6
.LBB56_153:                             ; =>This Inner Loop Header: Depth=1
	scratch_load_b128 v[15:18], v9, off offset:-8
	ds_load_b128 v[19:22], v8
	v_add_nc_u32_e32 v7, 1, v7
	v_add_nc_u32_e32 v8, 16, v8
	;; [unrolled: 1-line block ×3, first 2 shown]
	s_delay_alu instid0(VALU_DEP_3) | instskip(SKIP_4) | instid1(VALU_DEP_2)
	v_cmp_lt_u32_e32 vcc_lo, 33, v7
	s_or_b32 s3, vcc_lo, s3
	s_waitcnt vmcnt(0) lgkmcnt(0)
	v_mul_f64 v[10:11], v[21:22], v[17:18]
	v_mul_f64 v[17:18], v[19:20], v[17:18]
	v_fma_f64 v[10:11], v[19:20], v[15:16], -v[10:11]
	s_delay_alu instid0(VALU_DEP_2) | instskip(NEXT) | instid1(VALU_DEP_2)
	v_fma_f64 v[15:16], v[21:22], v[15:16], v[17:18]
	v_add_f64 v[3:4], v[3:4], v[10:11]
	s_delay_alu instid0(VALU_DEP_2)
	v_add_f64 v[1:2], v[1:2], v[15:16]
	s_and_not1_b32 exec_lo, exec_lo, s3
	s_cbranch_execnz .LBB56_153
; %bb.154:
	s_or_b32 exec_lo, exec_lo, s3
	v_mov_b32_e32 v7, 0
	ds_load_b128 v[7:10], v7 offset:560
	s_waitcnt lgkmcnt(0)
	v_mul_f64 v[11:12], v[1:2], v[9:10]
	v_mul_f64 v[15:16], v[3:4], v[9:10]
	s_delay_alu instid0(VALU_DEP_2) | instskip(NEXT) | instid1(VALU_DEP_2)
	v_fma_f64 v[9:10], v[3:4], v[7:8], -v[11:12]
	v_fma_f64 v[11:12], v[1:2], v[7:8], v[15:16]
	scratch_store_b128 off, v[9:12], off offset:560
.LBB56_155:
	s_or_b32 exec_lo, exec_lo, s2
	s_waitcnt_vscnt null, 0x0
	s_barrier
	buffer_gl0_inv
	scratch_load_b128 v[1:4], v220, off
	s_mov_b32 s2, exec_lo
	s_waitcnt vmcnt(0)
	ds_store_b128 v5, v[1:4]
	s_waitcnt lgkmcnt(0)
	s_barrier
	buffer_gl0_inv
	v_cmpx_gt_u32_e32 36, v156
	s_cbranch_execz .LBB56_159
; %bb.156:
	v_dual_mov_b32 v1, 0 :: v_dual_add_nc_u32 v8, 0x390, v13
	v_dual_mov_b32 v2, 0 :: v_dual_add_nc_u32 v7, -1, v156
	v_or_b32_e32 v9, 8, v14
	s_mov_b32 s3, 0
	s_delay_alu instid0(VALU_DEP_2)
	v_dual_mov_b32 v4, v2 :: v_dual_mov_b32 v3, v1
	.p2align	6
.LBB56_157:                             ; =>This Inner Loop Header: Depth=1
	scratch_load_b128 v[15:18], v9, off offset:-8
	ds_load_b128 v[19:22], v8
	v_add_nc_u32_e32 v7, 1, v7
	v_add_nc_u32_e32 v8, 16, v8
	;; [unrolled: 1-line block ×3, first 2 shown]
	s_delay_alu instid0(VALU_DEP_3) | instskip(SKIP_4) | instid1(VALU_DEP_2)
	v_cmp_lt_u32_e32 vcc_lo, 34, v7
	s_or_b32 s3, vcc_lo, s3
	s_waitcnt vmcnt(0) lgkmcnt(0)
	v_mul_f64 v[10:11], v[21:22], v[17:18]
	v_mul_f64 v[17:18], v[19:20], v[17:18]
	v_fma_f64 v[10:11], v[19:20], v[15:16], -v[10:11]
	s_delay_alu instid0(VALU_DEP_2) | instskip(NEXT) | instid1(VALU_DEP_2)
	v_fma_f64 v[15:16], v[21:22], v[15:16], v[17:18]
	v_add_f64 v[3:4], v[3:4], v[10:11]
	s_delay_alu instid0(VALU_DEP_2)
	v_add_f64 v[1:2], v[1:2], v[15:16]
	s_and_not1_b32 exec_lo, exec_lo, s3
	s_cbranch_execnz .LBB56_157
; %bb.158:
	s_or_b32 exec_lo, exec_lo, s3
	v_mov_b32_e32 v7, 0
	ds_load_b128 v[7:10], v7 offset:576
	s_waitcnt lgkmcnt(0)
	v_mul_f64 v[11:12], v[1:2], v[9:10]
	v_mul_f64 v[15:16], v[3:4], v[9:10]
	s_delay_alu instid0(VALU_DEP_2) | instskip(NEXT) | instid1(VALU_DEP_2)
	v_fma_f64 v[9:10], v[3:4], v[7:8], -v[11:12]
	v_fma_f64 v[11:12], v[1:2], v[7:8], v[15:16]
	scratch_store_b128 off, v[9:12], off offset:576
.LBB56_159:
	s_or_b32 exec_lo, exec_lo, s2
	s_waitcnt_vscnt null, 0x0
	s_barrier
	buffer_gl0_inv
	scratch_load_b128 v[1:4], v219, off
	s_mov_b32 s2, exec_lo
	s_waitcnt vmcnt(0)
	ds_store_b128 v5, v[1:4]
	s_waitcnt lgkmcnt(0)
	s_barrier
	buffer_gl0_inv
	v_cmpx_gt_u32_e32 37, v156
	s_cbranch_execz .LBB56_163
; %bb.160:
	v_dual_mov_b32 v1, 0 :: v_dual_add_nc_u32 v8, 0x390, v13
	v_dual_mov_b32 v2, 0 :: v_dual_add_nc_u32 v7, -1, v156
	v_or_b32_e32 v9, 8, v14
	s_mov_b32 s3, 0
	s_delay_alu instid0(VALU_DEP_2)
	v_dual_mov_b32 v4, v2 :: v_dual_mov_b32 v3, v1
	.p2align	6
.LBB56_161:                             ; =>This Inner Loop Header: Depth=1
	scratch_load_b128 v[15:18], v9, off offset:-8
	ds_load_b128 v[19:22], v8
	v_add_nc_u32_e32 v7, 1, v7
	v_add_nc_u32_e32 v8, 16, v8
	;; [unrolled: 1-line block ×3, first 2 shown]
	s_delay_alu instid0(VALU_DEP_3) | instskip(SKIP_4) | instid1(VALU_DEP_2)
	v_cmp_lt_u32_e32 vcc_lo, 35, v7
	s_or_b32 s3, vcc_lo, s3
	s_waitcnt vmcnt(0) lgkmcnt(0)
	v_mul_f64 v[10:11], v[21:22], v[17:18]
	v_mul_f64 v[17:18], v[19:20], v[17:18]
	v_fma_f64 v[10:11], v[19:20], v[15:16], -v[10:11]
	s_delay_alu instid0(VALU_DEP_2) | instskip(NEXT) | instid1(VALU_DEP_2)
	v_fma_f64 v[15:16], v[21:22], v[15:16], v[17:18]
	v_add_f64 v[3:4], v[3:4], v[10:11]
	s_delay_alu instid0(VALU_DEP_2)
	v_add_f64 v[1:2], v[1:2], v[15:16]
	s_and_not1_b32 exec_lo, exec_lo, s3
	s_cbranch_execnz .LBB56_161
; %bb.162:
	s_or_b32 exec_lo, exec_lo, s3
	v_mov_b32_e32 v7, 0
	ds_load_b128 v[7:10], v7 offset:592
	s_waitcnt lgkmcnt(0)
	v_mul_f64 v[11:12], v[1:2], v[9:10]
	v_mul_f64 v[15:16], v[3:4], v[9:10]
	s_delay_alu instid0(VALU_DEP_2) | instskip(NEXT) | instid1(VALU_DEP_2)
	v_fma_f64 v[9:10], v[3:4], v[7:8], -v[11:12]
	v_fma_f64 v[11:12], v[1:2], v[7:8], v[15:16]
	scratch_store_b128 off, v[9:12], off offset:592
.LBB56_163:
	s_or_b32 exec_lo, exec_lo, s2
	s_waitcnt_vscnt null, 0x0
	s_barrier
	buffer_gl0_inv
	scratch_load_b128 v[1:4], v218, off
	s_mov_b32 s2, exec_lo
	s_waitcnt vmcnt(0)
	ds_store_b128 v5, v[1:4]
	s_waitcnt lgkmcnt(0)
	s_barrier
	buffer_gl0_inv
	v_cmpx_gt_u32_e32 38, v156
	s_cbranch_execz .LBB56_167
; %bb.164:
	v_dual_mov_b32 v1, 0 :: v_dual_add_nc_u32 v8, 0x390, v13
	v_dual_mov_b32 v2, 0 :: v_dual_add_nc_u32 v7, -1, v156
	v_or_b32_e32 v9, 8, v14
	s_mov_b32 s3, 0
	s_delay_alu instid0(VALU_DEP_2)
	v_dual_mov_b32 v4, v2 :: v_dual_mov_b32 v3, v1
	.p2align	6
.LBB56_165:                             ; =>This Inner Loop Header: Depth=1
	scratch_load_b128 v[15:18], v9, off offset:-8
	ds_load_b128 v[19:22], v8
	v_add_nc_u32_e32 v7, 1, v7
	v_add_nc_u32_e32 v8, 16, v8
	;; [unrolled: 1-line block ×3, first 2 shown]
	s_delay_alu instid0(VALU_DEP_3) | instskip(SKIP_4) | instid1(VALU_DEP_2)
	v_cmp_lt_u32_e32 vcc_lo, 36, v7
	s_or_b32 s3, vcc_lo, s3
	s_waitcnt vmcnt(0) lgkmcnt(0)
	v_mul_f64 v[10:11], v[21:22], v[17:18]
	v_mul_f64 v[17:18], v[19:20], v[17:18]
	v_fma_f64 v[10:11], v[19:20], v[15:16], -v[10:11]
	s_delay_alu instid0(VALU_DEP_2) | instskip(NEXT) | instid1(VALU_DEP_2)
	v_fma_f64 v[15:16], v[21:22], v[15:16], v[17:18]
	v_add_f64 v[3:4], v[3:4], v[10:11]
	s_delay_alu instid0(VALU_DEP_2)
	v_add_f64 v[1:2], v[1:2], v[15:16]
	s_and_not1_b32 exec_lo, exec_lo, s3
	s_cbranch_execnz .LBB56_165
; %bb.166:
	s_or_b32 exec_lo, exec_lo, s3
	v_mov_b32_e32 v7, 0
	ds_load_b128 v[7:10], v7 offset:608
	s_waitcnt lgkmcnt(0)
	v_mul_f64 v[11:12], v[1:2], v[9:10]
	v_mul_f64 v[15:16], v[3:4], v[9:10]
	s_delay_alu instid0(VALU_DEP_2) | instskip(NEXT) | instid1(VALU_DEP_2)
	v_fma_f64 v[9:10], v[3:4], v[7:8], -v[11:12]
	v_fma_f64 v[11:12], v[1:2], v[7:8], v[15:16]
	scratch_store_b128 off, v[9:12], off offset:608
.LBB56_167:
	s_or_b32 exec_lo, exec_lo, s2
	s_waitcnt_vscnt null, 0x0
	s_barrier
	buffer_gl0_inv
	scratch_load_b128 v[1:4], v217, off
	s_mov_b32 s2, exec_lo
	s_waitcnt vmcnt(0)
	ds_store_b128 v5, v[1:4]
	s_waitcnt lgkmcnt(0)
	s_barrier
	buffer_gl0_inv
	v_cmpx_gt_u32_e32 39, v156
	s_cbranch_execz .LBB56_171
; %bb.168:
	v_dual_mov_b32 v1, 0 :: v_dual_add_nc_u32 v8, 0x390, v13
	v_dual_mov_b32 v2, 0 :: v_dual_add_nc_u32 v7, -1, v156
	v_or_b32_e32 v9, 8, v14
	s_mov_b32 s3, 0
	s_delay_alu instid0(VALU_DEP_2)
	v_dual_mov_b32 v4, v2 :: v_dual_mov_b32 v3, v1
	.p2align	6
.LBB56_169:                             ; =>This Inner Loop Header: Depth=1
	scratch_load_b128 v[15:18], v9, off offset:-8
	ds_load_b128 v[19:22], v8
	v_add_nc_u32_e32 v7, 1, v7
	v_add_nc_u32_e32 v8, 16, v8
	;; [unrolled: 1-line block ×3, first 2 shown]
	s_delay_alu instid0(VALU_DEP_3) | instskip(SKIP_4) | instid1(VALU_DEP_2)
	v_cmp_lt_u32_e32 vcc_lo, 37, v7
	s_or_b32 s3, vcc_lo, s3
	s_waitcnt vmcnt(0) lgkmcnt(0)
	v_mul_f64 v[10:11], v[21:22], v[17:18]
	v_mul_f64 v[17:18], v[19:20], v[17:18]
	v_fma_f64 v[10:11], v[19:20], v[15:16], -v[10:11]
	s_delay_alu instid0(VALU_DEP_2) | instskip(NEXT) | instid1(VALU_DEP_2)
	v_fma_f64 v[15:16], v[21:22], v[15:16], v[17:18]
	v_add_f64 v[3:4], v[3:4], v[10:11]
	s_delay_alu instid0(VALU_DEP_2)
	v_add_f64 v[1:2], v[1:2], v[15:16]
	s_and_not1_b32 exec_lo, exec_lo, s3
	s_cbranch_execnz .LBB56_169
; %bb.170:
	s_or_b32 exec_lo, exec_lo, s3
	v_mov_b32_e32 v7, 0
	ds_load_b128 v[7:10], v7 offset:624
	s_waitcnt lgkmcnt(0)
	v_mul_f64 v[11:12], v[1:2], v[9:10]
	v_mul_f64 v[15:16], v[3:4], v[9:10]
	s_delay_alu instid0(VALU_DEP_2) | instskip(NEXT) | instid1(VALU_DEP_2)
	v_fma_f64 v[9:10], v[3:4], v[7:8], -v[11:12]
	v_fma_f64 v[11:12], v[1:2], v[7:8], v[15:16]
	scratch_store_b128 off, v[9:12], off offset:624
.LBB56_171:
	s_or_b32 exec_lo, exec_lo, s2
	s_waitcnt_vscnt null, 0x0
	s_barrier
	buffer_gl0_inv
	scratch_load_b128 v[1:4], v216, off
	s_mov_b32 s2, exec_lo
	s_waitcnt vmcnt(0)
	ds_store_b128 v5, v[1:4]
	s_waitcnt lgkmcnt(0)
	s_barrier
	buffer_gl0_inv
	v_cmpx_gt_u32_e32 40, v156
	s_cbranch_execz .LBB56_175
; %bb.172:
	v_dual_mov_b32 v1, 0 :: v_dual_add_nc_u32 v8, 0x390, v13
	v_dual_mov_b32 v2, 0 :: v_dual_add_nc_u32 v7, -1, v156
	v_or_b32_e32 v9, 8, v14
	s_mov_b32 s3, 0
	s_delay_alu instid0(VALU_DEP_2)
	v_dual_mov_b32 v4, v2 :: v_dual_mov_b32 v3, v1
	.p2align	6
.LBB56_173:                             ; =>This Inner Loop Header: Depth=1
	scratch_load_b128 v[15:18], v9, off offset:-8
	ds_load_b128 v[19:22], v8
	v_add_nc_u32_e32 v7, 1, v7
	v_add_nc_u32_e32 v8, 16, v8
	;; [unrolled: 1-line block ×3, first 2 shown]
	s_delay_alu instid0(VALU_DEP_3) | instskip(SKIP_4) | instid1(VALU_DEP_2)
	v_cmp_lt_u32_e32 vcc_lo, 38, v7
	s_or_b32 s3, vcc_lo, s3
	s_waitcnt vmcnt(0) lgkmcnt(0)
	v_mul_f64 v[10:11], v[21:22], v[17:18]
	v_mul_f64 v[17:18], v[19:20], v[17:18]
	v_fma_f64 v[10:11], v[19:20], v[15:16], -v[10:11]
	s_delay_alu instid0(VALU_DEP_2) | instskip(NEXT) | instid1(VALU_DEP_2)
	v_fma_f64 v[15:16], v[21:22], v[15:16], v[17:18]
	v_add_f64 v[3:4], v[3:4], v[10:11]
	s_delay_alu instid0(VALU_DEP_2)
	v_add_f64 v[1:2], v[1:2], v[15:16]
	s_and_not1_b32 exec_lo, exec_lo, s3
	s_cbranch_execnz .LBB56_173
; %bb.174:
	s_or_b32 exec_lo, exec_lo, s3
	v_mov_b32_e32 v7, 0
	ds_load_b128 v[7:10], v7 offset:640
	s_waitcnt lgkmcnt(0)
	v_mul_f64 v[11:12], v[1:2], v[9:10]
	v_mul_f64 v[15:16], v[3:4], v[9:10]
	s_delay_alu instid0(VALU_DEP_2) | instskip(NEXT) | instid1(VALU_DEP_2)
	v_fma_f64 v[9:10], v[3:4], v[7:8], -v[11:12]
	v_fma_f64 v[11:12], v[1:2], v[7:8], v[15:16]
	scratch_store_b128 off, v[9:12], off offset:640
.LBB56_175:
	s_or_b32 exec_lo, exec_lo, s2
	s_waitcnt_vscnt null, 0x0
	s_barrier
	buffer_gl0_inv
	scratch_load_b128 v[1:4], v215, off
	s_mov_b32 s2, exec_lo
	s_waitcnt vmcnt(0)
	ds_store_b128 v5, v[1:4]
	s_waitcnt lgkmcnt(0)
	s_barrier
	buffer_gl0_inv
	v_cmpx_gt_u32_e32 41, v156
	s_cbranch_execz .LBB56_179
; %bb.176:
	v_dual_mov_b32 v1, 0 :: v_dual_add_nc_u32 v8, 0x390, v13
	v_dual_mov_b32 v2, 0 :: v_dual_add_nc_u32 v7, -1, v156
	v_or_b32_e32 v9, 8, v14
	s_mov_b32 s3, 0
	s_delay_alu instid0(VALU_DEP_2)
	v_dual_mov_b32 v4, v2 :: v_dual_mov_b32 v3, v1
	.p2align	6
.LBB56_177:                             ; =>This Inner Loop Header: Depth=1
	scratch_load_b128 v[15:18], v9, off offset:-8
	ds_load_b128 v[19:22], v8
	v_add_nc_u32_e32 v7, 1, v7
	v_add_nc_u32_e32 v8, 16, v8
	;; [unrolled: 1-line block ×3, first 2 shown]
	s_delay_alu instid0(VALU_DEP_3) | instskip(SKIP_4) | instid1(VALU_DEP_2)
	v_cmp_lt_u32_e32 vcc_lo, 39, v7
	s_or_b32 s3, vcc_lo, s3
	s_waitcnt vmcnt(0) lgkmcnt(0)
	v_mul_f64 v[10:11], v[21:22], v[17:18]
	v_mul_f64 v[17:18], v[19:20], v[17:18]
	v_fma_f64 v[10:11], v[19:20], v[15:16], -v[10:11]
	s_delay_alu instid0(VALU_DEP_2) | instskip(NEXT) | instid1(VALU_DEP_2)
	v_fma_f64 v[15:16], v[21:22], v[15:16], v[17:18]
	v_add_f64 v[3:4], v[3:4], v[10:11]
	s_delay_alu instid0(VALU_DEP_2)
	v_add_f64 v[1:2], v[1:2], v[15:16]
	s_and_not1_b32 exec_lo, exec_lo, s3
	s_cbranch_execnz .LBB56_177
; %bb.178:
	s_or_b32 exec_lo, exec_lo, s3
	v_mov_b32_e32 v7, 0
	ds_load_b128 v[7:10], v7 offset:656
	s_waitcnt lgkmcnt(0)
	v_mul_f64 v[11:12], v[1:2], v[9:10]
	v_mul_f64 v[15:16], v[3:4], v[9:10]
	s_delay_alu instid0(VALU_DEP_2) | instskip(NEXT) | instid1(VALU_DEP_2)
	v_fma_f64 v[9:10], v[3:4], v[7:8], -v[11:12]
	v_fma_f64 v[11:12], v[1:2], v[7:8], v[15:16]
	scratch_store_b128 off, v[9:12], off offset:656
.LBB56_179:
	s_or_b32 exec_lo, exec_lo, s2
	s_waitcnt_vscnt null, 0x0
	s_barrier
	buffer_gl0_inv
	scratch_load_b128 v[1:4], v214, off
	s_mov_b32 s2, exec_lo
	s_waitcnt vmcnt(0)
	ds_store_b128 v5, v[1:4]
	s_waitcnt lgkmcnt(0)
	s_barrier
	buffer_gl0_inv
	v_cmpx_gt_u32_e32 42, v156
	s_cbranch_execz .LBB56_183
; %bb.180:
	v_dual_mov_b32 v1, 0 :: v_dual_add_nc_u32 v8, 0x390, v13
	v_dual_mov_b32 v2, 0 :: v_dual_add_nc_u32 v7, -1, v156
	v_or_b32_e32 v9, 8, v14
	s_mov_b32 s3, 0
	s_delay_alu instid0(VALU_DEP_2)
	v_dual_mov_b32 v4, v2 :: v_dual_mov_b32 v3, v1
	.p2align	6
.LBB56_181:                             ; =>This Inner Loop Header: Depth=1
	scratch_load_b128 v[15:18], v9, off offset:-8
	ds_load_b128 v[19:22], v8
	v_add_nc_u32_e32 v7, 1, v7
	v_add_nc_u32_e32 v8, 16, v8
	;; [unrolled: 1-line block ×3, first 2 shown]
	s_delay_alu instid0(VALU_DEP_3) | instskip(SKIP_4) | instid1(VALU_DEP_2)
	v_cmp_lt_u32_e32 vcc_lo, 40, v7
	s_or_b32 s3, vcc_lo, s3
	s_waitcnt vmcnt(0) lgkmcnt(0)
	v_mul_f64 v[10:11], v[21:22], v[17:18]
	v_mul_f64 v[17:18], v[19:20], v[17:18]
	v_fma_f64 v[10:11], v[19:20], v[15:16], -v[10:11]
	s_delay_alu instid0(VALU_DEP_2) | instskip(NEXT) | instid1(VALU_DEP_2)
	v_fma_f64 v[15:16], v[21:22], v[15:16], v[17:18]
	v_add_f64 v[3:4], v[3:4], v[10:11]
	s_delay_alu instid0(VALU_DEP_2)
	v_add_f64 v[1:2], v[1:2], v[15:16]
	s_and_not1_b32 exec_lo, exec_lo, s3
	s_cbranch_execnz .LBB56_181
; %bb.182:
	s_or_b32 exec_lo, exec_lo, s3
	v_mov_b32_e32 v7, 0
	ds_load_b128 v[7:10], v7 offset:672
	s_waitcnt lgkmcnt(0)
	v_mul_f64 v[11:12], v[1:2], v[9:10]
	v_mul_f64 v[15:16], v[3:4], v[9:10]
	s_delay_alu instid0(VALU_DEP_2) | instskip(NEXT) | instid1(VALU_DEP_2)
	v_fma_f64 v[9:10], v[3:4], v[7:8], -v[11:12]
	v_fma_f64 v[11:12], v[1:2], v[7:8], v[15:16]
	scratch_store_b128 off, v[9:12], off offset:672
.LBB56_183:
	s_or_b32 exec_lo, exec_lo, s2
	s_waitcnt_vscnt null, 0x0
	s_barrier
	buffer_gl0_inv
	scratch_load_b128 v[1:4], v174, off
	s_mov_b32 s2, exec_lo
	s_waitcnt vmcnt(0)
	ds_store_b128 v5, v[1:4]
	s_waitcnt lgkmcnt(0)
	s_barrier
	buffer_gl0_inv
	v_cmpx_gt_u32_e32 43, v156
	s_cbranch_execz .LBB56_187
; %bb.184:
	v_dual_mov_b32 v1, 0 :: v_dual_add_nc_u32 v8, 0x390, v13
	v_dual_mov_b32 v2, 0 :: v_dual_add_nc_u32 v7, -1, v156
	v_or_b32_e32 v9, 8, v14
	s_mov_b32 s3, 0
	s_delay_alu instid0(VALU_DEP_2)
	v_dual_mov_b32 v4, v2 :: v_dual_mov_b32 v3, v1
	.p2align	6
.LBB56_185:                             ; =>This Inner Loop Header: Depth=1
	scratch_load_b128 v[15:18], v9, off offset:-8
	ds_load_b128 v[19:22], v8
	v_add_nc_u32_e32 v7, 1, v7
	v_add_nc_u32_e32 v8, 16, v8
	;; [unrolled: 1-line block ×3, first 2 shown]
	s_delay_alu instid0(VALU_DEP_3) | instskip(SKIP_4) | instid1(VALU_DEP_2)
	v_cmp_lt_u32_e32 vcc_lo, 41, v7
	s_or_b32 s3, vcc_lo, s3
	s_waitcnt vmcnt(0) lgkmcnt(0)
	v_mul_f64 v[10:11], v[21:22], v[17:18]
	v_mul_f64 v[17:18], v[19:20], v[17:18]
	v_fma_f64 v[10:11], v[19:20], v[15:16], -v[10:11]
	s_delay_alu instid0(VALU_DEP_2) | instskip(NEXT) | instid1(VALU_DEP_2)
	v_fma_f64 v[15:16], v[21:22], v[15:16], v[17:18]
	v_add_f64 v[3:4], v[3:4], v[10:11]
	s_delay_alu instid0(VALU_DEP_2)
	v_add_f64 v[1:2], v[1:2], v[15:16]
	s_and_not1_b32 exec_lo, exec_lo, s3
	s_cbranch_execnz .LBB56_185
; %bb.186:
	s_or_b32 exec_lo, exec_lo, s3
	v_mov_b32_e32 v7, 0
	ds_load_b128 v[7:10], v7 offset:688
	s_waitcnt lgkmcnt(0)
	v_mul_f64 v[11:12], v[1:2], v[9:10]
	v_mul_f64 v[15:16], v[3:4], v[9:10]
	s_delay_alu instid0(VALU_DEP_2) | instskip(NEXT) | instid1(VALU_DEP_2)
	v_fma_f64 v[9:10], v[3:4], v[7:8], -v[11:12]
	v_fma_f64 v[11:12], v[1:2], v[7:8], v[15:16]
	scratch_store_b128 off, v[9:12], off offset:688
.LBB56_187:
	s_or_b32 exec_lo, exec_lo, s2
	s_waitcnt_vscnt null, 0x0
	s_barrier
	buffer_gl0_inv
	scratch_load_b128 v[1:4], v173, off
	s_mov_b32 s2, exec_lo
	s_waitcnt vmcnt(0)
	ds_store_b128 v5, v[1:4]
	s_waitcnt lgkmcnt(0)
	s_barrier
	buffer_gl0_inv
	v_cmpx_gt_u32_e32 44, v156
	s_cbranch_execz .LBB56_191
; %bb.188:
	v_dual_mov_b32 v1, 0 :: v_dual_add_nc_u32 v8, 0x390, v13
	v_dual_mov_b32 v2, 0 :: v_dual_add_nc_u32 v7, -1, v156
	v_or_b32_e32 v9, 8, v14
	s_mov_b32 s3, 0
	s_delay_alu instid0(VALU_DEP_2)
	v_dual_mov_b32 v4, v2 :: v_dual_mov_b32 v3, v1
	.p2align	6
.LBB56_189:                             ; =>This Inner Loop Header: Depth=1
	scratch_load_b128 v[15:18], v9, off offset:-8
	ds_load_b128 v[19:22], v8
	v_add_nc_u32_e32 v7, 1, v7
	v_add_nc_u32_e32 v8, 16, v8
	;; [unrolled: 1-line block ×3, first 2 shown]
	s_delay_alu instid0(VALU_DEP_3) | instskip(SKIP_4) | instid1(VALU_DEP_2)
	v_cmp_lt_u32_e32 vcc_lo, 42, v7
	s_or_b32 s3, vcc_lo, s3
	s_waitcnt vmcnt(0) lgkmcnt(0)
	v_mul_f64 v[10:11], v[21:22], v[17:18]
	v_mul_f64 v[17:18], v[19:20], v[17:18]
	v_fma_f64 v[10:11], v[19:20], v[15:16], -v[10:11]
	s_delay_alu instid0(VALU_DEP_2) | instskip(NEXT) | instid1(VALU_DEP_2)
	v_fma_f64 v[15:16], v[21:22], v[15:16], v[17:18]
	v_add_f64 v[3:4], v[3:4], v[10:11]
	s_delay_alu instid0(VALU_DEP_2)
	v_add_f64 v[1:2], v[1:2], v[15:16]
	s_and_not1_b32 exec_lo, exec_lo, s3
	s_cbranch_execnz .LBB56_189
; %bb.190:
	s_or_b32 exec_lo, exec_lo, s3
	v_mov_b32_e32 v7, 0
	ds_load_b128 v[7:10], v7 offset:704
	s_waitcnt lgkmcnt(0)
	v_mul_f64 v[11:12], v[1:2], v[9:10]
	v_mul_f64 v[15:16], v[3:4], v[9:10]
	s_delay_alu instid0(VALU_DEP_2) | instskip(NEXT) | instid1(VALU_DEP_2)
	v_fma_f64 v[9:10], v[3:4], v[7:8], -v[11:12]
	v_fma_f64 v[11:12], v[1:2], v[7:8], v[15:16]
	scratch_store_b128 off, v[9:12], off offset:704
.LBB56_191:
	s_or_b32 exec_lo, exec_lo, s2
	s_waitcnt_vscnt null, 0x0
	s_barrier
	buffer_gl0_inv
	scratch_load_b128 v[1:4], v170, off
	s_mov_b32 s2, exec_lo
	s_waitcnt vmcnt(0)
	ds_store_b128 v5, v[1:4]
	s_waitcnt lgkmcnt(0)
	s_barrier
	buffer_gl0_inv
	v_cmpx_gt_u32_e32 45, v156
	s_cbranch_execz .LBB56_195
; %bb.192:
	v_dual_mov_b32 v1, 0 :: v_dual_add_nc_u32 v8, 0x390, v13
	v_dual_mov_b32 v2, 0 :: v_dual_add_nc_u32 v7, -1, v156
	v_or_b32_e32 v9, 8, v14
	s_mov_b32 s3, 0
	s_delay_alu instid0(VALU_DEP_2)
	v_dual_mov_b32 v4, v2 :: v_dual_mov_b32 v3, v1
	.p2align	6
.LBB56_193:                             ; =>This Inner Loop Header: Depth=1
	scratch_load_b128 v[15:18], v9, off offset:-8
	ds_load_b128 v[19:22], v8
	v_add_nc_u32_e32 v7, 1, v7
	v_add_nc_u32_e32 v8, 16, v8
	v_add_nc_u32_e32 v9, 16, v9
	s_delay_alu instid0(VALU_DEP_3) | instskip(SKIP_4) | instid1(VALU_DEP_2)
	v_cmp_lt_u32_e32 vcc_lo, 43, v7
	s_or_b32 s3, vcc_lo, s3
	s_waitcnt vmcnt(0) lgkmcnt(0)
	v_mul_f64 v[10:11], v[21:22], v[17:18]
	v_mul_f64 v[17:18], v[19:20], v[17:18]
	v_fma_f64 v[10:11], v[19:20], v[15:16], -v[10:11]
	s_delay_alu instid0(VALU_DEP_2) | instskip(NEXT) | instid1(VALU_DEP_2)
	v_fma_f64 v[15:16], v[21:22], v[15:16], v[17:18]
	v_add_f64 v[3:4], v[3:4], v[10:11]
	s_delay_alu instid0(VALU_DEP_2)
	v_add_f64 v[1:2], v[1:2], v[15:16]
	s_and_not1_b32 exec_lo, exec_lo, s3
	s_cbranch_execnz .LBB56_193
; %bb.194:
	s_or_b32 exec_lo, exec_lo, s3
	v_mov_b32_e32 v7, 0
	ds_load_b128 v[7:10], v7 offset:720
	s_waitcnt lgkmcnt(0)
	v_mul_f64 v[11:12], v[1:2], v[9:10]
	v_mul_f64 v[15:16], v[3:4], v[9:10]
	s_delay_alu instid0(VALU_DEP_2) | instskip(NEXT) | instid1(VALU_DEP_2)
	v_fma_f64 v[9:10], v[3:4], v[7:8], -v[11:12]
	v_fma_f64 v[11:12], v[1:2], v[7:8], v[15:16]
	scratch_store_b128 off, v[9:12], off offset:720
.LBB56_195:
	s_or_b32 exec_lo, exec_lo, s2
	s_waitcnt_vscnt null, 0x0
	s_barrier
	buffer_gl0_inv
	scratch_load_b128 v[1:4], v169, off
	s_mov_b32 s2, exec_lo
	s_waitcnt vmcnt(0)
	ds_store_b128 v5, v[1:4]
	s_waitcnt lgkmcnt(0)
	s_barrier
	buffer_gl0_inv
	v_cmpx_gt_u32_e32 46, v156
	s_cbranch_execz .LBB56_199
; %bb.196:
	v_dual_mov_b32 v1, 0 :: v_dual_add_nc_u32 v8, 0x390, v13
	v_dual_mov_b32 v2, 0 :: v_dual_add_nc_u32 v7, -1, v156
	v_or_b32_e32 v9, 8, v14
	s_mov_b32 s3, 0
	s_delay_alu instid0(VALU_DEP_2)
	v_dual_mov_b32 v4, v2 :: v_dual_mov_b32 v3, v1
	.p2align	6
.LBB56_197:                             ; =>This Inner Loop Header: Depth=1
	scratch_load_b128 v[15:18], v9, off offset:-8
	ds_load_b128 v[19:22], v8
	v_add_nc_u32_e32 v7, 1, v7
	v_add_nc_u32_e32 v8, 16, v8
	;; [unrolled: 1-line block ×3, first 2 shown]
	s_delay_alu instid0(VALU_DEP_3) | instskip(SKIP_4) | instid1(VALU_DEP_2)
	v_cmp_lt_u32_e32 vcc_lo, 44, v7
	s_or_b32 s3, vcc_lo, s3
	s_waitcnt vmcnt(0) lgkmcnt(0)
	v_mul_f64 v[10:11], v[21:22], v[17:18]
	v_mul_f64 v[17:18], v[19:20], v[17:18]
	v_fma_f64 v[10:11], v[19:20], v[15:16], -v[10:11]
	s_delay_alu instid0(VALU_DEP_2) | instskip(NEXT) | instid1(VALU_DEP_2)
	v_fma_f64 v[15:16], v[21:22], v[15:16], v[17:18]
	v_add_f64 v[3:4], v[3:4], v[10:11]
	s_delay_alu instid0(VALU_DEP_2)
	v_add_f64 v[1:2], v[1:2], v[15:16]
	s_and_not1_b32 exec_lo, exec_lo, s3
	s_cbranch_execnz .LBB56_197
; %bb.198:
	s_or_b32 exec_lo, exec_lo, s3
	v_mov_b32_e32 v7, 0
	ds_load_b128 v[7:10], v7 offset:736
	s_waitcnt lgkmcnt(0)
	v_mul_f64 v[11:12], v[1:2], v[9:10]
	v_mul_f64 v[15:16], v[3:4], v[9:10]
	s_delay_alu instid0(VALU_DEP_2) | instskip(NEXT) | instid1(VALU_DEP_2)
	v_fma_f64 v[9:10], v[3:4], v[7:8], -v[11:12]
	v_fma_f64 v[11:12], v[1:2], v[7:8], v[15:16]
	scratch_store_b128 off, v[9:12], off offset:736
.LBB56_199:
	s_or_b32 exec_lo, exec_lo, s2
	s_waitcnt_vscnt null, 0x0
	s_barrier
	buffer_gl0_inv
	scratch_load_b128 v[1:4], v166, off
	s_mov_b32 s2, exec_lo
	s_waitcnt vmcnt(0)
	ds_store_b128 v5, v[1:4]
	s_waitcnt lgkmcnt(0)
	s_barrier
	buffer_gl0_inv
	v_cmpx_gt_u32_e32 47, v156
	s_cbranch_execz .LBB56_203
; %bb.200:
	v_dual_mov_b32 v1, 0 :: v_dual_add_nc_u32 v8, 0x390, v13
	v_dual_mov_b32 v2, 0 :: v_dual_add_nc_u32 v7, -1, v156
	v_or_b32_e32 v9, 8, v14
	s_mov_b32 s3, 0
	s_delay_alu instid0(VALU_DEP_2)
	v_dual_mov_b32 v4, v2 :: v_dual_mov_b32 v3, v1
	.p2align	6
.LBB56_201:                             ; =>This Inner Loop Header: Depth=1
	scratch_load_b128 v[15:18], v9, off offset:-8
	ds_load_b128 v[19:22], v8
	v_add_nc_u32_e32 v7, 1, v7
	v_add_nc_u32_e32 v8, 16, v8
	;; [unrolled: 1-line block ×3, first 2 shown]
	s_delay_alu instid0(VALU_DEP_3) | instskip(SKIP_4) | instid1(VALU_DEP_2)
	v_cmp_lt_u32_e32 vcc_lo, 45, v7
	s_or_b32 s3, vcc_lo, s3
	s_waitcnt vmcnt(0) lgkmcnt(0)
	v_mul_f64 v[10:11], v[21:22], v[17:18]
	v_mul_f64 v[17:18], v[19:20], v[17:18]
	v_fma_f64 v[10:11], v[19:20], v[15:16], -v[10:11]
	s_delay_alu instid0(VALU_DEP_2) | instskip(NEXT) | instid1(VALU_DEP_2)
	v_fma_f64 v[15:16], v[21:22], v[15:16], v[17:18]
	v_add_f64 v[3:4], v[3:4], v[10:11]
	s_delay_alu instid0(VALU_DEP_2)
	v_add_f64 v[1:2], v[1:2], v[15:16]
	s_and_not1_b32 exec_lo, exec_lo, s3
	s_cbranch_execnz .LBB56_201
; %bb.202:
	s_or_b32 exec_lo, exec_lo, s3
	v_mov_b32_e32 v7, 0
	ds_load_b128 v[7:10], v7 offset:752
	s_waitcnt lgkmcnt(0)
	v_mul_f64 v[11:12], v[1:2], v[9:10]
	v_mul_f64 v[15:16], v[3:4], v[9:10]
	s_delay_alu instid0(VALU_DEP_2) | instskip(NEXT) | instid1(VALU_DEP_2)
	v_fma_f64 v[9:10], v[3:4], v[7:8], -v[11:12]
	v_fma_f64 v[11:12], v[1:2], v[7:8], v[15:16]
	scratch_store_b128 off, v[9:12], off offset:752
.LBB56_203:
	s_or_b32 exec_lo, exec_lo, s2
	s_waitcnt_vscnt null, 0x0
	s_barrier
	buffer_gl0_inv
	scratch_load_b128 v[1:4], v165, off
	s_mov_b32 s2, exec_lo
	s_waitcnt vmcnt(0)
	ds_store_b128 v5, v[1:4]
	s_waitcnt lgkmcnt(0)
	s_barrier
	buffer_gl0_inv
	v_cmpx_gt_u32_e32 48, v156
	s_cbranch_execz .LBB56_207
; %bb.204:
	v_dual_mov_b32 v1, 0 :: v_dual_add_nc_u32 v8, 0x390, v13
	v_dual_mov_b32 v2, 0 :: v_dual_add_nc_u32 v7, -1, v156
	v_or_b32_e32 v9, 8, v14
	s_mov_b32 s3, 0
	s_delay_alu instid0(VALU_DEP_2)
	v_dual_mov_b32 v4, v2 :: v_dual_mov_b32 v3, v1
	.p2align	6
.LBB56_205:                             ; =>This Inner Loop Header: Depth=1
	scratch_load_b128 v[15:18], v9, off offset:-8
	ds_load_b128 v[19:22], v8
	v_add_nc_u32_e32 v7, 1, v7
	v_add_nc_u32_e32 v8, 16, v8
	;; [unrolled: 1-line block ×3, first 2 shown]
	s_delay_alu instid0(VALU_DEP_3) | instskip(SKIP_4) | instid1(VALU_DEP_2)
	v_cmp_lt_u32_e32 vcc_lo, 46, v7
	s_or_b32 s3, vcc_lo, s3
	s_waitcnt vmcnt(0) lgkmcnt(0)
	v_mul_f64 v[10:11], v[21:22], v[17:18]
	v_mul_f64 v[17:18], v[19:20], v[17:18]
	v_fma_f64 v[10:11], v[19:20], v[15:16], -v[10:11]
	s_delay_alu instid0(VALU_DEP_2) | instskip(NEXT) | instid1(VALU_DEP_2)
	v_fma_f64 v[15:16], v[21:22], v[15:16], v[17:18]
	v_add_f64 v[3:4], v[3:4], v[10:11]
	s_delay_alu instid0(VALU_DEP_2)
	v_add_f64 v[1:2], v[1:2], v[15:16]
	s_and_not1_b32 exec_lo, exec_lo, s3
	s_cbranch_execnz .LBB56_205
; %bb.206:
	s_or_b32 exec_lo, exec_lo, s3
	v_mov_b32_e32 v7, 0
	ds_load_b128 v[7:10], v7 offset:768
	s_waitcnt lgkmcnt(0)
	v_mul_f64 v[11:12], v[1:2], v[9:10]
	v_mul_f64 v[15:16], v[3:4], v[9:10]
	s_delay_alu instid0(VALU_DEP_2) | instskip(NEXT) | instid1(VALU_DEP_2)
	v_fma_f64 v[9:10], v[3:4], v[7:8], -v[11:12]
	v_fma_f64 v[11:12], v[1:2], v[7:8], v[15:16]
	scratch_store_b128 off, v[9:12], off offset:768
.LBB56_207:
	s_or_b32 exec_lo, exec_lo, s2
	s_waitcnt_vscnt null, 0x0
	s_barrier
	buffer_gl0_inv
	scratch_load_b128 v[1:4], v164, off
	s_mov_b32 s2, exec_lo
	s_waitcnt vmcnt(0)
	ds_store_b128 v5, v[1:4]
	s_waitcnt lgkmcnt(0)
	s_barrier
	buffer_gl0_inv
	v_cmpx_gt_u32_e32 49, v156
	s_cbranch_execz .LBB56_211
; %bb.208:
	v_dual_mov_b32 v1, 0 :: v_dual_add_nc_u32 v8, 0x390, v13
	v_dual_mov_b32 v2, 0 :: v_dual_add_nc_u32 v7, -1, v156
	v_or_b32_e32 v9, 8, v14
	s_mov_b32 s3, 0
	s_delay_alu instid0(VALU_DEP_2)
	v_dual_mov_b32 v4, v2 :: v_dual_mov_b32 v3, v1
	.p2align	6
.LBB56_209:                             ; =>This Inner Loop Header: Depth=1
	scratch_load_b128 v[15:18], v9, off offset:-8
	ds_load_b128 v[19:22], v8
	v_add_nc_u32_e32 v7, 1, v7
	v_add_nc_u32_e32 v8, 16, v8
	;; [unrolled: 1-line block ×3, first 2 shown]
	s_delay_alu instid0(VALU_DEP_3) | instskip(SKIP_4) | instid1(VALU_DEP_2)
	v_cmp_lt_u32_e32 vcc_lo, 47, v7
	s_or_b32 s3, vcc_lo, s3
	s_waitcnt vmcnt(0) lgkmcnt(0)
	v_mul_f64 v[10:11], v[21:22], v[17:18]
	v_mul_f64 v[17:18], v[19:20], v[17:18]
	v_fma_f64 v[10:11], v[19:20], v[15:16], -v[10:11]
	s_delay_alu instid0(VALU_DEP_2) | instskip(NEXT) | instid1(VALU_DEP_2)
	v_fma_f64 v[15:16], v[21:22], v[15:16], v[17:18]
	v_add_f64 v[3:4], v[3:4], v[10:11]
	s_delay_alu instid0(VALU_DEP_2)
	v_add_f64 v[1:2], v[1:2], v[15:16]
	s_and_not1_b32 exec_lo, exec_lo, s3
	s_cbranch_execnz .LBB56_209
; %bb.210:
	s_or_b32 exec_lo, exec_lo, s3
	v_mov_b32_e32 v7, 0
	ds_load_b128 v[7:10], v7 offset:784
	s_waitcnt lgkmcnt(0)
	v_mul_f64 v[11:12], v[1:2], v[9:10]
	v_mul_f64 v[15:16], v[3:4], v[9:10]
	s_delay_alu instid0(VALU_DEP_2) | instskip(NEXT) | instid1(VALU_DEP_2)
	v_fma_f64 v[9:10], v[3:4], v[7:8], -v[11:12]
	v_fma_f64 v[11:12], v[1:2], v[7:8], v[15:16]
	scratch_store_b128 off, v[9:12], off offset:784
.LBB56_211:
	s_or_b32 exec_lo, exec_lo, s2
	s_waitcnt_vscnt null, 0x0
	s_barrier
	buffer_gl0_inv
	scratch_load_b128 v[1:4], v163, off
	s_mov_b32 s2, exec_lo
	s_waitcnt vmcnt(0)
	ds_store_b128 v5, v[1:4]
	s_waitcnt lgkmcnt(0)
	s_barrier
	buffer_gl0_inv
	v_cmpx_gt_u32_e32 50, v156
	s_cbranch_execz .LBB56_215
; %bb.212:
	v_dual_mov_b32 v1, 0 :: v_dual_add_nc_u32 v8, 0x390, v13
	v_dual_mov_b32 v2, 0 :: v_dual_add_nc_u32 v7, -1, v156
	v_or_b32_e32 v9, 8, v14
	s_mov_b32 s3, 0
	s_delay_alu instid0(VALU_DEP_2)
	v_dual_mov_b32 v4, v2 :: v_dual_mov_b32 v3, v1
	.p2align	6
.LBB56_213:                             ; =>This Inner Loop Header: Depth=1
	scratch_load_b128 v[15:18], v9, off offset:-8
	ds_load_b128 v[19:22], v8
	v_add_nc_u32_e32 v7, 1, v7
	v_add_nc_u32_e32 v8, 16, v8
	;; [unrolled: 1-line block ×3, first 2 shown]
	s_delay_alu instid0(VALU_DEP_3) | instskip(SKIP_4) | instid1(VALU_DEP_2)
	v_cmp_lt_u32_e32 vcc_lo, 48, v7
	s_or_b32 s3, vcc_lo, s3
	s_waitcnt vmcnt(0) lgkmcnt(0)
	v_mul_f64 v[10:11], v[21:22], v[17:18]
	v_mul_f64 v[17:18], v[19:20], v[17:18]
	v_fma_f64 v[10:11], v[19:20], v[15:16], -v[10:11]
	s_delay_alu instid0(VALU_DEP_2) | instskip(NEXT) | instid1(VALU_DEP_2)
	v_fma_f64 v[15:16], v[21:22], v[15:16], v[17:18]
	v_add_f64 v[3:4], v[3:4], v[10:11]
	s_delay_alu instid0(VALU_DEP_2)
	v_add_f64 v[1:2], v[1:2], v[15:16]
	s_and_not1_b32 exec_lo, exec_lo, s3
	s_cbranch_execnz .LBB56_213
; %bb.214:
	s_or_b32 exec_lo, exec_lo, s3
	v_mov_b32_e32 v7, 0
	ds_load_b128 v[7:10], v7 offset:800
	s_waitcnt lgkmcnt(0)
	v_mul_f64 v[11:12], v[1:2], v[9:10]
	v_mul_f64 v[15:16], v[3:4], v[9:10]
	s_delay_alu instid0(VALU_DEP_2) | instskip(NEXT) | instid1(VALU_DEP_2)
	v_fma_f64 v[9:10], v[3:4], v[7:8], -v[11:12]
	v_fma_f64 v[11:12], v[1:2], v[7:8], v[15:16]
	scratch_store_b128 off, v[9:12], off offset:800
.LBB56_215:
	s_or_b32 exec_lo, exec_lo, s2
	s_waitcnt_vscnt null, 0x0
	s_barrier
	buffer_gl0_inv
	scratch_load_b128 v[1:4], v162, off
	s_mov_b32 s2, exec_lo
	s_waitcnt vmcnt(0)
	ds_store_b128 v5, v[1:4]
	s_waitcnt lgkmcnt(0)
	s_barrier
	buffer_gl0_inv
	v_cmpx_gt_u32_e32 51, v156
	s_cbranch_execz .LBB56_219
; %bb.216:
	v_dual_mov_b32 v1, 0 :: v_dual_add_nc_u32 v8, 0x390, v13
	v_dual_mov_b32 v2, 0 :: v_dual_add_nc_u32 v7, -1, v156
	v_or_b32_e32 v9, 8, v14
	s_mov_b32 s3, 0
	s_delay_alu instid0(VALU_DEP_2)
	v_dual_mov_b32 v4, v2 :: v_dual_mov_b32 v3, v1
	.p2align	6
.LBB56_217:                             ; =>This Inner Loop Header: Depth=1
	scratch_load_b128 v[15:18], v9, off offset:-8
	ds_load_b128 v[19:22], v8
	v_add_nc_u32_e32 v7, 1, v7
	v_add_nc_u32_e32 v8, 16, v8
	;; [unrolled: 1-line block ×3, first 2 shown]
	s_delay_alu instid0(VALU_DEP_3) | instskip(SKIP_4) | instid1(VALU_DEP_2)
	v_cmp_lt_u32_e32 vcc_lo, 49, v7
	s_or_b32 s3, vcc_lo, s3
	s_waitcnt vmcnt(0) lgkmcnt(0)
	v_mul_f64 v[10:11], v[21:22], v[17:18]
	v_mul_f64 v[17:18], v[19:20], v[17:18]
	v_fma_f64 v[10:11], v[19:20], v[15:16], -v[10:11]
	s_delay_alu instid0(VALU_DEP_2) | instskip(NEXT) | instid1(VALU_DEP_2)
	v_fma_f64 v[15:16], v[21:22], v[15:16], v[17:18]
	v_add_f64 v[3:4], v[3:4], v[10:11]
	s_delay_alu instid0(VALU_DEP_2)
	v_add_f64 v[1:2], v[1:2], v[15:16]
	s_and_not1_b32 exec_lo, exec_lo, s3
	s_cbranch_execnz .LBB56_217
; %bb.218:
	s_or_b32 exec_lo, exec_lo, s3
	v_mov_b32_e32 v7, 0
	ds_load_b128 v[7:10], v7 offset:816
	s_waitcnt lgkmcnt(0)
	v_mul_f64 v[11:12], v[1:2], v[9:10]
	v_mul_f64 v[15:16], v[3:4], v[9:10]
	s_delay_alu instid0(VALU_DEP_2) | instskip(NEXT) | instid1(VALU_DEP_2)
	v_fma_f64 v[9:10], v[3:4], v[7:8], -v[11:12]
	v_fma_f64 v[11:12], v[1:2], v[7:8], v[15:16]
	scratch_store_b128 off, v[9:12], off offset:816
.LBB56_219:
	s_or_b32 exec_lo, exec_lo, s2
	s_waitcnt_vscnt null, 0x0
	s_barrier
	buffer_gl0_inv
	scratch_load_b128 v[1:4], v161, off
	s_mov_b32 s2, exec_lo
	s_waitcnt vmcnt(0)
	ds_store_b128 v5, v[1:4]
	s_waitcnt lgkmcnt(0)
	s_barrier
	buffer_gl0_inv
	v_cmpx_gt_u32_e32 52, v156
	s_cbranch_execz .LBB56_223
; %bb.220:
	v_dual_mov_b32 v1, 0 :: v_dual_add_nc_u32 v8, 0x390, v13
	v_dual_mov_b32 v2, 0 :: v_dual_add_nc_u32 v7, -1, v156
	v_or_b32_e32 v9, 8, v14
	s_mov_b32 s3, 0
	s_delay_alu instid0(VALU_DEP_2)
	v_dual_mov_b32 v4, v2 :: v_dual_mov_b32 v3, v1
	.p2align	6
.LBB56_221:                             ; =>This Inner Loop Header: Depth=1
	scratch_load_b128 v[15:18], v9, off offset:-8
	ds_load_b128 v[19:22], v8
	v_add_nc_u32_e32 v7, 1, v7
	v_add_nc_u32_e32 v8, 16, v8
	;; [unrolled: 1-line block ×3, first 2 shown]
	s_delay_alu instid0(VALU_DEP_3) | instskip(SKIP_4) | instid1(VALU_DEP_2)
	v_cmp_lt_u32_e32 vcc_lo, 50, v7
	s_or_b32 s3, vcc_lo, s3
	s_waitcnt vmcnt(0) lgkmcnt(0)
	v_mul_f64 v[10:11], v[21:22], v[17:18]
	v_mul_f64 v[17:18], v[19:20], v[17:18]
	v_fma_f64 v[10:11], v[19:20], v[15:16], -v[10:11]
	s_delay_alu instid0(VALU_DEP_2) | instskip(NEXT) | instid1(VALU_DEP_2)
	v_fma_f64 v[15:16], v[21:22], v[15:16], v[17:18]
	v_add_f64 v[3:4], v[3:4], v[10:11]
	s_delay_alu instid0(VALU_DEP_2)
	v_add_f64 v[1:2], v[1:2], v[15:16]
	s_and_not1_b32 exec_lo, exec_lo, s3
	s_cbranch_execnz .LBB56_221
; %bb.222:
	s_or_b32 exec_lo, exec_lo, s3
	v_mov_b32_e32 v7, 0
	ds_load_b128 v[7:10], v7 offset:832
	s_waitcnt lgkmcnt(0)
	v_mul_f64 v[11:12], v[1:2], v[9:10]
	v_mul_f64 v[15:16], v[3:4], v[9:10]
	s_delay_alu instid0(VALU_DEP_2) | instskip(NEXT) | instid1(VALU_DEP_2)
	v_fma_f64 v[9:10], v[3:4], v[7:8], -v[11:12]
	v_fma_f64 v[11:12], v[1:2], v[7:8], v[15:16]
	scratch_store_b128 off, v[9:12], off offset:832
.LBB56_223:
	s_or_b32 exec_lo, exec_lo, s2
	s_waitcnt_vscnt null, 0x0
	s_barrier
	buffer_gl0_inv
	scratch_load_b128 v[1:4], v160, off
	s_mov_b32 s2, exec_lo
	s_waitcnt vmcnt(0)
	ds_store_b128 v5, v[1:4]
	s_waitcnt lgkmcnt(0)
	s_barrier
	buffer_gl0_inv
	v_cmpx_gt_u32_e32 53, v156
	s_cbranch_execz .LBB56_227
; %bb.224:
	v_dual_mov_b32 v1, 0 :: v_dual_add_nc_u32 v8, 0x390, v13
	v_dual_mov_b32 v2, 0 :: v_dual_add_nc_u32 v7, -1, v156
	v_or_b32_e32 v9, 8, v14
	s_mov_b32 s3, 0
	s_delay_alu instid0(VALU_DEP_2)
	v_dual_mov_b32 v4, v2 :: v_dual_mov_b32 v3, v1
	.p2align	6
.LBB56_225:                             ; =>This Inner Loop Header: Depth=1
	scratch_load_b128 v[15:18], v9, off offset:-8
	ds_load_b128 v[19:22], v8
	v_add_nc_u32_e32 v7, 1, v7
	v_add_nc_u32_e32 v8, 16, v8
	;; [unrolled: 1-line block ×3, first 2 shown]
	s_delay_alu instid0(VALU_DEP_3) | instskip(SKIP_4) | instid1(VALU_DEP_2)
	v_cmp_lt_u32_e32 vcc_lo, 51, v7
	s_or_b32 s3, vcc_lo, s3
	s_waitcnt vmcnt(0) lgkmcnt(0)
	v_mul_f64 v[10:11], v[21:22], v[17:18]
	v_mul_f64 v[17:18], v[19:20], v[17:18]
	v_fma_f64 v[10:11], v[19:20], v[15:16], -v[10:11]
	s_delay_alu instid0(VALU_DEP_2) | instskip(NEXT) | instid1(VALU_DEP_2)
	v_fma_f64 v[15:16], v[21:22], v[15:16], v[17:18]
	v_add_f64 v[3:4], v[3:4], v[10:11]
	s_delay_alu instid0(VALU_DEP_2)
	v_add_f64 v[1:2], v[1:2], v[15:16]
	s_and_not1_b32 exec_lo, exec_lo, s3
	s_cbranch_execnz .LBB56_225
; %bb.226:
	s_or_b32 exec_lo, exec_lo, s3
	v_mov_b32_e32 v7, 0
	ds_load_b128 v[7:10], v7 offset:848
	s_waitcnt lgkmcnt(0)
	v_mul_f64 v[11:12], v[1:2], v[9:10]
	v_mul_f64 v[15:16], v[3:4], v[9:10]
	s_delay_alu instid0(VALU_DEP_2) | instskip(NEXT) | instid1(VALU_DEP_2)
	v_fma_f64 v[9:10], v[3:4], v[7:8], -v[11:12]
	v_fma_f64 v[11:12], v[1:2], v[7:8], v[15:16]
	scratch_store_b128 off, v[9:12], off offset:848
.LBB56_227:
	s_or_b32 exec_lo, exec_lo, s2
	s_waitcnt_vscnt null, 0x0
	s_barrier
	buffer_gl0_inv
	scratch_load_b128 v[1:4], v159, off
	s_mov_b32 s2, exec_lo
	s_waitcnt vmcnt(0)
	ds_store_b128 v5, v[1:4]
	s_waitcnt lgkmcnt(0)
	s_barrier
	buffer_gl0_inv
	v_cmpx_gt_u32_e32 54, v156
	s_cbranch_execz .LBB56_231
; %bb.228:
	v_dual_mov_b32 v1, 0 :: v_dual_add_nc_u32 v8, 0x390, v13
	v_dual_mov_b32 v2, 0 :: v_dual_add_nc_u32 v7, -1, v156
	v_or_b32_e32 v9, 8, v14
	s_mov_b32 s3, 0
	s_delay_alu instid0(VALU_DEP_2)
	v_dual_mov_b32 v4, v2 :: v_dual_mov_b32 v3, v1
	.p2align	6
.LBB56_229:                             ; =>This Inner Loop Header: Depth=1
	scratch_load_b128 v[15:18], v9, off offset:-8
	ds_load_b128 v[19:22], v8
	v_add_nc_u32_e32 v7, 1, v7
	v_add_nc_u32_e32 v8, 16, v8
	;; [unrolled: 1-line block ×3, first 2 shown]
	s_delay_alu instid0(VALU_DEP_3) | instskip(SKIP_4) | instid1(VALU_DEP_2)
	v_cmp_lt_u32_e32 vcc_lo, 52, v7
	s_or_b32 s3, vcc_lo, s3
	s_waitcnt vmcnt(0) lgkmcnt(0)
	v_mul_f64 v[10:11], v[21:22], v[17:18]
	v_mul_f64 v[17:18], v[19:20], v[17:18]
	v_fma_f64 v[10:11], v[19:20], v[15:16], -v[10:11]
	s_delay_alu instid0(VALU_DEP_2) | instskip(NEXT) | instid1(VALU_DEP_2)
	v_fma_f64 v[15:16], v[21:22], v[15:16], v[17:18]
	v_add_f64 v[3:4], v[3:4], v[10:11]
	s_delay_alu instid0(VALU_DEP_2)
	v_add_f64 v[1:2], v[1:2], v[15:16]
	s_and_not1_b32 exec_lo, exec_lo, s3
	s_cbranch_execnz .LBB56_229
; %bb.230:
	s_or_b32 exec_lo, exec_lo, s3
	v_mov_b32_e32 v7, 0
	ds_load_b128 v[7:10], v7 offset:864
	s_waitcnt lgkmcnt(0)
	v_mul_f64 v[11:12], v[1:2], v[9:10]
	v_mul_f64 v[15:16], v[3:4], v[9:10]
	s_delay_alu instid0(VALU_DEP_2) | instskip(NEXT) | instid1(VALU_DEP_2)
	v_fma_f64 v[9:10], v[3:4], v[7:8], -v[11:12]
	v_fma_f64 v[11:12], v[1:2], v[7:8], v[15:16]
	scratch_store_b128 off, v[9:12], off offset:864
.LBB56_231:
	s_or_b32 exec_lo, exec_lo, s2
	s_waitcnt_vscnt null, 0x0
	s_barrier
	buffer_gl0_inv
	scratch_load_b128 v[1:4], v158, off
	s_mov_b32 s2, exec_lo
	s_waitcnt vmcnt(0)
	ds_store_b128 v5, v[1:4]
	s_waitcnt lgkmcnt(0)
	s_barrier
	buffer_gl0_inv
	v_cmpx_gt_u32_e32 55, v156
	s_cbranch_execz .LBB56_235
; %bb.232:
	v_dual_mov_b32 v1, 0 :: v_dual_add_nc_u32 v8, 0x390, v13
	v_dual_mov_b32 v2, 0 :: v_dual_add_nc_u32 v7, -1, v156
	v_or_b32_e32 v9, 8, v14
	s_mov_b32 s3, 0
	s_delay_alu instid0(VALU_DEP_2)
	v_dual_mov_b32 v4, v2 :: v_dual_mov_b32 v3, v1
	.p2align	6
.LBB56_233:                             ; =>This Inner Loop Header: Depth=1
	scratch_load_b128 v[10:13], v9, off offset:-8
	ds_load_b128 v[15:18], v8
	v_add_nc_u32_e32 v7, 1, v7
	v_add_nc_u32_e32 v8, 16, v8
	;; [unrolled: 1-line block ×3, first 2 shown]
	s_delay_alu instid0(VALU_DEP_3) | instskip(SKIP_4) | instid1(VALU_DEP_2)
	v_cmp_lt_u32_e32 vcc_lo, 53, v7
	s_or_b32 s3, vcc_lo, s3
	s_waitcnt vmcnt(0) lgkmcnt(0)
	v_mul_f64 v[19:20], v[17:18], v[12:13]
	v_mul_f64 v[12:13], v[15:16], v[12:13]
	v_fma_f64 v[15:16], v[15:16], v[10:11], -v[19:20]
	s_delay_alu instid0(VALU_DEP_2) | instskip(NEXT) | instid1(VALU_DEP_2)
	v_fma_f64 v[10:11], v[17:18], v[10:11], v[12:13]
	v_add_f64 v[3:4], v[3:4], v[15:16]
	s_delay_alu instid0(VALU_DEP_2)
	v_add_f64 v[1:2], v[1:2], v[10:11]
	s_and_not1_b32 exec_lo, exec_lo, s3
	s_cbranch_execnz .LBB56_233
; %bb.234:
	s_or_b32 exec_lo, exec_lo, s3
	v_mov_b32_e32 v7, 0
	ds_load_b128 v[7:10], v7 offset:880
	s_waitcnt lgkmcnt(0)
	v_mul_f64 v[11:12], v[1:2], v[9:10]
	v_mul_f64 v[15:16], v[3:4], v[9:10]
	s_delay_alu instid0(VALU_DEP_2) | instskip(NEXT) | instid1(VALU_DEP_2)
	v_fma_f64 v[9:10], v[3:4], v[7:8], -v[11:12]
	v_fma_f64 v[11:12], v[1:2], v[7:8], v[15:16]
	scratch_store_b128 off, v[9:12], off offset:880
.LBB56_235:
	s_or_b32 exec_lo, exec_lo, s2
	s_waitcnt_vscnt null, 0x0
	s_barrier
	buffer_gl0_inv
	scratch_load_b128 v[1:4], v157, off
	s_mov_b32 s2, exec_lo
	s_waitcnt vmcnt(0)
	ds_store_b128 v5, v[1:4]
	s_waitcnt lgkmcnt(0)
	s_barrier
	buffer_gl0_inv
	v_cmpx_ne_u32_e32 56, v156
	s_cbranch_execz .LBB56_239
; %bb.236:
	v_mov_b32_e32 v1, 0
	v_mov_b32_e32 v2, 0
	v_or_b32_e32 v7, 8, v14
	s_mov_b32 s3, 0
	s_delay_alu instid0(VALU_DEP_2)
	v_dual_mov_b32 v4, v2 :: v_dual_mov_b32 v3, v1
	.p2align	6
.LBB56_237:                             ; =>This Inner Loop Header: Depth=1
	scratch_load_b128 v[8:11], v7, off offset:-8
	ds_load_b128 v[12:15], v5
	v_add_nc_u32_e32 v6, 1, v6
	v_add_nc_u32_e32 v5, 16, v5
	;; [unrolled: 1-line block ×3, first 2 shown]
	s_delay_alu instid0(VALU_DEP_3) | instskip(SKIP_4) | instid1(VALU_DEP_2)
	v_cmp_lt_u32_e32 vcc_lo, 54, v6
	s_or_b32 s3, vcc_lo, s3
	s_waitcnt vmcnt(0) lgkmcnt(0)
	v_mul_f64 v[16:17], v[14:15], v[10:11]
	v_mul_f64 v[10:11], v[12:13], v[10:11]
	v_fma_f64 v[12:13], v[12:13], v[8:9], -v[16:17]
	s_delay_alu instid0(VALU_DEP_2) | instskip(NEXT) | instid1(VALU_DEP_2)
	v_fma_f64 v[8:9], v[14:15], v[8:9], v[10:11]
	v_add_f64 v[3:4], v[3:4], v[12:13]
	s_delay_alu instid0(VALU_DEP_2)
	v_add_f64 v[1:2], v[1:2], v[8:9]
	s_and_not1_b32 exec_lo, exec_lo, s3
	s_cbranch_execnz .LBB56_237
; %bb.238:
	s_or_b32 exec_lo, exec_lo, s3
	v_mov_b32_e32 v5, 0
	ds_load_b128 v[5:8], v5 offset:896
	s_waitcnt lgkmcnt(0)
	v_mul_f64 v[9:10], v[1:2], v[7:8]
	v_mul_f64 v[7:8], v[3:4], v[7:8]
	s_delay_alu instid0(VALU_DEP_2) | instskip(NEXT) | instid1(VALU_DEP_2)
	v_fma_f64 v[3:4], v[3:4], v[5:6], -v[9:10]
	v_fma_f64 v[5:6], v[1:2], v[5:6], v[7:8]
	scratch_store_b128 off, v[3:6], off offset:896
.LBB56_239:
	s_or_b32 exec_lo, exec_lo, s2
	s_mov_b32 s3, -1
	s_waitcnt_vscnt null, 0x0
	s_barrier
	buffer_gl0_inv
.LBB56_240:
	s_and_b32 vcc_lo, exec_lo, s3
	s_cbranch_vccz .LBB56_242
; %bb.241:
	s_lshl_b64 s[2:3], s[18:19], 2
	v_mov_b32_e32 v1, 0
	s_add_u32 s2, s6, s2
	s_addc_u32 s3, s7, s3
	global_load_b32 v1, v1, s[2:3]
	s_waitcnt vmcnt(0)
	v_cmp_ne_u32_e32 vcc_lo, 0, v1
	s_cbranch_vccz .LBB56_243
.LBB56_242:
	s_endpgm
.LBB56_243:
	v_lshl_add_u32 v213, v156, 4, 0x390
	s_mov_b32 s2, exec_lo
	v_cmpx_eq_u32_e32 56, v156
	s_cbranch_execz .LBB56_245
; %bb.244:
	scratch_load_b128 v[1:4], v158, off
	v_mov_b32_e32 v5, 0
	s_delay_alu instid0(VALU_DEP_1)
	v_mov_b32_e32 v6, v5
	v_mov_b32_e32 v7, v5
	;; [unrolled: 1-line block ×3, first 2 shown]
	scratch_store_b128 off, v[5:8], off offset:880
	s_waitcnt vmcnt(0)
	ds_store_b128 v213, v[1:4]
.LBB56_245:
	s_or_b32 exec_lo, exec_lo, s2
	s_waitcnt lgkmcnt(0)
	s_waitcnt_vscnt null, 0x0
	s_barrier
	buffer_gl0_inv
	s_clause 0x1
	scratch_load_b128 v[2:5], off, off offset:896
	scratch_load_b128 v[6:9], off, off offset:880
	v_mov_b32_e32 v1, 0
	s_mov_b32 s2, exec_lo
	ds_load_b128 v[10:13], v1 offset:1808
	s_waitcnt vmcnt(1) lgkmcnt(0)
	v_mul_f64 v[14:15], v[12:13], v[4:5]
	v_mul_f64 v[4:5], v[10:11], v[4:5]
	s_delay_alu instid0(VALU_DEP_2) | instskip(NEXT) | instid1(VALU_DEP_2)
	v_fma_f64 v[10:11], v[10:11], v[2:3], -v[14:15]
	v_fma_f64 v[2:3], v[12:13], v[2:3], v[4:5]
	s_delay_alu instid0(VALU_DEP_2) | instskip(NEXT) | instid1(VALU_DEP_2)
	v_add_f64 v[4:5], v[10:11], 0
	v_add_f64 v[10:11], v[2:3], 0
	s_waitcnt vmcnt(0)
	s_delay_alu instid0(VALU_DEP_2) | instskip(NEXT) | instid1(VALU_DEP_2)
	v_add_f64 v[2:3], v[6:7], -v[4:5]
	v_add_f64 v[4:5], v[8:9], -v[10:11]
	scratch_store_b128 off, v[2:5], off offset:880
	v_cmpx_lt_u32_e32 54, v156
	s_cbranch_execz .LBB56_247
; %bb.246:
	scratch_load_b128 v[5:8], v159, off
	v_mov_b32_e32 v2, v1
	v_mov_b32_e32 v3, v1
	;; [unrolled: 1-line block ×3, first 2 shown]
	scratch_store_b128 off, v[1:4], off offset:864
	s_waitcnt vmcnt(0)
	ds_store_b128 v213, v[5:8]
.LBB56_247:
	s_or_b32 exec_lo, exec_lo, s2
	s_waitcnt lgkmcnt(0)
	s_waitcnt_vscnt null, 0x0
	s_barrier
	buffer_gl0_inv
	s_clause 0x2
	scratch_load_b128 v[2:5], off, off offset:880
	scratch_load_b128 v[6:9], off, off offset:896
	;; [unrolled: 1-line block ×3, first 2 shown]
	ds_load_b128 v[14:17], v1 offset:1792
	ds_load_b128 v[18:21], v1 offset:1808
	s_mov_b32 s2, exec_lo
	s_waitcnt vmcnt(2) lgkmcnt(1)
	v_mul_f64 v[22:23], v[16:17], v[4:5]
	v_mul_f64 v[4:5], v[14:15], v[4:5]
	s_waitcnt vmcnt(1) lgkmcnt(0)
	v_mul_f64 v[24:25], v[18:19], v[8:9]
	v_mul_f64 v[8:9], v[20:21], v[8:9]
	s_delay_alu instid0(VALU_DEP_4) | instskip(NEXT) | instid1(VALU_DEP_4)
	v_fma_f64 v[14:15], v[14:15], v[2:3], -v[22:23]
	v_fma_f64 v[1:2], v[16:17], v[2:3], v[4:5]
	s_delay_alu instid0(VALU_DEP_4) | instskip(NEXT) | instid1(VALU_DEP_4)
	v_fma_f64 v[3:4], v[20:21], v[6:7], v[24:25]
	v_fma_f64 v[5:6], v[18:19], v[6:7], -v[8:9]
	s_delay_alu instid0(VALU_DEP_4) | instskip(NEXT) | instid1(VALU_DEP_4)
	v_add_f64 v[7:8], v[14:15], 0
	v_add_f64 v[1:2], v[1:2], 0
	s_delay_alu instid0(VALU_DEP_2) | instskip(NEXT) | instid1(VALU_DEP_2)
	v_add_f64 v[5:6], v[7:8], v[5:6]
	v_add_f64 v[3:4], v[1:2], v[3:4]
	s_waitcnt vmcnt(0)
	s_delay_alu instid0(VALU_DEP_2) | instskip(NEXT) | instid1(VALU_DEP_2)
	v_add_f64 v[1:2], v[10:11], -v[5:6]
	v_add_f64 v[3:4], v[12:13], -v[3:4]
	scratch_store_b128 off, v[1:4], off offset:864
	v_cmpx_lt_u32_e32 53, v156
	s_cbranch_execz .LBB56_249
; %bb.248:
	scratch_load_b128 v[1:4], v160, off
	v_mov_b32_e32 v5, 0
	s_delay_alu instid0(VALU_DEP_1)
	v_mov_b32_e32 v6, v5
	v_mov_b32_e32 v7, v5
	;; [unrolled: 1-line block ×3, first 2 shown]
	scratch_store_b128 off, v[5:8], off offset:848
	s_waitcnt vmcnt(0)
	ds_store_b128 v213, v[1:4]
.LBB56_249:
	s_or_b32 exec_lo, exec_lo, s2
	s_waitcnt lgkmcnt(0)
	s_waitcnt_vscnt null, 0x0
	s_barrier
	buffer_gl0_inv
	s_clause 0x3
	scratch_load_b128 v[2:5], off, off offset:864
	scratch_load_b128 v[6:9], off, off offset:880
	;; [unrolled: 1-line block ×4, first 2 shown]
	v_mov_b32_e32 v1, 0
	ds_load_b128 v[18:21], v1 offset:1776
	ds_load_b128 v[22:25], v1 offset:1792
	s_mov_b32 s2, exec_lo
	s_waitcnt vmcnt(3) lgkmcnt(1)
	v_mul_f64 v[26:27], v[20:21], v[4:5]
	v_mul_f64 v[4:5], v[18:19], v[4:5]
	s_waitcnt vmcnt(2) lgkmcnt(0)
	v_mul_f64 v[28:29], v[22:23], v[8:9]
	v_mul_f64 v[8:9], v[24:25], v[8:9]
	s_delay_alu instid0(VALU_DEP_4) | instskip(NEXT) | instid1(VALU_DEP_4)
	v_fma_f64 v[18:19], v[18:19], v[2:3], -v[26:27]
	v_fma_f64 v[20:21], v[20:21], v[2:3], v[4:5]
	ds_load_b128 v[2:5], v1 offset:1808
	v_fma_f64 v[24:25], v[24:25], v[6:7], v[28:29]
	v_fma_f64 v[6:7], v[22:23], v[6:7], -v[8:9]
	s_waitcnt vmcnt(1) lgkmcnt(0)
	v_mul_f64 v[26:27], v[2:3], v[12:13]
	v_mul_f64 v[12:13], v[4:5], v[12:13]
	v_add_f64 v[8:9], v[18:19], 0
	v_add_f64 v[18:19], v[20:21], 0
	s_delay_alu instid0(VALU_DEP_4) | instskip(NEXT) | instid1(VALU_DEP_4)
	v_fma_f64 v[4:5], v[4:5], v[10:11], v[26:27]
	v_fma_f64 v[2:3], v[2:3], v[10:11], -v[12:13]
	s_delay_alu instid0(VALU_DEP_4) | instskip(NEXT) | instid1(VALU_DEP_4)
	v_add_f64 v[6:7], v[8:9], v[6:7]
	v_add_f64 v[8:9], v[18:19], v[24:25]
	s_delay_alu instid0(VALU_DEP_2) | instskip(NEXT) | instid1(VALU_DEP_2)
	v_add_f64 v[2:3], v[6:7], v[2:3]
	v_add_f64 v[4:5], v[8:9], v[4:5]
	s_waitcnt vmcnt(0)
	s_delay_alu instid0(VALU_DEP_2) | instskip(NEXT) | instid1(VALU_DEP_2)
	v_add_f64 v[2:3], v[14:15], -v[2:3]
	v_add_f64 v[4:5], v[16:17], -v[4:5]
	scratch_store_b128 off, v[2:5], off offset:848
	v_cmpx_lt_u32_e32 52, v156
	s_cbranch_execz .LBB56_251
; %bb.250:
	scratch_load_b128 v[5:8], v161, off
	v_mov_b32_e32 v2, v1
	v_mov_b32_e32 v3, v1
	;; [unrolled: 1-line block ×3, first 2 shown]
	scratch_store_b128 off, v[1:4], off offset:832
	s_waitcnt vmcnt(0)
	ds_store_b128 v213, v[5:8]
.LBB56_251:
	s_or_b32 exec_lo, exec_lo, s2
	s_waitcnt lgkmcnt(0)
	s_waitcnt_vscnt null, 0x0
	s_barrier
	buffer_gl0_inv
	s_clause 0x4
	scratch_load_b128 v[2:5], off, off offset:848
	scratch_load_b128 v[6:9], off, off offset:864
	;; [unrolled: 1-line block ×5, first 2 shown]
	ds_load_b128 v[22:25], v1 offset:1760
	ds_load_b128 v[26:29], v1 offset:1776
	s_mov_b32 s2, exec_lo
	s_waitcnt vmcnt(4) lgkmcnt(1)
	v_mul_f64 v[30:31], v[24:25], v[4:5]
	v_mul_f64 v[4:5], v[22:23], v[4:5]
	s_waitcnt vmcnt(3) lgkmcnt(0)
	v_mul_f64 v[32:33], v[26:27], v[8:9]
	v_mul_f64 v[8:9], v[28:29], v[8:9]
	s_delay_alu instid0(VALU_DEP_4) | instskip(NEXT) | instid1(VALU_DEP_4)
	v_fma_f64 v[30:31], v[22:23], v[2:3], -v[30:31]
	v_fma_f64 v[34:35], v[24:25], v[2:3], v[4:5]
	ds_load_b128 v[2:5], v1 offset:1792
	ds_load_b128 v[22:25], v1 offset:1808
	v_fma_f64 v[28:29], v[28:29], v[6:7], v[32:33]
	v_fma_f64 v[6:7], v[26:27], v[6:7], -v[8:9]
	s_waitcnt vmcnt(2) lgkmcnt(1)
	v_mul_f64 v[36:37], v[2:3], v[12:13]
	v_mul_f64 v[12:13], v[4:5], v[12:13]
	v_add_f64 v[8:9], v[30:31], 0
	v_add_f64 v[26:27], v[34:35], 0
	s_waitcnt vmcnt(1) lgkmcnt(0)
	v_mul_f64 v[30:31], v[22:23], v[16:17]
	v_mul_f64 v[16:17], v[24:25], v[16:17]
	v_fma_f64 v[4:5], v[4:5], v[10:11], v[36:37]
	v_fma_f64 v[1:2], v[2:3], v[10:11], -v[12:13]
	v_add_f64 v[6:7], v[8:9], v[6:7]
	v_add_f64 v[8:9], v[26:27], v[28:29]
	v_fma_f64 v[10:11], v[24:25], v[14:15], v[30:31]
	v_fma_f64 v[12:13], v[22:23], v[14:15], -v[16:17]
	s_delay_alu instid0(VALU_DEP_4) | instskip(NEXT) | instid1(VALU_DEP_4)
	v_add_f64 v[1:2], v[6:7], v[1:2]
	v_add_f64 v[3:4], v[8:9], v[4:5]
	s_delay_alu instid0(VALU_DEP_2) | instskip(NEXT) | instid1(VALU_DEP_2)
	v_add_f64 v[1:2], v[1:2], v[12:13]
	v_add_f64 v[3:4], v[3:4], v[10:11]
	s_waitcnt vmcnt(0)
	s_delay_alu instid0(VALU_DEP_2) | instskip(NEXT) | instid1(VALU_DEP_2)
	v_add_f64 v[1:2], v[18:19], -v[1:2]
	v_add_f64 v[3:4], v[20:21], -v[3:4]
	scratch_store_b128 off, v[1:4], off offset:832
	v_cmpx_lt_u32_e32 51, v156
	s_cbranch_execz .LBB56_253
; %bb.252:
	scratch_load_b128 v[1:4], v162, off
	v_mov_b32_e32 v5, 0
	s_delay_alu instid0(VALU_DEP_1)
	v_mov_b32_e32 v6, v5
	v_mov_b32_e32 v7, v5
	;; [unrolled: 1-line block ×3, first 2 shown]
	scratch_store_b128 off, v[5:8], off offset:816
	s_waitcnt vmcnt(0)
	ds_store_b128 v213, v[1:4]
.LBB56_253:
	s_or_b32 exec_lo, exec_lo, s2
	s_waitcnt lgkmcnt(0)
	s_waitcnt_vscnt null, 0x0
	s_barrier
	buffer_gl0_inv
	s_clause 0x5
	scratch_load_b128 v[2:5], off, off offset:832
	scratch_load_b128 v[6:9], off, off offset:848
	;; [unrolled: 1-line block ×6, first 2 shown]
	v_mov_b32_e32 v1, 0
	ds_load_b128 v[26:29], v1 offset:1744
	ds_load_b128 v[30:33], v1 offset:1760
	s_mov_b32 s2, exec_lo
	s_waitcnt vmcnt(5) lgkmcnt(1)
	v_mul_f64 v[34:35], v[28:29], v[4:5]
	v_mul_f64 v[4:5], v[26:27], v[4:5]
	s_waitcnt vmcnt(4) lgkmcnt(0)
	v_mul_f64 v[36:37], v[30:31], v[8:9]
	v_mul_f64 v[8:9], v[32:33], v[8:9]
	s_delay_alu instid0(VALU_DEP_4) | instskip(NEXT) | instid1(VALU_DEP_4)
	v_fma_f64 v[34:35], v[26:27], v[2:3], -v[34:35]
	v_fma_f64 v[38:39], v[28:29], v[2:3], v[4:5]
	ds_load_b128 v[2:5], v1 offset:1776
	ds_load_b128 v[26:29], v1 offset:1792
	v_fma_f64 v[32:33], v[32:33], v[6:7], v[36:37]
	v_fma_f64 v[6:7], v[30:31], v[6:7], -v[8:9]
	s_waitcnt vmcnt(3) lgkmcnt(1)
	v_mul_f64 v[40:41], v[2:3], v[12:13]
	v_mul_f64 v[12:13], v[4:5], v[12:13]
	v_add_f64 v[8:9], v[34:35], 0
	v_add_f64 v[30:31], v[38:39], 0
	s_waitcnt vmcnt(2) lgkmcnt(0)
	v_mul_f64 v[34:35], v[26:27], v[16:17]
	v_mul_f64 v[16:17], v[28:29], v[16:17]
	v_fma_f64 v[36:37], v[4:5], v[10:11], v[40:41]
	v_fma_f64 v[10:11], v[2:3], v[10:11], -v[12:13]
	ds_load_b128 v[2:5], v1 offset:1808
	v_add_f64 v[6:7], v[8:9], v[6:7]
	v_add_f64 v[8:9], v[30:31], v[32:33]
	v_fma_f64 v[28:29], v[28:29], v[14:15], v[34:35]
	v_fma_f64 v[14:15], v[26:27], v[14:15], -v[16:17]
	s_waitcnt vmcnt(1) lgkmcnt(0)
	v_mul_f64 v[12:13], v[2:3], v[20:21]
	v_mul_f64 v[20:21], v[4:5], v[20:21]
	v_add_f64 v[6:7], v[6:7], v[10:11]
	v_add_f64 v[8:9], v[8:9], v[36:37]
	s_delay_alu instid0(VALU_DEP_4) | instskip(NEXT) | instid1(VALU_DEP_4)
	v_fma_f64 v[4:5], v[4:5], v[18:19], v[12:13]
	v_fma_f64 v[2:3], v[2:3], v[18:19], -v[20:21]
	s_delay_alu instid0(VALU_DEP_4) | instskip(NEXT) | instid1(VALU_DEP_4)
	v_add_f64 v[6:7], v[6:7], v[14:15]
	v_add_f64 v[8:9], v[8:9], v[28:29]
	s_delay_alu instid0(VALU_DEP_2) | instskip(NEXT) | instid1(VALU_DEP_2)
	v_add_f64 v[2:3], v[6:7], v[2:3]
	v_add_f64 v[4:5], v[8:9], v[4:5]
	s_waitcnt vmcnt(0)
	s_delay_alu instid0(VALU_DEP_2) | instskip(NEXT) | instid1(VALU_DEP_2)
	v_add_f64 v[2:3], v[22:23], -v[2:3]
	v_add_f64 v[4:5], v[24:25], -v[4:5]
	scratch_store_b128 off, v[2:5], off offset:816
	v_cmpx_lt_u32_e32 50, v156
	s_cbranch_execz .LBB56_255
; %bb.254:
	scratch_load_b128 v[5:8], v163, off
	v_mov_b32_e32 v2, v1
	v_mov_b32_e32 v3, v1
	;; [unrolled: 1-line block ×3, first 2 shown]
	scratch_store_b128 off, v[1:4], off offset:800
	s_waitcnt vmcnt(0)
	ds_store_b128 v213, v[5:8]
.LBB56_255:
	s_or_b32 exec_lo, exec_lo, s2
	s_waitcnt lgkmcnt(0)
	s_waitcnt_vscnt null, 0x0
	s_barrier
	buffer_gl0_inv
	s_clause 0x5
	scratch_load_b128 v[2:5], off, off offset:816
	scratch_load_b128 v[6:9], off, off offset:832
	;; [unrolled: 1-line block ×6, first 2 shown]
	ds_load_b128 v[26:29], v1 offset:1728
	ds_load_b128 v[34:37], v1 offset:1744
	scratch_load_b128 v[30:33], off, off offset:800
	s_mov_b32 s2, exec_lo
	s_waitcnt vmcnt(6) lgkmcnt(1)
	v_mul_f64 v[38:39], v[28:29], v[4:5]
	v_mul_f64 v[4:5], v[26:27], v[4:5]
	s_waitcnt vmcnt(5) lgkmcnt(0)
	v_mul_f64 v[40:41], v[34:35], v[8:9]
	v_mul_f64 v[8:9], v[36:37], v[8:9]
	s_delay_alu instid0(VALU_DEP_4) | instskip(NEXT) | instid1(VALU_DEP_4)
	v_fma_f64 v[38:39], v[26:27], v[2:3], -v[38:39]
	v_fma_f64 v[167:168], v[28:29], v[2:3], v[4:5]
	ds_load_b128 v[2:5], v1 offset:1760
	ds_load_b128 v[26:29], v1 offset:1776
	v_fma_f64 v[36:37], v[36:37], v[6:7], v[40:41]
	v_fma_f64 v[6:7], v[34:35], v[6:7], -v[8:9]
	s_waitcnt vmcnt(4) lgkmcnt(1)
	v_mul_f64 v[171:172], v[2:3], v[12:13]
	v_mul_f64 v[12:13], v[4:5], v[12:13]
	v_add_f64 v[8:9], v[38:39], 0
	v_add_f64 v[34:35], v[167:168], 0
	s_waitcnt vmcnt(3) lgkmcnt(0)
	v_mul_f64 v[38:39], v[26:27], v[16:17]
	v_mul_f64 v[16:17], v[28:29], v[16:17]
	v_fma_f64 v[40:41], v[4:5], v[10:11], v[171:172]
	v_fma_f64 v[10:11], v[2:3], v[10:11], -v[12:13]
	v_add_f64 v[12:13], v[8:9], v[6:7]
	v_add_f64 v[34:35], v[34:35], v[36:37]
	ds_load_b128 v[2:5], v1 offset:1792
	ds_load_b128 v[6:9], v1 offset:1808
	v_fma_f64 v[28:29], v[28:29], v[14:15], v[38:39]
	v_fma_f64 v[14:15], v[26:27], v[14:15], -v[16:17]
	s_waitcnt vmcnt(2) lgkmcnt(1)
	v_mul_f64 v[36:37], v[2:3], v[20:21]
	v_mul_f64 v[20:21], v[4:5], v[20:21]
	s_waitcnt vmcnt(1) lgkmcnt(0)
	v_mul_f64 v[16:17], v[6:7], v[24:25]
	v_mul_f64 v[24:25], v[8:9], v[24:25]
	v_add_f64 v[10:11], v[12:13], v[10:11]
	v_add_f64 v[12:13], v[34:35], v[40:41]
	v_fma_f64 v[4:5], v[4:5], v[18:19], v[36:37]
	v_fma_f64 v[1:2], v[2:3], v[18:19], -v[20:21]
	v_fma_f64 v[8:9], v[8:9], v[22:23], v[16:17]
	v_fma_f64 v[6:7], v[6:7], v[22:23], -v[24:25]
	v_add_f64 v[10:11], v[10:11], v[14:15]
	v_add_f64 v[12:13], v[12:13], v[28:29]
	s_delay_alu instid0(VALU_DEP_2) | instskip(NEXT) | instid1(VALU_DEP_2)
	v_add_f64 v[1:2], v[10:11], v[1:2]
	v_add_f64 v[3:4], v[12:13], v[4:5]
	s_delay_alu instid0(VALU_DEP_2) | instskip(NEXT) | instid1(VALU_DEP_2)
	v_add_f64 v[1:2], v[1:2], v[6:7]
	v_add_f64 v[3:4], v[3:4], v[8:9]
	s_waitcnt vmcnt(0)
	s_delay_alu instid0(VALU_DEP_2) | instskip(NEXT) | instid1(VALU_DEP_2)
	v_add_f64 v[1:2], v[30:31], -v[1:2]
	v_add_f64 v[3:4], v[32:33], -v[3:4]
	scratch_store_b128 off, v[1:4], off offset:800
	v_cmpx_lt_u32_e32 49, v156
	s_cbranch_execz .LBB56_257
; %bb.256:
	scratch_load_b128 v[1:4], v164, off
	v_mov_b32_e32 v5, 0
	s_delay_alu instid0(VALU_DEP_1)
	v_mov_b32_e32 v6, v5
	v_mov_b32_e32 v7, v5
	;; [unrolled: 1-line block ×3, first 2 shown]
	scratch_store_b128 off, v[5:8], off offset:784
	s_waitcnt vmcnt(0)
	ds_store_b128 v213, v[1:4]
.LBB56_257:
	s_or_b32 exec_lo, exec_lo, s2
	s_waitcnt lgkmcnt(0)
	s_waitcnt_vscnt null, 0x0
	s_barrier
	buffer_gl0_inv
	s_clause 0x6
	scratch_load_b128 v[2:5], off, off offset:800
	scratch_load_b128 v[6:9], off, off offset:816
	;; [unrolled: 1-line block ×7, first 2 shown]
	v_mov_b32_e32 v1, 0
	scratch_load_b128 v[34:37], off, off offset:784
	s_mov_b32 s2, exec_lo
	ds_load_b128 v[30:33], v1 offset:1712
	ds_load_b128 v[38:41], v1 offset:1728
	s_waitcnt vmcnt(7) lgkmcnt(1)
	v_mul_f64 v[167:168], v[32:33], v[4:5]
	v_mul_f64 v[4:5], v[30:31], v[4:5]
	s_waitcnt vmcnt(6) lgkmcnt(0)
	v_mul_f64 v[171:172], v[38:39], v[8:9]
	v_mul_f64 v[8:9], v[40:41], v[8:9]
	s_delay_alu instid0(VALU_DEP_4) | instskip(NEXT) | instid1(VALU_DEP_4)
	v_fma_f64 v[167:168], v[30:31], v[2:3], -v[167:168]
	v_fma_f64 v[175:176], v[32:33], v[2:3], v[4:5]
	ds_load_b128 v[2:5], v1 offset:1744
	ds_load_b128 v[30:33], v1 offset:1760
	v_fma_f64 v[40:41], v[40:41], v[6:7], v[171:172]
	v_fma_f64 v[6:7], v[38:39], v[6:7], -v[8:9]
	s_waitcnt vmcnt(5) lgkmcnt(1)
	v_mul_f64 v[177:178], v[2:3], v[12:13]
	v_mul_f64 v[12:13], v[4:5], v[12:13]
	v_add_f64 v[8:9], v[167:168], 0
	v_add_f64 v[38:39], v[175:176], 0
	s_waitcnt vmcnt(4) lgkmcnt(0)
	v_mul_f64 v[167:168], v[30:31], v[16:17]
	v_mul_f64 v[16:17], v[32:33], v[16:17]
	v_fma_f64 v[171:172], v[4:5], v[10:11], v[177:178]
	v_fma_f64 v[10:11], v[2:3], v[10:11], -v[12:13]
	v_add_f64 v[12:13], v[8:9], v[6:7]
	v_add_f64 v[38:39], v[38:39], v[40:41]
	ds_load_b128 v[2:5], v1 offset:1776
	ds_load_b128 v[6:9], v1 offset:1792
	v_fma_f64 v[32:33], v[32:33], v[14:15], v[167:168]
	v_fma_f64 v[14:15], v[30:31], v[14:15], -v[16:17]
	s_waitcnt vmcnt(3) lgkmcnt(1)
	v_mul_f64 v[40:41], v[2:3], v[20:21]
	v_mul_f64 v[20:21], v[4:5], v[20:21]
	s_waitcnt vmcnt(2) lgkmcnt(0)
	v_mul_f64 v[16:17], v[6:7], v[24:25]
	v_mul_f64 v[24:25], v[8:9], v[24:25]
	v_add_f64 v[10:11], v[12:13], v[10:11]
	v_add_f64 v[12:13], v[38:39], v[171:172]
	v_fma_f64 v[30:31], v[4:5], v[18:19], v[40:41]
	v_fma_f64 v[18:19], v[2:3], v[18:19], -v[20:21]
	ds_load_b128 v[2:5], v1 offset:1808
	v_fma_f64 v[8:9], v[8:9], v[22:23], v[16:17]
	v_fma_f64 v[6:7], v[6:7], v[22:23], -v[24:25]
	v_add_f64 v[10:11], v[10:11], v[14:15]
	v_add_f64 v[12:13], v[12:13], v[32:33]
	s_waitcnt vmcnt(1) lgkmcnt(0)
	v_mul_f64 v[14:15], v[2:3], v[28:29]
	v_mul_f64 v[20:21], v[4:5], v[28:29]
	s_delay_alu instid0(VALU_DEP_4) | instskip(NEXT) | instid1(VALU_DEP_4)
	v_add_f64 v[10:11], v[10:11], v[18:19]
	v_add_f64 v[12:13], v[12:13], v[30:31]
	s_delay_alu instid0(VALU_DEP_4) | instskip(NEXT) | instid1(VALU_DEP_4)
	v_fma_f64 v[4:5], v[4:5], v[26:27], v[14:15]
	v_fma_f64 v[2:3], v[2:3], v[26:27], -v[20:21]
	s_delay_alu instid0(VALU_DEP_4) | instskip(NEXT) | instid1(VALU_DEP_4)
	v_add_f64 v[6:7], v[10:11], v[6:7]
	v_add_f64 v[8:9], v[12:13], v[8:9]
	s_delay_alu instid0(VALU_DEP_2) | instskip(NEXT) | instid1(VALU_DEP_2)
	v_add_f64 v[2:3], v[6:7], v[2:3]
	v_add_f64 v[4:5], v[8:9], v[4:5]
	s_waitcnt vmcnt(0)
	s_delay_alu instid0(VALU_DEP_2) | instskip(NEXT) | instid1(VALU_DEP_2)
	v_add_f64 v[2:3], v[34:35], -v[2:3]
	v_add_f64 v[4:5], v[36:37], -v[4:5]
	scratch_store_b128 off, v[2:5], off offset:784
	v_cmpx_lt_u32_e32 48, v156
	s_cbranch_execz .LBB56_259
; %bb.258:
	scratch_load_b128 v[5:8], v165, off
	v_mov_b32_e32 v2, v1
	v_mov_b32_e32 v3, v1
	;; [unrolled: 1-line block ×3, first 2 shown]
	scratch_store_b128 off, v[1:4], off offset:768
	s_waitcnt vmcnt(0)
	ds_store_b128 v213, v[5:8]
.LBB56_259:
	s_or_b32 exec_lo, exec_lo, s2
	s_waitcnt lgkmcnt(0)
	s_waitcnt_vscnt null, 0x0
	s_barrier
	buffer_gl0_inv
	s_clause 0x7
	scratch_load_b128 v[2:5], off, off offset:784
	scratch_load_b128 v[6:9], off, off offset:800
	;; [unrolled: 1-line block ×8, first 2 shown]
	ds_load_b128 v[34:37], v1 offset:1696
	ds_load_b128 v[38:41], v1 offset:1712
	scratch_load_b128 v[175:178], off, off offset:768
	s_mov_b32 s2, exec_lo
	s_waitcnt vmcnt(8) lgkmcnt(1)
	v_mul_f64 v[167:168], v[36:37], v[4:5]
	v_mul_f64 v[4:5], v[34:35], v[4:5]
	s_waitcnt vmcnt(7) lgkmcnt(0)
	v_mul_f64 v[171:172], v[38:39], v[8:9]
	v_mul_f64 v[8:9], v[40:41], v[8:9]
	s_delay_alu instid0(VALU_DEP_4) | instskip(NEXT) | instid1(VALU_DEP_4)
	v_fma_f64 v[167:168], v[34:35], v[2:3], -v[167:168]
	v_fma_f64 v[179:180], v[36:37], v[2:3], v[4:5]
	ds_load_b128 v[2:5], v1 offset:1728
	ds_load_b128 v[34:37], v1 offset:1744
	v_fma_f64 v[40:41], v[40:41], v[6:7], v[171:172]
	v_fma_f64 v[6:7], v[38:39], v[6:7], -v[8:9]
	s_waitcnt vmcnt(6) lgkmcnt(1)
	v_mul_f64 v[181:182], v[2:3], v[12:13]
	v_mul_f64 v[12:13], v[4:5], v[12:13]
	v_add_f64 v[8:9], v[167:168], 0
	v_add_f64 v[38:39], v[179:180], 0
	s_waitcnt vmcnt(5) lgkmcnt(0)
	v_mul_f64 v[167:168], v[34:35], v[16:17]
	v_mul_f64 v[16:17], v[36:37], v[16:17]
	v_fma_f64 v[171:172], v[4:5], v[10:11], v[181:182]
	v_fma_f64 v[10:11], v[2:3], v[10:11], -v[12:13]
	v_add_f64 v[12:13], v[8:9], v[6:7]
	v_add_f64 v[38:39], v[38:39], v[40:41]
	ds_load_b128 v[2:5], v1 offset:1760
	ds_load_b128 v[6:9], v1 offset:1776
	v_fma_f64 v[36:37], v[36:37], v[14:15], v[167:168]
	v_fma_f64 v[14:15], v[34:35], v[14:15], -v[16:17]
	s_waitcnt vmcnt(4) lgkmcnt(1)
	v_mul_f64 v[40:41], v[2:3], v[20:21]
	v_mul_f64 v[20:21], v[4:5], v[20:21]
	s_waitcnt vmcnt(3) lgkmcnt(0)
	v_mul_f64 v[16:17], v[6:7], v[24:25]
	v_mul_f64 v[24:25], v[8:9], v[24:25]
	v_add_f64 v[10:11], v[12:13], v[10:11]
	v_add_f64 v[12:13], v[38:39], v[171:172]
	v_fma_f64 v[34:35], v[4:5], v[18:19], v[40:41]
	v_fma_f64 v[18:19], v[2:3], v[18:19], -v[20:21]
	v_fma_f64 v[8:9], v[8:9], v[22:23], v[16:17]
	v_fma_f64 v[6:7], v[6:7], v[22:23], -v[24:25]
	v_add_f64 v[14:15], v[10:11], v[14:15]
	v_add_f64 v[20:21], v[12:13], v[36:37]
	ds_load_b128 v[2:5], v1 offset:1792
	ds_load_b128 v[10:13], v1 offset:1808
	s_waitcnt vmcnt(2) lgkmcnt(1)
	v_mul_f64 v[36:37], v[2:3], v[28:29]
	v_mul_f64 v[28:29], v[4:5], v[28:29]
	v_add_f64 v[14:15], v[14:15], v[18:19]
	v_add_f64 v[16:17], v[20:21], v[34:35]
	s_waitcnt vmcnt(1) lgkmcnt(0)
	v_mul_f64 v[18:19], v[10:11], v[32:33]
	v_mul_f64 v[20:21], v[12:13], v[32:33]
	v_fma_f64 v[4:5], v[4:5], v[26:27], v[36:37]
	v_fma_f64 v[1:2], v[2:3], v[26:27], -v[28:29]
	v_add_f64 v[6:7], v[14:15], v[6:7]
	v_add_f64 v[8:9], v[16:17], v[8:9]
	v_fma_f64 v[12:13], v[12:13], v[30:31], v[18:19]
	v_fma_f64 v[10:11], v[10:11], v[30:31], -v[20:21]
	s_delay_alu instid0(VALU_DEP_4) | instskip(NEXT) | instid1(VALU_DEP_4)
	v_add_f64 v[1:2], v[6:7], v[1:2]
	v_add_f64 v[3:4], v[8:9], v[4:5]
	s_delay_alu instid0(VALU_DEP_2) | instskip(NEXT) | instid1(VALU_DEP_2)
	v_add_f64 v[1:2], v[1:2], v[10:11]
	v_add_f64 v[3:4], v[3:4], v[12:13]
	s_waitcnt vmcnt(0)
	s_delay_alu instid0(VALU_DEP_2) | instskip(NEXT) | instid1(VALU_DEP_2)
	v_add_f64 v[1:2], v[175:176], -v[1:2]
	v_add_f64 v[3:4], v[177:178], -v[3:4]
	scratch_store_b128 off, v[1:4], off offset:768
	v_cmpx_lt_u32_e32 47, v156
	s_cbranch_execz .LBB56_261
; %bb.260:
	scratch_load_b128 v[1:4], v166, off
	v_mov_b32_e32 v5, 0
	s_delay_alu instid0(VALU_DEP_1)
	v_mov_b32_e32 v6, v5
	v_mov_b32_e32 v7, v5
	;; [unrolled: 1-line block ×3, first 2 shown]
	scratch_store_b128 off, v[5:8], off offset:752
	s_waitcnt vmcnt(0)
	ds_store_b128 v213, v[1:4]
.LBB56_261:
	s_or_b32 exec_lo, exec_lo, s2
	s_waitcnt lgkmcnt(0)
	s_waitcnt_vscnt null, 0x0
	s_barrier
	buffer_gl0_inv
	s_clause 0x7
	scratch_load_b128 v[2:5], off, off offset:768
	scratch_load_b128 v[6:9], off, off offset:784
	;; [unrolled: 1-line block ×8, first 2 shown]
	v_mov_b32_e32 v1, 0
	s_mov_b32 s2, exec_lo
	ds_load_b128 v[34:37], v1 offset:1680
	s_clause 0x1
	scratch_load_b128 v[38:41], off, off offset:896
	scratch_load_b128 v[175:178], off, off offset:752
	ds_load_b128 v[179:182], v1 offset:1696
	s_waitcnt vmcnt(9) lgkmcnt(1)
	v_mul_f64 v[167:168], v[36:37], v[4:5]
	v_mul_f64 v[4:5], v[34:35], v[4:5]
	s_waitcnt vmcnt(8) lgkmcnt(0)
	v_mul_f64 v[171:172], v[179:180], v[8:9]
	v_mul_f64 v[8:9], v[181:182], v[8:9]
	s_delay_alu instid0(VALU_DEP_4) | instskip(NEXT) | instid1(VALU_DEP_4)
	v_fma_f64 v[167:168], v[34:35], v[2:3], -v[167:168]
	v_fma_f64 v[183:184], v[36:37], v[2:3], v[4:5]
	ds_load_b128 v[2:5], v1 offset:1712
	ds_load_b128 v[34:37], v1 offset:1728
	v_fma_f64 v[171:172], v[181:182], v[6:7], v[171:172]
	v_fma_f64 v[6:7], v[179:180], v[6:7], -v[8:9]
	s_waitcnt vmcnt(7) lgkmcnt(1)
	v_mul_f64 v[185:186], v[2:3], v[12:13]
	v_mul_f64 v[12:13], v[4:5], v[12:13]
	s_waitcnt vmcnt(6) lgkmcnt(0)
	v_mul_f64 v[179:180], v[34:35], v[16:17]
	v_mul_f64 v[16:17], v[36:37], v[16:17]
	v_add_f64 v[8:9], v[167:168], 0
	v_add_f64 v[167:168], v[183:184], 0
	v_fma_f64 v[181:182], v[4:5], v[10:11], v[185:186]
	v_fma_f64 v[10:11], v[2:3], v[10:11], -v[12:13]
	v_fma_f64 v[36:37], v[36:37], v[14:15], v[179:180]
	v_fma_f64 v[14:15], v[34:35], v[14:15], -v[16:17]
	v_add_f64 v[12:13], v[8:9], v[6:7]
	v_add_f64 v[167:168], v[167:168], v[171:172]
	ds_load_b128 v[2:5], v1 offset:1744
	ds_load_b128 v[6:9], v1 offset:1760
	s_waitcnt vmcnt(5) lgkmcnt(1)
	v_mul_f64 v[171:172], v[2:3], v[20:21]
	v_mul_f64 v[20:21], v[4:5], v[20:21]
	s_waitcnt vmcnt(4) lgkmcnt(0)
	v_mul_f64 v[16:17], v[6:7], v[24:25]
	v_mul_f64 v[24:25], v[8:9], v[24:25]
	v_add_f64 v[10:11], v[12:13], v[10:11]
	v_add_f64 v[12:13], v[167:168], v[181:182]
	v_fma_f64 v[34:35], v[4:5], v[18:19], v[171:172]
	v_fma_f64 v[18:19], v[2:3], v[18:19], -v[20:21]
	v_fma_f64 v[8:9], v[8:9], v[22:23], v[16:17]
	v_fma_f64 v[6:7], v[6:7], v[22:23], -v[24:25]
	v_add_f64 v[14:15], v[10:11], v[14:15]
	v_add_f64 v[20:21], v[12:13], v[36:37]
	ds_load_b128 v[2:5], v1 offset:1776
	ds_load_b128 v[10:13], v1 offset:1792
	s_waitcnt vmcnt(3) lgkmcnt(1)
	v_mul_f64 v[36:37], v[2:3], v[28:29]
	v_mul_f64 v[28:29], v[4:5], v[28:29]
	v_add_f64 v[14:15], v[14:15], v[18:19]
	v_add_f64 v[16:17], v[20:21], v[34:35]
	s_waitcnt vmcnt(2) lgkmcnt(0)
	v_mul_f64 v[18:19], v[10:11], v[32:33]
	v_mul_f64 v[20:21], v[12:13], v[32:33]
	v_fma_f64 v[22:23], v[4:5], v[26:27], v[36:37]
	v_fma_f64 v[24:25], v[2:3], v[26:27], -v[28:29]
	ds_load_b128 v[2:5], v1 offset:1808
	v_add_f64 v[6:7], v[14:15], v[6:7]
	v_add_f64 v[8:9], v[16:17], v[8:9]
	v_fma_f64 v[12:13], v[12:13], v[30:31], v[18:19]
	v_fma_f64 v[10:11], v[10:11], v[30:31], -v[20:21]
	s_waitcnt vmcnt(1) lgkmcnt(0)
	v_mul_f64 v[14:15], v[2:3], v[40:41]
	v_mul_f64 v[16:17], v[4:5], v[40:41]
	v_add_f64 v[6:7], v[6:7], v[24:25]
	v_add_f64 v[8:9], v[8:9], v[22:23]
	s_delay_alu instid0(VALU_DEP_4) | instskip(NEXT) | instid1(VALU_DEP_4)
	v_fma_f64 v[4:5], v[4:5], v[38:39], v[14:15]
	v_fma_f64 v[2:3], v[2:3], v[38:39], -v[16:17]
	s_delay_alu instid0(VALU_DEP_4) | instskip(NEXT) | instid1(VALU_DEP_4)
	v_add_f64 v[6:7], v[6:7], v[10:11]
	v_add_f64 v[8:9], v[8:9], v[12:13]
	s_delay_alu instid0(VALU_DEP_2) | instskip(NEXT) | instid1(VALU_DEP_2)
	v_add_f64 v[2:3], v[6:7], v[2:3]
	v_add_f64 v[4:5], v[8:9], v[4:5]
	s_waitcnt vmcnt(0)
	s_delay_alu instid0(VALU_DEP_2) | instskip(NEXT) | instid1(VALU_DEP_2)
	v_add_f64 v[2:3], v[175:176], -v[2:3]
	v_add_f64 v[4:5], v[177:178], -v[4:5]
	scratch_store_b128 off, v[2:5], off offset:752
	v_cmpx_lt_u32_e32 46, v156
	s_cbranch_execz .LBB56_263
; %bb.262:
	scratch_load_b128 v[5:8], v169, off
	v_mov_b32_e32 v2, v1
	v_mov_b32_e32 v3, v1
	;; [unrolled: 1-line block ×3, first 2 shown]
	scratch_store_b128 off, v[1:4], off offset:736
	s_waitcnt vmcnt(0)
	ds_store_b128 v213, v[5:8]
.LBB56_263:
	s_or_b32 exec_lo, exec_lo, s2
	s_waitcnt lgkmcnt(0)
	s_waitcnt_vscnt null, 0x0
	s_barrier
	buffer_gl0_inv
	s_clause 0x8
	scratch_load_b128 v[2:5], off, off offset:752
	scratch_load_b128 v[6:9], off, off offset:768
	;; [unrolled: 1-line block ×9, first 2 shown]
	ds_load_b128 v[38:41], v1 offset:1664
	ds_load_b128 v[175:178], v1 offset:1680
	s_clause 0x1
	scratch_load_b128 v[179:182], off, off offset:736
	scratch_load_b128 v[183:186], off, off offset:896
	s_mov_b32 s2, exec_lo
	s_waitcnt vmcnt(10) lgkmcnt(1)
	v_mul_f64 v[167:168], v[40:41], v[4:5]
	v_mul_f64 v[4:5], v[38:39], v[4:5]
	s_waitcnt vmcnt(9) lgkmcnt(0)
	v_mul_f64 v[171:172], v[175:176], v[8:9]
	v_mul_f64 v[8:9], v[177:178], v[8:9]
	s_delay_alu instid0(VALU_DEP_4) | instskip(NEXT) | instid1(VALU_DEP_4)
	v_fma_f64 v[167:168], v[38:39], v[2:3], -v[167:168]
	v_fma_f64 v[187:188], v[40:41], v[2:3], v[4:5]
	ds_load_b128 v[2:5], v1 offset:1696
	ds_load_b128 v[38:41], v1 offset:1712
	v_fma_f64 v[171:172], v[177:178], v[6:7], v[171:172]
	v_fma_f64 v[6:7], v[175:176], v[6:7], -v[8:9]
	s_waitcnt vmcnt(8) lgkmcnt(1)
	v_mul_f64 v[189:190], v[2:3], v[12:13]
	v_mul_f64 v[12:13], v[4:5], v[12:13]
	s_waitcnt vmcnt(7) lgkmcnt(0)
	v_mul_f64 v[175:176], v[38:39], v[16:17]
	v_mul_f64 v[16:17], v[40:41], v[16:17]
	v_add_f64 v[8:9], v[167:168], 0
	v_add_f64 v[167:168], v[187:188], 0
	v_fma_f64 v[177:178], v[4:5], v[10:11], v[189:190]
	v_fma_f64 v[10:11], v[2:3], v[10:11], -v[12:13]
	v_fma_f64 v[40:41], v[40:41], v[14:15], v[175:176]
	v_fma_f64 v[14:15], v[38:39], v[14:15], -v[16:17]
	v_add_f64 v[12:13], v[8:9], v[6:7]
	v_add_f64 v[167:168], v[167:168], v[171:172]
	ds_load_b128 v[2:5], v1 offset:1728
	ds_load_b128 v[6:9], v1 offset:1744
	s_waitcnt vmcnt(6) lgkmcnt(1)
	v_mul_f64 v[171:172], v[2:3], v[20:21]
	v_mul_f64 v[20:21], v[4:5], v[20:21]
	s_waitcnt vmcnt(5) lgkmcnt(0)
	v_mul_f64 v[16:17], v[6:7], v[24:25]
	v_mul_f64 v[24:25], v[8:9], v[24:25]
	v_add_f64 v[10:11], v[12:13], v[10:11]
	v_add_f64 v[12:13], v[167:168], v[177:178]
	v_fma_f64 v[38:39], v[4:5], v[18:19], v[171:172]
	v_fma_f64 v[18:19], v[2:3], v[18:19], -v[20:21]
	v_fma_f64 v[8:9], v[8:9], v[22:23], v[16:17]
	v_fma_f64 v[6:7], v[6:7], v[22:23], -v[24:25]
	v_add_f64 v[14:15], v[10:11], v[14:15]
	v_add_f64 v[20:21], v[12:13], v[40:41]
	ds_load_b128 v[2:5], v1 offset:1760
	ds_load_b128 v[10:13], v1 offset:1776
	s_waitcnt vmcnt(4) lgkmcnt(1)
	v_mul_f64 v[40:41], v[2:3], v[28:29]
	v_mul_f64 v[28:29], v[4:5], v[28:29]
	v_add_f64 v[14:15], v[14:15], v[18:19]
	v_add_f64 v[16:17], v[20:21], v[38:39]
	s_waitcnt vmcnt(3) lgkmcnt(0)
	v_mul_f64 v[18:19], v[10:11], v[32:33]
	v_mul_f64 v[20:21], v[12:13], v[32:33]
	v_fma_f64 v[22:23], v[4:5], v[26:27], v[40:41]
	v_fma_f64 v[24:25], v[2:3], v[26:27], -v[28:29]
	v_add_f64 v[14:15], v[14:15], v[6:7]
	v_add_f64 v[16:17], v[16:17], v[8:9]
	ds_load_b128 v[2:5], v1 offset:1792
	ds_load_b128 v[6:9], v1 offset:1808
	v_fma_f64 v[12:13], v[12:13], v[30:31], v[18:19]
	v_fma_f64 v[10:11], v[10:11], v[30:31], -v[20:21]
	s_waitcnt vmcnt(2) lgkmcnt(1)
	v_mul_f64 v[26:27], v[2:3], v[36:37]
	v_mul_f64 v[28:29], v[4:5], v[36:37]
	s_waitcnt vmcnt(0) lgkmcnt(0)
	v_mul_f64 v[18:19], v[6:7], v[185:186]
	v_mul_f64 v[20:21], v[8:9], v[185:186]
	v_add_f64 v[14:15], v[14:15], v[24:25]
	v_add_f64 v[16:17], v[16:17], v[22:23]
	v_fma_f64 v[4:5], v[4:5], v[34:35], v[26:27]
	v_fma_f64 v[1:2], v[2:3], v[34:35], -v[28:29]
	v_fma_f64 v[8:9], v[8:9], v[183:184], v[18:19]
	v_fma_f64 v[6:7], v[6:7], v[183:184], -v[20:21]
	v_add_f64 v[10:11], v[14:15], v[10:11]
	v_add_f64 v[12:13], v[16:17], v[12:13]
	s_delay_alu instid0(VALU_DEP_2) | instskip(NEXT) | instid1(VALU_DEP_2)
	v_add_f64 v[1:2], v[10:11], v[1:2]
	v_add_f64 v[3:4], v[12:13], v[4:5]
	s_delay_alu instid0(VALU_DEP_2) | instskip(NEXT) | instid1(VALU_DEP_2)
	;; [unrolled: 3-line block ×3, first 2 shown]
	v_add_f64 v[1:2], v[179:180], -v[1:2]
	v_add_f64 v[3:4], v[181:182], -v[3:4]
	scratch_store_b128 off, v[1:4], off offset:736
	v_cmpx_lt_u32_e32 45, v156
	s_cbranch_execz .LBB56_265
; %bb.264:
	scratch_load_b128 v[1:4], v170, off
	v_mov_b32_e32 v5, 0
	s_delay_alu instid0(VALU_DEP_1)
	v_mov_b32_e32 v6, v5
	v_mov_b32_e32 v7, v5
	;; [unrolled: 1-line block ×3, first 2 shown]
	scratch_store_b128 off, v[5:8], off offset:720
	s_waitcnt vmcnt(0)
	ds_store_b128 v213, v[1:4]
.LBB56_265:
	s_or_b32 exec_lo, exec_lo, s2
	s_waitcnt lgkmcnt(0)
	s_waitcnt_vscnt null, 0x0
	s_barrier
	buffer_gl0_inv
	s_clause 0x7
	scratch_load_b128 v[2:5], off, off offset:736
	scratch_load_b128 v[6:9], off, off offset:752
	;; [unrolled: 1-line block ×8, first 2 shown]
	v_mov_b32_e32 v1, 0
	s_mov_b32 s2, exec_lo
	ds_load_b128 v[34:37], v1 offset:1648
	s_clause 0x1
	scratch_load_b128 v[38:41], off, off offset:864
	scratch_load_b128 v[175:178], off, off offset:720
	ds_load_b128 v[179:182], v1 offset:1664
	scratch_load_b128 v[183:186], off, off offset:880
	ds_load_b128 v[187:190], v1 offset:1696
	s_waitcnt vmcnt(10) lgkmcnt(2)
	v_mul_f64 v[167:168], v[36:37], v[4:5]
	v_mul_f64 v[4:5], v[34:35], v[4:5]
	s_delay_alu instid0(VALU_DEP_2) | instskip(NEXT) | instid1(VALU_DEP_2)
	v_fma_f64 v[167:168], v[34:35], v[2:3], -v[167:168]
	v_fma_f64 v[191:192], v[36:37], v[2:3], v[4:5]
	scratch_load_b128 v[34:37], off, off offset:896
	ds_load_b128 v[2:5], v1 offset:1680
	s_waitcnt vmcnt(10) lgkmcnt(2)
	v_mul_f64 v[171:172], v[179:180], v[8:9]
	v_mul_f64 v[8:9], v[181:182], v[8:9]
	s_waitcnt vmcnt(9) lgkmcnt(0)
	v_mul_f64 v[233:234], v[2:3], v[12:13]
	v_mul_f64 v[12:13], v[4:5], v[12:13]
	s_delay_alu instid0(VALU_DEP_4) | instskip(NEXT) | instid1(VALU_DEP_4)
	v_fma_f64 v[171:172], v[181:182], v[6:7], v[171:172]
	v_fma_f64 v[6:7], v[179:180], v[6:7], -v[8:9]
	v_add_f64 v[8:9], v[167:168], 0
	v_add_f64 v[167:168], v[191:192], 0
	s_waitcnt vmcnt(8)
	v_mul_f64 v[179:180], v[187:188], v[16:17]
	v_mul_f64 v[16:17], v[189:190], v[16:17]
	v_fma_f64 v[181:182], v[4:5], v[10:11], v[233:234]
	v_fma_f64 v[10:11], v[2:3], v[10:11], -v[12:13]
	v_add_f64 v[12:13], v[8:9], v[6:7]
	v_add_f64 v[167:168], v[167:168], v[171:172]
	ds_load_b128 v[2:5], v1 offset:1712
	ds_load_b128 v[6:9], v1 offset:1728
	v_fma_f64 v[179:180], v[189:190], v[14:15], v[179:180]
	v_fma_f64 v[14:15], v[187:188], v[14:15], -v[16:17]
	s_waitcnt vmcnt(7) lgkmcnt(1)
	v_mul_f64 v[171:172], v[2:3], v[20:21]
	v_mul_f64 v[20:21], v[4:5], v[20:21]
	s_waitcnt vmcnt(6) lgkmcnt(0)
	v_mul_f64 v[16:17], v[6:7], v[24:25]
	v_mul_f64 v[24:25], v[8:9], v[24:25]
	v_add_f64 v[10:11], v[12:13], v[10:11]
	v_add_f64 v[12:13], v[167:168], v[181:182]
	v_fma_f64 v[167:168], v[4:5], v[18:19], v[171:172]
	v_fma_f64 v[18:19], v[2:3], v[18:19], -v[20:21]
	v_fma_f64 v[8:9], v[8:9], v[22:23], v[16:17]
	v_fma_f64 v[6:7], v[6:7], v[22:23], -v[24:25]
	v_add_f64 v[14:15], v[10:11], v[14:15]
	v_add_f64 v[20:21], v[12:13], v[179:180]
	ds_load_b128 v[2:5], v1 offset:1744
	ds_load_b128 v[10:13], v1 offset:1760
	s_waitcnt vmcnt(5) lgkmcnt(1)
	v_mul_f64 v[171:172], v[2:3], v[28:29]
	v_mul_f64 v[28:29], v[4:5], v[28:29]
	v_add_f64 v[14:15], v[14:15], v[18:19]
	v_add_f64 v[16:17], v[20:21], v[167:168]
	s_waitcnt vmcnt(4) lgkmcnt(0)
	v_mul_f64 v[18:19], v[10:11], v[32:33]
	v_mul_f64 v[20:21], v[12:13], v[32:33]
	v_fma_f64 v[22:23], v[4:5], v[26:27], v[171:172]
	v_fma_f64 v[24:25], v[2:3], v[26:27], -v[28:29]
	v_add_f64 v[14:15], v[14:15], v[6:7]
	v_add_f64 v[16:17], v[16:17], v[8:9]
	ds_load_b128 v[2:5], v1 offset:1776
	ds_load_b128 v[6:9], v1 offset:1792
	v_fma_f64 v[12:13], v[12:13], v[30:31], v[18:19]
	v_fma_f64 v[10:11], v[10:11], v[30:31], -v[20:21]
	s_waitcnt vmcnt(3) lgkmcnt(1)
	v_mul_f64 v[26:27], v[2:3], v[40:41]
	v_mul_f64 v[28:29], v[4:5], v[40:41]
	s_waitcnt vmcnt(1) lgkmcnt(0)
	v_mul_f64 v[18:19], v[6:7], v[185:186]
	v_mul_f64 v[20:21], v[8:9], v[185:186]
	v_add_f64 v[14:15], v[14:15], v[24:25]
	v_add_f64 v[16:17], v[16:17], v[22:23]
	v_fma_f64 v[22:23], v[4:5], v[38:39], v[26:27]
	v_fma_f64 v[24:25], v[2:3], v[38:39], -v[28:29]
	ds_load_b128 v[2:5], v1 offset:1808
	v_fma_f64 v[8:9], v[8:9], v[183:184], v[18:19]
	v_fma_f64 v[6:7], v[6:7], v[183:184], -v[20:21]
	v_add_f64 v[10:11], v[14:15], v[10:11]
	v_add_f64 v[12:13], v[16:17], v[12:13]
	s_waitcnt vmcnt(0) lgkmcnt(0)
	v_mul_f64 v[14:15], v[2:3], v[36:37]
	v_mul_f64 v[16:17], v[4:5], v[36:37]
	s_delay_alu instid0(VALU_DEP_4) | instskip(NEXT) | instid1(VALU_DEP_4)
	v_add_f64 v[10:11], v[10:11], v[24:25]
	v_add_f64 v[12:13], v[12:13], v[22:23]
	s_delay_alu instid0(VALU_DEP_4) | instskip(NEXT) | instid1(VALU_DEP_4)
	v_fma_f64 v[4:5], v[4:5], v[34:35], v[14:15]
	v_fma_f64 v[2:3], v[2:3], v[34:35], -v[16:17]
	s_delay_alu instid0(VALU_DEP_4) | instskip(NEXT) | instid1(VALU_DEP_4)
	v_add_f64 v[6:7], v[10:11], v[6:7]
	v_add_f64 v[8:9], v[12:13], v[8:9]
	s_delay_alu instid0(VALU_DEP_2) | instskip(NEXT) | instid1(VALU_DEP_2)
	v_add_f64 v[2:3], v[6:7], v[2:3]
	v_add_f64 v[4:5], v[8:9], v[4:5]
	s_delay_alu instid0(VALU_DEP_2) | instskip(NEXT) | instid1(VALU_DEP_2)
	v_add_f64 v[2:3], v[175:176], -v[2:3]
	v_add_f64 v[4:5], v[177:178], -v[4:5]
	scratch_store_b128 off, v[2:5], off offset:720
	v_cmpx_lt_u32_e32 44, v156
	s_cbranch_execz .LBB56_267
; %bb.266:
	scratch_load_b128 v[5:8], v173, off
	v_mov_b32_e32 v2, v1
	v_mov_b32_e32 v3, v1
	;; [unrolled: 1-line block ×3, first 2 shown]
	scratch_store_b128 off, v[1:4], off offset:704
	s_waitcnt vmcnt(0)
	ds_store_b128 v213, v[5:8]
.LBB56_267:
	s_or_b32 exec_lo, exec_lo, s2
	s_waitcnt lgkmcnt(0)
	s_waitcnt_vscnt null, 0x0
	s_barrier
	buffer_gl0_inv
	s_clause 0x8
	scratch_load_b128 v[2:5], off, off offset:720
	scratch_load_b128 v[6:9], off, off offset:736
	;; [unrolled: 1-line block ×9, first 2 shown]
	ds_load_b128 v[38:41], v1 offset:1632
	ds_load_b128 v[175:178], v1 offset:1648
	s_clause 0x1
	scratch_load_b128 v[179:182], off, off offset:704
	scratch_load_b128 v[183:186], off, off offset:864
	s_mov_b32 s2, exec_lo
	ds_load_b128 v[187:190], v1 offset:1680
	s_waitcnt vmcnt(10) lgkmcnt(2)
	v_mul_f64 v[167:168], v[40:41], v[4:5]
	v_mul_f64 v[4:5], v[38:39], v[4:5]
	s_waitcnt vmcnt(9) lgkmcnt(1)
	v_mul_f64 v[171:172], v[175:176], v[8:9]
	v_mul_f64 v[8:9], v[177:178], v[8:9]
	s_delay_alu instid0(VALU_DEP_4) | instskip(NEXT) | instid1(VALU_DEP_4)
	v_fma_f64 v[167:168], v[38:39], v[2:3], -v[167:168]
	v_fma_f64 v[191:192], v[40:41], v[2:3], v[4:5]
	ds_load_b128 v[2:5], v1 offset:1664
	scratch_load_b128 v[38:41], off, off offset:880
	v_fma_f64 v[171:172], v[177:178], v[6:7], v[171:172]
	v_fma_f64 v[175:176], v[175:176], v[6:7], -v[8:9]
	scratch_load_b128 v[6:9], off, off offset:896
	s_waitcnt vmcnt(10) lgkmcnt(0)
	v_mul_f64 v[233:234], v[2:3], v[12:13]
	v_mul_f64 v[12:13], v[4:5], v[12:13]
	v_add_f64 v[167:168], v[167:168], 0
	v_add_f64 v[177:178], v[191:192], 0
	s_waitcnt vmcnt(9)
	v_mul_f64 v[191:192], v[187:188], v[16:17]
	v_mul_f64 v[16:17], v[189:190], v[16:17]
	v_fma_f64 v[233:234], v[4:5], v[10:11], v[233:234]
	v_fma_f64 v[235:236], v[2:3], v[10:11], -v[12:13]
	ds_load_b128 v[2:5], v1 offset:1696
	ds_load_b128 v[10:13], v1 offset:1712
	v_add_f64 v[167:168], v[167:168], v[175:176]
	v_add_f64 v[171:172], v[177:178], v[171:172]
	v_fma_f64 v[177:178], v[189:190], v[14:15], v[191:192]
	v_fma_f64 v[14:15], v[187:188], v[14:15], -v[16:17]
	s_waitcnt vmcnt(8) lgkmcnt(1)
	v_mul_f64 v[175:176], v[2:3], v[20:21]
	v_mul_f64 v[20:21], v[4:5], v[20:21]
	v_add_f64 v[16:17], v[167:168], v[235:236]
	v_add_f64 v[167:168], v[171:172], v[233:234]
	s_waitcnt vmcnt(7) lgkmcnt(0)
	v_mul_f64 v[171:172], v[10:11], v[24:25]
	v_mul_f64 v[24:25], v[12:13], v[24:25]
	v_fma_f64 v[175:176], v[4:5], v[18:19], v[175:176]
	v_fma_f64 v[18:19], v[2:3], v[18:19], -v[20:21]
	v_add_f64 v[20:21], v[16:17], v[14:15]
	v_add_f64 v[167:168], v[167:168], v[177:178]
	ds_load_b128 v[2:5], v1 offset:1728
	ds_load_b128 v[14:17], v1 offset:1744
	v_fma_f64 v[12:13], v[12:13], v[22:23], v[171:172]
	v_fma_f64 v[10:11], v[10:11], v[22:23], -v[24:25]
	s_waitcnt vmcnt(6) lgkmcnt(1)
	v_mul_f64 v[177:178], v[2:3], v[28:29]
	v_mul_f64 v[28:29], v[4:5], v[28:29]
	s_waitcnt vmcnt(5) lgkmcnt(0)
	v_mul_f64 v[22:23], v[14:15], v[32:33]
	v_mul_f64 v[24:25], v[16:17], v[32:33]
	v_add_f64 v[18:19], v[20:21], v[18:19]
	v_add_f64 v[20:21], v[167:168], v[175:176]
	v_fma_f64 v[32:33], v[4:5], v[26:27], v[177:178]
	v_fma_f64 v[26:27], v[2:3], v[26:27], -v[28:29]
	v_fma_f64 v[16:17], v[16:17], v[30:31], v[22:23]
	v_fma_f64 v[14:15], v[14:15], v[30:31], -v[24:25]
	v_add_f64 v[18:19], v[18:19], v[10:11]
	v_add_f64 v[20:21], v[20:21], v[12:13]
	ds_load_b128 v[2:5], v1 offset:1760
	ds_load_b128 v[10:13], v1 offset:1776
	s_waitcnt vmcnt(4) lgkmcnt(1)
	v_mul_f64 v[28:29], v[2:3], v[36:37]
	v_mul_f64 v[36:37], v[4:5], v[36:37]
	s_waitcnt vmcnt(2) lgkmcnt(0)
	v_mul_f64 v[22:23], v[10:11], v[185:186]
	v_mul_f64 v[24:25], v[12:13], v[185:186]
	v_add_f64 v[18:19], v[18:19], v[26:27]
	v_add_f64 v[20:21], v[20:21], v[32:33]
	v_fma_f64 v[26:27], v[4:5], v[34:35], v[28:29]
	v_fma_f64 v[28:29], v[2:3], v[34:35], -v[36:37]
	v_fma_f64 v[12:13], v[12:13], v[183:184], v[22:23]
	v_fma_f64 v[10:11], v[10:11], v[183:184], -v[24:25]
	v_add_f64 v[18:19], v[18:19], v[14:15]
	v_add_f64 v[20:21], v[20:21], v[16:17]
	ds_load_b128 v[2:5], v1 offset:1792
	ds_load_b128 v[14:17], v1 offset:1808
	s_waitcnt vmcnt(1) lgkmcnt(1)
	v_mul_f64 v[30:31], v[2:3], v[40:41]
	v_mul_f64 v[32:33], v[4:5], v[40:41]
	s_waitcnt vmcnt(0) lgkmcnt(0)
	v_mul_f64 v[22:23], v[14:15], v[8:9]
	v_mul_f64 v[8:9], v[16:17], v[8:9]
	v_add_f64 v[18:19], v[18:19], v[28:29]
	v_add_f64 v[20:21], v[20:21], v[26:27]
	v_fma_f64 v[4:5], v[4:5], v[38:39], v[30:31]
	v_fma_f64 v[1:2], v[2:3], v[38:39], -v[32:33]
	v_fma_f64 v[16:17], v[16:17], v[6:7], v[22:23]
	v_fma_f64 v[6:7], v[14:15], v[6:7], -v[8:9]
	v_add_f64 v[10:11], v[18:19], v[10:11]
	v_add_f64 v[12:13], v[20:21], v[12:13]
	s_delay_alu instid0(VALU_DEP_2) | instskip(NEXT) | instid1(VALU_DEP_2)
	v_add_f64 v[1:2], v[10:11], v[1:2]
	v_add_f64 v[3:4], v[12:13], v[4:5]
	s_delay_alu instid0(VALU_DEP_2) | instskip(NEXT) | instid1(VALU_DEP_2)
	;; [unrolled: 3-line block ×3, first 2 shown]
	v_add_f64 v[1:2], v[179:180], -v[1:2]
	v_add_f64 v[3:4], v[181:182], -v[3:4]
	scratch_store_b128 off, v[1:4], off offset:704
	v_cmpx_lt_u32_e32 43, v156
	s_cbranch_execz .LBB56_269
; %bb.268:
	scratch_load_b128 v[1:4], v174, off
	v_mov_b32_e32 v5, 0
	s_delay_alu instid0(VALU_DEP_1)
	v_mov_b32_e32 v6, v5
	v_mov_b32_e32 v7, v5
	;; [unrolled: 1-line block ×3, first 2 shown]
	scratch_store_b128 off, v[5:8], off offset:688
	s_waitcnt vmcnt(0)
	ds_store_b128 v213, v[1:4]
.LBB56_269:
	s_or_b32 exec_lo, exec_lo, s2
	s_waitcnt lgkmcnt(0)
	s_waitcnt_vscnt null, 0x0
	s_barrier
	buffer_gl0_inv
	s_clause 0x7
	scratch_load_b128 v[2:5], off, off offset:704
	scratch_load_b128 v[6:9], off, off offset:720
	;; [unrolled: 1-line block ×8, first 2 shown]
	v_mov_b32_e32 v1, 0
	s_clause 0x1
	scratch_load_b128 v[38:41], off, off offset:832
	scratch_load_b128 v[179:182], off, off offset:848
	s_mov_b32 s2, exec_lo
	ds_load_b128 v[34:37], v1 offset:1616
	ds_load_b128 v[175:178], v1 offset:1632
	s_waitcnt vmcnt(9) lgkmcnt(1)
	v_mul_f64 v[167:168], v[36:37], v[4:5]
	v_mul_f64 v[4:5], v[34:35], v[4:5]
	s_waitcnt vmcnt(8) lgkmcnt(0)
	v_mul_f64 v[171:172], v[175:176], v[8:9]
	v_mul_f64 v[8:9], v[177:178], v[8:9]
	s_delay_alu instid0(VALU_DEP_4) | instskip(NEXT) | instid1(VALU_DEP_4)
	v_fma_f64 v[167:168], v[34:35], v[2:3], -v[167:168]
	v_fma_f64 v[183:184], v[36:37], v[2:3], v[4:5]
	ds_load_b128 v[2:5], v1 offset:1648
	scratch_load_b128 v[34:37], off, off offset:864
	v_fma_f64 v[171:172], v[177:178], v[6:7], v[171:172]
	v_fma_f64 v[187:188], v[175:176], v[6:7], -v[8:9]
	ds_load_b128 v[6:9], v1 offset:1664
	scratch_load_b128 v[175:178], off, off offset:880
	s_waitcnt vmcnt(9) lgkmcnt(1)
	v_mul_f64 v[185:186], v[2:3], v[12:13]
	v_mul_f64 v[12:13], v[4:5], v[12:13]
	s_waitcnt vmcnt(8) lgkmcnt(0)
	v_mul_f64 v[189:190], v[6:7], v[16:17]
	v_mul_f64 v[16:17], v[8:9], v[16:17]
	v_add_f64 v[167:168], v[167:168], 0
	v_add_f64 v[183:184], v[183:184], 0
	v_fma_f64 v[185:186], v[4:5], v[10:11], v[185:186]
	v_fma_f64 v[191:192], v[2:3], v[10:11], -v[12:13]
	scratch_load_b128 v[10:13], off, off offset:896
	ds_load_b128 v[2:5], v1 offset:1680
	v_add_f64 v[167:168], v[167:168], v[187:188]
	v_add_f64 v[171:172], v[183:184], v[171:172]
	v_fma_f64 v[187:188], v[8:9], v[14:15], v[189:190]
	v_fma_f64 v[14:15], v[6:7], v[14:15], -v[16:17]
	ds_load_b128 v[6:9], v1 offset:1696
	s_waitcnt vmcnt(8) lgkmcnt(1)
	v_mul_f64 v[183:184], v[2:3], v[20:21]
	v_mul_f64 v[20:21], v[4:5], v[20:21]
	v_add_f64 v[16:17], v[167:168], v[191:192]
	v_add_f64 v[167:168], v[171:172], v[185:186]
	s_waitcnt vmcnt(7) lgkmcnt(0)
	v_mul_f64 v[171:172], v[6:7], v[24:25]
	v_mul_f64 v[24:25], v[8:9], v[24:25]
	v_fma_f64 v[183:184], v[4:5], v[18:19], v[183:184]
	v_fma_f64 v[18:19], v[2:3], v[18:19], -v[20:21]
	ds_load_b128 v[2:5], v1 offset:1712
	v_add_f64 v[14:15], v[16:17], v[14:15]
	v_add_f64 v[16:17], v[167:168], v[187:188]
	v_fma_f64 v[167:168], v[8:9], v[22:23], v[171:172]
	v_fma_f64 v[22:23], v[6:7], v[22:23], -v[24:25]
	ds_load_b128 v[6:9], v1 offset:1728
	s_waitcnt vmcnt(6) lgkmcnt(1)
	v_mul_f64 v[20:21], v[2:3], v[28:29]
	v_mul_f64 v[28:29], v[4:5], v[28:29]
	s_waitcnt vmcnt(5) lgkmcnt(0)
	v_mul_f64 v[171:172], v[6:7], v[32:33]
	v_mul_f64 v[32:33], v[8:9], v[32:33]
	v_add_f64 v[18:19], v[14:15], v[18:19]
	v_add_f64 v[24:25], v[16:17], v[183:184]
	scratch_load_b128 v[14:17], off, off offset:688
	v_fma_f64 v[20:21], v[4:5], v[26:27], v[20:21]
	v_fma_f64 v[26:27], v[2:3], v[26:27], -v[28:29]
	ds_load_b128 v[2:5], v1 offset:1744
	s_waitcnt vmcnt(5) lgkmcnt(0)
	v_mul_f64 v[28:29], v[4:5], v[40:41]
	v_add_f64 v[18:19], v[18:19], v[22:23]
	v_add_f64 v[22:23], v[24:25], v[167:168]
	v_mul_f64 v[24:25], v[2:3], v[40:41]
	v_fma_f64 v[40:41], v[8:9], v[30:31], v[171:172]
	v_fma_f64 v[30:31], v[6:7], v[30:31], -v[32:33]
	ds_load_b128 v[6:9], v1 offset:1760
	v_fma_f64 v[28:29], v[2:3], v[38:39], -v[28:29]
	v_add_f64 v[18:19], v[18:19], v[26:27]
	v_add_f64 v[20:21], v[22:23], v[20:21]
	v_fma_f64 v[24:25], v[4:5], v[38:39], v[24:25]
	ds_load_b128 v[2:5], v1 offset:1776
	s_waitcnt vmcnt(4) lgkmcnt(1)
	v_mul_f64 v[22:23], v[6:7], v[181:182]
	v_mul_f64 v[26:27], v[8:9], v[181:182]
	v_add_f64 v[18:19], v[18:19], v[30:31]
	v_add_f64 v[20:21], v[20:21], v[40:41]
	s_delay_alu instid0(VALU_DEP_4) | instskip(NEXT) | instid1(VALU_DEP_4)
	v_fma_f64 v[22:23], v[8:9], v[179:180], v[22:23]
	v_fma_f64 v[26:27], v[6:7], v[179:180], -v[26:27]
	ds_load_b128 v[6:9], v1 offset:1792
	s_waitcnt vmcnt(3) lgkmcnt(1)
	v_mul_f64 v[30:31], v[2:3], v[36:37]
	v_mul_f64 v[32:33], v[4:5], v[36:37]
	v_add_f64 v[18:19], v[18:19], v[28:29]
	v_add_f64 v[20:21], v[20:21], v[24:25]
	s_delay_alu instid0(VALU_DEP_4) | instskip(NEXT) | instid1(VALU_DEP_4)
	v_fma_f64 v[30:31], v[4:5], v[34:35], v[30:31]
	v_fma_f64 v[32:33], v[2:3], v[34:35], -v[32:33]
	ds_load_b128 v[2:5], v1 offset:1808
	s_waitcnt vmcnt(2) lgkmcnt(1)
	v_mul_f64 v[24:25], v[6:7], v[177:178]
	v_mul_f64 v[28:29], v[8:9], v[177:178]
	v_add_f64 v[18:19], v[18:19], v[26:27]
	v_add_f64 v[20:21], v[20:21], v[22:23]
	s_waitcnt vmcnt(1) lgkmcnt(0)
	v_mul_f64 v[22:23], v[2:3], v[12:13]
	v_mul_f64 v[12:13], v[4:5], v[12:13]
	v_fma_f64 v[8:9], v[8:9], v[175:176], v[24:25]
	v_fma_f64 v[6:7], v[6:7], v[175:176], -v[28:29]
	v_add_f64 v[18:19], v[18:19], v[32:33]
	v_add_f64 v[20:21], v[20:21], v[30:31]
	v_fma_f64 v[4:5], v[4:5], v[10:11], v[22:23]
	v_fma_f64 v[2:3], v[2:3], v[10:11], -v[12:13]
	s_delay_alu instid0(VALU_DEP_4) | instskip(NEXT) | instid1(VALU_DEP_4)
	v_add_f64 v[6:7], v[18:19], v[6:7]
	v_add_f64 v[8:9], v[20:21], v[8:9]
	s_delay_alu instid0(VALU_DEP_2) | instskip(NEXT) | instid1(VALU_DEP_2)
	v_add_f64 v[2:3], v[6:7], v[2:3]
	v_add_f64 v[4:5], v[8:9], v[4:5]
	s_waitcnt vmcnt(0)
	s_delay_alu instid0(VALU_DEP_2) | instskip(NEXT) | instid1(VALU_DEP_2)
	v_add_f64 v[2:3], v[14:15], -v[2:3]
	v_add_f64 v[4:5], v[16:17], -v[4:5]
	scratch_store_b128 off, v[2:5], off offset:688
	v_cmpx_lt_u32_e32 42, v156
	s_cbranch_execz .LBB56_271
; %bb.270:
	scratch_load_b128 v[5:8], v214, off
	v_mov_b32_e32 v2, v1
	v_mov_b32_e32 v3, v1
	v_mov_b32_e32 v4, v1
	scratch_store_b128 off, v[1:4], off offset:672
	s_waitcnt vmcnt(0)
	ds_store_b128 v213, v[5:8]
.LBB56_271:
	s_or_b32 exec_lo, exec_lo, s2
	s_waitcnt lgkmcnt(0)
	s_waitcnt_vscnt null, 0x0
	s_barrier
	buffer_gl0_inv
	s_clause 0x7
	scratch_load_b128 v[2:5], off, off offset:688
	scratch_load_b128 v[6:9], off, off offset:704
	scratch_load_b128 v[10:13], off, off offset:720
	scratch_load_b128 v[14:17], off, off offset:736
	scratch_load_b128 v[18:21], off, off offset:752
	scratch_load_b128 v[22:25], off, off offset:768
	scratch_load_b128 v[26:29], off, off offset:784
	scratch_load_b128 v[30:33], off, off offset:800
	ds_load_b128 v[34:37], v1 offset:1600
	ds_load_b128 v[175:178], v1 offset:1616
	s_clause 0x1
	scratch_load_b128 v[38:41], off, off offset:816
	scratch_load_b128 v[179:182], off, off offset:832
	s_mov_b32 s2, exec_lo
	s_waitcnt vmcnt(9) lgkmcnt(1)
	v_mul_f64 v[167:168], v[36:37], v[4:5]
	v_mul_f64 v[4:5], v[34:35], v[4:5]
	s_waitcnt vmcnt(8) lgkmcnt(0)
	v_mul_f64 v[171:172], v[175:176], v[8:9]
	v_mul_f64 v[8:9], v[177:178], v[8:9]
	s_delay_alu instid0(VALU_DEP_4) | instskip(NEXT) | instid1(VALU_DEP_4)
	v_fma_f64 v[167:168], v[34:35], v[2:3], -v[167:168]
	v_fma_f64 v[183:184], v[36:37], v[2:3], v[4:5]
	scratch_load_b128 v[34:37], off, off offset:848
	ds_load_b128 v[2:5], v1 offset:1632
	v_fma_f64 v[171:172], v[177:178], v[6:7], v[171:172]
	v_fma_f64 v[187:188], v[175:176], v[6:7], -v[8:9]
	ds_load_b128 v[6:9], v1 offset:1648
	scratch_load_b128 v[175:178], off, off offset:864
	s_waitcnt vmcnt(9) lgkmcnt(1)
	v_mul_f64 v[185:186], v[2:3], v[12:13]
	v_mul_f64 v[12:13], v[4:5], v[12:13]
	s_waitcnt vmcnt(8) lgkmcnt(0)
	v_mul_f64 v[189:190], v[6:7], v[16:17]
	v_mul_f64 v[16:17], v[8:9], v[16:17]
	v_add_f64 v[167:168], v[167:168], 0
	v_add_f64 v[183:184], v[183:184], 0
	v_fma_f64 v[185:186], v[4:5], v[10:11], v[185:186]
	v_fma_f64 v[191:192], v[2:3], v[10:11], -v[12:13]
	scratch_load_b128 v[10:13], off, off offset:880
	ds_load_b128 v[2:5], v1 offset:1664
	v_add_f64 v[167:168], v[167:168], v[187:188]
	v_add_f64 v[171:172], v[183:184], v[171:172]
	v_fma_f64 v[187:188], v[8:9], v[14:15], v[189:190]
	v_fma_f64 v[189:190], v[6:7], v[14:15], -v[16:17]
	ds_load_b128 v[6:9], v1 offset:1680
	scratch_load_b128 v[14:17], off, off offset:896
	s_waitcnt vmcnt(9) lgkmcnt(1)
	v_mul_f64 v[183:184], v[2:3], v[20:21]
	v_mul_f64 v[20:21], v[4:5], v[20:21]
	v_add_f64 v[167:168], v[167:168], v[191:192]
	v_add_f64 v[171:172], v[171:172], v[185:186]
	s_waitcnt vmcnt(8) lgkmcnt(0)
	v_mul_f64 v[185:186], v[6:7], v[24:25]
	v_mul_f64 v[24:25], v[8:9], v[24:25]
	v_fma_f64 v[183:184], v[4:5], v[18:19], v[183:184]
	v_fma_f64 v[18:19], v[2:3], v[18:19], -v[20:21]
	ds_load_b128 v[2:5], v1 offset:1696
	v_add_f64 v[20:21], v[167:168], v[189:190]
	v_add_f64 v[167:168], v[171:172], v[187:188]
	v_fma_f64 v[185:186], v[8:9], v[22:23], v[185:186]
	v_fma_f64 v[22:23], v[6:7], v[22:23], -v[24:25]
	ds_load_b128 v[6:9], v1 offset:1712
	s_waitcnt vmcnt(7) lgkmcnt(1)
	v_mul_f64 v[171:172], v[2:3], v[28:29]
	v_mul_f64 v[28:29], v[4:5], v[28:29]
	s_waitcnt vmcnt(6) lgkmcnt(0)
	v_mul_f64 v[24:25], v[6:7], v[32:33]
	v_mul_f64 v[32:33], v[8:9], v[32:33]
	v_add_f64 v[18:19], v[20:21], v[18:19]
	v_add_f64 v[20:21], v[167:168], v[183:184]
	v_fma_f64 v[167:168], v[4:5], v[26:27], v[171:172]
	v_fma_f64 v[26:27], v[2:3], v[26:27], -v[28:29]
	ds_load_b128 v[2:5], v1 offset:1728
	v_fma_f64 v[24:25], v[8:9], v[30:31], v[24:25]
	v_fma_f64 v[30:31], v[6:7], v[30:31], -v[32:33]
	ds_load_b128 v[6:9], v1 offset:1744
	v_add_f64 v[22:23], v[18:19], v[22:23]
	v_add_f64 v[28:29], v[20:21], v[185:186]
	scratch_load_b128 v[18:21], off, off offset:672
	s_waitcnt vmcnt(6) lgkmcnt(1)
	v_mul_f64 v[171:172], v[2:3], v[40:41]
	v_mul_f64 v[40:41], v[4:5], v[40:41]
	s_waitcnt vmcnt(5) lgkmcnt(0)
	v_mul_f64 v[32:33], v[8:9], v[181:182]
	v_add_f64 v[22:23], v[22:23], v[26:27]
	v_add_f64 v[26:27], v[28:29], v[167:168]
	v_mul_f64 v[28:29], v[6:7], v[181:182]
	v_fma_f64 v[167:168], v[4:5], v[38:39], v[171:172]
	v_fma_f64 v[38:39], v[2:3], v[38:39], -v[40:41]
	ds_load_b128 v[2:5], v1 offset:1760
	v_fma_f64 v[32:33], v[6:7], v[179:180], -v[32:33]
	v_add_f64 v[22:23], v[22:23], v[30:31]
	v_add_f64 v[24:25], v[26:27], v[24:25]
	v_fma_f64 v[28:29], v[8:9], v[179:180], v[28:29]
	ds_load_b128 v[6:9], v1 offset:1776
	s_waitcnt vmcnt(4) lgkmcnt(1)
	v_mul_f64 v[26:27], v[2:3], v[36:37]
	v_mul_f64 v[30:31], v[4:5], v[36:37]
	s_waitcnt vmcnt(3) lgkmcnt(0)
	v_mul_f64 v[36:37], v[6:7], v[177:178]
	v_add_f64 v[22:23], v[22:23], v[38:39]
	v_add_f64 v[24:25], v[24:25], v[167:168]
	v_mul_f64 v[38:39], v[8:9], v[177:178]
	v_fma_f64 v[26:27], v[4:5], v[34:35], v[26:27]
	v_fma_f64 v[30:31], v[2:3], v[34:35], -v[30:31]
	ds_load_b128 v[2:5], v1 offset:1792
	v_add_f64 v[22:23], v[22:23], v[32:33]
	v_add_f64 v[24:25], v[24:25], v[28:29]
	v_fma_f64 v[32:33], v[8:9], v[175:176], v[36:37]
	v_fma_f64 v[34:35], v[6:7], v[175:176], -v[38:39]
	ds_load_b128 v[6:9], v1 offset:1808
	s_waitcnt vmcnt(2) lgkmcnt(1)
	v_mul_f64 v[28:29], v[2:3], v[12:13]
	v_mul_f64 v[12:13], v[4:5], v[12:13]
	v_add_f64 v[22:23], v[22:23], v[30:31]
	v_add_f64 v[24:25], v[24:25], v[26:27]
	s_waitcnt vmcnt(1) lgkmcnt(0)
	v_mul_f64 v[26:27], v[6:7], v[16:17]
	v_mul_f64 v[16:17], v[8:9], v[16:17]
	v_fma_f64 v[4:5], v[4:5], v[10:11], v[28:29]
	v_fma_f64 v[1:2], v[2:3], v[10:11], -v[12:13]
	v_add_f64 v[10:11], v[22:23], v[34:35]
	v_add_f64 v[12:13], v[24:25], v[32:33]
	v_fma_f64 v[8:9], v[8:9], v[14:15], v[26:27]
	v_fma_f64 v[6:7], v[6:7], v[14:15], -v[16:17]
	s_delay_alu instid0(VALU_DEP_4) | instskip(NEXT) | instid1(VALU_DEP_4)
	v_add_f64 v[1:2], v[10:11], v[1:2]
	v_add_f64 v[3:4], v[12:13], v[4:5]
	s_delay_alu instid0(VALU_DEP_2) | instskip(NEXT) | instid1(VALU_DEP_2)
	v_add_f64 v[1:2], v[1:2], v[6:7]
	v_add_f64 v[3:4], v[3:4], v[8:9]
	s_waitcnt vmcnt(0)
	s_delay_alu instid0(VALU_DEP_2) | instskip(NEXT) | instid1(VALU_DEP_2)
	v_add_f64 v[1:2], v[18:19], -v[1:2]
	v_add_f64 v[3:4], v[20:21], -v[3:4]
	scratch_store_b128 off, v[1:4], off offset:672
	v_cmpx_lt_u32_e32 41, v156
	s_cbranch_execz .LBB56_273
; %bb.272:
	scratch_load_b128 v[1:4], v215, off
	v_mov_b32_e32 v5, 0
	s_delay_alu instid0(VALU_DEP_1)
	v_mov_b32_e32 v6, v5
	v_mov_b32_e32 v7, v5
	;; [unrolled: 1-line block ×3, first 2 shown]
	scratch_store_b128 off, v[5:8], off offset:656
	s_waitcnt vmcnt(0)
	ds_store_b128 v213, v[1:4]
.LBB56_273:
	s_or_b32 exec_lo, exec_lo, s2
	s_waitcnt lgkmcnt(0)
	s_waitcnt_vscnt null, 0x0
	s_barrier
	buffer_gl0_inv
	s_clause 0x7
	scratch_load_b128 v[2:5], off, off offset:672
	scratch_load_b128 v[6:9], off, off offset:688
	;; [unrolled: 1-line block ×8, first 2 shown]
	v_mov_b32_e32 v1, 0
	s_clause 0x1
	scratch_load_b128 v[38:41], off, off offset:800
	scratch_load_b128 v[179:182], off, off offset:816
	s_mov_b32 s2, exec_lo
	ds_load_b128 v[34:37], v1 offset:1584
	ds_load_b128 v[175:178], v1 offset:1600
	s_waitcnt vmcnt(9) lgkmcnt(1)
	v_mul_f64 v[167:168], v[36:37], v[4:5]
	v_mul_f64 v[4:5], v[34:35], v[4:5]
	s_waitcnt vmcnt(8) lgkmcnt(0)
	v_mul_f64 v[171:172], v[175:176], v[8:9]
	v_mul_f64 v[8:9], v[177:178], v[8:9]
	s_delay_alu instid0(VALU_DEP_4) | instskip(NEXT) | instid1(VALU_DEP_4)
	v_fma_f64 v[167:168], v[34:35], v[2:3], -v[167:168]
	v_fma_f64 v[183:184], v[36:37], v[2:3], v[4:5]
	ds_load_b128 v[2:5], v1 offset:1616
	scratch_load_b128 v[34:37], off, off offset:832
	v_fma_f64 v[171:172], v[177:178], v[6:7], v[171:172]
	v_fma_f64 v[187:188], v[175:176], v[6:7], -v[8:9]
	ds_load_b128 v[6:9], v1 offset:1632
	scratch_load_b128 v[175:178], off, off offset:848
	s_waitcnt vmcnt(9) lgkmcnt(1)
	v_mul_f64 v[185:186], v[2:3], v[12:13]
	v_mul_f64 v[12:13], v[4:5], v[12:13]
	s_waitcnt vmcnt(8) lgkmcnt(0)
	v_mul_f64 v[189:190], v[6:7], v[16:17]
	v_mul_f64 v[16:17], v[8:9], v[16:17]
	v_add_f64 v[167:168], v[167:168], 0
	v_add_f64 v[183:184], v[183:184], 0
	v_fma_f64 v[185:186], v[4:5], v[10:11], v[185:186]
	v_fma_f64 v[191:192], v[2:3], v[10:11], -v[12:13]
	scratch_load_b128 v[10:13], off, off offset:864
	ds_load_b128 v[2:5], v1 offset:1648
	v_add_f64 v[167:168], v[167:168], v[187:188]
	v_add_f64 v[171:172], v[183:184], v[171:172]
	v_fma_f64 v[187:188], v[8:9], v[14:15], v[189:190]
	v_fma_f64 v[189:190], v[6:7], v[14:15], -v[16:17]
	ds_load_b128 v[6:9], v1 offset:1664
	scratch_load_b128 v[14:17], off, off offset:880
	s_waitcnt vmcnt(9) lgkmcnt(1)
	v_mul_f64 v[183:184], v[2:3], v[20:21]
	v_mul_f64 v[20:21], v[4:5], v[20:21]
	v_add_f64 v[167:168], v[167:168], v[191:192]
	v_add_f64 v[171:172], v[171:172], v[185:186]
	s_waitcnt vmcnt(8) lgkmcnt(0)
	v_mul_f64 v[185:186], v[6:7], v[24:25]
	v_mul_f64 v[24:25], v[8:9], v[24:25]
	v_fma_f64 v[183:184], v[4:5], v[18:19], v[183:184]
	v_fma_f64 v[191:192], v[2:3], v[18:19], -v[20:21]
	scratch_load_b128 v[18:21], off, off offset:896
	ds_load_b128 v[2:5], v1 offset:1680
	v_add_f64 v[167:168], v[167:168], v[189:190]
	v_add_f64 v[171:172], v[171:172], v[187:188]
	v_fma_f64 v[185:186], v[8:9], v[22:23], v[185:186]
	v_fma_f64 v[22:23], v[6:7], v[22:23], -v[24:25]
	ds_load_b128 v[6:9], v1 offset:1696
	s_waitcnt vmcnt(8) lgkmcnt(1)
	v_mul_f64 v[187:188], v[2:3], v[28:29]
	v_mul_f64 v[28:29], v[4:5], v[28:29]
	v_add_f64 v[24:25], v[167:168], v[191:192]
	v_add_f64 v[167:168], v[171:172], v[183:184]
	s_waitcnt vmcnt(7) lgkmcnt(0)
	v_mul_f64 v[171:172], v[6:7], v[32:33]
	v_mul_f64 v[32:33], v[8:9], v[32:33]
	v_fma_f64 v[183:184], v[4:5], v[26:27], v[187:188]
	v_fma_f64 v[26:27], v[2:3], v[26:27], -v[28:29]
	ds_load_b128 v[2:5], v1 offset:1712
	v_add_f64 v[22:23], v[24:25], v[22:23]
	v_add_f64 v[24:25], v[167:168], v[185:186]
	v_fma_f64 v[167:168], v[8:9], v[30:31], v[171:172]
	v_fma_f64 v[30:31], v[6:7], v[30:31], -v[32:33]
	ds_load_b128 v[6:9], v1 offset:1728
	s_waitcnt vmcnt(5) lgkmcnt(0)
	v_mul_f64 v[171:172], v[6:7], v[181:182]
	v_mul_f64 v[181:182], v[8:9], v[181:182]
	v_add_f64 v[26:27], v[22:23], v[26:27]
	v_add_f64 v[32:33], v[24:25], v[183:184]
	scratch_load_b128 v[22:25], off, off offset:656
	v_mul_f64 v[28:29], v[2:3], v[40:41]
	v_mul_f64 v[40:41], v[4:5], v[40:41]
	v_add_f64 v[26:27], v[26:27], v[30:31]
	v_add_f64 v[30:31], v[32:33], v[167:168]
	v_fma_f64 v[167:168], v[6:7], v[179:180], -v[181:182]
	v_fma_f64 v[28:29], v[4:5], v[38:39], v[28:29]
	v_fma_f64 v[38:39], v[2:3], v[38:39], -v[40:41]
	ds_load_b128 v[2:5], v1 offset:1744
	v_fma_f64 v[40:41], v[8:9], v[179:180], v[171:172]
	ds_load_b128 v[6:9], v1 offset:1760
	s_waitcnt vmcnt(5) lgkmcnt(1)
	v_mul_f64 v[32:33], v[2:3], v[36:37]
	v_mul_f64 v[36:37], v[4:5], v[36:37]
	v_add_f64 v[28:29], v[30:31], v[28:29]
	v_add_f64 v[26:27], v[26:27], v[38:39]
	s_waitcnt vmcnt(4) lgkmcnt(0)
	v_mul_f64 v[30:31], v[6:7], v[177:178]
	v_mul_f64 v[38:39], v[8:9], v[177:178]
	v_fma_f64 v[32:33], v[4:5], v[34:35], v[32:33]
	v_fma_f64 v[34:35], v[2:3], v[34:35], -v[36:37]
	ds_load_b128 v[2:5], v1 offset:1776
	v_add_f64 v[28:29], v[28:29], v[40:41]
	v_add_f64 v[26:27], v[26:27], v[167:168]
	v_fma_f64 v[30:31], v[8:9], v[175:176], v[30:31]
	v_fma_f64 v[38:39], v[6:7], v[175:176], -v[38:39]
	ds_load_b128 v[6:9], v1 offset:1792
	s_waitcnt vmcnt(3) lgkmcnt(1)
	v_mul_f64 v[36:37], v[2:3], v[12:13]
	v_mul_f64 v[12:13], v[4:5], v[12:13]
	v_add_f64 v[28:29], v[28:29], v[32:33]
	v_add_f64 v[26:27], v[26:27], v[34:35]
	s_waitcnt vmcnt(2) lgkmcnt(0)
	v_mul_f64 v[32:33], v[6:7], v[16:17]
	v_mul_f64 v[16:17], v[8:9], v[16:17]
	v_fma_f64 v[34:35], v[4:5], v[10:11], v[36:37]
	v_fma_f64 v[10:11], v[2:3], v[10:11], -v[12:13]
	ds_load_b128 v[2:5], v1 offset:1808
	v_add_f64 v[12:13], v[26:27], v[38:39]
	v_add_f64 v[26:27], v[28:29], v[30:31]
	s_waitcnt vmcnt(1) lgkmcnt(0)
	v_mul_f64 v[28:29], v[2:3], v[20:21]
	v_mul_f64 v[20:21], v[4:5], v[20:21]
	v_fma_f64 v[8:9], v[8:9], v[14:15], v[32:33]
	v_fma_f64 v[6:7], v[6:7], v[14:15], -v[16:17]
	v_add_f64 v[10:11], v[12:13], v[10:11]
	v_add_f64 v[12:13], v[26:27], v[34:35]
	v_fma_f64 v[4:5], v[4:5], v[18:19], v[28:29]
	v_fma_f64 v[2:3], v[2:3], v[18:19], -v[20:21]
	s_delay_alu instid0(VALU_DEP_4) | instskip(NEXT) | instid1(VALU_DEP_4)
	v_add_f64 v[6:7], v[10:11], v[6:7]
	v_add_f64 v[8:9], v[12:13], v[8:9]
	s_delay_alu instid0(VALU_DEP_2) | instskip(NEXT) | instid1(VALU_DEP_2)
	v_add_f64 v[2:3], v[6:7], v[2:3]
	v_add_f64 v[4:5], v[8:9], v[4:5]
	s_waitcnt vmcnt(0)
	s_delay_alu instid0(VALU_DEP_2) | instskip(NEXT) | instid1(VALU_DEP_2)
	v_add_f64 v[2:3], v[22:23], -v[2:3]
	v_add_f64 v[4:5], v[24:25], -v[4:5]
	scratch_store_b128 off, v[2:5], off offset:656
	v_cmpx_lt_u32_e32 40, v156
	s_cbranch_execz .LBB56_275
; %bb.274:
	scratch_load_b128 v[5:8], v216, off
	v_mov_b32_e32 v2, v1
	v_mov_b32_e32 v3, v1
	;; [unrolled: 1-line block ×3, first 2 shown]
	scratch_store_b128 off, v[1:4], off offset:640
	s_waitcnt vmcnt(0)
	ds_store_b128 v213, v[5:8]
.LBB56_275:
	s_or_b32 exec_lo, exec_lo, s2
	s_waitcnt lgkmcnt(0)
	s_waitcnt_vscnt null, 0x0
	s_barrier
	buffer_gl0_inv
	s_clause 0x7
	scratch_load_b128 v[2:5], off, off offset:656
	scratch_load_b128 v[6:9], off, off offset:672
	;; [unrolled: 1-line block ×8, first 2 shown]
	ds_load_b128 v[34:37], v1 offset:1568
	ds_load_b128 v[175:178], v1 offset:1584
	s_clause 0x1
	scratch_load_b128 v[38:41], off, off offset:784
	scratch_load_b128 v[179:182], off, off offset:800
	s_mov_b32 s2, exec_lo
	s_waitcnt vmcnt(9) lgkmcnt(1)
	v_mul_f64 v[167:168], v[36:37], v[4:5]
	v_mul_f64 v[4:5], v[34:35], v[4:5]
	s_waitcnt vmcnt(8) lgkmcnt(0)
	v_mul_f64 v[171:172], v[175:176], v[8:9]
	v_mul_f64 v[8:9], v[177:178], v[8:9]
	s_delay_alu instid0(VALU_DEP_4) | instskip(NEXT) | instid1(VALU_DEP_4)
	v_fma_f64 v[167:168], v[34:35], v[2:3], -v[167:168]
	v_fma_f64 v[183:184], v[36:37], v[2:3], v[4:5]
	ds_load_b128 v[2:5], v1 offset:1600
	scratch_load_b128 v[34:37], off, off offset:816
	v_fma_f64 v[171:172], v[177:178], v[6:7], v[171:172]
	v_fma_f64 v[187:188], v[175:176], v[6:7], -v[8:9]
	ds_load_b128 v[6:9], v1 offset:1616
	scratch_load_b128 v[175:178], off, off offset:832
	s_waitcnt vmcnt(9) lgkmcnt(1)
	v_mul_f64 v[185:186], v[2:3], v[12:13]
	v_mul_f64 v[12:13], v[4:5], v[12:13]
	s_waitcnt vmcnt(8) lgkmcnt(0)
	v_mul_f64 v[189:190], v[6:7], v[16:17]
	v_mul_f64 v[16:17], v[8:9], v[16:17]
	v_add_f64 v[167:168], v[167:168], 0
	v_add_f64 v[183:184], v[183:184], 0
	v_fma_f64 v[185:186], v[4:5], v[10:11], v[185:186]
	v_fma_f64 v[191:192], v[2:3], v[10:11], -v[12:13]
	scratch_load_b128 v[10:13], off, off offset:848
	ds_load_b128 v[2:5], v1 offset:1632
	v_add_f64 v[167:168], v[167:168], v[187:188]
	v_add_f64 v[171:172], v[183:184], v[171:172]
	v_fma_f64 v[187:188], v[8:9], v[14:15], v[189:190]
	v_fma_f64 v[189:190], v[6:7], v[14:15], -v[16:17]
	ds_load_b128 v[6:9], v1 offset:1648
	scratch_load_b128 v[14:17], off, off offset:864
	s_waitcnt vmcnt(9) lgkmcnt(1)
	v_mul_f64 v[183:184], v[2:3], v[20:21]
	v_mul_f64 v[20:21], v[4:5], v[20:21]
	v_add_f64 v[167:168], v[167:168], v[191:192]
	v_add_f64 v[171:172], v[171:172], v[185:186]
	s_waitcnt vmcnt(8) lgkmcnt(0)
	v_mul_f64 v[185:186], v[6:7], v[24:25]
	v_mul_f64 v[24:25], v[8:9], v[24:25]
	v_fma_f64 v[183:184], v[4:5], v[18:19], v[183:184]
	v_fma_f64 v[191:192], v[2:3], v[18:19], -v[20:21]
	scratch_load_b128 v[18:21], off, off offset:880
	ds_load_b128 v[2:5], v1 offset:1664
	v_add_f64 v[167:168], v[167:168], v[189:190]
	v_add_f64 v[171:172], v[171:172], v[187:188]
	v_fma_f64 v[185:186], v[8:9], v[22:23], v[185:186]
	v_fma_f64 v[189:190], v[6:7], v[22:23], -v[24:25]
	ds_load_b128 v[6:9], v1 offset:1680
	s_waitcnt vmcnt(8) lgkmcnt(1)
	v_mul_f64 v[187:188], v[2:3], v[28:29]
	v_mul_f64 v[28:29], v[4:5], v[28:29]
	scratch_load_b128 v[22:25], off, off offset:896
	v_add_f64 v[167:168], v[167:168], v[191:192]
	v_add_f64 v[171:172], v[171:172], v[183:184]
	s_waitcnt vmcnt(8) lgkmcnt(0)
	v_mul_f64 v[183:184], v[6:7], v[32:33]
	v_mul_f64 v[32:33], v[8:9], v[32:33]
	v_fma_f64 v[187:188], v[4:5], v[26:27], v[187:188]
	v_fma_f64 v[26:27], v[2:3], v[26:27], -v[28:29]
	ds_load_b128 v[2:5], v1 offset:1696
	v_add_f64 v[28:29], v[167:168], v[189:190]
	v_add_f64 v[167:168], v[171:172], v[185:186]
	v_fma_f64 v[183:184], v[8:9], v[30:31], v[183:184]
	v_fma_f64 v[30:31], v[6:7], v[30:31], -v[32:33]
	ds_load_b128 v[6:9], v1 offset:1712
	s_waitcnt vmcnt(7) lgkmcnt(1)
	v_mul_f64 v[171:172], v[2:3], v[40:41]
	v_mul_f64 v[40:41], v[4:5], v[40:41]
	v_add_f64 v[26:27], v[28:29], v[26:27]
	v_add_f64 v[28:29], v[167:168], v[187:188]
	s_delay_alu instid0(VALU_DEP_4) | instskip(NEXT) | instid1(VALU_DEP_4)
	v_fma_f64 v[171:172], v[4:5], v[38:39], v[171:172]
	v_fma_f64 v[38:39], v[2:3], v[38:39], -v[40:41]
	ds_load_b128 v[2:5], v1 offset:1728
	v_add_f64 v[30:31], v[26:27], v[30:31]
	v_add_f64 v[40:41], v[28:29], v[183:184]
	scratch_load_b128 v[26:29], off, off offset:640
	s_waitcnt vmcnt(7) lgkmcnt(1)
	v_mul_f64 v[32:33], v[6:7], v[181:182]
	v_mul_f64 v[167:168], v[8:9], v[181:182]
	v_add_f64 v[30:31], v[30:31], v[38:39]
	v_add_f64 v[38:39], v[40:41], v[171:172]
	s_delay_alu instid0(VALU_DEP_4) | instskip(NEXT) | instid1(VALU_DEP_4)
	v_fma_f64 v[32:33], v[8:9], v[179:180], v[32:33]
	v_fma_f64 v[167:168], v[6:7], v[179:180], -v[167:168]
	ds_load_b128 v[6:9], v1 offset:1744
	s_waitcnt vmcnt(6) lgkmcnt(1)
	v_mul_f64 v[181:182], v[2:3], v[36:37]
	v_mul_f64 v[36:37], v[4:5], v[36:37]
	s_waitcnt vmcnt(5) lgkmcnt(0)
	v_mul_f64 v[40:41], v[6:7], v[177:178]
	v_mul_f64 v[171:172], v[8:9], v[177:178]
	v_add_f64 v[32:33], v[38:39], v[32:33]
	v_add_f64 v[30:31], v[30:31], v[167:168]
	v_fma_f64 v[177:178], v[4:5], v[34:35], v[181:182]
	v_fma_f64 v[34:35], v[2:3], v[34:35], -v[36:37]
	ds_load_b128 v[2:5], v1 offset:1760
	v_fma_f64 v[38:39], v[8:9], v[175:176], v[40:41]
	v_fma_f64 v[40:41], v[6:7], v[175:176], -v[171:172]
	ds_load_b128 v[6:9], v1 offset:1776
	s_waitcnt vmcnt(4) lgkmcnt(1)
	v_mul_f64 v[36:37], v[2:3], v[12:13]
	v_mul_f64 v[12:13], v[4:5], v[12:13]
	v_add_f64 v[32:33], v[32:33], v[177:178]
	v_add_f64 v[30:31], v[30:31], v[34:35]
	s_waitcnt vmcnt(3) lgkmcnt(0)
	v_mul_f64 v[34:35], v[6:7], v[16:17]
	v_mul_f64 v[16:17], v[8:9], v[16:17]
	v_fma_f64 v[36:37], v[4:5], v[10:11], v[36:37]
	v_fma_f64 v[10:11], v[2:3], v[10:11], -v[12:13]
	ds_load_b128 v[2:5], v1 offset:1792
	v_add_f64 v[12:13], v[30:31], v[40:41]
	v_add_f64 v[30:31], v[32:33], v[38:39]
	v_fma_f64 v[34:35], v[8:9], v[14:15], v[34:35]
	v_fma_f64 v[14:15], v[6:7], v[14:15], -v[16:17]
	ds_load_b128 v[6:9], v1 offset:1808
	s_waitcnt vmcnt(2) lgkmcnt(1)
	v_mul_f64 v[32:33], v[2:3], v[20:21]
	v_mul_f64 v[20:21], v[4:5], v[20:21]
	s_waitcnt vmcnt(1) lgkmcnt(0)
	v_mul_f64 v[16:17], v[6:7], v[24:25]
	v_mul_f64 v[24:25], v[8:9], v[24:25]
	v_add_f64 v[10:11], v[12:13], v[10:11]
	v_add_f64 v[12:13], v[30:31], v[36:37]
	v_fma_f64 v[4:5], v[4:5], v[18:19], v[32:33]
	v_fma_f64 v[1:2], v[2:3], v[18:19], -v[20:21]
	v_fma_f64 v[8:9], v[8:9], v[22:23], v[16:17]
	v_fma_f64 v[6:7], v[6:7], v[22:23], -v[24:25]
	v_add_f64 v[10:11], v[10:11], v[14:15]
	v_add_f64 v[12:13], v[12:13], v[34:35]
	s_delay_alu instid0(VALU_DEP_2) | instskip(NEXT) | instid1(VALU_DEP_2)
	v_add_f64 v[1:2], v[10:11], v[1:2]
	v_add_f64 v[3:4], v[12:13], v[4:5]
	s_delay_alu instid0(VALU_DEP_2) | instskip(NEXT) | instid1(VALU_DEP_2)
	v_add_f64 v[1:2], v[1:2], v[6:7]
	v_add_f64 v[3:4], v[3:4], v[8:9]
	s_waitcnt vmcnt(0)
	s_delay_alu instid0(VALU_DEP_2) | instskip(NEXT) | instid1(VALU_DEP_2)
	v_add_f64 v[1:2], v[26:27], -v[1:2]
	v_add_f64 v[3:4], v[28:29], -v[3:4]
	scratch_store_b128 off, v[1:4], off offset:640
	v_cmpx_lt_u32_e32 39, v156
	s_cbranch_execz .LBB56_277
; %bb.276:
	scratch_load_b128 v[1:4], v217, off
	v_mov_b32_e32 v5, 0
	s_delay_alu instid0(VALU_DEP_1)
	v_mov_b32_e32 v6, v5
	v_mov_b32_e32 v7, v5
	;; [unrolled: 1-line block ×3, first 2 shown]
	scratch_store_b128 off, v[5:8], off offset:624
	s_waitcnt vmcnt(0)
	ds_store_b128 v213, v[1:4]
.LBB56_277:
	s_or_b32 exec_lo, exec_lo, s2
	s_waitcnt lgkmcnt(0)
	s_waitcnt_vscnt null, 0x0
	s_barrier
	buffer_gl0_inv
	s_clause 0x7
	scratch_load_b128 v[2:5], off, off offset:640
	scratch_load_b128 v[6:9], off, off offset:656
	;; [unrolled: 1-line block ×8, first 2 shown]
	v_mov_b32_e32 v1, 0
	s_clause 0x1
	scratch_load_b128 v[38:41], off, off offset:768
	scratch_load_b128 v[179:182], off, off offset:784
	s_mov_b32 s2, exec_lo
	ds_load_b128 v[34:37], v1 offset:1552
	ds_load_b128 v[175:178], v1 offset:1568
	s_waitcnt vmcnt(9) lgkmcnt(1)
	v_mul_f64 v[167:168], v[36:37], v[4:5]
	v_mul_f64 v[4:5], v[34:35], v[4:5]
	s_waitcnt vmcnt(8) lgkmcnt(0)
	v_mul_f64 v[171:172], v[175:176], v[8:9]
	v_mul_f64 v[8:9], v[177:178], v[8:9]
	s_delay_alu instid0(VALU_DEP_4) | instskip(NEXT) | instid1(VALU_DEP_4)
	v_fma_f64 v[167:168], v[34:35], v[2:3], -v[167:168]
	v_fma_f64 v[183:184], v[36:37], v[2:3], v[4:5]
	ds_load_b128 v[2:5], v1 offset:1584
	scratch_load_b128 v[34:37], off, off offset:800
	v_fma_f64 v[171:172], v[177:178], v[6:7], v[171:172]
	v_fma_f64 v[187:188], v[175:176], v[6:7], -v[8:9]
	ds_load_b128 v[6:9], v1 offset:1600
	scratch_load_b128 v[175:178], off, off offset:816
	s_waitcnt vmcnt(9) lgkmcnt(1)
	v_mul_f64 v[185:186], v[2:3], v[12:13]
	v_mul_f64 v[12:13], v[4:5], v[12:13]
	s_waitcnt vmcnt(8) lgkmcnt(0)
	v_mul_f64 v[189:190], v[6:7], v[16:17]
	v_mul_f64 v[16:17], v[8:9], v[16:17]
	v_add_f64 v[167:168], v[167:168], 0
	v_add_f64 v[183:184], v[183:184], 0
	v_fma_f64 v[185:186], v[4:5], v[10:11], v[185:186]
	v_fma_f64 v[191:192], v[2:3], v[10:11], -v[12:13]
	scratch_load_b128 v[10:13], off, off offset:832
	ds_load_b128 v[2:5], v1 offset:1616
	v_add_f64 v[167:168], v[167:168], v[187:188]
	v_add_f64 v[171:172], v[183:184], v[171:172]
	v_fma_f64 v[187:188], v[8:9], v[14:15], v[189:190]
	v_fma_f64 v[189:190], v[6:7], v[14:15], -v[16:17]
	ds_load_b128 v[6:9], v1 offset:1632
	scratch_load_b128 v[14:17], off, off offset:848
	s_waitcnt vmcnt(9) lgkmcnt(1)
	v_mul_f64 v[183:184], v[2:3], v[20:21]
	v_mul_f64 v[20:21], v[4:5], v[20:21]
	v_add_f64 v[167:168], v[167:168], v[191:192]
	v_add_f64 v[171:172], v[171:172], v[185:186]
	s_waitcnt vmcnt(8) lgkmcnt(0)
	v_mul_f64 v[185:186], v[6:7], v[24:25]
	v_mul_f64 v[24:25], v[8:9], v[24:25]
	v_fma_f64 v[183:184], v[4:5], v[18:19], v[183:184]
	v_fma_f64 v[191:192], v[2:3], v[18:19], -v[20:21]
	scratch_load_b128 v[18:21], off, off offset:864
	ds_load_b128 v[2:5], v1 offset:1648
	v_add_f64 v[167:168], v[167:168], v[189:190]
	v_add_f64 v[171:172], v[171:172], v[187:188]
	v_fma_f64 v[185:186], v[8:9], v[22:23], v[185:186]
	v_fma_f64 v[189:190], v[6:7], v[22:23], -v[24:25]
	ds_load_b128 v[6:9], v1 offset:1664
	s_waitcnt vmcnt(8) lgkmcnt(1)
	v_mul_f64 v[187:188], v[2:3], v[28:29]
	v_mul_f64 v[28:29], v[4:5], v[28:29]
	scratch_load_b128 v[22:25], off, off offset:880
	v_add_f64 v[167:168], v[167:168], v[191:192]
	v_add_f64 v[171:172], v[171:172], v[183:184]
	s_waitcnt vmcnt(8) lgkmcnt(0)
	v_mul_f64 v[183:184], v[6:7], v[32:33]
	v_mul_f64 v[32:33], v[8:9], v[32:33]
	v_fma_f64 v[187:188], v[4:5], v[26:27], v[187:188]
	v_fma_f64 v[191:192], v[2:3], v[26:27], -v[28:29]
	scratch_load_b128 v[26:29], off, off offset:896
	ds_load_b128 v[2:5], v1 offset:1680
	v_add_f64 v[167:168], v[167:168], v[189:190]
	v_add_f64 v[171:172], v[171:172], v[185:186]
	v_fma_f64 v[183:184], v[8:9], v[30:31], v[183:184]
	v_fma_f64 v[30:31], v[6:7], v[30:31], -v[32:33]
	ds_load_b128 v[6:9], v1 offset:1696
	s_waitcnt vmcnt(8) lgkmcnt(1)
	v_mul_f64 v[185:186], v[2:3], v[40:41]
	v_mul_f64 v[40:41], v[4:5], v[40:41]
	v_add_f64 v[32:33], v[167:168], v[191:192]
	v_add_f64 v[167:168], v[171:172], v[187:188]
	s_waitcnt vmcnt(7) lgkmcnt(0)
	v_mul_f64 v[171:172], v[6:7], v[181:182]
	v_mul_f64 v[181:182], v[8:9], v[181:182]
	v_fma_f64 v[185:186], v[4:5], v[38:39], v[185:186]
	v_fma_f64 v[38:39], v[2:3], v[38:39], -v[40:41]
	ds_load_b128 v[2:5], v1 offset:1712
	v_add_f64 v[30:31], v[32:33], v[30:31]
	v_add_f64 v[32:33], v[167:168], v[183:184]
	v_fma_f64 v[167:168], v[8:9], v[179:180], v[171:172]
	v_fma_f64 v[171:172], v[6:7], v[179:180], -v[181:182]
	ds_load_b128 v[6:9], v1 offset:1728
	s_waitcnt vmcnt(5) lgkmcnt(0)
	v_mul_f64 v[181:182], v[6:7], v[177:178]
	v_mul_f64 v[177:178], v[8:9], v[177:178]
	v_add_f64 v[38:39], v[30:31], v[38:39]
	v_add_f64 v[179:180], v[32:33], v[185:186]
	scratch_load_b128 v[30:33], off, off offset:624
	v_mul_f64 v[40:41], v[2:3], v[36:37]
	v_mul_f64 v[36:37], v[4:5], v[36:37]
	s_delay_alu instid0(VALU_DEP_2) | instskip(NEXT) | instid1(VALU_DEP_2)
	v_fma_f64 v[40:41], v[4:5], v[34:35], v[40:41]
	v_fma_f64 v[34:35], v[2:3], v[34:35], -v[36:37]
	v_add_f64 v[36:37], v[38:39], v[171:172]
	v_add_f64 v[38:39], v[179:180], v[167:168]
	ds_load_b128 v[2:5], v1 offset:1744
	v_fma_f64 v[171:172], v[8:9], v[175:176], v[181:182]
	v_fma_f64 v[175:176], v[6:7], v[175:176], -v[177:178]
	ds_load_b128 v[6:9], v1 offset:1760
	s_waitcnt vmcnt(5) lgkmcnt(1)
	v_mul_f64 v[167:168], v[2:3], v[12:13]
	v_mul_f64 v[12:13], v[4:5], v[12:13]
	v_add_f64 v[34:35], v[36:37], v[34:35]
	v_add_f64 v[36:37], v[38:39], v[40:41]
	s_waitcnt vmcnt(4) lgkmcnt(0)
	v_mul_f64 v[38:39], v[6:7], v[16:17]
	v_mul_f64 v[16:17], v[8:9], v[16:17]
	v_fma_f64 v[40:41], v[4:5], v[10:11], v[167:168]
	v_fma_f64 v[10:11], v[2:3], v[10:11], -v[12:13]
	ds_load_b128 v[2:5], v1 offset:1776
	v_add_f64 v[12:13], v[34:35], v[175:176]
	v_add_f64 v[34:35], v[36:37], v[171:172]
	v_fma_f64 v[38:39], v[8:9], v[14:15], v[38:39]
	v_fma_f64 v[14:15], v[6:7], v[14:15], -v[16:17]
	ds_load_b128 v[6:9], v1 offset:1792
	s_waitcnt vmcnt(3) lgkmcnt(1)
	v_mul_f64 v[36:37], v[2:3], v[20:21]
	v_mul_f64 v[20:21], v[4:5], v[20:21]
	s_waitcnt vmcnt(2) lgkmcnt(0)
	v_mul_f64 v[16:17], v[6:7], v[24:25]
	v_mul_f64 v[24:25], v[8:9], v[24:25]
	v_add_f64 v[10:11], v[12:13], v[10:11]
	v_add_f64 v[12:13], v[34:35], v[40:41]
	v_fma_f64 v[34:35], v[4:5], v[18:19], v[36:37]
	v_fma_f64 v[18:19], v[2:3], v[18:19], -v[20:21]
	ds_load_b128 v[2:5], v1 offset:1808
	v_fma_f64 v[8:9], v[8:9], v[22:23], v[16:17]
	v_fma_f64 v[6:7], v[6:7], v[22:23], -v[24:25]
	s_waitcnt vmcnt(1) lgkmcnt(0)
	v_mul_f64 v[20:21], v[4:5], v[28:29]
	v_add_f64 v[10:11], v[10:11], v[14:15]
	v_add_f64 v[12:13], v[12:13], v[38:39]
	v_mul_f64 v[14:15], v[2:3], v[28:29]
	s_delay_alu instid0(VALU_DEP_4) | instskip(NEXT) | instid1(VALU_DEP_4)
	v_fma_f64 v[2:3], v[2:3], v[26:27], -v[20:21]
	v_add_f64 v[10:11], v[10:11], v[18:19]
	s_delay_alu instid0(VALU_DEP_4) | instskip(NEXT) | instid1(VALU_DEP_4)
	v_add_f64 v[12:13], v[12:13], v[34:35]
	v_fma_f64 v[4:5], v[4:5], v[26:27], v[14:15]
	s_delay_alu instid0(VALU_DEP_3) | instskip(NEXT) | instid1(VALU_DEP_3)
	v_add_f64 v[6:7], v[10:11], v[6:7]
	v_add_f64 v[8:9], v[12:13], v[8:9]
	s_delay_alu instid0(VALU_DEP_2) | instskip(NEXT) | instid1(VALU_DEP_2)
	v_add_f64 v[2:3], v[6:7], v[2:3]
	v_add_f64 v[4:5], v[8:9], v[4:5]
	s_waitcnt vmcnt(0)
	s_delay_alu instid0(VALU_DEP_2) | instskip(NEXT) | instid1(VALU_DEP_2)
	v_add_f64 v[2:3], v[30:31], -v[2:3]
	v_add_f64 v[4:5], v[32:33], -v[4:5]
	scratch_store_b128 off, v[2:5], off offset:624
	v_cmpx_lt_u32_e32 38, v156
	s_cbranch_execz .LBB56_279
; %bb.278:
	scratch_load_b128 v[5:8], v218, off
	v_mov_b32_e32 v2, v1
	v_mov_b32_e32 v3, v1
	;; [unrolled: 1-line block ×3, first 2 shown]
	scratch_store_b128 off, v[1:4], off offset:608
	s_waitcnt vmcnt(0)
	ds_store_b128 v213, v[5:8]
.LBB56_279:
	s_or_b32 exec_lo, exec_lo, s2
	s_waitcnt lgkmcnt(0)
	s_waitcnt_vscnt null, 0x0
	s_barrier
	buffer_gl0_inv
	s_clause 0x7
	scratch_load_b128 v[2:5], off, off offset:624
	scratch_load_b128 v[6:9], off, off offset:640
	;; [unrolled: 1-line block ×8, first 2 shown]
	ds_load_b128 v[34:37], v1 offset:1536
	ds_load_b128 v[175:178], v1 offset:1552
	s_clause 0x1
	scratch_load_b128 v[38:41], off, off offset:752
	scratch_load_b128 v[179:182], off, off offset:768
	s_mov_b32 s2, exec_lo
	s_waitcnt vmcnt(9) lgkmcnt(1)
	v_mul_f64 v[167:168], v[36:37], v[4:5]
	v_mul_f64 v[4:5], v[34:35], v[4:5]
	s_waitcnt vmcnt(8) lgkmcnt(0)
	v_mul_f64 v[171:172], v[175:176], v[8:9]
	v_mul_f64 v[8:9], v[177:178], v[8:9]
	s_delay_alu instid0(VALU_DEP_4) | instskip(NEXT) | instid1(VALU_DEP_4)
	v_fma_f64 v[167:168], v[34:35], v[2:3], -v[167:168]
	v_fma_f64 v[183:184], v[36:37], v[2:3], v[4:5]
	ds_load_b128 v[2:5], v1 offset:1568
	scratch_load_b128 v[34:37], off, off offset:784
	v_fma_f64 v[171:172], v[177:178], v[6:7], v[171:172]
	v_fma_f64 v[187:188], v[175:176], v[6:7], -v[8:9]
	ds_load_b128 v[6:9], v1 offset:1584
	scratch_load_b128 v[175:178], off, off offset:800
	s_waitcnt vmcnt(9) lgkmcnt(1)
	v_mul_f64 v[185:186], v[2:3], v[12:13]
	v_mul_f64 v[12:13], v[4:5], v[12:13]
	s_waitcnt vmcnt(8) lgkmcnt(0)
	v_mul_f64 v[189:190], v[6:7], v[16:17]
	v_mul_f64 v[16:17], v[8:9], v[16:17]
	v_add_f64 v[167:168], v[167:168], 0
	v_add_f64 v[183:184], v[183:184], 0
	v_fma_f64 v[185:186], v[4:5], v[10:11], v[185:186]
	v_fma_f64 v[191:192], v[2:3], v[10:11], -v[12:13]
	ds_load_b128 v[2:5], v1 offset:1600
	scratch_load_b128 v[10:13], off, off offset:816
	v_add_f64 v[167:168], v[167:168], v[187:188]
	v_add_f64 v[171:172], v[183:184], v[171:172]
	v_fma_f64 v[187:188], v[8:9], v[14:15], v[189:190]
	v_fma_f64 v[189:190], v[6:7], v[14:15], -v[16:17]
	ds_load_b128 v[6:9], v1 offset:1616
	scratch_load_b128 v[14:17], off, off offset:832
	s_waitcnt vmcnt(9) lgkmcnt(1)
	v_mul_f64 v[183:184], v[2:3], v[20:21]
	v_mul_f64 v[20:21], v[4:5], v[20:21]
	v_add_f64 v[167:168], v[167:168], v[191:192]
	v_add_f64 v[171:172], v[171:172], v[185:186]
	s_waitcnt vmcnt(8) lgkmcnt(0)
	v_mul_f64 v[185:186], v[6:7], v[24:25]
	v_mul_f64 v[24:25], v[8:9], v[24:25]
	v_fma_f64 v[183:184], v[4:5], v[18:19], v[183:184]
	v_fma_f64 v[191:192], v[2:3], v[18:19], -v[20:21]
	scratch_load_b128 v[18:21], off, off offset:848
	ds_load_b128 v[2:5], v1 offset:1632
	v_add_f64 v[167:168], v[167:168], v[189:190]
	v_add_f64 v[171:172], v[171:172], v[187:188]
	v_fma_f64 v[185:186], v[8:9], v[22:23], v[185:186]
	v_fma_f64 v[189:190], v[6:7], v[22:23], -v[24:25]
	ds_load_b128 v[6:9], v1 offset:1648
	s_waitcnt vmcnt(8) lgkmcnt(1)
	v_mul_f64 v[187:188], v[2:3], v[28:29]
	v_mul_f64 v[28:29], v[4:5], v[28:29]
	scratch_load_b128 v[22:25], off, off offset:864
	v_add_f64 v[167:168], v[167:168], v[191:192]
	v_add_f64 v[171:172], v[171:172], v[183:184]
	s_waitcnt vmcnt(8) lgkmcnt(0)
	v_mul_f64 v[183:184], v[6:7], v[32:33]
	v_mul_f64 v[32:33], v[8:9], v[32:33]
	v_fma_f64 v[187:188], v[4:5], v[26:27], v[187:188]
	v_fma_f64 v[191:192], v[2:3], v[26:27], -v[28:29]
	scratch_load_b128 v[26:29], off, off offset:880
	ds_load_b128 v[2:5], v1 offset:1664
	v_add_f64 v[167:168], v[167:168], v[189:190]
	v_add_f64 v[171:172], v[171:172], v[185:186]
	v_fma_f64 v[183:184], v[8:9], v[30:31], v[183:184]
	v_fma_f64 v[189:190], v[6:7], v[30:31], -v[32:33]
	ds_load_b128 v[6:9], v1 offset:1680
	s_waitcnt vmcnt(8) lgkmcnt(1)
	v_mul_f64 v[185:186], v[2:3], v[40:41]
	v_mul_f64 v[40:41], v[4:5], v[40:41]
	scratch_load_b128 v[30:33], off, off offset:896
	v_add_f64 v[167:168], v[167:168], v[191:192]
	v_add_f64 v[171:172], v[171:172], v[187:188]
	s_waitcnt vmcnt(8) lgkmcnt(0)
	v_mul_f64 v[187:188], v[6:7], v[181:182]
	v_mul_f64 v[181:182], v[8:9], v[181:182]
	v_fma_f64 v[185:186], v[4:5], v[38:39], v[185:186]
	v_fma_f64 v[38:39], v[2:3], v[38:39], -v[40:41]
	ds_load_b128 v[2:5], v1 offset:1696
	v_add_f64 v[40:41], v[167:168], v[189:190]
	v_add_f64 v[167:168], v[171:172], v[183:184]
	v_fma_f64 v[183:184], v[8:9], v[179:180], v[187:188]
	v_fma_f64 v[179:180], v[6:7], v[179:180], -v[181:182]
	ds_load_b128 v[6:9], v1 offset:1712
	s_waitcnt vmcnt(7) lgkmcnt(1)
	v_mul_f64 v[171:172], v[2:3], v[36:37]
	v_mul_f64 v[36:37], v[4:5], v[36:37]
	v_add_f64 v[38:39], v[40:41], v[38:39]
	v_add_f64 v[40:41], v[167:168], v[185:186]
	s_delay_alu instid0(VALU_DEP_4) | instskip(NEXT) | instid1(VALU_DEP_4)
	v_fma_f64 v[171:172], v[4:5], v[34:35], v[171:172]
	v_fma_f64 v[181:182], v[2:3], v[34:35], -v[36:37]
	scratch_load_b128 v[34:37], off, off offset:608
	s_waitcnt vmcnt(7) lgkmcnt(0)
	v_mul_f64 v[167:168], v[6:7], v[177:178]
	v_mul_f64 v[177:178], v[8:9], v[177:178]
	ds_load_b128 v[2:5], v1 offset:1728
	v_add_f64 v[38:39], v[38:39], v[179:180]
	v_add_f64 v[40:41], v[40:41], v[183:184]
	v_fma_f64 v[167:168], v[8:9], v[175:176], v[167:168]
	v_fma_f64 v[175:176], v[6:7], v[175:176], -v[177:178]
	ds_load_b128 v[6:9], v1 offset:1744
	s_waitcnt vmcnt(6) lgkmcnt(1)
	v_mul_f64 v[179:180], v[2:3], v[12:13]
	v_mul_f64 v[12:13], v[4:5], v[12:13]
	v_add_f64 v[38:39], v[38:39], v[181:182]
	v_add_f64 v[40:41], v[40:41], v[171:172]
	s_waitcnt vmcnt(5) lgkmcnt(0)
	v_mul_f64 v[171:172], v[6:7], v[16:17]
	v_mul_f64 v[16:17], v[8:9], v[16:17]
	v_fma_f64 v[177:178], v[4:5], v[10:11], v[179:180]
	v_fma_f64 v[10:11], v[2:3], v[10:11], -v[12:13]
	ds_load_b128 v[2:5], v1 offset:1760
	v_add_f64 v[12:13], v[38:39], v[175:176]
	v_add_f64 v[38:39], v[40:41], v[167:168]
	v_fma_f64 v[167:168], v[8:9], v[14:15], v[171:172]
	v_fma_f64 v[14:15], v[6:7], v[14:15], -v[16:17]
	ds_load_b128 v[6:9], v1 offset:1776
	s_waitcnt vmcnt(4) lgkmcnt(1)
	v_mul_f64 v[40:41], v[2:3], v[20:21]
	v_mul_f64 v[20:21], v[4:5], v[20:21]
	s_waitcnt vmcnt(3) lgkmcnt(0)
	v_mul_f64 v[16:17], v[6:7], v[24:25]
	v_mul_f64 v[24:25], v[8:9], v[24:25]
	v_add_f64 v[10:11], v[12:13], v[10:11]
	v_add_f64 v[12:13], v[38:39], v[177:178]
	v_fma_f64 v[38:39], v[4:5], v[18:19], v[40:41]
	v_fma_f64 v[18:19], v[2:3], v[18:19], -v[20:21]
	ds_load_b128 v[2:5], v1 offset:1792
	v_fma_f64 v[16:17], v[8:9], v[22:23], v[16:17]
	v_fma_f64 v[22:23], v[6:7], v[22:23], -v[24:25]
	ds_load_b128 v[6:9], v1 offset:1808
	s_waitcnt vmcnt(2) lgkmcnt(1)
	v_mul_f64 v[20:21], v[4:5], v[28:29]
	v_add_f64 v[10:11], v[10:11], v[14:15]
	v_add_f64 v[12:13], v[12:13], v[167:168]
	v_mul_f64 v[14:15], v[2:3], v[28:29]
	s_waitcnt vmcnt(1) lgkmcnt(0)
	v_mul_f64 v[24:25], v[8:9], v[32:33]
	v_fma_f64 v[1:2], v[2:3], v[26:27], -v[20:21]
	v_add_f64 v[10:11], v[10:11], v[18:19]
	v_add_f64 v[12:13], v[12:13], v[38:39]
	v_mul_f64 v[18:19], v[6:7], v[32:33]
	v_fma_f64 v[4:5], v[4:5], v[26:27], v[14:15]
	v_fma_f64 v[6:7], v[6:7], v[30:31], -v[24:25]
	v_add_f64 v[10:11], v[10:11], v[22:23]
	v_add_f64 v[12:13], v[12:13], v[16:17]
	v_fma_f64 v[8:9], v[8:9], v[30:31], v[18:19]
	s_delay_alu instid0(VALU_DEP_3) | instskip(NEXT) | instid1(VALU_DEP_3)
	v_add_f64 v[1:2], v[10:11], v[1:2]
	v_add_f64 v[3:4], v[12:13], v[4:5]
	s_delay_alu instid0(VALU_DEP_2) | instskip(NEXT) | instid1(VALU_DEP_2)
	v_add_f64 v[1:2], v[1:2], v[6:7]
	v_add_f64 v[3:4], v[3:4], v[8:9]
	s_waitcnt vmcnt(0)
	s_delay_alu instid0(VALU_DEP_2) | instskip(NEXT) | instid1(VALU_DEP_2)
	v_add_f64 v[1:2], v[34:35], -v[1:2]
	v_add_f64 v[3:4], v[36:37], -v[3:4]
	scratch_store_b128 off, v[1:4], off offset:608
	v_cmpx_lt_u32_e32 37, v156
	s_cbranch_execz .LBB56_281
; %bb.280:
	scratch_load_b128 v[1:4], v219, off
	v_mov_b32_e32 v5, 0
	s_delay_alu instid0(VALU_DEP_1)
	v_mov_b32_e32 v6, v5
	v_mov_b32_e32 v7, v5
	;; [unrolled: 1-line block ×3, first 2 shown]
	scratch_store_b128 off, v[5:8], off offset:592
	s_waitcnt vmcnt(0)
	ds_store_b128 v213, v[1:4]
.LBB56_281:
	s_or_b32 exec_lo, exec_lo, s2
	s_waitcnt lgkmcnt(0)
	s_waitcnt_vscnt null, 0x0
	s_barrier
	buffer_gl0_inv
	s_clause 0x7
	scratch_load_b128 v[2:5], off, off offset:608
	scratch_load_b128 v[6:9], off, off offset:624
	;; [unrolled: 1-line block ×8, first 2 shown]
	v_mov_b32_e32 v1, 0
	s_clause 0x1
	scratch_load_b128 v[38:41], off, off offset:736
	scratch_load_b128 v[179:182], off, off offset:752
	s_mov_b32 s2, exec_lo
	ds_load_b128 v[34:37], v1 offset:1520
	ds_load_b128 v[175:178], v1 offset:1536
	s_waitcnt vmcnt(9) lgkmcnt(1)
	v_mul_f64 v[167:168], v[36:37], v[4:5]
	v_mul_f64 v[4:5], v[34:35], v[4:5]
	s_waitcnt vmcnt(8) lgkmcnt(0)
	v_mul_f64 v[171:172], v[175:176], v[8:9]
	v_mul_f64 v[8:9], v[177:178], v[8:9]
	s_delay_alu instid0(VALU_DEP_4) | instskip(NEXT) | instid1(VALU_DEP_4)
	v_fma_f64 v[167:168], v[34:35], v[2:3], -v[167:168]
	v_fma_f64 v[183:184], v[36:37], v[2:3], v[4:5]
	ds_load_b128 v[2:5], v1 offset:1552
	scratch_load_b128 v[34:37], off, off offset:768
	v_fma_f64 v[171:172], v[177:178], v[6:7], v[171:172]
	v_fma_f64 v[187:188], v[175:176], v[6:7], -v[8:9]
	scratch_load_b128 v[175:178], off, off offset:784
	ds_load_b128 v[6:9], v1 offset:1568
	s_waitcnt vmcnt(9) lgkmcnt(1)
	v_mul_f64 v[185:186], v[2:3], v[12:13]
	v_mul_f64 v[12:13], v[4:5], v[12:13]
	s_waitcnt vmcnt(8) lgkmcnt(0)
	v_mul_f64 v[189:190], v[6:7], v[16:17]
	v_mul_f64 v[16:17], v[8:9], v[16:17]
	v_add_f64 v[167:168], v[167:168], 0
	v_add_f64 v[183:184], v[183:184], 0
	v_fma_f64 v[185:186], v[4:5], v[10:11], v[185:186]
	v_fma_f64 v[191:192], v[2:3], v[10:11], -v[12:13]
	ds_load_b128 v[2:5], v1 offset:1584
	scratch_load_b128 v[10:13], off, off offset:800
	v_add_f64 v[167:168], v[167:168], v[187:188]
	v_add_f64 v[171:172], v[183:184], v[171:172]
	v_fma_f64 v[187:188], v[8:9], v[14:15], v[189:190]
	v_fma_f64 v[189:190], v[6:7], v[14:15], -v[16:17]
	ds_load_b128 v[6:9], v1 offset:1600
	scratch_load_b128 v[14:17], off, off offset:816
	s_waitcnt vmcnt(9) lgkmcnt(1)
	v_mul_f64 v[183:184], v[2:3], v[20:21]
	v_mul_f64 v[20:21], v[4:5], v[20:21]
	v_add_f64 v[167:168], v[167:168], v[191:192]
	v_add_f64 v[171:172], v[171:172], v[185:186]
	s_waitcnt vmcnt(8) lgkmcnt(0)
	v_mul_f64 v[185:186], v[6:7], v[24:25]
	v_mul_f64 v[24:25], v[8:9], v[24:25]
	v_fma_f64 v[183:184], v[4:5], v[18:19], v[183:184]
	v_fma_f64 v[191:192], v[2:3], v[18:19], -v[20:21]
	scratch_load_b128 v[18:21], off, off offset:832
	ds_load_b128 v[2:5], v1 offset:1616
	v_add_f64 v[167:168], v[167:168], v[189:190]
	v_add_f64 v[171:172], v[171:172], v[187:188]
	v_fma_f64 v[185:186], v[8:9], v[22:23], v[185:186]
	v_fma_f64 v[189:190], v[6:7], v[22:23], -v[24:25]
	ds_load_b128 v[6:9], v1 offset:1632
	s_waitcnt vmcnt(8) lgkmcnt(1)
	v_mul_f64 v[187:188], v[2:3], v[28:29]
	v_mul_f64 v[28:29], v[4:5], v[28:29]
	scratch_load_b128 v[22:25], off, off offset:848
	v_add_f64 v[167:168], v[167:168], v[191:192]
	v_add_f64 v[171:172], v[171:172], v[183:184]
	s_waitcnt vmcnt(8) lgkmcnt(0)
	v_mul_f64 v[183:184], v[6:7], v[32:33]
	v_mul_f64 v[32:33], v[8:9], v[32:33]
	v_fma_f64 v[187:188], v[4:5], v[26:27], v[187:188]
	v_fma_f64 v[191:192], v[2:3], v[26:27], -v[28:29]
	scratch_load_b128 v[26:29], off, off offset:864
	ds_load_b128 v[2:5], v1 offset:1648
	v_add_f64 v[167:168], v[167:168], v[189:190]
	v_add_f64 v[171:172], v[171:172], v[185:186]
	v_fma_f64 v[183:184], v[8:9], v[30:31], v[183:184]
	v_fma_f64 v[189:190], v[6:7], v[30:31], -v[32:33]
	ds_load_b128 v[6:9], v1 offset:1664
	s_waitcnt vmcnt(8) lgkmcnt(1)
	v_mul_f64 v[185:186], v[2:3], v[40:41]
	v_mul_f64 v[40:41], v[4:5], v[40:41]
	scratch_load_b128 v[30:33], off, off offset:880
	v_add_f64 v[167:168], v[167:168], v[191:192]
	v_add_f64 v[171:172], v[171:172], v[187:188]
	s_waitcnt vmcnt(8) lgkmcnt(0)
	v_mul_f64 v[187:188], v[6:7], v[181:182]
	v_mul_f64 v[181:182], v[8:9], v[181:182]
	v_fma_f64 v[185:186], v[4:5], v[38:39], v[185:186]
	v_fma_f64 v[191:192], v[2:3], v[38:39], -v[40:41]
	scratch_load_b128 v[38:41], off, off offset:896
	ds_load_b128 v[2:5], v1 offset:1680
	v_add_f64 v[167:168], v[167:168], v[189:190]
	v_add_f64 v[171:172], v[171:172], v[183:184]
	v_fma_f64 v[187:188], v[8:9], v[179:180], v[187:188]
	v_fma_f64 v[179:180], v[6:7], v[179:180], -v[181:182]
	ds_load_b128 v[6:9], v1 offset:1696
	s_waitcnt vmcnt(8) lgkmcnt(1)
	v_mul_f64 v[183:184], v[2:3], v[36:37]
	v_mul_f64 v[36:37], v[4:5], v[36:37]
	s_waitcnt vmcnt(7) lgkmcnt(0)
	v_mul_f64 v[181:182], v[6:7], v[177:178]
	v_mul_f64 v[177:178], v[8:9], v[177:178]
	v_add_f64 v[167:168], v[167:168], v[191:192]
	v_add_f64 v[171:172], v[171:172], v[185:186]
	v_fma_f64 v[183:184], v[4:5], v[34:35], v[183:184]
	v_fma_f64 v[34:35], v[2:3], v[34:35], -v[36:37]
	ds_load_b128 v[2:5], v1 offset:1712
	v_add_f64 v[36:37], v[167:168], v[179:180]
	v_add_f64 v[167:168], v[171:172], v[187:188]
	v_fma_f64 v[179:180], v[8:9], v[175:176], v[181:182]
	v_fma_f64 v[175:176], v[6:7], v[175:176], -v[177:178]
	ds_load_b128 v[6:9], v1 offset:1728
	s_waitcnt vmcnt(5) lgkmcnt(0)
	v_mul_f64 v[181:182], v[6:7], v[16:17]
	v_mul_f64 v[16:17], v[8:9], v[16:17]
	v_add_f64 v[177:178], v[36:37], v[34:35]
	v_add_f64 v[167:168], v[167:168], v[183:184]
	scratch_load_b128 v[34:37], off, off offset:592
	v_mul_f64 v[171:172], v[2:3], v[12:13]
	v_mul_f64 v[12:13], v[4:5], v[12:13]
	v_add_f64 v[167:168], v[167:168], v[179:180]
	s_delay_alu instid0(VALU_DEP_3) | instskip(NEXT) | instid1(VALU_DEP_3)
	v_fma_f64 v[171:172], v[4:5], v[10:11], v[171:172]
	v_fma_f64 v[10:11], v[2:3], v[10:11], -v[12:13]
	v_add_f64 v[12:13], v[177:178], v[175:176]
	ds_load_b128 v[2:5], v1 offset:1744
	v_fma_f64 v[177:178], v[8:9], v[14:15], v[181:182]
	v_fma_f64 v[14:15], v[6:7], v[14:15], -v[16:17]
	ds_load_b128 v[6:9], v1 offset:1760
	s_waitcnt vmcnt(5) lgkmcnt(1)
	v_mul_f64 v[175:176], v[2:3], v[20:21]
	v_mul_f64 v[20:21], v[4:5], v[20:21]
	s_waitcnt vmcnt(4) lgkmcnt(0)
	v_mul_f64 v[16:17], v[6:7], v[24:25]
	v_mul_f64 v[24:25], v[8:9], v[24:25]
	v_add_f64 v[10:11], v[12:13], v[10:11]
	v_add_f64 v[12:13], v[167:168], v[171:172]
	v_fma_f64 v[167:168], v[4:5], v[18:19], v[175:176]
	v_fma_f64 v[18:19], v[2:3], v[18:19], -v[20:21]
	ds_load_b128 v[2:5], v1 offset:1776
	v_fma_f64 v[16:17], v[8:9], v[22:23], v[16:17]
	v_fma_f64 v[22:23], v[6:7], v[22:23], -v[24:25]
	ds_load_b128 v[6:9], v1 offset:1792
	v_add_f64 v[10:11], v[10:11], v[14:15]
	v_add_f64 v[12:13], v[12:13], v[177:178]
	s_waitcnt vmcnt(3) lgkmcnt(1)
	v_mul_f64 v[14:15], v[2:3], v[28:29]
	v_mul_f64 v[20:21], v[4:5], v[28:29]
	s_waitcnt vmcnt(2) lgkmcnt(0)
	v_mul_f64 v[24:25], v[8:9], v[32:33]
	v_add_f64 v[10:11], v[10:11], v[18:19]
	v_add_f64 v[12:13], v[12:13], v[167:168]
	v_mul_f64 v[18:19], v[6:7], v[32:33]
	v_fma_f64 v[14:15], v[4:5], v[26:27], v[14:15]
	v_fma_f64 v[20:21], v[2:3], v[26:27], -v[20:21]
	ds_load_b128 v[2:5], v1 offset:1808
	v_fma_f64 v[6:7], v[6:7], v[30:31], -v[24:25]
	v_add_f64 v[10:11], v[10:11], v[22:23]
	v_add_f64 v[12:13], v[12:13], v[16:17]
	s_waitcnt vmcnt(1) lgkmcnt(0)
	v_mul_f64 v[16:17], v[2:3], v[40:41]
	v_mul_f64 v[22:23], v[4:5], v[40:41]
	v_fma_f64 v[8:9], v[8:9], v[30:31], v[18:19]
	v_add_f64 v[10:11], v[10:11], v[20:21]
	v_add_f64 v[12:13], v[12:13], v[14:15]
	v_fma_f64 v[4:5], v[4:5], v[38:39], v[16:17]
	v_fma_f64 v[2:3], v[2:3], v[38:39], -v[22:23]
	s_delay_alu instid0(VALU_DEP_4) | instskip(NEXT) | instid1(VALU_DEP_4)
	v_add_f64 v[6:7], v[10:11], v[6:7]
	v_add_f64 v[8:9], v[12:13], v[8:9]
	s_delay_alu instid0(VALU_DEP_2) | instskip(NEXT) | instid1(VALU_DEP_2)
	v_add_f64 v[2:3], v[6:7], v[2:3]
	v_add_f64 v[4:5], v[8:9], v[4:5]
	s_waitcnt vmcnt(0)
	s_delay_alu instid0(VALU_DEP_2) | instskip(NEXT) | instid1(VALU_DEP_2)
	v_add_f64 v[2:3], v[34:35], -v[2:3]
	v_add_f64 v[4:5], v[36:37], -v[4:5]
	scratch_store_b128 off, v[2:5], off offset:592
	v_cmpx_lt_u32_e32 36, v156
	s_cbranch_execz .LBB56_283
; %bb.282:
	scratch_load_b128 v[5:8], v220, off
	v_mov_b32_e32 v2, v1
	v_mov_b32_e32 v3, v1
	;; [unrolled: 1-line block ×3, first 2 shown]
	scratch_store_b128 off, v[1:4], off offset:576
	s_waitcnt vmcnt(0)
	ds_store_b128 v213, v[5:8]
.LBB56_283:
	s_or_b32 exec_lo, exec_lo, s2
	s_waitcnt lgkmcnt(0)
	s_waitcnt_vscnt null, 0x0
	s_barrier
	buffer_gl0_inv
	s_clause 0x7
	scratch_load_b128 v[2:5], off, off offset:592
	scratch_load_b128 v[6:9], off, off offset:608
	;; [unrolled: 1-line block ×8, first 2 shown]
	ds_load_b128 v[34:37], v1 offset:1504
	ds_load_b128 v[175:178], v1 offset:1520
	s_clause 0x1
	scratch_load_b128 v[38:41], off, off offset:720
	scratch_load_b128 v[179:182], off, off offset:736
	s_mov_b32 s2, exec_lo
	s_waitcnt vmcnt(9) lgkmcnt(1)
	v_mul_f64 v[167:168], v[36:37], v[4:5]
	v_mul_f64 v[4:5], v[34:35], v[4:5]
	s_waitcnt vmcnt(8) lgkmcnt(0)
	v_mul_f64 v[171:172], v[175:176], v[8:9]
	v_mul_f64 v[8:9], v[177:178], v[8:9]
	s_delay_alu instid0(VALU_DEP_4) | instskip(NEXT) | instid1(VALU_DEP_4)
	v_fma_f64 v[167:168], v[34:35], v[2:3], -v[167:168]
	v_fma_f64 v[183:184], v[36:37], v[2:3], v[4:5]
	ds_load_b128 v[2:5], v1 offset:1536
	scratch_load_b128 v[34:37], off, off offset:752
	v_fma_f64 v[171:172], v[177:178], v[6:7], v[171:172]
	v_fma_f64 v[187:188], v[175:176], v[6:7], -v[8:9]
	scratch_load_b128 v[175:178], off, off offset:768
	ds_load_b128 v[6:9], v1 offset:1552
	s_waitcnt vmcnt(9) lgkmcnt(1)
	v_mul_f64 v[185:186], v[2:3], v[12:13]
	v_mul_f64 v[12:13], v[4:5], v[12:13]
	s_waitcnt vmcnt(8) lgkmcnt(0)
	v_mul_f64 v[189:190], v[6:7], v[16:17]
	v_mul_f64 v[16:17], v[8:9], v[16:17]
	v_add_f64 v[167:168], v[167:168], 0
	v_add_f64 v[183:184], v[183:184], 0
	v_fma_f64 v[185:186], v[4:5], v[10:11], v[185:186]
	v_fma_f64 v[191:192], v[2:3], v[10:11], -v[12:13]
	ds_load_b128 v[2:5], v1 offset:1568
	scratch_load_b128 v[10:13], off, off offset:784
	v_add_f64 v[167:168], v[167:168], v[187:188]
	v_add_f64 v[171:172], v[183:184], v[171:172]
	v_fma_f64 v[187:188], v[8:9], v[14:15], v[189:190]
	v_fma_f64 v[189:190], v[6:7], v[14:15], -v[16:17]
	ds_load_b128 v[6:9], v1 offset:1584
	scratch_load_b128 v[14:17], off, off offset:800
	s_waitcnt vmcnt(9) lgkmcnt(1)
	v_mul_f64 v[183:184], v[2:3], v[20:21]
	v_mul_f64 v[20:21], v[4:5], v[20:21]
	v_add_f64 v[167:168], v[167:168], v[191:192]
	v_add_f64 v[171:172], v[171:172], v[185:186]
	s_waitcnt vmcnt(8) lgkmcnt(0)
	v_mul_f64 v[185:186], v[6:7], v[24:25]
	v_mul_f64 v[24:25], v[8:9], v[24:25]
	v_fma_f64 v[183:184], v[4:5], v[18:19], v[183:184]
	v_fma_f64 v[191:192], v[2:3], v[18:19], -v[20:21]
	ds_load_b128 v[2:5], v1 offset:1600
	scratch_load_b128 v[18:21], off, off offset:816
	v_add_f64 v[167:168], v[167:168], v[189:190]
	v_add_f64 v[171:172], v[171:172], v[187:188]
	v_fma_f64 v[185:186], v[8:9], v[22:23], v[185:186]
	v_fma_f64 v[189:190], v[6:7], v[22:23], -v[24:25]
	ds_load_b128 v[6:9], v1 offset:1616
	s_waitcnt vmcnt(8) lgkmcnt(1)
	v_mul_f64 v[187:188], v[2:3], v[28:29]
	v_mul_f64 v[28:29], v[4:5], v[28:29]
	scratch_load_b128 v[22:25], off, off offset:832
	v_add_f64 v[167:168], v[167:168], v[191:192]
	v_add_f64 v[171:172], v[171:172], v[183:184]
	s_waitcnt vmcnt(8) lgkmcnt(0)
	v_mul_f64 v[183:184], v[6:7], v[32:33]
	v_mul_f64 v[32:33], v[8:9], v[32:33]
	v_fma_f64 v[187:188], v[4:5], v[26:27], v[187:188]
	v_fma_f64 v[191:192], v[2:3], v[26:27], -v[28:29]
	scratch_load_b128 v[26:29], off, off offset:848
	ds_load_b128 v[2:5], v1 offset:1632
	v_add_f64 v[167:168], v[167:168], v[189:190]
	v_add_f64 v[171:172], v[171:172], v[185:186]
	v_fma_f64 v[183:184], v[8:9], v[30:31], v[183:184]
	v_fma_f64 v[189:190], v[6:7], v[30:31], -v[32:33]
	ds_load_b128 v[6:9], v1 offset:1648
	s_waitcnt vmcnt(8) lgkmcnt(1)
	v_mul_f64 v[185:186], v[2:3], v[40:41]
	v_mul_f64 v[40:41], v[4:5], v[40:41]
	scratch_load_b128 v[30:33], off, off offset:864
	v_add_f64 v[167:168], v[167:168], v[191:192]
	v_add_f64 v[171:172], v[171:172], v[187:188]
	s_waitcnt vmcnt(8) lgkmcnt(0)
	v_mul_f64 v[187:188], v[6:7], v[181:182]
	v_mul_f64 v[181:182], v[8:9], v[181:182]
	v_fma_f64 v[185:186], v[4:5], v[38:39], v[185:186]
	v_fma_f64 v[191:192], v[2:3], v[38:39], -v[40:41]
	scratch_load_b128 v[38:41], off, off offset:880
	ds_load_b128 v[2:5], v1 offset:1664
	v_add_f64 v[167:168], v[167:168], v[189:190]
	v_add_f64 v[171:172], v[171:172], v[183:184]
	v_fma_f64 v[187:188], v[8:9], v[179:180], v[187:188]
	v_fma_f64 v[189:190], v[6:7], v[179:180], -v[181:182]
	ds_load_b128 v[6:9], v1 offset:1680
	scratch_load_b128 v[179:182], off, off offset:896
	s_waitcnt vmcnt(9) lgkmcnt(1)
	v_mul_f64 v[183:184], v[2:3], v[36:37]
	v_mul_f64 v[36:37], v[4:5], v[36:37]
	v_add_f64 v[167:168], v[167:168], v[191:192]
	v_add_f64 v[171:172], v[171:172], v[185:186]
	s_waitcnt vmcnt(8) lgkmcnt(0)
	v_mul_f64 v[185:186], v[6:7], v[177:178]
	v_mul_f64 v[177:178], v[8:9], v[177:178]
	v_fma_f64 v[183:184], v[4:5], v[34:35], v[183:184]
	v_fma_f64 v[34:35], v[2:3], v[34:35], -v[36:37]
	ds_load_b128 v[2:5], v1 offset:1696
	v_add_f64 v[36:37], v[167:168], v[189:190]
	v_add_f64 v[167:168], v[171:172], v[187:188]
	v_fma_f64 v[185:186], v[8:9], v[175:176], v[185:186]
	v_fma_f64 v[175:176], v[6:7], v[175:176], -v[177:178]
	ds_load_b128 v[6:9], v1 offset:1712
	s_waitcnt vmcnt(7) lgkmcnt(1)
	v_mul_f64 v[171:172], v[2:3], v[12:13]
	v_mul_f64 v[12:13], v[4:5], v[12:13]
	v_add_f64 v[34:35], v[36:37], v[34:35]
	v_add_f64 v[36:37], v[167:168], v[183:184]
	s_delay_alu instid0(VALU_DEP_4) | instskip(NEXT) | instid1(VALU_DEP_4)
	v_fma_f64 v[171:172], v[4:5], v[10:11], v[171:172]
	v_fma_f64 v[177:178], v[2:3], v[10:11], -v[12:13]
	scratch_load_b128 v[10:13], off, off offset:576
	s_waitcnt vmcnt(7) lgkmcnt(0)
	v_mul_f64 v[167:168], v[6:7], v[16:17]
	v_mul_f64 v[16:17], v[8:9], v[16:17]
	ds_load_b128 v[2:5], v1 offset:1728
	v_add_f64 v[34:35], v[34:35], v[175:176]
	v_add_f64 v[36:37], v[36:37], v[185:186]
	v_fma_f64 v[167:168], v[8:9], v[14:15], v[167:168]
	v_fma_f64 v[14:15], v[6:7], v[14:15], -v[16:17]
	ds_load_b128 v[6:9], v1 offset:1744
	s_waitcnt vmcnt(6) lgkmcnt(1)
	v_mul_f64 v[175:176], v[2:3], v[20:21]
	v_mul_f64 v[20:21], v[4:5], v[20:21]
	v_add_f64 v[16:17], v[34:35], v[177:178]
	v_add_f64 v[34:35], v[36:37], v[171:172]
	s_waitcnt vmcnt(5) lgkmcnt(0)
	v_mul_f64 v[36:37], v[6:7], v[24:25]
	v_mul_f64 v[24:25], v[8:9], v[24:25]
	v_fma_f64 v[171:172], v[4:5], v[18:19], v[175:176]
	v_fma_f64 v[18:19], v[2:3], v[18:19], -v[20:21]
	ds_load_b128 v[2:5], v1 offset:1760
	v_add_f64 v[14:15], v[16:17], v[14:15]
	v_add_f64 v[16:17], v[34:35], v[167:168]
	v_fma_f64 v[34:35], v[8:9], v[22:23], v[36:37]
	v_fma_f64 v[22:23], v[6:7], v[22:23], -v[24:25]
	ds_load_b128 v[6:9], v1 offset:1776
	s_waitcnt vmcnt(4) lgkmcnt(1)
	v_mul_f64 v[20:21], v[2:3], v[28:29]
	v_mul_f64 v[28:29], v[4:5], v[28:29]
	s_waitcnt vmcnt(3) lgkmcnt(0)
	v_mul_f64 v[24:25], v[8:9], v[32:33]
	v_add_f64 v[14:15], v[14:15], v[18:19]
	v_add_f64 v[16:17], v[16:17], v[171:172]
	v_mul_f64 v[18:19], v[6:7], v[32:33]
	v_fma_f64 v[20:21], v[4:5], v[26:27], v[20:21]
	v_fma_f64 v[26:27], v[2:3], v[26:27], -v[28:29]
	ds_load_b128 v[2:5], v1 offset:1792
	v_fma_f64 v[24:25], v[6:7], v[30:31], -v[24:25]
	v_add_f64 v[14:15], v[14:15], v[22:23]
	v_add_f64 v[16:17], v[16:17], v[34:35]
	v_fma_f64 v[18:19], v[8:9], v[30:31], v[18:19]
	ds_load_b128 v[6:9], v1 offset:1808
	s_waitcnt vmcnt(2) lgkmcnt(1)
	v_mul_f64 v[22:23], v[2:3], v[40:41]
	v_mul_f64 v[28:29], v[4:5], v[40:41]
	v_add_f64 v[14:15], v[14:15], v[26:27]
	v_add_f64 v[16:17], v[16:17], v[20:21]
	s_waitcnt vmcnt(1) lgkmcnt(0)
	v_mul_f64 v[20:21], v[6:7], v[181:182]
	v_mul_f64 v[26:27], v[8:9], v[181:182]
	v_fma_f64 v[4:5], v[4:5], v[38:39], v[22:23]
	v_fma_f64 v[1:2], v[2:3], v[38:39], -v[28:29]
	v_add_f64 v[14:15], v[14:15], v[24:25]
	v_add_f64 v[16:17], v[16:17], v[18:19]
	v_fma_f64 v[8:9], v[8:9], v[179:180], v[20:21]
	v_fma_f64 v[6:7], v[6:7], v[179:180], -v[26:27]
	s_delay_alu instid0(VALU_DEP_4) | instskip(NEXT) | instid1(VALU_DEP_4)
	v_add_f64 v[1:2], v[14:15], v[1:2]
	v_add_f64 v[3:4], v[16:17], v[4:5]
	s_delay_alu instid0(VALU_DEP_2) | instskip(NEXT) | instid1(VALU_DEP_2)
	v_add_f64 v[1:2], v[1:2], v[6:7]
	v_add_f64 v[3:4], v[3:4], v[8:9]
	s_waitcnt vmcnt(0)
	s_delay_alu instid0(VALU_DEP_2) | instskip(NEXT) | instid1(VALU_DEP_2)
	v_add_f64 v[1:2], v[10:11], -v[1:2]
	v_add_f64 v[3:4], v[12:13], -v[3:4]
	scratch_store_b128 off, v[1:4], off offset:576
	v_cmpx_lt_u32_e32 35, v156
	s_cbranch_execz .LBB56_285
; %bb.284:
	scratch_load_b128 v[1:4], v221, off
	v_mov_b32_e32 v5, 0
	s_delay_alu instid0(VALU_DEP_1)
	v_mov_b32_e32 v6, v5
	v_mov_b32_e32 v7, v5
	;; [unrolled: 1-line block ×3, first 2 shown]
	scratch_store_b128 off, v[5:8], off offset:560
	s_waitcnt vmcnt(0)
	ds_store_b128 v213, v[1:4]
.LBB56_285:
	s_or_b32 exec_lo, exec_lo, s2
	s_waitcnt lgkmcnt(0)
	s_waitcnt_vscnt null, 0x0
	s_barrier
	buffer_gl0_inv
	s_clause 0x7
	scratch_load_b128 v[2:5], off, off offset:576
	scratch_load_b128 v[6:9], off, off offset:592
	;; [unrolled: 1-line block ×8, first 2 shown]
	v_mov_b32_e32 v1, 0
	s_clause 0x1
	scratch_load_b128 v[38:41], off, off offset:704
	scratch_load_b128 v[179:182], off, off offset:720
	s_mov_b32 s2, exec_lo
	ds_load_b128 v[34:37], v1 offset:1488
	ds_load_b128 v[175:178], v1 offset:1504
	s_waitcnt vmcnt(9) lgkmcnt(1)
	v_mul_f64 v[167:168], v[36:37], v[4:5]
	v_mul_f64 v[4:5], v[34:35], v[4:5]
	s_waitcnt vmcnt(8) lgkmcnt(0)
	v_mul_f64 v[171:172], v[175:176], v[8:9]
	v_mul_f64 v[8:9], v[177:178], v[8:9]
	s_delay_alu instid0(VALU_DEP_4) | instskip(NEXT) | instid1(VALU_DEP_4)
	v_fma_f64 v[167:168], v[34:35], v[2:3], -v[167:168]
	v_fma_f64 v[183:184], v[36:37], v[2:3], v[4:5]
	ds_load_b128 v[2:5], v1 offset:1520
	scratch_load_b128 v[34:37], off, off offset:736
	v_fma_f64 v[171:172], v[177:178], v[6:7], v[171:172]
	v_fma_f64 v[187:188], v[175:176], v[6:7], -v[8:9]
	scratch_load_b128 v[175:178], off, off offset:752
	ds_load_b128 v[6:9], v1 offset:1536
	s_waitcnt vmcnt(9) lgkmcnt(1)
	v_mul_f64 v[185:186], v[2:3], v[12:13]
	v_mul_f64 v[12:13], v[4:5], v[12:13]
	s_waitcnt vmcnt(8) lgkmcnt(0)
	v_mul_f64 v[189:190], v[6:7], v[16:17]
	v_mul_f64 v[16:17], v[8:9], v[16:17]
	v_add_f64 v[167:168], v[167:168], 0
	v_add_f64 v[183:184], v[183:184], 0
	v_fma_f64 v[185:186], v[4:5], v[10:11], v[185:186]
	v_fma_f64 v[191:192], v[2:3], v[10:11], -v[12:13]
	ds_load_b128 v[2:5], v1 offset:1552
	scratch_load_b128 v[10:13], off, off offset:768
	v_add_f64 v[167:168], v[167:168], v[187:188]
	v_add_f64 v[171:172], v[183:184], v[171:172]
	v_fma_f64 v[187:188], v[8:9], v[14:15], v[189:190]
	v_fma_f64 v[189:190], v[6:7], v[14:15], -v[16:17]
	scratch_load_b128 v[14:17], off, off offset:784
	ds_load_b128 v[6:9], v1 offset:1568
	s_waitcnt vmcnt(9) lgkmcnt(1)
	v_mul_f64 v[183:184], v[2:3], v[20:21]
	v_mul_f64 v[20:21], v[4:5], v[20:21]
	v_add_f64 v[167:168], v[167:168], v[191:192]
	v_add_f64 v[171:172], v[171:172], v[185:186]
	s_waitcnt vmcnt(8) lgkmcnt(0)
	v_mul_f64 v[185:186], v[6:7], v[24:25]
	v_mul_f64 v[24:25], v[8:9], v[24:25]
	v_fma_f64 v[183:184], v[4:5], v[18:19], v[183:184]
	v_fma_f64 v[191:192], v[2:3], v[18:19], -v[20:21]
	ds_load_b128 v[2:5], v1 offset:1584
	scratch_load_b128 v[18:21], off, off offset:800
	v_add_f64 v[167:168], v[167:168], v[189:190]
	v_add_f64 v[171:172], v[171:172], v[187:188]
	v_fma_f64 v[185:186], v[8:9], v[22:23], v[185:186]
	v_fma_f64 v[189:190], v[6:7], v[22:23], -v[24:25]
	ds_load_b128 v[6:9], v1 offset:1600
	s_waitcnt vmcnt(8) lgkmcnt(1)
	v_mul_f64 v[187:188], v[2:3], v[28:29]
	v_mul_f64 v[28:29], v[4:5], v[28:29]
	scratch_load_b128 v[22:25], off, off offset:816
	v_add_f64 v[167:168], v[167:168], v[191:192]
	v_add_f64 v[171:172], v[171:172], v[183:184]
	s_waitcnt vmcnt(8) lgkmcnt(0)
	v_mul_f64 v[183:184], v[6:7], v[32:33]
	v_mul_f64 v[32:33], v[8:9], v[32:33]
	v_fma_f64 v[187:188], v[4:5], v[26:27], v[187:188]
	v_fma_f64 v[191:192], v[2:3], v[26:27], -v[28:29]
	scratch_load_b128 v[26:29], off, off offset:832
	ds_load_b128 v[2:5], v1 offset:1616
	v_add_f64 v[167:168], v[167:168], v[189:190]
	v_add_f64 v[171:172], v[171:172], v[185:186]
	v_fma_f64 v[183:184], v[8:9], v[30:31], v[183:184]
	v_fma_f64 v[189:190], v[6:7], v[30:31], -v[32:33]
	ds_load_b128 v[6:9], v1 offset:1632
	s_waitcnt vmcnt(8) lgkmcnt(1)
	v_mul_f64 v[185:186], v[2:3], v[40:41]
	v_mul_f64 v[40:41], v[4:5], v[40:41]
	scratch_load_b128 v[30:33], off, off offset:848
	v_add_f64 v[167:168], v[167:168], v[191:192]
	v_add_f64 v[171:172], v[171:172], v[187:188]
	s_waitcnt vmcnt(8) lgkmcnt(0)
	v_mul_f64 v[187:188], v[6:7], v[181:182]
	v_mul_f64 v[181:182], v[8:9], v[181:182]
	v_fma_f64 v[185:186], v[4:5], v[38:39], v[185:186]
	v_fma_f64 v[191:192], v[2:3], v[38:39], -v[40:41]
	scratch_load_b128 v[38:41], off, off offset:864
	ds_load_b128 v[2:5], v1 offset:1648
	v_add_f64 v[167:168], v[167:168], v[189:190]
	v_add_f64 v[171:172], v[171:172], v[183:184]
	v_fma_f64 v[187:188], v[8:9], v[179:180], v[187:188]
	v_fma_f64 v[189:190], v[6:7], v[179:180], -v[181:182]
	ds_load_b128 v[6:9], v1 offset:1664
	scratch_load_b128 v[179:182], off, off offset:880
	s_waitcnt vmcnt(9) lgkmcnt(1)
	v_mul_f64 v[183:184], v[2:3], v[36:37]
	v_mul_f64 v[36:37], v[4:5], v[36:37]
	v_add_f64 v[167:168], v[167:168], v[191:192]
	v_add_f64 v[171:172], v[171:172], v[185:186]
	s_waitcnt vmcnt(8) lgkmcnt(0)
	v_mul_f64 v[185:186], v[6:7], v[177:178]
	v_mul_f64 v[177:178], v[8:9], v[177:178]
	v_fma_f64 v[183:184], v[4:5], v[34:35], v[183:184]
	v_fma_f64 v[191:192], v[2:3], v[34:35], -v[36:37]
	scratch_load_b128 v[34:37], off, off offset:896
	ds_load_b128 v[2:5], v1 offset:1680
	v_add_f64 v[167:168], v[167:168], v[189:190]
	v_add_f64 v[171:172], v[171:172], v[187:188]
	v_fma_f64 v[185:186], v[8:9], v[175:176], v[185:186]
	v_fma_f64 v[175:176], v[6:7], v[175:176], -v[177:178]
	ds_load_b128 v[6:9], v1 offset:1696
	s_waitcnt vmcnt(8) lgkmcnt(1)
	v_mul_f64 v[187:188], v[2:3], v[12:13]
	v_mul_f64 v[12:13], v[4:5], v[12:13]
	s_waitcnt vmcnt(7) lgkmcnt(0)
	v_mul_f64 v[177:178], v[6:7], v[16:17]
	v_mul_f64 v[16:17], v[8:9], v[16:17]
	v_add_f64 v[167:168], v[167:168], v[191:192]
	v_add_f64 v[171:172], v[171:172], v[183:184]
	v_fma_f64 v[183:184], v[4:5], v[10:11], v[187:188]
	v_fma_f64 v[10:11], v[2:3], v[10:11], -v[12:13]
	ds_load_b128 v[2:5], v1 offset:1712
	v_add_f64 v[12:13], v[167:168], v[175:176]
	v_add_f64 v[167:168], v[171:172], v[185:186]
	v_fma_f64 v[175:176], v[8:9], v[14:15], v[177:178]
	v_fma_f64 v[14:15], v[6:7], v[14:15], -v[16:17]
	ds_load_b128 v[6:9], v1 offset:1728
	s_waitcnt vmcnt(5) lgkmcnt(0)
	v_mul_f64 v[177:178], v[6:7], v[24:25]
	v_mul_f64 v[24:25], v[8:9], v[24:25]
	v_add_f64 v[16:17], v[12:13], v[10:11]
	v_add_f64 v[167:168], v[167:168], v[183:184]
	scratch_load_b128 v[10:13], off, off offset:560
	v_mul_f64 v[171:172], v[2:3], v[20:21]
	v_mul_f64 v[20:21], v[4:5], v[20:21]
	v_add_f64 v[14:15], v[16:17], v[14:15]
	v_add_f64 v[16:17], v[167:168], v[175:176]
	v_fma_f64 v[167:168], v[8:9], v[22:23], v[177:178]
	v_fma_f64 v[171:172], v[4:5], v[18:19], v[171:172]
	v_fma_f64 v[18:19], v[2:3], v[18:19], -v[20:21]
	ds_load_b128 v[2:5], v1 offset:1744
	v_fma_f64 v[22:23], v[6:7], v[22:23], -v[24:25]
	ds_load_b128 v[6:9], v1 offset:1760
	s_waitcnt vmcnt(5) lgkmcnt(1)
	v_mul_f64 v[20:21], v[2:3], v[28:29]
	v_mul_f64 v[28:29], v[4:5], v[28:29]
	s_waitcnt vmcnt(4) lgkmcnt(0)
	v_mul_f64 v[24:25], v[8:9], v[32:33]
	v_add_f64 v[16:17], v[16:17], v[171:172]
	v_add_f64 v[14:15], v[14:15], v[18:19]
	v_mul_f64 v[18:19], v[6:7], v[32:33]
	v_fma_f64 v[20:21], v[4:5], v[26:27], v[20:21]
	v_fma_f64 v[26:27], v[2:3], v[26:27], -v[28:29]
	ds_load_b128 v[2:5], v1 offset:1776
	v_fma_f64 v[24:25], v[6:7], v[30:31], -v[24:25]
	v_add_f64 v[16:17], v[16:17], v[167:168]
	v_add_f64 v[14:15], v[14:15], v[22:23]
	v_fma_f64 v[18:19], v[8:9], v[30:31], v[18:19]
	ds_load_b128 v[6:9], v1 offset:1792
	s_waitcnt vmcnt(3) lgkmcnt(1)
	v_mul_f64 v[22:23], v[2:3], v[40:41]
	v_mul_f64 v[28:29], v[4:5], v[40:41]
	v_add_f64 v[16:17], v[16:17], v[20:21]
	v_add_f64 v[14:15], v[14:15], v[26:27]
	s_waitcnt vmcnt(2) lgkmcnt(0)
	v_mul_f64 v[20:21], v[6:7], v[181:182]
	v_mul_f64 v[26:27], v[8:9], v[181:182]
	v_fma_f64 v[22:23], v[4:5], v[38:39], v[22:23]
	v_fma_f64 v[28:29], v[2:3], v[38:39], -v[28:29]
	ds_load_b128 v[2:5], v1 offset:1808
	v_add_f64 v[16:17], v[16:17], v[18:19]
	v_add_f64 v[14:15], v[14:15], v[24:25]
	s_waitcnt vmcnt(1) lgkmcnt(0)
	v_mul_f64 v[18:19], v[2:3], v[36:37]
	v_mul_f64 v[24:25], v[4:5], v[36:37]
	v_fma_f64 v[8:9], v[8:9], v[179:180], v[20:21]
	v_fma_f64 v[6:7], v[6:7], v[179:180], -v[26:27]
	v_add_f64 v[16:17], v[16:17], v[22:23]
	v_add_f64 v[14:15], v[14:15], v[28:29]
	v_fma_f64 v[4:5], v[4:5], v[34:35], v[18:19]
	v_fma_f64 v[2:3], v[2:3], v[34:35], -v[24:25]
	s_delay_alu instid0(VALU_DEP_4) | instskip(NEXT) | instid1(VALU_DEP_4)
	v_add_f64 v[8:9], v[16:17], v[8:9]
	v_add_f64 v[6:7], v[14:15], v[6:7]
	s_delay_alu instid0(VALU_DEP_2) | instskip(NEXT) | instid1(VALU_DEP_2)
	v_add_f64 v[4:5], v[8:9], v[4:5]
	v_add_f64 v[2:3], v[6:7], v[2:3]
	s_waitcnt vmcnt(0)
	s_delay_alu instid0(VALU_DEP_2) | instskip(NEXT) | instid1(VALU_DEP_2)
	v_add_f64 v[4:5], v[12:13], -v[4:5]
	v_add_f64 v[2:3], v[10:11], -v[2:3]
	scratch_store_b128 off, v[2:5], off offset:560
	v_cmpx_lt_u32_e32 34, v156
	s_cbranch_execz .LBB56_287
; %bb.286:
	scratch_load_b128 v[5:8], v222, off
	v_mov_b32_e32 v2, v1
	v_mov_b32_e32 v3, v1
	;; [unrolled: 1-line block ×3, first 2 shown]
	scratch_store_b128 off, v[1:4], off offset:544
	s_waitcnt vmcnt(0)
	ds_store_b128 v213, v[5:8]
.LBB56_287:
	s_or_b32 exec_lo, exec_lo, s2
	s_waitcnt lgkmcnt(0)
	s_waitcnt_vscnt null, 0x0
	s_barrier
	buffer_gl0_inv
	s_clause 0x7
	scratch_load_b128 v[2:5], off, off offset:560
	scratch_load_b128 v[6:9], off, off offset:576
	;; [unrolled: 1-line block ×8, first 2 shown]
	ds_load_b128 v[34:37], v1 offset:1472
	ds_load_b128 v[175:178], v1 offset:1488
	s_clause 0x1
	scratch_load_b128 v[38:41], off, off offset:688
	scratch_load_b128 v[179:182], off, off offset:704
	s_mov_b32 s2, exec_lo
	s_waitcnt vmcnt(9) lgkmcnt(1)
	v_mul_f64 v[167:168], v[36:37], v[4:5]
	v_mul_f64 v[4:5], v[34:35], v[4:5]
	s_waitcnt vmcnt(8) lgkmcnt(0)
	v_mul_f64 v[171:172], v[175:176], v[8:9]
	v_mul_f64 v[8:9], v[177:178], v[8:9]
	s_delay_alu instid0(VALU_DEP_4) | instskip(NEXT) | instid1(VALU_DEP_4)
	v_fma_f64 v[167:168], v[34:35], v[2:3], -v[167:168]
	v_fma_f64 v[183:184], v[36:37], v[2:3], v[4:5]
	ds_load_b128 v[2:5], v1 offset:1504
	scratch_load_b128 v[34:37], off, off offset:720
	v_fma_f64 v[171:172], v[177:178], v[6:7], v[171:172]
	v_fma_f64 v[187:188], v[175:176], v[6:7], -v[8:9]
	scratch_load_b128 v[175:178], off, off offset:736
	ds_load_b128 v[6:9], v1 offset:1520
	s_waitcnt vmcnt(9) lgkmcnt(1)
	v_mul_f64 v[185:186], v[2:3], v[12:13]
	v_mul_f64 v[12:13], v[4:5], v[12:13]
	s_waitcnt vmcnt(8) lgkmcnt(0)
	v_mul_f64 v[189:190], v[6:7], v[16:17]
	v_mul_f64 v[16:17], v[8:9], v[16:17]
	v_add_f64 v[167:168], v[167:168], 0
	v_add_f64 v[183:184], v[183:184], 0
	v_fma_f64 v[185:186], v[4:5], v[10:11], v[185:186]
	v_fma_f64 v[191:192], v[2:3], v[10:11], -v[12:13]
	ds_load_b128 v[2:5], v1 offset:1536
	scratch_load_b128 v[10:13], off, off offset:752
	v_add_f64 v[167:168], v[167:168], v[187:188]
	v_add_f64 v[171:172], v[183:184], v[171:172]
	v_fma_f64 v[187:188], v[8:9], v[14:15], v[189:190]
	v_fma_f64 v[189:190], v[6:7], v[14:15], -v[16:17]
	scratch_load_b128 v[14:17], off, off offset:768
	ds_load_b128 v[6:9], v1 offset:1552
	s_waitcnt vmcnt(9) lgkmcnt(1)
	v_mul_f64 v[183:184], v[2:3], v[20:21]
	v_mul_f64 v[20:21], v[4:5], v[20:21]
	v_add_f64 v[167:168], v[167:168], v[191:192]
	v_add_f64 v[171:172], v[171:172], v[185:186]
	s_waitcnt vmcnt(8) lgkmcnt(0)
	v_mul_f64 v[185:186], v[6:7], v[24:25]
	v_mul_f64 v[24:25], v[8:9], v[24:25]
	v_fma_f64 v[183:184], v[4:5], v[18:19], v[183:184]
	v_fma_f64 v[191:192], v[2:3], v[18:19], -v[20:21]
	ds_load_b128 v[2:5], v1 offset:1568
	scratch_load_b128 v[18:21], off, off offset:784
	v_add_f64 v[167:168], v[167:168], v[189:190]
	v_add_f64 v[171:172], v[171:172], v[187:188]
	v_fma_f64 v[185:186], v[8:9], v[22:23], v[185:186]
	v_fma_f64 v[189:190], v[6:7], v[22:23], -v[24:25]
	ds_load_b128 v[6:9], v1 offset:1584
	s_waitcnt vmcnt(8) lgkmcnt(1)
	v_mul_f64 v[187:188], v[2:3], v[28:29]
	v_mul_f64 v[28:29], v[4:5], v[28:29]
	scratch_load_b128 v[22:25], off, off offset:800
	v_add_f64 v[167:168], v[167:168], v[191:192]
	v_add_f64 v[171:172], v[171:172], v[183:184]
	s_waitcnt vmcnt(8) lgkmcnt(0)
	v_mul_f64 v[183:184], v[6:7], v[32:33]
	v_mul_f64 v[32:33], v[8:9], v[32:33]
	v_fma_f64 v[187:188], v[4:5], v[26:27], v[187:188]
	v_fma_f64 v[191:192], v[2:3], v[26:27], -v[28:29]
	ds_load_b128 v[2:5], v1 offset:1600
	scratch_load_b128 v[26:29], off, off offset:816
	v_add_f64 v[167:168], v[167:168], v[189:190]
	v_add_f64 v[171:172], v[171:172], v[185:186]
	v_fma_f64 v[183:184], v[8:9], v[30:31], v[183:184]
	v_fma_f64 v[189:190], v[6:7], v[30:31], -v[32:33]
	ds_load_b128 v[6:9], v1 offset:1616
	s_waitcnt vmcnt(8) lgkmcnt(1)
	v_mul_f64 v[185:186], v[2:3], v[40:41]
	v_mul_f64 v[40:41], v[4:5], v[40:41]
	scratch_load_b128 v[30:33], off, off offset:832
	v_add_f64 v[167:168], v[167:168], v[191:192]
	v_add_f64 v[171:172], v[171:172], v[187:188]
	s_waitcnt vmcnt(8) lgkmcnt(0)
	v_mul_f64 v[187:188], v[6:7], v[181:182]
	v_mul_f64 v[181:182], v[8:9], v[181:182]
	v_fma_f64 v[185:186], v[4:5], v[38:39], v[185:186]
	v_fma_f64 v[191:192], v[2:3], v[38:39], -v[40:41]
	scratch_load_b128 v[38:41], off, off offset:848
	ds_load_b128 v[2:5], v1 offset:1632
	v_add_f64 v[167:168], v[167:168], v[189:190]
	v_add_f64 v[171:172], v[171:172], v[183:184]
	v_fma_f64 v[187:188], v[8:9], v[179:180], v[187:188]
	v_fma_f64 v[189:190], v[6:7], v[179:180], -v[181:182]
	ds_load_b128 v[6:9], v1 offset:1648
	scratch_load_b128 v[179:182], off, off offset:864
	s_waitcnt vmcnt(9) lgkmcnt(1)
	v_mul_f64 v[183:184], v[2:3], v[36:37]
	v_mul_f64 v[36:37], v[4:5], v[36:37]
	v_add_f64 v[167:168], v[167:168], v[191:192]
	v_add_f64 v[171:172], v[171:172], v[185:186]
	s_waitcnt vmcnt(8) lgkmcnt(0)
	v_mul_f64 v[185:186], v[6:7], v[177:178]
	v_mul_f64 v[177:178], v[8:9], v[177:178]
	v_fma_f64 v[183:184], v[4:5], v[34:35], v[183:184]
	v_fma_f64 v[191:192], v[2:3], v[34:35], -v[36:37]
	scratch_load_b128 v[34:37], off, off offset:880
	ds_load_b128 v[2:5], v1 offset:1664
	v_add_f64 v[167:168], v[167:168], v[189:190]
	v_add_f64 v[171:172], v[171:172], v[187:188]
	v_fma_f64 v[185:186], v[8:9], v[175:176], v[185:186]
	v_fma_f64 v[189:190], v[6:7], v[175:176], -v[177:178]
	ds_load_b128 v[6:9], v1 offset:1680
	s_waitcnt vmcnt(8) lgkmcnt(1)
	v_mul_f64 v[187:188], v[2:3], v[12:13]
	v_mul_f64 v[12:13], v[4:5], v[12:13]
	scratch_load_b128 v[175:178], off, off offset:896
	v_add_f64 v[167:168], v[167:168], v[191:192]
	v_add_f64 v[171:172], v[171:172], v[183:184]
	s_waitcnt vmcnt(8) lgkmcnt(0)
	v_mul_f64 v[183:184], v[6:7], v[16:17]
	v_mul_f64 v[16:17], v[8:9], v[16:17]
	v_fma_f64 v[187:188], v[4:5], v[10:11], v[187:188]
	v_fma_f64 v[10:11], v[2:3], v[10:11], -v[12:13]
	ds_load_b128 v[2:5], v1 offset:1696
	v_add_f64 v[12:13], v[167:168], v[189:190]
	v_add_f64 v[167:168], v[171:172], v[185:186]
	v_fma_f64 v[183:184], v[8:9], v[14:15], v[183:184]
	v_fma_f64 v[14:15], v[6:7], v[14:15], -v[16:17]
	ds_load_b128 v[6:9], v1 offset:1712
	s_waitcnt vmcnt(7) lgkmcnt(1)
	v_mul_f64 v[171:172], v[2:3], v[20:21]
	v_mul_f64 v[20:21], v[4:5], v[20:21]
	v_add_f64 v[10:11], v[12:13], v[10:11]
	v_add_f64 v[12:13], v[167:168], v[187:188]
	s_delay_alu instid0(VALU_DEP_4) | instskip(NEXT) | instid1(VALU_DEP_4)
	v_fma_f64 v[167:168], v[4:5], v[18:19], v[171:172]
	v_fma_f64 v[18:19], v[2:3], v[18:19], -v[20:21]
	ds_load_b128 v[2:5], v1 offset:1728
	v_add_f64 v[14:15], v[10:11], v[14:15]
	v_add_f64 v[20:21], v[12:13], v[183:184]
	scratch_load_b128 v[10:13], off, off offset:544
	s_waitcnt vmcnt(7) lgkmcnt(1)
	v_mul_f64 v[16:17], v[6:7], v[24:25]
	v_mul_f64 v[24:25], v[8:9], v[24:25]
	v_add_f64 v[14:15], v[14:15], v[18:19]
	v_add_f64 v[18:19], v[20:21], v[167:168]
	s_delay_alu instid0(VALU_DEP_4) | instskip(NEXT) | instid1(VALU_DEP_4)
	v_fma_f64 v[16:17], v[8:9], v[22:23], v[16:17]
	v_fma_f64 v[22:23], v[6:7], v[22:23], -v[24:25]
	ds_load_b128 v[6:9], v1 offset:1744
	s_waitcnt vmcnt(6) lgkmcnt(1)
	v_mul_f64 v[171:172], v[2:3], v[28:29]
	v_mul_f64 v[28:29], v[4:5], v[28:29]
	s_waitcnt vmcnt(5) lgkmcnt(0)
	v_mul_f64 v[20:21], v[6:7], v[32:33]
	v_mul_f64 v[24:25], v[8:9], v[32:33]
	v_add_f64 v[16:17], v[18:19], v[16:17]
	v_add_f64 v[14:15], v[14:15], v[22:23]
	v_fma_f64 v[32:33], v[4:5], v[26:27], v[171:172]
	v_fma_f64 v[26:27], v[2:3], v[26:27], -v[28:29]
	ds_load_b128 v[2:5], v1 offset:1760
	v_fma_f64 v[20:21], v[8:9], v[30:31], v[20:21]
	v_fma_f64 v[24:25], v[6:7], v[30:31], -v[24:25]
	ds_load_b128 v[6:9], v1 offset:1776
	s_waitcnt vmcnt(4) lgkmcnt(1)
	v_mul_f64 v[18:19], v[2:3], v[40:41]
	v_mul_f64 v[22:23], v[4:5], v[40:41]
	v_add_f64 v[16:17], v[16:17], v[32:33]
	v_add_f64 v[14:15], v[14:15], v[26:27]
	s_waitcnt vmcnt(3) lgkmcnt(0)
	v_mul_f64 v[26:27], v[6:7], v[181:182]
	v_mul_f64 v[28:29], v[8:9], v[181:182]
	v_fma_f64 v[18:19], v[4:5], v[38:39], v[18:19]
	v_fma_f64 v[22:23], v[2:3], v[38:39], -v[22:23]
	ds_load_b128 v[2:5], v1 offset:1792
	v_add_f64 v[16:17], v[16:17], v[20:21]
	v_add_f64 v[14:15], v[14:15], v[24:25]
	v_fma_f64 v[26:27], v[8:9], v[179:180], v[26:27]
	v_fma_f64 v[28:29], v[6:7], v[179:180], -v[28:29]
	ds_load_b128 v[6:9], v1 offset:1808
	s_waitcnt vmcnt(2) lgkmcnt(1)
	v_mul_f64 v[20:21], v[2:3], v[36:37]
	v_mul_f64 v[24:25], v[4:5], v[36:37]
	v_add_f64 v[16:17], v[16:17], v[18:19]
	v_add_f64 v[14:15], v[14:15], v[22:23]
	s_waitcnt vmcnt(1) lgkmcnt(0)
	v_mul_f64 v[18:19], v[6:7], v[177:178]
	v_mul_f64 v[22:23], v[8:9], v[177:178]
	v_fma_f64 v[4:5], v[4:5], v[34:35], v[20:21]
	v_fma_f64 v[1:2], v[2:3], v[34:35], -v[24:25]
	v_add_f64 v[16:17], v[16:17], v[26:27]
	v_add_f64 v[14:15], v[14:15], v[28:29]
	v_fma_f64 v[8:9], v[8:9], v[175:176], v[18:19]
	v_fma_f64 v[6:7], v[6:7], v[175:176], -v[22:23]
	s_delay_alu instid0(VALU_DEP_4) | instskip(NEXT) | instid1(VALU_DEP_4)
	v_add_f64 v[3:4], v[16:17], v[4:5]
	v_add_f64 v[1:2], v[14:15], v[1:2]
	s_delay_alu instid0(VALU_DEP_2) | instskip(NEXT) | instid1(VALU_DEP_2)
	v_add_f64 v[3:4], v[3:4], v[8:9]
	v_add_f64 v[1:2], v[1:2], v[6:7]
	s_waitcnt vmcnt(0)
	s_delay_alu instid0(VALU_DEP_2) | instskip(NEXT) | instid1(VALU_DEP_2)
	v_add_f64 v[3:4], v[12:13], -v[3:4]
	v_add_f64 v[1:2], v[10:11], -v[1:2]
	scratch_store_b128 off, v[1:4], off offset:544
	v_cmpx_lt_u32_e32 33, v156
	s_cbranch_execz .LBB56_289
; %bb.288:
	scratch_load_b128 v[1:4], v223, off
	v_mov_b32_e32 v5, 0
	s_delay_alu instid0(VALU_DEP_1)
	v_mov_b32_e32 v6, v5
	v_mov_b32_e32 v7, v5
	;; [unrolled: 1-line block ×3, first 2 shown]
	scratch_store_b128 off, v[5:8], off offset:528
	s_waitcnt vmcnt(0)
	ds_store_b128 v213, v[1:4]
.LBB56_289:
	s_or_b32 exec_lo, exec_lo, s2
	s_waitcnt lgkmcnt(0)
	s_waitcnt_vscnt null, 0x0
	s_barrier
	buffer_gl0_inv
	s_clause 0x7
	scratch_load_b128 v[2:5], off, off offset:544
	scratch_load_b128 v[6:9], off, off offset:560
	;; [unrolled: 1-line block ×8, first 2 shown]
	v_mov_b32_e32 v1, 0
	s_clause 0x1
	scratch_load_b128 v[38:41], off, off offset:672
	scratch_load_b128 v[179:182], off, off offset:688
	s_mov_b32 s2, exec_lo
	ds_load_b128 v[34:37], v1 offset:1456
	ds_load_b128 v[175:178], v1 offset:1472
	s_waitcnt vmcnt(9) lgkmcnt(1)
	v_mul_f64 v[167:168], v[36:37], v[4:5]
	v_mul_f64 v[4:5], v[34:35], v[4:5]
	s_waitcnt vmcnt(8) lgkmcnt(0)
	v_mul_f64 v[171:172], v[175:176], v[8:9]
	v_mul_f64 v[8:9], v[177:178], v[8:9]
	s_delay_alu instid0(VALU_DEP_4) | instskip(NEXT) | instid1(VALU_DEP_4)
	v_fma_f64 v[167:168], v[34:35], v[2:3], -v[167:168]
	v_fma_f64 v[183:184], v[36:37], v[2:3], v[4:5]
	ds_load_b128 v[2:5], v1 offset:1488
	scratch_load_b128 v[34:37], off, off offset:704
	v_fma_f64 v[171:172], v[177:178], v[6:7], v[171:172]
	v_fma_f64 v[187:188], v[175:176], v[6:7], -v[8:9]
	scratch_load_b128 v[175:178], off, off offset:720
	ds_load_b128 v[6:9], v1 offset:1504
	s_waitcnt vmcnt(9) lgkmcnt(1)
	v_mul_f64 v[185:186], v[2:3], v[12:13]
	v_mul_f64 v[12:13], v[4:5], v[12:13]
	s_waitcnt vmcnt(8) lgkmcnt(0)
	v_mul_f64 v[189:190], v[6:7], v[16:17]
	v_mul_f64 v[16:17], v[8:9], v[16:17]
	v_add_f64 v[167:168], v[167:168], 0
	v_add_f64 v[183:184], v[183:184], 0
	v_fma_f64 v[185:186], v[4:5], v[10:11], v[185:186]
	v_fma_f64 v[191:192], v[2:3], v[10:11], -v[12:13]
	ds_load_b128 v[2:5], v1 offset:1520
	scratch_load_b128 v[10:13], off, off offset:736
	v_add_f64 v[167:168], v[167:168], v[187:188]
	v_add_f64 v[171:172], v[183:184], v[171:172]
	v_fma_f64 v[187:188], v[8:9], v[14:15], v[189:190]
	v_fma_f64 v[189:190], v[6:7], v[14:15], -v[16:17]
	scratch_load_b128 v[14:17], off, off offset:752
	ds_load_b128 v[6:9], v1 offset:1536
	s_waitcnt vmcnt(9) lgkmcnt(1)
	v_mul_f64 v[183:184], v[2:3], v[20:21]
	v_mul_f64 v[20:21], v[4:5], v[20:21]
	v_add_f64 v[167:168], v[167:168], v[191:192]
	v_add_f64 v[171:172], v[171:172], v[185:186]
	s_waitcnt vmcnt(8) lgkmcnt(0)
	v_mul_f64 v[185:186], v[6:7], v[24:25]
	v_mul_f64 v[24:25], v[8:9], v[24:25]
	v_fma_f64 v[183:184], v[4:5], v[18:19], v[183:184]
	v_fma_f64 v[191:192], v[2:3], v[18:19], -v[20:21]
	ds_load_b128 v[2:5], v1 offset:1552
	scratch_load_b128 v[18:21], off, off offset:768
	v_add_f64 v[167:168], v[167:168], v[189:190]
	v_add_f64 v[171:172], v[171:172], v[187:188]
	v_fma_f64 v[185:186], v[8:9], v[22:23], v[185:186]
	v_fma_f64 v[189:190], v[6:7], v[22:23], -v[24:25]
	scratch_load_b128 v[22:25], off, off offset:784
	ds_load_b128 v[6:9], v1 offset:1568
	s_waitcnt vmcnt(9) lgkmcnt(1)
	v_mul_f64 v[187:188], v[2:3], v[28:29]
	v_mul_f64 v[28:29], v[4:5], v[28:29]
	v_add_f64 v[167:168], v[167:168], v[191:192]
	v_add_f64 v[171:172], v[171:172], v[183:184]
	s_waitcnt vmcnt(8) lgkmcnt(0)
	v_mul_f64 v[183:184], v[6:7], v[32:33]
	v_mul_f64 v[32:33], v[8:9], v[32:33]
	v_fma_f64 v[187:188], v[4:5], v[26:27], v[187:188]
	v_fma_f64 v[191:192], v[2:3], v[26:27], -v[28:29]
	ds_load_b128 v[2:5], v1 offset:1584
	scratch_load_b128 v[26:29], off, off offset:800
	v_add_f64 v[167:168], v[167:168], v[189:190]
	v_add_f64 v[171:172], v[171:172], v[185:186]
	v_fma_f64 v[183:184], v[8:9], v[30:31], v[183:184]
	v_fma_f64 v[189:190], v[6:7], v[30:31], -v[32:33]
	ds_load_b128 v[6:9], v1 offset:1600
	s_waitcnt vmcnt(8) lgkmcnt(1)
	v_mul_f64 v[185:186], v[2:3], v[40:41]
	v_mul_f64 v[40:41], v[4:5], v[40:41]
	scratch_load_b128 v[30:33], off, off offset:816
	v_add_f64 v[167:168], v[167:168], v[191:192]
	v_add_f64 v[171:172], v[171:172], v[187:188]
	s_waitcnt vmcnt(8) lgkmcnt(0)
	v_mul_f64 v[187:188], v[6:7], v[181:182]
	v_mul_f64 v[181:182], v[8:9], v[181:182]
	v_fma_f64 v[185:186], v[4:5], v[38:39], v[185:186]
	v_fma_f64 v[191:192], v[2:3], v[38:39], -v[40:41]
	scratch_load_b128 v[38:41], off, off offset:832
	ds_load_b128 v[2:5], v1 offset:1616
	v_add_f64 v[167:168], v[167:168], v[189:190]
	v_add_f64 v[171:172], v[171:172], v[183:184]
	v_fma_f64 v[187:188], v[8:9], v[179:180], v[187:188]
	v_fma_f64 v[189:190], v[6:7], v[179:180], -v[181:182]
	ds_load_b128 v[6:9], v1 offset:1632
	scratch_load_b128 v[179:182], off, off offset:848
	s_waitcnt vmcnt(9) lgkmcnt(1)
	v_mul_f64 v[183:184], v[2:3], v[36:37]
	v_mul_f64 v[36:37], v[4:5], v[36:37]
	v_add_f64 v[167:168], v[167:168], v[191:192]
	v_add_f64 v[171:172], v[171:172], v[185:186]
	s_waitcnt vmcnt(8) lgkmcnt(0)
	v_mul_f64 v[185:186], v[6:7], v[177:178]
	v_mul_f64 v[177:178], v[8:9], v[177:178]
	v_fma_f64 v[183:184], v[4:5], v[34:35], v[183:184]
	v_fma_f64 v[191:192], v[2:3], v[34:35], -v[36:37]
	scratch_load_b128 v[34:37], off, off offset:864
	ds_load_b128 v[2:5], v1 offset:1648
	v_add_f64 v[167:168], v[167:168], v[189:190]
	v_add_f64 v[171:172], v[171:172], v[187:188]
	v_fma_f64 v[185:186], v[8:9], v[175:176], v[185:186]
	v_fma_f64 v[189:190], v[6:7], v[175:176], -v[177:178]
	ds_load_b128 v[6:9], v1 offset:1664
	s_waitcnt vmcnt(8) lgkmcnt(1)
	v_mul_f64 v[187:188], v[2:3], v[12:13]
	v_mul_f64 v[12:13], v[4:5], v[12:13]
	scratch_load_b128 v[175:178], off, off offset:880
	v_add_f64 v[167:168], v[167:168], v[191:192]
	v_add_f64 v[171:172], v[171:172], v[183:184]
	s_waitcnt vmcnt(8) lgkmcnt(0)
	v_mul_f64 v[183:184], v[6:7], v[16:17]
	v_mul_f64 v[16:17], v[8:9], v[16:17]
	v_fma_f64 v[187:188], v[4:5], v[10:11], v[187:188]
	v_fma_f64 v[191:192], v[2:3], v[10:11], -v[12:13]
	scratch_load_b128 v[10:13], off, off offset:896
	ds_load_b128 v[2:5], v1 offset:1680
	v_add_f64 v[167:168], v[167:168], v[189:190]
	v_add_f64 v[171:172], v[171:172], v[185:186]
	v_fma_f64 v[183:184], v[8:9], v[14:15], v[183:184]
	v_fma_f64 v[14:15], v[6:7], v[14:15], -v[16:17]
	ds_load_b128 v[6:9], v1 offset:1696
	s_waitcnt vmcnt(8) lgkmcnt(1)
	v_mul_f64 v[185:186], v[2:3], v[20:21]
	v_mul_f64 v[20:21], v[4:5], v[20:21]
	v_add_f64 v[16:17], v[167:168], v[191:192]
	v_add_f64 v[167:168], v[171:172], v[187:188]
	s_waitcnt vmcnt(7) lgkmcnt(0)
	v_mul_f64 v[171:172], v[6:7], v[24:25]
	v_mul_f64 v[24:25], v[8:9], v[24:25]
	v_fma_f64 v[185:186], v[4:5], v[18:19], v[185:186]
	v_fma_f64 v[18:19], v[2:3], v[18:19], -v[20:21]
	ds_load_b128 v[2:5], v1 offset:1712
	v_add_f64 v[14:15], v[16:17], v[14:15]
	v_add_f64 v[16:17], v[167:168], v[183:184]
	v_fma_f64 v[167:168], v[8:9], v[22:23], v[171:172]
	v_fma_f64 v[22:23], v[6:7], v[22:23], -v[24:25]
	ds_load_b128 v[6:9], v1 offset:1728
	s_waitcnt vmcnt(5) lgkmcnt(0)
	v_mul_f64 v[171:172], v[6:7], v[32:33]
	v_mul_f64 v[32:33], v[8:9], v[32:33]
	v_add_f64 v[18:19], v[14:15], v[18:19]
	v_add_f64 v[24:25], v[16:17], v[185:186]
	scratch_load_b128 v[14:17], off, off offset:528
	v_mul_f64 v[20:21], v[2:3], v[28:29]
	v_mul_f64 v[28:29], v[4:5], v[28:29]
	v_add_f64 v[18:19], v[18:19], v[22:23]
	v_add_f64 v[22:23], v[24:25], v[167:168]
	s_delay_alu instid0(VALU_DEP_4) | instskip(NEXT) | instid1(VALU_DEP_4)
	v_fma_f64 v[20:21], v[4:5], v[26:27], v[20:21]
	v_fma_f64 v[26:27], v[2:3], v[26:27], -v[28:29]
	ds_load_b128 v[2:5], v1 offset:1744
	s_waitcnt vmcnt(5) lgkmcnt(0)
	v_mul_f64 v[24:25], v[2:3], v[40:41]
	v_mul_f64 v[28:29], v[4:5], v[40:41]
	v_fma_f64 v[40:41], v[8:9], v[30:31], v[171:172]
	v_fma_f64 v[30:31], v[6:7], v[30:31], -v[32:33]
	ds_load_b128 v[6:9], v1 offset:1760
	v_add_f64 v[20:21], v[22:23], v[20:21]
	v_add_f64 v[18:19], v[18:19], v[26:27]
	v_fma_f64 v[24:25], v[4:5], v[38:39], v[24:25]
	v_fma_f64 v[28:29], v[2:3], v[38:39], -v[28:29]
	ds_load_b128 v[2:5], v1 offset:1776
	s_waitcnt vmcnt(4) lgkmcnt(1)
	v_mul_f64 v[22:23], v[6:7], v[181:182]
	v_mul_f64 v[26:27], v[8:9], v[181:182]
	v_add_f64 v[20:21], v[20:21], v[40:41]
	v_add_f64 v[18:19], v[18:19], v[30:31]
	s_waitcnt vmcnt(3) lgkmcnt(0)
	v_mul_f64 v[30:31], v[2:3], v[36:37]
	v_mul_f64 v[32:33], v[4:5], v[36:37]
	v_fma_f64 v[22:23], v[8:9], v[179:180], v[22:23]
	v_fma_f64 v[26:27], v[6:7], v[179:180], -v[26:27]
	ds_load_b128 v[6:9], v1 offset:1792
	v_add_f64 v[20:21], v[20:21], v[24:25]
	v_add_f64 v[18:19], v[18:19], v[28:29]
	v_fma_f64 v[30:31], v[4:5], v[34:35], v[30:31]
	v_fma_f64 v[32:33], v[2:3], v[34:35], -v[32:33]
	ds_load_b128 v[2:5], v1 offset:1808
	s_waitcnt vmcnt(2) lgkmcnt(1)
	v_mul_f64 v[24:25], v[6:7], v[177:178]
	v_mul_f64 v[28:29], v[8:9], v[177:178]
	v_add_f64 v[20:21], v[20:21], v[22:23]
	v_add_f64 v[18:19], v[18:19], v[26:27]
	s_waitcnt vmcnt(1) lgkmcnt(0)
	v_mul_f64 v[22:23], v[2:3], v[12:13]
	v_mul_f64 v[12:13], v[4:5], v[12:13]
	v_fma_f64 v[8:9], v[8:9], v[175:176], v[24:25]
	v_fma_f64 v[6:7], v[6:7], v[175:176], -v[28:29]
	v_add_f64 v[20:21], v[20:21], v[30:31]
	v_add_f64 v[18:19], v[18:19], v[32:33]
	v_fma_f64 v[4:5], v[4:5], v[10:11], v[22:23]
	v_fma_f64 v[2:3], v[2:3], v[10:11], -v[12:13]
	s_delay_alu instid0(VALU_DEP_4) | instskip(NEXT) | instid1(VALU_DEP_4)
	v_add_f64 v[8:9], v[20:21], v[8:9]
	v_add_f64 v[6:7], v[18:19], v[6:7]
	s_delay_alu instid0(VALU_DEP_2) | instskip(NEXT) | instid1(VALU_DEP_2)
	v_add_f64 v[4:5], v[8:9], v[4:5]
	v_add_f64 v[2:3], v[6:7], v[2:3]
	s_waitcnt vmcnt(0)
	s_delay_alu instid0(VALU_DEP_2) | instskip(NEXT) | instid1(VALU_DEP_2)
	v_add_f64 v[4:5], v[16:17], -v[4:5]
	v_add_f64 v[2:3], v[14:15], -v[2:3]
	scratch_store_b128 off, v[2:5], off offset:528
	v_cmpx_lt_u32_e32 32, v156
	s_cbranch_execz .LBB56_291
; %bb.290:
	scratch_load_b128 v[5:8], v224, off
	v_mov_b32_e32 v2, v1
	v_mov_b32_e32 v3, v1
	v_mov_b32_e32 v4, v1
	scratch_store_b128 off, v[1:4], off offset:512
	s_waitcnt vmcnt(0)
	ds_store_b128 v213, v[5:8]
.LBB56_291:
	s_or_b32 exec_lo, exec_lo, s2
	s_waitcnt lgkmcnt(0)
	s_waitcnt_vscnt null, 0x0
	s_barrier
	buffer_gl0_inv
	s_clause 0x7
	scratch_load_b128 v[2:5], off, off offset:528
	scratch_load_b128 v[6:9], off, off offset:544
	;; [unrolled: 1-line block ×8, first 2 shown]
	ds_load_b128 v[34:37], v1 offset:1440
	ds_load_b128 v[175:178], v1 offset:1456
	s_clause 0x1
	scratch_load_b128 v[38:41], off, off offset:656
	scratch_load_b128 v[179:182], off, off offset:672
	s_mov_b32 s2, exec_lo
	s_waitcnt vmcnt(9) lgkmcnt(1)
	v_mul_f64 v[167:168], v[36:37], v[4:5]
	v_mul_f64 v[4:5], v[34:35], v[4:5]
	s_waitcnt vmcnt(8) lgkmcnt(0)
	v_mul_f64 v[171:172], v[175:176], v[8:9]
	v_mul_f64 v[8:9], v[177:178], v[8:9]
	s_delay_alu instid0(VALU_DEP_4) | instskip(NEXT) | instid1(VALU_DEP_4)
	v_fma_f64 v[167:168], v[34:35], v[2:3], -v[167:168]
	v_fma_f64 v[183:184], v[36:37], v[2:3], v[4:5]
	ds_load_b128 v[2:5], v1 offset:1472
	scratch_load_b128 v[34:37], off, off offset:688
	v_fma_f64 v[171:172], v[177:178], v[6:7], v[171:172]
	v_fma_f64 v[187:188], v[175:176], v[6:7], -v[8:9]
	scratch_load_b128 v[175:178], off, off offset:704
	ds_load_b128 v[6:9], v1 offset:1488
	s_waitcnt vmcnt(9) lgkmcnt(1)
	v_mul_f64 v[185:186], v[2:3], v[12:13]
	v_mul_f64 v[12:13], v[4:5], v[12:13]
	s_waitcnt vmcnt(8) lgkmcnt(0)
	v_mul_f64 v[189:190], v[6:7], v[16:17]
	v_mul_f64 v[16:17], v[8:9], v[16:17]
	v_add_f64 v[167:168], v[167:168], 0
	v_add_f64 v[183:184], v[183:184], 0
	v_fma_f64 v[185:186], v[4:5], v[10:11], v[185:186]
	v_fma_f64 v[191:192], v[2:3], v[10:11], -v[12:13]
	ds_load_b128 v[2:5], v1 offset:1504
	scratch_load_b128 v[10:13], off, off offset:720
	v_add_f64 v[167:168], v[167:168], v[187:188]
	v_add_f64 v[171:172], v[183:184], v[171:172]
	v_fma_f64 v[187:188], v[8:9], v[14:15], v[189:190]
	v_fma_f64 v[189:190], v[6:7], v[14:15], -v[16:17]
	scratch_load_b128 v[14:17], off, off offset:736
	ds_load_b128 v[6:9], v1 offset:1520
	s_waitcnt vmcnt(9) lgkmcnt(1)
	v_mul_f64 v[183:184], v[2:3], v[20:21]
	v_mul_f64 v[20:21], v[4:5], v[20:21]
	v_add_f64 v[167:168], v[167:168], v[191:192]
	v_add_f64 v[171:172], v[171:172], v[185:186]
	s_waitcnt vmcnt(8) lgkmcnt(0)
	v_mul_f64 v[185:186], v[6:7], v[24:25]
	v_mul_f64 v[24:25], v[8:9], v[24:25]
	v_fma_f64 v[183:184], v[4:5], v[18:19], v[183:184]
	v_fma_f64 v[191:192], v[2:3], v[18:19], -v[20:21]
	ds_load_b128 v[2:5], v1 offset:1536
	scratch_load_b128 v[18:21], off, off offset:752
	v_add_f64 v[167:168], v[167:168], v[189:190]
	v_add_f64 v[171:172], v[171:172], v[187:188]
	v_fma_f64 v[185:186], v[8:9], v[22:23], v[185:186]
	v_fma_f64 v[189:190], v[6:7], v[22:23], -v[24:25]
	scratch_load_b128 v[22:25], off, off offset:768
	ds_load_b128 v[6:9], v1 offset:1552
	s_waitcnt vmcnt(9) lgkmcnt(1)
	v_mul_f64 v[187:188], v[2:3], v[28:29]
	v_mul_f64 v[28:29], v[4:5], v[28:29]
	v_add_f64 v[167:168], v[167:168], v[191:192]
	v_add_f64 v[171:172], v[171:172], v[183:184]
	s_waitcnt vmcnt(8) lgkmcnt(0)
	v_mul_f64 v[183:184], v[6:7], v[32:33]
	v_mul_f64 v[32:33], v[8:9], v[32:33]
	v_fma_f64 v[187:188], v[4:5], v[26:27], v[187:188]
	v_fma_f64 v[191:192], v[2:3], v[26:27], -v[28:29]
	ds_load_b128 v[2:5], v1 offset:1568
	scratch_load_b128 v[26:29], off, off offset:784
	v_add_f64 v[167:168], v[167:168], v[189:190]
	v_add_f64 v[171:172], v[171:172], v[185:186]
	v_fma_f64 v[183:184], v[8:9], v[30:31], v[183:184]
	v_fma_f64 v[189:190], v[6:7], v[30:31], -v[32:33]
	ds_load_b128 v[6:9], v1 offset:1584
	s_waitcnt vmcnt(8) lgkmcnt(1)
	v_mul_f64 v[185:186], v[2:3], v[40:41]
	v_mul_f64 v[40:41], v[4:5], v[40:41]
	scratch_load_b128 v[30:33], off, off offset:800
	v_add_f64 v[167:168], v[167:168], v[191:192]
	v_add_f64 v[171:172], v[171:172], v[187:188]
	s_waitcnt vmcnt(8) lgkmcnt(0)
	v_mul_f64 v[187:188], v[6:7], v[181:182]
	v_mul_f64 v[181:182], v[8:9], v[181:182]
	v_fma_f64 v[185:186], v[4:5], v[38:39], v[185:186]
	v_fma_f64 v[191:192], v[2:3], v[38:39], -v[40:41]
	ds_load_b128 v[2:5], v1 offset:1600
	scratch_load_b128 v[38:41], off, off offset:816
	v_add_f64 v[167:168], v[167:168], v[189:190]
	v_add_f64 v[171:172], v[171:172], v[183:184]
	v_fma_f64 v[187:188], v[8:9], v[179:180], v[187:188]
	v_fma_f64 v[189:190], v[6:7], v[179:180], -v[181:182]
	ds_load_b128 v[6:9], v1 offset:1616
	scratch_load_b128 v[179:182], off, off offset:832
	s_waitcnt vmcnt(9) lgkmcnt(1)
	v_mul_f64 v[183:184], v[2:3], v[36:37]
	v_mul_f64 v[36:37], v[4:5], v[36:37]
	v_add_f64 v[167:168], v[167:168], v[191:192]
	v_add_f64 v[171:172], v[171:172], v[185:186]
	s_waitcnt vmcnt(8) lgkmcnt(0)
	v_mul_f64 v[185:186], v[6:7], v[177:178]
	v_mul_f64 v[177:178], v[8:9], v[177:178]
	v_fma_f64 v[183:184], v[4:5], v[34:35], v[183:184]
	v_fma_f64 v[191:192], v[2:3], v[34:35], -v[36:37]
	scratch_load_b128 v[34:37], off, off offset:848
	ds_load_b128 v[2:5], v1 offset:1632
	v_add_f64 v[167:168], v[167:168], v[189:190]
	v_add_f64 v[171:172], v[171:172], v[187:188]
	v_fma_f64 v[185:186], v[8:9], v[175:176], v[185:186]
	v_fma_f64 v[189:190], v[6:7], v[175:176], -v[177:178]
	ds_load_b128 v[6:9], v1 offset:1648
	s_waitcnt vmcnt(8) lgkmcnt(1)
	v_mul_f64 v[187:188], v[2:3], v[12:13]
	v_mul_f64 v[12:13], v[4:5], v[12:13]
	scratch_load_b128 v[175:178], off, off offset:864
	v_add_f64 v[167:168], v[167:168], v[191:192]
	v_add_f64 v[171:172], v[171:172], v[183:184]
	s_waitcnt vmcnt(8) lgkmcnt(0)
	v_mul_f64 v[183:184], v[6:7], v[16:17]
	v_mul_f64 v[16:17], v[8:9], v[16:17]
	v_fma_f64 v[187:188], v[4:5], v[10:11], v[187:188]
	v_fma_f64 v[191:192], v[2:3], v[10:11], -v[12:13]
	scratch_load_b128 v[10:13], off, off offset:880
	ds_load_b128 v[2:5], v1 offset:1664
	v_add_f64 v[167:168], v[167:168], v[189:190]
	v_add_f64 v[171:172], v[171:172], v[185:186]
	v_fma_f64 v[183:184], v[8:9], v[14:15], v[183:184]
	v_fma_f64 v[189:190], v[6:7], v[14:15], -v[16:17]
	ds_load_b128 v[6:9], v1 offset:1680
	s_waitcnt vmcnt(8) lgkmcnt(1)
	v_mul_f64 v[185:186], v[2:3], v[20:21]
	v_mul_f64 v[20:21], v[4:5], v[20:21]
	scratch_load_b128 v[14:17], off, off offset:896
	v_add_f64 v[167:168], v[167:168], v[191:192]
	v_add_f64 v[171:172], v[171:172], v[187:188]
	s_waitcnt vmcnt(8) lgkmcnt(0)
	v_mul_f64 v[187:188], v[6:7], v[24:25]
	v_mul_f64 v[24:25], v[8:9], v[24:25]
	v_fma_f64 v[185:186], v[4:5], v[18:19], v[185:186]
	v_fma_f64 v[18:19], v[2:3], v[18:19], -v[20:21]
	ds_load_b128 v[2:5], v1 offset:1696
	v_add_f64 v[20:21], v[167:168], v[189:190]
	v_add_f64 v[167:168], v[171:172], v[183:184]
	v_fma_f64 v[183:184], v[8:9], v[22:23], v[187:188]
	v_fma_f64 v[22:23], v[6:7], v[22:23], -v[24:25]
	ds_load_b128 v[6:9], v1 offset:1712
	s_waitcnt vmcnt(7) lgkmcnt(1)
	v_mul_f64 v[171:172], v[2:3], v[28:29]
	v_mul_f64 v[28:29], v[4:5], v[28:29]
	v_add_f64 v[18:19], v[20:21], v[18:19]
	v_add_f64 v[20:21], v[167:168], v[185:186]
	s_delay_alu instid0(VALU_DEP_4) | instskip(NEXT) | instid1(VALU_DEP_4)
	v_fma_f64 v[167:168], v[4:5], v[26:27], v[171:172]
	v_fma_f64 v[26:27], v[2:3], v[26:27], -v[28:29]
	ds_load_b128 v[2:5], v1 offset:1728
	v_add_f64 v[22:23], v[18:19], v[22:23]
	v_add_f64 v[28:29], v[20:21], v[183:184]
	scratch_load_b128 v[18:21], off, off offset:512
	s_waitcnt vmcnt(7) lgkmcnt(1)
	v_mul_f64 v[24:25], v[6:7], v[32:33]
	v_mul_f64 v[32:33], v[8:9], v[32:33]
	v_add_f64 v[22:23], v[22:23], v[26:27]
	v_add_f64 v[26:27], v[28:29], v[167:168]
	s_delay_alu instid0(VALU_DEP_4) | instskip(NEXT) | instid1(VALU_DEP_4)
	v_fma_f64 v[24:25], v[8:9], v[30:31], v[24:25]
	v_fma_f64 v[30:31], v[6:7], v[30:31], -v[32:33]
	ds_load_b128 v[6:9], v1 offset:1744
	s_waitcnt vmcnt(6) lgkmcnt(1)
	v_mul_f64 v[171:172], v[2:3], v[40:41]
	v_mul_f64 v[40:41], v[4:5], v[40:41]
	s_waitcnt vmcnt(5) lgkmcnt(0)
	v_mul_f64 v[28:29], v[6:7], v[181:182]
	v_mul_f64 v[32:33], v[8:9], v[181:182]
	v_add_f64 v[24:25], v[26:27], v[24:25]
	v_add_f64 v[22:23], v[22:23], v[30:31]
	v_fma_f64 v[167:168], v[4:5], v[38:39], v[171:172]
	v_fma_f64 v[38:39], v[2:3], v[38:39], -v[40:41]
	ds_load_b128 v[2:5], v1 offset:1760
	v_fma_f64 v[28:29], v[8:9], v[179:180], v[28:29]
	v_fma_f64 v[32:33], v[6:7], v[179:180], -v[32:33]
	ds_load_b128 v[6:9], v1 offset:1776
	s_waitcnt vmcnt(4) lgkmcnt(1)
	v_mul_f64 v[26:27], v[2:3], v[36:37]
	v_mul_f64 v[30:31], v[4:5], v[36:37]
	v_add_f64 v[24:25], v[24:25], v[167:168]
	v_add_f64 v[22:23], v[22:23], v[38:39]
	s_waitcnt vmcnt(3) lgkmcnt(0)
	v_mul_f64 v[36:37], v[6:7], v[177:178]
	v_mul_f64 v[38:39], v[8:9], v[177:178]
	v_fma_f64 v[26:27], v[4:5], v[34:35], v[26:27]
	v_fma_f64 v[30:31], v[2:3], v[34:35], -v[30:31]
	ds_load_b128 v[2:5], v1 offset:1792
	v_add_f64 v[24:25], v[24:25], v[28:29]
	v_add_f64 v[22:23], v[22:23], v[32:33]
	v_fma_f64 v[32:33], v[8:9], v[175:176], v[36:37]
	v_fma_f64 v[34:35], v[6:7], v[175:176], -v[38:39]
	ds_load_b128 v[6:9], v1 offset:1808
	s_waitcnt vmcnt(2) lgkmcnt(1)
	v_mul_f64 v[28:29], v[2:3], v[12:13]
	v_mul_f64 v[12:13], v[4:5], v[12:13]
	v_add_f64 v[24:25], v[24:25], v[26:27]
	v_add_f64 v[22:23], v[22:23], v[30:31]
	s_waitcnt vmcnt(1) lgkmcnt(0)
	v_mul_f64 v[26:27], v[6:7], v[16:17]
	v_mul_f64 v[16:17], v[8:9], v[16:17]
	v_fma_f64 v[4:5], v[4:5], v[10:11], v[28:29]
	v_fma_f64 v[1:2], v[2:3], v[10:11], -v[12:13]
	v_add_f64 v[12:13], v[24:25], v[32:33]
	v_add_f64 v[10:11], v[22:23], v[34:35]
	v_fma_f64 v[8:9], v[8:9], v[14:15], v[26:27]
	v_fma_f64 v[6:7], v[6:7], v[14:15], -v[16:17]
	s_delay_alu instid0(VALU_DEP_4) | instskip(NEXT) | instid1(VALU_DEP_4)
	v_add_f64 v[3:4], v[12:13], v[4:5]
	v_add_f64 v[1:2], v[10:11], v[1:2]
	s_delay_alu instid0(VALU_DEP_2) | instskip(NEXT) | instid1(VALU_DEP_2)
	v_add_f64 v[3:4], v[3:4], v[8:9]
	v_add_f64 v[1:2], v[1:2], v[6:7]
	s_waitcnt vmcnt(0)
	s_delay_alu instid0(VALU_DEP_2) | instskip(NEXT) | instid1(VALU_DEP_2)
	v_add_f64 v[3:4], v[20:21], -v[3:4]
	v_add_f64 v[1:2], v[18:19], -v[1:2]
	scratch_store_b128 off, v[1:4], off offset:512
	v_cmpx_lt_u32_e32 31, v156
	s_cbranch_execz .LBB56_293
; %bb.292:
	scratch_load_b128 v[1:4], v225, off
	v_mov_b32_e32 v5, 0
	s_delay_alu instid0(VALU_DEP_1)
	v_mov_b32_e32 v6, v5
	v_mov_b32_e32 v7, v5
	v_mov_b32_e32 v8, v5
	scratch_store_b128 off, v[5:8], off offset:496
	s_waitcnt vmcnt(0)
	ds_store_b128 v213, v[1:4]
.LBB56_293:
	s_or_b32 exec_lo, exec_lo, s2
	s_waitcnt lgkmcnt(0)
	s_waitcnt_vscnt null, 0x0
	s_barrier
	buffer_gl0_inv
	s_clause 0x7
	scratch_load_b128 v[2:5], off, off offset:512
	scratch_load_b128 v[6:9], off, off offset:528
	;; [unrolled: 1-line block ×8, first 2 shown]
	v_mov_b32_e32 v1, 0
	s_clause 0x1
	scratch_load_b128 v[38:41], off, off offset:640
	scratch_load_b128 v[179:182], off, off offset:656
	s_mov_b32 s2, exec_lo
	ds_load_b128 v[34:37], v1 offset:1424
	ds_load_b128 v[175:178], v1 offset:1440
	s_waitcnt vmcnt(9) lgkmcnt(1)
	v_mul_f64 v[167:168], v[36:37], v[4:5]
	v_mul_f64 v[4:5], v[34:35], v[4:5]
	s_waitcnt vmcnt(8) lgkmcnt(0)
	v_mul_f64 v[171:172], v[175:176], v[8:9]
	v_mul_f64 v[8:9], v[177:178], v[8:9]
	s_delay_alu instid0(VALU_DEP_4) | instskip(NEXT) | instid1(VALU_DEP_4)
	v_fma_f64 v[167:168], v[34:35], v[2:3], -v[167:168]
	v_fma_f64 v[183:184], v[36:37], v[2:3], v[4:5]
	ds_load_b128 v[2:5], v1 offset:1456
	scratch_load_b128 v[34:37], off, off offset:672
	v_fma_f64 v[171:172], v[177:178], v[6:7], v[171:172]
	v_fma_f64 v[187:188], v[175:176], v[6:7], -v[8:9]
	scratch_load_b128 v[175:178], off, off offset:688
	ds_load_b128 v[6:9], v1 offset:1472
	s_waitcnt vmcnt(9) lgkmcnt(1)
	v_mul_f64 v[185:186], v[2:3], v[12:13]
	v_mul_f64 v[12:13], v[4:5], v[12:13]
	s_waitcnt vmcnt(8) lgkmcnt(0)
	v_mul_f64 v[189:190], v[6:7], v[16:17]
	v_mul_f64 v[16:17], v[8:9], v[16:17]
	v_add_f64 v[167:168], v[167:168], 0
	v_add_f64 v[183:184], v[183:184], 0
	v_fma_f64 v[185:186], v[4:5], v[10:11], v[185:186]
	v_fma_f64 v[191:192], v[2:3], v[10:11], -v[12:13]
	ds_load_b128 v[2:5], v1 offset:1488
	scratch_load_b128 v[10:13], off, off offset:704
	v_add_f64 v[167:168], v[167:168], v[187:188]
	v_add_f64 v[171:172], v[183:184], v[171:172]
	v_fma_f64 v[187:188], v[8:9], v[14:15], v[189:190]
	v_fma_f64 v[189:190], v[6:7], v[14:15], -v[16:17]
	scratch_load_b128 v[14:17], off, off offset:720
	ds_load_b128 v[6:9], v1 offset:1504
	s_waitcnt vmcnt(9) lgkmcnt(1)
	v_mul_f64 v[183:184], v[2:3], v[20:21]
	v_mul_f64 v[20:21], v[4:5], v[20:21]
	v_add_f64 v[167:168], v[167:168], v[191:192]
	v_add_f64 v[171:172], v[171:172], v[185:186]
	s_waitcnt vmcnt(8) lgkmcnt(0)
	v_mul_f64 v[185:186], v[6:7], v[24:25]
	v_mul_f64 v[24:25], v[8:9], v[24:25]
	v_fma_f64 v[183:184], v[4:5], v[18:19], v[183:184]
	v_fma_f64 v[191:192], v[2:3], v[18:19], -v[20:21]
	ds_load_b128 v[2:5], v1 offset:1520
	scratch_load_b128 v[18:21], off, off offset:736
	v_add_f64 v[167:168], v[167:168], v[189:190]
	v_add_f64 v[171:172], v[171:172], v[187:188]
	v_fma_f64 v[185:186], v[8:9], v[22:23], v[185:186]
	v_fma_f64 v[189:190], v[6:7], v[22:23], -v[24:25]
	scratch_load_b128 v[22:25], off, off offset:752
	ds_load_b128 v[6:9], v1 offset:1536
	s_waitcnt vmcnt(9) lgkmcnt(1)
	v_mul_f64 v[187:188], v[2:3], v[28:29]
	v_mul_f64 v[28:29], v[4:5], v[28:29]
	v_add_f64 v[167:168], v[167:168], v[191:192]
	v_add_f64 v[171:172], v[171:172], v[183:184]
	s_waitcnt vmcnt(8) lgkmcnt(0)
	v_mul_f64 v[183:184], v[6:7], v[32:33]
	v_mul_f64 v[32:33], v[8:9], v[32:33]
	v_fma_f64 v[187:188], v[4:5], v[26:27], v[187:188]
	v_fma_f64 v[191:192], v[2:3], v[26:27], -v[28:29]
	ds_load_b128 v[2:5], v1 offset:1552
	scratch_load_b128 v[26:29], off, off offset:768
	v_add_f64 v[167:168], v[167:168], v[189:190]
	v_add_f64 v[171:172], v[171:172], v[185:186]
	v_fma_f64 v[183:184], v[8:9], v[30:31], v[183:184]
	v_fma_f64 v[189:190], v[6:7], v[30:31], -v[32:33]
	scratch_load_b128 v[30:33], off, off offset:784
	ds_load_b128 v[6:9], v1 offset:1568
	s_waitcnt vmcnt(9) lgkmcnt(1)
	v_mul_f64 v[185:186], v[2:3], v[40:41]
	v_mul_f64 v[40:41], v[4:5], v[40:41]
	v_add_f64 v[167:168], v[167:168], v[191:192]
	v_add_f64 v[171:172], v[171:172], v[187:188]
	s_waitcnt vmcnt(8) lgkmcnt(0)
	v_mul_f64 v[187:188], v[6:7], v[181:182]
	v_mul_f64 v[181:182], v[8:9], v[181:182]
	v_fma_f64 v[185:186], v[4:5], v[38:39], v[185:186]
	v_fma_f64 v[191:192], v[2:3], v[38:39], -v[40:41]
	ds_load_b128 v[2:5], v1 offset:1584
	scratch_load_b128 v[38:41], off, off offset:800
	v_add_f64 v[167:168], v[167:168], v[189:190]
	v_add_f64 v[171:172], v[171:172], v[183:184]
	v_fma_f64 v[187:188], v[8:9], v[179:180], v[187:188]
	v_fma_f64 v[189:190], v[6:7], v[179:180], -v[181:182]
	ds_load_b128 v[6:9], v1 offset:1600
	scratch_load_b128 v[179:182], off, off offset:816
	s_waitcnt vmcnt(9) lgkmcnt(1)
	v_mul_f64 v[183:184], v[2:3], v[36:37]
	v_mul_f64 v[36:37], v[4:5], v[36:37]
	v_add_f64 v[167:168], v[167:168], v[191:192]
	v_add_f64 v[171:172], v[171:172], v[185:186]
	s_waitcnt vmcnt(8) lgkmcnt(0)
	v_mul_f64 v[185:186], v[6:7], v[177:178]
	v_mul_f64 v[177:178], v[8:9], v[177:178]
	v_fma_f64 v[183:184], v[4:5], v[34:35], v[183:184]
	v_fma_f64 v[191:192], v[2:3], v[34:35], -v[36:37]
	scratch_load_b128 v[34:37], off, off offset:832
	ds_load_b128 v[2:5], v1 offset:1616
	v_add_f64 v[167:168], v[167:168], v[189:190]
	v_add_f64 v[171:172], v[171:172], v[187:188]
	v_fma_f64 v[185:186], v[8:9], v[175:176], v[185:186]
	v_fma_f64 v[189:190], v[6:7], v[175:176], -v[177:178]
	ds_load_b128 v[6:9], v1 offset:1632
	s_waitcnt vmcnt(8) lgkmcnt(1)
	v_mul_f64 v[187:188], v[2:3], v[12:13]
	v_mul_f64 v[12:13], v[4:5], v[12:13]
	scratch_load_b128 v[175:178], off, off offset:848
	v_add_f64 v[167:168], v[167:168], v[191:192]
	v_add_f64 v[171:172], v[171:172], v[183:184]
	s_waitcnt vmcnt(8) lgkmcnt(0)
	v_mul_f64 v[183:184], v[6:7], v[16:17]
	v_mul_f64 v[16:17], v[8:9], v[16:17]
	v_fma_f64 v[187:188], v[4:5], v[10:11], v[187:188]
	v_fma_f64 v[191:192], v[2:3], v[10:11], -v[12:13]
	scratch_load_b128 v[10:13], off, off offset:864
	ds_load_b128 v[2:5], v1 offset:1648
	v_add_f64 v[167:168], v[167:168], v[189:190]
	v_add_f64 v[171:172], v[171:172], v[185:186]
	v_fma_f64 v[183:184], v[8:9], v[14:15], v[183:184]
	v_fma_f64 v[189:190], v[6:7], v[14:15], -v[16:17]
	ds_load_b128 v[6:9], v1 offset:1664
	s_waitcnt vmcnt(8) lgkmcnt(1)
	v_mul_f64 v[185:186], v[2:3], v[20:21]
	v_mul_f64 v[20:21], v[4:5], v[20:21]
	scratch_load_b128 v[14:17], off, off offset:880
	v_add_f64 v[167:168], v[167:168], v[191:192]
	v_add_f64 v[171:172], v[171:172], v[187:188]
	s_waitcnt vmcnt(8) lgkmcnt(0)
	v_mul_f64 v[187:188], v[6:7], v[24:25]
	v_mul_f64 v[24:25], v[8:9], v[24:25]
	v_fma_f64 v[185:186], v[4:5], v[18:19], v[185:186]
	v_fma_f64 v[191:192], v[2:3], v[18:19], -v[20:21]
	scratch_load_b128 v[18:21], off, off offset:896
	ds_load_b128 v[2:5], v1 offset:1680
	v_add_f64 v[167:168], v[167:168], v[189:190]
	v_add_f64 v[171:172], v[171:172], v[183:184]
	v_fma_f64 v[187:188], v[8:9], v[22:23], v[187:188]
	v_fma_f64 v[22:23], v[6:7], v[22:23], -v[24:25]
	ds_load_b128 v[6:9], v1 offset:1696
	s_waitcnt vmcnt(8) lgkmcnt(1)
	v_mul_f64 v[183:184], v[2:3], v[28:29]
	v_mul_f64 v[28:29], v[4:5], v[28:29]
	v_add_f64 v[24:25], v[167:168], v[191:192]
	v_add_f64 v[167:168], v[171:172], v[185:186]
	s_waitcnt vmcnt(7) lgkmcnt(0)
	v_mul_f64 v[171:172], v[6:7], v[32:33]
	v_mul_f64 v[32:33], v[8:9], v[32:33]
	v_fma_f64 v[183:184], v[4:5], v[26:27], v[183:184]
	v_fma_f64 v[26:27], v[2:3], v[26:27], -v[28:29]
	ds_load_b128 v[2:5], v1 offset:1712
	v_add_f64 v[22:23], v[24:25], v[22:23]
	v_add_f64 v[24:25], v[167:168], v[187:188]
	v_fma_f64 v[167:168], v[8:9], v[30:31], v[171:172]
	v_fma_f64 v[30:31], v[6:7], v[30:31], -v[32:33]
	ds_load_b128 v[6:9], v1 offset:1728
	s_waitcnt vmcnt(5) lgkmcnt(0)
	v_mul_f64 v[171:172], v[6:7], v[181:182]
	v_mul_f64 v[181:182], v[8:9], v[181:182]
	v_add_f64 v[26:27], v[22:23], v[26:27]
	v_add_f64 v[32:33], v[24:25], v[183:184]
	scratch_load_b128 v[22:25], off, off offset:496
	v_mul_f64 v[28:29], v[2:3], v[40:41]
	v_mul_f64 v[40:41], v[4:5], v[40:41]
	v_add_f64 v[26:27], v[26:27], v[30:31]
	v_add_f64 v[30:31], v[32:33], v[167:168]
	v_fma_f64 v[167:168], v[6:7], v[179:180], -v[181:182]
	v_fma_f64 v[28:29], v[4:5], v[38:39], v[28:29]
	v_fma_f64 v[38:39], v[2:3], v[38:39], -v[40:41]
	ds_load_b128 v[2:5], v1 offset:1744
	v_fma_f64 v[40:41], v[8:9], v[179:180], v[171:172]
	ds_load_b128 v[6:9], v1 offset:1760
	s_waitcnt vmcnt(5) lgkmcnt(1)
	v_mul_f64 v[32:33], v[2:3], v[36:37]
	v_mul_f64 v[36:37], v[4:5], v[36:37]
	v_add_f64 v[28:29], v[30:31], v[28:29]
	v_add_f64 v[26:27], v[26:27], v[38:39]
	s_waitcnt vmcnt(4) lgkmcnt(0)
	v_mul_f64 v[30:31], v[6:7], v[177:178]
	v_mul_f64 v[38:39], v[8:9], v[177:178]
	v_fma_f64 v[32:33], v[4:5], v[34:35], v[32:33]
	v_fma_f64 v[34:35], v[2:3], v[34:35], -v[36:37]
	ds_load_b128 v[2:5], v1 offset:1776
	v_add_f64 v[28:29], v[28:29], v[40:41]
	v_add_f64 v[26:27], v[26:27], v[167:168]
	v_fma_f64 v[30:31], v[8:9], v[175:176], v[30:31]
	v_fma_f64 v[38:39], v[6:7], v[175:176], -v[38:39]
	ds_load_b128 v[6:9], v1 offset:1792
	s_waitcnt vmcnt(3) lgkmcnt(1)
	v_mul_f64 v[36:37], v[2:3], v[12:13]
	v_mul_f64 v[12:13], v[4:5], v[12:13]
	v_add_f64 v[28:29], v[28:29], v[32:33]
	v_add_f64 v[26:27], v[26:27], v[34:35]
	s_waitcnt vmcnt(2) lgkmcnt(0)
	v_mul_f64 v[32:33], v[6:7], v[16:17]
	v_mul_f64 v[16:17], v[8:9], v[16:17]
	v_fma_f64 v[34:35], v[4:5], v[10:11], v[36:37]
	v_fma_f64 v[10:11], v[2:3], v[10:11], -v[12:13]
	ds_load_b128 v[2:5], v1 offset:1808
	v_add_f64 v[12:13], v[26:27], v[38:39]
	v_add_f64 v[26:27], v[28:29], v[30:31]
	s_waitcnt vmcnt(1) lgkmcnt(0)
	v_mul_f64 v[28:29], v[2:3], v[20:21]
	v_mul_f64 v[20:21], v[4:5], v[20:21]
	v_fma_f64 v[8:9], v[8:9], v[14:15], v[32:33]
	v_fma_f64 v[6:7], v[6:7], v[14:15], -v[16:17]
	v_add_f64 v[10:11], v[12:13], v[10:11]
	v_add_f64 v[12:13], v[26:27], v[34:35]
	v_fma_f64 v[4:5], v[4:5], v[18:19], v[28:29]
	v_fma_f64 v[2:3], v[2:3], v[18:19], -v[20:21]
	s_delay_alu instid0(VALU_DEP_4) | instskip(NEXT) | instid1(VALU_DEP_4)
	v_add_f64 v[6:7], v[10:11], v[6:7]
	v_add_f64 v[8:9], v[12:13], v[8:9]
	s_delay_alu instid0(VALU_DEP_2) | instskip(NEXT) | instid1(VALU_DEP_2)
	v_add_f64 v[2:3], v[6:7], v[2:3]
	v_add_f64 v[4:5], v[8:9], v[4:5]
	s_waitcnt vmcnt(0)
	s_delay_alu instid0(VALU_DEP_2) | instskip(NEXT) | instid1(VALU_DEP_2)
	v_add_f64 v[2:3], v[22:23], -v[2:3]
	v_add_f64 v[4:5], v[24:25], -v[4:5]
	scratch_store_b128 off, v[2:5], off offset:496
	v_cmpx_lt_u32_e32 30, v156
	s_cbranch_execz .LBB56_295
; %bb.294:
	scratch_load_b128 v[5:8], v226, off
	v_mov_b32_e32 v2, v1
	v_mov_b32_e32 v3, v1
	;; [unrolled: 1-line block ×3, first 2 shown]
	scratch_store_b128 off, v[1:4], off offset:480
	s_waitcnt vmcnt(0)
	ds_store_b128 v213, v[5:8]
.LBB56_295:
	s_or_b32 exec_lo, exec_lo, s2
	s_waitcnt lgkmcnt(0)
	s_waitcnt_vscnt null, 0x0
	s_barrier
	buffer_gl0_inv
	s_clause 0x7
	scratch_load_b128 v[2:5], off, off offset:496
	scratch_load_b128 v[6:9], off, off offset:512
	scratch_load_b128 v[10:13], off, off offset:528
	scratch_load_b128 v[14:17], off, off offset:544
	scratch_load_b128 v[18:21], off, off offset:560
	scratch_load_b128 v[22:25], off, off offset:576
	scratch_load_b128 v[26:29], off, off offset:592
	scratch_load_b128 v[30:33], off, off offset:608
	ds_load_b128 v[38:41], v1 offset:1408
	ds_load_b128 v[175:178], v1 offset:1424
	s_clause 0x1
	scratch_load_b128 v[34:37], off, off offset:624
	scratch_load_b128 v[179:182], off, off offset:640
	s_mov_b32 s2, exec_lo
	s_waitcnt vmcnt(9) lgkmcnt(1)
	v_mul_f64 v[167:168], v[40:41], v[4:5]
	v_mul_f64 v[4:5], v[38:39], v[4:5]
	s_waitcnt vmcnt(8) lgkmcnt(0)
	v_mul_f64 v[171:172], v[175:176], v[8:9]
	v_mul_f64 v[8:9], v[177:178], v[8:9]
	s_delay_alu instid0(VALU_DEP_4) | instskip(NEXT) | instid1(VALU_DEP_4)
	v_fma_f64 v[167:168], v[38:39], v[2:3], -v[167:168]
	v_fma_f64 v[183:184], v[40:41], v[2:3], v[4:5]
	ds_load_b128 v[2:5], v1 offset:1440
	scratch_load_b128 v[38:41], off, off offset:656
	v_fma_f64 v[171:172], v[177:178], v[6:7], v[171:172]
	v_fma_f64 v[187:188], v[175:176], v[6:7], -v[8:9]
	scratch_load_b128 v[175:178], off, off offset:672
	ds_load_b128 v[6:9], v1 offset:1456
	s_waitcnt vmcnt(9) lgkmcnt(1)
	v_mul_f64 v[185:186], v[2:3], v[12:13]
	v_mul_f64 v[12:13], v[4:5], v[12:13]
	s_waitcnt vmcnt(8) lgkmcnt(0)
	v_mul_f64 v[189:190], v[6:7], v[16:17]
	v_mul_f64 v[16:17], v[8:9], v[16:17]
	v_add_f64 v[167:168], v[167:168], 0
	v_add_f64 v[183:184], v[183:184], 0
	v_fma_f64 v[185:186], v[4:5], v[10:11], v[185:186]
	v_fma_f64 v[191:192], v[2:3], v[10:11], -v[12:13]
	ds_load_b128 v[2:5], v1 offset:1472
	scratch_load_b128 v[10:13], off, off offset:688
	v_add_f64 v[167:168], v[167:168], v[187:188]
	v_add_f64 v[171:172], v[183:184], v[171:172]
	v_fma_f64 v[187:188], v[8:9], v[14:15], v[189:190]
	v_fma_f64 v[189:190], v[6:7], v[14:15], -v[16:17]
	scratch_load_b128 v[14:17], off, off offset:704
	ds_load_b128 v[6:9], v1 offset:1488
	s_waitcnt vmcnt(9) lgkmcnt(1)
	v_mul_f64 v[183:184], v[2:3], v[20:21]
	v_mul_f64 v[20:21], v[4:5], v[20:21]
	v_add_f64 v[167:168], v[167:168], v[191:192]
	v_add_f64 v[171:172], v[171:172], v[185:186]
	s_waitcnt vmcnt(8) lgkmcnt(0)
	v_mul_f64 v[185:186], v[6:7], v[24:25]
	v_mul_f64 v[24:25], v[8:9], v[24:25]
	v_fma_f64 v[183:184], v[4:5], v[18:19], v[183:184]
	v_fma_f64 v[191:192], v[2:3], v[18:19], -v[20:21]
	ds_load_b128 v[2:5], v1 offset:1504
	scratch_load_b128 v[18:21], off, off offset:720
	v_add_f64 v[167:168], v[167:168], v[189:190]
	v_add_f64 v[171:172], v[171:172], v[187:188]
	v_fma_f64 v[185:186], v[8:9], v[22:23], v[185:186]
	v_fma_f64 v[189:190], v[6:7], v[22:23], -v[24:25]
	scratch_load_b128 v[22:25], off, off offset:736
	ds_load_b128 v[6:9], v1 offset:1520
	s_waitcnt vmcnt(9) lgkmcnt(1)
	v_mul_f64 v[187:188], v[2:3], v[28:29]
	v_mul_f64 v[28:29], v[4:5], v[28:29]
	v_add_f64 v[167:168], v[167:168], v[191:192]
	v_add_f64 v[171:172], v[171:172], v[183:184]
	s_waitcnt vmcnt(8) lgkmcnt(0)
	v_mul_f64 v[183:184], v[6:7], v[32:33]
	v_mul_f64 v[32:33], v[8:9], v[32:33]
	;; [unrolled: 18-line block ×3, first 2 shown]
	v_fma_f64 v[185:186], v[4:5], v[34:35], v[185:186]
	v_fma_f64 v[191:192], v[2:3], v[34:35], -v[36:37]
	ds_load_b128 v[2:5], v1 offset:1568
	scratch_load_b128 v[34:37], off, off offset:784
	v_add_f64 v[167:168], v[167:168], v[189:190]
	v_add_f64 v[171:172], v[171:172], v[183:184]
	v_fma_f64 v[187:188], v[8:9], v[179:180], v[187:188]
	v_fma_f64 v[189:190], v[6:7], v[179:180], -v[181:182]
	ds_load_b128 v[6:9], v1 offset:1584
	scratch_load_b128 v[179:182], off, off offset:800
	s_waitcnt vmcnt(9) lgkmcnt(1)
	v_mul_f64 v[183:184], v[2:3], v[40:41]
	v_mul_f64 v[40:41], v[4:5], v[40:41]
	v_add_f64 v[167:168], v[167:168], v[191:192]
	v_add_f64 v[171:172], v[171:172], v[185:186]
	s_waitcnt vmcnt(8) lgkmcnt(0)
	v_mul_f64 v[185:186], v[6:7], v[177:178]
	v_mul_f64 v[177:178], v[8:9], v[177:178]
	v_fma_f64 v[183:184], v[4:5], v[38:39], v[183:184]
	v_fma_f64 v[191:192], v[2:3], v[38:39], -v[40:41]
	ds_load_b128 v[2:5], v1 offset:1600
	scratch_load_b128 v[38:41], off, off offset:816
	v_add_f64 v[167:168], v[167:168], v[189:190]
	v_add_f64 v[171:172], v[171:172], v[187:188]
	v_fma_f64 v[185:186], v[8:9], v[175:176], v[185:186]
	v_fma_f64 v[189:190], v[6:7], v[175:176], -v[177:178]
	ds_load_b128 v[6:9], v1 offset:1616
	s_waitcnt vmcnt(8) lgkmcnt(1)
	v_mul_f64 v[187:188], v[2:3], v[12:13]
	v_mul_f64 v[12:13], v[4:5], v[12:13]
	scratch_load_b128 v[175:178], off, off offset:832
	v_add_f64 v[167:168], v[167:168], v[191:192]
	v_add_f64 v[171:172], v[171:172], v[183:184]
	s_waitcnt vmcnt(8) lgkmcnt(0)
	v_mul_f64 v[183:184], v[6:7], v[16:17]
	v_mul_f64 v[16:17], v[8:9], v[16:17]
	v_fma_f64 v[187:188], v[4:5], v[10:11], v[187:188]
	v_fma_f64 v[191:192], v[2:3], v[10:11], -v[12:13]
	scratch_load_b128 v[10:13], off, off offset:848
	ds_load_b128 v[2:5], v1 offset:1632
	v_add_f64 v[167:168], v[167:168], v[189:190]
	v_add_f64 v[171:172], v[171:172], v[185:186]
	v_fma_f64 v[183:184], v[8:9], v[14:15], v[183:184]
	v_fma_f64 v[189:190], v[6:7], v[14:15], -v[16:17]
	ds_load_b128 v[6:9], v1 offset:1648
	s_waitcnt vmcnt(8) lgkmcnt(1)
	v_mul_f64 v[185:186], v[2:3], v[20:21]
	v_mul_f64 v[20:21], v[4:5], v[20:21]
	scratch_load_b128 v[14:17], off, off offset:864
	v_add_f64 v[167:168], v[167:168], v[191:192]
	v_add_f64 v[171:172], v[171:172], v[187:188]
	s_waitcnt vmcnt(8) lgkmcnt(0)
	v_mul_f64 v[187:188], v[6:7], v[24:25]
	v_mul_f64 v[24:25], v[8:9], v[24:25]
	v_fma_f64 v[185:186], v[4:5], v[18:19], v[185:186]
	v_fma_f64 v[191:192], v[2:3], v[18:19], -v[20:21]
	scratch_load_b128 v[18:21], off, off offset:880
	ds_load_b128 v[2:5], v1 offset:1664
	v_add_f64 v[167:168], v[167:168], v[189:190]
	v_add_f64 v[171:172], v[171:172], v[183:184]
	v_fma_f64 v[187:188], v[8:9], v[22:23], v[187:188]
	v_fma_f64 v[189:190], v[6:7], v[22:23], -v[24:25]
	ds_load_b128 v[6:9], v1 offset:1680
	s_waitcnt vmcnt(8) lgkmcnt(1)
	v_mul_f64 v[183:184], v[2:3], v[28:29]
	v_mul_f64 v[28:29], v[4:5], v[28:29]
	scratch_load_b128 v[22:25], off, off offset:896
	v_add_f64 v[167:168], v[167:168], v[191:192]
	v_add_f64 v[171:172], v[171:172], v[185:186]
	s_waitcnt vmcnt(8) lgkmcnt(0)
	v_mul_f64 v[185:186], v[6:7], v[32:33]
	v_mul_f64 v[32:33], v[8:9], v[32:33]
	v_fma_f64 v[183:184], v[4:5], v[26:27], v[183:184]
	v_fma_f64 v[26:27], v[2:3], v[26:27], -v[28:29]
	ds_load_b128 v[2:5], v1 offset:1696
	v_add_f64 v[28:29], v[167:168], v[189:190]
	v_add_f64 v[167:168], v[171:172], v[187:188]
	v_fma_f64 v[185:186], v[8:9], v[30:31], v[185:186]
	v_fma_f64 v[30:31], v[6:7], v[30:31], -v[32:33]
	ds_load_b128 v[6:9], v1 offset:1712
	s_waitcnt vmcnt(7) lgkmcnt(1)
	v_mul_f64 v[171:172], v[2:3], v[36:37]
	v_mul_f64 v[36:37], v[4:5], v[36:37]
	v_add_f64 v[26:27], v[28:29], v[26:27]
	v_add_f64 v[28:29], v[167:168], v[183:184]
	s_delay_alu instid0(VALU_DEP_4) | instskip(NEXT) | instid1(VALU_DEP_4)
	v_fma_f64 v[171:172], v[4:5], v[34:35], v[171:172]
	v_fma_f64 v[34:35], v[2:3], v[34:35], -v[36:37]
	ds_load_b128 v[2:5], v1 offset:1728
	v_add_f64 v[30:31], v[26:27], v[30:31]
	v_add_f64 v[36:37], v[28:29], v[185:186]
	scratch_load_b128 v[26:29], off, off offset:480
	s_waitcnt vmcnt(7) lgkmcnt(1)
	v_mul_f64 v[32:33], v[6:7], v[181:182]
	v_mul_f64 v[167:168], v[8:9], v[181:182]
	v_add_f64 v[30:31], v[30:31], v[34:35]
	v_add_f64 v[34:35], v[36:37], v[171:172]
	s_delay_alu instid0(VALU_DEP_4) | instskip(NEXT) | instid1(VALU_DEP_4)
	v_fma_f64 v[32:33], v[8:9], v[179:180], v[32:33]
	v_fma_f64 v[167:168], v[6:7], v[179:180], -v[167:168]
	ds_load_b128 v[6:9], v1 offset:1744
	s_waitcnt vmcnt(6) lgkmcnt(1)
	v_mul_f64 v[181:182], v[2:3], v[40:41]
	v_mul_f64 v[40:41], v[4:5], v[40:41]
	s_waitcnt vmcnt(5) lgkmcnt(0)
	v_mul_f64 v[36:37], v[6:7], v[177:178]
	v_mul_f64 v[171:172], v[8:9], v[177:178]
	v_add_f64 v[32:33], v[34:35], v[32:33]
	v_add_f64 v[30:31], v[30:31], v[167:168]
	v_fma_f64 v[177:178], v[4:5], v[38:39], v[181:182]
	v_fma_f64 v[38:39], v[2:3], v[38:39], -v[40:41]
	ds_load_b128 v[2:5], v1 offset:1760
	v_fma_f64 v[36:37], v[8:9], v[175:176], v[36:37]
	v_fma_f64 v[40:41], v[6:7], v[175:176], -v[171:172]
	ds_load_b128 v[6:9], v1 offset:1776
	s_waitcnt vmcnt(4) lgkmcnt(1)
	v_mul_f64 v[34:35], v[2:3], v[12:13]
	v_mul_f64 v[12:13], v[4:5], v[12:13]
	v_add_f64 v[32:33], v[32:33], v[177:178]
	v_add_f64 v[30:31], v[30:31], v[38:39]
	s_waitcnt vmcnt(3) lgkmcnt(0)
	v_mul_f64 v[38:39], v[6:7], v[16:17]
	v_mul_f64 v[16:17], v[8:9], v[16:17]
	v_fma_f64 v[34:35], v[4:5], v[10:11], v[34:35]
	v_fma_f64 v[10:11], v[2:3], v[10:11], -v[12:13]
	ds_load_b128 v[2:5], v1 offset:1792
	v_add_f64 v[12:13], v[30:31], v[40:41]
	v_add_f64 v[30:31], v[32:33], v[36:37]
	v_fma_f64 v[36:37], v[8:9], v[14:15], v[38:39]
	v_fma_f64 v[14:15], v[6:7], v[14:15], -v[16:17]
	ds_load_b128 v[6:9], v1 offset:1808
	s_waitcnt vmcnt(2) lgkmcnt(1)
	v_mul_f64 v[32:33], v[2:3], v[20:21]
	v_mul_f64 v[20:21], v[4:5], v[20:21]
	s_waitcnt vmcnt(1) lgkmcnt(0)
	v_mul_f64 v[16:17], v[6:7], v[24:25]
	v_mul_f64 v[24:25], v[8:9], v[24:25]
	v_add_f64 v[10:11], v[12:13], v[10:11]
	v_add_f64 v[12:13], v[30:31], v[34:35]
	v_fma_f64 v[4:5], v[4:5], v[18:19], v[32:33]
	v_fma_f64 v[1:2], v[2:3], v[18:19], -v[20:21]
	v_fma_f64 v[8:9], v[8:9], v[22:23], v[16:17]
	v_fma_f64 v[6:7], v[6:7], v[22:23], -v[24:25]
	v_add_f64 v[10:11], v[10:11], v[14:15]
	v_add_f64 v[12:13], v[12:13], v[36:37]
	s_delay_alu instid0(VALU_DEP_2) | instskip(NEXT) | instid1(VALU_DEP_2)
	v_add_f64 v[1:2], v[10:11], v[1:2]
	v_add_f64 v[3:4], v[12:13], v[4:5]
	s_delay_alu instid0(VALU_DEP_2) | instskip(NEXT) | instid1(VALU_DEP_2)
	v_add_f64 v[1:2], v[1:2], v[6:7]
	v_add_f64 v[3:4], v[3:4], v[8:9]
	s_waitcnt vmcnt(0)
	s_delay_alu instid0(VALU_DEP_2) | instskip(NEXT) | instid1(VALU_DEP_2)
	v_add_f64 v[1:2], v[26:27], -v[1:2]
	v_add_f64 v[3:4], v[28:29], -v[3:4]
	scratch_store_b128 off, v[1:4], off offset:480
	v_cmpx_lt_u32_e32 29, v156
	s_cbranch_execz .LBB56_297
; %bb.296:
	scratch_load_b128 v[1:4], v227, off
	v_mov_b32_e32 v5, 0
	s_delay_alu instid0(VALU_DEP_1)
	v_mov_b32_e32 v6, v5
	v_mov_b32_e32 v7, v5
	v_mov_b32_e32 v8, v5
	scratch_store_b128 off, v[5:8], off offset:464
	s_waitcnt vmcnt(0)
	ds_store_b128 v213, v[1:4]
.LBB56_297:
	s_or_b32 exec_lo, exec_lo, s2
	s_waitcnt lgkmcnt(0)
	s_waitcnt_vscnt null, 0x0
	s_barrier
	buffer_gl0_inv
	s_clause 0x7
	scratch_load_b128 v[2:5], off, off offset:480
	scratch_load_b128 v[6:9], off, off offset:496
	;; [unrolled: 1-line block ×8, first 2 shown]
	v_mov_b32_e32 v1, 0
	s_clause 0x1
	scratch_load_b128 v[34:37], off, off offset:608
	scratch_load_b128 v[179:182], off, off offset:624
	s_mov_b32 s2, exec_lo
	ds_load_b128 v[38:41], v1 offset:1392
	ds_load_b128 v[175:178], v1 offset:1408
	s_waitcnt vmcnt(9) lgkmcnt(1)
	v_mul_f64 v[167:168], v[40:41], v[4:5]
	v_mul_f64 v[4:5], v[38:39], v[4:5]
	s_waitcnt vmcnt(8) lgkmcnt(0)
	v_mul_f64 v[171:172], v[175:176], v[8:9]
	v_mul_f64 v[8:9], v[177:178], v[8:9]
	s_delay_alu instid0(VALU_DEP_4) | instskip(NEXT) | instid1(VALU_DEP_4)
	v_fma_f64 v[167:168], v[38:39], v[2:3], -v[167:168]
	v_fma_f64 v[183:184], v[40:41], v[2:3], v[4:5]
	ds_load_b128 v[2:5], v1 offset:1424
	scratch_load_b128 v[38:41], off, off offset:640
	v_fma_f64 v[171:172], v[177:178], v[6:7], v[171:172]
	v_fma_f64 v[187:188], v[175:176], v[6:7], -v[8:9]
	scratch_load_b128 v[175:178], off, off offset:656
	ds_load_b128 v[6:9], v1 offset:1440
	s_waitcnt vmcnt(9) lgkmcnt(1)
	v_mul_f64 v[185:186], v[2:3], v[12:13]
	v_mul_f64 v[12:13], v[4:5], v[12:13]
	s_waitcnt vmcnt(8) lgkmcnt(0)
	v_mul_f64 v[189:190], v[6:7], v[16:17]
	v_mul_f64 v[16:17], v[8:9], v[16:17]
	v_add_f64 v[167:168], v[167:168], 0
	v_add_f64 v[183:184], v[183:184], 0
	v_fma_f64 v[185:186], v[4:5], v[10:11], v[185:186]
	v_fma_f64 v[191:192], v[2:3], v[10:11], -v[12:13]
	ds_load_b128 v[2:5], v1 offset:1456
	scratch_load_b128 v[10:13], off, off offset:672
	v_add_f64 v[167:168], v[167:168], v[187:188]
	v_add_f64 v[171:172], v[183:184], v[171:172]
	v_fma_f64 v[187:188], v[8:9], v[14:15], v[189:190]
	v_fma_f64 v[189:190], v[6:7], v[14:15], -v[16:17]
	scratch_load_b128 v[14:17], off, off offset:688
	ds_load_b128 v[6:9], v1 offset:1472
	s_waitcnt vmcnt(9) lgkmcnt(1)
	v_mul_f64 v[183:184], v[2:3], v[20:21]
	v_mul_f64 v[20:21], v[4:5], v[20:21]
	v_add_f64 v[167:168], v[167:168], v[191:192]
	v_add_f64 v[171:172], v[171:172], v[185:186]
	s_waitcnt vmcnt(8) lgkmcnt(0)
	v_mul_f64 v[185:186], v[6:7], v[24:25]
	v_mul_f64 v[24:25], v[8:9], v[24:25]
	v_fma_f64 v[183:184], v[4:5], v[18:19], v[183:184]
	v_fma_f64 v[191:192], v[2:3], v[18:19], -v[20:21]
	ds_load_b128 v[2:5], v1 offset:1488
	scratch_load_b128 v[18:21], off, off offset:704
	v_add_f64 v[167:168], v[167:168], v[189:190]
	v_add_f64 v[171:172], v[171:172], v[187:188]
	v_fma_f64 v[185:186], v[8:9], v[22:23], v[185:186]
	v_fma_f64 v[189:190], v[6:7], v[22:23], -v[24:25]
	scratch_load_b128 v[22:25], off, off offset:720
	ds_load_b128 v[6:9], v1 offset:1504
	s_waitcnt vmcnt(9) lgkmcnt(1)
	v_mul_f64 v[187:188], v[2:3], v[28:29]
	v_mul_f64 v[28:29], v[4:5], v[28:29]
	v_add_f64 v[167:168], v[167:168], v[191:192]
	v_add_f64 v[171:172], v[171:172], v[183:184]
	s_waitcnt vmcnt(8) lgkmcnt(0)
	v_mul_f64 v[183:184], v[6:7], v[32:33]
	v_mul_f64 v[32:33], v[8:9], v[32:33]
	;; [unrolled: 18-line block ×4, first 2 shown]
	v_fma_f64 v[183:184], v[4:5], v[38:39], v[183:184]
	v_fma_f64 v[191:192], v[2:3], v[38:39], -v[40:41]
	ds_load_b128 v[2:5], v1 offset:1584
	scratch_load_b128 v[38:41], off, off offset:800
	v_add_f64 v[167:168], v[167:168], v[189:190]
	v_add_f64 v[171:172], v[171:172], v[187:188]
	v_fma_f64 v[185:186], v[8:9], v[175:176], v[185:186]
	v_fma_f64 v[189:190], v[6:7], v[175:176], -v[177:178]
	ds_load_b128 v[6:9], v1 offset:1600
	s_waitcnt vmcnt(8) lgkmcnt(1)
	v_mul_f64 v[187:188], v[2:3], v[12:13]
	v_mul_f64 v[12:13], v[4:5], v[12:13]
	scratch_load_b128 v[175:178], off, off offset:816
	v_add_f64 v[167:168], v[167:168], v[191:192]
	v_add_f64 v[171:172], v[171:172], v[183:184]
	s_waitcnt vmcnt(8) lgkmcnt(0)
	v_mul_f64 v[183:184], v[6:7], v[16:17]
	v_mul_f64 v[16:17], v[8:9], v[16:17]
	v_fma_f64 v[187:188], v[4:5], v[10:11], v[187:188]
	v_fma_f64 v[191:192], v[2:3], v[10:11], -v[12:13]
	scratch_load_b128 v[10:13], off, off offset:832
	ds_load_b128 v[2:5], v1 offset:1616
	v_add_f64 v[167:168], v[167:168], v[189:190]
	v_add_f64 v[171:172], v[171:172], v[185:186]
	v_fma_f64 v[183:184], v[8:9], v[14:15], v[183:184]
	v_fma_f64 v[189:190], v[6:7], v[14:15], -v[16:17]
	ds_load_b128 v[6:9], v1 offset:1632
	s_waitcnt vmcnt(8) lgkmcnt(1)
	v_mul_f64 v[185:186], v[2:3], v[20:21]
	v_mul_f64 v[20:21], v[4:5], v[20:21]
	scratch_load_b128 v[14:17], off, off offset:848
	v_add_f64 v[167:168], v[167:168], v[191:192]
	v_add_f64 v[171:172], v[171:172], v[187:188]
	s_waitcnt vmcnt(8) lgkmcnt(0)
	v_mul_f64 v[187:188], v[6:7], v[24:25]
	v_mul_f64 v[24:25], v[8:9], v[24:25]
	v_fma_f64 v[185:186], v[4:5], v[18:19], v[185:186]
	v_fma_f64 v[191:192], v[2:3], v[18:19], -v[20:21]
	scratch_load_b128 v[18:21], off, off offset:864
	ds_load_b128 v[2:5], v1 offset:1648
	v_add_f64 v[167:168], v[167:168], v[189:190]
	v_add_f64 v[171:172], v[171:172], v[183:184]
	v_fma_f64 v[187:188], v[8:9], v[22:23], v[187:188]
	v_fma_f64 v[189:190], v[6:7], v[22:23], -v[24:25]
	ds_load_b128 v[6:9], v1 offset:1664
	s_waitcnt vmcnt(8) lgkmcnt(1)
	v_mul_f64 v[183:184], v[2:3], v[28:29]
	v_mul_f64 v[28:29], v[4:5], v[28:29]
	scratch_load_b128 v[22:25], off, off offset:880
	v_add_f64 v[167:168], v[167:168], v[191:192]
	v_add_f64 v[171:172], v[171:172], v[185:186]
	s_waitcnt vmcnt(8) lgkmcnt(0)
	v_mul_f64 v[185:186], v[6:7], v[32:33]
	v_mul_f64 v[32:33], v[8:9], v[32:33]
	v_fma_f64 v[183:184], v[4:5], v[26:27], v[183:184]
	v_fma_f64 v[191:192], v[2:3], v[26:27], -v[28:29]
	scratch_load_b128 v[26:29], off, off offset:896
	ds_load_b128 v[2:5], v1 offset:1680
	v_add_f64 v[167:168], v[167:168], v[189:190]
	v_add_f64 v[171:172], v[171:172], v[187:188]
	v_fma_f64 v[185:186], v[8:9], v[30:31], v[185:186]
	v_fma_f64 v[30:31], v[6:7], v[30:31], -v[32:33]
	ds_load_b128 v[6:9], v1 offset:1696
	s_waitcnt vmcnt(8) lgkmcnt(1)
	v_mul_f64 v[187:188], v[2:3], v[36:37]
	v_mul_f64 v[36:37], v[4:5], v[36:37]
	v_add_f64 v[32:33], v[167:168], v[191:192]
	v_add_f64 v[167:168], v[171:172], v[183:184]
	s_waitcnt vmcnt(7) lgkmcnt(0)
	v_mul_f64 v[171:172], v[6:7], v[181:182]
	v_mul_f64 v[181:182], v[8:9], v[181:182]
	v_fma_f64 v[183:184], v[4:5], v[34:35], v[187:188]
	v_fma_f64 v[34:35], v[2:3], v[34:35], -v[36:37]
	ds_load_b128 v[2:5], v1 offset:1712
	v_add_f64 v[30:31], v[32:33], v[30:31]
	v_add_f64 v[32:33], v[167:168], v[185:186]
	v_fma_f64 v[167:168], v[8:9], v[179:180], v[171:172]
	v_fma_f64 v[171:172], v[6:7], v[179:180], -v[181:182]
	ds_load_b128 v[6:9], v1 offset:1728
	s_waitcnt vmcnt(5) lgkmcnt(0)
	v_mul_f64 v[181:182], v[6:7], v[177:178]
	v_mul_f64 v[177:178], v[8:9], v[177:178]
	v_add_f64 v[34:35], v[30:31], v[34:35]
	v_add_f64 v[179:180], v[32:33], v[183:184]
	scratch_load_b128 v[30:33], off, off offset:464
	v_mul_f64 v[36:37], v[2:3], v[40:41]
	v_mul_f64 v[40:41], v[4:5], v[40:41]
	v_add_f64 v[34:35], v[34:35], v[171:172]
	v_fma_f64 v[171:172], v[8:9], v[175:176], v[181:182]
	v_fma_f64 v[175:176], v[6:7], v[175:176], -v[177:178]
	v_fma_f64 v[36:37], v[4:5], v[38:39], v[36:37]
	v_fma_f64 v[38:39], v[2:3], v[38:39], -v[40:41]
	v_add_f64 v[40:41], v[179:180], v[167:168]
	ds_load_b128 v[2:5], v1 offset:1744
	ds_load_b128 v[6:9], v1 offset:1760
	s_waitcnt vmcnt(5) lgkmcnt(1)
	v_mul_f64 v[167:168], v[2:3], v[12:13]
	v_mul_f64 v[12:13], v[4:5], v[12:13]
	v_add_f64 v[34:35], v[34:35], v[38:39]
	v_add_f64 v[36:37], v[40:41], v[36:37]
	s_waitcnt vmcnt(4) lgkmcnt(0)
	v_mul_f64 v[38:39], v[6:7], v[16:17]
	v_mul_f64 v[16:17], v[8:9], v[16:17]
	v_fma_f64 v[40:41], v[4:5], v[10:11], v[167:168]
	v_fma_f64 v[10:11], v[2:3], v[10:11], -v[12:13]
	ds_load_b128 v[2:5], v1 offset:1776
	v_add_f64 v[12:13], v[34:35], v[175:176]
	v_add_f64 v[34:35], v[36:37], v[171:172]
	v_fma_f64 v[38:39], v[8:9], v[14:15], v[38:39]
	v_fma_f64 v[14:15], v[6:7], v[14:15], -v[16:17]
	ds_load_b128 v[6:9], v1 offset:1792
	s_waitcnt vmcnt(3) lgkmcnt(1)
	v_mul_f64 v[36:37], v[2:3], v[20:21]
	v_mul_f64 v[20:21], v[4:5], v[20:21]
	s_waitcnt vmcnt(2) lgkmcnt(0)
	v_mul_f64 v[16:17], v[6:7], v[24:25]
	v_mul_f64 v[24:25], v[8:9], v[24:25]
	v_add_f64 v[10:11], v[12:13], v[10:11]
	v_add_f64 v[12:13], v[34:35], v[40:41]
	v_fma_f64 v[34:35], v[4:5], v[18:19], v[36:37]
	v_fma_f64 v[18:19], v[2:3], v[18:19], -v[20:21]
	ds_load_b128 v[2:5], v1 offset:1808
	v_fma_f64 v[8:9], v[8:9], v[22:23], v[16:17]
	v_fma_f64 v[6:7], v[6:7], v[22:23], -v[24:25]
	s_waitcnt vmcnt(1) lgkmcnt(0)
	v_mul_f64 v[20:21], v[4:5], v[28:29]
	v_add_f64 v[10:11], v[10:11], v[14:15]
	v_add_f64 v[12:13], v[12:13], v[38:39]
	v_mul_f64 v[14:15], v[2:3], v[28:29]
	s_delay_alu instid0(VALU_DEP_4) | instskip(NEXT) | instid1(VALU_DEP_4)
	v_fma_f64 v[2:3], v[2:3], v[26:27], -v[20:21]
	v_add_f64 v[10:11], v[10:11], v[18:19]
	s_delay_alu instid0(VALU_DEP_4) | instskip(NEXT) | instid1(VALU_DEP_4)
	v_add_f64 v[12:13], v[12:13], v[34:35]
	v_fma_f64 v[4:5], v[4:5], v[26:27], v[14:15]
	s_delay_alu instid0(VALU_DEP_3) | instskip(NEXT) | instid1(VALU_DEP_3)
	v_add_f64 v[6:7], v[10:11], v[6:7]
	v_add_f64 v[8:9], v[12:13], v[8:9]
	s_delay_alu instid0(VALU_DEP_2) | instskip(NEXT) | instid1(VALU_DEP_2)
	v_add_f64 v[2:3], v[6:7], v[2:3]
	v_add_f64 v[4:5], v[8:9], v[4:5]
	s_waitcnt vmcnt(0)
	s_delay_alu instid0(VALU_DEP_2) | instskip(NEXT) | instid1(VALU_DEP_2)
	v_add_f64 v[2:3], v[30:31], -v[2:3]
	v_add_f64 v[4:5], v[32:33], -v[4:5]
	scratch_store_b128 off, v[2:5], off offset:464
	v_cmpx_lt_u32_e32 28, v156
	s_cbranch_execz .LBB56_299
; %bb.298:
	scratch_load_b128 v[5:8], v228, off
	v_mov_b32_e32 v2, v1
	v_mov_b32_e32 v3, v1
	;; [unrolled: 1-line block ×3, first 2 shown]
	scratch_store_b128 off, v[1:4], off offset:448
	s_waitcnt vmcnt(0)
	ds_store_b128 v213, v[5:8]
.LBB56_299:
	s_or_b32 exec_lo, exec_lo, s2
	s_waitcnt lgkmcnt(0)
	s_waitcnt_vscnt null, 0x0
	s_barrier
	buffer_gl0_inv
	s_clause 0x7
	scratch_load_b128 v[2:5], off, off offset:464
	scratch_load_b128 v[6:9], off, off offset:480
	;; [unrolled: 1-line block ×8, first 2 shown]
	ds_load_b128 v[38:41], v1 offset:1376
	ds_load_b128 v[175:178], v1 offset:1392
	s_clause 0x1
	scratch_load_b128 v[34:37], off, off offset:592
	scratch_load_b128 v[179:182], off, off offset:608
	s_mov_b32 s2, exec_lo
	s_waitcnt vmcnt(9) lgkmcnt(1)
	v_mul_f64 v[167:168], v[40:41], v[4:5]
	v_mul_f64 v[4:5], v[38:39], v[4:5]
	s_waitcnt vmcnt(8) lgkmcnt(0)
	v_mul_f64 v[171:172], v[175:176], v[8:9]
	v_mul_f64 v[8:9], v[177:178], v[8:9]
	s_delay_alu instid0(VALU_DEP_4) | instskip(NEXT) | instid1(VALU_DEP_4)
	v_fma_f64 v[167:168], v[38:39], v[2:3], -v[167:168]
	v_fma_f64 v[183:184], v[40:41], v[2:3], v[4:5]
	ds_load_b128 v[2:5], v1 offset:1408
	scratch_load_b128 v[38:41], off, off offset:624
	v_fma_f64 v[171:172], v[177:178], v[6:7], v[171:172]
	v_fma_f64 v[187:188], v[175:176], v[6:7], -v[8:9]
	scratch_load_b128 v[175:178], off, off offset:640
	ds_load_b128 v[6:9], v1 offset:1424
	s_waitcnt vmcnt(9) lgkmcnt(1)
	v_mul_f64 v[185:186], v[2:3], v[12:13]
	v_mul_f64 v[12:13], v[4:5], v[12:13]
	s_waitcnt vmcnt(8) lgkmcnt(0)
	v_mul_f64 v[189:190], v[6:7], v[16:17]
	v_mul_f64 v[16:17], v[8:9], v[16:17]
	v_add_f64 v[167:168], v[167:168], 0
	v_add_f64 v[183:184], v[183:184], 0
	v_fma_f64 v[185:186], v[4:5], v[10:11], v[185:186]
	v_fma_f64 v[191:192], v[2:3], v[10:11], -v[12:13]
	ds_load_b128 v[2:5], v1 offset:1440
	scratch_load_b128 v[10:13], off, off offset:656
	v_add_f64 v[167:168], v[167:168], v[187:188]
	v_add_f64 v[171:172], v[183:184], v[171:172]
	v_fma_f64 v[187:188], v[8:9], v[14:15], v[189:190]
	v_fma_f64 v[189:190], v[6:7], v[14:15], -v[16:17]
	scratch_load_b128 v[14:17], off, off offset:672
	ds_load_b128 v[6:9], v1 offset:1456
	s_waitcnt vmcnt(9) lgkmcnt(1)
	v_mul_f64 v[183:184], v[2:3], v[20:21]
	v_mul_f64 v[20:21], v[4:5], v[20:21]
	v_add_f64 v[167:168], v[167:168], v[191:192]
	v_add_f64 v[171:172], v[171:172], v[185:186]
	s_waitcnt vmcnt(8) lgkmcnt(0)
	v_mul_f64 v[185:186], v[6:7], v[24:25]
	v_mul_f64 v[24:25], v[8:9], v[24:25]
	v_fma_f64 v[183:184], v[4:5], v[18:19], v[183:184]
	v_fma_f64 v[191:192], v[2:3], v[18:19], -v[20:21]
	ds_load_b128 v[2:5], v1 offset:1472
	scratch_load_b128 v[18:21], off, off offset:688
	v_add_f64 v[167:168], v[167:168], v[189:190]
	v_add_f64 v[171:172], v[171:172], v[187:188]
	v_fma_f64 v[185:186], v[8:9], v[22:23], v[185:186]
	v_fma_f64 v[189:190], v[6:7], v[22:23], -v[24:25]
	scratch_load_b128 v[22:25], off, off offset:704
	ds_load_b128 v[6:9], v1 offset:1488
	s_waitcnt vmcnt(9) lgkmcnt(1)
	v_mul_f64 v[187:188], v[2:3], v[28:29]
	v_mul_f64 v[28:29], v[4:5], v[28:29]
	v_add_f64 v[167:168], v[167:168], v[191:192]
	v_add_f64 v[171:172], v[171:172], v[183:184]
	s_waitcnt vmcnt(8) lgkmcnt(0)
	v_mul_f64 v[183:184], v[6:7], v[32:33]
	v_mul_f64 v[32:33], v[8:9], v[32:33]
	;; [unrolled: 18-line block ×4, first 2 shown]
	v_fma_f64 v[183:184], v[4:5], v[38:39], v[183:184]
	v_fma_f64 v[191:192], v[2:3], v[38:39], -v[40:41]
	ds_load_b128 v[2:5], v1 offset:1568
	scratch_load_b128 v[38:41], off, off offset:784
	v_add_f64 v[167:168], v[167:168], v[189:190]
	v_add_f64 v[171:172], v[171:172], v[187:188]
	v_fma_f64 v[185:186], v[8:9], v[175:176], v[185:186]
	v_fma_f64 v[189:190], v[6:7], v[175:176], -v[177:178]
	ds_load_b128 v[6:9], v1 offset:1584
	s_waitcnt vmcnt(8) lgkmcnt(1)
	v_mul_f64 v[187:188], v[2:3], v[12:13]
	v_mul_f64 v[12:13], v[4:5], v[12:13]
	scratch_load_b128 v[175:178], off, off offset:800
	v_add_f64 v[167:168], v[167:168], v[191:192]
	v_add_f64 v[171:172], v[171:172], v[183:184]
	s_waitcnt vmcnt(8) lgkmcnt(0)
	v_mul_f64 v[183:184], v[6:7], v[16:17]
	v_mul_f64 v[16:17], v[8:9], v[16:17]
	v_fma_f64 v[187:188], v[4:5], v[10:11], v[187:188]
	v_fma_f64 v[191:192], v[2:3], v[10:11], -v[12:13]
	ds_load_b128 v[2:5], v1 offset:1600
	scratch_load_b128 v[10:13], off, off offset:816
	v_add_f64 v[167:168], v[167:168], v[189:190]
	v_add_f64 v[171:172], v[171:172], v[185:186]
	v_fma_f64 v[183:184], v[8:9], v[14:15], v[183:184]
	v_fma_f64 v[189:190], v[6:7], v[14:15], -v[16:17]
	ds_load_b128 v[6:9], v1 offset:1616
	s_waitcnt vmcnt(8) lgkmcnt(1)
	v_mul_f64 v[185:186], v[2:3], v[20:21]
	v_mul_f64 v[20:21], v[4:5], v[20:21]
	scratch_load_b128 v[14:17], off, off offset:832
	v_add_f64 v[167:168], v[167:168], v[191:192]
	v_add_f64 v[171:172], v[171:172], v[187:188]
	s_waitcnt vmcnt(8) lgkmcnt(0)
	v_mul_f64 v[187:188], v[6:7], v[24:25]
	v_mul_f64 v[24:25], v[8:9], v[24:25]
	v_fma_f64 v[185:186], v[4:5], v[18:19], v[185:186]
	v_fma_f64 v[191:192], v[2:3], v[18:19], -v[20:21]
	scratch_load_b128 v[18:21], off, off offset:848
	ds_load_b128 v[2:5], v1 offset:1632
	v_add_f64 v[167:168], v[167:168], v[189:190]
	v_add_f64 v[171:172], v[171:172], v[183:184]
	v_fma_f64 v[187:188], v[8:9], v[22:23], v[187:188]
	v_fma_f64 v[189:190], v[6:7], v[22:23], -v[24:25]
	ds_load_b128 v[6:9], v1 offset:1648
	s_waitcnt vmcnt(8) lgkmcnt(1)
	v_mul_f64 v[183:184], v[2:3], v[28:29]
	v_mul_f64 v[28:29], v[4:5], v[28:29]
	scratch_load_b128 v[22:25], off, off offset:864
	v_add_f64 v[167:168], v[167:168], v[191:192]
	v_add_f64 v[171:172], v[171:172], v[185:186]
	s_waitcnt vmcnt(8) lgkmcnt(0)
	v_mul_f64 v[185:186], v[6:7], v[32:33]
	v_mul_f64 v[32:33], v[8:9], v[32:33]
	v_fma_f64 v[183:184], v[4:5], v[26:27], v[183:184]
	v_fma_f64 v[191:192], v[2:3], v[26:27], -v[28:29]
	scratch_load_b128 v[26:29], off, off offset:880
	ds_load_b128 v[2:5], v1 offset:1664
	v_add_f64 v[167:168], v[167:168], v[189:190]
	v_add_f64 v[171:172], v[171:172], v[187:188]
	v_fma_f64 v[185:186], v[8:9], v[30:31], v[185:186]
	v_fma_f64 v[189:190], v[6:7], v[30:31], -v[32:33]
	ds_load_b128 v[6:9], v1 offset:1680
	s_waitcnt vmcnt(8) lgkmcnt(1)
	v_mul_f64 v[187:188], v[2:3], v[36:37]
	v_mul_f64 v[36:37], v[4:5], v[36:37]
	scratch_load_b128 v[30:33], off, off offset:896
	v_add_f64 v[167:168], v[167:168], v[191:192]
	v_add_f64 v[171:172], v[171:172], v[183:184]
	s_waitcnt vmcnt(8) lgkmcnt(0)
	v_mul_f64 v[183:184], v[6:7], v[181:182]
	v_mul_f64 v[181:182], v[8:9], v[181:182]
	v_fma_f64 v[187:188], v[4:5], v[34:35], v[187:188]
	v_fma_f64 v[34:35], v[2:3], v[34:35], -v[36:37]
	ds_load_b128 v[2:5], v1 offset:1696
	v_add_f64 v[36:37], v[167:168], v[189:190]
	v_add_f64 v[167:168], v[171:172], v[185:186]
	v_fma_f64 v[183:184], v[8:9], v[179:180], v[183:184]
	v_fma_f64 v[179:180], v[6:7], v[179:180], -v[181:182]
	ds_load_b128 v[6:9], v1 offset:1712
	s_waitcnt vmcnt(7) lgkmcnt(1)
	v_mul_f64 v[171:172], v[2:3], v[40:41]
	v_mul_f64 v[40:41], v[4:5], v[40:41]
	v_add_f64 v[34:35], v[36:37], v[34:35]
	v_add_f64 v[36:37], v[167:168], v[187:188]
	s_delay_alu instid0(VALU_DEP_4) | instskip(NEXT) | instid1(VALU_DEP_4)
	v_fma_f64 v[171:172], v[4:5], v[38:39], v[171:172]
	v_fma_f64 v[38:39], v[2:3], v[38:39], -v[40:41]
	ds_load_b128 v[2:5], v1 offset:1728
	v_add_f64 v[40:41], v[34:35], v[179:180]
	v_add_f64 v[179:180], v[36:37], v[183:184]
	scratch_load_b128 v[34:37], off, off offset:448
	s_waitcnt vmcnt(7) lgkmcnt(1)
	v_mul_f64 v[167:168], v[6:7], v[177:178]
	v_mul_f64 v[177:178], v[8:9], v[177:178]
	v_add_f64 v[38:39], v[40:41], v[38:39]
	v_add_f64 v[40:41], v[179:180], v[171:172]
	s_delay_alu instid0(VALU_DEP_4) | instskip(NEXT) | instid1(VALU_DEP_4)
	v_fma_f64 v[167:168], v[8:9], v[175:176], v[167:168]
	v_fma_f64 v[175:176], v[6:7], v[175:176], -v[177:178]
	ds_load_b128 v[6:9], v1 offset:1744
	s_waitcnt vmcnt(6) lgkmcnt(1)
	v_mul_f64 v[181:182], v[2:3], v[12:13]
	v_mul_f64 v[12:13], v[4:5], v[12:13]
	s_waitcnt vmcnt(5) lgkmcnt(0)
	v_mul_f64 v[171:172], v[6:7], v[16:17]
	v_mul_f64 v[16:17], v[8:9], v[16:17]
	s_delay_alu instid0(VALU_DEP_4) | instskip(NEXT) | instid1(VALU_DEP_4)
	v_fma_f64 v[177:178], v[4:5], v[10:11], v[181:182]
	v_fma_f64 v[10:11], v[2:3], v[10:11], -v[12:13]
	v_add_f64 v[12:13], v[38:39], v[175:176]
	v_add_f64 v[38:39], v[40:41], v[167:168]
	ds_load_b128 v[2:5], v1 offset:1760
	v_fma_f64 v[167:168], v[8:9], v[14:15], v[171:172]
	v_fma_f64 v[14:15], v[6:7], v[14:15], -v[16:17]
	ds_load_b128 v[6:9], v1 offset:1776
	s_waitcnt vmcnt(4) lgkmcnt(1)
	v_mul_f64 v[40:41], v[2:3], v[20:21]
	v_mul_f64 v[20:21], v[4:5], v[20:21]
	v_add_f64 v[10:11], v[12:13], v[10:11]
	v_add_f64 v[12:13], v[38:39], v[177:178]
	s_waitcnt vmcnt(3) lgkmcnt(0)
	v_mul_f64 v[16:17], v[6:7], v[24:25]
	v_mul_f64 v[24:25], v[8:9], v[24:25]
	v_fma_f64 v[38:39], v[4:5], v[18:19], v[40:41]
	v_fma_f64 v[18:19], v[2:3], v[18:19], -v[20:21]
	ds_load_b128 v[2:5], v1 offset:1792
	v_add_f64 v[10:11], v[10:11], v[14:15]
	v_add_f64 v[12:13], v[12:13], v[167:168]
	v_fma_f64 v[16:17], v[8:9], v[22:23], v[16:17]
	v_fma_f64 v[22:23], v[6:7], v[22:23], -v[24:25]
	ds_load_b128 v[6:9], v1 offset:1808
	s_waitcnt vmcnt(2) lgkmcnt(1)
	v_mul_f64 v[14:15], v[2:3], v[28:29]
	v_mul_f64 v[20:21], v[4:5], v[28:29]
	s_waitcnt vmcnt(1) lgkmcnt(0)
	v_mul_f64 v[24:25], v[8:9], v[32:33]
	v_add_f64 v[10:11], v[10:11], v[18:19]
	v_add_f64 v[12:13], v[12:13], v[38:39]
	v_mul_f64 v[18:19], v[6:7], v[32:33]
	v_fma_f64 v[4:5], v[4:5], v[26:27], v[14:15]
	v_fma_f64 v[1:2], v[2:3], v[26:27], -v[20:21]
	v_fma_f64 v[6:7], v[6:7], v[30:31], -v[24:25]
	v_add_f64 v[10:11], v[10:11], v[22:23]
	v_add_f64 v[12:13], v[12:13], v[16:17]
	v_fma_f64 v[8:9], v[8:9], v[30:31], v[18:19]
	s_delay_alu instid0(VALU_DEP_3) | instskip(NEXT) | instid1(VALU_DEP_3)
	v_add_f64 v[1:2], v[10:11], v[1:2]
	v_add_f64 v[3:4], v[12:13], v[4:5]
	s_delay_alu instid0(VALU_DEP_2) | instskip(NEXT) | instid1(VALU_DEP_2)
	v_add_f64 v[1:2], v[1:2], v[6:7]
	v_add_f64 v[3:4], v[3:4], v[8:9]
	s_waitcnt vmcnt(0)
	s_delay_alu instid0(VALU_DEP_2) | instskip(NEXT) | instid1(VALU_DEP_2)
	v_add_f64 v[1:2], v[34:35], -v[1:2]
	v_add_f64 v[3:4], v[36:37], -v[3:4]
	scratch_store_b128 off, v[1:4], off offset:448
	v_cmpx_lt_u32_e32 27, v156
	s_cbranch_execz .LBB56_301
; %bb.300:
	scratch_load_b128 v[1:4], v229, off
	v_mov_b32_e32 v5, 0
	s_delay_alu instid0(VALU_DEP_1)
	v_mov_b32_e32 v6, v5
	v_mov_b32_e32 v7, v5
	;; [unrolled: 1-line block ×3, first 2 shown]
	scratch_store_b128 off, v[5:8], off offset:432
	s_waitcnt vmcnt(0)
	ds_store_b128 v213, v[1:4]
.LBB56_301:
	s_or_b32 exec_lo, exec_lo, s2
	s_waitcnt lgkmcnt(0)
	s_waitcnt_vscnt null, 0x0
	s_barrier
	buffer_gl0_inv
	s_clause 0x7
	scratch_load_b128 v[2:5], off, off offset:448
	scratch_load_b128 v[6:9], off, off offset:464
	;; [unrolled: 1-line block ×8, first 2 shown]
	v_mov_b32_e32 v1, 0
	s_clause 0x1
	scratch_load_b128 v[34:37], off, off offset:576
	scratch_load_b128 v[179:182], off, off offset:592
	s_mov_b32 s2, exec_lo
	ds_load_b128 v[38:41], v1 offset:1360
	ds_load_b128 v[175:178], v1 offset:1376
	s_waitcnt vmcnt(9) lgkmcnt(1)
	v_mul_f64 v[167:168], v[40:41], v[4:5]
	v_mul_f64 v[4:5], v[38:39], v[4:5]
	s_waitcnt vmcnt(8) lgkmcnt(0)
	v_mul_f64 v[171:172], v[175:176], v[8:9]
	v_mul_f64 v[8:9], v[177:178], v[8:9]
	s_delay_alu instid0(VALU_DEP_4) | instskip(NEXT) | instid1(VALU_DEP_4)
	v_fma_f64 v[167:168], v[38:39], v[2:3], -v[167:168]
	v_fma_f64 v[183:184], v[40:41], v[2:3], v[4:5]
	ds_load_b128 v[2:5], v1 offset:1392
	scratch_load_b128 v[38:41], off, off offset:608
	v_fma_f64 v[171:172], v[177:178], v[6:7], v[171:172]
	v_fma_f64 v[187:188], v[175:176], v[6:7], -v[8:9]
	scratch_load_b128 v[175:178], off, off offset:624
	ds_load_b128 v[6:9], v1 offset:1408
	s_waitcnt vmcnt(9) lgkmcnt(1)
	v_mul_f64 v[185:186], v[2:3], v[12:13]
	v_mul_f64 v[12:13], v[4:5], v[12:13]
	s_waitcnt vmcnt(8) lgkmcnt(0)
	v_mul_f64 v[189:190], v[6:7], v[16:17]
	v_mul_f64 v[16:17], v[8:9], v[16:17]
	v_add_f64 v[167:168], v[167:168], 0
	v_add_f64 v[183:184], v[183:184], 0
	v_fma_f64 v[185:186], v[4:5], v[10:11], v[185:186]
	v_fma_f64 v[191:192], v[2:3], v[10:11], -v[12:13]
	ds_load_b128 v[2:5], v1 offset:1424
	scratch_load_b128 v[10:13], off, off offset:640
	v_add_f64 v[167:168], v[167:168], v[187:188]
	v_add_f64 v[171:172], v[183:184], v[171:172]
	v_fma_f64 v[187:188], v[8:9], v[14:15], v[189:190]
	v_fma_f64 v[189:190], v[6:7], v[14:15], -v[16:17]
	scratch_load_b128 v[14:17], off, off offset:656
	ds_load_b128 v[6:9], v1 offset:1440
	s_waitcnt vmcnt(9) lgkmcnt(1)
	v_mul_f64 v[183:184], v[2:3], v[20:21]
	v_mul_f64 v[20:21], v[4:5], v[20:21]
	v_add_f64 v[167:168], v[167:168], v[191:192]
	v_add_f64 v[171:172], v[171:172], v[185:186]
	s_waitcnt vmcnt(8) lgkmcnt(0)
	v_mul_f64 v[185:186], v[6:7], v[24:25]
	v_mul_f64 v[24:25], v[8:9], v[24:25]
	v_fma_f64 v[183:184], v[4:5], v[18:19], v[183:184]
	v_fma_f64 v[191:192], v[2:3], v[18:19], -v[20:21]
	ds_load_b128 v[2:5], v1 offset:1456
	scratch_load_b128 v[18:21], off, off offset:672
	v_add_f64 v[167:168], v[167:168], v[189:190]
	v_add_f64 v[171:172], v[171:172], v[187:188]
	v_fma_f64 v[185:186], v[8:9], v[22:23], v[185:186]
	v_fma_f64 v[189:190], v[6:7], v[22:23], -v[24:25]
	scratch_load_b128 v[22:25], off, off offset:688
	ds_load_b128 v[6:9], v1 offset:1472
	s_waitcnt vmcnt(9) lgkmcnt(1)
	v_mul_f64 v[187:188], v[2:3], v[28:29]
	v_mul_f64 v[28:29], v[4:5], v[28:29]
	v_add_f64 v[167:168], v[167:168], v[191:192]
	v_add_f64 v[171:172], v[171:172], v[183:184]
	s_waitcnt vmcnt(8) lgkmcnt(0)
	v_mul_f64 v[183:184], v[6:7], v[32:33]
	v_mul_f64 v[32:33], v[8:9], v[32:33]
	;; [unrolled: 18-line block ×5, first 2 shown]
	v_fma_f64 v[187:188], v[4:5], v[10:11], v[187:188]
	v_fma_f64 v[191:192], v[2:3], v[10:11], -v[12:13]
	ds_load_b128 v[2:5], v1 offset:1584
	scratch_load_b128 v[10:13], off, off offset:800
	v_add_f64 v[167:168], v[167:168], v[189:190]
	v_add_f64 v[171:172], v[171:172], v[185:186]
	v_fma_f64 v[183:184], v[8:9], v[14:15], v[183:184]
	v_fma_f64 v[189:190], v[6:7], v[14:15], -v[16:17]
	ds_load_b128 v[6:9], v1 offset:1600
	s_waitcnt vmcnt(8) lgkmcnt(1)
	v_mul_f64 v[185:186], v[2:3], v[20:21]
	v_mul_f64 v[20:21], v[4:5], v[20:21]
	scratch_load_b128 v[14:17], off, off offset:816
	v_add_f64 v[167:168], v[167:168], v[191:192]
	v_add_f64 v[171:172], v[171:172], v[187:188]
	s_waitcnt vmcnt(8) lgkmcnt(0)
	v_mul_f64 v[187:188], v[6:7], v[24:25]
	v_mul_f64 v[24:25], v[8:9], v[24:25]
	v_fma_f64 v[185:186], v[4:5], v[18:19], v[185:186]
	v_fma_f64 v[191:192], v[2:3], v[18:19], -v[20:21]
	scratch_load_b128 v[18:21], off, off offset:832
	ds_load_b128 v[2:5], v1 offset:1616
	v_add_f64 v[167:168], v[167:168], v[189:190]
	v_add_f64 v[171:172], v[171:172], v[183:184]
	v_fma_f64 v[187:188], v[8:9], v[22:23], v[187:188]
	v_fma_f64 v[189:190], v[6:7], v[22:23], -v[24:25]
	ds_load_b128 v[6:9], v1 offset:1632
	s_waitcnt vmcnt(8) lgkmcnt(1)
	v_mul_f64 v[183:184], v[2:3], v[28:29]
	v_mul_f64 v[28:29], v[4:5], v[28:29]
	scratch_load_b128 v[22:25], off, off offset:848
	v_add_f64 v[167:168], v[167:168], v[191:192]
	v_add_f64 v[171:172], v[171:172], v[185:186]
	s_waitcnt vmcnt(8) lgkmcnt(0)
	v_mul_f64 v[185:186], v[6:7], v[32:33]
	v_mul_f64 v[32:33], v[8:9], v[32:33]
	v_fma_f64 v[183:184], v[4:5], v[26:27], v[183:184]
	v_fma_f64 v[191:192], v[2:3], v[26:27], -v[28:29]
	scratch_load_b128 v[26:29], off, off offset:864
	ds_load_b128 v[2:5], v1 offset:1648
	;; [unrolled: 18-line block ×3, first 2 shown]
	v_add_f64 v[167:168], v[167:168], v[189:190]
	v_add_f64 v[171:172], v[171:172], v[185:186]
	v_fma_f64 v[183:184], v[8:9], v[179:180], v[183:184]
	v_fma_f64 v[179:180], v[6:7], v[179:180], -v[181:182]
	ds_load_b128 v[6:9], v1 offset:1696
	s_waitcnt vmcnt(8) lgkmcnt(1)
	v_mul_f64 v[185:186], v[2:3], v[40:41]
	v_mul_f64 v[40:41], v[4:5], v[40:41]
	s_waitcnt vmcnt(7) lgkmcnt(0)
	v_mul_f64 v[181:182], v[6:7], v[177:178]
	v_mul_f64 v[177:178], v[8:9], v[177:178]
	v_add_f64 v[167:168], v[167:168], v[191:192]
	v_add_f64 v[171:172], v[171:172], v[187:188]
	v_fma_f64 v[185:186], v[4:5], v[38:39], v[185:186]
	v_fma_f64 v[38:39], v[2:3], v[38:39], -v[40:41]
	ds_load_b128 v[2:5], v1 offset:1712
	v_add_f64 v[40:41], v[167:168], v[179:180]
	v_add_f64 v[167:168], v[171:172], v[183:184]
	v_fma_f64 v[179:180], v[8:9], v[175:176], v[181:182]
	v_fma_f64 v[175:176], v[6:7], v[175:176], -v[177:178]
	ds_load_b128 v[6:9], v1 offset:1728
	s_waitcnt vmcnt(5) lgkmcnt(0)
	v_mul_f64 v[181:182], v[6:7], v[16:17]
	v_mul_f64 v[16:17], v[8:9], v[16:17]
	v_add_f64 v[177:178], v[40:41], v[38:39]
	v_add_f64 v[167:168], v[167:168], v[185:186]
	scratch_load_b128 v[38:41], off, off offset:432
	v_mul_f64 v[171:172], v[2:3], v[12:13]
	v_mul_f64 v[12:13], v[4:5], v[12:13]
	v_add_f64 v[167:168], v[167:168], v[179:180]
	s_delay_alu instid0(VALU_DEP_3) | instskip(NEXT) | instid1(VALU_DEP_3)
	v_fma_f64 v[171:172], v[4:5], v[10:11], v[171:172]
	v_fma_f64 v[10:11], v[2:3], v[10:11], -v[12:13]
	v_add_f64 v[12:13], v[177:178], v[175:176]
	ds_load_b128 v[2:5], v1 offset:1744
	v_fma_f64 v[177:178], v[8:9], v[14:15], v[181:182]
	v_fma_f64 v[14:15], v[6:7], v[14:15], -v[16:17]
	ds_load_b128 v[6:9], v1 offset:1760
	s_waitcnt vmcnt(5) lgkmcnt(1)
	v_mul_f64 v[175:176], v[2:3], v[20:21]
	v_mul_f64 v[20:21], v[4:5], v[20:21]
	s_waitcnt vmcnt(4) lgkmcnt(0)
	v_mul_f64 v[16:17], v[6:7], v[24:25]
	v_mul_f64 v[24:25], v[8:9], v[24:25]
	v_add_f64 v[10:11], v[12:13], v[10:11]
	v_add_f64 v[12:13], v[167:168], v[171:172]
	v_fma_f64 v[167:168], v[4:5], v[18:19], v[175:176]
	v_fma_f64 v[18:19], v[2:3], v[18:19], -v[20:21]
	ds_load_b128 v[2:5], v1 offset:1776
	v_fma_f64 v[16:17], v[8:9], v[22:23], v[16:17]
	v_fma_f64 v[22:23], v[6:7], v[22:23], -v[24:25]
	ds_load_b128 v[6:9], v1 offset:1792
	v_add_f64 v[10:11], v[10:11], v[14:15]
	v_add_f64 v[12:13], v[12:13], v[177:178]
	s_waitcnt vmcnt(3) lgkmcnt(1)
	v_mul_f64 v[14:15], v[2:3], v[28:29]
	v_mul_f64 v[20:21], v[4:5], v[28:29]
	s_waitcnt vmcnt(2) lgkmcnt(0)
	v_mul_f64 v[24:25], v[8:9], v[32:33]
	v_add_f64 v[10:11], v[10:11], v[18:19]
	v_add_f64 v[12:13], v[12:13], v[167:168]
	v_mul_f64 v[18:19], v[6:7], v[32:33]
	v_fma_f64 v[14:15], v[4:5], v[26:27], v[14:15]
	v_fma_f64 v[20:21], v[2:3], v[26:27], -v[20:21]
	ds_load_b128 v[2:5], v1 offset:1808
	v_fma_f64 v[6:7], v[6:7], v[30:31], -v[24:25]
	v_add_f64 v[10:11], v[10:11], v[22:23]
	v_add_f64 v[12:13], v[12:13], v[16:17]
	s_waitcnt vmcnt(1) lgkmcnt(0)
	v_mul_f64 v[16:17], v[2:3], v[36:37]
	v_mul_f64 v[22:23], v[4:5], v[36:37]
	v_fma_f64 v[8:9], v[8:9], v[30:31], v[18:19]
	v_add_f64 v[10:11], v[10:11], v[20:21]
	v_add_f64 v[12:13], v[12:13], v[14:15]
	v_fma_f64 v[4:5], v[4:5], v[34:35], v[16:17]
	v_fma_f64 v[2:3], v[2:3], v[34:35], -v[22:23]
	s_delay_alu instid0(VALU_DEP_4) | instskip(NEXT) | instid1(VALU_DEP_4)
	v_add_f64 v[6:7], v[10:11], v[6:7]
	v_add_f64 v[8:9], v[12:13], v[8:9]
	s_delay_alu instid0(VALU_DEP_2) | instskip(NEXT) | instid1(VALU_DEP_2)
	v_add_f64 v[2:3], v[6:7], v[2:3]
	v_add_f64 v[4:5], v[8:9], v[4:5]
	s_waitcnt vmcnt(0)
	s_delay_alu instid0(VALU_DEP_2) | instskip(NEXT) | instid1(VALU_DEP_2)
	v_add_f64 v[2:3], v[38:39], -v[2:3]
	v_add_f64 v[4:5], v[40:41], -v[4:5]
	scratch_store_b128 off, v[2:5], off offset:432
	v_cmpx_lt_u32_e32 26, v156
	s_cbranch_execz .LBB56_303
; %bb.302:
	scratch_load_b128 v[5:8], v230, off
	v_mov_b32_e32 v2, v1
	v_mov_b32_e32 v3, v1
	;; [unrolled: 1-line block ×3, first 2 shown]
	scratch_store_b128 off, v[1:4], off offset:416
	s_waitcnt vmcnt(0)
	ds_store_b128 v213, v[5:8]
.LBB56_303:
	s_or_b32 exec_lo, exec_lo, s2
	s_waitcnt lgkmcnt(0)
	s_waitcnt_vscnt null, 0x0
	s_barrier
	buffer_gl0_inv
	s_clause 0x7
	scratch_load_b128 v[2:5], off, off offset:432
	scratch_load_b128 v[6:9], off, off offset:448
	;; [unrolled: 1-line block ×8, first 2 shown]
	ds_load_b128 v[38:41], v1 offset:1344
	ds_load_b128 v[175:178], v1 offset:1360
	s_clause 0x1
	scratch_load_b128 v[34:37], off, off offset:560
	scratch_load_b128 v[179:182], off, off offset:576
	s_mov_b32 s2, exec_lo
	s_waitcnt vmcnt(9) lgkmcnt(1)
	v_mul_f64 v[167:168], v[40:41], v[4:5]
	v_mul_f64 v[4:5], v[38:39], v[4:5]
	s_waitcnt vmcnt(8) lgkmcnt(0)
	v_mul_f64 v[171:172], v[175:176], v[8:9]
	v_mul_f64 v[8:9], v[177:178], v[8:9]
	s_delay_alu instid0(VALU_DEP_4) | instskip(NEXT) | instid1(VALU_DEP_4)
	v_fma_f64 v[167:168], v[38:39], v[2:3], -v[167:168]
	v_fma_f64 v[183:184], v[40:41], v[2:3], v[4:5]
	ds_load_b128 v[2:5], v1 offset:1376
	scratch_load_b128 v[38:41], off, off offset:592
	v_fma_f64 v[171:172], v[177:178], v[6:7], v[171:172]
	v_fma_f64 v[187:188], v[175:176], v[6:7], -v[8:9]
	scratch_load_b128 v[175:178], off, off offset:608
	ds_load_b128 v[6:9], v1 offset:1392
	s_waitcnt vmcnt(9) lgkmcnt(1)
	v_mul_f64 v[185:186], v[2:3], v[12:13]
	v_mul_f64 v[12:13], v[4:5], v[12:13]
	s_waitcnt vmcnt(8) lgkmcnt(0)
	v_mul_f64 v[189:190], v[6:7], v[16:17]
	v_mul_f64 v[16:17], v[8:9], v[16:17]
	v_add_f64 v[167:168], v[167:168], 0
	v_add_f64 v[183:184], v[183:184], 0
	v_fma_f64 v[185:186], v[4:5], v[10:11], v[185:186]
	v_fma_f64 v[191:192], v[2:3], v[10:11], -v[12:13]
	ds_load_b128 v[2:5], v1 offset:1408
	scratch_load_b128 v[10:13], off, off offset:624
	v_add_f64 v[167:168], v[167:168], v[187:188]
	v_add_f64 v[171:172], v[183:184], v[171:172]
	v_fma_f64 v[187:188], v[8:9], v[14:15], v[189:190]
	v_fma_f64 v[189:190], v[6:7], v[14:15], -v[16:17]
	scratch_load_b128 v[14:17], off, off offset:640
	ds_load_b128 v[6:9], v1 offset:1424
	s_waitcnt vmcnt(9) lgkmcnt(1)
	v_mul_f64 v[183:184], v[2:3], v[20:21]
	v_mul_f64 v[20:21], v[4:5], v[20:21]
	v_add_f64 v[167:168], v[167:168], v[191:192]
	v_add_f64 v[171:172], v[171:172], v[185:186]
	s_waitcnt vmcnt(8) lgkmcnt(0)
	v_mul_f64 v[185:186], v[6:7], v[24:25]
	v_mul_f64 v[24:25], v[8:9], v[24:25]
	v_fma_f64 v[183:184], v[4:5], v[18:19], v[183:184]
	v_fma_f64 v[191:192], v[2:3], v[18:19], -v[20:21]
	ds_load_b128 v[2:5], v1 offset:1440
	scratch_load_b128 v[18:21], off, off offset:656
	v_add_f64 v[167:168], v[167:168], v[189:190]
	v_add_f64 v[171:172], v[171:172], v[187:188]
	v_fma_f64 v[185:186], v[8:9], v[22:23], v[185:186]
	v_fma_f64 v[189:190], v[6:7], v[22:23], -v[24:25]
	scratch_load_b128 v[22:25], off, off offset:672
	ds_load_b128 v[6:9], v1 offset:1456
	s_waitcnt vmcnt(9) lgkmcnt(1)
	v_mul_f64 v[187:188], v[2:3], v[28:29]
	v_mul_f64 v[28:29], v[4:5], v[28:29]
	v_add_f64 v[167:168], v[167:168], v[191:192]
	v_add_f64 v[171:172], v[171:172], v[183:184]
	s_waitcnt vmcnt(8) lgkmcnt(0)
	v_mul_f64 v[183:184], v[6:7], v[32:33]
	v_mul_f64 v[32:33], v[8:9], v[32:33]
	;; [unrolled: 18-line block ×5, first 2 shown]
	v_fma_f64 v[187:188], v[4:5], v[10:11], v[187:188]
	v_fma_f64 v[191:192], v[2:3], v[10:11], -v[12:13]
	ds_load_b128 v[2:5], v1 offset:1568
	scratch_load_b128 v[10:13], off, off offset:784
	v_add_f64 v[167:168], v[167:168], v[189:190]
	v_add_f64 v[171:172], v[171:172], v[185:186]
	v_fma_f64 v[183:184], v[8:9], v[14:15], v[183:184]
	v_fma_f64 v[189:190], v[6:7], v[14:15], -v[16:17]
	ds_load_b128 v[6:9], v1 offset:1584
	s_waitcnt vmcnt(8) lgkmcnt(1)
	v_mul_f64 v[185:186], v[2:3], v[20:21]
	v_mul_f64 v[20:21], v[4:5], v[20:21]
	scratch_load_b128 v[14:17], off, off offset:800
	v_add_f64 v[167:168], v[167:168], v[191:192]
	v_add_f64 v[171:172], v[171:172], v[187:188]
	s_waitcnt vmcnt(8) lgkmcnt(0)
	v_mul_f64 v[187:188], v[6:7], v[24:25]
	v_mul_f64 v[24:25], v[8:9], v[24:25]
	v_fma_f64 v[185:186], v[4:5], v[18:19], v[185:186]
	v_fma_f64 v[191:192], v[2:3], v[18:19], -v[20:21]
	ds_load_b128 v[2:5], v1 offset:1600
	scratch_load_b128 v[18:21], off, off offset:816
	v_add_f64 v[167:168], v[167:168], v[189:190]
	v_add_f64 v[171:172], v[171:172], v[183:184]
	v_fma_f64 v[187:188], v[8:9], v[22:23], v[187:188]
	v_fma_f64 v[189:190], v[6:7], v[22:23], -v[24:25]
	ds_load_b128 v[6:9], v1 offset:1616
	s_waitcnt vmcnt(8) lgkmcnt(1)
	v_mul_f64 v[183:184], v[2:3], v[28:29]
	v_mul_f64 v[28:29], v[4:5], v[28:29]
	scratch_load_b128 v[22:25], off, off offset:832
	v_add_f64 v[167:168], v[167:168], v[191:192]
	v_add_f64 v[171:172], v[171:172], v[185:186]
	s_waitcnt vmcnt(8) lgkmcnt(0)
	v_mul_f64 v[185:186], v[6:7], v[32:33]
	v_mul_f64 v[32:33], v[8:9], v[32:33]
	v_fma_f64 v[183:184], v[4:5], v[26:27], v[183:184]
	v_fma_f64 v[191:192], v[2:3], v[26:27], -v[28:29]
	scratch_load_b128 v[26:29], off, off offset:848
	ds_load_b128 v[2:5], v1 offset:1632
	v_add_f64 v[167:168], v[167:168], v[189:190]
	v_add_f64 v[171:172], v[171:172], v[187:188]
	v_fma_f64 v[185:186], v[8:9], v[30:31], v[185:186]
	v_fma_f64 v[189:190], v[6:7], v[30:31], -v[32:33]
	ds_load_b128 v[6:9], v1 offset:1648
	s_waitcnt vmcnt(8) lgkmcnt(1)
	v_mul_f64 v[187:188], v[2:3], v[36:37]
	v_mul_f64 v[36:37], v[4:5], v[36:37]
	scratch_load_b128 v[30:33], off, off offset:864
	v_add_f64 v[167:168], v[167:168], v[191:192]
	v_add_f64 v[171:172], v[171:172], v[183:184]
	s_waitcnt vmcnt(8) lgkmcnt(0)
	v_mul_f64 v[183:184], v[6:7], v[181:182]
	v_mul_f64 v[181:182], v[8:9], v[181:182]
	v_fma_f64 v[187:188], v[4:5], v[34:35], v[187:188]
	v_fma_f64 v[191:192], v[2:3], v[34:35], -v[36:37]
	scratch_load_b128 v[34:37], off, off offset:880
	ds_load_b128 v[2:5], v1 offset:1664
	v_add_f64 v[167:168], v[167:168], v[189:190]
	v_add_f64 v[171:172], v[171:172], v[185:186]
	v_fma_f64 v[183:184], v[8:9], v[179:180], v[183:184]
	v_fma_f64 v[189:190], v[6:7], v[179:180], -v[181:182]
	ds_load_b128 v[6:9], v1 offset:1680
	s_waitcnt vmcnt(8) lgkmcnt(1)
	v_mul_f64 v[185:186], v[2:3], v[40:41]
	v_mul_f64 v[40:41], v[4:5], v[40:41]
	scratch_load_b128 v[179:182], off, off offset:896
	v_add_f64 v[167:168], v[167:168], v[191:192]
	v_add_f64 v[171:172], v[171:172], v[187:188]
	s_waitcnt vmcnt(8) lgkmcnt(0)
	v_mul_f64 v[187:188], v[6:7], v[177:178]
	v_mul_f64 v[177:178], v[8:9], v[177:178]
	v_fma_f64 v[185:186], v[4:5], v[38:39], v[185:186]
	v_fma_f64 v[38:39], v[2:3], v[38:39], -v[40:41]
	ds_load_b128 v[2:5], v1 offset:1696
	v_add_f64 v[40:41], v[167:168], v[189:190]
	v_add_f64 v[167:168], v[171:172], v[183:184]
	v_fma_f64 v[183:184], v[8:9], v[175:176], v[187:188]
	v_fma_f64 v[175:176], v[6:7], v[175:176], -v[177:178]
	ds_load_b128 v[6:9], v1 offset:1712
	s_waitcnt vmcnt(7) lgkmcnt(1)
	v_mul_f64 v[171:172], v[2:3], v[12:13]
	v_mul_f64 v[12:13], v[4:5], v[12:13]
	v_add_f64 v[38:39], v[40:41], v[38:39]
	v_add_f64 v[40:41], v[167:168], v[185:186]
	s_delay_alu instid0(VALU_DEP_4) | instskip(NEXT) | instid1(VALU_DEP_4)
	v_fma_f64 v[171:172], v[4:5], v[10:11], v[171:172]
	v_fma_f64 v[177:178], v[2:3], v[10:11], -v[12:13]
	scratch_load_b128 v[10:13], off, off offset:416
	s_waitcnt vmcnt(7) lgkmcnt(0)
	v_mul_f64 v[167:168], v[6:7], v[16:17]
	v_mul_f64 v[16:17], v[8:9], v[16:17]
	ds_load_b128 v[2:5], v1 offset:1728
	v_add_f64 v[38:39], v[38:39], v[175:176]
	v_add_f64 v[40:41], v[40:41], v[183:184]
	v_fma_f64 v[167:168], v[8:9], v[14:15], v[167:168]
	v_fma_f64 v[14:15], v[6:7], v[14:15], -v[16:17]
	ds_load_b128 v[6:9], v1 offset:1744
	s_waitcnt vmcnt(6) lgkmcnt(1)
	v_mul_f64 v[175:176], v[2:3], v[20:21]
	v_mul_f64 v[20:21], v[4:5], v[20:21]
	v_add_f64 v[16:17], v[38:39], v[177:178]
	v_add_f64 v[38:39], v[40:41], v[171:172]
	s_waitcnt vmcnt(5) lgkmcnt(0)
	v_mul_f64 v[40:41], v[6:7], v[24:25]
	v_mul_f64 v[24:25], v[8:9], v[24:25]
	v_fma_f64 v[171:172], v[4:5], v[18:19], v[175:176]
	v_fma_f64 v[18:19], v[2:3], v[18:19], -v[20:21]
	ds_load_b128 v[2:5], v1 offset:1760
	v_add_f64 v[14:15], v[16:17], v[14:15]
	v_add_f64 v[16:17], v[38:39], v[167:168]
	v_fma_f64 v[38:39], v[8:9], v[22:23], v[40:41]
	v_fma_f64 v[22:23], v[6:7], v[22:23], -v[24:25]
	ds_load_b128 v[6:9], v1 offset:1776
	s_waitcnt vmcnt(4) lgkmcnt(1)
	v_mul_f64 v[20:21], v[2:3], v[28:29]
	v_mul_f64 v[28:29], v[4:5], v[28:29]
	s_waitcnt vmcnt(3) lgkmcnt(0)
	v_mul_f64 v[24:25], v[8:9], v[32:33]
	v_add_f64 v[14:15], v[14:15], v[18:19]
	v_add_f64 v[16:17], v[16:17], v[171:172]
	v_mul_f64 v[18:19], v[6:7], v[32:33]
	v_fma_f64 v[20:21], v[4:5], v[26:27], v[20:21]
	v_fma_f64 v[26:27], v[2:3], v[26:27], -v[28:29]
	ds_load_b128 v[2:5], v1 offset:1792
	v_fma_f64 v[24:25], v[6:7], v[30:31], -v[24:25]
	v_add_f64 v[14:15], v[14:15], v[22:23]
	v_add_f64 v[16:17], v[16:17], v[38:39]
	v_fma_f64 v[18:19], v[8:9], v[30:31], v[18:19]
	ds_load_b128 v[6:9], v1 offset:1808
	s_waitcnt vmcnt(2) lgkmcnt(1)
	v_mul_f64 v[22:23], v[2:3], v[36:37]
	v_mul_f64 v[28:29], v[4:5], v[36:37]
	v_add_f64 v[14:15], v[14:15], v[26:27]
	v_add_f64 v[16:17], v[16:17], v[20:21]
	s_waitcnt vmcnt(1) lgkmcnt(0)
	v_mul_f64 v[20:21], v[6:7], v[181:182]
	v_mul_f64 v[26:27], v[8:9], v[181:182]
	v_fma_f64 v[4:5], v[4:5], v[34:35], v[22:23]
	v_fma_f64 v[1:2], v[2:3], v[34:35], -v[28:29]
	v_add_f64 v[14:15], v[14:15], v[24:25]
	v_add_f64 v[16:17], v[16:17], v[18:19]
	v_fma_f64 v[8:9], v[8:9], v[179:180], v[20:21]
	v_fma_f64 v[6:7], v[6:7], v[179:180], -v[26:27]
	s_delay_alu instid0(VALU_DEP_4) | instskip(NEXT) | instid1(VALU_DEP_4)
	v_add_f64 v[1:2], v[14:15], v[1:2]
	v_add_f64 v[3:4], v[16:17], v[4:5]
	s_delay_alu instid0(VALU_DEP_2) | instskip(NEXT) | instid1(VALU_DEP_2)
	v_add_f64 v[1:2], v[1:2], v[6:7]
	v_add_f64 v[3:4], v[3:4], v[8:9]
	s_waitcnt vmcnt(0)
	s_delay_alu instid0(VALU_DEP_2) | instskip(NEXT) | instid1(VALU_DEP_2)
	v_add_f64 v[1:2], v[10:11], -v[1:2]
	v_add_f64 v[3:4], v[12:13], -v[3:4]
	scratch_store_b128 off, v[1:4], off offset:416
	v_cmpx_lt_u32_e32 25, v156
	s_cbranch_execz .LBB56_305
; %bb.304:
	scratch_load_b128 v[1:4], v231, off
	v_mov_b32_e32 v5, 0
	s_delay_alu instid0(VALU_DEP_1)
	v_mov_b32_e32 v6, v5
	v_mov_b32_e32 v7, v5
	;; [unrolled: 1-line block ×3, first 2 shown]
	scratch_store_b128 off, v[5:8], off offset:400
	s_waitcnt vmcnt(0)
	ds_store_b128 v213, v[1:4]
.LBB56_305:
	s_or_b32 exec_lo, exec_lo, s2
	s_waitcnt lgkmcnt(0)
	s_waitcnt_vscnt null, 0x0
	s_barrier
	buffer_gl0_inv
	s_clause 0x7
	scratch_load_b128 v[2:5], off, off offset:416
	scratch_load_b128 v[6:9], off, off offset:432
	;; [unrolled: 1-line block ×8, first 2 shown]
	v_mov_b32_e32 v1, 0
	s_clause 0x1
	scratch_load_b128 v[34:37], off, off offset:544
	scratch_load_b128 v[179:182], off, off offset:560
	s_mov_b32 s2, exec_lo
	ds_load_b128 v[38:41], v1 offset:1328
	ds_load_b128 v[175:178], v1 offset:1344
	s_waitcnt vmcnt(9) lgkmcnt(1)
	v_mul_f64 v[167:168], v[40:41], v[4:5]
	v_mul_f64 v[4:5], v[38:39], v[4:5]
	s_waitcnt vmcnt(8) lgkmcnt(0)
	v_mul_f64 v[171:172], v[175:176], v[8:9]
	v_mul_f64 v[8:9], v[177:178], v[8:9]
	s_delay_alu instid0(VALU_DEP_4) | instskip(NEXT) | instid1(VALU_DEP_4)
	v_fma_f64 v[167:168], v[38:39], v[2:3], -v[167:168]
	v_fma_f64 v[183:184], v[40:41], v[2:3], v[4:5]
	ds_load_b128 v[2:5], v1 offset:1360
	scratch_load_b128 v[38:41], off, off offset:576
	v_fma_f64 v[171:172], v[177:178], v[6:7], v[171:172]
	v_fma_f64 v[187:188], v[175:176], v[6:7], -v[8:9]
	scratch_load_b128 v[175:178], off, off offset:592
	ds_load_b128 v[6:9], v1 offset:1376
	s_waitcnt vmcnt(9) lgkmcnt(1)
	v_mul_f64 v[185:186], v[2:3], v[12:13]
	v_mul_f64 v[12:13], v[4:5], v[12:13]
	s_waitcnt vmcnt(8) lgkmcnt(0)
	v_mul_f64 v[189:190], v[6:7], v[16:17]
	v_mul_f64 v[16:17], v[8:9], v[16:17]
	v_add_f64 v[167:168], v[167:168], 0
	v_add_f64 v[183:184], v[183:184], 0
	v_fma_f64 v[185:186], v[4:5], v[10:11], v[185:186]
	v_fma_f64 v[191:192], v[2:3], v[10:11], -v[12:13]
	ds_load_b128 v[2:5], v1 offset:1392
	scratch_load_b128 v[10:13], off, off offset:608
	v_add_f64 v[167:168], v[167:168], v[187:188]
	v_add_f64 v[171:172], v[183:184], v[171:172]
	v_fma_f64 v[187:188], v[8:9], v[14:15], v[189:190]
	v_fma_f64 v[189:190], v[6:7], v[14:15], -v[16:17]
	scratch_load_b128 v[14:17], off, off offset:624
	ds_load_b128 v[6:9], v1 offset:1408
	s_waitcnt vmcnt(9) lgkmcnt(1)
	v_mul_f64 v[183:184], v[2:3], v[20:21]
	v_mul_f64 v[20:21], v[4:5], v[20:21]
	v_add_f64 v[167:168], v[167:168], v[191:192]
	v_add_f64 v[171:172], v[171:172], v[185:186]
	s_waitcnt vmcnt(8) lgkmcnt(0)
	v_mul_f64 v[185:186], v[6:7], v[24:25]
	v_mul_f64 v[24:25], v[8:9], v[24:25]
	v_fma_f64 v[183:184], v[4:5], v[18:19], v[183:184]
	v_fma_f64 v[191:192], v[2:3], v[18:19], -v[20:21]
	ds_load_b128 v[2:5], v1 offset:1424
	scratch_load_b128 v[18:21], off, off offset:640
	v_add_f64 v[167:168], v[167:168], v[189:190]
	v_add_f64 v[171:172], v[171:172], v[187:188]
	v_fma_f64 v[185:186], v[8:9], v[22:23], v[185:186]
	v_fma_f64 v[189:190], v[6:7], v[22:23], -v[24:25]
	scratch_load_b128 v[22:25], off, off offset:656
	ds_load_b128 v[6:9], v1 offset:1440
	s_waitcnt vmcnt(9) lgkmcnt(1)
	v_mul_f64 v[187:188], v[2:3], v[28:29]
	v_mul_f64 v[28:29], v[4:5], v[28:29]
	v_add_f64 v[167:168], v[167:168], v[191:192]
	v_add_f64 v[171:172], v[171:172], v[183:184]
	s_waitcnt vmcnt(8) lgkmcnt(0)
	v_mul_f64 v[183:184], v[6:7], v[32:33]
	v_mul_f64 v[32:33], v[8:9], v[32:33]
	;; [unrolled: 18-line block ×6, first 2 shown]
	v_fma_f64 v[185:186], v[4:5], v[18:19], v[185:186]
	v_fma_f64 v[191:192], v[2:3], v[18:19], -v[20:21]
	ds_load_b128 v[2:5], v1 offset:1584
	scratch_load_b128 v[18:21], off, off offset:800
	v_add_f64 v[167:168], v[167:168], v[189:190]
	v_add_f64 v[171:172], v[171:172], v[183:184]
	v_fma_f64 v[187:188], v[8:9], v[22:23], v[187:188]
	v_fma_f64 v[189:190], v[6:7], v[22:23], -v[24:25]
	ds_load_b128 v[6:9], v1 offset:1600
	s_waitcnt vmcnt(8) lgkmcnt(1)
	v_mul_f64 v[183:184], v[2:3], v[28:29]
	v_mul_f64 v[28:29], v[4:5], v[28:29]
	scratch_load_b128 v[22:25], off, off offset:816
	v_add_f64 v[167:168], v[167:168], v[191:192]
	v_add_f64 v[171:172], v[171:172], v[185:186]
	s_waitcnt vmcnt(8) lgkmcnt(0)
	v_mul_f64 v[185:186], v[6:7], v[32:33]
	v_mul_f64 v[32:33], v[8:9], v[32:33]
	v_fma_f64 v[183:184], v[4:5], v[26:27], v[183:184]
	v_fma_f64 v[191:192], v[2:3], v[26:27], -v[28:29]
	scratch_load_b128 v[26:29], off, off offset:832
	ds_load_b128 v[2:5], v1 offset:1616
	v_add_f64 v[167:168], v[167:168], v[189:190]
	v_add_f64 v[171:172], v[171:172], v[187:188]
	v_fma_f64 v[185:186], v[8:9], v[30:31], v[185:186]
	v_fma_f64 v[189:190], v[6:7], v[30:31], -v[32:33]
	ds_load_b128 v[6:9], v1 offset:1632
	s_waitcnt vmcnt(8) lgkmcnt(1)
	v_mul_f64 v[187:188], v[2:3], v[36:37]
	v_mul_f64 v[36:37], v[4:5], v[36:37]
	scratch_load_b128 v[30:33], off, off offset:848
	v_add_f64 v[167:168], v[167:168], v[191:192]
	v_add_f64 v[171:172], v[171:172], v[183:184]
	s_waitcnt vmcnt(8) lgkmcnt(0)
	v_mul_f64 v[183:184], v[6:7], v[181:182]
	v_mul_f64 v[181:182], v[8:9], v[181:182]
	v_fma_f64 v[187:188], v[4:5], v[34:35], v[187:188]
	v_fma_f64 v[191:192], v[2:3], v[34:35], -v[36:37]
	scratch_load_b128 v[34:37], off, off offset:864
	ds_load_b128 v[2:5], v1 offset:1648
	;; [unrolled: 18-line block ×3, first 2 shown]
	v_add_f64 v[167:168], v[167:168], v[189:190]
	v_add_f64 v[171:172], v[171:172], v[183:184]
	v_fma_f64 v[187:188], v[8:9], v[175:176], v[187:188]
	v_fma_f64 v[175:176], v[6:7], v[175:176], -v[177:178]
	ds_load_b128 v[6:9], v1 offset:1696
	s_waitcnt vmcnt(8) lgkmcnt(1)
	v_mul_f64 v[183:184], v[2:3], v[12:13]
	v_mul_f64 v[12:13], v[4:5], v[12:13]
	s_waitcnt vmcnt(7) lgkmcnt(0)
	v_mul_f64 v[177:178], v[6:7], v[16:17]
	v_mul_f64 v[16:17], v[8:9], v[16:17]
	v_add_f64 v[167:168], v[167:168], v[191:192]
	v_add_f64 v[171:172], v[171:172], v[185:186]
	v_fma_f64 v[183:184], v[4:5], v[10:11], v[183:184]
	v_fma_f64 v[10:11], v[2:3], v[10:11], -v[12:13]
	ds_load_b128 v[2:5], v1 offset:1712
	v_add_f64 v[12:13], v[167:168], v[175:176]
	v_add_f64 v[167:168], v[171:172], v[187:188]
	v_fma_f64 v[175:176], v[8:9], v[14:15], v[177:178]
	v_fma_f64 v[14:15], v[6:7], v[14:15], -v[16:17]
	ds_load_b128 v[6:9], v1 offset:1728
	s_waitcnt vmcnt(5) lgkmcnt(0)
	v_mul_f64 v[177:178], v[6:7], v[24:25]
	v_mul_f64 v[24:25], v[8:9], v[24:25]
	v_add_f64 v[16:17], v[12:13], v[10:11]
	v_add_f64 v[167:168], v[167:168], v[183:184]
	scratch_load_b128 v[10:13], off, off offset:400
	v_mul_f64 v[171:172], v[2:3], v[20:21]
	v_mul_f64 v[20:21], v[4:5], v[20:21]
	v_add_f64 v[14:15], v[16:17], v[14:15]
	v_add_f64 v[16:17], v[167:168], v[175:176]
	v_fma_f64 v[167:168], v[8:9], v[22:23], v[177:178]
	v_fma_f64 v[171:172], v[4:5], v[18:19], v[171:172]
	v_fma_f64 v[18:19], v[2:3], v[18:19], -v[20:21]
	ds_load_b128 v[2:5], v1 offset:1744
	v_fma_f64 v[22:23], v[6:7], v[22:23], -v[24:25]
	ds_load_b128 v[6:9], v1 offset:1760
	s_waitcnt vmcnt(5) lgkmcnt(1)
	v_mul_f64 v[20:21], v[2:3], v[28:29]
	v_mul_f64 v[28:29], v[4:5], v[28:29]
	s_waitcnt vmcnt(4) lgkmcnt(0)
	v_mul_f64 v[24:25], v[8:9], v[32:33]
	v_add_f64 v[16:17], v[16:17], v[171:172]
	v_add_f64 v[14:15], v[14:15], v[18:19]
	v_mul_f64 v[18:19], v[6:7], v[32:33]
	v_fma_f64 v[20:21], v[4:5], v[26:27], v[20:21]
	v_fma_f64 v[26:27], v[2:3], v[26:27], -v[28:29]
	ds_load_b128 v[2:5], v1 offset:1776
	v_fma_f64 v[24:25], v[6:7], v[30:31], -v[24:25]
	v_add_f64 v[16:17], v[16:17], v[167:168]
	v_add_f64 v[14:15], v[14:15], v[22:23]
	v_fma_f64 v[18:19], v[8:9], v[30:31], v[18:19]
	ds_load_b128 v[6:9], v1 offset:1792
	s_waitcnt vmcnt(3) lgkmcnt(1)
	v_mul_f64 v[22:23], v[2:3], v[36:37]
	v_mul_f64 v[28:29], v[4:5], v[36:37]
	v_add_f64 v[16:17], v[16:17], v[20:21]
	v_add_f64 v[14:15], v[14:15], v[26:27]
	s_waitcnt vmcnt(2) lgkmcnt(0)
	v_mul_f64 v[20:21], v[6:7], v[181:182]
	v_mul_f64 v[26:27], v[8:9], v[181:182]
	v_fma_f64 v[22:23], v[4:5], v[34:35], v[22:23]
	v_fma_f64 v[28:29], v[2:3], v[34:35], -v[28:29]
	ds_load_b128 v[2:5], v1 offset:1808
	v_add_f64 v[16:17], v[16:17], v[18:19]
	v_add_f64 v[14:15], v[14:15], v[24:25]
	s_waitcnt vmcnt(1) lgkmcnt(0)
	v_mul_f64 v[18:19], v[2:3], v[40:41]
	v_mul_f64 v[24:25], v[4:5], v[40:41]
	v_fma_f64 v[8:9], v[8:9], v[179:180], v[20:21]
	v_fma_f64 v[6:7], v[6:7], v[179:180], -v[26:27]
	v_add_f64 v[16:17], v[16:17], v[22:23]
	v_add_f64 v[14:15], v[14:15], v[28:29]
	v_fma_f64 v[4:5], v[4:5], v[38:39], v[18:19]
	v_fma_f64 v[2:3], v[2:3], v[38:39], -v[24:25]
	s_delay_alu instid0(VALU_DEP_4) | instskip(NEXT) | instid1(VALU_DEP_4)
	v_add_f64 v[8:9], v[16:17], v[8:9]
	v_add_f64 v[6:7], v[14:15], v[6:7]
	s_delay_alu instid0(VALU_DEP_2) | instskip(NEXT) | instid1(VALU_DEP_2)
	v_add_f64 v[4:5], v[8:9], v[4:5]
	v_add_f64 v[2:3], v[6:7], v[2:3]
	s_waitcnt vmcnt(0)
	s_delay_alu instid0(VALU_DEP_2) | instskip(NEXT) | instid1(VALU_DEP_2)
	v_add_f64 v[4:5], v[12:13], -v[4:5]
	v_add_f64 v[2:3], v[10:11], -v[2:3]
	scratch_store_b128 off, v[2:5], off offset:400
	v_cmpx_lt_u32_e32 24, v156
	s_cbranch_execz .LBB56_307
; %bb.306:
	scratch_load_b128 v[5:8], v232, off
	v_mov_b32_e32 v2, v1
	v_mov_b32_e32 v3, v1
	v_mov_b32_e32 v4, v1
	scratch_store_b128 off, v[1:4], off offset:384
	s_waitcnt vmcnt(0)
	ds_store_b128 v213, v[5:8]
.LBB56_307:
	s_or_b32 exec_lo, exec_lo, s2
	s_waitcnt lgkmcnt(0)
	s_waitcnt_vscnt null, 0x0
	s_barrier
	buffer_gl0_inv
	s_clause 0x7
	scratch_load_b128 v[2:5], off, off offset:400
	scratch_load_b128 v[6:9], off, off offset:416
	scratch_load_b128 v[10:13], off, off offset:432
	scratch_load_b128 v[14:17], off, off offset:448
	scratch_load_b128 v[18:21], off, off offset:464
	scratch_load_b128 v[22:25], off, off offset:480
	scratch_load_b128 v[26:29], off, off offset:496
	scratch_load_b128 v[30:33], off, off offset:512
	ds_load_b128 v[38:41], v1 offset:1312
	ds_load_b128 v[175:178], v1 offset:1328
	s_clause 0x1
	scratch_load_b128 v[34:37], off, off offset:528
	scratch_load_b128 v[179:182], off, off offset:544
	s_mov_b32 s2, exec_lo
	s_waitcnt vmcnt(9) lgkmcnt(1)
	v_mul_f64 v[167:168], v[40:41], v[4:5]
	v_mul_f64 v[4:5], v[38:39], v[4:5]
	s_waitcnt vmcnt(8) lgkmcnt(0)
	v_mul_f64 v[171:172], v[175:176], v[8:9]
	v_mul_f64 v[8:9], v[177:178], v[8:9]
	s_delay_alu instid0(VALU_DEP_4) | instskip(NEXT) | instid1(VALU_DEP_4)
	v_fma_f64 v[167:168], v[38:39], v[2:3], -v[167:168]
	v_fma_f64 v[183:184], v[40:41], v[2:3], v[4:5]
	ds_load_b128 v[2:5], v1 offset:1344
	scratch_load_b128 v[38:41], off, off offset:560
	v_fma_f64 v[171:172], v[177:178], v[6:7], v[171:172]
	v_fma_f64 v[187:188], v[175:176], v[6:7], -v[8:9]
	scratch_load_b128 v[175:178], off, off offset:576
	ds_load_b128 v[6:9], v1 offset:1360
	s_waitcnt vmcnt(9) lgkmcnt(1)
	v_mul_f64 v[185:186], v[2:3], v[12:13]
	v_mul_f64 v[12:13], v[4:5], v[12:13]
	s_waitcnt vmcnt(8) lgkmcnt(0)
	v_mul_f64 v[189:190], v[6:7], v[16:17]
	v_mul_f64 v[16:17], v[8:9], v[16:17]
	v_add_f64 v[167:168], v[167:168], 0
	v_add_f64 v[183:184], v[183:184], 0
	v_fma_f64 v[185:186], v[4:5], v[10:11], v[185:186]
	v_fma_f64 v[191:192], v[2:3], v[10:11], -v[12:13]
	ds_load_b128 v[2:5], v1 offset:1376
	scratch_load_b128 v[10:13], off, off offset:592
	v_add_f64 v[167:168], v[167:168], v[187:188]
	v_add_f64 v[171:172], v[183:184], v[171:172]
	v_fma_f64 v[187:188], v[8:9], v[14:15], v[189:190]
	v_fma_f64 v[189:190], v[6:7], v[14:15], -v[16:17]
	scratch_load_b128 v[14:17], off, off offset:608
	ds_load_b128 v[6:9], v1 offset:1392
	s_waitcnt vmcnt(9) lgkmcnt(1)
	v_mul_f64 v[183:184], v[2:3], v[20:21]
	v_mul_f64 v[20:21], v[4:5], v[20:21]
	v_add_f64 v[167:168], v[167:168], v[191:192]
	v_add_f64 v[171:172], v[171:172], v[185:186]
	s_waitcnt vmcnt(8) lgkmcnt(0)
	v_mul_f64 v[185:186], v[6:7], v[24:25]
	v_mul_f64 v[24:25], v[8:9], v[24:25]
	v_fma_f64 v[183:184], v[4:5], v[18:19], v[183:184]
	v_fma_f64 v[191:192], v[2:3], v[18:19], -v[20:21]
	ds_load_b128 v[2:5], v1 offset:1408
	scratch_load_b128 v[18:21], off, off offset:624
	v_add_f64 v[167:168], v[167:168], v[189:190]
	v_add_f64 v[171:172], v[171:172], v[187:188]
	v_fma_f64 v[185:186], v[8:9], v[22:23], v[185:186]
	v_fma_f64 v[189:190], v[6:7], v[22:23], -v[24:25]
	scratch_load_b128 v[22:25], off, off offset:640
	ds_load_b128 v[6:9], v1 offset:1424
	s_waitcnt vmcnt(9) lgkmcnt(1)
	v_mul_f64 v[187:188], v[2:3], v[28:29]
	v_mul_f64 v[28:29], v[4:5], v[28:29]
	v_add_f64 v[167:168], v[167:168], v[191:192]
	v_add_f64 v[171:172], v[171:172], v[183:184]
	s_waitcnt vmcnt(8) lgkmcnt(0)
	v_mul_f64 v[183:184], v[6:7], v[32:33]
	v_mul_f64 v[32:33], v[8:9], v[32:33]
	;; [unrolled: 18-line block ×6, first 2 shown]
	v_fma_f64 v[185:186], v[4:5], v[18:19], v[185:186]
	v_fma_f64 v[191:192], v[2:3], v[18:19], -v[20:21]
	ds_load_b128 v[2:5], v1 offset:1568
	scratch_load_b128 v[18:21], off, off offset:784
	v_add_f64 v[167:168], v[167:168], v[189:190]
	v_add_f64 v[171:172], v[171:172], v[183:184]
	v_fma_f64 v[187:188], v[8:9], v[22:23], v[187:188]
	v_fma_f64 v[189:190], v[6:7], v[22:23], -v[24:25]
	ds_load_b128 v[6:9], v1 offset:1584
	s_waitcnt vmcnt(8) lgkmcnt(1)
	v_mul_f64 v[183:184], v[2:3], v[28:29]
	v_mul_f64 v[28:29], v[4:5], v[28:29]
	scratch_load_b128 v[22:25], off, off offset:800
	v_add_f64 v[167:168], v[167:168], v[191:192]
	v_add_f64 v[171:172], v[171:172], v[185:186]
	s_waitcnt vmcnt(8) lgkmcnt(0)
	v_mul_f64 v[185:186], v[6:7], v[32:33]
	v_mul_f64 v[32:33], v[8:9], v[32:33]
	v_fma_f64 v[183:184], v[4:5], v[26:27], v[183:184]
	v_fma_f64 v[191:192], v[2:3], v[26:27], -v[28:29]
	ds_load_b128 v[2:5], v1 offset:1600
	scratch_load_b128 v[26:29], off, off offset:816
	v_add_f64 v[167:168], v[167:168], v[189:190]
	v_add_f64 v[171:172], v[171:172], v[187:188]
	v_fma_f64 v[185:186], v[8:9], v[30:31], v[185:186]
	v_fma_f64 v[189:190], v[6:7], v[30:31], -v[32:33]
	ds_load_b128 v[6:9], v1 offset:1616
	s_waitcnt vmcnt(8) lgkmcnt(1)
	v_mul_f64 v[187:188], v[2:3], v[36:37]
	v_mul_f64 v[36:37], v[4:5], v[36:37]
	scratch_load_b128 v[30:33], off, off offset:832
	v_add_f64 v[167:168], v[167:168], v[191:192]
	v_add_f64 v[171:172], v[171:172], v[183:184]
	s_waitcnt vmcnt(8) lgkmcnt(0)
	v_mul_f64 v[183:184], v[6:7], v[181:182]
	v_mul_f64 v[181:182], v[8:9], v[181:182]
	v_fma_f64 v[187:188], v[4:5], v[34:35], v[187:188]
	v_fma_f64 v[191:192], v[2:3], v[34:35], -v[36:37]
	scratch_load_b128 v[34:37], off, off offset:848
	ds_load_b128 v[2:5], v1 offset:1632
	v_add_f64 v[167:168], v[167:168], v[189:190]
	v_add_f64 v[171:172], v[171:172], v[185:186]
	v_fma_f64 v[183:184], v[8:9], v[179:180], v[183:184]
	v_fma_f64 v[189:190], v[6:7], v[179:180], -v[181:182]
	ds_load_b128 v[6:9], v1 offset:1648
	s_waitcnt vmcnt(8) lgkmcnt(1)
	v_mul_f64 v[185:186], v[2:3], v[40:41]
	v_mul_f64 v[40:41], v[4:5], v[40:41]
	scratch_load_b128 v[179:182], off, off offset:864
	v_add_f64 v[167:168], v[167:168], v[191:192]
	v_add_f64 v[171:172], v[171:172], v[187:188]
	s_waitcnt vmcnt(8) lgkmcnt(0)
	v_mul_f64 v[187:188], v[6:7], v[177:178]
	v_mul_f64 v[177:178], v[8:9], v[177:178]
	v_fma_f64 v[185:186], v[4:5], v[38:39], v[185:186]
	v_fma_f64 v[191:192], v[2:3], v[38:39], -v[40:41]
	scratch_load_b128 v[38:41], off, off offset:880
	ds_load_b128 v[2:5], v1 offset:1664
	v_add_f64 v[167:168], v[167:168], v[189:190]
	v_add_f64 v[171:172], v[171:172], v[183:184]
	v_fma_f64 v[187:188], v[8:9], v[175:176], v[187:188]
	v_fma_f64 v[189:190], v[6:7], v[175:176], -v[177:178]
	ds_load_b128 v[6:9], v1 offset:1680
	s_waitcnt vmcnt(8) lgkmcnt(1)
	v_mul_f64 v[183:184], v[2:3], v[12:13]
	v_mul_f64 v[12:13], v[4:5], v[12:13]
	scratch_load_b128 v[175:178], off, off offset:896
	v_add_f64 v[167:168], v[167:168], v[191:192]
	v_add_f64 v[171:172], v[171:172], v[185:186]
	s_waitcnt vmcnt(8) lgkmcnt(0)
	v_mul_f64 v[185:186], v[6:7], v[16:17]
	v_mul_f64 v[16:17], v[8:9], v[16:17]
	v_fma_f64 v[183:184], v[4:5], v[10:11], v[183:184]
	v_fma_f64 v[10:11], v[2:3], v[10:11], -v[12:13]
	ds_load_b128 v[2:5], v1 offset:1696
	v_add_f64 v[12:13], v[167:168], v[189:190]
	v_add_f64 v[167:168], v[171:172], v[187:188]
	v_fma_f64 v[185:186], v[8:9], v[14:15], v[185:186]
	v_fma_f64 v[14:15], v[6:7], v[14:15], -v[16:17]
	ds_load_b128 v[6:9], v1 offset:1712
	s_waitcnt vmcnt(7) lgkmcnt(1)
	v_mul_f64 v[171:172], v[2:3], v[20:21]
	v_mul_f64 v[20:21], v[4:5], v[20:21]
	v_add_f64 v[10:11], v[12:13], v[10:11]
	v_add_f64 v[12:13], v[167:168], v[183:184]
	s_delay_alu instid0(VALU_DEP_4) | instskip(NEXT) | instid1(VALU_DEP_4)
	v_fma_f64 v[167:168], v[4:5], v[18:19], v[171:172]
	v_fma_f64 v[18:19], v[2:3], v[18:19], -v[20:21]
	ds_load_b128 v[2:5], v1 offset:1728
	v_add_f64 v[14:15], v[10:11], v[14:15]
	v_add_f64 v[20:21], v[12:13], v[185:186]
	scratch_load_b128 v[10:13], off, off offset:384
	s_waitcnt vmcnt(7) lgkmcnt(1)
	v_mul_f64 v[16:17], v[6:7], v[24:25]
	v_mul_f64 v[24:25], v[8:9], v[24:25]
	v_add_f64 v[14:15], v[14:15], v[18:19]
	v_add_f64 v[18:19], v[20:21], v[167:168]
	s_delay_alu instid0(VALU_DEP_4) | instskip(NEXT) | instid1(VALU_DEP_4)
	v_fma_f64 v[16:17], v[8:9], v[22:23], v[16:17]
	v_fma_f64 v[22:23], v[6:7], v[22:23], -v[24:25]
	ds_load_b128 v[6:9], v1 offset:1744
	s_waitcnt vmcnt(6) lgkmcnt(1)
	v_mul_f64 v[171:172], v[2:3], v[28:29]
	v_mul_f64 v[28:29], v[4:5], v[28:29]
	s_waitcnt vmcnt(5) lgkmcnt(0)
	v_mul_f64 v[20:21], v[6:7], v[32:33]
	v_mul_f64 v[24:25], v[8:9], v[32:33]
	v_add_f64 v[16:17], v[18:19], v[16:17]
	v_add_f64 v[14:15], v[14:15], v[22:23]
	v_fma_f64 v[32:33], v[4:5], v[26:27], v[171:172]
	v_fma_f64 v[26:27], v[2:3], v[26:27], -v[28:29]
	ds_load_b128 v[2:5], v1 offset:1760
	v_fma_f64 v[20:21], v[8:9], v[30:31], v[20:21]
	v_fma_f64 v[24:25], v[6:7], v[30:31], -v[24:25]
	ds_load_b128 v[6:9], v1 offset:1776
	s_waitcnt vmcnt(4) lgkmcnt(1)
	v_mul_f64 v[18:19], v[2:3], v[36:37]
	v_mul_f64 v[22:23], v[4:5], v[36:37]
	v_add_f64 v[16:17], v[16:17], v[32:33]
	v_add_f64 v[14:15], v[14:15], v[26:27]
	s_waitcnt vmcnt(3) lgkmcnt(0)
	v_mul_f64 v[26:27], v[6:7], v[181:182]
	v_mul_f64 v[28:29], v[8:9], v[181:182]
	v_fma_f64 v[18:19], v[4:5], v[34:35], v[18:19]
	v_fma_f64 v[22:23], v[2:3], v[34:35], -v[22:23]
	ds_load_b128 v[2:5], v1 offset:1792
	v_add_f64 v[16:17], v[16:17], v[20:21]
	v_add_f64 v[14:15], v[14:15], v[24:25]
	v_fma_f64 v[26:27], v[8:9], v[179:180], v[26:27]
	v_fma_f64 v[28:29], v[6:7], v[179:180], -v[28:29]
	ds_load_b128 v[6:9], v1 offset:1808
	s_waitcnt vmcnt(2) lgkmcnt(1)
	v_mul_f64 v[20:21], v[2:3], v[40:41]
	v_mul_f64 v[24:25], v[4:5], v[40:41]
	v_add_f64 v[16:17], v[16:17], v[18:19]
	v_add_f64 v[14:15], v[14:15], v[22:23]
	s_waitcnt vmcnt(1) lgkmcnt(0)
	v_mul_f64 v[18:19], v[6:7], v[177:178]
	v_mul_f64 v[22:23], v[8:9], v[177:178]
	v_fma_f64 v[4:5], v[4:5], v[38:39], v[20:21]
	v_fma_f64 v[1:2], v[2:3], v[38:39], -v[24:25]
	v_add_f64 v[16:17], v[16:17], v[26:27]
	v_add_f64 v[14:15], v[14:15], v[28:29]
	v_fma_f64 v[8:9], v[8:9], v[175:176], v[18:19]
	v_fma_f64 v[6:7], v[6:7], v[175:176], -v[22:23]
	s_delay_alu instid0(VALU_DEP_4) | instskip(NEXT) | instid1(VALU_DEP_4)
	v_add_f64 v[3:4], v[16:17], v[4:5]
	v_add_f64 v[1:2], v[14:15], v[1:2]
	s_delay_alu instid0(VALU_DEP_2) | instskip(NEXT) | instid1(VALU_DEP_2)
	v_add_f64 v[3:4], v[3:4], v[8:9]
	v_add_f64 v[1:2], v[1:2], v[6:7]
	s_waitcnt vmcnt(0)
	s_delay_alu instid0(VALU_DEP_2) | instskip(NEXT) | instid1(VALU_DEP_2)
	v_add_f64 v[3:4], v[12:13], -v[3:4]
	v_add_f64 v[1:2], v[10:11], -v[1:2]
	scratch_store_b128 off, v[1:4], off offset:384
	v_cmpx_lt_u32_e32 23, v156
	s_cbranch_execz .LBB56_309
; %bb.308:
	scratch_load_b128 v[1:4], v253, off
	v_mov_b32_e32 v5, 0
	s_delay_alu instid0(VALU_DEP_1)
	v_mov_b32_e32 v6, v5
	v_mov_b32_e32 v7, v5
	;; [unrolled: 1-line block ×3, first 2 shown]
	scratch_store_b128 off, v[5:8], off offset:368
	s_waitcnt vmcnt(0)
	ds_store_b128 v213, v[1:4]
.LBB56_309:
	s_or_b32 exec_lo, exec_lo, s2
	s_waitcnt lgkmcnt(0)
	s_waitcnt_vscnt null, 0x0
	s_barrier
	buffer_gl0_inv
	s_clause 0x7
	scratch_load_b128 v[2:5], off, off offset:384
	scratch_load_b128 v[6:9], off, off offset:400
	;; [unrolled: 1-line block ×8, first 2 shown]
	v_mov_b32_e32 v1, 0
	s_clause 0x1
	scratch_load_b128 v[34:37], off, off offset:512
	scratch_load_b128 v[179:182], off, off offset:528
	s_mov_b32 s2, exec_lo
	ds_load_b128 v[38:41], v1 offset:1296
	ds_load_b128 v[175:178], v1 offset:1312
	s_waitcnt vmcnt(9) lgkmcnt(1)
	v_mul_f64 v[167:168], v[40:41], v[4:5]
	v_mul_f64 v[4:5], v[38:39], v[4:5]
	s_waitcnt vmcnt(8) lgkmcnt(0)
	v_mul_f64 v[171:172], v[175:176], v[8:9]
	v_mul_f64 v[8:9], v[177:178], v[8:9]
	s_delay_alu instid0(VALU_DEP_4) | instskip(NEXT) | instid1(VALU_DEP_4)
	v_fma_f64 v[167:168], v[38:39], v[2:3], -v[167:168]
	v_fma_f64 v[183:184], v[40:41], v[2:3], v[4:5]
	ds_load_b128 v[2:5], v1 offset:1328
	scratch_load_b128 v[38:41], off, off offset:544
	v_fma_f64 v[171:172], v[177:178], v[6:7], v[171:172]
	v_fma_f64 v[187:188], v[175:176], v[6:7], -v[8:9]
	scratch_load_b128 v[175:178], off, off offset:560
	ds_load_b128 v[6:9], v1 offset:1344
	s_waitcnt vmcnt(9) lgkmcnt(1)
	v_mul_f64 v[185:186], v[2:3], v[12:13]
	v_mul_f64 v[12:13], v[4:5], v[12:13]
	s_waitcnt vmcnt(8) lgkmcnt(0)
	v_mul_f64 v[189:190], v[6:7], v[16:17]
	v_mul_f64 v[16:17], v[8:9], v[16:17]
	v_add_f64 v[167:168], v[167:168], 0
	v_add_f64 v[183:184], v[183:184], 0
	v_fma_f64 v[185:186], v[4:5], v[10:11], v[185:186]
	v_fma_f64 v[191:192], v[2:3], v[10:11], -v[12:13]
	ds_load_b128 v[2:5], v1 offset:1360
	scratch_load_b128 v[10:13], off, off offset:576
	v_add_f64 v[167:168], v[167:168], v[187:188]
	v_add_f64 v[171:172], v[183:184], v[171:172]
	v_fma_f64 v[187:188], v[8:9], v[14:15], v[189:190]
	v_fma_f64 v[189:190], v[6:7], v[14:15], -v[16:17]
	scratch_load_b128 v[14:17], off, off offset:592
	ds_load_b128 v[6:9], v1 offset:1376
	s_waitcnt vmcnt(9) lgkmcnt(1)
	v_mul_f64 v[183:184], v[2:3], v[20:21]
	v_mul_f64 v[20:21], v[4:5], v[20:21]
	v_add_f64 v[167:168], v[167:168], v[191:192]
	v_add_f64 v[171:172], v[171:172], v[185:186]
	s_waitcnt vmcnt(8) lgkmcnt(0)
	v_mul_f64 v[185:186], v[6:7], v[24:25]
	v_mul_f64 v[24:25], v[8:9], v[24:25]
	v_fma_f64 v[183:184], v[4:5], v[18:19], v[183:184]
	v_fma_f64 v[191:192], v[2:3], v[18:19], -v[20:21]
	ds_load_b128 v[2:5], v1 offset:1392
	scratch_load_b128 v[18:21], off, off offset:608
	v_add_f64 v[167:168], v[167:168], v[189:190]
	v_add_f64 v[171:172], v[171:172], v[187:188]
	v_fma_f64 v[185:186], v[8:9], v[22:23], v[185:186]
	v_fma_f64 v[189:190], v[6:7], v[22:23], -v[24:25]
	scratch_load_b128 v[22:25], off, off offset:624
	ds_load_b128 v[6:9], v1 offset:1408
	s_waitcnt vmcnt(9) lgkmcnt(1)
	v_mul_f64 v[187:188], v[2:3], v[28:29]
	v_mul_f64 v[28:29], v[4:5], v[28:29]
	v_add_f64 v[167:168], v[167:168], v[191:192]
	v_add_f64 v[171:172], v[171:172], v[183:184]
	s_waitcnt vmcnt(8) lgkmcnt(0)
	v_mul_f64 v[183:184], v[6:7], v[32:33]
	v_mul_f64 v[32:33], v[8:9], v[32:33]
	;; [unrolled: 18-line block ×7, first 2 shown]
	v_fma_f64 v[183:184], v[4:5], v[26:27], v[183:184]
	v_fma_f64 v[191:192], v[2:3], v[26:27], -v[28:29]
	ds_load_b128 v[2:5], v1 offset:1584
	scratch_load_b128 v[26:29], off, off offset:800
	v_add_f64 v[167:168], v[167:168], v[189:190]
	v_add_f64 v[171:172], v[171:172], v[187:188]
	v_fma_f64 v[185:186], v[8:9], v[30:31], v[185:186]
	v_fma_f64 v[189:190], v[6:7], v[30:31], -v[32:33]
	ds_load_b128 v[6:9], v1 offset:1600
	s_waitcnt vmcnt(8) lgkmcnt(1)
	v_mul_f64 v[187:188], v[2:3], v[36:37]
	v_mul_f64 v[36:37], v[4:5], v[36:37]
	scratch_load_b128 v[30:33], off, off offset:816
	v_add_f64 v[167:168], v[167:168], v[191:192]
	v_add_f64 v[171:172], v[171:172], v[183:184]
	s_waitcnt vmcnt(8) lgkmcnt(0)
	v_mul_f64 v[183:184], v[6:7], v[181:182]
	v_mul_f64 v[181:182], v[8:9], v[181:182]
	v_fma_f64 v[187:188], v[4:5], v[34:35], v[187:188]
	v_fma_f64 v[191:192], v[2:3], v[34:35], -v[36:37]
	scratch_load_b128 v[34:37], off, off offset:832
	ds_load_b128 v[2:5], v1 offset:1616
	v_add_f64 v[167:168], v[167:168], v[189:190]
	v_add_f64 v[171:172], v[171:172], v[185:186]
	v_fma_f64 v[183:184], v[8:9], v[179:180], v[183:184]
	v_fma_f64 v[189:190], v[6:7], v[179:180], -v[181:182]
	ds_load_b128 v[6:9], v1 offset:1632
	s_waitcnt vmcnt(8) lgkmcnt(1)
	v_mul_f64 v[185:186], v[2:3], v[40:41]
	v_mul_f64 v[40:41], v[4:5], v[40:41]
	scratch_load_b128 v[179:182], off, off offset:848
	v_add_f64 v[167:168], v[167:168], v[191:192]
	v_add_f64 v[171:172], v[171:172], v[187:188]
	s_waitcnt vmcnt(8) lgkmcnt(0)
	v_mul_f64 v[187:188], v[6:7], v[177:178]
	v_mul_f64 v[177:178], v[8:9], v[177:178]
	v_fma_f64 v[185:186], v[4:5], v[38:39], v[185:186]
	v_fma_f64 v[191:192], v[2:3], v[38:39], -v[40:41]
	scratch_load_b128 v[38:41], off, off offset:864
	ds_load_b128 v[2:5], v1 offset:1648
	;; [unrolled: 18-line block ×3, first 2 shown]
	v_add_f64 v[167:168], v[167:168], v[189:190]
	v_add_f64 v[171:172], v[171:172], v[187:188]
	v_fma_f64 v[185:186], v[8:9], v[14:15], v[185:186]
	v_fma_f64 v[14:15], v[6:7], v[14:15], -v[16:17]
	ds_load_b128 v[6:9], v1 offset:1696
	s_waitcnt vmcnt(8) lgkmcnt(1)
	v_mul_f64 v[187:188], v[2:3], v[20:21]
	v_mul_f64 v[20:21], v[4:5], v[20:21]
	v_add_f64 v[16:17], v[167:168], v[191:192]
	v_add_f64 v[167:168], v[171:172], v[183:184]
	s_waitcnt vmcnt(7) lgkmcnt(0)
	v_mul_f64 v[171:172], v[6:7], v[24:25]
	v_mul_f64 v[24:25], v[8:9], v[24:25]
	v_fma_f64 v[183:184], v[4:5], v[18:19], v[187:188]
	v_fma_f64 v[18:19], v[2:3], v[18:19], -v[20:21]
	ds_load_b128 v[2:5], v1 offset:1712
	v_add_f64 v[14:15], v[16:17], v[14:15]
	v_add_f64 v[16:17], v[167:168], v[185:186]
	v_fma_f64 v[167:168], v[8:9], v[22:23], v[171:172]
	v_fma_f64 v[22:23], v[6:7], v[22:23], -v[24:25]
	ds_load_b128 v[6:9], v1 offset:1728
	s_waitcnt vmcnt(5) lgkmcnt(0)
	v_mul_f64 v[171:172], v[6:7], v[32:33]
	v_mul_f64 v[32:33], v[8:9], v[32:33]
	v_add_f64 v[18:19], v[14:15], v[18:19]
	v_add_f64 v[24:25], v[16:17], v[183:184]
	scratch_load_b128 v[14:17], off, off offset:368
	v_mul_f64 v[20:21], v[2:3], v[28:29]
	v_mul_f64 v[28:29], v[4:5], v[28:29]
	v_add_f64 v[18:19], v[18:19], v[22:23]
	v_add_f64 v[22:23], v[24:25], v[167:168]
	s_delay_alu instid0(VALU_DEP_4) | instskip(NEXT) | instid1(VALU_DEP_4)
	v_fma_f64 v[20:21], v[4:5], v[26:27], v[20:21]
	v_fma_f64 v[26:27], v[2:3], v[26:27], -v[28:29]
	ds_load_b128 v[2:5], v1 offset:1744
	s_waitcnt vmcnt(5) lgkmcnt(0)
	v_mul_f64 v[24:25], v[2:3], v[36:37]
	v_mul_f64 v[28:29], v[4:5], v[36:37]
	v_fma_f64 v[36:37], v[8:9], v[30:31], v[171:172]
	v_fma_f64 v[30:31], v[6:7], v[30:31], -v[32:33]
	ds_load_b128 v[6:9], v1 offset:1760
	v_add_f64 v[20:21], v[22:23], v[20:21]
	v_add_f64 v[18:19], v[18:19], v[26:27]
	v_fma_f64 v[24:25], v[4:5], v[34:35], v[24:25]
	v_fma_f64 v[28:29], v[2:3], v[34:35], -v[28:29]
	ds_load_b128 v[2:5], v1 offset:1776
	s_waitcnt vmcnt(4) lgkmcnt(1)
	v_mul_f64 v[22:23], v[6:7], v[181:182]
	v_mul_f64 v[26:27], v[8:9], v[181:182]
	v_add_f64 v[20:21], v[20:21], v[36:37]
	v_add_f64 v[18:19], v[18:19], v[30:31]
	s_waitcnt vmcnt(3) lgkmcnt(0)
	v_mul_f64 v[30:31], v[2:3], v[40:41]
	v_mul_f64 v[32:33], v[4:5], v[40:41]
	v_fma_f64 v[22:23], v[8:9], v[179:180], v[22:23]
	v_fma_f64 v[26:27], v[6:7], v[179:180], -v[26:27]
	ds_load_b128 v[6:9], v1 offset:1792
	v_add_f64 v[20:21], v[20:21], v[24:25]
	v_add_f64 v[18:19], v[18:19], v[28:29]
	v_fma_f64 v[30:31], v[4:5], v[38:39], v[30:31]
	v_fma_f64 v[32:33], v[2:3], v[38:39], -v[32:33]
	ds_load_b128 v[2:5], v1 offset:1808
	s_waitcnt vmcnt(2) lgkmcnt(1)
	v_mul_f64 v[24:25], v[6:7], v[177:178]
	v_mul_f64 v[28:29], v[8:9], v[177:178]
	v_add_f64 v[20:21], v[20:21], v[22:23]
	v_add_f64 v[18:19], v[18:19], v[26:27]
	s_waitcnt vmcnt(1) lgkmcnt(0)
	v_mul_f64 v[22:23], v[2:3], v[12:13]
	v_mul_f64 v[12:13], v[4:5], v[12:13]
	v_fma_f64 v[8:9], v[8:9], v[175:176], v[24:25]
	v_fma_f64 v[6:7], v[6:7], v[175:176], -v[28:29]
	v_add_f64 v[20:21], v[20:21], v[30:31]
	v_add_f64 v[18:19], v[18:19], v[32:33]
	v_fma_f64 v[4:5], v[4:5], v[10:11], v[22:23]
	v_fma_f64 v[2:3], v[2:3], v[10:11], -v[12:13]
	s_delay_alu instid0(VALU_DEP_4) | instskip(NEXT) | instid1(VALU_DEP_4)
	v_add_f64 v[8:9], v[20:21], v[8:9]
	v_add_f64 v[6:7], v[18:19], v[6:7]
	s_delay_alu instid0(VALU_DEP_2) | instskip(NEXT) | instid1(VALU_DEP_2)
	v_add_f64 v[4:5], v[8:9], v[4:5]
	v_add_f64 v[2:3], v[6:7], v[2:3]
	s_waitcnt vmcnt(0)
	s_delay_alu instid0(VALU_DEP_2) | instskip(NEXT) | instid1(VALU_DEP_2)
	v_add_f64 v[4:5], v[16:17], -v[4:5]
	v_add_f64 v[2:3], v[14:15], -v[2:3]
	scratch_store_b128 off, v[2:5], off offset:368
	v_cmpx_lt_u32_e32 22, v156
	s_cbranch_execz .LBB56_311
; %bb.310:
	scratch_load_b128 v[5:8], v254, off
	v_mov_b32_e32 v2, v1
	v_mov_b32_e32 v3, v1
	v_mov_b32_e32 v4, v1
	scratch_store_b128 off, v[1:4], off offset:352
	s_waitcnt vmcnt(0)
	ds_store_b128 v213, v[5:8]
.LBB56_311:
	s_or_b32 exec_lo, exec_lo, s2
	s_waitcnt lgkmcnt(0)
	s_waitcnt_vscnt null, 0x0
	s_barrier
	buffer_gl0_inv
	s_clause 0x7
	scratch_load_b128 v[2:5], off, off offset:368
	scratch_load_b128 v[6:9], off, off offset:384
	;; [unrolled: 1-line block ×8, first 2 shown]
	ds_load_b128 v[38:41], v1 offset:1280
	ds_load_b128 v[175:178], v1 offset:1296
	s_clause 0x1
	scratch_load_b128 v[34:37], off, off offset:496
	scratch_load_b128 v[179:182], off, off offset:512
	s_mov_b32 s2, exec_lo
	s_waitcnt vmcnt(9) lgkmcnt(1)
	v_mul_f64 v[167:168], v[40:41], v[4:5]
	v_mul_f64 v[4:5], v[38:39], v[4:5]
	s_waitcnt vmcnt(8) lgkmcnt(0)
	v_mul_f64 v[171:172], v[175:176], v[8:9]
	v_mul_f64 v[8:9], v[177:178], v[8:9]
	s_delay_alu instid0(VALU_DEP_4) | instskip(NEXT) | instid1(VALU_DEP_4)
	v_fma_f64 v[167:168], v[38:39], v[2:3], -v[167:168]
	v_fma_f64 v[183:184], v[40:41], v[2:3], v[4:5]
	ds_load_b128 v[2:5], v1 offset:1312
	scratch_load_b128 v[38:41], off, off offset:528
	v_fma_f64 v[171:172], v[177:178], v[6:7], v[171:172]
	v_fma_f64 v[187:188], v[175:176], v[6:7], -v[8:9]
	scratch_load_b128 v[175:178], off, off offset:544
	ds_load_b128 v[6:9], v1 offset:1328
	s_waitcnt vmcnt(9) lgkmcnt(1)
	v_mul_f64 v[185:186], v[2:3], v[12:13]
	v_mul_f64 v[12:13], v[4:5], v[12:13]
	s_waitcnt vmcnt(8) lgkmcnt(0)
	v_mul_f64 v[189:190], v[6:7], v[16:17]
	v_mul_f64 v[16:17], v[8:9], v[16:17]
	v_add_f64 v[167:168], v[167:168], 0
	v_add_f64 v[183:184], v[183:184], 0
	v_fma_f64 v[185:186], v[4:5], v[10:11], v[185:186]
	v_fma_f64 v[191:192], v[2:3], v[10:11], -v[12:13]
	ds_load_b128 v[2:5], v1 offset:1344
	scratch_load_b128 v[10:13], off, off offset:560
	v_add_f64 v[167:168], v[167:168], v[187:188]
	v_add_f64 v[171:172], v[183:184], v[171:172]
	v_fma_f64 v[187:188], v[8:9], v[14:15], v[189:190]
	v_fma_f64 v[189:190], v[6:7], v[14:15], -v[16:17]
	scratch_load_b128 v[14:17], off, off offset:576
	ds_load_b128 v[6:9], v1 offset:1360
	s_waitcnt vmcnt(9) lgkmcnt(1)
	v_mul_f64 v[183:184], v[2:3], v[20:21]
	v_mul_f64 v[20:21], v[4:5], v[20:21]
	v_add_f64 v[167:168], v[167:168], v[191:192]
	v_add_f64 v[171:172], v[171:172], v[185:186]
	s_waitcnt vmcnt(8) lgkmcnt(0)
	v_mul_f64 v[185:186], v[6:7], v[24:25]
	v_mul_f64 v[24:25], v[8:9], v[24:25]
	v_fma_f64 v[183:184], v[4:5], v[18:19], v[183:184]
	v_fma_f64 v[191:192], v[2:3], v[18:19], -v[20:21]
	ds_load_b128 v[2:5], v1 offset:1376
	scratch_load_b128 v[18:21], off, off offset:592
	v_add_f64 v[167:168], v[167:168], v[189:190]
	v_add_f64 v[171:172], v[171:172], v[187:188]
	v_fma_f64 v[185:186], v[8:9], v[22:23], v[185:186]
	v_fma_f64 v[189:190], v[6:7], v[22:23], -v[24:25]
	scratch_load_b128 v[22:25], off, off offset:608
	ds_load_b128 v[6:9], v1 offset:1392
	s_waitcnt vmcnt(9) lgkmcnt(1)
	v_mul_f64 v[187:188], v[2:3], v[28:29]
	v_mul_f64 v[28:29], v[4:5], v[28:29]
	v_add_f64 v[167:168], v[167:168], v[191:192]
	v_add_f64 v[171:172], v[171:172], v[183:184]
	s_waitcnt vmcnt(8) lgkmcnt(0)
	v_mul_f64 v[183:184], v[6:7], v[32:33]
	v_mul_f64 v[32:33], v[8:9], v[32:33]
	;; [unrolled: 18-line block ×7, first 2 shown]
	v_fma_f64 v[183:184], v[4:5], v[26:27], v[183:184]
	v_fma_f64 v[191:192], v[2:3], v[26:27], -v[28:29]
	ds_load_b128 v[2:5], v1 offset:1568
	scratch_load_b128 v[26:29], off, off offset:784
	v_add_f64 v[167:168], v[167:168], v[189:190]
	v_add_f64 v[171:172], v[171:172], v[187:188]
	v_fma_f64 v[185:186], v[8:9], v[30:31], v[185:186]
	v_fma_f64 v[189:190], v[6:7], v[30:31], -v[32:33]
	ds_load_b128 v[6:9], v1 offset:1584
	s_waitcnt vmcnt(8) lgkmcnt(1)
	v_mul_f64 v[187:188], v[2:3], v[36:37]
	v_mul_f64 v[36:37], v[4:5], v[36:37]
	scratch_load_b128 v[30:33], off, off offset:800
	v_add_f64 v[167:168], v[167:168], v[191:192]
	v_add_f64 v[171:172], v[171:172], v[183:184]
	s_waitcnt vmcnt(8) lgkmcnt(0)
	v_mul_f64 v[183:184], v[6:7], v[181:182]
	v_mul_f64 v[181:182], v[8:9], v[181:182]
	v_fma_f64 v[187:188], v[4:5], v[34:35], v[187:188]
	v_fma_f64 v[191:192], v[2:3], v[34:35], -v[36:37]
	ds_load_b128 v[2:5], v1 offset:1600
	scratch_load_b128 v[34:37], off, off offset:816
	v_add_f64 v[167:168], v[167:168], v[189:190]
	v_add_f64 v[171:172], v[171:172], v[185:186]
	v_fma_f64 v[183:184], v[8:9], v[179:180], v[183:184]
	v_fma_f64 v[189:190], v[6:7], v[179:180], -v[181:182]
	ds_load_b128 v[6:9], v1 offset:1616
	s_waitcnt vmcnt(8) lgkmcnt(1)
	v_mul_f64 v[185:186], v[2:3], v[40:41]
	v_mul_f64 v[40:41], v[4:5], v[40:41]
	scratch_load_b128 v[179:182], off, off offset:832
	v_add_f64 v[167:168], v[167:168], v[191:192]
	v_add_f64 v[171:172], v[171:172], v[187:188]
	s_waitcnt vmcnt(8) lgkmcnt(0)
	v_mul_f64 v[187:188], v[6:7], v[177:178]
	v_mul_f64 v[177:178], v[8:9], v[177:178]
	v_fma_f64 v[185:186], v[4:5], v[38:39], v[185:186]
	v_fma_f64 v[191:192], v[2:3], v[38:39], -v[40:41]
	scratch_load_b128 v[38:41], off, off offset:848
	ds_load_b128 v[2:5], v1 offset:1632
	v_add_f64 v[167:168], v[167:168], v[189:190]
	v_add_f64 v[171:172], v[171:172], v[183:184]
	v_fma_f64 v[187:188], v[8:9], v[175:176], v[187:188]
	v_fma_f64 v[189:190], v[6:7], v[175:176], -v[177:178]
	ds_load_b128 v[6:9], v1 offset:1648
	s_waitcnt vmcnt(8) lgkmcnt(1)
	v_mul_f64 v[183:184], v[2:3], v[12:13]
	v_mul_f64 v[12:13], v[4:5], v[12:13]
	scratch_load_b128 v[175:178], off, off offset:864
	v_add_f64 v[167:168], v[167:168], v[191:192]
	v_add_f64 v[171:172], v[171:172], v[185:186]
	s_waitcnt vmcnt(8) lgkmcnt(0)
	v_mul_f64 v[185:186], v[6:7], v[16:17]
	v_mul_f64 v[16:17], v[8:9], v[16:17]
	v_fma_f64 v[183:184], v[4:5], v[10:11], v[183:184]
	v_fma_f64 v[191:192], v[2:3], v[10:11], -v[12:13]
	scratch_load_b128 v[10:13], off, off offset:880
	ds_load_b128 v[2:5], v1 offset:1664
	v_add_f64 v[167:168], v[167:168], v[189:190]
	v_add_f64 v[171:172], v[171:172], v[187:188]
	v_fma_f64 v[185:186], v[8:9], v[14:15], v[185:186]
	v_fma_f64 v[189:190], v[6:7], v[14:15], -v[16:17]
	ds_load_b128 v[6:9], v1 offset:1680
	s_waitcnt vmcnt(8) lgkmcnt(1)
	v_mul_f64 v[187:188], v[2:3], v[20:21]
	v_mul_f64 v[20:21], v[4:5], v[20:21]
	scratch_load_b128 v[14:17], off, off offset:896
	v_add_f64 v[167:168], v[167:168], v[191:192]
	v_add_f64 v[171:172], v[171:172], v[183:184]
	s_waitcnt vmcnt(8) lgkmcnt(0)
	v_mul_f64 v[183:184], v[6:7], v[24:25]
	v_mul_f64 v[24:25], v[8:9], v[24:25]
	v_fma_f64 v[187:188], v[4:5], v[18:19], v[187:188]
	v_fma_f64 v[18:19], v[2:3], v[18:19], -v[20:21]
	ds_load_b128 v[2:5], v1 offset:1696
	v_add_f64 v[20:21], v[167:168], v[189:190]
	v_add_f64 v[167:168], v[171:172], v[185:186]
	v_fma_f64 v[183:184], v[8:9], v[22:23], v[183:184]
	v_fma_f64 v[22:23], v[6:7], v[22:23], -v[24:25]
	ds_load_b128 v[6:9], v1 offset:1712
	s_waitcnt vmcnt(7) lgkmcnt(1)
	v_mul_f64 v[171:172], v[2:3], v[28:29]
	v_mul_f64 v[28:29], v[4:5], v[28:29]
	v_add_f64 v[18:19], v[20:21], v[18:19]
	v_add_f64 v[20:21], v[167:168], v[187:188]
	s_delay_alu instid0(VALU_DEP_4) | instskip(NEXT) | instid1(VALU_DEP_4)
	v_fma_f64 v[167:168], v[4:5], v[26:27], v[171:172]
	v_fma_f64 v[26:27], v[2:3], v[26:27], -v[28:29]
	ds_load_b128 v[2:5], v1 offset:1728
	v_add_f64 v[22:23], v[18:19], v[22:23]
	v_add_f64 v[28:29], v[20:21], v[183:184]
	scratch_load_b128 v[18:21], off, off offset:352
	s_waitcnt vmcnt(7) lgkmcnt(1)
	v_mul_f64 v[24:25], v[6:7], v[32:33]
	v_mul_f64 v[32:33], v[8:9], v[32:33]
	v_add_f64 v[22:23], v[22:23], v[26:27]
	v_add_f64 v[26:27], v[28:29], v[167:168]
	s_delay_alu instid0(VALU_DEP_4) | instskip(NEXT) | instid1(VALU_DEP_4)
	v_fma_f64 v[24:25], v[8:9], v[30:31], v[24:25]
	v_fma_f64 v[30:31], v[6:7], v[30:31], -v[32:33]
	ds_load_b128 v[6:9], v1 offset:1744
	s_waitcnt vmcnt(6) lgkmcnt(1)
	v_mul_f64 v[171:172], v[2:3], v[36:37]
	v_mul_f64 v[36:37], v[4:5], v[36:37]
	s_waitcnt vmcnt(5) lgkmcnt(0)
	v_mul_f64 v[28:29], v[6:7], v[181:182]
	v_mul_f64 v[32:33], v[8:9], v[181:182]
	v_add_f64 v[24:25], v[26:27], v[24:25]
	v_add_f64 v[22:23], v[22:23], v[30:31]
	v_fma_f64 v[167:168], v[4:5], v[34:35], v[171:172]
	v_fma_f64 v[34:35], v[2:3], v[34:35], -v[36:37]
	ds_load_b128 v[2:5], v1 offset:1760
	v_fma_f64 v[28:29], v[8:9], v[179:180], v[28:29]
	v_fma_f64 v[32:33], v[6:7], v[179:180], -v[32:33]
	ds_load_b128 v[6:9], v1 offset:1776
	s_waitcnt vmcnt(4) lgkmcnt(1)
	v_mul_f64 v[26:27], v[2:3], v[40:41]
	v_mul_f64 v[30:31], v[4:5], v[40:41]
	v_add_f64 v[24:25], v[24:25], v[167:168]
	v_add_f64 v[22:23], v[22:23], v[34:35]
	s_waitcnt vmcnt(3) lgkmcnt(0)
	v_mul_f64 v[34:35], v[6:7], v[177:178]
	v_mul_f64 v[36:37], v[8:9], v[177:178]
	v_fma_f64 v[26:27], v[4:5], v[38:39], v[26:27]
	v_fma_f64 v[30:31], v[2:3], v[38:39], -v[30:31]
	ds_load_b128 v[2:5], v1 offset:1792
	v_add_f64 v[24:25], v[24:25], v[28:29]
	v_add_f64 v[22:23], v[22:23], v[32:33]
	v_fma_f64 v[32:33], v[8:9], v[175:176], v[34:35]
	v_fma_f64 v[34:35], v[6:7], v[175:176], -v[36:37]
	ds_load_b128 v[6:9], v1 offset:1808
	s_waitcnt vmcnt(2) lgkmcnt(1)
	v_mul_f64 v[28:29], v[2:3], v[12:13]
	v_mul_f64 v[12:13], v[4:5], v[12:13]
	v_add_f64 v[24:25], v[24:25], v[26:27]
	v_add_f64 v[22:23], v[22:23], v[30:31]
	s_waitcnt vmcnt(1) lgkmcnt(0)
	v_mul_f64 v[26:27], v[6:7], v[16:17]
	v_mul_f64 v[16:17], v[8:9], v[16:17]
	v_fma_f64 v[4:5], v[4:5], v[10:11], v[28:29]
	v_fma_f64 v[1:2], v[2:3], v[10:11], -v[12:13]
	v_add_f64 v[12:13], v[24:25], v[32:33]
	v_add_f64 v[10:11], v[22:23], v[34:35]
	v_fma_f64 v[8:9], v[8:9], v[14:15], v[26:27]
	v_fma_f64 v[6:7], v[6:7], v[14:15], -v[16:17]
	s_delay_alu instid0(VALU_DEP_4) | instskip(NEXT) | instid1(VALU_DEP_4)
	v_add_f64 v[3:4], v[12:13], v[4:5]
	v_add_f64 v[1:2], v[10:11], v[1:2]
	s_delay_alu instid0(VALU_DEP_2) | instskip(NEXT) | instid1(VALU_DEP_2)
	v_add_f64 v[3:4], v[3:4], v[8:9]
	v_add_f64 v[1:2], v[1:2], v[6:7]
	s_waitcnt vmcnt(0)
	s_delay_alu instid0(VALU_DEP_2) | instskip(NEXT) | instid1(VALU_DEP_2)
	v_add_f64 v[3:4], v[20:21], -v[3:4]
	v_add_f64 v[1:2], v[18:19], -v[1:2]
	scratch_store_b128 off, v[1:4], off offset:352
	v_cmpx_lt_u32_e32 21, v156
	s_cbranch_execz .LBB56_313
; %bb.312:
	scratch_load_b128 v[1:4], v255, off
	v_mov_b32_e32 v5, 0
	s_delay_alu instid0(VALU_DEP_1)
	v_mov_b32_e32 v6, v5
	v_mov_b32_e32 v7, v5
	;; [unrolled: 1-line block ×3, first 2 shown]
	scratch_store_b128 off, v[5:8], off offset:336
	s_waitcnt vmcnt(0)
	ds_store_b128 v213, v[1:4]
.LBB56_313:
	s_or_b32 exec_lo, exec_lo, s2
	s_waitcnt lgkmcnt(0)
	s_waitcnt_vscnt null, 0x0
	s_barrier
	buffer_gl0_inv
	s_clause 0x7
	scratch_load_b128 v[2:5], off, off offset:352
	scratch_load_b128 v[6:9], off, off offset:368
	;; [unrolled: 1-line block ×8, first 2 shown]
	v_mov_b32_e32 v1, 0
	s_clause 0x1
	scratch_load_b128 v[34:37], off, off offset:480
	scratch_load_b128 v[179:182], off, off offset:496
	s_mov_b32 s2, exec_lo
	ds_load_b128 v[38:41], v1 offset:1264
	ds_load_b128 v[175:178], v1 offset:1280
	s_waitcnt vmcnt(9) lgkmcnt(1)
	v_mul_f64 v[167:168], v[40:41], v[4:5]
	v_mul_f64 v[4:5], v[38:39], v[4:5]
	s_waitcnt vmcnt(8) lgkmcnt(0)
	v_mul_f64 v[171:172], v[175:176], v[8:9]
	v_mul_f64 v[8:9], v[177:178], v[8:9]
	s_delay_alu instid0(VALU_DEP_4) | instskip(NEXT) | instid1(VALU_DEP_4)
	v_fma_f64 v[167:168], v[38:39], v[2:3], -v[167:168]
	v_fma_f64 v[183:184], v[40:41], v[2:3], v[4:5]
	ds_load_b128 v[2:5], v1 offset:1296
	scratch_load_b128 v[38:41], off, off offset:512
	v_fma_f64 v[171:172], v[177:178], v[6:7], v[171:172]
	v_fma_f64 v[187:188], v[175:176], v[6:7], -v[8:9]
	scratch_load_b128 v[175:178], off, off offset:528
	ds_load_b128 v[6:9], v1 offset:1312
	s_waitcnt vmcnt(9) lgkmcnt(1)
	v_mul_f64 v[185:186], v[2:3], v[12:13]
	v_mul_f64 v[12:13], v[4:5], v[12:13]
	s_waitcnt vmcnt(8) lgkmcnt(0)
	v_mul_f64 v[189:190], v[6:7], v[16:17]
	v_mul_f64 v[16:17], v[8:9], v[16:17]
	v_add_f64 v[167:168], v[167:168], 0
	v_add_f64 v[183:184], v[183:184], 0
	v_fma_f64 v[185:186], v[4:5], v[10:11], v[185:186]
	v_fma_f64 v[191:192], v[2:3], v[10:11], -v[12:13]
	ds_load_b128 v[2:5], v1 offset:1328
	scratch_load_b128 v[10:13], off, off offset:544
	v_add_f64 v[167:168], v[167:168], v[187:188]
	v_add_f64 v[171:172], v[183:184], v[171:172]
	v_fma_f64 v[187:188], v[8:9], v[14:15], v[189:190]
	v_fma_f64 v[189:190], v[6:7], v[14:15], -v[16:17]
	scratch_load_b128 v[14:17], off, off offset:560
	ds_load_b128 v[6:9], v1 offset:1344
	s_waitcnt vmcnt(9) lgkmcnt(1)
	v_mul_f64 v[183:184], v[2:3], v[20:21]
	v_mul_f64 v[20:21], v[4:5], v[20:21]
	v_add_f64 v[167:168], v[167:168], v[191:192]
	v_add_f64 v[171:172], v[171:172], v[185:186]
	s_waitcnt vmcnt(8) lgkmcnt(0)
	v_mul_f64 v[185:186], v[6:7], v[24:25]
	v_mul_f64 v[24:25], v[8:9], v[24:25]
	v_fma_f64 v[183:184], v[4:5], v[18:19], v[183:184]
	v_fma_f64 v[191:192], v[2:3], v[18:19], -v[20:21]
	ds_load_b128 v[2:5], v1 offset:1360
	scratch_load_b128 v[18:21], off, off offset:576
	v_add_f64 v[167:168], v[167:168], v[189:190]
	v_add_f64 v[171:172], v[171:172], v[187:188]
	v_fma_f64 v[185:186], v[8:9], v[22:23], v[185:186]
	v_fma_f64 v[189:190], v[6:7], v[22:23], -v[24:25]
	scratch_load_b128 v[22:25], off, off offset:592
	ds_load_b128 v[6:9], v1 offset:1376
	s_waitcnt vmcnt(9) lgkmcnt(1)
	v_mul_f64 v[187:188], v[2:3], v[28:29]
	v_mul_f64 v[28:29], v[4:5], v[28:29]
	v_add_f64 v[167:168], v[167:168], v[191:192]
	v_add_f64 v[171:172], v[171:172], v[183:184]
	s_waitcnt vmcnt(8) lgkmcnt(0)
	v_mul_f64 v[183:184], v[6:7], v[32:33]
	v_mul_f64 v[32:33], v[8:9], v[32:33]
	;; [unrolled: 18-line block ×8, first 2 shown]
	v_fma_f64 v[187:188], v[4:5], v[34:35], v[187:188]
	v_fma_f64 v[191:192], v[2:3], v[34:35], -v[36:37]
	ds_load_b128 v[2:5], v1 offset:1584
	scratch_load_b128 v[34:37], off, off offset:800
	v_add_f64 v[167:168], v[167:168], v[189:190]
	v_add_f64 v[171:172], v[171:172], v[185:186]
	v_fma_f64 v[183:184], v[8:9], v[179:180], v[183:184]
	v_fma_f64 v[189:190], v[6:7], v[179:180], -v[181:182]
	ds_load_b128 v[6:9], v1 offset:1600
	s_waitcnt vmcnt(8) lgkmcnt(1)
	v_mul_f64 v[185:186], v[2:3], v[40:41]
	v_mul_f64 v[40:41], v[4:5], v[40:41]
	scratch_load_b128 v[179:182], off, off offset:816
	v_add_f64 v[167:168], v[167:168], v[191:192]
	v_add_f64 v[171:172], v[171:172], v[187:188]
	s_waitcnt vmcnt(8) lgkmcnt(0)
	v_mul_f64 v[187:188], v[6:7], v[177:178]
	v_mul_f64 v[177:178], v[8:9], v[177:178]
	v_fma_f64 v[185:186], v[4:5], v[38:39], v[185:186]
	v_fma_f64 v[191:192], v[2:3], v[38:39], -v[40:41]
	scratch_load_b128 v[38:41], off, off offset:832
	ds_load_b128 v[2:5], v1 offset:1616
	v_add_f64 v[167:168], v[167:168], v[189:190]
	v_add_f64 v[171:172], v[171:172], v[183:184]
	v_fma_f64 v[187:188], v[8:9], v[175:176], v[187:188]
	v_fma_f64 v[189:190], v[6:7], v[175:176], -v[177:178]
	ds_load_b128 v[6:9], v1 offset:1632
	s_waitcnt vmcnt(8) lgkmcnt(1)
	v_mul_f64 v[183:184], v[2:3], v[12:13]
	v_mul_f64 v[12:13], v[4:5], v[12:13]
	scratch_load_b128 v[175:178], off, off offset:848
	v_add_f64 v[167:168], v[167:168], v[191:192]
	v_add_f64 v[171:172], v[171:172], v[185:186]
	s_waitcnt vmcnt(8) lgkmcnt(0)
	v_mul_f64 v[185:186], v[6:7], v[16:17]
	v_mul_f64 v[16:17], v[8:9], v[16:17]
	v_fma_f64 v[183:184], v[4:5], v[10:11], v[183:184]
	v_fma_f64 v[191:192], v[2:3], v[10:11], -v[12:13]
	scratch_load_b128 v[10:13], off, off offset:864
	ds_load_b128 v[2:5], v1 offset:1648
	;; [unrolled: 18-line block ×3, first 2 shown]
	v_add_f64 v[167:168], v[167:168], v[189:190]
	v_add_f64 v[171:172], v[171:172], v[185:186]
	v_fma_f64 v[183:184], v[8:9], v[22:23], v[183:184]
	v_fma_f64 v[22:23], v[6:7], v[22:23], -v[24:25]
	ds_load_b128 v[6:9], v1 offset:1696
	s_waitcnt vmcnt(8) lgkmcnt(1)
	v_mul_f64 v[185:186], v[2:3], v[28:29]
	v_mul_f64 v[28:29], v[4:5], v[28:29]
	v_add_f64 v[24:25], v[167:168], v[191:192]
	v_add_f64 v[167:168], v[171:172], v[187:188]
	s_waitcnt vmcnt(7) lgkmcnt(0)
	v_mul_f64 v[171:172], v[6:7], v[32:33]
	v_mul_f64 v[32:33], v[8:9], v[32:33]
	v_fma_f64 v[185:186], v[4:5], v[26:27], v[185:186]
	v_fma_f64 v[26:27], v[2:3], v[26:27], -v[28:29]
	ds_load_b128 v[2:5], v1 offset:1712
	v_add_f64 v[22:23], v[24:25], v[22:23]
	v_add_f64 v[24:25], v[167:168], v[183:184]
	v_fma_f64 v[167:168], v[8:9], v[30:31], v[171:172]
	v_fma_f64 v[30:31], v[6:7], v[30:31], -v[32:33]
	ds_load_b128 v[6:9], v1 offset:1728
	s_waitcnt vmcnt(5) lgkmcnt(0)
	v_mul_f64 v[171:172], v[6:7], v[181:182]
	v_mul_f64 v[181:182], v[8:9], v[181:182]
	v_add_f64 v[26:27], v[22:23], v[26:27]
	v_add_f64 v[32:33], v[24:25], v[185:186]
	scratch_load_b128 v[22:25], off, off offset:336
	v_mul_f64 v[28:29], v[2:3], v[36:37]
	v_mul_f64 v[36:37], v[4:5], v[36:37]
	v_add_f64 v[26:27], v[26:27], v[30:31]
	v_add_f64 v[30:31], v[32:33], v[167:168]
	v_fma_f64 v[167:168], v[6:7], v[179:180], -v[181:182]
	v_fma_f64 v[28:29], v[4:5], v[34:35], v[28:29]
	v_fma_f64 v[34:35], v[2:3], v[34:35], -v[36:37]
	ds_load_b128 v[2:5], v1 offset:1744
	s_waitcnt vmcnt(5) lgkmcnt(0)
	v_mul_f64 v[32:33], v[2:3], v[40:41]
	v_mul_f64 v[36:37], v[4:5], v[40:41]
	v_fma_f64 v[40:41], v[8:9], v[179:180], v[171:172]
	ds_load_b128 v[6:9], v1 offset:1760
	v_add_f64 v[28:29], v[30:31], v[28:29]
	v_add_f64 v[26:27], v[26:27], v[34:35]
	v_fma_f64 v[32:33], v[4:5], v[38:39], v[32:33]
	v_fma_f64 v[36:37], v[2:3], v[38:39], -v[36:37]
	ds_load_b128 v[2:5], v1 offset:1776
	s_waitcnt vmcnt(4) lgkmcnt(1)
	v_mul_f64 v[30:31], v[6:7], v[177:178]
	v_mul_f64 v[34:35], v[8:9], v[177:178]
	v_add_f64 v[28:29], v[28:29], v[40:41]
	v_add_f64 v[26:27], v[26:27], v[167:168]
	s_waitcnt vmcnt(3) lgkmcnt(0)
	v_mul_f64 v[38:39], v[2:3], v[12:13]
	v_mul_f64 v[12:13], v[4:5], v[12:13]
	v_fma_f64 v[30:31], v[8:9], v[175:176], v[30:31]
	v_fma_f64 v[34:35], v[6:7], v[175:176], -v[34:35]
	ds_load_b128 v[6:9], v1 offset:1792
	v_add_f64 v[28:29], v[28:29], v[32:33]
	v_add_f64 v[26:27], v[26:27], v[36:37]
	v_fma_f64 v[36:37], v[4:5], v[10:11], v[38:39]
	v_fma_f64 v[10:11], v[2:3], v[10:11], -v[12:13]
	ds_load_b128 v[2:5], v1 offset:1808
	s_waitcnt vmcnt(2) lgkmcnt(1)
	v_mul_f64 v[32:33], v[6:7], v[16:17]
	v_mul_f64 v[16:17], v[8:9], v[16:17]
	v_add_f64 v[12:13], v[26:27], v[34:35]
	v_add_f64 v[26:27], v[28:29], v[30:31]
	s_waitcnt vmcnt(1) lgkmcnt(0)
	v_mul_f64 v[28:29], v[2:3], v[20:21]
	v_mul_f64 v[20:21], v[4:5], v[20:21]
	v_fma_f64 v[8:9], v[8:9], v[14:15], v[32:33]
	v_fma_f64 v[6:7], v[6:7], v[14:15], -v[16:17]
	v_add_f64 v[10:11], v[12:13], v[10:11]
	v_add_f64 v[12:13], v[26:27], v[36:37]
	v_fma_f64 v[4:5], v[4:5], v[18:19], v[28:29]
	v_fma_f64 v[2:3], v[2:3], v[18:19], -v[20:21]
	s_delay_alu instid0(VALU_DEP_4) | instskip(NEXT) | instid1(VALU_DEP_4)
	v_add_f64 v[6:7], v[10:11], v[6:7]
	v_add_f64 v[8:9], v[12:13], v[8:9]
	s_delay_alu instid0(VALU_DEP_2) | instskip(NEXT) | instid1(VALU_DEP_2)
	v_add_f64 v[2:3], v[6:7], v[2:3]
	v_add_f64 v[4:5], v[8:9], v[4:5]
	s_waitcnt vmcnt(0)
	s_delay_alu instid0(VALU_DEP_2) | instskip(NEXT) | instid1(VALU_DEP_2)
	v_add_f64 v[2:3], v[22:23], -v[2:3]
	v_add_f64 v[4:5], v[24:25], -v[4:5]
	scratch_store_b128 off, v[2:5], off offset:336
	v_cmpx_lt_u32_e32 20, v156
	s_cbranch_execz .LBB56_315
; %bb.314:
	scratch_load_b128 v[5:8], v193, off
	v_mov_b32_e32 v2, v1
	v_mov_b32_e32 v3, v1
	;; [unrolled: 1-line block ×3, first 2 shown]
	scratch_store_b128 off, v[1:4], off offset:320
	s_waitcnt vmcnt(0)
	ds_store_b128 v213, v[5:8]
.LBB56_315:
	s_or_b32 exec_lo, exec_lo, s2
	s_waitcnt lgkmcnt(0)
	s_waitcnt_vscnt null, 0x0
	s_barrier
	buffer_gl0_inv
	s_clause 0x7
	scratch_load_b128 v[2:5], off, off offset:336
	scratch_load_b128 v[6:9], off, off offset:352
	;; [unrolled: 1-line block ×8, first 2 shown]
	ds_load_b128 v[38:41], v1 offset:1248
	ds_load_b128 v[175:178], v1 offset:1264
	s_clause 0x1
	scratch_load_b128 v[34:37], off, off offset:464
	scratch_load_b128 v[179:182], off, off offset:480
	s_mov_b32 s2, exec_lo
	s_waitcnt vmcnt(9) lgkmcnt(1)
	v_mul_f64 v[167:168], v[40:41], v[4:5]
	v_mul_f64 v[4:5], v[38:39], v[4:5]
	s_waitcnt vmcnt(8) lgkmcnt(0)
	v_mul_f64 v[171:172], v[175:176], v[8:9]
	v_mul_f64 v[8:9], v[177:178], v[8:9]
	s_delay_alu instid0(VALU_DEP_4) | instskip(NEXT) | instid1(VALU_DEP_4)
	v_fma_f64 v[167:168], v[38:39], v[2:3], -v[167:168]
	v_fma_f64 v[183:184], v[40:41], v[2:3], v[4:5]
	ds_load_b128 v[2:5], v1 offset:1280
	scratch_load_b128 v[38:41], off, off offset:496
	v_fma_f64 v[171:172], v[177:178], v[6:7], v[171:172]
	v_fma_f64 v[187:188], v[175:176], v[6:7], -v[8:9]
	scratch_load_b128 v[175:178], off, off offset:512
	ds_load_b128 v[6:9], v1 offset:1296
	s_waitcnt vmcnt(9) lgkmcnt(1)
	v_mul_f64 v[185:186], v[2:3], v[12:13]
	v_mul_f64 v[12:13], v[4:5], v[12:13]
	s_waitcnt vmcnt(8) lgkmcnt(0)
	v_mul_f64 v[189:190], v[6:7], v[16:17]
	v_mul_f64 v[16:17], v[8:9], v[16:17]
	v_add_f64 v[167:168], v[167:168], 0
	v_add_f64 v[183:184], v[183:184], 0
	v_fma_f64 v[185:186], v[4:5], v[10:11], v[185:186]
	v_fma_f64 v[191:192], v[2:3], v[10:11], -v[12:13]
	ds_load_b128 v[2:5], v1 offset:1312
	scratch_load_b128 v[10:13], off, off offset:528
	v_add_f64 v[167:168], v[167:168], v[187:188]
	v_add_f64 v[171:172], v[183:184], v[171:172]
	v_fma_f64 v[187:188], v[8:9], v[14:15], v[189:190]
	v_fma_f64 v[189:190], v[6:7], v[14:15], -v[16:17]
	scratch_load_b128 v[14:17], off, off offset:544
	ds_load_b128 v[6:9], v1 offset:1328
	s_waitcnt vmcnt(9) lgkmcnt(1)
	v_mul_f64 v[183:184], v[2:3], v[20:21]
	v_mul_f64 v[20:21], v[4:5], v[20:21]
	v_add_f64 v[167:168], v[167:168], v[191:192]
	v_add_f64 v[171:172], v[171:172], v[185:186]
	s_waitcnt vmcnt(8) lgkmcnt(0)
	v_mul_f64 v[185:186], v[6:7], v[24:25]
	v_mul_f64 v[24:25], v[8:9], v[24:25]
	v_fma_f64 v[183:184], v[4:5], v[18:19], v[183:184]
	v_fma_f64 v[191:192], v[2:3], v[18:19], -v[20:21]
	ds_load_b128 v[2:5], v1 offset:1344
	scratch_load_b128 v[18:21], off, off offset:560
	v_add_f64 v[167:168], v[167:168], v[189:190]
	v_add_f64 v[171:172], v[171:172], v[187:188]
	v_fma_f64 v[185:186], v[8:9], v[22:23], v[185:186]
	v_fma_f64 v[189:190], v[6:7], v[22:23], -v[24:25]
	scratch_load_b128 v[22:25], off, off offset:576
	ds_load_b128 v[6:9], v1 offset:1360
	s_waitcnt vmcnt(9) lgkmcnt(1)
	v_mul_f64 v[187:188], v[2:3], v[28:29]
	v_mul_f64 v[28:29], v[4:5], v[28:29]
	v_add_f64 v[167:168], v[167:168], v[191:192]
	v_add_f64 v[171:172], v[171:172], v[183:184]
	s_waitcnt vmcnt(8) lgkmcnt(0)
	v_mul_f64 v[183:184], v[6:7], v[32:33]
	v_mul_f64 v[32:33], v[8:9], v[32:33]
	;; [unrolled: 18-line block ×8, first 2 shown]
	v_fma_f64 v[187:188], v[4:5], v[34:35], v[187:188]
	v_fma_f64 v[191:192], v[2:3], v[34:35], -v[36:37]
	ds_load_b128 v[2:5], v1 offset:1568
	scratch_load_b128 v[34:37], off, off offset:784
	v_add_f64 v[167:168], v[167:168], v[189:190]
	v_add_f64 v[171:172], v[171:172], v[185:186]
	v_fma_f64 v[183:184], v[8:9], v[179:180], v[183:184]
	v_fma_f64 v[189:190], v[6:7], v[179:180], -v[181:182]
	ds_load_b128 v[6:9], v1 offset:1584
	s_waitcnt vmcnt(8) lgkmcnt(1)
	v_mul_f64 v[185:186], v[2:3], v[40:41]
	v_mul_f64 v[40:41], v[4:5], v[40:41]
	scratch_load_b128 v[179:182], off, off offset:800
	v_add_f64 v[167:168], v[167:168], v[191:192]
	v_add_f64 v[171:172], v[171:172], v[187:188]
	s_waitcnt vmcnt(8) lgkmcnt(0)
	v_mul_f64 v[187:188], v[6:7], v[177:178]
	v_mul_f64 v[177:178], v[8:9], v[177:178]
	v_fma_f64 v[185:186], v[4:5], v[38:39], v[185:186]
	v_fma_f64 v[191:192], v[2:3], v[38:39], -v[40:41]
	ds_load_b128 v[2:5], v1 offset:1600
	scratch_load_b128 v[38:41], off, off offset:816
	v_add_f64 v[167:168], v[167:168], v[189:190]
	v_add_f64 v[171:172], v[171:172], v[183:184]
	v_fma_f64 v[187:188], v[8:9], v[175:176], v[187:188]
	v_fma_f64 v[189:190], v[6:7], v[175:176], -v[177:178]
	ds_load_b128 v[6:9], v1 offset:1616
	s_waitcnt vmcnt(8) lgkmcnt(1)
	v_mul_f64 v[183:184], v[2:3], v[12:13]
	v_mul_f64 v[12:13], v[4:5], v[12:13]
	scratch_load_b128 v[175:178], off, off offset:832
	v_add_f64 v[167:168], v[167:168], v[191:192]
	v_add_f64 v[171:172], v[171:172], v[185:186]
	s_waitcnt vmcnt(8) lgkmcnt(0)
	v_mul_f64 v[185:186], v[6:7], v[16:17]
	v_mul_f64 v[16:17], v[8:9], v[16:17]
	v_fma_f64 v[183:184], v[4:5], v[10:11], v[183:184]
	v_fma_f64 v[191:192], v[2:3], v[10:11], -v[12:13]
	scratch_load_b128 v[10:13], off, off offset:848
	ds_load_b128 v[2:5], v1 offset:1632
	v_add_f64 v[167:168], v[167:168], v[189:190]
	v_add_f64 v[171:172], v[171:172], v[187:188]
	v_fma_f64 v[185:186], v[8:9], v[14:15], v[185:186]
	v_fma_f64 v[189:190], v[6:7], v[14:15], -v[16:17]
	ds_load_b128 v[6:9], v1 offset:1648
	s_waitcnt vmcnt(8) lgkmcnt(1)
	v_mul_f64 v[187:188], v[2:3], v[20:21]
	v_mul_f64 v[20:21], v[4:5], v[20:21]
	scratch_load_b128 v[14:17], off, off offset:864
	v_add_f64 v[167:168], v[167:168], v[191:192]
	v_add_f64 v[171:172], v[171:172], v[183:184]
	s_waitcnt vmcnt(8) lgkmcnt(0)
	v_mul_f64 v[183:184], v[6:7], v[24:25]
	v_mul_f64 v[24:25], v[8:9], v[24:25]
	v_fma_f64 v[187:188], v[4:5], v[18:19], v[187:188]
	v_fma_f64 v[191:192], v[2:3], v[18:19], -v[20:21]
	scratch_load_b128 v[18:21], off, off offset:880
	ds_load_b128 v[2:5], v1 offset:1664
	v_add_f64 v[167:168], v[167:168], v[189:190]
	v_add_f64 v[171:172], v[171:172], v[185:186]
	v_fma_f64 v[183:184], v[8:9], v[22:23], v[183:184]
	v_fma_f64 v[189:190], v[6:7], v[22:23], -v[24:25]
	ds_load_b128 v[6:9], v1 offset:1680
	s_waitcnt vmcnt(8) lgkmcnt(1)
	v_mul_f64 v[185:186], v[2:3], v[28:29]
	v_mul_f64 v[28:29], v[4:5], v[28:29]
	scratch_load_b128 v[22:25], off, off offset:896
	v_add_f64 v[167:168], v[167:168], v[191:192]
	v_add_f64 v[171:172], v[171:172], v[187:188]
	s_waitcnt vmcnt(8) lgkmcnt(0)
	v_mul_f64 v[187:188], v[6:7], v[32:33]
	v_mul_f64 v[32:33], v[8:9], v[32:33]
	v_fma_f64 v[185:186], v[4:5], v[26:27], v[185:186]
	v_fma_f64 v[26:27], v[2:3], v[26:27], -v[28:29]
	ds_load_b128 v[2:5], v1 offset:1696
	v_add_f64 v[28:29], v[167:168], v[189:190]
	v_add_f64 v[167:168], v[171:172], v[183:184]
	v_fma_f64 v[183:184], v[8:9], v[30:31], v[187:188]
	v_fma_f64 v[30:31], v[6:7], v[30:31], -v[32:33]
	ds_load_b128 v[6:9], v1 offset:1712
	s_waitcnt vmcnt(7) lgkmcnt(1)
	v_mul_f64 v[171:172], v[2:3], v[36:37]
	v_mul_f64 v[36:37], v[4:5], v[36:37]
	v_add_f64 v[26:27], v[28:29], v[26:27]
	v_add_f64 v[28:29], v[167:168], v[185:186]
	s_delay_alu instid0(VALU_DEP_4) | instskip(NEXT) | instid1(VALU_DEP_4)
	v_fma_f64 v[171:172], v[4:5], v[34:35], v[171:172]
	v_fma_f64 v[34:35], v[2:3], v[34:35], -v[36:37]
	ds_load_b128 v[2:5], v1 offset:1728
	v_add_f64 v[30:31], v[26:27], v[30:31]
	v_add_f64 v[36:37], v[28:29], v[183:184]
	scratch_load_b128 v[26:29], off, off offset:320
	s_waitcnt vmcnt(7) lgkmcnt(1)
	v_mul_f64 v[32:33], v[6:7], v[181:182]
	v_mul_f64 v[167:168], v[8:9], v[181:182]
	v_add_f64 v[30:31], v[30:31], v[34:35]
	v_add_f64 v[34:35], v[36:37], v[171:172]
	s_delay_alu instid0(VALU_DEP_4) | instskip(NEXT) | instid1(VALU_DEP_4)
	v_fma_f64 v[32:33], v[8:9], v[179:180], v[32:33]
	v_fma_f64 v[167:168], v[6:7], v[179:180], -v[167:168]
	ds_load_b128 v[6:9], v1 offset:1744
	s_waitcnt vmcnt(6) lgkmcnt(1)
	v_mul_f64 v[181:182], v[2:3], v[40:41]
	v_mul_f64 v[40:41], v[4:5], v[40:41]
	s_waitcnt vmcnt(5) lgkmcnt(0)
	v_mul_f64 v[36:37], v[6:7], v[177:178]
	v_mul_f64 v[171:172], v[8:9], v[177:178]
	v_add_f64 v[32:33], v[34:35], v[32:33]
	v_add_f64 v[30:31], v[30:31], v[167:168]
	v_fma_f64 v[177:178], v[4:5], v[38:39], v[181:182]
	v_fma_f64 v[38:39], v[2:3], v[38:39], -v[40:41]
	ds_load_b128 v[2:5], v1 offset:1760
	v_fma_f64 v[36:37], v[8:9], v[175:176], v[36:37]
	v_fma_f64 v[40:41], v[6:7], v[175:176], -v[171:172]
	ds_load_b128 v[6:9], v1 offset:1776
	s_waitcnt vmcnt(4) lgkmcnt(1)
	v_mul_f64 v[34:35], v[2:3], v[12:13]
	v_mul_f64 v[12:13], v[4:5], v[12:13]
	v_add_f64 v[32:33], v[32:33], v[177:178]
	v_add_f64 v[30:31], v[30:31], v[38:39]
	s_waitcnt vmcnt(3) lgkmcnt(0)
	v_mul_f64 v[38:39], v[6:7], v[16:17]
	v_mul_f64 v[16:17], v[8:9], v[16:17]
	v_fma_f64 v[34:35], v[4:5], v[10:11], v[34:35]
	v_fma_f64 v[10:11], v[2:3], v[10:11], -v[12:13]
	ds_load_b128 v[2:5], v1 offset:1792
	v_add_f64 v[12:13], v[30:31], v[40:41]
	v_add_f64 v[30:31], v[32:33], v[36:37]
	v_fma_f64 v[36:37], v[8:9], v[14:15], v[38:39]
	v_fma_f64 v[14:15], v[6:7], v[14:15], -v[16:17]
	ds_load_b128 v[6:9], v1 offset:1808
	s_waitcnt vmcnt(2) lgkmcnt(1)
	v_mul_f64 v[32:33], v[2:3], v[20:21]
	v_mul_f64 v[20:21], v[4:5], v[20:21]
	s_waitcnt vmcnt(1) lgkmcnt(0)
	v_mul_f64 v[16:17], v[6:7], v[24:25]
	v_mul_f64 v[24:25], v[8:9], v[24:25]
	v_add_f64 v[10:11], v[12:13], v[10:11]
	v_add_f64 v[12:13], v[30:31], v[34:35]
	v_fma_f64 v[4:5], v[4:5], v[18:19], v[32:33]
	v_fma_f64 v[1:2], v[2:3], v[18:19], -v[20:21]
	v_fma_f64 v[8:9], v[8:9], v[22:23], v[16:17]
	v_fma_f64 v[6:7], v[6:7], v[22:23], -v[24:25]
	v_add_f64 v[10:11], v[10:11], v[14:15]
	v_add_f64 v[12:13], v[12:13], v[36:37]
	s_delay_alu instid0(VALU_DEP_2) | instskip(NEXT) | instid1(VALU_DEP_2)
	v_add_f64 v[1:2], v[10:11], v[1:2]
	v_add_f64 v[3:4], v[12:13], v[4:5]
	s_delay_alu instid0(VALU_DEP_2) | instskip(NEXT) | instid1(VALU_DEP_2)
	v_add_f64 v[1:2], v[1:2], v[6:7]
	v_add_f64 v[3:4], v[3:4], v[8:9]
	s_waitcnt vmcnt(0)
	s_delay_alu instid0(VALU_DEP_2) | instskip(NEXT) | instid1(VALU_DEP_2)
	v_add_f64 v[1:2], v[26:27], -v[1:2]
	v_add_f64 v[3:4], v[28:29], -v[3:4]
	scratch_store_b128 off, v[1:4], off offset:320
	v_cmpx_lt_u32_e32 19, v156
	s_cbranch_execz .LBB56_317
; %bb.316:
	scratch_load_b128 v[1:4], v194, off
	v_mov_b32_e32 v5, 0
	s_delay_alu instid0(VALU_DEP_1)
	v_mov_b32_e32 v6, v5
	v_mov_b32_e32 v7, v5
	;; [unrolled: 1-line block ×3, first 2 shown]
	scratch_store_b128 off, v[5:8], off offset:304
	s_waitcnt vmcnt(0)
	ds_store_b128 v213, v[1:4]
.LBB56_317:
	s_or_b32 exec_lo, exec_lo, s2
	s_waitcnt lgkmcnt(0)
	s_waitcnt_vscnt null, 0x0
	s_barrier
	buffer_gl0_inv
	s_clause 0x7
	scratch_load_b128 v[2:5], off, off offset:320
	scratch_load_b128 v[6:9], off, off offset:336
	;; [unrolled: 1-line block ×8, first 2 shown]
	v_mov_b32_e32 v1, 0
	s_clause 0x1
	scratch_load_b128 v[34:37], off, off offset:448
	scratch_load_b128 v[179:182], off, off offset:464
	s_mov_b32 s2, exec_lo
	ds_load_b128 v[38:41], v1 offset:1232
	ds_load_b128 v[175:178], v1 offset:1248
	s_waitcnt vmcnt(9) lgkmcnt(1)
	v_mul_f64 v[167:168], v[40:41], v[4:5]
	v_mul_f64 v[4:5], v[38:39], v[4:5]
	s_waitcnt vmcnt(8) lgkmcnt(0)
	v_mul_f64 v[171:172], v[175:176], v[8:9]
	v_mul_f64 v[8:9], v[177:178], v[8:9]
	s_delay_alu instid0(VALU_DEP_4) | instskip(NEXT) | instid1(VALU_DEP_4)
	v_fma_f64 v[167:168], v[38:39], v[2:3], -v[167:168]
	v_fma_f64 v[183:184], v[40:41], v[2:3], v[4:5]
	ds_load_b128 v[2:5], v1 offset:1264
	scratch_load_b128 v[38:41], off, off offset:480
	v_fma_f64 v[171:172], v[177:178], v[6:7], v[171:172]
	v_fma_f64 v[187:188], v[175:176], v[6:7], -v[8:9]
	scratch_load_b128 v[175:178], off, off offset:496
	ds_load_b128 v[6:9], v1 offset:1280
	s_waitcnt vmcnt(9) lgkmcnt(1)
	v_mul_f64 v[185:186], v[2:3], v[12:13]
	v_mul_f64 v[12:13], v[4:5], v[12:13]
	s_waitcnt vmcnt(8) lgkmcnt(0)
	v_mul_f64 v[189:190], v[6:7], v[16:17]
	v_mul_f64 v[16:17], v[8:9], v[16:17]
	v_add_f64 v[167:168], v[167:168], 0
	v_add_f64 v[183:184], v[183:184], 0
	v_fma_f64 v[185:186], v[4:5], v[10:11], v[185:186]
	v_fma_f64 v[191:192], v[2:3], v[10:11], -v[12:13]
	ds_load_b128 v[2:5], v1 offset:1296
	scratch_load_b128 v[10:13], off, off offset:512
	v_add_f64 v[167:168], v[167:168], v[187:188]
	v_add_f64 v[171:172], v[183:184], v[171:172]
	v_fma_f64 v[187:188], v[8:9], v[14:15], v[189:190]
	v_fma_f64 v[189:190], v[6:7], v[14:15], -v[16:17]
	scratch_load_b128 v[14:17], off, off offset:528
	ds_load_b128 v[6:9], v1 offset:1312
	s_waitcnt vmcnt(9) lgkmcnt(1)
	v_mul_f64 v[183:184], v[2:3], v[20:21]
	v_mul_f64 v[20:21], v[4:5], v[20:21]
	v_add_f64 v[167:168], v[167:168], v[191:192]
	v_add_f64 v[171:172], v[171:172], v[185:186]
	s_waitcnt vmcnt(8) lgkmcnt(0)
	v_mul_f64 v[185:186], v[6:7], v[24:25]
	v_mul_f64 v[24:25], v[8:9], v[24:25]
	v_fma_f64 v[183:184], v[4:5], v[18:19], v[183:184]
	v_fma_f64 v[191:192], v[2:3], v[18:19], -v[20:21]
	ds_load_b128 v[2:5], v1 offset:1328
	scratch_load_b128 v[18:21], off, off offset:544
	v_add_f64 v[167:168], v[167:168], v[189:190]
	v_add_f64 v[171:172], v[171:172], v[187:188]
	v_fma_f64 v[185:186], v[8:9], v[22:23], v[185:186]
	v_fma_f64 v[189:190], v[6:7], v[22:23], -v[24:25]
	scratch_load_b128 v[22:25], off, off offset:560
	ds_load_b128 v[6:9], v1 offset:1344
	s_waitcnt vmcnt(9) lgkmcnt(1)
	v_mul_f64 v[187:188], v[2:3], v[28:29]
	v_mul_f64 v[28:29], v[4:5], v[28:29]
	v_add_f64 v[167:168], v[167:168], v[191:192]
	v_add_f64 v[171:172], v[171:172], v[183:184]
	s_waitcnt vmcnt(8) lgkmcnt(0)
	v_mul_f64 v[183:184], v[6:7], v[32:33]
	v_mul_f64 v[32:33], v[8:9], v[32:33]
	;; [unrolled: 18-line block ×9, first 2 shown]
	v_fma_f64 v[185:186], v[4:5], v[38:39], v[185:186]
	v_fma_f64 v[191:192], v[2:3], v[38:39], -v[40:41]
	ds_load_b128 v[2:5], v1 offset:1584
	scratch_load_b128 v[38:41], off, off offset:800
	v_add_f64 v[167:168], v[167:168], v[189:190]
	v_add_f64 v[171:172], v[171:172], v[183:184]
	v_fma_f64 v[187:188], v[8:9], v[175:176], v[187:188]
	v_fma_f64 v[189:190], v[6:7], v[175:176], -v[177:178]
	ds_load_b128 v[6:9], v1 offset:1600
	s_waitcnt vmcnt(8) lgkmcnt(1)
	v_mul_f64 v[183:184], v[2:3], v[12:13]
	v_mul_f64 v[12:13], v[4:5], v[12:13]
	scratch_load_b128 v[175:178], off, off offset:816
	v_add_f64 v[167:168], v[167:168], v[191:192]
	v_add_f64 v[171:172], v[171:172], v[185:186]
	s_waitcnt vmcnt(8) lgkmcnt(0)
	v_mul_f64 v[185:186], v[6:7], v[16:17]
	v_mul_f64 v[16:17], v[8:9], v[16:17]
	v_fma_f64 v[183:184], v[4:5], v[10:11], v[183:184]
	v_fma_f64 v[191:192], v[2:3], v[10:11], -v[12:13]
	scratch_load_b128 v[10:13], off, off offset:832
	ds_load_b128 v[2:5], v1 offset:1616
	v_add_f64 v[167:168], v[167:168], v[189:190]
	v_add_f64 v[171:172], v[171:172], v[187:188]
	v_fma_f64 v[185:186], v[8:9], v[14:15], v[185:186]
	v_fma_f64 v[189:190], v[6:7], v[14:15], -v[16:17]
	ds_load_b128 v[6:9], v1 offset:1632
	s_waitcnt vmcnt(8) lgkmcnt(1)
	v_mul_f64 v[187:188], v[2:3], v[20:21]
	v_mul_f64 v[20:21], v[4:5], v[20:21]
	scratch_load_b128 v[14:17], off, off offset:848
	v_add_f64 v[167:168], v[167:168], v[191:192]
	v_add_f64 v[171:172], v[171:172], v[183:184]
	s_waitcnt vmcnt(8) lgkmcnt(0)
	v_mul_f64 v[183:184], v[6:7], v[24:25]
	v_mul_f64 v[24:25], v[8:9], v[24:25]
	v_fma_f64 v[187:188], v[4:5], v[18:19], v[187:188]
	v_fma_f64 v[191:192], v[2:3], v[18:19], -v[20:21]
	scratch_load_b128 v[18:21], off, off offset:864
	ds_load_b128 v[2:5], v1 offset:1648
	;; [unrolled: 18-line block ×3, first 2 shown]
	v_add_f64 v[167:168], v[167:168], v[189:190]
	v_add_f64 v[171:172], v[171:172], v[183:184]
	v_fma_f64 v[187:188], v[8:9], v[30:31], v[187:188]
	v_fma_f64 v[30:31], v[6:7], v[30:31], -v[32:33]
	ds_load_b128 v[6:9], v1 offset:1696
	s_waitcnt vmcnt(8) lgkmcnt(1)
	v_mul_f64 v[183:184], v[2:3], v[36:37]
	v_mul_f64 v[36:37], v[4:5], v[36:37]
	v_add_f64 v[32:33], v[167:168], v[191:192]
	v_add_f64 v[167:168], v[171:172], v[185:186]
	s_waitcnt vmcnt(7) lgkmcnt(0)
	v_mul_f64 v[171:172], v[6:7], v[181:182]
	v_mul_f64 v[181:182], v[8:9], v[181:182]
	v_fma_f64 v[183:184], v[4:5], v[34:35], v[183:184]
	v_fma_f64 v[34:35], v[2:3], v[34:35], -v[36:37]
	ds_load_b128 v[2:5], v1 offset:1712
	v_add_f64 v[30:31], v[32:33], v[30:31]
	v_add_f64 v[32:33], v[167:168], v[187:188]
	v_fma_f64 v[167:168], v[8:9], v[179:180], v[171:172]
	v_fma_f64 v[171:172], v[6:7], v[179:180], -v[181:182]
	ds_load_b128 v[6:9], v1 offset:1728
	s_waitcnt vmcnt(5) lgkmcnt(0)
	v_mul_f64 v[181:182], v[6:7], v[177:178]
	v_mul_f64 v[177:178], v[8:9], v[177:178]
	v_add_f64 v[34:35], v[30:31], v[34:35]
	v_add_f64 v[179:180], v[32:33], v[183:184]
	scratch_load_b128 v[30:33], off, off offset:304
	v_mul_f64 v[36:37], v[2:3], v[40:41]
	v_mul_f64 v[40:41], v[4:5], v[40:41]
	v_add_f64 v[34:35], v[34:35], v[171:172]
	v_fma_f64 v[171:172], v[8:9], v[175:176], v[181:182]
	v_fma_f64 v[175:176], v[6:7], v[175:176], -v[177:178]
	v_fma_f64 v[36:37], v[4:5], v[38:39], v[36:37]
	v_fma_f64 v[38:39], v[2:3], v[38:39], -v[40:41]
	v_add_f64 v[40:41], v[179:180], v[167:168]
	ds_load_b128 v[2:5], v1 offset:1744
	ds_load_b128 v[6:9], v1 offset:1760
	s_waitcnt vmcnt(5) lgkmcnt(1)
	v_mul_f64 v[167:168], v[2:3], v[12:13]
	v_mul_f64 v[12:13], v[4:5], v[12:13]
	v_add_f64 v[34:35], v[34:35], v[38:39]
	v_add_f64 v[36:37], v[40:41], v[36:37]
	s_waitcnt vmcnt(4) lgkmcnt(0)
	v_mul_f64 v[38:39], v[6:7], v[16:17]
	v_mul_f64 v[16:17], v[8:9], v[16:17]
	v_fma_f64 v[40:41], v[4:5], v[10:11], v[167:168]
	v_fma_f64 v[10:11], v[2:3], v[10:11], -v[12:13]
	ds_load_b128 v[2:5], v1 offset:1776
	v_add_f64 v[12:13], v[34:35], v[175:176]
	v_add_f64 v[34:35], v[36:37], v[171:172]
	v_fma_f64 v[38:39], v[8:9], v[14:15], v[38:39]
	v_fma_f64 v[14:15], v[6:7], v[14:15], -v[16:17]
	ds_load_b128 v[6:9], v1 offset:1792
	s_waitcnt vmcnt(3) lgkmcnt(1)
	v_mul_f64 v[36:37], v[2:3], v[20:21]
	v_mul_f64 v[20:21], v[4:5], v[20:21]
	s_waitcnt vmcnt(2) lgkmcnt(0)
	v_mul_f64 v[16:17], v[6:7], v[24:25]
	v_mul_f64 v[24:25], v[8:9], v[24:25]
	v_add_f64 v[10:11], v[12:13], v[10:11]
	v_add_f64 v[12:13], v[34:35], v[40:41]
	v_fma_f64 v[34:35], v[4:5], v[18:19], v[36:37]
	v_fma_f64 v[18:19], v[2:3], v[18:19], -v[20:21]
	ds_load_b128 v[2:5], v1 offset:1808
	v_fma_f64 v[8:9], v[8:9], v[22:23], v[16:17]
	v_fma_f64 v[6:7], v[6:7], v[22:23], -v[24:25]
	s_waitcnt vmcnt(1) lgkmcnt(0)
	v_mul_f64 v[20:21], v[4:5], v[28:29]
	v_add_f64 v[10:11], v[10:11], v[14:15]
	v_add_f64 v[12:13], v[12:13], v[38:39]
	v_mul_f64 v[14:15], v[2:3], v[28:29]
	s_delay_alu instid0(VALU_DEP_4) | instskip(NEXT) | instid1(VALU_DEP_4)
	v_fma_f64 v[2:3], v[2:3], v[26:27], -v[20:21]
	v_add_f64 v[10:11], v[10:11], v[18:19]
	s_delay_alu instid0(VALU_DEP_4) | instskip(NEXT) | instid1(VALU_DEP_4)
	v_add_f64 v[12:13], v[12:13], v[34:35]
	v_fma_f64 v[4:5], v[4:5], v[26:27], v[14:15]
	s_delay_alu instid0(VALU_DEP_3) | instskip(NEXT) | instid1(VALU_DEP_3)
	v_add_f64 v[6:7], v[10:11], v[6:7]
	v_add_f64 v[8:9], v[12:13], v[8:9]
	s_delay_alu instid0(VALU_DEP_2) | instskip(NEXT) | instid1(VALU_DEP_2)
	v_add_f64 v[2:3], v[6:7], v[2:3]
	v_add_f64 v[4:5], v[8:9], v[4:5]
	s_waitcnt vmcnt(0)
	s_delay_alu instid0(VALU_DEP_2) | instskip(NEXT) | instid1(VALU_DEP_2)
	v_add_f64 v[2:3], v[30:31], -v[2:3]
	v_add_f64 v[4:5], v[32:33], -v[4:5]
	scratch_store_b128 off, v[2:5], off offset:304
	v_cmpx_lt_u32_e32 18, v156
	s_cbranch_execz .LBB56_319
; %bb.318:
	scratch_load_b128 v[5:8], v195, off
	v_mov_b32_e32 v2, v1
	v_mov_b32_e32 v3, v1
	;; [unrolled: 1-line block ×3, first 2 shown]
	scratch_store_b128 off, v[1:4], off offset:288
	s_waitcnt vmcnt(0)
	ds_store_b128 v213, v[5:8]
.LBB56_319:
	s_or_b32 exec_lo, exec_lo, s2
	s_waitcnt lgkmcnt(0)
	s_waitcnt_vscnt null, 0x0
	s_barrier
	buffer_gl0_inv
	s_clause 0x7
	scratch_load_b128 v[2:5], off, off offset:304
	scratch_load_b128 v[6:9], off, off offset:320
	;; [unrolled: 1-line block ×8, first 2 shown]
	ds_load_b128 v[38:41], v1 offset:1216
	ds_load_b128 v[175:178], v1 offset:1232
	s_clause 0x1
	scratch_load_b128 v[34:37], off, off offset:432
	scratch_load_b128 v[179:182], off, off offset:448
	s_mov_b32 s2, exec_lo
	s_waitcnt vmcnt(9) lgkmcnt(1)
	v_mul_f64 v[167:168], v[40:41], v[4:5]
	v_mul_f64 v[4:5], v[38:39], v[4:5]
	s_waitcnt vmcnt(8) lgkmcnt(0)
	v_mul_f64 v[171:172], v[175:176], v[8:9]
	v_mul_f64 v[8:9], v[177:178], v[8:9]
	s_delay_alu instid0(VALU_DEP_4) | instskip(NEXT) | instid1(VALU_DEP_4)
	v_fma_f64 v[167:168], v[38:39], v[2:3], -v[167:168]
	v_fma_f64 v[183:184], v[40:41], v[2:3], v[4:5]
	ds_load_b128 v[2:5], v1 offset:1248
	scratch_load_b128 v[38:41], off, off offset:464
	v_fma_f64 v[171:172], v[177:178], v[6:7], v[171:172]
	v_fma_f64 v[187:188], v[175:176], v[6:7], -v[8:9]
	scratch_load_b128 v[175:178], off, off offset:480
	ds_load_b128 v[6:9], v1 offset:1264
	s_waitcnt vmcnt(9) lgkmcnt(1)
	v_mul_f64 v[185:186], v[2:3], v[12:13]
	v_mul_f64 v[12:13], v[4:5], v[12:13]
	s_waitcnt vmcnt(8) lgkmcnt(0)
	v_mul_f64 v[189:190], v[6:7], v[16:17]
	v_mul_f64 v[16:17], v[8:9], v[16:17]
	v_add_f64 v[167:168], v[167:168], 0
	v_add_f64 v[183:184], v[183:184], 0
	v_fma_f64 v[185:186], v[4:5], v[10:11], v[185:186]
	v_fma_f64 v[191:192], v[2:3], v[10:11], -v[12:13]
	ds_load_b128 v[2:5], v1 offset:1280
	scratch_load_b128 v[10:13], off, off offset:496
	v_add_f64 v[167:168], v[167:168], v[187:188]
	v_add_f64 v[171:172], v[183:184], v[171:172]
	v_fma_f64 v[187:188], v[8:9], v[14:15], v[189:190]
	v_fma_f64 v[189:190], v[6:7], v[14:15], -v[16:17]
	scratch_load_b128 v[14:17], off, off offset:512
	ds_load_b128 v[6:9], v1 offset:1296
	s_waitcnt vmcnt(9) lgkmcnt(1)
	v_mul_f64 v[183:184], v[2:3], v[20:21]
	v_mul_f64 v[20:21], v[4:5], v[20:21]
	v_add_f64 v[167:168], v[167:168], v[191:192]
	v_add_f64 v[171:172], v[171:172], v[185:186]
	s_waitcnt vmcnt(8) lgkmcnt(0)
	v_mul_f64 v[185:186], v[6:7], v[24:25]
	v_mul_f64 v[24:25], v[8:9], v[24:25]
	v_fma_f64 v[183:184], v[4:5], v[18:19], v[183:184]
	v_fma_f64 v[191:192], v[2:3], v[18:19], -v[20:21]
	ds_load_b128 v[2:5], v1 offset:1312
	scratch_load_b128 v[18:21], off, off offset:528
	v_add_f64 v[167:168], v[167:168], v[189:190]
	v_add_f64 v[171:172], v[171:172], v[187:188]
	v_fma_f64 v[185:186], v[8:9], v[22:23], v[185:186]
	v_fma_f64 v[189:190], v[6:7], v[22:23], -v[24:25]
	scratch_load_b128 v[22:25], off, off offset:544
	ds_load_b128 v[6:9], v1 offset:1328
	s_waitcnt vmcnt(9) lgkmcnt(1)
	v_mul_f64 v[187:188], v[2:3], v[28:29]
	v_mul_f64 v[28:29], v[4:5], v[28:29]
	v_add_f64 v[167:168], v[167:168], v[191:192]
	v_add_f64 v[171:172], v[171:172], v[183:184]
	s_waitcnt vmcnt(8) lgkmcnt(0)
	v_mul_f64 v[183:184], v[6:7], v[32:33]
	v_mul_f64 v[32:33], v[8:9], v[32:33]
	;; [unrolled: 18-line block ×9, first 2 shown]
	v_fma_f64 v[185:186], v[4:5], v[38:39], v[185:186]
	v_fma_f64 v[191:192], v[2:3], v[38:39], -v[40:41]
	ds_load_b128 v[2:5], v1 offset:1568
	scratch_load_b128 v[38:41], off, off offset:784
	v_add_f64 v[167:168], v[167:168], v[189:190]
	v_add_f64 v[171:172], v[171:172], v[183:184]
	v_fma_f64 v[187:188], v[8:9], v[175:176], v[187:188]
	v_fma_f64 v[189:190], v[6:7], v[175:176], -v[177:178]
	ds_load_b128 v[6:9], v1 offset:1584
	s_waitcnt vmcnt(8) lgkmcnt(1)
	v_mul_f64 v[183:184], v[2:3], v[12:13]
	v_mul_f64 v[12:13], v[4:5], v[12:13]
	scratch_load_b128 v[175:178], off, off offset:800
	v_add_f64 v[167:168], v[167:168], v[191:192]
	v_add_f64 v[171:172], v[171:172], v[185:186]
	s_waitcnt vmcnt(8) lgkmcnt(0)
	v_mul_f64 v[185:186], v[6:7], v[16:17]
	v_mul_f64 v[16:17], v[8:9], v[16:17]
	v_fma_f64 v[183:184], v[4:5], v[10:11], v[183:184]
	v_fma_f64 v[191:192], v[2:3], v[10:11], -v[12:13]
	ds_load_b128 v[2:5], v1 offset:1600
	scratch_load_b128 v[10:13], off, off offset:816
	v_add_f64 v[167:168], v[167:168], v[189:190]
	v_add_f64 v[171:172], v[171:172], v[187:188]
	v_fma_f64 v[185:186], v[8:9], v[14:15], v[185:186]
	v_fma_f64 v[189:190], v[6:7], v[14:15], -v[16:17]
	ds_load_b128 v[6:9], v1 offset:1616
	s_waitcnt vmcnt(8) lgkmcnt(1)
	v_mul_f64 v[187:188], v[2:3], v[20:21]
	v_mul_f64 v[20:21], v[4:5], v[20:21]
	scratch_load_b128 v[14:17], off, off offset:832
	v_add_f64 v[167:168], v[167:168], v[191:192]
	v_add_f64 v[171:172], v[171:172], v[183:184]
	s_waitcnt vmcnt(8) lgkmcnt(0)
	v_mul_f64 v[183:184], v[6:7], v[24:25]
	v_mul_f64 v[24:25], v[8:9], v[24:25]
	v_fma_f64 v[187:188], v[4:5], v[18:19], v[187:188]
	v_fma_f64 v[191:192], v[2:3], v[18:19], -v[20:21]
	scratch_load_b128 v[18:21], off, off offset:848
	ds_load_b128 v[2:5], v1 offset:1632
	v_add_f64 v[167:168], v[167:168], v[189:190]
	v_add_f64 v[171:172], v[171:172], v[185:186]
	v_fma_f64 v[183:184], v[8:9], v[22:23], v[183:184]
	v_fma_f64 v[189:190], v[6:7], v[22:23], -v[24:25]
	ds_load_b128 v[6:9], v1 offset:1648
	s_waitcnt vmcnt(8) lgkmcnt(1)
	v_mul_f64 v[185:186], v[2:3], v[28:29]
	v_mul_f64 v[28:29], v[4:5], v[28:29]
	scratch_load_b128 v[22:25], off, off offset:864
	v_add_f64 v[167:168], v[167:168], v[191:192]
	v_add_f64 v[171:172], v[171:172], v[187:188]
	s_waitcnt vmcnt(8) lgkmcnt(0)
	v_mul_f64 v[187:188], v[6:7], v[32:33]
	v_mul_f64 v[32:33], v[8:9], v[32:33]
	v_fma_f64 v[185:186], v[4:5], v[26:27], v[185:186]
	v_fma_f64 v[191:192], v[2:3], v[26:27], -v[28:29]
	scratch_load_b128 v[26:29], off, off offset:880
	ds_load_b128 v[2:5], v1 offset:1664
	v_add_f64 v[167:168], v[167:168], v[189:190]
	v_add_f64 v[171:172], v[171:172], v[183:184]
	v_fma_f64 v[187:188], v[8:9], v[30:31], v[187:188]
	v_fma_f64 v[189:190], v[6:7], v[30:31], -v[32:33]
	ds_load_b128 v[6:9], v1 offset:1680
	s_waitcnt vmcnt(8) lgkmcnt(1)
	v_mul_f64 v[183:184], v[2:3], v[36:37]
	v_mul_f64 v[36:37], v[4:5], v[36:37]
	scratch_load_b128 v[30:33], off, off offset:896
	v_add_f64 v[167:168], v[167:168], v[191:192]
	v_add_f64 v[171:172], v[171:172], v[185:186]
	s_waitcnt vmcnt(8) lgkmcnt(0)
	v_mul_f64 v[185:186], v[6:7], v[181:182]
	v_mul_f64 v[181:182], v[8:9], v[181:182]
	v_fma_f64 v[183:184], v[4:5], v[34:35], v[183:184]
	v_fma_f64 v[34:35], v[2:3], v[34:35], -v[36:37]
	ds_load_b128 v[2:5], v1 offset:1696
	v_add_f64 v[36:37], v[167:168], v[189:190]
	v_add_f64 v[167:168], v[171:172], v[187:188]
	v_fma_f64 v[185:186], v[8:9], v[179:180], v[185:186]
	v_fma_f64 v[179:180], v[6:7], v[179:180], -v[181:182]
	ds_load_b128 v[6:9], v1 offset:1712
	s_waitcnt vmcnt(7) lgkmcnt(1)
	v_mul_f64 v[171:172], v[2:3], v[40:41]
	v_mul_f64 v[40:41], v[4:5], v[40:41]
	v_add_f64 v[34:35], v[36:37], v[34:35]
	v_add_f64 v[36:37], v[167:168], v[183:184]
	s_delay_alu instid0(VALU_DEP_4) | instskip(NEXT) | instid1(VALU_DEP_4)
	v_fma_f64 v[171:172], v[4:5], v[38:39], v[171:172]
	v_fma_f64 v[38:39], v[2:3], v[38:39], -v[40:41]
	ds_load_b128 v[2:5], v1 offset:1728
	v_add_f64 v[40:41], v[34:35], v[179:180]
	v_add_f64 v[179:180], v[36:37], v[185:186]
	scratch_load_b128 v[34:37], off, off offset:288
	s_waitcnt vmcnt(7) lgkmcnt(1)
	v_mul_f64 v[167:168], v[6:7], v[177:178]
	v_mul_f64 v[177:178], v[8:9], v[177:178]
	v_add_f64 v[38:39], v[40:41], v[38:39]
	v_add_f64 v[40:41], v[179:180], v[171:172]
	s_delay_alu instid0(VALU_DEP_4) | instskip(NEXT) | instid1(VALU_DEP_4)
	v_fma_f64 v[167:168], v[8:9], v[175:176], v[167:168]
	v_fma_f64 v[175:176], v[6:7], v[175:176], -v[177:178]
	ds_load_b128 v[6:9], v1 offset:1744
	s_waitcnt vmcnt(6) lgkmcnt(1)
	v_mul_f64 v[181:182], v[2:3], v[12:13]
	v_mul_f64 v[12:13], v[4:5], v[12:13]
	s_waitcnt vmcnt(5) lgkmcnt(0)
	v_mul_f64 v[171:172], v[6:7], v[16:17]
	v_mul_f64 v[16:17], v[8:9], v[16:17]
	s_delay_alu instid0(VALU_DEP_4) | instskip(NEXT) | instid1(VALU_DEP_4)
	v_fma_f64 v[177:178], v[4:5], v[10:11], v[181:182]
	v_fma_f64 v[10:11], v[2:3], v[10:11], -v[12:13]
	v_add_f64 v[12:13], v[38:39], v[175:176]
	v_add_f64 v[38:39], v[40:41], v[167:168]
	ds_load_b128 v[2:5], v1 offset:1760
	v_fma_f64 v[167:168], v[8:9], v[14:15], v[171:172]
	v_fma_f64 v[14:15], v[6:7], v[14:15], -v[16:17]
	ds_load_b128 v[6:9], v1 offset:1776
	s_waitcnt vmcnt(4) lgkmcnt(1)
	v_mul_f64 v[40:41], v[2:3], v[20:21]
	v_mul_f64 v[20:21], v[4:5], v[20:21]
	v_add_f64 v[10:11], v[12:13], v[10:11]
	v_add_f64 v[12:13], v[38:39], v[177:178]
	s_waitcnt vmcnt(3) lgkmcnt(0)
	v_mul_f64 v[16:17], v[6:7], v[24:25]
	v_mul_f64 v[24:25], v[8:9], v[24:25]
	v_fma_f64 v[38:39], v[4:5], v[18:19], v[40:41]
	v_fma_f64 v[18:19], v[2:3], v[18:19], -v[20:21]
	ds_load_b128 v[2:5], v1 offset:1792
	v_add_f64 v[10:11], v[10:11], v[14:15]
	v_add_f64 v[12:13], v[12:13], v[167:168]
	v_fma_f64 v[16:17], v[8:9], v[22:23], v[16:17]
	v_fma_f64 v[22:23], v[6:7], v[22:23], -v[24:25]
	ds_load_b128 v[6:9], v1 offset:1808
	s_waitcnt vmcnt(2) lgkmcnt(1)
	v_mul_f64 v[14:15], v[2:3], v[28:29]
	v_mul_f64 v[20:21], v[4:5], v[28:29]
	s_waitcnt vmcnt(1) lgkmcnt(0)
	v_mul_f64 v[24:25], v[8:9], v[32:33]
	v_add_f64 v[10:11], v[10:11], v[18:19]
	v_add_f64 v[12:13], v[12:13], v[38:39]
	v_mul_f64 v[18:19], v[6:7], v[32:33]
	v_fma_f64 v[4:5], v[4:5], v[26:27], v[14:15]
	v_fma_f64 v[1:2], v[2:3], v[26:27], -v[20:21]
	v_fma_f64 v[6:7], v[6:7], v[30:31], -v[24:25]
	v_add_f64 v[10:11], v[10:11], v[22:23]
	v_add_f64 v[12:13], v[12:13], v[16:17]
	v_fma_f64 v[8:9], v[8:9], v[30:31], v[18:19]
	s_delay_alu instid0(VALU_DEP_3) | instskip(NEXT) | instid1(VALU_DEP_3)
	v_add_f64 v[1:2], v[10:11], v[1:2]
	v_add_f64 v[3:4], v[12:13], v[4:5]
	s_delay_alu instid0(VALU_DEP_2) | instskip(NEXT) | instid1(VALU_DEP_2)
	v_add_f64 v[1:2], v[1:2], v[6:7]
	v_add_f64 v[3:4], v[3:4], v[8:9]
	s_waitcnt vmcnt(0)
	s_delay_alu instid0(VALU_DEP_2) | instskip(NEXT) | instid1(VALU_DEP_2)
	v_add_f64 v[1:2], v[34:35], -v[1:2]
	v_add_f64 v[3:4], v[36:37], -v[3:4]
	scratch_store_b128 off, v[1:4], off offset:288
	v_cmpx_lt_u32_e32 17, v156
	s_cbranch_execz .LBB56_321
; %bb.320:
	scratch_load_b128 v[1:4], v196, off
	v_mov_b32_e32 v5, 0
	s_delay_alu instid0(VALU_DEP_1)
	v_mov_b32_e32 v6, v5
	v_mov_b32_e32 v7, v5
	;; [unrolled: 1-line block ×3, first 2 shown]
	scratch_store_b128 off, v[5:8], off offset:272
	s_waitcnt vmcnt(0)
	ds_store_b128 v213, v[1:4]
.LBB56_321:
	s_or_b32 exec_lo, exec_lo, s2
	s_waitcnt lgkmcnt(0)
	s_waitcnt_vscnt null, 0x0
	s_barrier
	buffer_gl0_inv
	s_clause 0x7
	scratch_load_b128 v[2:5], off, off offset:288
	scratch_load_b128 v[6:9], off, off offset:304
	;; [unrolled: 1-line block ×8, first 2 shown]
	v_mov_b32_e32 v1, 0
	s_clause 0x1
	scratch_load_b128 v[34:37], off, off offset:416
	scratch_load_b128 v[179:182], off, off offset:432
	s_mov_b32 s2, exec_lo
	ds_load_b128 v[38:41], v1 offset:1200
	ds_load_b128 v[175:178], v1 offset:1216
	s_waitcnt vmcnt(9) lgkmcnt(1)
	v_mul_f64 v[167:168], v[40:41], v[4:5]
	v_mul_f64 v[4:5], v[38:39], v[4:5]
	s_waitcnt vmcnt(8) lgkmcnt(0)
	v_mul_f64 v[171:172], v[175:176], v[8:9]
	v_mul_f64 v[8:9], v[177:178], v[8:9]
	s_delay_alu instid0(VALU_DEP_4) | instskip(NEXT) | instid1(VALU_DEP_4)
	v_fma_f64 v[167:168], v[38:39], v[2:3], -v[167:168]
	v_fma_f64 v[183:184], v[40:41], v[2:3], v[4:5]
	ds_load_b128 v[2:5], v1 offset:1232
	scratch_load_b128 v[38:41], off, off offset:448
	v_fma_f64 v[171:172], v[177:178], v[6:7], v[171:172]
	v_fma_f64 v[187:188], v[175:176], v[6:7], -v[8:9]
	scratch_load_b128 v[175:178], off, off offset:464
	ds_load_b128 v[6:9], v1 offset:1248
	s_waitcnt vmcnt(9) lgkmcnt(1)
	v_mul_f64 v[185:186], v[2:3], v[12:13]
	v_mul_f64 v[12:13], v[4:5], v[12:13]
	s_waitcnt vmcnt(8) lgkmcnt(0)
	v_mul_f64 v[189:190], v[6:7], v[16:17]
	v_mul_f64 v[16:17], v[8:9], v[16:17]
	v_add_f64 v[167:168], v[167:168], 0
	v_add_f64 v[183:184], v[183:184], 0
	v_fma_f64 v[185:186], v[4:5], v[10:11], v[185:186]
	v_fma_f64 v[191:192], v[2:3], v[10:11], -v[12:13]
	ds_load_b128 v[2:5], v1 offset:1264
	scratch_load_b128 v[10:13], off, off offset:480
	v_add_f64 v[167:168], v[167:168], v[187:188]
	v_add_f64 v[171:172], v[183:184], v[171:172]
	v_fma_f64 v[187:188], v[8:9], v[14:15], v[189:190]
	v_fma_f64 v[189:190], v[6:7], v[14:15], -v[16:17]
	scratch_load_b128 v[14:17], off, off offset:496
	ds_load_b128 v[6:9], v1 offset:1280
	s_waitcnt vmcnt(9) lgkmcnt(1)
	v_mul_f64 v[183:184], v[2:3], v[20:21]
	v_mul_f64 v[20:21], v[4:5], v[20:21]
	v_add_f64 v[167:168], v[167:168], v[191:192]
	v_add_f64 v[171:172], v[171:172], v[185:186]
	s_waitcnt vmcnt(8) lgkmcnt(0)
	v_mul_f64 v[185:186], v[6:7], v[24:25]
	v_mul_f64 v[24:25], v[8:9], v[24:25]
	v_fma_f64 v[183:184], v[4:5], v[18:19], v[183:184]
	v_fma_f64 v[191:192], v[2:3], v[18:19], -v[20:21]
	ds_load_b128 v[2:5], v1 offset:1296
	scratch_load_b128 v[18:21], off, off offset:512
	v_add_f64 v[167:168], v[167:168], v[189:190]
	v_add_f64 v[171:172], v[171:172], v[187:188]
	v_fma_f64 v[185:186], v[8:9], v[22:23], v[185:186]
	v_fma_f64 v[189:190], v[6:7], v[22:23], -v[24:25]
	scratch_load_b128 v[22:25], off, off offset:528
	ds_load_b128 v[6:9], v1 offset:1312
	s_waitcnt vmcnt(9) lgkmcnt(1)
	v_mul_f64 v[187:188], v[2:3], v[28:29]
	v_mul_f64 v[28:29], v[4:5], v[28:29]
	v_add_f64 v[167:168], v[167:168], v[191:192]
	v_add_f64 v[171:172], v[171:172], v[183:184]
	s_waitcnt vmcnt(8) lgkmcnt(0)
	v_mul_f64 v[183:184], v[6:7], v[32:33]
	v_mul_f64 v[32:33], v[8:9], v[32:33]
	;; [unrolled: 18-line block ×10, first 2 shown]
	v_fma_f64 v[183:184], v[4:5], v[10:11], v[183:184]
	v_fma_f64 v[191:192], v[2:3], v[10:11], -v[12:13]
	ds_load_b128 v[2:5], v1 offset:1584
	scratch_load_b128 v[10:13], off, off offset:800
	v_add_f64 v[167:168], v[167:168], v[189:190]
	v_add_f64 v[171:172], v[171:172], v[187:188]
	v_fma_f64 v[185:186], v[8:9], v[14:15], v[185:186]
	v_fma_f64 v[189:190], v[6:7], v[14:15], -v[16:17]
	ds_load_b128 v[6:9], v1 offset:1600
	s_waitcnt vmcnt(8) lgkmcnt(1)
	v_mul_f64 v[187:188], v[2:3], v[20:21]
	v_mul_f64 v[20:21], v[4:5], v[20:21]
	scratch_load_b128 v[14:17], off, off offset:816
	v_add_f64 v[167:168], v[167:168], v[191:192]
	v_add_f64 v[171:172], v[171:172], v[183:184]
	s_waitcnt vmcnt(8) lgkmcnt(0)
	v_mul_f64 v[183:184], v[6:7], v[24:25]
	v_mul_f64 v[24:25], v[8:9], v[24:25]
	v_fma_f64 v[187:188], v[4:5], v[18:19], v[187:188]
	v_fma_f64 v[191:192], v[2:3], v[18:19], -v[20:21]
	scratch_load_b128 v[18:21], off, off offset:832
	ds_load_b128 v[2:5], v1 offset:1616
	v_add_f64 v[167:168], v[167:168], v[189:190]
	v_add_f64 v[171:172], v[171:172], v[185:186]
	v_fma_f64 v[183:184], v[8:9], v[22:23], v[183:184]
	v_fma_f64 v[189:190], v[6:7], v[22:23], -v[24:25]
	ds_load_b128 v[6:9], v1 offset:1632
	s_waitcnt vmcnt(8) lgkmcnt(1)
	v_mul_f64 v[185:186], v[2:3], v[28:29]
	v_mul_f64 v[28:29], v[4:5], v[28:29]
	scratch_load_b128 v[22:25], off, off offset:848
	v_add_f64 v[167:168], v[167:168], v[191:192]
	v_add_f64 v[171:172], v[171:172], v[187:188]
	s_waitcnt vmcnt(8) lgkmcnt(0)
	v_mul_f64 v[187:188], v[6:7], v[32:33]
	v_mul_f64 v[32:33], v[8:9], v[32:33]
	v_fma_f64 v[185:186], v[4:5], v[26:27], v[185:186]
	v_fma_f64 v[191:192], v[2:3], v[26:27], -v[28:29]
	scratch_load_b128 v[26:29], off, off offset:864
	ds_load_b128 v[2:5], v1 offset:1648
	v_add_f64 v[167:168], v[167:168], v[189:190]
	v_add_f64 v[171:172], v[171:172], v[183:184]
	v_fma_f64 v[187:188], v[8:9], v[30:31], v[187:188]
	v_fma_f64 v[189:190], v[6:7], v[30:31], -v[32:33]
	ds_load_b128 v[6:9], v1 offset:1664
	s_waitcnt vmcnt(8) lgkmcnt(1)
	v_mul_f64 v[183:184], v[2:3], v[36:37]
	v_mul_f64 v[36:37], v[4:5], v[36:37]
	scratch_load_b128 v[30:33], off, off offset:880
	v_add_f64 v[167:168], v[167:168], v[191:192]
	v_add_f64 v[171:172], v[171:172], v[185:186]
	s_waitcnt vmcnt(8) lgkmcnt(0)
	v_mul_f64 v[185:186], v[6:7], v[181:182]
	v_mul_f64 v[181:182], v[8:9], v[181:182]
	v_fma_f64 v[183:184], v[4:5], v[34:35], v[183:184]
	v_fma_f64 v[191:192], v[2:3], v[34:35], -v[36:37]
	scratch_load_b128 v[34:37], off, off offset:896
	ds_load_b128 v[2:5], v1 offset:1680
	v_add_f64 v[167:168], v[167:168], v[189:190]
	v_add_f64 v[171:172], v[171:172], v[187:188]
	v_fma_f64 v[185:186], v[8:9], v[179:180], v[185:186]
	v_fma_f64 v[179:180], v[6:7], v[179:180], -v[181:182]
	ds_load_b128 v[6:9], v1 offset:1696
	s_waitcnt vmcnt(8) lgkmcnt(1)
	v_mul_f64 v[187:188], v[2:3], v[40:41]
	v_mul_f64 v[40:41], v[4:5], v[40:41]
	s_waitcnt vmcnt(7) lgkmcnt(0)
	v_mul_f64 v[181:182], v[6:7], v[177:178]
	v_mul_f64 v[177:178], v[8:9], v[177:178]
	v_add_f64 v[167:168], v[167:168], v[191:192]
	v_add_f64 v[171:172], v[171:172], v[183:184]
	v_fma_f64 v[183:184], v[4:5], v[38:39], v[187:188]
	v_fma_f64 v[38:39], v[2:3], v[38:39], -v[40:41]
	ds_load_b128 v[2:5], v1 offset:1712
	v_add_f64 v[40:41], v[167:168], v[179:180]
	v_add_f64 v[167:168], v[171:172], v[185:186]
	v_fma_f64 v[179:180], v[8:9], v[175:176], v[181:182]
	v_fma_f64 v[175:176], v[6:7], v[175:176], -v[177:178]
	ds_load_b128 v[6:9], v1 offset:1728
	s_waitcnt vmcnt(5) lgkmcnt(0)
	v_mul_f64 v[181:182], v[6:7], v[16:17]
	v_mul_f64 v[16:17], v[8:9], v[16:17]
	v_add_f64 v[177:178], v[40:41], v[38:39]
	v_add_f64 v[167:168], v[167:168], v[183:184]
	scratch_load_b128 v[38:41], off, off offset:272
	v_mul_f64 v[171:172], v[2:3], v[12:13]
	v_mul_f64 v[12:13], v[4:5], v[12:13]
	v_add_f64 v[167:168], v[167:168], v[179:180]
	s_delay_alu instid0(VALU_DEP_3) | instskip(NEXT) | instid1(VALU_DEP_3)
	v_fma_f64 v[171:172], v[4:5], v[10:11], v[171:172]
	v_fma_f64 v[10:11], v[2:3], v[10:11], -v[12:13]
	v_add_f64 v[12:13], v[177:178], v[175:176]
	ds_load_b128 v[2:5], v1 offset:1744
	v_fma_f64 v[177:178], v[8:9], v[14:15], v[181:182]
	v_fma_f64 v[14:15], v[6:7], v[14:15], -v[16:17]
	ds_load_b128 v[6:9], v1 offset:1760
	s_waitcnt vmcnt(5) lgkmcnt(1)
	v_mul_f64 v[175:176], v[2:3], v[20:21]
	v_mul_f64 v[20:21], v[4:5], v[20:21]
	s_waitcnt vmcnt(4) lgkmcnt(0)
	v_mul_f64 v[16:17], v[6:7], v[24:25]
	v_mul_f64 v[24:25], v[8:9], v[24:25]
	v_add_f64 v[10:11], v[12:13], v[10:11]
	v_add_f64 v[12:13], v[167:168], v[171:172]
	v_fma_f64 v[167:168], v[4:5], v[18:19], v[175:176]
	v_fma_f64 v[18:19], v[2:3], v[18:19], -v[20:21]
	ds_load_b128 v[2:5], v1 offset:1776
	v_fma_f64 v[16:17], v[8:9], v[22:23], v[16:17]
	v_fma_f64 v[22:23], v[6:7], v[22:23], -v[24:25]
	ds_load_b128 v[6:9], v1 offset:1792
	v_add_f64 v[10:11], v[10:11], v[14:15]
	v_add_f64 v[12:13], v[12:13], v[177:178]
	s_waitcnt vmcnt(3) lgkmcnt(1)
	v_mul_f64 v[14:15], v[2:3], v[28:29]
	v_mul_f64 v[20:21], v[4:5], v[28:29]
	s_waitcnt vmcnt(2) lgkmcnt(0)
	v_mul_f64 v[24:25], v[8:9], v[32:33]
	v_add_f64 v[10:11], v[10:11], v[18:19]
	v_add_f64 v[12:13], v[12:13], v[167:168]
	v_mul_f64 v[18:19], v[6:7], v[32:33]
	v_fma_f64 v[14:15], v[4:5], v[26:27], v[14:15]
	v_fma_f64 v[20:21], v[2:3], v[26:27], -v[20:21]
	ds_load_b128 v[2:5], v1 offset:1808
	v_fma_f64 v[6:7], v[6:7], v[30:31], -v[24:25]
	v_add_f64 v[10:11], v[10:11], v[22:23]
	v_add_f64 v[12:13], v[12:13], v[16:17]
	s_waitcnt vmcnt(1) lgkmcnt(0)
	v_mul_f64 v[16:17], v[2:3], v[36:37]
	v_mul_f64 v[22:23], v[4:5], v[36:37]
	v_fma_f64 v[8:9], v[8:9], v[30:31], v[18:19]
	v_add_f64 v[10:11], v[10:11], v[20:21]
	v_add_f64 v[12:13], v[12:13], v[14:15]
	v_fma_f64 v[4:5], v[4:5], v[34:35], v[16:17]
	v_fma_f64 v[2:3], v[2:3], v[34:35], -v[22:23]
	s_delay_alu instid0(VALU_DEP_4) | instskip(NEXT) | instid1(VALU_DEP_4)
	v_add_f64 v[6:7], v[10:11], v[6:7]
	v_add_f64 v[8:9], v[12:13], v[8:9]
	s_delay_alu instid0(VALU_DEP_2) | instskip(NEXT) | instid1(VALU_DEP_2)
	v_add_f64 v[2:3], v[6:7], v[2:3]
	v_add_f64 v[4:5], v[8:9], v[4:5]
	s_waitcnt vmcnt(0)
	s_delay_alu instid0(VALU_DEP_2) | instskip(NEXT) | instid1(VALU_DEP_2)
	v_add_f64 v[2:3], v[38:39], -v[2:3]
	v_add_f64 v[4:5], v[40:41], -v[4:5]
	scratch_store_b128 off, v[2:5], off offset:272
	v_cmpx_lt_u32_e32 16, v156
	s_cbranch_execz .LBB56_323
; %bb.322:
	scratch_load_b128 v[5:8], v197, off
	v_mov_b32_e32 v2, v1
	v_mov_b32_e32 v3, v1
	v_mov_b32_e32 v4, v1
	scratch_store_b128 off, v[1:4], off offset:256
	s_waitcnt vmcnt(0)
	ds_store_b128 v213, v[5:8]
.LBB56_323:
	s_or_b32 exec_lo, exec_lo, s2
	s_waitcnt lgkmcnt(0)
	s_waitcnt_vscnt null, 0x0
	s_barrier
	buffer_gl0_inv
	s_clause 0x7
	scratch_load_b128 v[2:5], off, off offset:272
	scratch_load_b128 v[6:9], off, off offset:288
	;; [unrolled: 1-line block ×8, first 2 shown]
	ds_load_b128 v[38:41], v1 offset:1184
	ds_load_b128 v[175:178], v1 offset:1200
	s_clause 0x1
	scratch_load_b128 v[34:37], off, off offset:400
	scratch_load_b128 v[179:182], off, off offset:416
	s_mov_b32 s2, exec_lo
	s_waitcnt vmcnt(9) lgkmcnt(1)
	v_mul_f64 v[167:168], v[40:41], v[4:5]
	v_mul_f64 v[4:5], v[38:39], v[4:5]
	s_waitcnt vmcnt(8) lgkmcnt(0)
	v_mul_f64 v[171:172], v[175:176], v[8:9]
	v_mul_f64 v[8:9], v[177:178], v[8:9]
	s_delay_alu instid0(VALU_DEP_4) | instskip(NEXT) | instid1(VALU_DEP_4)
	v_fma_f64 v[167:168], v[38:39], v[2:3], -v[167:168]
	v_fma_f64 v[183:184], v[40:41], v[2:3], v[4:5]
	ds_load_b128 v[2:5], v1 offset:1216
	scratch_load_b128 v[38:41], off, off offset:432
	v_fma_f64 v[171:172], v[177:178], v[6:7], v[171:172]
	v_fma_f64 v[187:188], v[175:176], v[6:7], -v[8:9]
	scratch_load_b128 v[175:178], off, off offset:448
	ds_load_b128 v[6:9], v1 offset:1232
	s_waitcnt vmcnt(9) lgkmcnt(1)
	v_mul_f64 v[185:186], v[2:3], v[12:13]
	v_mul_f64 v[12:13], v[4:5], v[12:13]
	s_waitcnt vmcnt(8) lgkmcnt(0)
	v_mul_f64 v[189:190], v[6:7], v[16:17]
	v_mul_f64 v[16:17], v[8:9], v[16:17]
	v_add_f64 v[167:168], v[167:168], 0
	v_add_f64 v[183:184], v[183:184], 0
	v_fma_f64 v[185:186], v[4:5], v[10:11], v[185:186]
	v_fma_f64 v[191:192], v[2:3], v[10:11], -v[12:13]
	ds_load_b128 v[2:5], v1 offset:1248
	scratch_load_b128 v[10:13], off, off offset:464
	v_add_f64 v[167:168], v[167:168], v[187:188]
	v_add_f64 v[171:172], v[183:184], v[171:172]
	v_fma_f64 v[187:188], v[8:9], v[14:15], v[189:190]
	v_fma_f64 v[189:190], v[6:7], v[14:15], -v[16:17]
	scratch_load_b128 v[14:17], off, off offset:480
	ds_load_b128 v[6:9], v1 offset:1264
	s_waitcnt vmcnt(9) lgkmcnt(1)
	v_mul_f64 v[183:184], v[2:3], v[20:21]
	v_mul_f64 v[20:21], v[4:5], v[20:21]
	v_add_f64 v[167:168], v[167:168], v[191:192]
	v_add_f64 v[171:172], v[171:172], v[185:186]
	s_waitcnt vmcnt(8) lgkmcnt(0)
	v_mul_f64 v[185:186], v[6:7], v[24:25]
	v_mul_f64 v[24:25], v[8:9], v[24:25]
	v_fma_f64 v[183:184], v[4:5], v[18:19], v[183:184]
	v_fma_f64 v[191:192], v[2:3], v[18:19], -v[20:21]
	ds_load_b128 v[2:5], v1 offset:1280
	scratch_load_b128 v[18:21], off, off offset:496
	v_add_f64 v[167:168], v[167:168], v[189:190]
	v_add_f64 v[171:172], v[171:172], v[187:188]
	v_fma_f64 v[185:186], v[8:9], v[22:23], v[185:186]
	v_fma_f64 v[189:190], v[6:7], v[22:23], -v[24:25]
	scratch_load_b128 v[22:25], off, off offset:512
	ds_load_b128 v[6:9], v1 offset:1296
	s_waitcnt vmcnt(9) lgkmcnt(1)
	v_mul_f64 v[187:188], v[2:3], v[28:29]
	v_mul_f64 v[28:29], v[4:5], v[28:29]
	v_add_f64 v[167:168], v[167:168], v[191:192]
	v_add_f64 v[171:172], v[171:172], v[183:184]
	s_waitcnt vmcnt(8) lgkmcnt(0)
	v_mul_f64 v[183:184], v[6:7], v[32:33]
	v_mul_f64 v[32:33], v[8:9], v[32:33]
	;; [unrolled: 18-line block ×10, first 2 shown]
	v_fma_f64 v[183:184], v[4:5], v[10:11], v[183:184]
	v_fma_f64 v[191:192], v[2:3], v[10:11], -v[12:13]
	ds_load_b128 v[2:5], v1 offset:1568
	scratch_load_b128 v[10:13], off, off offset:784
	v_add_f64 v[167:168], v[167:168], v[189:190]
	v_add_f64 v[171:172], v[171:172], v[187:188]
	v_fma_f64 v[185:186], v[8:9], v[14:15], v[185:186]
	v_fma_f64 v[189:190], v[6:7], v[14:15], -v[16:17]
	ds_load_b128 v[6:9], v1 offset:1584
	s_waitcnt vmcnt(8) lgkmcnt(1)
	v_mul_f64 v[187:188], v[2:3], v[20:21]
	v_mul_f64 v[20:21], v[4:5], v[20:21]
	scratch_load_b128 v[14:17], off, off offset:800
	v_add_f64 v[167:168], v[167:168], v[191:192]
	v_add_f64 v[171:172], v[171:172], v[183:184]
	s_waitcnt vmcnt(8) lgkmcnt(0)
	v_mul_f64 v[183:184], v[6:7], v[24:25]
	v_mul_f64 v[24:25], v[8:9], v[24:25]
	v_fma_f64 v[187:188], v[4:5], v[18:19], v[187:188]
	v_fma_f64 v[191:192], v[2:3], v[18:19], -v[20:21]
	ds_load_b128 v[2:5], v1 offset:1600
	scratch_load_b128 v[18:21], off, off offset:816
	v_add_f64 v[167:168], v[167:168], v[189:190]
	v_add_f64 v[171:172], v[171:172], v[185:186]
	v_fma_f64 v[183:184], v[8:9], v[22:23], v[183:184]
	v_fma_f64 v[189:190], v[6:7], v[22:23], -v[24:25]
	ds_load_b128 v[6:9], v1 offset:1616
	s_waitcnt vmcnt(8) lgkmcnt(1)
	v_mul_f64 v[185:186], v[2:3], v[28:29]
	v_mul_f64 v[28:29], v[4:5], v[28:29]
	scratch_load_b128 v[22:25], off, off offset:832
	v_add_f64 v[167:168], v[167:168], v[191:192]
	v_add_f64 v[171:172], v[171:172], v[187:188]
	s_waitcnt vmcnt(8) lgkmcnt(0)
	v_mul_f64 v[187:188], v[6:7], v[32:33]
	v_mul_f64 v[32:33], v[8:9], v[32:33]
	v_fma_f64 v[185:186], v[4:5], v[26:27], v[185:186]
	v_fma_f64 v[191:192], v[2:3], v[26:27], -v[28:29]
	scratch_load_b128 v[26:29], off, off offset:848
	ds_load_b128 v[2:5], v1 offset:1632
	v_add_f64 v[167:168], v[167:168], v[189:190]
	v_add_f64 v[171:172], v[171:172], v[183:184]
	v_fma_f64 v[187:188], v[8:9], v[30:31], v[187:188]
	v_fma_f64 v[189:190], v[6:7], v[30:31], -v[32:33]
	ds_load_b128 v[6:9], v1 offset:1648
	s_waitcnt vmcnt(8) lgkmcnt(1)
	v_mul_f64 v[183:184], v[2:3], v[36:37]
	v_mul_f64 v[36:37], v[4:5], v[36:37]
	scratch_load_b128 v[30:33], off, off offset:864
	v_add_f64 v[167:168], v[167:168], v[191:192]
	v_add_f64 v[171:172], v[171:172], v[185:186]
	s_waitcnt vmcnt(8) lgkmcnt(0)
	v_mul_f64 v[185:186], v[6:7], v[181:182]
	v_mul_f64 v[181:182], v[8:9], v[181:182]
	v_fma_f64 v[183:184], v[4:5], v[34:35], v[183:184]
	v_fma_f64 v[191:192], v[2:3], v[34:35], -v[36:37]
	scratch_load_b128 v[34:37], off, off offset:880
	ds_load_b128 v[2:5], v1 offset:1664
	v_add_f64 v[167:168], v[167:168], v[189:190]
	v_add_f64 v[171:172], v[171:172], v[187:188]
	v_fma_f64 v[185:186], v[8:9], v[179:180], v[185:186]
	v_fma_f64 v[189:190], v[6:7], v[179:180], -v[181:182]
	ds_load_b128 v[6:9], v1 offset:1680
	s_waitcnt vmcnt(8) lgkmcnt(1)
	v_mul_f64 v[187:188], v[2:3], v[40:41]
	v_mul_f64 v[40:41], v[4:5], v[40:41]
	scratch_load_b128 v[179:182], off, off offset:896
	v_add_f64 v[167:168], v[167:168], v[191:192]
	v_add_f64 v[171:172], v[171:172], v[183:184]
	s_waitcnt vmcnt(8) lgkmcnt(0)
	v_mul_f64 v[183:184], v[6:7], v[177:178]
	v_mul_f64 v[177:178], v[8:9], v[177:178]
	v_fma_f64 v[187:188], v[4:5], v[38:39], v[187:188]
	v_fma_f64 v[38:39], v[2:3], v[38:39], -v[40:41]
	ds_load_b128 v[2:5], v1 offset:1696
	v_add_f64 v[40:41], v[167:168], v[189:190]
	v_add_f64 v[167:168], v[171:172], v[185:186]
	v_fma_f64 v[183:184], v[8:9], v[175:176], v[183:184]
	v_fma_f64 v[175:176], v[6:7], v[175:176], -v[177:178]
	ds_load_b128 v[6:9], v1 offset:1712
	s_waitcnt vmcnt(7) lgkmcnt(1)
	v_mul_f64 v[171:172], v[2:3], v[12:13]
	v_mul_f64 v[12:13], v[4:5], v[12:13]
	v_add_f64 v[38:39], v[40:41], v[38:39]
	v_add_f64 v[40:41], v[167:168], v[187:188]
	s_delay_alu instid0(VALU_DEP_4) | instskip(NEXT) | instid1(VALU_DEP_4)
	v_fma_f64 v[171:172], v[4:5], v[10:11], v[171:172]
	v_fma_f64 v[177:178], v[2:3], v[10:11], -v[12:13]
	scratch_load_b128 v[10:13], off, off offset:256
	s_waitcnt vmcnt(7) lgkmcnt(0)
	v_mul_f64 v[167:168], v[6:7], v[16:17]
	v_mul_f64 v[16:17], v[8:9], v[16:17]
	ds_load_b128 v[2:5], v1 offset:1728
	v_add_f64 v[38:39], v[38:39], v[175:176]
	v_add_f64 v[40:41], v[40:41], v[183:184]
	v_fma_f64 v[167:168], v[8:9], v[14:15], v[167:168]
	v_fma_f64 v[14:15], v[6:7], v[14:15], -v[16:17]
	ds_load_b128 v[6:9], v1 offset:1744
	s_waitcnt vmcnt(6) lgkmcnt(1)
	v_mul_f64 v[175:176], v[2:3], v[20:21]
	v_mul_f64 v[20:21], v[4:5], v[20:21]
	v_add_f64 v[16:17], v[38:39], v[177:178]
	v_add_f64 v[38:39], v[40:41], v[171:172]
	s_waitcnt vmcnt(5) lgkmcnt(0)
	v_mul_f64 v[40:41], v[6:7], v[24:25]
	v_mul_f64 v[24:25], v[8:9], v[24:25]
	v_fma_f64 v[171:172], v[4:5], v[18:19], v[175:176]
	v_fma_f64 v[18:19], v[2:3], v[18:19], -v[20:21]
	ds_load_b128 v[2:5], v1 offset:1760
	v_add_f64 v[14:15], v[16:17], v[14:15]
	v_add_f64 v[16:17], v[38:39], v[167:168]
	v_fma_f64 v[38:39], v[8:9], v[22:23], v[40:41]
	v_fma_f64 v[22:23], v[6:7], v[22:23], -v[24:25]
	ds_load_b128 v[6:9], v1 offset:1776
	s_waitcnt vmcnt(4) lgkmcnt(1)
	v_mul_f64 v[20:21], v[2:3], v[28:29]
	v_mul_f64 v[28:29], v[4:5], v[28:29]
	s_waitcnt vmcnt(3) lgkmcnt(0)
	v_mul_f64 v[24:25], v[8:9], v[32:33]
	v_add_f64 v[14:15], v[14:15], v[18:19]
	v_add_f64 v[16:17], v[16:17], v[171:172]
	v_mul_f64 v[18:19], v[6:7], v[32:33]
	v_fma_f64 v[20:21], v[4:5], v[26:27], v[20:21]
	v_fma_f64 v[26:27], v[2:3], v[26:27], -v[28:29]
	ds_load_b128 v[2:5], v1 offset:1792
	v_fma_f64 v[24:25], v[6:7], v[30:31], -v[24:25]
	v_add_f64 v[14:15], v[14:15], v[22:23]
	v_add_f64 v[16:17], v[16:17], v[38:39]
	v_fma_f64 v[18:19], v[8:9], v[30:31], v[18:19]
	ds_load_b128 v[6:9], v1 offset:1808
	s_waitcnt vmcnt(2) lgkmcnt(1)
	v_mul_f64 v[22:23], v[2:3], v[36:37]
	v_mul_f64 v[28:29], v[4:5], v[36:37]
	v_add_f64 v[14:15], v[14:15], v[26:27]
	v_add_f64 v[16:17], v[16:17], v[20:21]
	s_waitcnt vmcnt(1) lgkmcnt(0)
	v_mul_f64 v[20:21], v[6:7], v[181:182]
	v_mul_f64 v[26:27], v[8:9], v[181:182]
	v_fma_f64 v[4:5], v[4:5], v[34:35], v[22:23]
	v_fma_f64 v[1:2], v[2:3], v[34:35], -v[28:29]
	v_add_f64 v[14:15], v[14:15], v[24:25]
	v_add_f64 v[16:17], v[16:17], v[18:19]
	v_fma_f64 v[8:9], v[8:9], v[179:180], v[20:21]
	v_fma_f64 v[6:7], v[6:7], v[179:180], -v[26:27]
	s_delay_alu instid0(VALU_DEP_4) | instskip(NEXT) | instid1(VALU_DEP_4)
	v_add_f64 v[1:2], v[14:15], v[1:2]
	v_add_f64 v[3:4], v[16:17], v[4:5]
	s_delay_alu instid0(VALU_DEP_2) | instskip(NEXT) | instid1(VALU_DEP_2)
	v_add_f64 v[1:2], v[1:2], v[6:7]
	v_add_f64 v[3:4], v[3:4], v[8:9]
	s_waitcnt vmcnt(0)
	s_delay_alu instid0(VALU_DEP_2) | instskip(NEXT) | instid1(VALU_DEP_2)
	v_add_f64 v[1:2], v[10:11], -v[1:2]
	v_add_f64 v[3:4], v[12:13], -v[3:4]
	scratch_store_b128 off, v[1:4], off offset:256
	v_cmpx_lt_u32_e32 15, v156
	s_cbranch_execz .LBB56_325
; %bb.324:
	scratch_load_b128 v[1:4], v198, off
	v_mov_b32_e32 v5, 0
	s_delay_alu instid0(VALU_DEP_1)
	v_mov_b32_e32 v6, v5
	v_mov_b32_e32 v7, v5
	;; [unrolled: 1-line block ×3, first 2 shown]
	scratch_store_b128 off, v[5:8], off offset:240
	s_waitcnt vmcnt(0)
	ds_store_b128 v213, v[1:4]
.LBB56_325:
	s_or_b32 exec_lo, exec_lo, s2
	s_waitcnt lgkmcnt(0)
	s_waitcnt_vscnt null, 0x0
	s_barrier
	buffer_gl0_inv
	s_clause 0x7
	scratch_load_b128 v[2:5], off, off offset:256
	scratch_load_b128 v[6:9], off, off offset:272
	;; [unrolled: 1-line block ×8, first 2 shown]
	v_mov_b32_e32 v1, 0
	s_clause 0x1
	scratch_load_b128 v[34:37], off, off offset:384
	scratch_load_b128 v[179:182], off, off offset:400
	s_mov_b32 s2, exec_lo
	ds_load_b128 v[38:41], v1 offset:1168
	ds_load_b128 v[175:178], v1 offset:1184
	s_waitcnt vmcnt(9) lgkmcnt(1)
	v_mul_f64 v[167:168], v[40:41], v[4:5]
	v_mul_f64 v[4:5], v[38:39], v[4:5]
	s_waitcnt vmcnt(8) lgkmcnt(0)
	v_mul_f64 v[171:172], v[175:176], v[8:9]
	v_mul_f64 v[8:9], v[177:178], v[8:9]
	s_delay_alu instid0(VALU_DEP_4) | instskip(NEXT) | instid1(VALU_DEP_4)
	v_fma_f64 v[167:168], v[38:39], v[2:3], -v[167:168]
	v_fma_f64 v[183:184], v[40:41], v[2:3], v[4:5]
	ds_load_b128 v[2:5], v1 offset:1200
	scratch_load_b128 v[38:41], off, off offset:416
	v_fma_f64 v[171:172], v[177:178], v[6:7], v[171:172]
	v_fma_f64 v[187:188], v[175:176], v[6:7], -v[8:9]
	scratch_load_b128 v[175:178], off, off offset:432
	ds_load_b128 v[6:9], v1 offset:1216
	s_waitcnt vmcnt(9) lgkmcnt(1)
	v_mul_f64 v[185:186], v[2:3], v[12:13]
	v_mul_f64 v[12:13], v[4:5], v[12:13]
	s_waitcnt vmcnt(8) lgkmcnt(0)
	v_mul_f64 v[189:190], v[6:7], v[16:17]
	v_mul_f64 v[16:17], v[8:9], v[16:17]
	v_add_f64 v[167:168], v[167:168], 0
	v_add_f64 v[183:184], v[183:184], 0
	v_fma_f64 v[185:186], v[4:5], v[10:11], v[185:186]
	v_fma_f64 v[191:192], v[2:3], v[10:11], -v[12:13]
	ds_load_b128 v[2:5], v1 offset:1232
	scratch_load_b128 v[10:13], off, off offset:448
	v_add_f64 v[167:168], v[167:168], v[187:188]
	v_add_f64 v[171:172], v[183:184], v[171:172]
	v_fma_f64 v[187:188], v[8:9], v[14:15], v[189:190]
	v_fma_f64 v[189:190], v[6:7], v[14:15], -v[16:17]
	scratch_load_b128 v[14:17], off, off offset:464
	ds_load_b128 v[6:9], v1 offset:1248
	s_waitcnt vmcnt(9) lgkmcnt(1)
	v_mul_f64 v[183:184], v[2:3], v[20:21]
	v_mul_f64 v[20:21], v[4:5], v[20:21]
	v_add_f64 v[167:168], v[167:168], v[191:192]
	v_add_f64 v[171:172], v[171:172], v[185:186]
	s_waitcnt vmcnt(8) lgkmcnt(0)
	v_mul_f64 v[185:186], v[6:7], v[24:25]
	v_mul_f64 v[24:25], v[8:9], v[24:25]
	v_fma_f64 v[183:184], v[4:5], v[18:19], v[183:184]
	v_fma_f64 v[191:192], v[2:3], v[18:19], -v[20:21]
	ds_load_b128 v[2:5], v1 offset:1264
	scratch_load_b128 v[18:21], off, off offset:480
	v_add_f64 v[167:168], v[167:168], v[189:190]
	v_add_f64 v[171:172], v[171:172], v[187:188]
	v_fma_f64 v[185:186], v[8:9], v[22:23], v[185:186]
	v_fma_f64 v[189:190], v[6:7], v[22:23], -v[24:25]
	scratch_load_b128 v[22:25], off, off offset:496
	ds_load_b128 v[6:9], v1 offset:1280
	s_waitcnt vmcnt(9) lgkmcnt(1)
	v_mul_f64 v[187:188], v[2:3], v[28:29]
	v_mul_f64 v[28:29], v[4:5], v[28:29]
	v_add_f64 v[167:168], v[167:168], v[191:192]
	v_add_f64 v[171:172], v[171:172], v[183:184]
	s_waitcnt vmcnt(8) lgkmcnt(0)
	v_mul_f64 v[183:184], v[6:7], v[32:33]
	v_mul_f64 v[32:33], v[8:9], v[32:33]
	;; [unrolled: 18-line block ×11, first 2 shown]
	v_fma_f64 v[187:188], v[4:5], v[18:19], v[187:188]
	v_fma_f64 v[191:192], v[2:3], v[18:19], -v[20:21]
	ds_load_b128 v[2:5], v1 offset:1584
	scratch_load_b128 v[18:21], off, off offset:800
	v_add_f64 v[167:168], v[167:168], v[189:190]
	v_add_f64 v[171:172], v[171:172], v[185:186]
	v_fma_f64 v[183:184], v[8:9], v[22:23], v[183:184]
	v_fma_f64 v[189:190], v[6:7], v[22:23], -v[24:25]
	ds_load_b128 v[6:9], v1 offset:1600
	s_waitcnt vmcnt(8) lgkmcnt(1)
	v_mul_f64 v[185:186], v[2:3], v[28:29]
	v_mul_f64 v[28:29], v[4:5], v[28:29]
	scratch_load_b128 v[22:25], off, off offset:816
	v_add_f64 v[167:168], v[167:168], v[191:192]
	v_add_f64 v[171:172], v[171:172], v[187:188]
	s_waitcnt vmcnt(8) lgkmcnt(0)
	v_mul_f64 v[187:188], v[6:7], v[32:33]
	v_mul_f64 v[32:33], v[8:9], v[32:33]
	v_fma_f64 v[185:186], v[4:5], v[26:27], v[185:186]
	v_fma_f64 v[191:192], v[2:3], v[26:27], -v[28:29]
	scratch_load_b128 v[26:29], off, off offset:832
	ds_load_b128 v[2:5], v1 offset:1616
	v_add_f64 v[167:168], v[167:168], v[189:190]
	v_add_f64 v[171:172], v[171:172], v[183:184]
	v_fma_f64 v[187:188], v[8:9], v[30:31], v[187:188]
	v_fma_f64 v[189:190], v[6:7], v[30:31], -v[32:33]
	ds_load_b128 v[6:9], v1 offset:1632
	s_waitcnt vmcnt(8) lgkmcnt(1)
	v_mul_f64 v[183:184], v[2:3], v[36:37]
	v_mul_f64 v[36:37], v[4:5], v[36:37]
	scratch_load_b128 v[30:33], off, off offset:848
	v_add_f64 v[167:168], v[167:168], v[191:192]
	v_add_f64 v[171:172], v[171:172], v[185:186]
	s_waitcnt vmcnt(8) lgkmcnt(0)
	v_mul_f64 v[185:186], v[6:7], v[181:182]
	v_mul_f64 v[181:182], v[8:9], v[181:182]
	v_fma_f64 v[183:184], v[4:5], v[34:35], v[183:184]
	v_fma_f64 v[191:192], v[2:3], v[34:35], -v[36:37]
	scratch_load_b128 v[34:37], off, off offset:864
	ds_load_b128 v[2:5], v1 offset:1648
	;; [unrolled: 18-line block ×3, first 2 shown]
	v_add_f64 v[167:168], v[167:168], v[189:190]
	v_add_f64 v[171:172], v[171:172], v[185:186]
	v_fma_f64 v[183:184], v[8:9], v[175:176], v[183:184]
	v_fma_f64 v[175:176], v[6:7], v[175:176], -v[177:178]
	ds_load_b128 v[6:9], v1 offset:1696
	s_waitcnt vmcnt(8) lgkmcnt(1)
	v_mul_f64 v[185:186], v[2:3], v[12:13]
	v_mul_f64 v[12:13], v[4:5], v[12:13]
	s_waitcnt vmcnt(7) lgkmcnt(0)
	v_mul_f64 v[177:178], v[6:7], v[16:17]
	v_mul_f64 v[16:17], v[8:9], v[16:17]
	v_add_f64 v[167:168], v[167:168], v[191:192]
	v_add_f64 v[171:172], v[171:172], v[187:188]
	v_fma_f64 v[185:186], v[4:5], v[10:11], v[185:186]
	v_fma_f64 v[10:11], v[2:3], v[10:11], -v[12:13]
	ds_load_b128 v[2:5], v1 offset:1712
	v_add_f64 v[12:13], v[167:168], v[175:176]
	v_add_f64 v[167:168], v[171:172], v[183:184]
	v_fma_f64 v[175:176], v[8:9], v[14:15], v[177:178]
	v_fma_f64 v[14:15], v[6:7], v[14:15], -v[16:17]
	ds_load_b128 v[6:9], v1 offset:1728
	s_waitcnt vmcnt(5) lgkmcnt(0)
	v_mul_f64 v[177:178], v[6:7], v[24:25]
	v_mul_f64 v[24:25], v[8:9], v[24:25]
	v_add_f64 v[16:17], v[12:13], v[10:11]
	v_add_f64 v[167:168], v[167:168], v[185:186]
	scratch_load_b128 v[10:13], off, off offset:240
	v_mul_f64 v[171:172], v[2:3], v[20:21]
	v_mul_f64 v[20:21], v[4:5], v[20:21]
	v_add_f64 v[14:15], v[16:17], v[14:15]
	v_add_f64 v[16:17], v[167:168], v[175:176]
	v_fma_f64 v[167:168], v[8:9], v[22:23], v[177:178]
	v_fma_f64 v[171:172], v[4:5], v[18:19], v[171:172]
	v_fma_f64 v[18:19], v[2:3], v[18:19], -v[20:21]
	ds_load_b128 v[2:5], v1 offset:1744
	v_fma_f64 v[22:23], v[6:7], v[22:23], -v[24:25]
	ds_load_b128 v[6:9], v1 offset:1760
	s_waitcnt vmcnt(5) lgkmcnt(1)
	v_mul_f64 v[20:21], v[2:3], v[28:29]
	v_mul_f64 v[28:29], v[4:5], v[28:29]
	s_waitcnt vmcnt(4) lgkmcnt(0)
	v_mul_f64 v[24:25], v[8:9], v[32:33]
	v_add_f64 v[16:17], v[16:17], v[171:172]
	v_add_f64 v[14:15], v[14:15], v[18:19]
	v_mul_f64 v[18:19], v[6:7], v[32:33]
	v_fma_f64 v[20:21], v[4:5], v[26:27], v[20:21]
	v_fma_f64 v[26:27], v[2:3], v[26:27], -v[28:29]
	ds_load_b128 v[2:5], v1 offset:1776
	v_fma_f64 v[24:25], v[6:7], v[30:31], -v[24:25]
	v_add_f64 v[16:17], v[16:17], v[167:168]
	v_add_f64 v[14:15], v[14:15], v[22:23]
	v_fma_f64 v[18:19], v[8:9], v[30:31], v[18:19]
	ds_load_b128 v[6:9], v1 offset:1792
	s_waitcnt vmcnt(3) lgkmcnt(1)
	v_mul_f64 v[22:23], v[2:3], v[36:37]
	v_mul_f64 v[28:29], v[4:5], v[36:37]
	v_add_f64 v[16:17], v[16:17], v[20:21]
	v_add_f64 v[14:15], v[14:15], v[26:27]
	s_waitcnt vmcnt(2) lgkmcnt(0)
	v_mul_f64 v[20:21], v[6:7], v[181:182]
	v_mul_f64 v[26:27], v[8:9], v[181:182]
	v_fma_f64 v[22:23], v[4:5], v[34:35], v[22:23]
	v_fma_f64 v[28:29], v[2:3], v[34:35], -v[28:29]
	ds_load_b128 v[2:5], v1 offset:1808
	v_add_f64 v[16:17], v[16:17], v[18:19]
	v_add_f64 v[14:15], v[14:15], v[24:25]
	s_waitcnt vmcnt(1) lgkmcnt(0)
	v_mul_f64 v[18:19], v[2:3], v[40:41]
	v_mul_f64 v[24:25], v[4:5], v[40:41]
	v_fma_f64 v[8:9], v[8:9], v[179:180], v[20:21]
	v_fma_f64 v[6:7], v[6:7], v[179:180], -v[26:27]
	v_add_f64 v[16:17], v[16:17], v[22:23]
	v_add_f64 v[14:15], v[14:15], v[28:29]
	v_fma_f64 v[4:5], v[4:5], v[38:39], v[18:19]
	v_fma_f64 v[2:3], v[2:3], v[38:39], -v[24:25]
	s_delay_alu instid0(VALU_DEP_4) | instskip(NEXT) | instid1(VALU_DEP_4)
	v_add_f64 v[8:9], v[16:17], v[8:9]
	v_add_f64 v[6:7], v[14:15], v[6:7]
	s_delay_alu instid0(VALU_DEP_2) | instskip(NEXT) | instid1(VALU_DEP_2)
	v_add_f64 v[4:5], v[8:9], v[4:5]
	v_add_f64 v[2:3], v[6:7], v[2:3]
	s_waitcnt vmcnt(0)
	s_delay_alu instid0(VALU_DEP_2) | instskip(NEXT) | instid1(VALU_DEP_2)
	v_add_f64 v[4:5], v[12:13], -v[4:5]
	v_add_f64 v[2:3], v[10:11], -v[2:3]
	scratch_store_b128 off, v[2:5], off offset:240
	v_cmpx_lt_u32_e32 14, v156
	s_cbranch_execz .LBB56_327
; %bb.326:
	scratch_load_b128 v[5:8], v199, off
	v_mov_b32_e32 v2, v1
	v_mov_b32_e32 v3, v1
	;; [unrolled: 1-line block ×3, first 2 shown]
	scratch_store_b128 off, v[1:4], off offset:224
	s_waitcnt vmcnt(0)
	ds_store_b128 v213, v[5:8]
.LBB56_327:
	s_or_b32 exec_lo, exec_lo, s2
	s_waitcnt lgkmcnt(0)
	s_waitcnt_vscnt null, 0x0
	s_barrier
	buffer_gl0_inv
	s_clause 0x7
	scratch_load_b128 v[2:5], off, off offset:240
	scratch_load_b128 v[6:9], off, off offset:256
	;; [unrolled: 1-line block ×8, first 2 shown]
	ds_load_b128 v[38:41], v1 offset:1152
	ds_load_b128 v[175:178], v1 offset:1168
	s_clause 0x1
	scratch_load_b128 v[34:37], off, off offset:368
	scratch_load_b128 v[179:182], off, off offset:384
	s_mov_b32 s2, exec_lo
	s_waitcnt vmcnt(9) lgkmcnt(1)
	v_mul_f64 v[167:168], v[40:41], v[4:5]
	v_mul_f64 v[4:5], v[38:39], v[4:5]
	s_waitcnt vmcnt(8) lgkmcnt(0)
	v_mul_f64 v[171:172], v[175:176], v[8:9]
	v_mul_f64 v[8:9], v[177:178], v[8:9]
	s_delay_alu instid0(VALU_DEP_4) | instskip(NEXT) | instid1(VALU_DEP_4)
	v_fma_f64 v[167:168], v[38:39], v[2:3], -v[167:168]
	v_fma_f64 v[183:184], v[40:41], v[2:3], v[4:5]
	ds_load_b128 v[2:5], v1 offset:1184
	scratch_load_b128 v[38:41], off, off offset:400
	v_fma_f64 v[171:172], v[177:178], v[6:7], v[171:172]
	v_fma_f64 v[187:188], v[175:176], v[6:7], -v[8:9]
	scratch_load_b128 v[175:178], off, off offset:416
	ds_load_b128 v[6:9], v1 offset:1200
	s_waitcnt vmcnt(9) lgkmcnt(1)
	v_mul_f64 v[185:186], v[2:3], v[12:13]
	v_mul_f64 v[12:13], v[4:5], v[12:13]
	s_waitcnt vmcnt(8) lgkmcnt(0)
	v_mul_f64 v[189:190], v[6:7], v[16:17]
	v_mul_f64 v[16:17], v[8:9], v[16:17]
	v_add_f64 v[167:168], v[167:168], 0
	v_add_f64 v[183:184], v[183:184], 0
	v_fma_f64 v[185:186], v[4:5], v[10:11], v[185:186]
	v_fma_f64 v[191:192], v[2:3], v[10:11], -v[12:13]
	ds_load_b128 v[2:5], v1 offset:1216
	scratch_load_b128 v[10:13], off, off offset:432
	v_add_f64 v[167:168], v[167:168], v[187:188]
	v_add_f64 v[171:172], v[183:184], v[171:172]
	v_fma_f64 v[187:188], v[8:9], v[14:15], v[189:190]
	v_fma_f64 v[189:190], v[6:7], v[14:15], -v[16:17]
	scratch_load_b128 v[14:17], off, off offset:448
	ds_load_b128 v[6:9], v1 offset:1232
	s_waitcnt vmcnt(9) lgkmcnt(1)
	v_mul_f64 v[183:184], v[2:3], v[20:21]
	v_mul_f64 v[20:21], v[4:5], v[20:21]
	v_add_f64 v[167:168], v[167:168], v[191:192]
	v_add_f64 v[171:172], v[171:172], v[185:186]
	s_waitcnt vmcnt(8) lgkmcnt(0)
	v_mul_f64 v[185:186], v[6:7], v[24:25]
	v_mul_f64 v[24:25], v[8:9], v[24:25]
	v_fma_f64 v[183:184], v[4:5], v[18:19], v[183:184]
	v_fma_f64 v[191:192], v[2:3], v[18:19], -v[20:21]
	ds_load_b128 v[2:5], v1 offset:1248
	scratch_load_b128 v[18:21], off, off offset:464
	v_add_f64 v[167:168], v[167:168], v[189:190]
	v_add_f64 v[171:172], v[171:172], v[187:188]
	v_fma_f64 v[185:186], v[8:9], v[22:23], v[185:186]
	v_fma_f64 v[189:190], v[6:7], v[22:23], -v[24:25]
	scratch_load_b128 v[22:25], off, off offset:480
	ds_load_b128 v[6:9], v1 offset:1264
	s_waitcnt vmcnt(9) lgkmcnt(1)
	v_mul_f64 v[187:188], v[2:3], v[28:29]
	v_mul_f64 v[28:29], v[4:5], v[28:29]
	v_add_f64 v[167:168], v[167:168], v[191:192]
	v_add_f64 v[171:172], v[171:172], v[183:184]
	s_waitcnt vmcnt(8) lgkmcnt(0)
	v_mul_f64 v[183:184], v[6:7], v[32:33]
	v_mul_f64 v[32:33], v[8:9], v[32:33]
	;; [unrolled: 18-line block ×11, first 2 shown]
	v_fma_f64 v[187:188], v[4:5], v[18:19], v[187:188]
	v_fma_f64 v[191:192], v[2:3], v[18:19], -v[20:21]
	ds_load_b128 v[2:5], v1 offset:1568
	scratch_load_b128 v[18:21], off, off offset:784
	v_add_f64 v[167:168], v[167:168], v[189:190]
	v_add_f64 v[171:172], v[171:172], v[185:186]
	v_fma_f64 v[183:184], v[8:9], v[22:23], v[183:184]
	v_fma_f64 v[189:190], v[6:7], v[22:23], -v[24:25]
	ds_load_b128 v[6:9], v1 offset:1584
	s_waitcnt vmcnt(8) lgkmcnt(1)
	v_mul_f64 v[185:186], v[2:3], v[28:29]
	v_mul_f64 v[28:29], v[4:5], v[28:29]
	scratch_load_b128 v[22:25], off, off offset:800
	v_add_f64 v[167:168], v[167:168], v[191:192]
	v_add_f64 v[171:172], v[171:172], v[187:188]
	s_waitcnt vmcnt(8) lgkmcnt(0)
	v_mul_f64 v[187:188], v[6:7], v[32:33]
	v_mul_f64 v[32:33], v[8:9], v[32:33]
	v_fma_f64 v[185:186], v[4:5], v[26:27], v[185:186]
	v_fma_f64 v[191:192], v[2:3], v[26:27], -v[28:29]
	ds_load_b128 v[2:5], v1 offset:1600
	scratch_load_b128 v[26:29], off, off offset:816
	v_add_f64 v[167:168], v[167:168], v[189:190]
	v_add_f64 v[171:172], v[171:172], v[183:184]
	v_fma_f64 v[187:188], v[8:9], v[30:31], v[187:188]
	v_fma_f64 v[189:190], v[6:7], v[30:31], -v[32:33]
	ds_load_b128 v[6:9], v1 offset:1616
	s_waitcnt vmcnt(8) lgkmcnt(1)
	v_mul_f64 v[183:184], v[2:3], v[36:37]
	v_mul_f64 v[36:37], v[4:5], v[36:37]
	scratch_load_b128 v[30:33], off, off offset:832
	v_add_f64 v[167:168], v[167:168], v[191:192]
	v_add_f64 v[171:172], v[171:172], v[185:186]
	s_waitcnt vmcnt(8) lgkmcnt(0)
	v_mul_f64 v[185:186], v[6:7], v[181:182]
	v_mul_f64 v[181:182], v[8:9], v[181:182]
	v_fma_f64 v[183:184], v[4:5], v[34:35], v[183:184]
	v_fma_f64 v[191:192], v[2:3], v[34:35], -v[36:37]
	scratch_load_b128 v[34:37], off, off offset:848
	ds_load_b128 v[2:5], v1 offset:1632
	v_add_f64 v[167:168], v[167:168], v[189:190]
	v_add_f64 v[171:172], v[171:172], v[187:188]
	v_fma_f64 v[185:186], v[8:9], v[179:180], v[185:186]
	v_fma_f64 v[189:190], v[6:7], v[179:180], -v[181:182]
	ds_load_b128 v[6:9], v1 offset:1648
	s_waitcnt vmcnt(8) lgkmcnt(1)
	v_mul_f64 v[187:188], v[2:3], v[40:41]
	v_mul_f64 v[40:41], v[4:5], v[40:41]
	scratch_load_b128 v[179:182], off, off offset:864
	v_add_f64 v[167:168], v[167:168], v[191:192]
	v_add_f64 v[171:172], v[171:172], v[183:184]
	s_waitcnt vmcnt(8) lgkmcnt(0)
	v_mul_f64 v[183:184], v[6:7], v[177:178]
	v_mul_f64 v[177:178], v[8:9], v[177:178]
	v_fma_f64 v[187:188], v[4:5], v[38:39], v[187:188]
	v_fma_f64 v[191:192], v[2:3], v[38:39], -v[40:41]
	scratch_load_b128 v[38:41], off, off offset:880
	ds_load_b128 v[2:5], v1 offset:1664
	v_add_f64 v[167:168], v[167:168], v[189:190]
	v_add_f64 v[171:172], v[171:172], v[185:186]
	v_fma_f64 v[183:184], v[8:9], v[175:176], v[183:184]
	v_fma_f64 v[189:190], v[6:7], v[175:176], -v[177:178]
	ds_load_b128 v[6:9], v1 offset:1680
	s_waitcnt vmcnt(8) lgkmcnt(1)
	v_mul_f64 v[185:186], v[2:3], v[12:13]
	v_mul_f64 v[12:13], v[4:5], v[12:13]
	scratch_load_b128 v[175:178], off, off offset:896
	v_add_f64 v[167:168], v[167:168], v[191:192]
	v_add_f64 v[171:172], v[171:172], v[187:188]
	s_waitcnt vmcnt(8) lgkmcnt(0)
	v_mul_f64 v[187:188], v[6:7], v[16:17]
	v_mul_f64 v[16:17], v[8:9], v[16:17]
	v_fma_f64 v[185:186], v[4:5], v[10:11], v[185:186]
	v_fma_f64 v[10:11], v[2:3], v[10:11], -v[12:13]
	ds_load_b128 v[2:5], v1 offset:1696
	v_add_f64 v[12:13], v[167:168], v[189:190]
	v_add_f64 v[167:168], v[171:172], v[183:184]
	v_fma_f64 v[183:184], v[8:9], v[14:15], v[187:188]
	v_fma_f64 v[14:15], v[6:7], v[14:15], -v[16:17]
	ds_load_b128 v[6:9], v1 offset:1712
	s_waitcnt vmcnt(7) lgkmcnt(1)
	v_mul_f64 v[171:172], v[2:3], v[20:21]
	v_mul_f64 v[20:21], v[4:5], v[20:21]
	v_add_f64 v[10:11], v[12:13], v[10:11]
	v_add_f64 v[12:13], v[167:168], v[185:186]
	s_delay_alu instid0(VALU_DEP_4) | instskip(NEXT) | instid1(VALU_DEP_4)
	v_fma_f64 v[167:168], v[4:5], v[18:19], v[171:172]
	v_fma_f64 v[18:19], v[2:3], v[18:19], -v[20:21]
	ds_load_b128 v[2:5], v1 offset:1728
	v_add_f64 v[14:15], v[10:11], v[14:15]
	v_add_f64 v[20:21], v[12:13], v[183:184]
	scratch_load_b128 v[10:13], off, off offset:224
	s_waitcnt vmcnt(7) lgkmcnt(1)
	v_mul_f64 v[16:17], v[6:7], v[24:25]
	v_mul_f64 v[24:25], v[8:9], v[24:25]
	v_add_f64 v[14:15], v[14:15], v[18:19]
	v_add_f64 v[18:19], v[20:21], v[167:168]
	s_delay_alu instid0(VALU_DEP_4) | instskip(NEXT) | instid1(VALU_DEP_4)
	v_fma_f64 v[16:17], v[8:9], v[22:23], v[16:17]
	v_fma_f64 v[22:23], v[6:7], v[22:23], -v[24:25]
	ds_load_b128 v[6:9], v1 offset:1744
	s_waitcnt vmcnt(6) lgkmcnt(1)
	v_mul_f64 v[171:172], v[2:3], v[28:29]
	v_mul_f64 v[28:29], v[4:5], v[28:29]
	s_waitcnt vmcnt(5) lgkmcnt(0)
	v_mul_f64 v[20:21], v[6:7], v[32:33]
	v_mul_f64 v[24:25], v[8:9], v[32:33]
	v_add_f64 v[16:17], v[18:19], v[16:17]
	v_add_f64 v[14:15], v[14:15], v[22:23]
	v_fma_f64 v[32:33], v[4:5], v[26:27], v[171:172]
	v_fma_f64 v[26:27], v[2:3], v[26:27], -v[28:29]
	ds_load_b128 v[2:5], v1 offset:1760
	v_fma_f64 v[20:21], v[8:9], v[30:31], v[20:21]
	v_fma_f64 v[24:25], v[6:7], v[30:31], -v[24:25]
	ds_load_b128 v[6:9], v1 offset:1776
	s_waitcnt vmcnt(4) lgkmcnt(1)
	v_mul_f64 v[18:19], v[2:3], v[36:37]
	v_mul_f64 v[22:23], v[4:5], v[36:37]
	v_add_f64 v[16:17], v[16:17], v[32:33]
	v_add_f64 v[14:15], v[14:15], v[26:27]
	s_waitcnt vmcnt(3) lgkmcnt(0)
	v_mul_f64 v[26:27], v[6:7], v[181:182]
	v_mul_f64 v[28:29], v[8:9], v[181:182]
	v_fma_f64 v[18:19], v[4:5], v[34:35], v[18:19]
	v_fma_f64 v[22:23], v[2:3], v[34:35], -v[22:23]
	ds_load_b128 v[2:5], v1 offset:1792
	v_add_f64 v[16:17], v[16:17], v[20:21]
	v_add_f64 v[14:15], v[14:15], v[24:25]
	v_fma_f64 v[26:27], v[8:9], v[179:180], v[26:27]
	v_fma_f64 v[28:29], v[6:7], v[179:180], -v[28:29]
	ds_load_b128 v[6:9], v1 offset:1808
	s_waitcnt vmcnt(2) lgkmcnt(1)
	v_mul_f64 v[20:21], v[2:3], v[40:41]
	v_mul_f64 v[24:25], v[4:5], v[40:41]
	v_add_f64 v[16:17], v[16:17], v[18:19]
	v_add_f64 v[14:15], v[14:15], v[22:23]
	s_waitcnt vmcnt(1) lgkmcnt(0)
	v_mul_f64 v[18:19], v[6:7], v[177:178]
	v_mul_f64 v[22:23], v[8:9], v[177:178]
	v_fma_f64 v[4:5], v[4:5], v[38:39], v[20:21]
	v_fma_f64 v[1:2], v[2:3], v[38:39], -v[24:25]
	v_add_f64 v[16:17], v[16:17], v[26:27]
	v_add_f64 v[14:15], v[14:15], v[28:29]
	v_fma_f64 v[8:9], v[8:9], v[175:176], v[18:19]
	v_fma_f64 v[6:7], v[6:7], v[175:176], -v[22:23]
	s_delay_alu instid0(VALU_DEP_4) | instskip(NEXT) | instid1(VALU_DEP_4)
	v_add_f64 v[3:4], v[16:17], v[4:5]
	v_add_f64 v[1:2], v[14:15], v[1:2]
	s_delay_alu instid0(VALU_DEP_2) | instskip(NEXT) | instid1(VALU_DEP_2)
	v_add_f64 v[3:4], v[3:4], v[8:9]
	v_add_f64 v[1:2], v[1:2], v[6:7]
	s_waitcnt vmcnt(0)
	s_delay_alu instid0(VALU_DEP_2) | instskip(NEXT) | instid1(VALU_DEP_2)
	v_add_f64 v[3:4], v[12:13], -v[3:4]
	v_add_f64 v[1:2], v[10:11], -v[1:2]
	scratch_store_b128 off, v[1:4], off offset:224
	v_cmpx_lt_u32_e32 13, v156
	s_cbranch_execz .LBB56_329
; %bb.328:
	scratch_load_b128 v[1:4], v200, off
	v_mov_b32_e32 v5, 0
	s_delay_alu instid0(VALU_DEP_1)
	v_mov_b32_e32 v6, v5
	v_mov_b32_e32 v7, v5
	;; [unrolled: 1-line block ×3, first 2 shown]
	scratch_store_b128 off, v[5:8], off offset:208
	s_waitcnt vmcnt(0)
	ds_store_b128 v213, v[1:4]
.LBB56_329:
	s_or_b32 exec_lo, exec_lo, s2
	s_waitcnt lgkmcnt(0)
	s_waitcnt_vscnt null, 0x0
	s_barrier
	buffer_gl0_inv
	s_clause 0x7
	scratch_load_b128 v[2:5], off, off offset:224
	scratch_load_b128 v[6:9], off, off offset:240
	scratch_load_b128 v[10:13], off, off offset:256
	scratch_load_b128 v[14:17], off, off offset:272
	scratch_load_b128 v[18:21], off, off offset:288
	scratch_load_b128 v[22:25], off, off offset:304
	scratch_load_b128 v[26:29], off, off offset:320
	scratch_load_b128 v[30:33], off, off offset:336
	v_mov_b32_e32 v1, 0
	s_clause 0x1
	scratch_load_b128 v[34:37], off, off offset:352
	scratch_load_b128 v[179:182], off, off offset:368
	s_mov_b32 s2, exec_lo
	ds_load_b128 v[38:41], v1 offset:1136
	ds_load_b128 v[175:178], v1 offset:1152
	s_waitcnt vmcnt(9) lgkmcnt(1)
	v_mul_f64 v[167:168], v[40:41], v[4:5]
	v_mul_f64 v[4:5], v[38:39], v[4:5]
	s_waitcnt vmcnt(8) lgkmcnt(0)
	v_mul_f64 v[171:172], v[175:176], v[8:9]
	v_mul_f64 v[8:9], v[177:178], v[8:9]
	s_delay_alu instid0(VALU_DEP_4) | instskip(NEXT) | instid1(VALU_DEP_4)
	v_fma_f64 v[167:168], v[38:39], v[2:3], -v[167:168]
	v_fma_f64 v[183:184], v[40:41], v[2:3], v[4:5]
	ds_load_b128 v[2:5], v1 offset:1168
	scratch_load_b128 v[38:41], off, off offset:384
	v_fma_f64 v[171:172], v[177:178], v[6:7], v[171:172]
	v_fma_f64 v[187:188], v[175:176], v[6:7], -v[8:9]
	scratch_load_b128 v[175:178], off, off offset:400
	ds_load_b128 v[6:9], v1 offset:1184
	s_waitcnt vmcnt(9) lgkmcnt(1)
	v_mul_f64 v[185:186], v[2:3], v[12:13]
	v_mul_f64 v[12:13], v[4:5], v[12:13]
	s_waitcnt vmcnt(8) lgkmcnt(0)
	v_mul_f64 v[189:190], v[6:7], v[16:17]
	v_mul_f64 v[16:17], v[8:9], v[16:17]
	v_add_f64 v[167:168], v[167:168], 0
	v_add_f64 v[183:184], v[183:184], 0
	v_fma_f64 v[185:186], v[4:5], v[10:11], v[185:186]
	v_fma_f64 v[191:192], v[2:3], v[10:11], -v[12:13]
	ds_load_b128 v[2:5], v1 offset:1200
	scratch_load_b128 v[10:13], off, off offset:416
	v_add_f64 v[167:168], v[167:168], v[187:188]
	v_add_f64 v[171:172], v[183:184], v[171:172]
	v_fma_f64 v[187:188], v[8:9], v[14:15], v[189:190]
	v_fma_f64 v[189:190], v[6:7], v[14:15], -v[16:17]
	scratch_load_b128 v[14:17], off, off offset:432
	ds_load_b128 v[6:9], v1 offset:1216
	s_waitcnt vmcnt(9) lgkmcnt(1)
	v_mul_f64 v[183:184], v[2:3], v[20:21]
	v_mul_f64 v[20:21], v[4:5], v[20:21]
	v_add_f64 v[167:168], v[167:168], v[191:192]
	v_add_f64 v[171:172], v[171:172], v[185:186]
	s_waitcnt vmcnt(8) lgkmcnt(0)
	v_mul_f64 v[185:186], v[6:7], v[24:25]
	v_mul_f64 v[24:25], v[8:9], v[24:25]
	v_fma_f64 v[183:184], v[4:5], v[18:19], v[183:184]
	v_fma_f64 v[191:192], v[2:3], v[18:19], -v[20:21]
	ds_load_b128 v[2:5], v1 offset:1232
	scratch_load_b128 v[18:21], off, off offset:448
	v_add_f64 v[167:168], v[167:168], v[189:190]
	v_add_f64 v[171:172], v[171:172], v[187:188]
	v_fma_f64 v[185:186], v[8:9], v[22:23], v[185:186]
	v_fma_f64 v[189:190], v[6:7], v[22:23], -v[24:25]
	scratch_load_b128 v[22:25], off, off offset:464
	ds_load_b128 v[6:9], v1 offset:1248
	s_waitcnt vmcnt(9) lgkmcnt(1)
	v_mul_f64 v[187:188], v[2:3], v[28:29]
	v_mul_f64 v[28:29], v[4:5], v[28:29]
	v_add_f64 v[167:168], v[167:168], v[191:192]
	v_add_f64 v[171:172], v[171:172], v[183:184]
	s_waitcnt vmcnt(8) lgkmcnt(0)
	v_mul_f64 v[183:184], v[6:7], v[32:33]
	v_mul_f64 v[32:33], v[8:9], v[32:33]
	;; [unrolled: 18-line block ×12, first 2 shown]
	v_fma_f64 v[185:186], v[4:5], v[26:27], v[185:186]
	v_fma_f64 v[191:192], v[2:3], v[26:27], -v[28:29]
	ds_load_b128 v[2:5], v1 offset:1584
	scratch_load_b128 v[26:29], off, off offset:800
	v_add_f64 v[167:168], v[167:168], v[189:190]
	v_add_f64 v[171:172], v[171:172], v[183:184]
	v_fma_f64 v[187:188], v[8:9], v[30:31], v[187:188]
	v_fma_f64 v[189:190], v[6:7], v[30:31], -v[32:33]
	ds_load_b128 v[6:9], v1 offset:1600
	s_waitcnt vmcnt(8) lgkmcnt(1)
	v_mul_f64 v[183:184], v[2:3], v[36:37]
	v_mul_f64 v[36:37], v[4:5], v[36:37]
	scratch_load_b128 v[30:33], off, off offset:816
	v_add_f64 v[167:168], v[167:168], v[191:192]
	v_add_f64 v[171:172], v[171:172], v[185:186]
	s_waitcnt vmcnt(8) lgkmcnt(0)
	v_mul_f64 v[185:186], v[6:7], v[181:182]
	v_mul_f64 v[181:182], v[8:9], v[181:182]
	v_fma_f64 v[183:184], v[4:5], v[34:35], v[183:184]
	v_fma_f64 v[191:192], v[2:3], v[34:35], -v[36:37]
	scratch_load_b128 v[34:37], off, off offset:832
	ds_load_b128 v[2:5], v1 offset:1616
	v_add_f64 v[167:168], v[167:168], v[189:190]
	v_add_f64 v[171:172], v[171:172], v[187:188]
	v_fma_f64 v[185:186], v[8:9], v[179:180], v[185:186]
	v_fma_f64 v[189:190], v[6:7], v[179:180], -v[181:182]
	ds_load_b128 v[6:9], v1 offset:1632
	s_waitcnt vmcnt(8) lgkmcnt(1)
	v_mul_f64 v[187:188], v[2:3], v[40:41]
	v_mul_f64 v[40:41], v[4:5], v[40:41]
	scratch_load_b128 v[179:182], off, off offset:848
	v_add_f64 v[167:168], v[167:168], v[191:192]
	v_add_f64 v[171:172], v[171:172], v[183:184]
	s_waitcnt vmcnt(8) lgkmcnt(0)
	v_mul_f64 v[183:184], v[6:7], v[177:178]
	v_mul_f64 v[177:178], v[8:9], v[177:178]
	v_fma_f64 v[187:188], v[4:5], v[38:39], v[187:188]
	v_fma_f64 v[191:192], v[2:3], v[38:39], -v[40:41]
	scratch_load_b128 v[38:41], off, off offset:864
	ds_load_b128 v[2:5], v1 offset:1648
	v_add_f64 v[167:168], v[167:168], v[189:190]
	v_add_f64 v[171:172], v[171:172], v[185:186]
	v_fma_f64 v[183:184], v[8:9], v[175:176], v[183:184]
	v_fma_f64 v[189:190], v[6:7], v[175:176], -v[177:178]
	ds_load_b128 v[6:9], v1 offset:1664
	s_waitcnt vmcnt(8) lgkmcnt(1)
	v_mul_f64 v[185:186], v[2:3], v[12:13]
	v_mul_f64 v[12:13], v[4:5], v[12:13]
	scratch_load_b128 v[175:178], off, off offset:880
	v_add_f64 v[167:168], v[167:168], v[191:192]
	v_add_f64 v[171:172], v[171:172], v[187:188]
	s_waitcnt vmcnt(8) lgkmcnt(0)
	v_mul_f64 v[187:188], v[6:7], v[16:17]
	v_mul_f64 v[16:17], v[8:9], v[16:17]
	v_fma_f64 v[185:186], v[4:5], v[10:11], v[185:186]
	v_fma_f64 v[191:192], v[2:3], v[10:11], -v[12:13]
	scratch_load_b128 v[10:13], off, off offset:896
	ds_load_b128 v[2:5], v1 offset:1680
	v_add_f64 v[167:168], v[167:168], v[189:190]
	v_add_f64 v[171:172], v[171:172], v[183:184]
	v_fma_f64 v[187:188], v[8:9], v[14:15], v[187:188]
	v_fma_f64 v[14:15], v[6:7], v[14:15], -v[16:17]
	ds_load_b128 v[6:9], v1 offset:1696
	s_waitcnt vmcnt(8) lgkmcnt(1)
	v_mul_f64 v[183:184], v[2:3], v[20:21]
	v_mul_f64 v[20:21], v[4:5], v[20:21]
	v_add_f64 v[16:17], v[167:168], v[191:192]
	v_add_f64 v[167:168], v[171:172], v[185:186]
	s_waitcnt vmcnt(7) lgkmcnt(0)
	v_mul_f64 v[171:172], v[6:7], v[24:25]
	v_mul_f64 v[24:25], v[8:9], v[24:25]
	v_fma_f64 v[183:184], v[4:5], v[18:19], v[183:184]
	v_fma_f64 v[18:19], v[2:3], v[18:19], -v[20:21]
	ds_load_b128 v[2:5], v1 offset:1712
	v_add_f64 v[14:15], v[16:17], v[14:15]
	v_add_f64 v[16:17], v[167:168], v[187:188]
	v_fma_f64 v[167:168], v[8:9], v[22:23], v[171:172]
	v_fma_f64 v[22:23], v[6:7], v[22:23], -v[24:25]
	ds_load_b128 v[6:9], v1 offset:1728
	s_waitcnt vmcnt(5) lgkmcnt(0)
	v_mul_f64 v[171:172], v[6:7], v[32:33]
	v_mul_f64 v[32:33], v[8:9], v[32:33]
	v_add_f64 v[18:19], v[14:15], v[18:19]
	v_add_f64 v[24:25], v[16:17], v[183:184]
	scratch_load_b128 v[14:17], off, off offset:208
	v_mul_f64 v[20:21], v[2:3], v[28:29]
	v_mul_f64 v[28:29], v[4:5], v[28:29]
	v_add_f64 v[18:19], v[18:19], v[22:23]
	v_add_f64 v[22:23], v[24:25], v[167:168]
	s_delay_alu instid0(VALU_DEP_4) | instskip(NEXT) | instid1(VALU_DEP_4)
	v_fma_f64 v[20:21], v[4:5], v[26:27], v[20:21]
	v_fma_f64 v[26:27], v[2:3], v[26:27], -v[28:29]
	ds_load_b128 v[2:5], v1 offset:1744
	s_waitcnt vmcnt(5) lgkmcnt(0)
	v_mul_f64 v[24:25], v[2:3], v[36:37]
	v_mul_f64 v[28:29], v[4:5], v[36:37]
	v_fma_f64 v[36:37], v[8:9], v[30:31], v[171:172]
	v_fma_f64 v[30:31], v[6:7], v[30:31], -v[32:33]
	ds_load_b128 v[6:9], v1 offset:1760
	v_add_f64 v[20:21], v[22:23], v[20:21]
	v_add_f64 v[18:19], v[18:19], v[26:27]
	v_fma_f64 v[24:25], v[4:5], v[34:35], v[24:25]
	v_fma_f64 v[28:29], v[2:3], v[34:35], -v[28:29]
	ds_load_b128 v[2:5], v1 offset:1776
	s_waitcnt vmcnt(4) lgkmcnt(1)
	v_mul_f64 v[22:23], v[6:7], v[181:182]
	v_mul_f64 v[26:27], v[8:9], v[181:182]
	v_add_f64 v[20:21], v[20:21], v[36:37]
	v_add_f64 v[18:19], v[18:19], v[30:31]
	s_waitcnt vmcnt(3) lgkmcnt(0)
	v_mul_f64 v[30:31], v[2:3], v[40:41]
	v_mul_f64 v[32:33], v[4:5], v[40:41]
	v_fma_f64 v[22:23], v[8:9], v[179:180], v[22:23]
	v_fma_f64 v[26:27], v[6:7], v[179:180], -v[26:27]
	ds_load_b128 v[6:9], v1 offset:1792
	v_add_f64 v[20:21], v[20:21], v[24:25]
	v_add_f64 v[18:19], v[18:19], v[28:29]
	v_fma_f64 v[30:31], v[4:5], v[38:39], v[30:31]
	v_fma_f64 v[32:33], v[2:3], v[38:39], -v[32:33]
	ds_load_b128 v[2:5], v1 offset:1808
	s_waitcnt vmcnt(2) lgkmcnt(1)
	v_mul_f64 v[24:25], v[6:7], v[177:178]
	v_mul_f64 v[28:29], v[8:9], v[177:178]
	v_add_f64 v[20:21], v[20:21], v[22:23]
	v_add_f64 v[18:19], v[18:19], v[26:27]
	s_waitcnt vmcnt(1) lgkmcnt(0)
	v_mul_f64 v[22:23], v[2:3], v[12:13]
	v_mul_f64 v[12:13], v[4:5], v[12:13]
	v_fma_f64 v[8:9], v[8:9], v[175:176], v[24:25]
	v_fma_f64 v[6:7], v[6:7], v[175:176], -v[28:29]
	v_add_f64 v[20:21], v[20:21], v[30:31]
	v_add_f64 v[18:19], v[18:19], v[32:33]
	v_fma_f64 v[4:5], v[4:5], v[10:11], v[22:23]
	v_fma_f64 v[2:3], v[2:3], v[10:11], -v[12:13]
	s_delay_alu instid0(VALU_DEP_4) | instskip(NEXT) | instid1(VALU_DEP_4)
	v_add_f64 v[8:9], v[20:21], v[8:9]
	v_add_f64 v[6:7], v[18:19], v[6:7]
	s_delay_alu instid0(VALU_DEP_2) | instskip(NEXT) | instid1(VALU_DEP_2)
	v_add_f64 v[4:5], v[8:9], v[4:5]
	v_add_f64 v[2:3], v[6:7], v[2:3]
	s_waitcnt vmcnt(0)
	s_delay_alu instid0(VALU_DEP_2) | instskip(NEXT) | instid1(VALU_DEP_2)
	v_add_f64 v[4:5], v[16:17], -v[4:5]
	v_add_f64 v[2:3], v[14:15], -v[2:3]
	scratch_store_b128 off, v[2:5], off offset:208
	v_cmpx_lt_u32_e32 12, v156
	s_cbranch_execz .LBB56_331
; %bb.330:
	scratch_load_b128 v[5:8], v201, off
	v_mov_b32_e32 v2, v1
	v_mov_b32_e32 v3, v1
	;; [unrolled: 1-line block ×3, first 2 shown]
	scratch_store_b128 off, v[1:4], off offset:192
	s_waitcnt vmcnt(0)
	ds_store_b128 v213, v[5:8]
.LBB56_331:
	s_or_b32 exec_lo, exec_lo, s2
	s_waitcnt lgkmcnt(0)
	s_waitcnt_vscnt null, 0x0
	s_barrier
	buffer_gl0_inv
	s_clause 0x7
	scratch_load_b128 v[2:5], off, off offset:208
	scratch_load_b128 v[6:9], off, off offset:224
	;; [unrolled: 1-line block ×8, first 2 shown]
	ds_load_b128 v[38:41], v1 offset:1120
	ds_load_b128 v[175:178], v1 offset:1136
	s_clause 0x1
	scratch_load_b128 v[34:37], off, off offset:336
	scratch_load_b128 v[179:182], off, off offset:352
	s_mov_b32 s2, exec_lo
	s_waitcnt vmcnt(9) lgkmcnt(1)
	v_mul_f64 v[167:168], v[40:41], v[4:5]
	v_mul_f64 v[4:5], v[38:39], v[4:5]
	s_waitcnt vmcnt(8) lgkmcnt(0)
	v_mul_f64 v[171:172], v[175:176], v[8:9]
	v_mul_f64 v[8:9], v[177:178], v[8:9]
	s_delay_alu instid0(VALU_DEP_4) | instskip(NEXT) | instid1(VALU_DEP_4)
	v_fma_f64 v[167:168], v[38:39], v[2:3], -v[167:168]
	v_fma_f64 v[183:184], v[40:41], v[2:3], v[4:5]
	ds_load_b128 v[2:5], v1 offset:1152
	scratch_load_b128 v[38:41], off, off offset:368
	v_fma_f64 v[171:172], v[177:178], v[6:7], v[171:172]
	v_fma_f64 v[187:188], v[175:176], v[6:7], -v[8:9]
	scratch_load_b128 v[175:178], off, off offset:384
	ds_load_b128 v[6:9], v1 offset:1168
	s_waitcnt vmcnt(9) lgkmcnt(1)
	v_mul_f64 v[185:186], v[2:3], v[12:13]
	v_mul_f64 v[12:13], v[4:5], v[12:13]
	s_waitcnt vmcnt(8) lgkmcnt(0)
	v_mul_f64 v[189:190], v[6:7], v[16:17]
	v_mul_f64 v[16:17], v[8:9], v[16:17]
	v_add_f64 v[167:168], v[167:168], 0
	v_add_f64 v[183:184], v[183:184], 0
	v_fma_f64 v[185:186], v[4:5], v[10:11], v[185:186]
	v_fma_f64 v[191:192], v[2:3], v[10:11], -v[12:13]
	ds_load_b128 v[2:5], v1 offset:1184
	scratch_load_b128 v[10:13], off, off offset:400
	v_add_f64 v[167:168], v[167:168], v[187:188]
	v_add_f64 v[171:172], v[183:184], v[171:172]
	v_fma_f64 v[187:188], v[8:9], v[14:15], v[189:190]
	v_fma_f64 v[189:190], v[6:7], v[14:15], -v[16:17]
	scratch_load_b128 v[14:17], off, off offset:416
	ds_load_b128 v[6:9], v1 offset:1200
	s_waitcnt vmcnt(9) lgkmcnt(1)
	v_mul_f64 v[183:184], v[2:3], v[20:21]
	v_mul_f64 v[20:21], v[4:5], v[20:21]
	v_add_f64 v[167:168], v[167:168], v[191:192]
	v_add_f64 v[171:172], v[171:172], v[185:186]
	s_waitcnt vmcnt(8) lgkmcnt(0)
	v_mul_f64 v[185:186], v[6:7], v[24:25]
	v_mul_f64 v[24:25], v[8:9], v[24:25]
	v_fma_f64 v[183:184], v[4:5], v[18:19], v[183:184]
	v_fma_f64 v[191:192], v[2:3], v[18:19], -v[20:21]
	ds_load_b128 v[2:5], v1 offset:1216
	scratch_load_b128 v[18:21], off, off offset:432
	v_add_f64 v[167:168], v[167:168], v[189:190]
	v_add_f64 v[171:172], v[171:172], v[187:188]
	v_fma_f64 v[185:186], v[8:9], v[22:23], v[185:186]
	v_fma_f64 v[189:190], v[6:7], v[22:23], -v[24:25]
	scratch_load_b128 v[22:25], off, off offset:448
	ds_load_b128 v[6:9], v1 offset:1232
	s_waitcnt vmcnt(9) lgkmcnt(1)
	v_mul_f64 v[187:188], v[2:3], v[28:29]
	v_mul_f64 v[28:29], v[4:5], v[28:29]
	v_add_f64 v[167:168], v[167:168], v[191:192]
	v_add_f64 v[171:172], v[171:172], v[183:184]
	s_waitcnt vmcnt(8) lgkmcnt(0)
	v_mul_f64 v[183:184], v[6:7], v[32:33]
	v_mul_f64 v[32:33], v[8:9], v[32:33]
	;; [unrolled: 18-line block ×12, first 2 shown]
	v_fma_f64 v[185:186], v[4:5], v[26:27], v[185:186]
	v_fma_f64 v[191:192], v[2:3], v[26:27], -v[28:29]
	ds_load_b128 v[2:5], v1 offset:1568
	scratch_load_b128 v[26:29], off, off offset:784
	v_add_f64 v[167:168], v[167:168], v[189:190]
	v_add_f64 v[171:172], v[171:172], v[183:184]
	v_fma_f64 v[187:188], v[8:9], v[30:31], v[187:188]
	v_fma_f64 v[189:190], v[6:7], v[30:31], -v[32:33]
	ds_load_b128 v[6:9], v1 offset:1584
	s_waitcnt vmcnt(8) lgkmcnt(1)
	v_mul_f64 v[183:184], v[2:3], v[36:37]
	v_mul_f64 v[36:37], v[4:5], v[36:37]
	scratch_load_b128 v[30:33], off, off offset:800
	v_add_f64 v[167:168], v[167:168], v[191:192]
	v_add_f64 v[171:172], v[171:172], v[185:186]
	s_waitcnt vmcnt(8) lgkmcnt(0)
	v_mul_f64 v[185:186], v[6:7], v[181:182]
	v_mul_f64 v[181:182], v[8:9], v[181:182]
	v_fma_f64 v[183:184], v[4:5], v[34:35], v[183:184]
	v_fma_f64 v[191:192], v[2:3], v[34:35], -v[36:37]
	ds_load_b128 v[2:5], v1 offset:1600
	scratch_load_b128 v[34:37], off, off offset:816
	v_add_f64 v[167:168], v[167:168], v[189:190]
	v_add_f64 v[171:172], v[171:172], v[187:188]
	v_fma_f64 v[185:186], v[8:9], v[179:180], v[185:186]
	v_fma_f64 v[189:190], v[6:7], v[179:180], -v[181:182]
	ds_load_b128 v[6:9], v1 offset:1616
	s_waitcnt vmcnt(8) lgkmcnt(1)
	v_mul_f64 v[187:188], v[2:3], v[40:41]
	v_mul_f64 v[40:41], v[4:5], v[40:41]
	scratch_load_b128 v[179:182], off, off offset:832
	v_add_f64 v[167:168], v[167:168], v[191:192]
	v_add_f64 v[171:172], v[171:172], v[183:184]
	s_waitcnt vmcnt(8) lgkmcnt(0)
	v_mul_f64 v[183:184], v[6:7], v[177:178]
	v_mul_f64 v[177:178], v[8:9], v[177:178]
	v_fma_f64 v[187:188], v[4:5], v[38:39], v[187:188]
	v_fma_f64 v[191:192], v[2:3], v[38:39], -v[40:41]
	scratch_load_b128 v[38:41], off, off offset:848
	ds_load_b128 v[2:5], v1 offset:1632
	v_add_f64 v[167:168], v[167:168], v[189:190]
	v_add_f64 v[171:172], v[171:172], v[185:186]
	v_fma_f64 v[183:184], v[8:9], v[175:176], v[183:184]
	v_fma_f64 v[189:190], v[6:7], v[175:176], -v[177:178]
	ds_load_b128 v[6:9], v1 offset:1648
	s_waitcnt vmcnt(8) lgkmcnt(1)
	v_mul_f64 v[185:186], v[2:3], v[12:13]
	v_mul_f64 v[12:13], v[4:5], v[12:13]
	scratch_load_b128 v[175:178], off, off offset:864
	v_add_f64 v[167:168], v[167:168], v[191:192]
	v_add_f64 v[171:172], v[171:172], v[187:188]
	s_waitcnt vmcnt(8) lgkmcnt(0)
	v_mul_f64 v[187:188], v[6:7], v[16:17]
	v_mul_f64 v[16:17], v[8:9], v[16:17]
	v_fma_f64 v[185:186], v[4:5], v[10:11], v[185:186]
	v_fma_f64 v[191:192], v[2:3], v[10:11], -v[12:13]
	scratch_load_b128 v[10:13], off, off offset:880
	ds_load_b128 v[2:5], v1 offset:1664
	v_add_f64 v[167:168], v[167:168], v[189:190]
	v_add_f64 v[171:172], v[171:172], v[183:184]
	v_fma_f64 v[187:188], v[8:9], v[14:15], v[187:188]
	v_fma_f64 v[189:190], v[6:7], v[14:15], -v[16:17]
	ds_load_b128 v[6:9], v1 offset:1680
	s_waitcnt vmcnt(8) lgkmcnt(1)
	v_mul_f64 v[183:184], v[2:3], v[20:21]
	v_mul_f64 v[20:21], v[4:5], v[20:21]
	scratch_load_b128 v[14:17], off, off offset:896
	v_add_f64 v[167:168], v[167:168], v[191:192]
	v_add_f64 v[171:172], v[171:172], v[185:186]
	s_waitcnt vmcnt(8) lgkmcnt(0)
	v_mul_f64 v[185:186], v[6:7], v[24:25]
	v_mul_f64 v[24:25], v[8:9], v[24:25]
	v_fma_f64 v[183:184], v[4:5], v[18:19], v[183:184]
	v_fma_f64 v[18:19], v[2:3], v[18:19], -v[20:21]
	ds_load_b128 v[2:5], v1 offset:1696
	v_add_f64 v[20:21], v[167:168], v[189:190]
	v_add_f64 v[167:168], v[171:172], v[187:188]
	v_fma_f64 v[185:186], v[8:9], v[22:23], v[185:186]
	v_fma_f64 v[22:23], v[6:7], v[22:23], -v[24:25]
	ds_load_b128 v[6:9], v1 offset:1712
	s_waitcnt vmcnt(7) lgkmcnt(1)
	v_mul_f64 v[171:172], v[2:3], v[28:29]
	v_mul_f64 v[28:29], v[4:5], v[28:29]
	v_add_f64 v[18:19], v[20:21], v[18:19]
	v_add_f64 v[20:21], v[167:168], v[183:184]
	s_delay_alu instid0(VALU_DEP_4) | instskip(NEXT) | instid1(VALU_DEP_4)
	v_fma_f64 v[167:168], v[4:5], v[26:27], v[171:172]
	v_fma_f64 v[26:27], v[2:3], v[26:27], -v[28:29]
	ds_load_b128 v[2:5], v1 offset:1728
	v_add_f64 v[22:23], v[18:19], v[22:23]
	v_add_f64 v[28:29], v[20:21], v[185:186]
	scratch_load_b128 v[18:21], off, off offset:192
	s_waitcnt vmcnt(7) lgkmcnt(1)
	v_mul_f64 v[24:25], v[6:7], v[32:33]
	v_mul_f64 v[32:33], v[8:9], v[32:33]
	v_add_f64 v[22:23], v[22:23], v[26:27]
	v_add_f64 v[26:27], v[28:29], v[167:168]
	s_delay_alu instid0(VALU_DEP_4) | instskip(NEXT) | instid1(VALU_DEP_4)
	v_fma_f64 v[24:25], v[8:9], v[30:31], v[24:25]
	v_fma_f64 v[30:31], v[6:7], v[30:31], -v[32:33]
	ds_load_b128 v[6:9], v1 offset:1744
	s_waitcnt vmcnt(6) lgkmcnt(1)
	v_mul_f64 v[171:172], v[2:3], v[36:37]
	v_mul_f64 v[36:37], v[4:5], v[36:37]
	s_waitcnt vmcnt(5) lgkmcnt(0)
	v_mul_f64 v[28:29], v[6:7], v[181:182]
	v_mul_f64 v[32:33], v[8:9], v[181:182]
	v_add_f64 v[24:25], v[26:27], v[24:25]
	v_add_f64 v[22:23], v[22:23], v[30:31]
	v_fma_f64 v[167:168], v[4:5], v[34:35], v[171:172]
	v_fma_f64 v[34:35], v[2:3], v[34:35], -v[36:37]
	ds_load_b128 v[2:5], v1 offset:1760
	v_fma_f64 v[28:29], v[8:9], v[179:180], v[28:29]
	v_fma_f64 v[32:33], v[6:7], v[179:180], -v[32:33]
	ds_load_b128 v[6:9], v1 offset:1776
	s_waitcnt vmcnt(4) lgkmcnt(1)
	v_mul_f64 v[26:27], v[2:3], v[40:41]
	v_mul_f64 v[30:31], v[4:5], v[40:41]
	v_add_f64 v[24:25], v[24:25], v[167:168]
	v_add_f64 v[22:23], v[22:23], v[34:35]
	s_waitcnt vmcnt(3) lgkmcnt(0)
	v_mul_f64 v[34:35], v[6:7], v[177:178]
	v_mul_f64 v[36:37], v[8:9], v[177:178]
	v_fma_f64 v[26:27], v[4:5], v[38:39], v[26:27]
	v_fma_f64 v[30:31], v[2:3], v[38:39], -v[30:31]
	ds_load_b128 v[2:5], v1 offset:1792
	v_add_f64 v[24:25], v[24:25], v[28:29]
	v_add_f64 v[22:23], v[22:23], v[32:33]
	v_fma_f64 v[32:33], v[8:9], v[175:176], v[34:35]
	v_fma_f64 v[34:35], v[6:7], v[175:176], -v[36:37]
	ds_load_b128 v[6:9], v1 offset:1808
	s_waitcnt vmcnt(2) lgkmcnt(1)
	v_mul_f64 v[28:29], v[2:3], v[12:13]
	v_mul_f64 v[12:13], v[4:5], v[12:13]
	v_add_f64 v[24:25], v[24:25], v[26:27]
	v_add_f64 v[22:23], v[22:23], v[30:31]
	s_waitcnt vmcnt(1) lgkmcnt(0)
	v_mul_f64 v[26:27], v[6:7], v[16:17]
	v_mul_f64 v[16:17], v[8:9], v[16:17]
	v_fma_f64 v[4:5], v[4:5], v[10:11], v[28:29]
	v_fma_f64 v[1:2], v[2:3], v[10:11], -v[12:13]
	v_add_f64 v[12:13], v[24:25], v[32:33]
	v_add_f64 v[10:11], v[22:23], v[34:35]
	v_fma_f64 v[8:9], v[8:9], v[14:15], v[26:27]
	v_fma_f64 v[6:7], v[6:7], v[14:15], -v[16:17]
	s_delay_alu instid0(VALU_DEP_4) | instskip(NEXT) | instid1(VALU_DEP_4)
	v_add_f64 v[3:4], v[12:13], v[4:5]
	v_add_f64 v[1:2], v[10:11], v[1:2]
	s_delay_alu instid0(VALU_DEP_2) | instskip(NEXT) | instid1(VALU_DEP_2)
	v_add_f64 v[3:4], v[3:4], v[8:9]
	v_add_f64 v[1:2], v[1:2], v[6:7]
	s_waitcnt vmcnt(0)
	s_delay_alu instid0(VALU_DEP_2) | instskip(NEXT) | instid1(VALU_DEP_2)
	v_add_f64 v[3:4], v[20:21], -v[3:4]
	v_add_f64 v[1:2], v[18:19], -v[1:2]
	scratch_store_b128 off, v[1:4], off offset:192
	v_cmpx_lt_u32_e32 11, v156
	s_cbranch_execz .LBB56_333
; %bb.332:
	scratch_load_b128 v[1:4], v202, off
	v_mov_b32_e32 v5, 0
	s_delay_alu instid0(VALU_DEP_1)
	v_mov_b32_e32 v6, v5
	v_mov_b32_e32 v7, v5
	;; [unrolled: 1-line block ×3, first 2 shown]
	scratch_store_b128 off, v[5:8], off offset:176
	s_waitcnt vmcnt(0)
	ds_store_b128 v213, v[1:4]
.LBB56_333:
	s_or_b32 exec_lo, exec_lo, s2
	s_waitcnt lgkmcnt(0)
	s_waitcnt_vscnt null, 0x0
	s_barrier
	buffer_gl0_inv
	s_clause 0x7
	scratch_load_b128 v[2:5], off, off offset:192
	scratch_load_b128 v[6:9], off, off offset:208
	;; [unrolled: 1-line block ×8, first 2 shown]
	v_mov_b32_e32 v1, 0
	s_clause 0x1
	scratch_load_b128 v[34:37], off, off offset:320
	scratch_load_b128 v[179:182], off, off offset:336
	s_mov_b32 s2, exec_lo
	ds_load_b128 v[38:41], v1 offset:1104
	ds_load_b128 v[175:178], v1 offset:1120
	s_waitcnt vmcnt(9) lgkmcnt(1)
	v_mul_f64 v[167:168], v[40:41], v[4:5]
	v_mul_f64 v[4:5], v[38:39], v[4:5]
	s_waitcnt vmcnt(8) lgkmcnt(0)
	v_mul_f64 v[171:172], v[175:176], v[8:9]
	v_mul_f64 v[8:9], v[177:178], v[8:9]
	s_delay_alu instid0(VALU_DEP_4) | instskip(NEXT) | instid1(VALU_DEP_4)
	v_fma_f64 v[167:168], v[38:39], v[2:3], -v[167:168]
	v_fma_f64 v[183:184], v[40:41], v[2:3], v[4:5]
	ds_load_b128 v[2:5], v1 offset:1136
	scratch_load_b128 v[38:41], off, off offset:352
	v_fma_f64 v[171:172], v[177:178], v[6:7], v[171:172]
	v_fma_f64 v[187:188], v[175:176], v[6:7], -v[8:9]
	scratch_load_b128 v[175:178], off, off offset:368
	ds_load_b128 v[6:9], v1 offset:1152
	s_waitcnt vmcnt(9) lgkmcnt(1)
	v_mul_f64 v[185:186], v[2:3], v[12:13]
	v_mul_f64 v[12:13], v[4:5], v[12:13]
	s_waitcnt vmcnt(8) lgkmcnt(0)
	v_mul_f64 v[189:190], v[6:7], v[16:17]
	v_mul_f64 v[16:17], v[8:9], v[16:17]
	v_add_f64 v[167:168], v[167:168], 0
	v_add_f64 v[183:184], v[183:184], 0
	v_fma_f64 v[185:186], v[4:5], v[10:11], v[185:186]
	v_fma_f64 v[191:192], v[2:3], v[10:11], -v[12:13]
	ds_load_b128 v[2:5], v1 offset:1168
	scratch_load_b128 v[10:13], off, off offset:384
	v_add_f64 v[167:168], v[167:168], v[187:188]
	v_add_f64 v[171:172], v[183:184], v[171:172]
	v_fma_f64 v[187:188], v[8:9], v[14:15], v[189:190]
	v_fma_f64 v[189:190], v[6:7], v[14:15], -v[16:17]
	scratch_load_b128 v[14:17], off, off offset:400
	ds_load_b128 v[6:9], v1 offset:1184
	s_waitcnt vmcnt(9) lgkmcnt(1)
	v_mul_f64 v[183:184], v[2:3], v[20:21]
	v_mul_f64 v[20:21], v[4:5], v[20:21]
	v_add_f64 v[167:168], v[167:168], v[191:192]
	v_add_f64 v[171:172], v[171:172], v[185:186]
	s_waitcnt vmcnt(8) lgkmcnt(0)
	v_mul_f64 v[185:186], v[6:7], v[24:25]
	v_mul_f64 v[24:25], v[8:9], v[24:25]
	v_fma_f64 v[183:184], v[4:5], v[18:19], v[183:184]
	v_fma_f64 v[191:192], v[2:3], v[18:19], -v[20:21]
	ds_load_b128 v[2:5], v1 offset:1200
	scratch_load_b128 v[18:21], off, off offset:416
	v_add_f64 v[167:168], v[167:168], v[189:190]
	v_add_f64 v[171:172], v[171:172], v[187:188]
	v_fma_f64 v[185:186], v[8:9], v[22:23], v[185:186]
	v_fma_f64 v[189:190], v[6:7], v[22:23], -v[24:25]
	scratch_load_b128 v[22:25], off, off offset:432
	ds_load_b128 v[6:9], v1 offset:1216
	s_waitcnt vmcnt(9) lgkmcnt(1)
	v_mul_f64 v[187:188], v[2:3], v[28:29]
	v_mul_f64 v[28:29], v[4:5], v[28:29]
	v_add_f64 v[167:168], v[167:168], v[191:192]
	v_add_f64 v[171:172], v[171:172], v[183:184]
	s_waitcnt vmcnt(8) lgkmcnt(0)
	v_mul_f64 v[183:184], v[6:7], v[32:33]
	v_mul_f64 v[32:33], v[8:9], v[32:33]
	;; [unrolled: 18-line block ×13, first 2 shown]
	v_fma_f64 v[183:184], v[4:5], v[34:35], v[183:184]
	v_fma_f64 v[191:192], v[2:3], v[34:35], -v[36:37]
	ds_load_b128 v[2:5], v1 offset:1584
	scratch_load_b128 v[34:37], off, off offset:800
	v_add_f64 v[167:168], v[167:168], v[189:190]
	v_add_f64 v[171:172], v[171:172], v[187:188]
	v_fma_f64 v[185:186], v[8:9], v[179:180], v[185:186]
	v_fma_f64 v[189:190], v[6:7], v[179:180], -v[181:182]
	ds_load_b128 v[6:9], v1 offset:1600
	s_waitcnt vmcnt(8) lgkmcnt(1)
	v_mul_f64 v[187:188], v[2:3], v[40:41]
	v_mul_f64 v[40:41], v[4:5], v[40:41]
	scratch_load_b128 v[179:182], off, off offset:816
	v_add_f64 v[167:168], v[167:168], v[191:192]
	v_add_f64 v[171:172], v[171:172], v[183:184]
	s_waitcnt vmcnt(8) lgkmcnt(0)
	v_mul_f64 v[183:184], v[6:7], v[177:178]
	v_mul_f64 v[177:178], v[8:9], v[177:178]
	v_fma_f64 v[187:188], v[4:5], v[38:39], v[187:188]
	v_fma_f64 v[191:192], v[2:3], v[38:39], -v[40:41]
	scratch_load_b128 v[38:41], off, off offset:832
	ds_load_b128 v[2:5], v1 offset:1616
	v_add_f64 v[167:168], v[167:168], v[189:190]
	v_add_f64 v[171:172], v[171:172], v[185:186]
	v_fma_f64 v[183:184], v[8:9], v[175:176], v[183:184]
	v_fma_f64 v[189:190], v[6:7], v[175:176], -v[177:178]
	ds_load_b128 v[6:9], v1 offset:1632
	s_waitcnt vmcnt(8) lgkmcnt(1)
	v_mul_f64 v[185:186], v[2:3], v[12:13]
	v_mul_f64 v[12:13], v[4:5], v[12:13]
	scratch_load_b128 v[175:178], off, off offset:848
	v_add_f64 v[167:168], v[167:168], v[191:192]
	v_add_f64 v[171:172], v[171:172], v[187:188]
	s_waitcnt vmcnt(8) lgkmcnt(0)
	v_mul_f64 v[187:188], v[6:7], v[16:17]
	v_mul_f64 v[16:17], v[8:9], v[16:17]
	v_fma_f64 v[185:186], v[4:5], v[10:11], v[185:186]
	v_fma_f64 v[191:192], v[2:3], v[10:11], -v[12:13]
	scratch_load_b128 v[10:13], off, off offset:864
	ds_load_b128 v[2:5], v1 offset:1648
	;; [unrolled: 18-line block ×3, first 2 shown]
	v_add_f64 v[167:168], v[167:168], v[189:190]
	v_add_f64 v[171:172], v[171:172], v[187:188]
	v_fma_f64 v[185:186], v[8:9], v[22:23], v[185:186]
	v_fma_f64 v[22:23], v[6:7], v[22:23], -v[24:25]
	ds_load_b128 v[6:9], v1 offset:1696
	s_waitcnt vmcnt(8) lgkmcnt(1)
	v_mul_f64 v[187:188], v[2:3], v[28:29]
	v_mul_f64 v[28:29], v[4:5], v[28:29]
	v_add_f64 v[24:25], v[167:168], v[191:192]
	v_add_f64 v[167:168], v[171:172], v[183:184]
	s_waitcnt vmcnt(7) lgkmcnt(0)
	v_mul_f64 v[171:172], v[6:7], v[32:33]
	v_mul_f64 v[32:33], v[8:9], v[32:33]
	v_fma_f64 v[183:184], v[4:5], v[26:27], v[187:188]
	v_fma_f64 v[26:27], v[2:3], v[26:27], -v[28:29]
	ds_load_b128 v[2:5], v1 offset:1712
	v_add_f64 v[22:23], v[24:25], v[22:23]
	v_add_f64 v[24:25], v[167:168], v[185:186]
	v_fma_f64 v[167:168], v[8:9], v[30:31], v[171:172]
	v_fma_f64 v[30:31], v[6:7], v[30:31], -v[32:33]
	ds_load_b128 v[6:9], v1 offset:1728
	s_waitcnt vmcnt(5) lgkmcnt(0)
	v_mul_f64 v[171:172], v[6:7], v[181:182]
	v_mul_f64 v[181:182], v[8:9], v[181:182]
	v_add_f64 v[26:27], v[22:23], v[26:27]
	v_add_f64 v[32:33], v[24:25], v[183:184]
	scratch_load_b128 v[22:25], off, off offset:176
	v_mul_f64 v[28:29], v[2:3], v[36:37]
	v_mul_f64 v[36:37], v[4:5], v[36:37]
	v_add_f64 v[26:27], v[26:27], v[30:31]
	v_add_f64 v[30:31], v[32:33], v[167:168]
	v_fma_f64 v[167:168], v[6:7], v[179:180], -v[181:182]
	v_fma_f64 v[28:29], v[4:5], v[34:35], v[28:29]
	v_fma_f64 v[34:35], v[2:3], v[34:35], -v[36:37]
	ds_load_b128 v[2:5], v1 offset:1744
	s_waitcnt vmcnt(5) lgkmcnt(0)
	v_mul_f64 v[32:33], v[2:3], v[40:41]
	v_mul_f64 v[36:37], v[4:5], v[40:41]
	v_fma_f64 v[40:41], v[8:9], v[179:180], v[171:172]
	ds_load_b128 v[6:9], v1 offset:1760
	v_add_f64 v[28:29], v[30:31], v[28:29]
	v_add_f64 v[26:27], v[26:27], v[34:35]
	v_fma_f64 v[32:33], v[4:5], v[38:39], v[32:33]
	v_fma_f64 v[36:37], v[2:3], v[38:39], -v[36:37]
	ds_load_b128 v[2:5], v1 offset:1776
	s_waitcnt vmcnt(4) lgkmcnt(1)
	v_mul_f64 v[30:31], v[6:7], v[177:178]
	v_mul_f64 v[34:35], v[8:9], v[177:178]
	v_add_f64 v[28:29], v[28:29], v[40:41]
	v_add_f64 v[26:27], v[26:27], v[167:168]
	s_waitcnt vmcnt(3) lgkmcnt(0)
	v_mul_f64 v[38:39], v[2:3], v[12:13]
	v_mul_f64 v[12:13], v[4:5], v[12:13]
	v_fma_f64 v[30:31], v[8:9], v[175:176], v[30:31]
	v_fma_f64 v[34:35], v[6:7], v[175:176], -v[34:35]
	ds_load_b128 v[6:9], v1 offset:1792
	v_add_f64 v[28:29], v[28:29], v[32:33]
	v_add_f64 v[26:27], v[26:27], v[36:37]
	v_fma_f64 v[36:37], v[4:5], v[10:11], v[38:39]
	v_fma_f64 v[10:11], v[2:3], v[10:11], -v[12:13]
	ds_load_b128 v[2:5], v1 offset:1808
	s_waitcnt vmcnt(2) lgkmcnt(1)
	v_mul_f64 v[32:33], v[6:7], v[16:17]
	v_mul_f64 v[16:17], v[8:9], v[16:17]
	v_add_f64 v[12:13], v[26:27], v[34:35]
	v_add_f64 v[26:27], v[28:29], v[30:31]
	s_waitcnt vmcnt(1) lgkmcnt(0)
	v_mul_f64 v[28:29], v[2:3], v[20:21]
	v_mul_f64 v[20:21], v[4:5], v[20:21]
	v_fma_f64 v[8:9], v[8:9], v[14:15], v[32:33]
	v_fma_f64 v[6:7], v[6:7], v[14:15], -v[16:17]
	v_add_f64 v[10:11], v[12:13], v[10:11]
	v_add_f64 v[12:13], v[26:27], v[36:37]
	v_fma_f64 v[4:5], v[4:5], v[18:19], v[28:29]
	v_fma_f64 v[2:3], v[2:3], v[18:19], -v[20:21]
	s_delay_alu instid0(VALU_DEP_4) | instskip(NEXT) | instid1(VALU_DEP_4)
	v_add_f64 v[6:7], v[10:11], v[6:7]
	v_add_f64 v[8:9], v[12:13], v[8:9]
	s_delay_alu instid0(VALU_DEP_2) | instskip(NEXT) | instid1(VALU_DEP_2)
	v_add_f64 v[2:3], v[6:7], v[2:3]
	v_add_f64 v[4:5], v[8:9], v[4:5]
	s_waitcnt vmcnt(0)
	s_delay_alu instid0(VALU_DEP_2) | instskip(NEXT) | instid1(VALU_DEP_2)
	v_add_f64 v[2:3], v[22:23], -v[2:3]
	v_add_f64 v[4:5], v[24:25], -v[4:5]
	scratch_store_b128 off, v[2:5], off offset:176
	v_cmpx_lt_u32_e32 10, v156
	s_cbranch_execz .LBB56_335
; %bb.334:
	scratch_load_b128 v[5:8], v203, off
	v_mov_b32_e32 v2, v1
	v_mov_b32_e32 v3, v1
	;; [unrolled: 1-line block ×3, first 2 shown]
	scratch_store_b128 off, v[1:4], off offset:160
	s_waitcnt vmcnt(0)
	ds_store_b128 v213, v[5:8]
.LBB56_335:
	s_or_b32 exec_lo, exec_lo, s2
	s_waitcnt lgkmcnt(0)
	s_waitcnt_vscnt null, 0x0
	s_barrier
	buffer_gl0_inv
	s_clause 0x7
	scratch_load_b128 v[2:5], off, off offset:176
	scratch_load_b128 v[6:9], off, off offset:192
	;; [unrolled: 1-line block ×8, first 2 shown]
	ds_load_b128 v[38:41], v1 offset:1088
	ds_load_b128 v[175:178], v1 offset:1104
	s_clause 0x1
	scratch_load_b128 v[34:37], off, off offset:304
	scratch_load_b128 v[179:182], off, off offset:320
	s_mov_b32 s2, exec_lo
	s_waitcnt vmcnt(9) lgkmcnt(1)
	v_mul_f64 v[167:168], v[40:41], v[4:5]
	v_mul_f64 v[4:5], v[38:39], v[4:5]
	s_waitcnt vmcnt(8) lgkmcnt(0)
	v_mul_f64 v[171:172], v[175:176], v[8:9]
	v_mul_f64 v[8:9], v[177:178], v[8:9]
	s_delay_alu instid0(VALU_DEP_4) | instskip(NEXT) | instid1(VALU_DEP_4)
	v_fma_f64 v[167:168], v[38:39], v[2:3], -v[167:168]
	v_fma_f64 v[183:184], v[40:41], v[2:3], v[4:5]
	ds_load_b128 v[2:5], v1 offset:1120
	scratch_load_b128 v[38:41], off, off offset:336
	v_fma_f64 v[171:172], v[177:178], v[6:7], v[171:172]
	v_fma_f64 v[187:188], v[175:176], v[6:7], -v[8:9]
	scratch_load_b128 v[175:178], off, off offset:352
	ds_load_b128 v[6:9], v1 offset:1136
	s_waitcnt vmcnt(9) lgkmcnt(1)
	v_mul_f64 v[185:186], v[2:3], v[12:13]
	v_mul_f64 v[12:13], v[4:5], v[12:13]
	s_waitcnt vmcnt(8) lgkmcnt(0)
	v_mul_f64 v[189:190], v[6:7], v[16:17]
	v_mul_f64 v[16:17], v[8:9], v[16:17]
	v_add_f64 v[167:168], v[167:168], 0
	v_add_f64 v[183:184], v[183:184], 0
	v_fma_f64 v[185:186], v[4:5], v[10:11], v[185:186]
	v_fma_f64 v[191:192], v[2:3], v[10:11], -v[12:13]
	ds_load_b128 v[2:5], v1 offset:1152
	scratch_load_b128 v[10:13], off, off offset:368
	v_add_f64 v[167:168], v[167:168], v[187:188]
	v_add_f64 v[171:172], v[183:184], v[171:172]
	v_fma_f64 v[187:188], v[8:9], v[14:15], v[189:190]
	v_fma_f64 v[189:190], v[6:7], v[14:15], -v[16:17]
	scratch_load_b128 v[14:17], off, off offset:384
	ds_load_b128 v[6:9], v1 offset:1168
	s_waitcnt vmcnt(9) lgkmcnt(1)
	v_mul_f64 v[183:184], v[2:3], v[20:21]
	v_mul_f64 v[20:21], v[4:5], v[20:21]
	v_add_f64 v[167:168], v[167:168], v[191:192]
	v_add_f64 v[171:172], v[171:172], v[185:186]
	s_waitcnt vmcnt(8) lgkmcnt(0)
	v_mul_f64 v[185:186], v[6:7], v[24:25]
	v_mul_f64 v[24:25], v[8:9], v[24:25]
	v_fma_f64 v[183:184], v[4:5], v[18:19], v[183:184]
	v_fma_f64 v[191:192], v[2:3], v[18:19], -v[20:21]
	ds_load_b128 v[2:5], v1 offset:1184
	scratch_load_b128 v[18:21], off, off offset:400
	v_add_f64 v[167:168], v[167:168], v[189:190]
	v_add_f64 v[171:172], v[171:172], v[187:188]
	v_fma_f64 v[185:186], v[8:9], v[22:23], v[185:186]
	v_fma_f64 v[189:190], v[6:7], v[22:23], -v[24:25]
	scratch_load_b128 v[22:25], off, off offset:416
	ds_load_b128 v[6:9], v1 offset:1200
	s_waitcnt vmcnt(9) lgkmcnt(1)
	v_mul_f64 v[187:188], v[2:3], v[28:29]
	v_mul_f64 v[28:29], v[4:5], v[28:29]
	v_add_f64 v[167:168], v[167:168], v[191:192]
	v_add_f64 v[171:172], v[171:172], v[183:184]
	s_waitcnt vmcnt(8) lgkmcnt(0)
	v_mul_f64 v[183:184], v[6:7], v[32:33]
	v_mul_f64 v[32:33], v[8:9], v[32:33]
	;; [unrolled: 18-line block ×13, first 2 shown]
	v_fma_f64 v[183:184], v[4:5], v[34:35], v[183:184]
	v_fma_f64 v[191:192], v[2:3], v[34:35], -v[36:37]
	ds_load_b128 v[2:5], v1 offset:1568
	scratch_load_b128 v[34:37], off, off offset:784
	v_add_f64 v[167:168], v[167:168], v[189:190]
	v_add_f64 v[171:172], v[171:172], v[187:188]
	v_fma_f64 v[185:186], v[8:9], v[179:180], v[185:186]
	v_fma_f64 v[189:190], v[6:7], v[179:180], -v[181:182]
	ds_load_b128 v[6:9], v1 offset:1584
	s_waitcnt vmcnt(8) lgkmcnt(1)
	v_mul_f64 v[187:188], v[2:3], v[40:41]
	v_mul_f64 v[40:41], v[4:5], v[40:41]
	scratch_load_b128 v[179:182], off, off offset:800
	v_add_f64 v[167:168], v[167:168], v[191:192]
	v_add_f64 v[171:172], v[171:172], v[183:184]
	s_waitcnt vmcnt(8) lgkmcnt(0)
	v_mul_f64 v[183:184], v[6:7], v[177:178]
	v_mul_f64 v[177:178], v[8:9], v[177:178]
	v_fma_f64 v[187:188], v[4:5], v[38:39], v[187:188]
	v_fma_f64 v[191:192], v[2:3], v[38:39], -v[40:41]
	ds_load_b128 v[2:5], v1 offset:1600
	scratch_load_b128 v[38:41], off, off offset:816
	v_add_f64 v[167:168], v[167:168], v[189:190]
	v_add_f64 v[171:172], v[171:172], v[185:186]
	v_fma_f64 v[183:184], v[8:9], v[175:176], v[183:184]
	v_fma_f64 v[189:190], v[6:7], v[175:176], -v[177:178]
	ds_load_b128 v[6:9], v1 offset:1616
	s_waitcnt vmcnt(8) lgkmcnt(1)
	v_mul_f64 v[185:186], v[2:3], v[12:13]
	v_mul_f64 v[12:13], v[4:5], v[12:13]
	scratch_load_b128 v[175:178], off, off offset:832
	v_add_f64 v[167:168], v[167:168], v[191:192]
	v_add_f64 v[171:172], v[171:172], v[187:188]
	s_waitcnt vmcnt(8) lgkmcnt(0)
	v_mul_f64 v[187:188], v[6:7], v[16:17]
	v_mul_f64 v[16:17], v[8:9], v[16:17]
	v_fma_f64 v[185:186], v[4:5], v[10:11], v[185:186]
	v_fma_f64 v[191:192], v[2:3], v[10:11], -v[12:13]
	scratch_load_b128 v[10:13], off, off offset:848
	ds_load_b128 v[2:5], v1 offset:1632
	v_add_f64 v[167:168], v[167:168], v[189:190]
	v_add_f64 v[171:172], v[171:172], v[183:184]
	v_fma_f64 v[187:188], v[8:9], v[14:15], v[187:188]
	v_fma_f64 v[189:190], v[6:7], v[14:15], -v[16:17]
	ds_load_b128 v[6:9], v1 offset:1648
	s_waitcnt vmcnt(8) lgkmcnt(1)
	v_mul_f64 v[183:184], v[2:3], v[20:21]
	v_mul_f64 v[20:21], v[4:5], v[20:21]
	scratch_load_b128 v[14:17], off, off offset:864
	v_add_f64 v[167:168], v[167:168], v[191:192]
	v_add_f64 v[171:172], v[171:172], v[185:186]
	s_waitcnt vmcnt(8) lgkmcnt(0)
	v_mul_f64 v[185:186], v[6:7], v[24:25]
	v_mul_f64 v[24:25], v[8:9], v[24:25]
	v_fma_f64 v[183:184], v[4:5], v[18:19], v[183:184]
	v_fma_f64 v[191:192], v[2:3], v[18:19], -v[20:21]
	scratch_load_b128 v[18:21], off, off offset:880
	ds_load_b128 v[2:5], v1 offset:1664
	v_add_f64 v[167:168], v[167:168], v[189:190]
	v_add_f64 v[171:172], v[171:172], v[187:188]
	v_fma_f64 v[185:186], v[8:9], v[22:23], v[185:186]
	v_fma_f64 v[189:190], v[6:7], v[22:23], -v[24:25]
	ds_load_b128 v[6:9], v1 offset:1680
	s_waitcnt vmcnt(8) lgkmcnt(1)
	v_mul_f64 v[187:188], v[2:3], v[28:29]
	v_mul_f64 v[28:29], v[4:5], v[28:29]
	scratch_load_b128 v[22:25], off, off offset:896
	v_add_f64 v[167:168], v[167:168], v[191:192]
	v_add_f64 v[171:172], v[171:172], v[183:184]
	s_waitcnt vmcnt(8) lgkmcnt(0)
	v_mul_f64 v[183:184], v[6:7], v[32:33]
	v_mul_f64 v[32:33], v[8:9], v[32:33]
	v_fma_f64 v[187:188], v[4:5], v[26:27], v[187:188]
	v_fma_f64 v[26:27], v[2:3], v[26:27], -v[28:29]
	ds_load_b128 v[2:5], v1 offset:1696
	v_add_f64 v[28:29], v[167:168], v[189:190]
	v_add_f64 v[167:168], v[171:172], v[185:186]
	v_fma_f64 v[183:184], v[8:9], v[30:31], v[183:184]
	v_fma_f64 v[30:31], v[6:7], v[30:31], -v[32:33]
	ds_load_b128 v[6:9], v1 offset:1712
	s_waitcnt vmcnt(7) lgkmcnt(1)
	v_mul_f64 v[171:172], v[2:3], v[36:37]
	v_mul_f64 v[36:37], v[4:5], v[36:37]
	v_add_f64 v[26:27], v[28:29], v[26:27]
	v_add_f64 v[28:29], v[167:168], v[187:188]
	s_delay_alu instid0(VALU_DEP_4) | instskip(NEXT) | instid1(VALU_DEP_4)
	v_fma_f64 v[171:172], v[4:5], v[34:35], v[171:172]
	v_fma_f64 v[34:35], v[2:3], v[34:35], -v[36:37]
	ds_load_b128 v[2:5], v1 offset:1728
	v_add_f64 v[30:31], v[26:27], v[30:31]
	v_add_f64 v[36:37], v[28:29], v[183:184]
	scratch_load_b128 v[26:29], off, off offset:160
	s_waitcnt vmcnt(7) lgkmcnt(1)
	v_mul_f64 v[32:33], v[6:7], v[181:182]
	v_mul_f64 v[167:168], v[8:9], v[181:182]
	v_add_f64 v[30:31], v[30:31], v[34:35]
	v_add_f64 v[34:35], v[36:37], v[171:172]
	s_delay_alu instid0(VALU_DEP_4) | instskip(NEXT) | instid1(VALU_DEP_4)
	v_fma_f64 v[32:33], v[8:9], v[179:180], v[32:33]
	v_fma_f64 v[167:168], v[6:7], v[179:180], -v[167:168]
	ds_load_b128 v[6:9], v1 offset:1744
	s_waitcnt vmcnt(6) lgkmcnt(1)
	v_mul_f64 v[181:182], v[2:3], v[40:41]
	v_mul_f64 v[40:41], v[4:5], v[40:41]
	s_waitcnt vmcnt(5) lgkmcnt(0)
	v_mul_f64 v[36:37], v[6:7], v[177:178]
	v_mul_f64 v[171:172], v[8:9], v[177:178]
	v_add_f64 v[32:33], v[34:35], v[32:33]
	v_add_f64 v[30:31], v[30:31], v[167:168]
	v_fma_f64 v[177:178], v[4:5], v[38:39], v[181:182]
	v_fma_f64 v[38:39], v[2:3], v[38:39], -v[40:41]
	ds_load_b128 v[2:5], v1 offset:1760
	v_fma_f64 v[36:37], v[8:9], v[175:176], v[36:37]
	v_fma_f64 v[40:41], v[6:7], v[175:176], -v[171:172]
	ds_load_b128 v[6:9], v1 offset:1776
	s_waitcnt vmcnt(4) lgkmcnt(1)
	v_mul_f64 v[34:35], v[2:3], v[12:13]
	v_mul_f64 v[12:13], v[4:5], v[12:13]
	v_add_f64 v[32:33], v[32:33], v[177:178]
	v_add_f64 v[30:31], v[30:31], v[38:39]
	s_waitcnt vmcnt(3) lgkmcnt(0)
	v_mul_f64 v[38:39], v[6:7], v[16:17]
	v_mul_f64 v[16:17], v[8:9], v[16:17]
	v_fma_f64 v[34:35], v[4:5], v[10:11], v[34:35]
	v_fma_f64 v[10:11], v[2:3], v[10:11], -v[12:13]
	ds_load_b128 v[2:5], v1 offset:1792
	v_add_f64 v[12:13], v[30:31], v[40:41]
	v_add_f64 v[30:31], v[32:33], v[36:37]
	v_fma_f64 v[36:37], v[8:9], v[14:15], v[38:39]
	v_fma_f64 v[14:15], v[6:7], v[14:15], -v[16:17]
	ds_load_b128 v[6:9], v1 offset:1808
	s_waitcnt vmcnt(2) lgkmcnt(1)
	v_mul_f64 v[32:33], v[2:3], v[20:21]
	v_mul_f64 v[20:21], v[4:5], v[20:21]
	s_waitcnt vmcnt(1) lgkmcnt(0)
	v_mul_f64 v[16:17], v[6:7], v[24:25]
	v_mul_f64 v[24:25], v[8:9], v[24:25]
	v_add_f64 v[10:11], v[12:13], v[10:11]
	v_add_f64 v[12:13], v[30:31], v[34:35]
	v_fma_f64 v[4:5], v[4:5], v[18:19], v[32:33]
	v_fma_f64 v[1:2], v[2:3], v[18:19], -v[20:21]
	v_fma_f64 v[8:9], v[8:9], v[22:23], v[16:17]
	v_fma_f64 v[6:7], v[6:7], v[22:23], -v[24:25]
	v_add_f64 v[10:11], v[10:11], v[14:15]
	v_add_f64 v[12:13], v[12:13], v[36:37]
	s_delay_alu instid0(VALU_DEP_2) | instskip(NEXT) | instid1(VALU_DEP_2)
	v_add_f64 v[1:2], v[10:11], v[1:2]
	v_add_f64 v[3:4], v[12:13], v[4:5]
	s_delay_alu instid0(VALU_DEP_2) | instskip(NEXT) | instid1(VALU_DEP_2)
	v_add_f64 v[1:2], v[1:2], v[6:7]
	v_add_f64 v[3:4], v[3:4], v[8:9]
	s_waitcnt vmcnt(0)
	s_delay_alu instid0(VALU_DEP_2) | instskip(NEXT) | instid1(VALU_DEP_2)
	v_add_f64 v[1:2], v[26:27], -v[1:2]
	v_add_f64 v[3:4], v[28:29], -v[3:4]
	scratch_store_b128 off, v[1:4], off offset:160
	v_cmpx_lt_u32_e32 9, v156
	s_cbranch_execz .LBB56_337
; %bb.336:
	scratch_load_b128 v[1:4], v204, off
	v_mov_b32_e32 v5, 0
	s_delay_alu instid0(VALU_DEP_1)
	v_mov_b32_e32 v6, v5
	v_mov_b32_e32 v7, v5
	v_mov_b32_e32 v8, v5
	scratch_store_b128 off, v[5:8], off offset:144
	s_waitcnt vmcnt(0)
	ds_store_b128 v213, v[1:4]
.LBB56_337:
	s_or_b32 exec_lo, exec_lo, s2
	s_waitcnt lgkmcnt(0)
	s_waitcnt_vscnt null, 0x0
	s_barrier
	buffer_gl0_inv
	s_clause 0x7
	scratch_load_b128 v[2:5], off, off offset:160
	scratch_load_b128 v[6:9], off, off offset:176
	;; [unrolled: 1-line block ×8, first 2 shown]
	v_mov_b32_e32 v1, 0
	s_clause 0x1
	scratch_load_b128 v[34:37], off, off offset:288
	scratch_load_b128 v[179:182], off, off offset:304
	s_mov_b32 s2, exec_lo
	ds_load_b128 v[38:41], v1 offset:1072
	ds_load_b128 v[175:178], v1 offset:1088
	s_waitcnt vmcnt(9) lgkmcnt(1)
	v_mul_f64 v[167:168], v[40:41], v[4:5]
	v_mul_f64 v[4:5], v[38:39], v[4:5]
	s_waitcnt vmcnt(8) lgkmcnt(0)
	v_mul_f64 v[171:172], v[175:176], v[8:9]
	v_mul_f64 v[8:9], v[177:178], v[8:9]
	s_delay_alu instid0(VALU_DEP_4) | instskip(NEXT) | instid1(VALU_DEP_4)
	v_fma_f64 v[167:168], v[38:39], v[2:3], -v[167:168]
	v_fma_f64 v[183:184], v[40:41], v[2:3], v[4:5]
	ds_load_b128 v[2:5], v1 offset:1104
	scratch_load_b128 v[38:41], off, off offset:320
	v_fma_f64 v[171:172], v[177:178], v[6:7], v[171:172]
	v_fma_f64 v[187:188], v[175:176], v[6:7], -v[8:9]
	scratch_load_b128 v[175:178], off, off offset:336
	ds_load_b128 v[6:9], v1 offset:1120
	s_waitcnt vmcnt(9) lgkmcnt(1)
	v_mul_f64 v[185:186], v[2:3], v[12:13]
	v_mul_f64 v[12:13], v[4:5], v[12:13]
	s_waitcnt vmcnt(8) lgkmcnt(0)
	v_mul_f64 v[189:190], v[6:7], v[16:17]
	v_mul_f64 v[16:17], v[8:9], v[16:17]
	v_add_f64 v[167:168], v[167:168], 0
	v_add_f64 v[183:184], v[183:184], 0
	v_fma_f64 v[185:186], v[4:5], v[10:11], v[185:186]
	v_fma_f64 v[191:192], v[2:3], v[10:11], -v[12:13]
	ds_load_b128 v[2:5], v1 offset:1136
	scratch_load_b128 v[10:13], off, off offset:352
	v_add_f64 v[167:168], v[167:168], v[187:188]
	v_add_f64 v[171:172], v[183:184], v[171:172]
	v_fma_f64 v[187:188], v[8:9], v[14:15], v[189:190]
	v_fma_f64 v[189:190], v[6:7], v[14:15], -v[16:17]
	scratch_load_b128 v[14:17], off, off offset:368
	ds_load_b128 v[6:9], v1 offset:1152
	s_waitcnt vmcnt(9) lgkmcnt(1)
	v_mul_f64 v[183:184], v[2:3], v[20:21]
	v_mul_f64 v[20:21], v[4:5], v[20:21]
	v_add_f64 v[167:168], v[167:168], v[191:192]
	v_add_f64 v[171:172], v[171:172], v[185:186]
	s_waitcnt vmcnt(8) lgkmcnt(0)
	v_mul_f64 v[185:186], v[6:7], v[24:25]
	v_mul_f64 v[24:25], v[8:9], v[24:25]
	v_fma_f64 v[183:184], v[4:5], v[18:19], v[183:184]
	v_fma_f64 v[191:192], v[2:3], v[18:19], -v[20:21]
	ds_load_b128 v[2:5], v1 offset:1168
	scratch_load_b128 v[18:21], off, off offset:384
	v_add_f64 v[167:168], v[167:168], v[189:190]
	v_add_f64 v[171:172], v[171:172], v[187:188]
	v_fma_f64 v[185:186], v[8:9], v[22:23], v[185:186]
	v_fma_f64 v[189:190], v[6:7], v[22:23], -v[24:25]
	scratch_load_b128 v[22:25], off, off offset:400
	ds_load_b128 v[6:9], v1 offset:1184
	s_waitcnt vmcnt(9) lgkmcnt(1)
	v_mul_f64 v[187:188], v[2:3], v[28:29]
	v_mul_f64 v[28:29], v[4:5], v[28:29]
	v_add_f64 v[167:168], v[167:168], v[191:192]
	v_add_f64 v[171:172], v[171:172], v[183:184]
	s_waitcnt vmcnt(8) lgkmcnt(0)
	v_mul_f64 v[183:184], v[6:7], v[32:33]
	v_mul_f64 v[32:33], v[8:9], v[32:33]
	;; [unrolled: 18-line block ×14, first 2 shown]
	v_fma_f64 v[187:188], v[4:5], v[38:39], v[187:188]
	v_fma_f64 v[191:192], v[2:3], v[38:39], -v[40:41]
	ds_load_b128 v[2:5], v1 offset:1584
	scratch_load_b128 v[38:41], off, off offset:800
	v_add_f64 v[167:168], v[167:168], v[189:190]
	v_add_f64 v[171:172], v[171:172], v[185:186]
	v_fma_f64 v[183:184], v[8:9], v[175:176], v[183:184]
	v_fma_f64 v[189:190], v[6:7], v[175:176], -v[177:178]
	ds_load_b128 v[6:9], v1 offset:1600
	s_waitcnt vmcnt(8) lgkmcnt(1)
	v_mul_f64 v[185:186], v[2:3], v[12:13]
	v_mul_f64 v[12:13], v[4:5], v[12:13]
	scratch_load_b128 v[175:178], off, off offset:816
	v_add_f64 v[167:168], v[167:168], v[191:192]
	v_add_f64 v[171:172], v[171:172], v[187:188]
	s_waitcnt vmcnt(8) lgkmcnt(0)
	v_mul_f64 v[187:188], v[6:7], v[16:17]
	v_mul_f64 v[16:17], v[8:9], v[16:17]
	v_fma_f64 v[185:186], v[4:5], v[10:11], v[185:186]
	v_fma_f64 v[191:192], v[2:3], v[10:11], -v[12:13]
	scratch_load_b128 v[10:13], off, off offset:832
	ds_load_b128 v[2:5], v1 offset:1616
	v_add_f64 v[167:168], v[167:168], v[189:190]
	v_add_f64 v[171:172], v[171:172], v[183:184]
	v_fma_f64 v[187:188], v[8:9], v[14:15], v[187:188]
	v_fma_f64 v[189:190], v[6:7], v[14:15], -v[16:17]
	ds_load_b128 v[6:9], v1 offset:1632
	s_waitcnt vmcnt(8) lgkmcnt(1)
	v_mul_f64 v[183:184], v[2:3], v[20:21]
	v_mul_f64 v[20:21], v[4:5], v[20:21]
	scratch_load_b128 v[14:17], off, off offset:848
	v_add_f64 v[167:168], v[167:168], v[191:192]
	v_add_f64 v[171:172], v[171:172], v[185:186]
	s_waitcnt vmcnt(8) lgkmcnt(0)
	v_mul_f64 v[185:186], v[6:7], v[24:25]
	v_mul_f64 v[24:25], v[8:9], v[24:25]
	v_fma_f64 v[183:184], v[4:5], v[18:19], v[183:184]
	v_fma_f64 v[191:192], v[2:3], v[18:19], -v[20:21]
	scratch_load_b128 v[18:21], off, off offset:864
	ds_load_b128 v[2:5], v1 offset:1648
	;; [unrolled: 18-line block ×3, first 2 shown]
	v_add_f64 v[167:168], v[167:168], v[189:190]
	v_add_f64 v[171:172], v[171:172], v[185:186]
	v_fma_f64 v[183:184], v[8:9], v[30:31], v[183:184]
	v_fma_f64 v[30:31], v[6:7], v[30:31], -v[32:33]
	ds_load_b128 v[6:9], v1 offset:1696
	s_waitcnt vmcnt(8) lgkmcnt(1)
	v_mul_f64 v[185:186], v[2:3], v[36:37]
	v_mul_f64 v[36:37], v[4:5], v[36:37]
	v_add_f64 v[32:33], v[167:168], v[191:192]
	v_add_f64 v[167:168], v[171:172], v[187:188]
	s_waitcnt vmcnt(7) lgkmcnt(0)
	v_mul_f64 v[171:172], v[6:7], v[181:182]
	v_mul_f64 v[181:182], v[8:9], v[181:182]
	v_fma_f64 v[185:186], v[4:5], v[34:35], v[185:186]
	v_fma_f64 v[34:35], v[2:3], v[34:35], -v[36:37]
	ds_load_b128 v[2:5], v1 offset:1712
	v_add_f64 v[30:31], v[32:33], v[30:31]
	v_add_f64 v[32:33], v[167:168], v[183:184]
	v_fma_f64 v[167:168], v[8:9], v[179:180], v[171:172]
	v_fma_f64 v[171:172], v[6:7], v[179:180], -v[181:182]
	ds_load_b128 v[6:9], v1 offset:1728
	s_waitcnt vmcnt(5) lgkmcnt(0)
	v_mul_f64 v[181:182], v[6:7], v[177:178]
	v_mul_f64 v[177:178], v[8:9], v[177:178]
	v_add_f64 v[34:35], v[30:31], v[34:35]
	v_add_f64 v[179:180], v[32:33], v[185:186]
	scratch_load_b128 v[30:33], off, off offset:144
	v_mul_f64 v[36:37], v[2:3], v[40:41]
	v_mul_f64 v[40:41], v[4:5], v[40:41]
	v_add_f64 v[34:35], v[34:35], v[171:172]
	v_fma_f64 v[171:172], v[8:9], v[175:176], v[181:182]
	v_fma_f64 v[175:176], v[6:7], v[175:176], -v[177:178]
	v_fma_f64 v[36:37], v[4:5], v[38:39], v[36:37]
	v_fma_f64 v[38:39], v[2:3], v[38:39], -v[40:41]
	v_add_f64 v[40:41], v[179:180], v[167:168]
	ds_load_b128 v[2:5], v1 offset:1744
	ds_load_b128 v[6:9], v1 offset:1760
	s_waitcnt vmcnt(5) lgkmcnt(1)
	v_mul_f64 v[167:168], v[2:3], v[12:13]
	v_mul_f64 v[12:13], v[4:5], v[12:13]
	v_add_f64 v[34:35], v[34:35], v[38:39]
	v_add_f64 v[36:37], v[40:41], v[36:37]
	s_waitcnt vmcnt(4) lgkmcnt(0)
	v_mul_f64 v[38:39], v[6:7], v[16:17]
	v_mul_f64 v[16:17], v[8:9], v[16:17]
	v_fma_f64 v[40:41], v[4:5], v[10:11], v[167:168]
	v_fma_f64 v[10:11], v[2:3], v[10:11], -v[12:13]
	ds_load_b128 v[2:5], v1 offset:1776
	v_add_f64 v[12:13], v[34:35], v[175:176]
	v_add_f64 v[34:35], v[36:37], v[171:172]
	v_fma_f64 v[38:39], v[8:9], v[14:15], v[38:39]
	v_fma_f64 v[14:15], v[6:7], v[14:15], -v[16:17]
	ds_load_b128 v[6:9], v1 offset:1792
	s_waitcnt vmcnt(3) lgkmcnt(1)
	v_mul_f64 v[36:37], v[2:3], v[20:21]
	v_mul_f64 v[20:21], v[4:5], v[20:21]
	s_waitcnt vmcnt(2) lgkmcnt(0)
	v_mul_f64 v[16:17], v[6:7], v[24:25]
	v_mul_f64 v[24:25], v[8:9], v[24:25]
	v_add_f64 v[10:11], v[12:13], v[10:11]
	v_add_f64 v[12:13], v[34:35], v[40:41]
	v_fma_f64 v[34:35], v[4:5], v[18:19], v[36:37]
	v_fma_f64 v[18:19], v[2:3], v[18:19], -v[20:21]
	ds_load_b128 v[2:5], v1 offset:1808
	v_fma_f64 v[8:9], v[8:9], v[22:23], v[16:17]
	v_fma_f64 v[6:7], v[6:7], v[22:23], -v[24:25]
	s_waitcnt vmcnt(1) lgkmcnt(0)
	v_mul_f64 v[20:21], v[4:5], v[28:29]
	v_add_f64 v[10:11], v[10:11], v[14:15]
	v_add_f64 v[12:13], v[12:13], v[38:39]
	v_mul_f64 v[14:15], v[2:3], v[28:29]
	s_delay_alu instid0(VALU_DEP_4) | instskip(NEXT) | instid1(VALU_DEP_4)
	v_fma_f64 v[2:3], v[2:3], v[26:27], -v[20:21]
	v_add_f64 v[10:11], v[10:11], v[18:19]
	s_delay_alu instid0(VALU_DEP_4) | instskip(NEXT) | instid1(VALU_DEP_4)
	v_add_f64 v[12:13], v[12:13], v[34:35]
	v_fma_f64 v[4:5], v[4:5], v[26:27], v[14:15]
	s_delay_alu instid0(VALU_DEP_3) | instskip(NEXT) | instid1(VALU_DEP_3)
	v_add_f64 v[6:7], v[10:11], v[6:7]
	v_add_f64 v[8:9], v[12:13], v[8:9]
	s_delay_alu instid0(VALU_DEP_2) | instskip(NEXT) | instid1(VALU_DEP_2)
	v_add_f64 v[2:3], v[6:7], v[2:3]
	v_add_f64 v[4:5], v[8:9], v[4:5]
	s_waitcnt vmcnt(0)
	s_delay_alu instid0(VALU_DEP_2) | instskip(NEXT) | instid1(VALU_DEP_2)
	v_add_f64 v[2:3], v[30:31], -v[2:3]
	v_add_f64 v[4:5], v[32:33], -v[4:5]
	scratch_store_b128 off, v[2:5], off offset:144
	v_cmpx_lt_u32_e32 8, v156
	s_cbranch_execz .LBB56_339
; %bb.338:
	scratch_load_b128 v[5:8], v205, off
	v_mov_b32_e32 v2, v1
	v_mov_b32_e32 v3, v1
	;; [unrolled: 1-line block ×3, first 2 shown]
	scratch_store_b128 off, v[1:4], off offset:128
	s_waitcnt vmcnt(0)
	ds_store_b128 v213, v[5:8]
.LBB56_339:
	s_or_b32 exec_lo, exec_lo, s2
	s_waitcnt lgkmcnt(0)
	s_waitcnt_vscnt null, 0x0
	s_barrier
	buffer_gl0_inv
	s_clause 0x7
	scratch_load_b128 v[2:5], off, off offset:144
	scratch_load_b128 v[6:9], off, off offset:160
	;; [unrolled: 1-line block ×8, first 2 shown]
	ds_load_b128 v[38:41], v1 offset:1056
	ds_load_b128 v[175:178], v1 offset:1072
	s_clause 0x1
	scratch_load_b128 v[34:37], off, off offset:272
	scratch_load_b128 v[179:182], off, off offset:288
	s_mov_b32 s2, exec_lo
	s_waitcnt vmcnt(9) lgkmcnt(1)
	v_mul_f64 v[167:168], v[40:41], v[4:5]
	v_mul_f64 v[4:5], v[38:39], v[4:5]
	s_waitcnt vmcnt(8) lgkmcnt(0)
	v_mul_f64 v[171:172], v[175:176], v[8:9]
	v_mul_f64 v[8:9], v[177:178], v[8:9]
	s_delay_alu instid0(VALU_DEP_4) | instskip(NEXT) | instid1(VALU_DEP_4)
	v_fma_f64 v[167:168], v[38:39], v[2:3], -v[167:168]
	v_fma_f64 v[183:184], v[40:41], v[2:3], v[4:5]
	ds_load_b128 v[2:5], v1 offset:1088
	scratch_load_b128 v[38:41], off, off offset:304
	v_fma_f64 v[171:172], v[177:178], v[6:7], v[171:172]
	v_fma_f64 v[187:188], v[175:176], v[6:7], -v[8:9]
	scratch_load_b128 v[175:178], off, off offset:320
	ds_load_b128 v[6:9], v1 offset:1104
	s_waitcnt vmcnt(9) lgkmcnt(1)
	v_mul_f64 v[185:186], v[2:3], v[12:13]
	v_mul_f64 v[12:13], v[4:5], v[12:13]
	s_waitcnt vmcnt(8) lgkmcnt(0)
	v_mul_f64 v[189:190], v[6:7], v[16:17]
	v_mul_f64 v[16:17], v[8:9], v[16:17]
	v_add_f64 v[167:168], v[167:168], 0
	v_add_f64 v[183:184], v[183:184], 0
	v_fma_f64 v[185:186], v[4:5], v[10:11], v[185:186]
	v_fma_f64 v[191:192], v[2:3], v[10:11], -v[12:13]
	ds_load_b128 v[2:5], v1 offset:1120
	scratch_load_b128 v[10:13], off, off offset:336
	v_add_f64 v[167:168], v[167:168], v[187:188]
	v_add_f64 v[171:172], v[183:184], v[171:172]
	v_fma_f64 v[187:188], v[8:9], v[14:15], v[189:190]
	v_fma_f64 v[189:190], v[6:7], v[14:15], -v[16:17]
	scratch_load_b128 v[14:17], off, off offset:352
	ds_load_b128 v[6:9], v1 offset:1136
	s_waitcnt vmcnt(9) lgkmcnt(1)
	v_mul_f64 v[183:184], v[2:3], v[20:21]
	v_mul_f64 v[20:21], v[4:5], v[20:21]
	v_add_f64 v[167:168], v[167:168], v[191:192]
	v_add_f64 v[171:172], v[171:172], v[185:186]
	s_waitcnt vmcnt(8) lgkmcnt(0)
	v_mul_f64 v[185:186], v[6:7], v[24:25]
	v_mul_f64 v[24:25], v[8:9], v[24:25]
	v_fma_f64 v[183:184], v[4:5], v[18:19], v[183:184]
	v_fma_f64 v[191:192], v[2:3], v[18:19], -v[20:21]
	ds_load_b128 v[2:5], v1 offset:1152
	scratch_load_b128 v[18:21], off, off offset:368
	v_add_f64 v[167:168], v[167:168], v[189:190]
	v_add_f64 v[171:172], v[171:172], v[187:188]
	v_fma_f64 v[185:186], v[8:9], v[22:23], v[185:186]
	v_fma_f64 v[189:190], v[6:7], v[22:23], -v[24:25]
	scratch_load_b128 v[22:25], off, off offset:384
	ds_load_b128 v[6:9], v1 offset:1168
	s_waitcnt vmcnt(9) lgkmcnt(1)
	v_mul_f64 v[187:188], v[2:3], v[28:29]
	v_mul_f64 v[28:29], v[4:5], v[28:29]
	v_add_f64 v[167:168], v[167:168], v[191:192]
	v_add_f64 v[171:172], v[171:172], v[183:184]
	s_waitcnt vmcnt(8) lgkmcnt(0)
	v_mul_f64 v[183:184], v[6:7], v[32:33]
	v_mul_f64 v[32:33], v[8:9], v[32:33]
	;; [unrolled: 18-line block ×14, first 2 shown]
	v_fma_f64 v[187:188], v[4:5], v[38:39], v[187:188]
	v_fma_f64 v[191:192], v[2:3], v[38:39], -v[40:41]
	ds_load_b128 v[2:5], v1 offset:1568
	scratch_load_b128 v[38:41], off, off offset:784
	v_add_f64 v[167:168], v[167:168], v[189:190]
	v_add_f64 v[171:172], v[171:172], v[185:186]
	v_fma_f64 v[183:184], v[8:9], v[175:176], v[183:184]
	v_fma_f64 v[189:190], v[6:7], v[175:176], -v[177:178]
	ds_load_b128 v[6:9], v1 offset:1584
	s_waitcnt vmcnt(8) lgkmcnt(1)
	v_mul_f64 v[185:186], v[2:3], v[12:13]
	v_mul_f64 v[12:13], v[4:5], v[12:13]
	scratch_load_b128 v[175:178], off, off offset:800
	v_add_f64 v[167:168], v[167:168], v[191:192]
	v_add_f64 v[171:172], v[171:172], v[187:188]
	s_waitcnt vmcnt(8) lgkmcnt(0)
	v_mul_f64 v[187:188], v[6:7], v[16:17]
	v_mul_f64 v[16:17], v[8:9], v[16:17]
	v_fma_f64 v[185:186], v[4:5], v[10:11], v[185:186]
	v_fma_f64 v[191:192], v[2:3], v[10:11], -v[12:13]
	ds_load_b128 v[2:5], v1 offset:1600
	scratch_load_b128 v[10:13], off, off offset:816
	v_add_f64 v[167:168], v[167:168], v[189:190]
	v_add_f64 v[171:172], v[171:172], v[183:184]
	v_fma_f64 v[187:188], v[8:9], v[14:15], v[187:188]
	v_fma_f64 v[189:190], v[6:7], v[14:15], -v[16:17]
	ds_load_b128 v[6:9], v1 offset:1616
	s_waitcnt vmcnt(8) lgkmcnt(1)
	v_mul_f64 v[183:184], v[2:3], v[20:21]
	v_mul_f64 v[20:21], v[4:5], v[20:21]
	scratch_load_b128 v[14:17], off, off offset:832
	v_add_f64 v[167:168], v[167:168], v[191:192]
	v_add_f64 v[171:172], v[171:172], v[185:186]
	s_waitcnt vmcnt(8) lgkmcnt(0)
	v_mul_f64 v[185:186], v[6:7], v[24:25]
	v_mul_f64 v[24:25], v[8:9], v[24:25]
	v_fma_f64 v[183:184], v[4:5], v[18:19], v[183:184]
	v_fma_f64 v[191:192], v[2:3], v[18:19], -v[20:21]
	scratch_load_b128 v[18:21], off, off offset:848
	ds_load_b128 v[2:5], v1 offset:1632
	v_add_f64 v[167:168], v[167:168], v[189:190]
	v_add_f64 v[171:172], v[171:172], v[187:188]
	v_fma_f64 v[185:186], v[8:9], v[22:23], v[185:186]
	v_fma_f64 v[189:190], v[6:7], v[22:23], -v[24:25]
	ds_load_b128 v[6:9], v1 offset:1648
	s_waitcnt vmcnt(8) lgkmcnt(1)
	v_mul_f64 v[187:188], v[2:3], v[28:29]
	v_mul_f64 v[28:29], v[4:5], v[28:29]
	scratch_load_b128 v[22:25], off, off offset:864
	v_add_f64 v[167:168], v[167:168], v[191:192]
	v_add_f64 v[171:172], v[171:172], v[183:184]
	s_waitcnt vmcnt(8) lgkmcnt(0)
	v_mul_f64 v[183:184], v[6:7], v[32:33]
	v_mul_f64 v[32:33], v[8:9], v[32:33]
	v_fma_f64 v[187:188], v[4:5], v[26:27], v[187:188]
	v_fma_f64 v[191:192], v[2:3], v[26:27], -v[28:29]
	scratch_load_b128 v[26:29], off, off offset:880
	ds_load_b128 v[2:5], v1 offset:1664
	v_add_f64 v[167:168], v[167:168], v[189:190]
	v_add_f64 v[171:172], v[171:172], v[185:186]
	v_fma_f64 v[183:184], v[8:9], v[30:31], v[183:184]
	v_fma_f64 v[189:190], v[6:7], v[30:31], -v[32:33]
	ds_load_b128 v[6:9], v1 offset:1680
	s_waitcnt vmcnt(8) lgkmcnt(1)
	v_mul_f64 v[185:186], v[2:3], v[36:37]
	v_mul_f64 v[36:37], v[4:5], v[36:37]
	scratch_load_b128 v[30:33], off, off offset:896
	v_add_f64 v[167:168], v[167:168], v[191:192]
	v_add_f64 v[171:172], v[171:172], v[187:188]
	s_waitcnt vmcnt(8) lgkmcnt(0)
	v_mul_f64 v[187:188], v[6:7], v[181:182]
	v_mul_f64 v[181:182], v[8:9], v[181:182]
	v_fma_f64 v[185:186], v[4:5], v[34:35], v[185:186]
	v_fma_f64 v[34:35], v[2:3], v[34:35], -v[36:37]
	ds_load_b128 v[2:5], v1 offset:1696
	v_add_f64 v[36:37], v[167:168], v[189:190]
	v_add_f64 v[167:168], v[171:172], v[183:184]
	v_fma_f64 v[183:184], v[8:9], v[179:180], v[187:188]
	v_fma_f64 v[179:180], v[6:7], v[179:180], -v[181:182]
	ds_load_b128 v[6:9], v1 offset:1712
	s_waitcnt vmcnt(7) lgkmcnt(1)
	v_mul_f64 v[171:172], v[2:3], v[40:41]
	v_mul_f64 v[40:41], v[4:5], v[40:41]
	v_add_f64 v[34:35], v[36:37], v[34:35]
	v_add_f64 v[36:37], v[167:168], v[185:186]
	s_delay_alu instid0(VALU_DEP_4) | instskip(NEXT) | instid1(VALU_DEP_4)
	v_fma_f64 v[171:172], v[4:5], v[38:39], v[171:172]
	v_fma_f64 v[38:39], v[2:3], v[38:39], -v[40:41]
	ds_load_b128 v[2:5], v1 offset:1728
	v_add_f64 v[40:41], v[34:35], v[179:180]
	v_add_f64 v[179:180], v[36:37], v[183:184]
	scratch_load_b128 v[34:37], off, off offset:128
	s_waitcnt vmcnt(7) lgkmcnt(1)
	v_mul_f64 v[167:168], v[6:7], v[177:178]
	v_mul_f64 v[177:178], v[8:9], v[177:178]
	v_add_f64 v[38:39], v[40:41], v[38:39]
	v_add_f64 v[40:41], v[179:180], v[171:172]
	s_delay_alu instid0(VALU_DEP_4) | instskip(NEXT) | instid1(VALU_DEP_4)
	v_fma_f64 v[167:168], v[8:9], v[175:176], v[167:168]
	v_fma_f64 v[175:176], v[6:7], v[175:176], -v[177:178]
	ds_load_b128 v[6:9], v1 offset:1744
	s_waitcnt vmcnt(6) lgkmcnt(1)
	v_mul_f64 v[181:182], v[2:3], v[12:13]
	v_mul_f64 v[12:13], v[4:5], v[12:13]
	s_waitcnt vmcnt(5) lgkmcnt(0)
	v_mul_f64 v[171:172], v[6:7], v[16:17]
	v_mul_f64 v[16:17], v[8:9], v[16:17]
	s_delay_alu instid0(VALU_DEP_4) | instskip(NEXT) | instid1(VALU_DEP_4)
	v_fma_f64 v[177:178], v[4:5], v[10:11], v[181:182]
	v_fma_f64 v[10:11], v[2:3], v[10:11], -v[12:13]
	v_add_f64 v[12:13], v[38:39], v[175:176]
	v_add_f64 v[38:39], v[40:41], v[167:168]
	ds_load_b128 v[2:5], v1 offset:1760
	v_fma_f64 v[167:168], v[8:9], v[14:15], v[171:172]
	v_fma_f64 v[14:15], v[6:7], v[14:15], -v[16:17]
	ds_load_b128 v[6:9], v1 offset:1776
	s_waitcnt vmcnt(4) lgkmcnt(1)
	v_mul_f64 v[40:41], v[2:3], v[20:21]
	v_mul_f64 v[20:21], v[4:5], v[20:21]
	v_add_f64 v[10:11], v[12:13], v[10:11]
	v_add_f64 v[12:13], v[38:39], v[177:178]
	s_waitcnt vmcnt(3) lgkmcnt(0)
	v_mul_f64 v[16:17], v[6:7], v[24:25]
	v_mul_f64 v[24:25], v[8:9], v[24:25]
	v_fma_f64 v[38:39], v[4:5], v[18:19], v[40:41]
	v_fma_f64 v[18:19], v[2:3], v[18:19], -v[20:21]
	ds_load_b128 v[2:5], v1 offset:1792
	v_add_f64 v[10:11], v[10:11], v[14:15]
	v_add_f64 v[12:13], v[12:13], v[167:168]
	v_fma_f64 v[16:17], v[8:9], v[22:23], v[16:17]
	v_fma_f64 v[22:23], v[6:7], v[22:23], -v[24:25]
	ds_load_b128 v[6:9], v1 offset:1808
	s_waitcnt vmcnt(2) lgkmcnt(1)
	v_mul_f64 v[14:15], v[2:3], v[28:29]
	v_mul_f64 v[20:21], v[4:5], v[28:29]
	s_waitcnt vmcnt(1) lgkmcnt(0)
	v_mul_f64 v[24:25], v[8:9], v[32:33]
	v_add_f64 v[10:11], v[10:11], v[18:19]
	v_add_f64 v[12:13], v[12:13], v[38:39]
	v_mul_f64 v[18:19], v[6:7], v[32:33]
	v_fma_f64 v[4:5], v[4:5], v[26:27], v[14:15]
	v_fma_f64 v[1:2], v[2:3], v[26:27], -v[20:21]
	v_fma_f64 v[6:7], v[6:7], v[30:31], -v[24:25]
	v_add_f64 v[10:11], v[10:11], v[22:23]
	v_add_f64 v[12:13], v[12:13], v[16:17]
	v_fma_f64 v[8:9], v[8:9], v[30:31], v[18:19]
	s_delay_alu instid0(VALU_DEP_3) | instskip(NEXT) | instid1(VALU_DEP_3)
	v_add_f64 v[1:2], v[10:11], v[1:2]
	v_add_f64 v[3:4], v[12:13], v[4:5]
	s_delay_alu instid0(VALU_DEP_2) | instskip(NEXT) | instid1(VALU_DEP_2)
	v_add_f64 v[1:2], v[1:2], v[6:7]
	v_add_f64 v[3:4], v[3:4], v[8:9]
	s_waitcnt vmcnt(0)
	s_delay_alu instid0(VALU_DEP_2) | instskip(NEXT) | instid1(VALU_DEP_2)
	v_add_f64 v[1:2], v[34:35], -v[1:2]
	v_add_f64 v[3:4], v[36:37], -v[3:4]
	scratch_store_b128 off, v[1:4], off offset:128
	v_cmpx_lt_u32_e32 7, v156
	s_cbranch_execz .LBB56_341
; %bb.340:
	scratch_load_b128 v[1:4], v206, off
	v_mov_b32_e32 v5, 0
	s_delay_alu instid0(VALU_DEP_1)
	v_mov_b32_e32 v6, v5
	v_mov_b32_e32 v7, v5
	;; [unrolled: 1-line block ×3, first 2 shown]
	scratch_store_b128 off, v[5:8], off offset:112
	s_waitcnt vmcnt(0)
	ds_store_b128 v213, v[1:4]
.LBB56_341:
	s_or_b32 exec_lo, exec_lo, s2
	s_waitcnt lgkmcnt(0)
	s_waitcnt_vscnt null, 0x0
	s_barrier
	buffer_gl0_inv
	s_clause 0x7
	scratch_load_b128 v[2:5], off, off offset:128
	scratch_load_b128 v[6:9], off, off offset:144
	;; [unrolled: 1-line block ×8, first 2 shown]
	v_mov_b32_e32 v1, 0
	s_clause 0x1
	scratch_load_b128 v[34:37], off, off offset:256
	scratch_load_b128 v[179:182], off, off offset:272
	s_mov_b32 s2, exec_lo
	ds_load_b128 v[38:41], v1 offset:1040
	ds_load_b128 v[175:178], v1 offset:1056
	s_waitcnt vmcnt(9) lgkmcnt(1)
	v_mul_f64 v[167:168], v[40:41], v[4:5]
	v_mul_f64 v[4:5], v[38:39], v[4:5]
	s_waitcnt vmcnt(8) lgkmcnt(0)
	v_mul_f64 v[171:172], v[175:176], v[8:9]
	v_mul_f64 v[8:9], v[177:178], v[8:9]
	s_delay_alu instid0(VALU_DEP_4) | instskip(NEXT) | instid1(VALU_DEP_4)
	v_fma_f64 v[167:168], v[38:39], v[2:3], -v[167:168]
	v_fma_f64 v[183:184], v[40:41], v[2:3], v[4:5]
	ds_load_b128 v[2:5], v1 offset:1072
	scratch_load_b128 v[38:41], off, off offset:288
	v_fma_f64 v[171:172], v[177:178], v[6:7], v[171:172]
	v_fma_f64 v[187:188], v[175:176], v[6:7], -v[8:9]
	scratch_load_b128 v[175:178], off, off offset:304
	ds_load_b128 v[6:9], v1 offset:1088
	s_waitcnt vmcnt(9) lgkmcnt(1)
	v_mul_f64 v[185:186], v[2:3], v[12:13]
	v_mul_f64 v[12:13], v[4:5], v[12:13]
	s_waitcnt vmcnt(8) lgkmcnt(0)
	v_mul_f64 v[189:190], v[6:7], v[16:17]
	v_mul_f64 v[16:17], v[8:9], v[16:17]
	v_add_f64 v[167:168], v[167:168], 0
	v_add_f64 v[183:184], v[183:184], 0
	v_fma_f64 v[185:186], v[4:5], v[10:11], v[185:186]
	v_fma_f64 v[191:192], v[2:3], v[10:11], -v[12:13]
	ds_load_b128 v[2:5], v1 offset:1104
	scratch_load_b128 v[10:13], off, off offset:320
	v_add_f64 v[167:168], v[167:168], v[187:188]
	v_add_f64 v[171:172], v[183:184], v[171:172]
	v_fma_f64 v[187:188], v[8:9], v[14:15], v[189:190]
	v_fma_f64 v[189:190], v[6:7], v[14:15], -v[16:17]
	scratch_load_b128 v[14:17], off, off offset:336
	ds_load_b128 v[6:9], v1 offset:1120
	s_waitcnt vmcnt(9) lgkmcnt(1)
	v_mul_f64 v[183:184], v[2:3], v[20:21]
	v_mul_f64 v[20:21], v[4:5], v[20:21]
	v_add_f64 v[167:168], v[167:168], v[191:192]
	v_add_f64 v[171:172], v[171:172], v[185:186]
	s_waitcnt vmcnt(8) lgkmcnt(0)
	v_mul_f64 v[185:186], v[6:7], v[24:25]
	v_mul_f64 v[24:25], v[8:9], v[24:25]
	v_fma_f64 v[183:184], v[4:5], v[18:19], v[183:184]
	v_fma_f64 v[191:192], v[2:3], v[18:19], -v[20:21]
	ds_load_b128 v[2:5], v1 offset:1136
	scratch_load_b128 v[18:21], off, off offset:352
	v_add_f64 v[167:168], v[167:168], v[189:190]
	v_add_f64 v[171:172], v[171:172], v[187:188]
	v_fma_f64 v[185:186], v[8:9], v[22:23], v[185:186]
	v_fma_f64 v[189:190], v[6:7], v[22:23], -v[24:25]
	scratch_load_b128 v[22:25], off, off offset:368
	ds_load_b128 v[6:9], v1 offset:1152
	s_waitcnt vmcnt(9) lgkmcnt(1)
	v_mul_f64 v[187:188], v[2:3], v[28:29]
	v_mul_f64 v[28:29], v[4:5], v[28:29]
	v_add_f64 v[167:168], v[167:168], v[191:192]
	v_add_f64 v[171:172], v[171:172], v[183:184]
	s_waitcnt vmcnt(8) lgkmcnt(0)
	v_mul_f64 v[183:184], v[6:7], v[32:33]
	v_mul_f64 v[32:33], v[8:9], v[32:33]
	;; [unrolled: 18-line block ×15, first 2 shown]
	v_fma_f64 v[185:186], v[4:5], v[10:11], v[185:186]
	v_fma_f64 v[191:192], v[2:3], v[10:11], -v[12:13]
	ds_load_b128 v[2:5], v1 offset:1584
	scratch_load_b128 v[10:13], off, off offset:800
	v_add_f64 v[167:168], v[167:168], v[189:190]
	v_add_f64 v[171:172], v[171:172], v[183:184]
	v_fma_f64 v[187:188], v[8:9], v[14:15], v[187:188]
	v_fma_f64 v[189:190], v[6:7], v[14:15], -v[16:17]
	ds_load_b128 v[6:9], v1 offset:1600
	s_waitcnt vmcnt(8) lgkmcnt(1)
	v_mul_f64 v[183:184], v[2:3], v[20:21]
	v_mul_f64 v[20:21], v[4:5], v[20:21]
	scratch_load_b128 v[14:17], off, off offset:816
	v_add_f64 v[167:168], v[167:168], v[191:192]
	v_add_f64 v[171:172], v[171:172], v[185:186]
	s_waitcnt vmcnt(8) lgkmcnt(0)
	v_mul_f64 v[185:186], v[6:7], v[24:25]
	v_mul_f64 v[24:25], v[8:9], v[24:25]
	v_fma_f64 v[183:184], v[4:5], v[18:19], v[183:184]
	v_fma_f64 v[191:192], v[2:3], v[18:19], -v[20:21]
	scratch_load_b128 v[18:21], off, off offset:832
	ds_load_b128 v[2:5], v1 offset:1616
	v_add_f64 v[167:168], v[167:168], v[189:190]
	v_add_f64 v[171:172], v[171:172], v[187:188]
	v_fma_f64 v[185:186], v[8:9], v[22:23], v[185:186]
	v_fma_f64 v[189:190], v[6:7], v[22:23], -v[24:25]
	ds_load_b128 v[6:9], v1 offset:1632
	s_waitcnt vmcnt(8) lgkmcnt(1)
	v_mul_f64 v[187:188], v[2:3], v[28:29]
	v_mul_f64 v[28:29], v[4:5], v[28:29]
	scratch_load_b128 v[22:25], off, off offset:848
	v_add_f64 v[167:168], v[167:168], v[191:192]
	v_add_f64 v[171:172], v[171:172], v[183:184]
	s_waitcnt vmcnt(8) lgkmcnt(0)
	v_mul_f64 v[183:184], v[6:7], v[32:33]
	v_mul_f64 v[32:33], v[8:9], v[32:33]
	v_fma_f64 v[187:188], v[4:5], v[26:27], v[187:188]
	v_fma_f64 v[191:192], v[2:3], v[26:27], -v[28:29]
	scratch_load_b128 v[26:29], off, off offset:864
	ds_load_b128 v[2:5], v1 offset:1648
	;; [unrolled: 18-line block ×3, first 2 shown]
	v_add_f64 v[167:168], v[167:168], v[189:190]
	v_add_f64 v[171:172], v[171:172], v[183:184]
	v_fma_f64 v[187:188], v[8:9], v[179:180], v[187:188]
	v_fma_f64 v[179:180], v[6:7], v[179:180], -v[181:182]
	ds_load_b128 v[6:9], v1 offset:1696
	s_waitcnt vmcnt(8) lgkmcnt(1)
	v_mul_f64 v[183:184], v[2:3], v[40:41]
	v_mul_f64 v[40:41], v[4:5], v[40:41]
	s_waitcnt vmcnt(7) lgkmcnt(0)
	v_mul_f64 v[181:182], v[6:7], v[177:178]
	v_mul_f64 v[177:178], v[8:9], v[177:178]
	v_add_f64 v[167:168], v[167:168], v[191:192]
	v_add_f64 v[171:172], v[171:172], v[185:186]
	v_fma_f64 v[183:184], v[4:5], v[38:39], v[183:184]
	v_fma_f64 v[38:39], v[2:3], v[38:39], -v[40:41]
	ds_load_b128 v[2:5], v1 offset:1712
	v_add_f64 v[40:41], v[167:168], v[179:180]
	v_add_f64 v[167:168], v[171:172], v[187:188]
	v_fma_f64 v[179:180], v[8:9], v[175:176], v[181:182]
	v_fma_f64 v[175:176], v[6:7], v[175:176], -v[177:178]
	ds_load_b128 v[6:9], v1 offset:1728
	s_waitcnt vmcnt(5) lgkmcnt(0)
	v_mul_f64 v[181:182], v[6:7], v[16:17]
	v_mul_f64 v[16:17], v[8:9], v[16:17]
	v_add_f64 v[177:178], v[40:41], v[38:39]
	v_add_f64 v[167:168], v[167:168], v[183:184]
	scratch_load_b128 v[38:41], off, off offset:112
	v_mul_f64 v[171:172], v[2:3], v[12:13]
	v_mul_f64 v[12:13], v[4:5], v[12:13]
	v_add_f64 v[167:168], v[167:168], v[179:180]
	s_delay_alu instid0(VALU_DEP_3) | instskip(NEXT) | instid1(VALU_DEP_3)
	v_fma_f64 v[171:172], v[4:5], v[10:11], v[171:172]
	v_fma_f64 v[10:11], v[2:3], v[10:11], -v[12:13]
	v_add_f64 v[12:13], v[177:178], v[175:176]
	ds_load_b128 v[2:5], v1 offset:1744
	v_fma_f64 v[177:178], v[8:9], v[14:15], v[181:182]
	v_fma_f64 v[14:15], v[6:7], v[14:15], -v[16:17]
	ds_load_b128 v[6:9], v1 offset:1760
	s_waitcnt vmcnt(5) lgkmcnt(1)
	v_mul_f64 v[175:176], v[2:3], v[20:21]
	v_mul_f64 v[20:21], v[4:5], v[20:21]
	s_waitcnt vmcnt(4) lgkmcnt(0)
	v_mul_f64 v[16:17], v[6:7], v[24:25]
	v_mul_f64 v[24:25], v[8:9], v[24:25]
	v_add_f64 v[10:11], v[12:13], v[10:11]
	v_add_f64 v[12:13], v[167:168], v[171:172]
	v_fma_f64 v[167:168], v[4:5], v[18:19], v[175:176]
	v_fma_f64 v[18:19], v[2:3], v[18:19], -v[20:21]
	ds_load_b128 v[2:5], v1 offset:1776
	v_fma_f64 v[16:17], v[8:9], v[22:23], v[16:17]
	v_fma_f64 v[22:23], v[6:7], v[22:23], -v[24:25]
	ds_load_b128 v[6:9], v1 offset:1792
	v_add_f64 v[10:11], v[10:11], v[14:15]
	v_add_f64 v[12:13], v[12:13], v[177:178]
	s_waitcnt vmcnt(3) lgkmcnt(1)
	v_mul_f64 v[14:15], v[2:3], v[28:29]
	v_mul_f64 v[20:21], v[4:5], v[28:29]
	s_waitcnt vmcnt(2) lgkmcnt(0)
	v_mul_f64 v[24:25], v[8:9], v[32:33]
	v_add_f64 v[10:11], v[10:11], v[18:19]
	v_add_f64 v[12:13], v[12:13], v[167:168]
	v_mul_f64 v[18:19], v[6:7], v[32:33]
	v_fma_f64 v[14:15], v[4:5], v[26:27], v[14:15]
	v_fma_f64 v[20:21], v[2:3], v[26:27], -v[20:21]
	ds_load_b128 v[2:5], v1 offset:1808
	v_fma_f64 v[6:7], v[6:7], v[30:31], -v[24:25]
	v_add_f64 v[10:11], v[10:11], v[22:23]
	v_add_f64 v[12:13], v[12:13], v[16:17]
	s_waitcnt vmcnt(1) lgkmcnt(0)
	v_mul_f64 v[16:17], v[2:3], v[36:37]
	v_mul_f64 v[22:23], v[4:5], v[36:37]
	v_fma_f64 v[8:9], v[8:9], v[30:31], v[18:19]
	v_add_f64 v[10:11], v[10:11], v[20:21]
	v_add_f64 v[12:13], v[12:13], v[14:15]
	v_fma_f64 v[4:5], v[4:5], v[34:35], v[16:17]
	v_fma_f64 v[2:3], v[2:3], v[34:35], -v[22:23]
	s_delay_alu instid0(VALU_DEP_4) | instskip(NEXT) | instid1(VALU_DEP_4)
	v_add_f64 v[6:7], v[10:11], v[6:7]
	v_add_f64 v[8:9], v[12:13], v[8:9]
	s_delay_alu instid0(VALU_DEP_2) | instskip(NEXT) | instid1(VALU_DEP_2)
	v_add_f64 v[2:3], v[6:7], v[2:3]
	v_add_f64 v[4:5], v[8:9], v[4:5]
	s_waitcnt vmcnt(0)
	s_delay_alu instid0(VALU_DEP_2) | instskip(NEXT) | instid1(VALU_DEP_2)
	v_add_f64 v[2:3], v[38:39], -v[2:3]
	v_add_f64 v[4:5], v[40:41], -v[4:5]
	scratch_store_b128 off, v[2:5], off offset:112
	v_cmpx_lt_u32_e32 6, v156
	s_cbranch_execz .LBB56_343
; %bb.342:
	scratch_load_b128 v[5:8], v207, off
	v_mov_b32_e32 v2, v1
	v_mov_b32_e32 v3, v1
	;; [unrolled: 1-line block ×3, first 2 shown]
	scratch_store_b128 off, v[1:4], off offset:96
	s_waitcnt vmcnt(0)
	ds_store_b128 v213, v[5:8]
.LBB56_343:
	s_or_b32 exec_lo, exec_lo, s2
	s_waitcnt lgkmcnt(0)
	s_waitcnt_vscnt null, 0x0
	s_barrier
	buffer_gl0_inv
	s_clause 0x7
	scratch_load_b128 v[2:5], off, off offset:112
	scratch_load_b128 v[6:9], off, off offset:128
	;; [unrolled: 1-line block ×8, first 2 shown]
	ds_load_b128 v[38:41], v1 offset:1024
	ds_load_b128 v[175:178], v1 offset:1040
	s_clause 0x1
	scratch_load_b128 v[34:37], off, off offset:240
	scratch_load_b128 v[179:182], off, off offset:256
	s_mov_b32 s2, exec_lo
	s_waitcnt vmcnt(9) lgkmcnt(1)
	v_mul_f64 v[167:168], v[40:41], v[4:5]
	v_mul_f64 v[4:5], v[38:39], v[4:5]
	s_waitcnt vmcnt(8) lgkmcnt(0)
	v_mul_f64 v[171:172], v[175:176], v[8:9]
	v_mul_f64 v[8:9], v[177:178], v[8:9]
	s_delay_alu instid0(VALU_DEP_4) | instskip(NEXT) | instid1(VALU_DEP_4)
	v_fma_f64 v[167:168], v[38:39], v[2:3], -v[167:168]
	v_fma_f64 v[183:184], v[40:41], v[2:3], v[4:5]
	ds_load_b128 v[2:5], v1 offset:1056
	scratch_load_b128 v[38:41], off, off offset:272
	v_fma_f64 v[171:172], v[177:178], v[6:7], v[171:172]
	v_fma_f64 v[187:188], v[175:176], v[6:7], -v[8:9]
	scratch_load_b128 v[175:178], off, off offset:288
	ds_load_b128 v[6:9], v1 offset:1072
	s_waitcnt vmcnt(9) lgkmcnt(1)
	v_mul_f64 v[185:186], v[2:3], v[12:13]
	v_mul_f64 v[12:13], v[4:5], v[12:13]
	s_waitcnt vmcnt(8) lgkmcnt(0)
	v_mul_f64 v[189:190], v[6:7], v[16:17]
	v_mul_f64 v[16:17], v[8:9], v[16:17]
	v_add_f64 v[167:168], v[167:168], 0
	v_add_f64 v[183:184], v[183:184], 0
	v_fma_f64 v[185:186], v[4:5], v[10:11], v[185:186]
	v_fma_f64 v[191:192], v[2:3], v[10:11], -v[12:13]
	ds_load_b128 v[2:5], v1 offset:1088
	scratch_load_b128 v[10:13], off, off offset:304
	v_add_f64 v[167:168], v[167:168], v[187:188]
	v_add_f64 v[171:172], v[183:184], v[171:172]
	v_fma_f64 v[187:188], v[8:9], v[14:15], v[189:190]
	v_fma_f64 v[189:190], v[6:7], v[14:15], -v[16:17]
	scratch_load_b128 v[14:17], off, off offset:320
	ds_load_b128 v[6:9], v1 offset:1104
	s_waitcnt vmcnt(9) lgkmcnt(1)
	v_mul_f64 v[183:184], v[2:3], v[20:21]
	v_mul_f64 v[20:21], v[4:5], v[20:21]
	v_add_f64 v[167:168], v[167:168], v[191:192]
	v_add_f64 v[171:172], v[171:172], v[185:186]
	s_waitcnt vmcnt(8) lgkmcnt(0)
	v_mul_f64 v[185:186], v[6:7], v[24:25]
	v_mul_f64 v[24:25], v[8:9], v[24:25]
	v_fma_f64 v[183:184], v[4:5], v[18:19], v[183:184]
	v_fma_f64 v[191:192], v[2:3], v[18:19], -v[20:21]
	ds_load_b128 v[2:5], v1 offset:1120
	scratch_load_b128 v[18:21], off, off offset:336
	v_add_f64 v[167:168], v[167:168], v[189:190]
	v_add_f64 v[171:172], v[171:172], v[187:188]
	v_fma_f64 v[185:186], v[8:9], v[22:23], v[185:186]
	v_fma_f64 v[189:190], v[6:7], v[22:23], -v[24:25]
	scratch_load_b128 v[22:25], off, off offset:352
	ds_load_b128 v[6:9], v1 offset:1136
	s_waitcnt vmcnt(9) lgkmcnt(1)
	v_mul_f64 v[187:188], v[2:3], v[28:29]
	v_mul_f64 v[28:29], v[4:5], v[28:29]
	v_add_f64 v[167:168], v[167:168], v[191:192]
	v_add_f64 v[171:172], v[171:172], v[183:184]
	s_waitcnt vmcnt(8) lgkmcnt(0)
	v_mul_f64 v[183:184], v[6:7], v[32:33]
	v_mul_f64 v[32:33], v[8:9], v[32:33]
	;; [unrolled: 18-line block ×15, first 2 shown]
	v_fma_f64 v[185:186], v[4:5], v[10:11], v[185:186]
	v_fma_f64 v[191:192], v[2:3], v[10:11], -v[12:13]
	ds_load_b128 v[2:5], v1 offset:1568
	scratch_load_b128 v[10:13], off, off offset:784
	v_add_f64 v[167:168], v[167:168], v[189:190]
	v_add_f64 v[171:172], v[171:172], v[183:184]
	v_fma_f64 v[187:188], v[8:9], v[14:15], v[187:188]
	v_fma_f64 v[189:190], v[6:7], v[14:15], -v[16:17]
	ds_load_b128 v[6:9], v1 offset:1584
	s_waitcnt vmcnt(8) lgkmcnt(1)
	v_mul_f64 v[183:184], v[2:3], v[20:21]
	v_mul_f64 v[20:21], v[4:5], v[20:21]
	scratch_load_b128 v[14:17], off, off offset:800
	v_add_f64 v[167:168], v[167:168], v[191:192]
	v_add_f64 v[171:172], v[171:172], v[185:186]
	s_waitcnt vmcnt(8) lgkmcnt(0)
	v_mul_f64 v[185:186], v[6:7], v[24:25]
	v_mul_f64 v[24:25], v[8:9], v[24:25]
	v_fma_f64 v[183:184], v[4:5], v[18:19], v[183:184]
	v_fma_f64 v[191:192], v[2:3], v[18:19], -v[20:21]
	ds_load_b128 v[2:5], v1 offset:1600
	scratch_load_b128 v[18:21], off, off offset:816
	v_add_f64 v[167:168], v[167:168], v[189:190]
	v_add_f64 v[171:172], v[171:172], v[187:188]
	v_fma_f64 v[185:186], v[8:9], v[22:23], v[185:186]
	v_fma_f64 v[189:190], v[6:7], v[22:23], -v[24:25]
	ds_load_b128 v[6:9], v1 offset:1616
	s_waitcnt vmcnt(8) lgkmcnt(1)
	v_mul_f64 v[187:188], v[2:3], v[28:29]
	v_mul_f64 v[28:29], v[4:5], v[28:29]
	scratch_load_b128 v[22:25], off, off offset:832
	v_add_f64 v[167:168], v[167:168], v[191:192]
	v_add_f64 v[171:172], v[171:172], v[183:184]
	s_waitcnt vmcnt(8) lgkmcnt(0)
	v_mul_f64 v[183:184], v[6:7], v[32:33]
	v_mul_f64 v[32:33], v[8:9], v[32:33]
	v_fma_f64 v[187:188], v[4:5], v[26:27], v[187:188]
	v_fma_f64 v[191:192], v[2:3], v[26:27], -v[28:29]
	scratch_load_b128 v[26:29], off, off offset:848
	ds_load_b128 v[2:5], v1 offset:1632
	v_add_f64 v[167:168], v[167:168], v[189:190]
	v_add_f64 v[171:172], v[171:172], v[185:186]
	v_fma_f64 v[183:184], v[8:9], v[30:31], v[183:184]
	v_fma_f64 v[189:190], v[6:7], v[30:31], -v[32:33]
	ds_load_b128 v[6:9], v1 offset:1648
	s_waitcnt vmcnt(8) lgkmcnt(1)
	v_mul_f64 v[185:186], v[2:3], v[36:37]
	v_mul_f64 v[36:37], v[4:5], v[36:37]
	scratch_load_b128 v[30:33], off, off offset:864
	v_add_f64 v[167:168], v[167:168], v[191:192]
	v_add_f64 v[171:172], v[171:172], v[187:188]
	s_waitcnt vmcnt(8) lgkmcnt(0)
	v_mul_f64 v[187:188], v[6:7], v[181:182]
	v_mul_f64 v[181:182], v[8:9], v[181:182]
	v_fma_f64 v[185:186], v[4:5], v[34:35], v[185:186]
	v_fma_f64 v[191:192], v[2:3], v[34:35], -v[36:37]
	scratch_load_b128 v[34:37], off, off offset:880
	ds_load_b128 v[2:5], v1 offset:1664
	v_add_f64 v[167:168], v[167:168], v[189:190]
	v_add_f64 v[171:172], v[171:172], v[183:184]
	v_fma_f64 v[187:188], v[8:9], v[179:180], v[187:188]
	v_fma_f64 v[189:190], v[6:7], v[179:180], -v[181:182]
	ds_load_b128 v[6:9], v1 offset:1680
	s_waitcnt vmcnt(8) lgkmcnt(1)
	v_mul_f64 v[183:184], v[2:3], v[40:41]
	v_mul_f64 v[40:41], v[4:5], v[40:41]
	scratch_load_b128 v[179:182], off, off offset:896
	v_add_f64 v[167:168], v[167:168], v[191:192]
	v_add_f64 v[171:172], v[171:172], v[185:186]
	s_waitcnt vmcnt(8) lgkmcnt(0)
	v_mul_f64 v[185:186], v[6:7], v[177:178]
	v_mul_f64 v[177:178], v[8:9], v[177:178]
	v_fma_f64 v[183:184], v[4:5], v[38:39], v[183:184]
	v_fma_f64 v[38:39], v[2:3], v[38:39], -v[40:41]
	ds_load_b128 v[2:5], v1 offset:1696
	v_add_f64 v[40:41], v[167:168], v[189:190]
	v_add_f64 v[167:168], v[171:172], v[187:188]
	v_fma_f64 v[185:186], v[8:9], v[175:176], v[185:186]
	v_fma_f64 v[175:176], v[6:7], v[175:176], -v[177:178]
	ds_load_b128 v[6:9], v1 offset:1712
	s_waitcnt vmcnt(7) lgkmcnt(1)
	v_mul_f64 v[171:172], v[2:3], v[12:13]
	v_mul_f64 v[12:13], v[4:5], v[12:13]
	v_add_f64 v[38:39], v[40:41], v[38:39]
	v_add_f64 v[40:41], v[167:168], v[183:184]
	s_delay_alu instid0(VALU_DEP_4) | instskip(NEXT) | instid1(VALU_DEP_4)
	v_fma_f64 v[171:172], v[4:5], v[10:11], v[171:172]
	v_fma_f64 v[177:178], v[2:3], v[10:11], -v[12:13]
	scratch_load_b128 v[10:13], off, off offset:96
	s_waitcnt vmcnt(7) lgkmcnt(0)
	v_mul_f64 v[167:168], v[6:7], v[16:17]
	v_mul_f64 v[16:17], v[8:9], v[16:17]
	ds_load_b128 v[2:5], v1 offset:1728
	v_add_f64 v[38:39], v[38:39], v[175:176]
	v_add_f64 v[40:41], v[40:41], v[185:186]
	v_fma_f64 v[167:168], v[8:9], v[14:15], v[167:168]
	v_fma_f64 v[14:15], v[6:7], v[14:15], -v[16:17]
	ds_load_b128 v[6:9], v1 offset:1744
	s_waitcnt vmcnt(6) lgkmcnt(1)
	v_mul_f64 v[175:176], v[2:3], v[20:21]
	v_mul_f64 v[20:21], v[4:5], v[20:21]
	v_add_f64 v[16:17], v[38:39], v[177:178]
	v_add_f64 v[38:39], v[40:41], v[171:172]
	s_waitcnt vmcnt(5) lgkmcnt(0)
	v_mul_f64 v[40:41], v[6:7], v[24:25]
	v_mul_f64 v[24:25], v[8:9], v[24:25]
	v_fma_f64 v[171:172], v[4:5], v[18:19], v[175:176]
	v_fma_f64 v[18:19], v[2:3], v[18:19], -v[20:21]
	ds_load_b128 v[2:5], v1 offset:1760
	v_add_f64 v[14:15], v[16:17], v[14:15]
	v_add_f64 v[16:17], v[38:39], v[167:168]
	v_fma_f64 v[38:39], v[8:9], v[22:23], v[40:41]
	v_fma_f64 v[22:23], v[6:7], v[22:23], -v[24:25]
	ds_load_b128 v[6:9], v1 offset:1776
	s_waitcnt vmcnt(4) lgkmcnt(1)
	v_mul_f64 v[20:21], v[2:3], v[28:29]
	v_mul_f64 v[28:29], v[4:5], v[28:29]
	s_waitcnt vmcnt(3) lgkmcnt(0)
	v_mul_f64 v[24:25], v[8:9], v[32:33]
	v_add_f64 v[14:15], v[14:15], v[18:19]
	v_add_f64 v[16:17], v[16:17], v[171:172]
	v_mul_f64 v[18:19], v[6:7], v[32:33]
	v_fma_f64 v[20:21], v[4:5], v[26:27], v[20:21]
	v_fma_f64 v[26:27], v[2:3], v[26:27], -v[28:29]
	ds_load_b128 v[2:5], v1 offset:1792
	v_fma_f64 v[24:25], v[6:7], v[30:31], -v[24:25]
	v_add_f64 v[14:15], v[14:15], v[22:23]
	v_add_f64 v[16:17], v[16:17], v[38:39]
	v_fma_f64 v[18:19], v[8:9], v[30:31], v[18:19]
	ds_load_b128 v[6:9], v1 offset:1808
	s_waitcnt vmcnt(2) lgkmcnt(1)
	v_mul_f64 v[22:23], v[2:3], v[36:37]
	v_mul_f64 v[28:29], v[4:5], v[36:37]
	v_add_f64 v[14:15], v[14:15], v[26:27]
	v_add_f64 v[16:17], v[16:17], v[20:21]
	s_waitcnt vmcnt(1) lgkmcnt(0)
	v_mul_f64 v[20:21], v[6:7], v[181:182]
	v_mul_f64 v[26:27], v[8:9], v[181:182]
	v_fma_f64 v[4:5], v[4:5], v[34:35], v[22:23]
	v_fma_f64 v[1:2], v[2:3], v[34:35], -v[28:29]
	v_add_f64 v[14:15], v[14:15], v[24:25]
	v_add_f64 v[16:17], v[16:17], v[18:19]
	v_fma_f64 v[8:9], v[8:9], v[179:180], v[20:21]
	v_fma_f64 v[6:7], v[6:7], v[179:180], -v[26:27]
	s_delay_alu instid0(VALU_DEP_4) | instskip(NEXT) | instid1(VALU_DEP_4)
	v_add_f64 v[1:2], v[14:15], v[1:2]
	v_add_f64 v[3:4], v[16:17], v[4:5]
	s_delay_alu instid0(VALU_DEP_2) | instskip(NEXT) | instid1(VALU_DEP_2)
	v_add_f64 v[1:2], v[1:2], v[6:7]
	v_add_f64 v[3:4], v[3:4], v[8:9]
	s_waitcnt vmcnt(0)
	s_delay_alu instid0(VALU_DEP_2) | instskip(NEXT) | instid1(VALU_DEP_2)
	v_add_f64 v[1:2], v[10:11], -v[1:2]
	v_add_f64 v[3:4], v[12:13], -v[3:4]
	scratch_store_b128 off, v[1:4], off offset:96
	v_cmpx_lt_u32_e32 5, v156
	s_cbranch_execz .LBB56_345
; %bb.344:
	scratch_load_b128 v[1:4], v208, off
	v_mov_b32_e32 v5, 0
	s_delay_alu instid0(VALU_DEP_1)
	v_mov_b32_e32 v6, v5
	v_mov_b32_e32 v7, v5
	;; [unrolled: 1-line block ×3, first 2 shown]
	scratch_store_b128 off, v[5:8], off offset:80
	s_waitcnt vmcnt(0)
	ds_store_b128 v213, v[1:4]
.LBB56_345:
	s_or_b32 exec_lo, exec_lo, s2
	s_waitcnt lgkmcnt(0)
	s_waitcnt_vscnt null, 0x0
	s_barrier
	buffer_gl0_inv
	s_clause 0x7
	scratch_load_b128 v[2:5], off, off offset:96
	scratch_load_b128 v[6:9], off, off offset:112
	;; [unrolled: 1-line block ×8, first 2 shown]
	v_mov_b32_e32 v1, 0
	s_clause 0x1
	scratch_load_b128 v[34:37], off, off offset:224
	scratch_load_b128 v[179:182], off, off offset:240
	s_mov_b32 s2, exec_lo
	ds_load_b128 v[38:41], v1 offset:1008
	ds_load_b128 v[175:178], v1 offset:1024
	s_waitcnt vmcnt(9) lgkmcnt(1)
	v_mul_f64 v[167:168], v[40:41], v[4:5]
	v_mul_f64 v[4:5], v[38:39], v[4:5]
	s_waitcnt vmcnt(8) lgkmcnt(0)
	v_mul_f64 v[171:172], v[175:176], v[8:9]
	v_mul_f64 v[8:9], v[177:178], v[8:9]
	s_delay_alu instid0(VALU_DEP_4) | instskip(NEXT) | instid1(VALU_DEP_4)
	v_fma_f64 v[167:168], v[38:39], v[2:3], -v[167:168]
	v_fma_f64 v[183:184], v[40:41], v[2:3], v[4:5]
	ds_load_b128 v[2:5], v1 offset:1040
	scratch_load_b128 v[38:41], off, off offset:256
	v_fma_f64 v[171:172], v[177:178], v[6:7], v[171:172]
	v_fma_f64 v[187:188], v[175:176], v[6:7], -v[8:9]
	scratch_load_b128 v[175:178], off, off offset:272
	ds_load_b128 v[6:9], v1 offset:1056
	s_waitcnt vmcnt(9) lgkmcnt(1)
	v_mul_f64 v[185:186], v[2:3], v[12:13]
	v_mul_f64 v[12:13], v[4:5], v[12:13]
	s_waitcnt vmcnt(8) lgkmcnt(0)
	v_mul_f64 v[189:190], v[6:7], v[16:17]
	v_mul_f64 v[16:17], v[8:9], v[16:17]
	v_add_f64 v[167:168], v[167:168], 0
	v_add_f64 v[183:184], v[183:184], 0
	v_fma_f64 v[185:186], v[4:5], v[10:11], v[185:186]
	v_fma_f64 v[191:192], v[2:3], v[10:11], -v[12:13]
	ds_load_b128 v[2:5], v1 offset:1072
	scratch_load_b128 v[10:13], off, off offset:288
	v_add_f64 v[167:168], v[167:168], v[187:188]
	v_add_f64 v[171:172], v[183:184], v[171:172]
	v_fma_f64 v[187:188], v[8:9], v[14:15], v[189:190]
	v_fma_f64 v[189:190], v[6:7], v[14:15], -v[16:17]
	scratch_load_b128 v[14:17], off, off offset:304
	ds_load_b128 v[6:9], v1 offset:1088
	s_waitcnt vmcnt(9) lgkmcnt(1)
	v_mul_f64 v[183:184], v[2:3], v[20:21]
	v_mul_f64 v[20:21], v[4:5], v[20:21]
	v_add_f64 v[167:168], v[167:168], v[191:192]
	v_add_f64 v[171:172], v[171:172], v[185:186]
	s_waitcnt vmcnt(8) lgkmcnt(0)
	v_mul_f64 v[185:186], v[6:7], v[24:25]
	v_mul_f64 v[24:25], v[8:9], v[24:25]
	v_fma_f64 v[183:184], v[4:5], v[18:19], v[183:184]
	v_fma_f64 v[191:192], v[2:3], v[18:19], -v[20:21]
	ds_load_b128 v[2:5], v1 offset:1104
	scratch_load_b128 v[18:21], off, off offset:320
	v_add_f64 v[167:168], v[167:168], v[189:190]
	v_add_f64 v[171:172], v[171:172], v[187:188]
	v_fma_f64 v[185:186], v[8:9], v[22:23], v[185:186]
	v_fma_f64 v[189:190], v[6:7], v[22:23], -v[24:25]
	scratch_load_b128 v[22:25], off, off offset:336
	ds_load_b128 v[6:9], v1 offset:1120
	s_waitcnt vmcnt(9) lgkmcnt(1)
	v_mul_f64 v[187:188], v[2:3], v[28:29]
	v_mul_f64 v[28:29], v[4:5], v[28:29]
	v_add_f64 v[167:168], v[167:168], v[191:192]
	v_add_f64 v[171:172], v[171:172], v[183:184]
	s_waitcnt vmcnt(8) lgkmcnt(0)
	v_mul_f64 v[183:184], v[6:7], v[32:33]
	v_mul_f64 v[32:33], v[8:9], v[32:33]
	v_fma_f64 v[187:188], v[4:5], v[26:27], v[187:188]
	v_fma_f64 v[191:192], v[2:3], v[26:27], -v[28:29]
	ds_load_b128 v[2:5], v1 offset:1136
	scratch_load_b128 v[26:29], off, off offset:352
	v_add_f64 v[167:168], v[167:168], v[189:190]
	v_add_f64 v[171:172], v[171:172], v[185:186]
	v_fma_f64 v[183:184], v[8:9], v[30:31], v[183:184]
	v_fma_f64 v[189:190], v[6:7], v[30:31], -v[32:33]
	scratch_load_b128 v[30:33], off, off offset:368
	ds_load_b128 v[6:9], v1 offset:1152
	s_waitcnt vmcnt(9) lgkmcnt(1)
	v_mul_f64 v[185:186], v[2:3], v[36:37]
	v_mul_f64 v[36:37], v[4:5], v[36:37]
	v_add_f64 v[167:168], v[167:168], v[191:192]
	v_add_f64 v[171:172], v[171:172], v[187:188]
	s_waitcnt vmcnt(8) lgkmcnt(0)
	v_mul_f64 v[187:188], v[6:7], v[181:182]
	v_mul_f64 v[181:182], v[8:9], v[181:182]
	v_fma_f64 v[185:186], v[4:5], v[34:35], v[185:186]
	v_fma_f64 v[191:192], v[2:3], v[34:35], -v[36:37]
	ds_load_b128 v[2:5], v1 offset:1168
	scratch_load_b128 v[34:37], off, off offset:384
	v_add_f64 v[167:168], v[167:168], v[189:190]
	v_add_f64 v[171:172], v[171:172], v[183:184]
	v_fma_f64 v[187:188], v[8:9], v[179:180], v[187:188]
	v_fma_f64 v[189:190], v[6:7], v[179:180], -v[181:182]
	scratch_load_b128 v[179:182], off, off offset:400
	ds_load_b128 v[6:9], v1 offset:1184
	s_waitcnt vmcnt(9) lgkmcnt(1)
	v_mul_f64 v[183:184], v[2:3], v[40:41]
	v_mul_f64 v[40:41], v[4:5], v[40:41]
	v_add_f64 v[167:168], v[167:168], v[191:192]
	v_add_f64 v[171:172], v[171:172], v[185:186]
	s_waitcnt vmcnt(8) lgkmcnt(0)
	v_mul_f64 v[185:186], v[6:7], v[177:178]
	v_mul_f64 v[177:178], v[8:9], v[177:178]
	v_fma_f64 v[183:184], v[4:5], v[38:39], v[183:184]
	v_fma_f64 v[191:192], v[2:3], v[38:39], -v[40:41]
	ds_load_b128 v[2:5], v1 offset:1200
	scratch_load_b128 v[38:41], off, off offset:416
	v_add_f64 v[167:168], v[167:168], v[189:190]
	v_add_f64 v[171:172], v[171:172], v[187:188]
	v_fma_f64 v[185:186], v[8:9], v[175:176], v[185:186]
	v_fma_f64 v[189:190], v[6:7], v[175:176], -v[177:178]
	scratch_load_b128 v[175:178], off, off offset:432
	ds_load_b128 v[6:9], v1 offset:1216
	s_waitcnt vmcnt(9) lgkmcnt(1)
	v_mul_f64 v[187:188], v[2:3], v[12:13]
	v_mul_f64 v[12:13], v[4:5], v[12:13]
	v_add_f64 v[167:168], v[167:168], v[191:192]
	v_add_f64 v[171:172], v[171:172], v[183:184]
	s_waitcnt vmcnt(8) lgkmcnt(0)
	v_mul_f64 v[183:184], v[6:7], v[16:17]
	v_mul_f64 v[16:17], v[8:9], v[16:17]
	v_fma_f64 v[187:188], v[4:5], v[10:11], v[187:188]
	v_fma_f64 v[191:192], v[2:3], v[10:11], -v[12:13]
	ds_load_b128 v[2:5], v1 offset:1232
	scratch_load_b128 v[10:13], off, off offset:448
	v_add_f64 v[167:168], v[167:168], v[189:190]
	v_add_f64 v[171:172], v[171:172], v[185:186]
	v_fma_f64 v[183:184], v[8:9], v[14:15], v[183:184]
	v_fma_f64 v[189:190], v[6:7], v[14:15], -v[16:17]
	scratch_load_b128 v[14:17], off, off offset:464
	ds_load_b128 v[6:9], v1 offset:1248
	s_waitcnt vmcnt(9) lgkmcnt(1)
	v_mul_f64 v[185:186], v[2:3], v[20:21]
	v_mul_f64 v[20:21], v[4:5], v[20:21]
	v_add_f64 v[167:168], v[167:168], v[191:192]
	v_add_f64 v[171:172], v[171:172], v[187:188]
	s_waitcnt vmcnt(8) lgkmcnt(0)
	v_mul_f64 v[187:188], v[6:7], v[24:25]
	v_mul_f64 v[24:25], v[8:9], v[24:25]
	v_fma_f64 v[185:186], v[4:5], v[18:19], v[185:186]
	v_fma_f64 v[191:192], v[2:3], v[18:19], -v[20:21]
	ds_load_b128 v[2:5], v1 offset:1264
	scratch_load_b128 v[18:21], off, off offset:480
	v_add_f64 v[167:168], v[167:168], v[189:190]
	v_add_f64 v[171:172], v[171:172], v[183:184]
	v_fma_f64 v[187:188], v[8:9], v[22:23], v[187:188]
	v_fma_f64 v[189:190], v[6:7], v[22:23], -v[24:25]
	scratch_load_b128 v[22:25], off, off offset:496
	ds_load_b128 v[6:9], v1 offset:1280
	s_waitcnt vmcnt(9) lgkmcnt(1)
	v_mul_f64 v[183:184], v[2:3], v[28:29]
	v_mul_f64 v[28:29], v[4:5], v[28:29]
	v_add_f64 v[167:168], v[167:168], v[191:192]
	v_add_f64 v[171:172], v[171:172], v[185:186]
	s_waitcnt vmcnt(8) lgkmcnt(0)
	v_mul_f64 v[185:186], v[6:7], v[32:33]
	v_mul_f64 v[32:33], v[8:9], v[32:33]
	v_fma_f64 v[183:184], v[4:5], v[26:27], v[183:184]
	v_fma_f64 v[191:192], v[2:3], v[26:27], -v[28:29]
	ds_load_b128 v[2:5], v1 offset:1296
	scratch_load_b128 v[26:29], off, off offset:512
	v_add_f64 v[167:168], v[167:168], v[189:190]
	v_add_f64 v[171:172], v[171:172], v[187:188]
	v_fma_f64 v[185:186], v[8:9], v[30:31], v[185:186]
	v_fma_f64 v[189:190], v[6:7], v[30:31], -v[32:33]
	scratch_load_b128 v[30:33], off, off offset:528
	ds_load_b128 v[6:9], v1 offset:1312
	s_waitcnt vmcnt(9) lgkmcnt(1)
	v_mul_f64 v[187:188], v[2:3], v[36:37]
	v_mul_f64 v[36:37], v[4:5], v[36:37]
	v_add_f64 v[167:168], v[167:168], v[191:192]
	v_add_f64 v[171:172], v[171:172], v[183:184]
	s_waitcnt vmcnt(8) lgkmcnt(0)
	v_mul_f64 v[183:184], v[6:7], v[181:182]
	v_mul_f64 v[181:182], v[8:9], v[181:182]
	v_fma_f64 v[187:188], v[4:5], v[34:35], v[187:188]
	v_fma_f64 v[191:192], v[2:3], v[34:35], -v[36:37]
	ds_load_b128 v[2:5], v1 offset:1328
	scratch_load_b128 v[34:37], off, off offset:544
	v_add_f64 v[167:168], v[167:168], v[189:190]
	v_add_f64 v[171:172], v[171:172], v[185:186]
	v_fma_f64 v[183:184], v[8:9], v[179:180], v[183:184]
	v_fma_f64 v[189:190], v[6:7], v[179:180], -v[181:182]
	scratch_load_b128 v[179:182], off, off offset:560
	ds_load_b128 v[6:9], v1 offset:1344
	s_waitcnt vmcnt(9) lgkmcnt(1)
	v_mul_f64 v[185:186], v[2:3], v[40:41]
	v_mul_f64 v[40:41], v[4:5], v[40:41]
	v_add_f64 v[167:168], v[167:168], v[191:192]
	v_add_f64 v[171:172], v[171:172], v[187:188]
	s_waitcnt vmcnt(8) lgkmcnt(0)
	v_mul_f64 v[187:188], v[6:7], v[177:178]
	v_mul_f64 v[177:178], v[8:9], v[177:178]
	v_fma_f64 v[185:186], v[4:5], v[38:39], v[185:186]
	v_fma_f64 v[191:192], v[2:3], v[38:39], -v[40:41]
	ds_load_b128 v[2:5], v1 offset:1360
	scratch_load_b128 v[38:41], off, off offset:576
	v_add_f64 v[167:168], v[167:168], v[189:190]
	v_add_f64 v[171:172], v[171:172], v[183:184]
	v_fma_f64 v[187:188], v[8:9], v[175:176], v[187:188]
	v_fma_f64 v[189:190], v[6:7], v[175:176], -v[177:178]
	scratch_load_b128 v[175:178], off, off offset:592
	ds_load_b128 v[6:9], v1 offset:1376
	s_waitcnt vmcnt(9) lgkmcnt(1)
	v_mul_f64 v[183:184], v[2:3], v[12:13]
	v_mul_f64 v[12:13], v[4:5], v[12:13]
	v_add_f64 v[167:168], v[167:168], v[191:192]
	v_add_f64 v[171:172], v[171:172], v[185:186]
	s_waitcnt vmcnt(8) lgkmcnt(0)
	v_mul_f64 v[185:186], v[6:7], v[16:17]
	v_mul_f64 v[16:17], v[8:9], v[16:17]
	v_fma_f64 v[183:184], v[4:5], v[10:11], v[183:184]
	v_fma_f64 v[191:192], v[2:3], v[10:11], -v[12:13]
	ds_load_b128 v[2:5], v1 offset:1392
	scratch_load_b128 v[10:13], off, off offset:608
	v_add_f64 v[167:168], v[167:168], v[189:190]
	v_add_f64 v[171:172], v[171:172], v[187:188]
	v_fma_f64 v[185:186], v[8:9], v[14:15], v[185:186]
	v_fma_f64 v[189:190], v[6:7], v[14:15], -v[16:17]
	scratch_load_b128 v[14:17], off, off offset:624
	ds_load_b128 v[6:9], v1 offset:1408
	s_waitcnt vmcnt(9) lgkmcnt(1)
	v_mul_f64 v[187:188], v[2:3], v[20:21]
	v_mul_f64 v[20:21], v[4:5], v[20:21]
	v_add_f64 v[167:168], v[167:168], v[191:192]
	v_add_f64 v[171:172], v[171:172], v[183:184]
	s_waitcnt vmcnt(8) lgkmcnt(0)
	v_mul_f64 v[183:184], v[6:7], v[24:25]
	v_mul_f64 v[24:25], v[8:9], v[24:25]
	v_fma_f64 v[187:188], v[4:5], v[18:19], v[187:188]
	v_fma_f64 v[191:192], v[2:3], v[18:19], -v[20:21]
	ds_load_b128 v[2:5], v1 offset:1424
	scratch_load_b128 v[18:21], off, off offset:640
	v_add_f64 v[167:168], v[167:168], v[189:190]
	v_add_f64 v[171:172], v[171:172], v[185:186]
	v_fma_f64 v[183:184], v[8:9], v[22:23], v[183:184]
	v_fma_f64 v[189:190], v[6:7], v[22:23], -v[24:25]
	scratch_load_b128 v[22:25], off, off offset:656
	ds_load_b128 v[6:9], v1 offset:1440
	s_waitcnt vmcnt(9) lgkmcnt(1)
	v_mul_f64 v[185:186], v[2:3], v[28:29]
	v_mul_f64 v[28:29], v[4:5], v[28:29]
	v_add_f64 v[167:168], v[167:168], v[191:192]
	v_add_f64 v[171:172], v[171:172], v[187:188]
	s_waitcnt vmcnt(8) lgkmcnt(0)
	v_mul_f64 v[187:188], v[6:7], v[32:33]
	v_mul_f64 v[32:33], v[8:9], v[32:33]
	v_fma_f64 v[185:186], v[4:5], v[26:27], v[185:186]
	v_fma_f64 v[191:192], v[2:3], v[26:27], -v[28:29]
	ds_load_b128 v[2:5], v1 offset:1456
	scratch_load_b128 v[26:29], off, off offset:672
	v_add_f64 v[167:168], v[167:168], v[189:190]
	v_add_f64 v[171:172], v[171:172], v[183:184]
	v_fma_f64 v[187:188], v[8:9], v[30:31], v[187:188]
	v_fma_f64 v[189:190], v[6:7], v[30:31], -v[32:33]
	scratch_load_b128 v[30:33], off, off offset:688
	ds_load_b128 v[6:9], v1 offset:1472
	s_waitcnt vmcnt(9) lgkmcnt(1)
	v_mul_f64 v[183:184], v[2:3], v[36:37]
	v_mul_f64 v[36:37], v[4:5], v[36:37]
	v_add_f64 v[167:168], v[167:168], v[191:192]
	v_add_f64 v[171:172], v[171:172], v[185:186]
	s_waitcnt vmcnt(8) lgkmcnt(0)
	v_mul_f64 v[185:186], v[6:7], v[181:182]
	v_mul_f64 v[181:182], v[8:9], v[181:182]
	v_fma_f64 v[183:184], v[4:5], v[34:35], v[183:184]
	v_fma_f64 v[191:192], v[2:3], v[34:35], -v[36:37]
	ds_load_b128 v[2:5], v1 offset:1488
	scratch_load_b128 v[34:37], off, off offset:704
	v_add_f64 v[167:168], v[167:168], v[189:190]
	v_add_f64 v[171:172], v[171:172], v[187:188]
	v_fma_f64 v[185:186], v[8:9], v[179:180], v[185:186]
	v_fma_f64 v[189:190], v[6:7], v[179:180], -v[181:182]
	scratch_load_b128 v[179:182], off, off offset:720
	ds_load_b128 v[6:9], v1 offset:1504
	s_waitcnt vmcnt(9) lgkmcnt(1)
	v_mul_f64 v[187:188], v[2:3], v[40:41]
	v_mul_f64 v[40:41], v[4:5], v[40:41]
	v_add_f64 v[167:168], v[167:168], v[191:192]
	v_add_f64 v[171:172], v[171:172], v[183:184]
	s_waitcnt vmcnt(8) lgkmcnt(0)
	v_mul_f64 v[183:184], v[6:7], v[177:178]
	v_mul_f64 v[177:178], v[8:9], v[177:178]
	v_fma_f64 v[187:188], v[4:5], v[38:39], v[187:188]
	v_fma_f64 v[191:192], v[2:3], v[38:39], -v[40:41]
	ds_load_b128 v[2:5], v1 offset:1520
	scratch_load_b128 v[38:41], off, off offset:736
	v_add_f64 v[167:168], v[167:168], v[189:190]
	v_add_f64 v[171:172], v[171:172], v[185:186]
	v_fma_f64 v[183:184], v[8:9], v[175:176], v[183:184]
	v_fma_f64 v[189:190], v[6:7], v[175:176], -v[177:178]
	scratch_load_b128 v[175:178], off, off offset:752
	ds_load_b128 v[6:9], v1 offset:1536
	s_waitcnt vmcnt(9) lgkmcnt(1)
	v_mul_f64 v[185:186], v[2:3], v[12:13]
	v_mul_f64 v[12:13], v[4:5], v[12:13]
	v_add_f64 v[167:168], v[167:168], v[191:192]
	v_add_f64 v[171:172], v[171:172], v[187:188]
	s_waitcnt vmcnt(8) lgkmcnt(0)
	v_mul_f64 v[187:188], v[6:7], v[16:17]
	v_mul_f64 v[16:17], v[8:9], v[16:17]
	v_fma_f64 v[185:186], v[4:5], v[10:11], v[185:186]
	v_fma_f64 v[191:192], v[2:3], v[10:11], -v[12:13]
	ds_load_b128 v[2:5], v1 offset:1552
	scratch_load_b128 v[10:13], off, off offset:768
	v_add_f64 v[167:168], v[167:168], v[189:190]
	v_add_f64 v[171:172], v[171:172], v[183:184]
	v_fma_f64 v[187:188], v[8:9], v[14:15], v[187:188]
	v_fma_f64 v[189:190], v[6:7], v[14:15], -v[16:17]
	scratch_load_b128 v[14:17], off, off offset:784
	ds_load_b128 v[6:9], v1 offset:1568
	s_waitcnt vmcnt(9) lgkmcnt(1)
	v_mul_f64 v[183:184], v[2:3], v[20:21]
	v_mul_f64 v[20:21], v[4:5], v[20:21]
	v_add_f64 v[167:168], v[167:168], v[191:192]
	v_add_f64 v[171:172], v[171:172], v[185:186]
	s_waitcnt vmcnt(8) lgkmcnt(0)
	v_mul_f64 v[185:186], v[6:7], v[24:25]
	v_mul_f64 v[24:25], v[8:9], v[24:25]
	v_fma_f64 v[183:184], v[4:5], v[18:19], v[183:184]
	v_fma_f64 v[191:192], v[2:3], v[18:19], -v[20:21]
	ds_load_b128 v[2:5], v1 offset:1584
	scratch_load_b128 v[18:21], off, off offset:800
	v_add_f64 v[167:168], v[167:168], v[189:190]
	v_add_f64 v[171:172], v[171:172], v[187:188]
	v_fma_f64 v[185:186], v[8:9], v[22:23], v[185:186]
	v_fma_f64 v[189:190], v[6:7], v[22:23], -v[24:25]
	ds_load_b128 v[6:9], v1 offset:1600
	s_waitcnt vmcnt(8) lgkmcnt(1)
	v_mul_f64 v[187:188], v[2:3], v[28:29]
	v_mul_f64 v[28:29], v[4:5], v[28:29]
	scratch_load_b128 v[22:25], off, off offset:816
	v_add_f64 v[167:168], v[167:168], v[191:192]
	v_add_f64 v[171:172], v[171:172], v[183:184]
	s_waitcnt vmcnt(8) lgkmcnt(0)
	v_mul_f64 v[183:184], v[6:7], v[32:33]
	v_mul_f64 v[32:33], v[8:9], v[32:33]
	v_fma_f64 v[187:188], v[4:5], v[26:27], v[187:188]
	v_fma_f64 v[191:192], v[2:3], v[26:27], -v[28:29]
	scratch_load_b128 v[26:29], off, off offset:832
	ds_load_b128 v[2:5], v1 offset:1616
	v_add_f64 v[167:168], v[167:168], v[189:190]
	v_add_f64 v[171:172], v[171:172], v[185:186]
	v_fma_f64 v[183:184], v[8:9], v[30:31], v[183:184]
	v_fma_f64 v[189:190], v[6:7], v[30:31], -v[32:33]
	ds_load_b128 v[6:9], v1 offset:1632
	s_waitcnt vmcnt(8) lgkmcnt(1)
	v_mul_f64 v[185:186], v[2:3], v[36:37]
	v_mul_f64 v[36:37], v[4:5], v[36:37]
	scratch_load_b128 v[30:33], off, off offset:848
	v_add_f64 v[167:168], v[167:168], v[191:192]
	v_add_f64 v[171:172], v[171:172], v[187:188]
	s_waitcnt vmcnt(8) lgkmcnt(0)
	v_mul_f64 v[187:188], v[6:7], v[181:182]
	v_mul_f64 v[181:182], v[8:9], v[181:182]
	v_fma_f64 v[185:186], v[4:5], v[34:35], v[185:186]
	v_fma_f64 v[191:192], v[2:3], v[34:35], -v[36:37]
	scratch_load_b128 v[34:37], off, off offset:864
	ds_load_b128 v[2:5], v1 offset:1648
	;; [unrolled: 18-line block ×3, first 2 shown]
	v_add_f64 v[167:168], v[167:168], v[189:190]
	v_add_f64 v[171:172], v[171:172], v[187:188]
	v_fma_f64 v[185:186], v[8:9], v[175:176], v[185:186]
	v_fma_f64 v[175:176], v[6:7], v[175:176], -v[177:178]
	ds_load_b128 v[6:9], v1 offset:1696
	s_waitcnt vmcnt(8) lgkmcnt(1)
	v_mul_f64 v[187:188], v[2:3], v[12:13]
	v_mul_f64 v[12:13], v[4:5], v[12:13]
	s_waitcnt vmcnt(7) lgkmcnt(0)
	v_mul_f64 v[177:178], v[6:7], v[16:17]
	v_mul_f64 v[16:17], v[8:9], v[16:17]
	v_add_f64 v[167:168], v[167:168], v[191:192]
	v_add_f64 v[171:172], v[171:172], v[183:184]
	v_fma_f64 v[183:184], v[4:5], v[10:11], v[187:188]
	v_fma_f64 v[10:11], v[2:3], v[10:11], -v[12:13]
	ds_load_b128 v[2:5], v1 offset:1712
	v_add_f64 v[12:13], v[167:168], v[175:176]
	v_add_f64 v[167:168], v[171:172], v[185:186]
	v_fma_f64 v[175:176], v[8:9], v[14:15], v[177:178]
	v_fma_f64 v[14:15], v[6:7], v[14:15], -v[16:17]
	ds_load_b128 v[6:9], v1 offset:1728
	s_waitcnt vmcnt(5) lgkmcnt(0)
	v_mul_f64 v[177:178], v[6:7], v[24:25]
	v_mul_f64 v[24:25], v[8:9], v[24:25]
	v_add_f64 v[16:17], v[12:13], v[10:11]
	v_add_f64 v[167:168], v[167:168], v[183:184]
	scratch_load_b128 v[10:13], off, off offset:80
	v_mul_f64 v[171:172], v[2:3], v[20:21]
	v_mul_f64 v[20:21], v[4:5], v[20:21]
	v_add_f64 v[14:15], v[16:17], v[14:15]
	v_add_f64 v[16:17], v[167:168], v[175:176]
	v_fma_f64 v[167:168], v[8:9], v[22:23], v[177:178]
	v_fma_f64 v[171:172], v[4:5], v[18:19], v[171:172]
	v_fma_f64 v[18:19], v[2:3], v[18:19], -v[20:21]
	ds_load_b128 v[2:5], v1 offset:1744
	v_fma_f64 v[22:23], v[6:7], v[22:23], -v[24:25]
	ds_load_b128 v[6:9], v1 offset:1760
	s_waitcnt vmcnt(5) lgkmcnt(1)
	v_mul_f64 v[20:21], v[2:3], v[28:29]
	v_mul_f64 v[28:29], v[4:5], v[28:29]
	s_waitcnt vmcnt(4) lgkmcnt(0)
	v_mul_f64 v[24:25], v[8:9], v[32:33]
	v_add_f64 v[16:17], v[16:17], v[171:172]
	v_add_f64 v[14:15], v[14:15], v[18:19]
	v_mul_f64 v[18:19], v[6:7], v[32:33]
	v_fma_f64 v[20:21], v[4:5], v[26:27], v[20:21]
	v_fma_f64 v[26:27], v[2:3], v[26:27], -v[28:29]
	ds_load_b128 v[2:5], v1 offset:1776
	v_fma_f64 v[24:25], v[6:7], v[30:31], -v[24:25]
	v_add_f64 v[16:17], v[16:17], v[167:168]
	v_add_f64 v[14:15], v[14:15], v[22:23]
	v_fma_f64 v[18:19], v[8:9], v[30:31], v[18:19]
	ds_load_b128 v[6:9], v1 offset:1792
	s_waitcnt vmcnt(3) lgkmcnt(1)
	v_mul_f64 v[22:23], v[2:3], v[36:37]
	v_mul_f64 v[28:29], v[4:5], v[36:37]
	v_add_f64 v[16:17], v[16:17], v[20:21]
	v_add_f64 v[14:15], v[14:15], v[26:27]
	s_waitcnt vmcnt(2) lgkmcnt(0)
	v_mul_f64 v[20:21], v[6:7], v[181:182]
	v_mul_f64 v[26:27], v[8:9], v[181:182]
	v_fma_f64 v[22:23], v[4:5], v[34:35], v[22:23]
	v_fma_f64 v[28:29], v[2:3], v[34:35], -v[28:29]
	ds_load_b128 v[2:5], v1 offset:1808
	v_add_f64 v[16:17], v[16:17], v[18:19]
	v_add_f64 v[14:15], v[14:15], v[24:25]
	s_waitcnt vmcnt(1) lgkmcnt(0)
	v_mul_f64 v[18:19], v[2:3], v[40:41]
	v_mul_f64 v[24:25], v[4:5], v[40:41]
	v_fma_f64 v[8:9], v[8:9], v[179:180], v[20:21]
	v_fma_f64 v[6:7], v[6:7], v[179:180], -v[26:27]
	v_add_f64 v[16:17], v[16:17], v[22:23]
	v_add_f64 v[14:15], v[14:15], v[28:29]
	v_fma_f64 v[4:5], v[4:5], v[38:39], v[18:19]
	v_fma_f64 v[2:3], v[2:3], v[38:39], -v[24:25]
	s_delay_alu instid0(VALU_DEP_4) | instskip(NEXT) | instid1(VALU_DEP_4)
	v_add_f64 v[8:9], v[16:17], v[8:9]
	v_add_f64 v[6:7], v[14:15], v[6:7]
	s_delay_alu instid0(VALU_DEP_2) | instskip(NEXT) | instid1(VALU_DEP_2)
	v_add_f64 v[4:5], v[8:9], v[4:5]
	v_add_f64 v[2:3], v[6:7], v[2:3]
	s_waitcnt vmcnt(0)
	s_delay_alu instid0(VALU_DEP_2) | instskip(NEXT) | instid1(VALU_DEP_2)
	v_add_f64 v[4:5], v[12:13], -v[4:5]
	v_add_f64 v[2:3], v[10:11], -v[2:3]
	scratch_store_b128 off, v[2:5], off offset:80
	v_cmpx_lt_u32_e32 4, v156
	s_cbranch_execz .LBB56_347
; %bb.346:
	scratch_load_b128 v[5:8], v209, off
	v_mov_b32_e32 v2, v1
	v_mov_b32_e32 v3, v1
	;; [unrolled: 1-line block ×3, first 2 shown]
	scratch_store_b128 off, v[1:4], off offset:64
	s_waitcnt vmcnt(0)
	ds_store_b128 v213, v[5:8]
.LBB56_347:
	s_or_b32 exec_lo, exec_lo, s2
	s_waitcnt lgkmcnt(0)
	s_waitcnt_vscnt null, 0x0
	s_barrier
	buffer_gl0_inv
	s_clause 0x7
	scratch_load_b128 v[2:5], off, off offset:80
	scratch_load_b128 v[6:9], off, off offset:96
	;; [unrolled: 1-line block ×8, first 2 shown]
	ds_load_b128 v[38:41], v1 offset:992
	ds_load_b128 v[175:178], v1 offset:1008
	s_clause 0x1
	scratch_load_b128 v[34:37], off, off offset:208
	scratch_load_b128 v[179:182], off, off offset:224
	s_mov_b32 s2, exec_lo
	s_waitcnt vmcnt(9) lgkmcnt(1)
	v_mul_f64 v[167:168], v[40:41], v[4:5]
	v_mul_f64 v[4:5], v[38:39], v[4:5]
	s_waitcnt vmcnt(8) lgkmcnt(0)
	v_mul_f64 v[171:172], v[175:176], v[8:9]
	v_mul_f64 v[8:9], v[177:178], v[8:9]
	s_delay_alu instid0(VALU_DEP_4) | instskip(NEXT) | instid1(VALU_DEP_4)
	v_fma_f64 v[167:168], v[38:39], v[2:3], -v[167:168]
	v_fma_f64 v[183:184], v[40:41], v[2:3], v[4:5]
	ds_load_b128 v[2:5], v1 offset:1024
	scratch_load_b128 v[38:41], off, off offset:240
	v_fma_f64 v[171:172], v[177:178], v[6:7], v[171:172]
	v_fma_f64 v[187:188], v[175:176], v[6:7], -v[8:9]
	scratch_load_b128 v[175:178], off, off offset:256
	ds_load_b128 v[6:9], v1 offset:1040
	s_waitcnt vmcnt(9) lgkmcnt(1)
	v_mul_f64 v[185:186], v[2:3], v[12:13]
	v_mul_f64 v[12:13], v[4:5], v[12:13]
	s_waitcnt vmcnt(8) lgkmcnt(0)
	v_mul_f64 v[189:190], v[6:7], v[16:17]
	v_mul_f64 v[16:17], v[8:9], v[16:17]
	v_add_f64 v[167:168], v[167:168], 0
	v_add_f64 v[183:184], v[183:184], 0
	v_fma_f64 v[185:186], v[4:5], v[10:11], v[185:186]
	v_fma_f64 v[191:192], v[2:3], v[10:11], -v[12:13]
	ds_load_b128 v[2:5], v1 offset:1056
	scratch_load_b128 v[10:13], off, off offset:272
	v_add_f64 v[167:168], v[167:168], v[187:188]
	v_add_f64 v[171:172], v[183:184], v[171:172]
	v_fma_f64 v[187:188], v[8:9], v[14:15], v[189:190]
	v_fma_f64 v[189:190], v[6:7], v[14:15], -v[16:17]
	scratch_load_b128 v[14:17], off, off offset:288
	ds_load_b128 v[6:9], v1 offset:1072
	s_waitcnt vmcnt(9) lgkmcnt(1)
	v_mul_f64 v[183:184], v[2:3], v[20:21]
	v_mul_f64 v[20:21], v[4:5], v[20:21]
	v_add_f64 v[167:168], v[167:168], v[191:192]
	v_add_f64 v[171:172], v[171:172], v[185:186]
	s_waitcnt vmcnt(8) lgkmcnt(0)
	v_mul_f64 v[185:186], v[6:7], v[24:25]
	v_mul_f64 v[24:25], v[8:9], v[24:25]
	v_fma_f64 v[183:184], v[4:5], v[18:19], v[183:184]
	v_fma_f64 v[191:192], v[2:3], v[18:19], -v[20:21]
	ds_load_b128 v[2:5], v1 offset:1088
	scratch_load_b128 v[18:21], off, off offset:304
	v_add_f64 v[167:168], v[167:168], v[189:190]
	v_add_f64 v[171:172], v[171:172], v[187:188]
	v_fma_f64 v[185:186], v[8:9], v[22:23], v[185:186]
	v_fma_f64 v[189:190], v[6:7], v[22:23], -v[24:25]
	scratch_load_b128 v[22:25], off, off offset:320
	ds_load_b128 v[6:9], v1 offset:1104
	s_waitcnt vmcnt(9) lgkmcnt(1)
	v_mul_f64 v[187:188], v[2:3], v[28:29]
	v_mul_f64 v[28:29], v[4:5], v[28:29]
	v_add_f64 v[167:168], v[167:168], v[191:192]
	v_add_f64 v[171:172], v[171:172], v[183:184]
	s_waitcnt vmcnt(8) lgkmcnt(0)
	v_mul_f64 v[183:184], v[6:7], v[32:33]
	v_mul_f64 v[32:33], v[8:9], v[32:33]
	;; [unrolled: 18-line block ×16, first 2 shown]
	v_fma_f64 v[183:184], v[4:5], v[18:19], v[183:184]
	v_fma_f64 v[191:192], v[2:3], v[18:19], -v[20:21]
	ds_load_b128 v[2:5], v1 offset:1568
	scratch_load_b128 v[18:21], off, off offset:784
	v_add_f64 v[167:168], v[167:168], v[189:190]
	v_add_f64 v[171:172], v[171:172], v[187:188]
	v_fma_f64 v[185:186], v[8:9], v[22:23], v[185:186]
	v_fma_f64 v[189:190], v[6:7], v[22:23], -v[24:25]
	ds_load_b128 v[6:9], v1 offset:1584
	s_waitcnt vmcnt(8) lgkmcnt(1)
	v_mul_f64 v[187:188], v[2:3], v[28:29]
	v_mul_f64 v[28:29], v[4:5], v[28:29]
	scratch_load_b128 v[22:25], off, off offset:800
	v_add_f64 v[167:168], v[167:168], v[191:192]
	v_add_f64 v[171:172], v[171:172], v[183:184]
	s_waitcnt vmcnt(8) lgkmcnt(0)
	v_mul_f64 v[183:184], v[6:7], v[32:33]
	v_mul_f64 v[32:33], v[8:9], v[32:33]
	v_fma_f64 v[187:188], v[4:5], v[26:27], v[187:188]
	v_fma_f64 v[191:192], v[2:3], v[26:27], -v[28:29]
	ds_load_b128 v[2:5], v1 offset:1600
	scratch_load_b128 v[26:29], off, off offset:816
	v_add_f64 v[167:168], v[167:168], v[189:190]
	v_add_f64 v[171:172], v[171:172], v[185:186]
	v_fma_f64 v[183:184], v[8:9], v[30:31], v[183:184]
	v_fma_f64 v[189:190], v[6:7], v[30:31], -v[32:33]
	ds_load_b128 v[6:9], v1 offset:1616
	s_waitcnt vmcnt(8) lgkmcnt(1)
	v_mul_f64 v[185:186], v[2:3], v[36:37]
	v_mul_f64 v[36:37], v[4:5], v[36:37]
	scratch_load_b128 v[30:33], off, off offset:832
	v_add_f64 v[167:168], v[167:168], v[191:192]
	v_add_f64 v[171:172], v[171:172], v[187:188]
	s_waitcnt vmcnt(8) lgkmcnt(0)
	v_mul_f64 v[187:188], v[6:7], v[181:182]
	v_mul_f64 v[181:182], v[8:9], v[181:182]
	v_fma_f64 v[185:186], v[4:5], v[34:35], v[185:186]
	v_fma_f64 v[191:192], v[2:3], v[34:35], -v[36:37]
	scratch_load_b128 v[34:37], off, off offset:848
	ds_load_b128 v[2:5], v1 offset:1632
	v_add_f64 v[167:168], v[167:168], v[189:190]
	v_add_f64 v[171:172], v[171:172], v[183:184]
	v_fma_f64 v[187:188], v[8:9], v[179:180], v[187:188]
	v_fma_f64 v[189:190], v[6:7], v[179:180], -v[181:182]
	ds_load_b128 v[6:9], v1 offset:1648
	s_waitcnt vmcnt(8) lgkmcnt(1)
	v_mul_f64 v[183:184], v[2:3], v[40:41]
	v_mul_f64 v[40:41], v[4:5], v[40:41]
	scratch_load_b128 v[179:182], off, off offset:864
	v_add_f64 v[167:168], v[167:168], v[191:192]
	v_add_f64 v[171:172], v[171:172], v[185:186]
	s_waitcnt vmcnt(8) lgkmcnt(0)
	v_mul_f64 v[185:186], v[6:7], v[177:178]
	v_mul_f64 v[177:178], v[8:9], v[177:178]
	v_fma_f64 v[183:184], v[4:5], v[38:39], v[183:184]
	v_fma_f64 v[191:192], v[2:3], v[38:39], -v[40:41]
	scratch_load_b128 v[38:41], off, off offset:880
	ds_load_b128 v[2:5], v1 offset:1664
	v_add_f64 v[167:168], v[167:168], v[189:190]
	v_add_f64 v[171:172], v[171:172], v[187:188]
	v_fma_f64 v[185:186], v[8:9], v[175:176], v[185:186]
	v_fma_f64 v[189:190], v[6:7], v[175:176], -v[177:178]
	ds_load_b128 v[6:9], v1 offset:1680
	s_waitcnt vmcnt(8) lgkmcnt(1)
	v_mul_f64 v[187:188], v[2:3], v[12:13]
	v_mul_f64 v[12:13], v[4:5], v[12:13]
	scratch_load_b128 v[175:178], off, off offset:896
	v_add_f64 v[167:168], v[167:168], v[191:192]
	v_add_f64 v[171:172], v[171:172], v[183:184]
	s_waitcnt vmcnt(8) lgkmcnt(0)
	v_mul_f64 v[183:184], v[6:7], v[16:17]
	v_mul_f64 v[16:17], v[8:9], v[16:17]
	v_fma_f64 v[187:188], v[4:5], v[10:11], v[187:188]
	v_fma_f64 v[10:11], v[2:3], v[10:11], -v[12:13]
	ds_load_b128 v[2:5], v1 offset:1696
	v_add_f64 v[12:13], v[167:168], v[189:190]
	v_add_f64 v[167:168], v[171:172], v[185:186]
	v_fma_f64 v[183:184], v[8:9], v[14:15], v[183:184]
	v_fma_f64 v[14:15], v[6:7], v[14:15], -v[16:17]
	ds_load_b128 v[6:9], v1 offset:1712
	s_waitcnt vmcnt(7) lgkmcnt(1)
	v_mul_f64 v[171:172], v[2:3], v[20:21]
	v_mul_f64 v[20:21], v[4:5], v[20:21]
	v_add_f64 v[10:11], v[12:13], v[10:11]
	v_add_f64 v[12:13], v[167:168], v[187:188]
	s_delay_alu instid0(VALU_DEP_4) | instskip(NEXT) | instid1(VALU_DEP_4)
	v_fma_f64 v[167:168], v[4:5], v[18:19], v[171:172]
	v_fma_f64 v[18:19], v[2:3], v[18:19], -v[20:21]
	ds_load_b128 v[2:5], v1 offset:1728
	v_add_f64 v[14:15], v[10:11], v[14:15]
	v_add_f64 v[20:21], v[12:13], v[183:184]
	scratch_load_b128 v[10:13], off, off offset:64
	s_waitcnt vmcnt(7) lgkmcnt(1)
	v_mul_f64 v[16:17], v[6:7], v[24:25]
	v_mul_f64 v[24:25], v[8:9], v[24:25]
	v_add_f64 v[14:15], v[14:15], v[18:19]
	v_add_f64 v[18:19], v[20:21], v[167:168]
	s_delay_alu instid0(VALU_DEP_4) | instskip(NEXT) | instid1(VALU_DEP_4)
	v_fma_f64 v[16:17], v[8:9], v[22:23], v[16:17]
	v_fma_f64 v[22:23], v[6:7], v[22:23], -v[24:25]
	ds_load_b128 v[6:9], v1 offset:1744
	s_waitcnt vmcnt(6) lgkmcnt(1)
	v_mul_f64 v[171:172], v[2:3], v[28:29]
	v_mul_f64 v[28:29], v[4:5], v[28:29]
	s_waitcnt vmcnt(5) lgkmcnt(0)
	v_mul_f64 v[20:21], v[6:7], v[32:33]
	v_mul_f64 v[24:25], v[8:9], v[32:33]
	v_add_f64 v[16:17], v[18:19], v[16:17]
	v_add_f64 v[14:15], v[14:15], v[22:23]
	v_fma_f64 v[32:33], v[4:5], v[26:27], v[171:172]
	v_fma_f64 v[26:27], v[2:3], v[26:27], -v[28:29]
	ds_load_b128 v[2:5], v1 offset:1760
	v_fma_f64 v[20:21], v[8:9], v[30:31], v[20:21]
	v_fma_f64 v[24:25], v[6:7], v[30:31], -v[24:25]
	ds_load_b128 v[6:9], v1 offset:1776
	s_waitcnt vmcnt(4) lgkmcnt(1)
	v_mul_f64 v[18:19], v[2:3], v[36:37]
	v_mul_f64 v[22:23], v[4:5], v[36:37]
	v_add_f64 v[16:17], v[16:17], v[32:33]
	v_add_f64 v[14:15], v[14:15], v[26:27]
	s_waitcnt vmcnt(3) lgkmcnt(0)
	v_mul_f64 v[26:27], v[6:7], v[181:182]
	v_mul_f64 v[28:29], v[8:9], v[181:182]
	v_fma_f64 v[18:19], v[4:5], v[34:35], v[18:19]
	v_fma_f64 v[22:23], v[2:3], v[34:35], -v[22:23]
	ds_load_b128 v[2:5], v1 offset:1792
	v_add_f64 v[16:17], v[16:17], v[20:21]
	v_add_f64 v[14:15], v[14:15], v[24:25]
	v_fma_f64 v[26:27], v[8:9], v[179:180], v[26:27]
	v_fma_f64 v[28:29], v[6:7], v[179:180], -v[28:29]
	ds_load_b128 v[6:9], v1 offset:1808
	s_waitcnt vmcnt(2) lgkmcnt(1)
	v_mul_f64 v[20:21], v[2:3], v[40:41]
	v_mul_f64 v[24:25], v[4:5], v[40:41]
	v_add_f64 v[16:17], v[16:17], v[18:19]
	v_add_f64 v[14:15], v[14:15], v[22:23]
	s_waitcnt vmcnt(1) lgkmcnt(0)
	v_mul_f64 v[18:19], v[6:7], v[177:178]
	v_mul_f64 v[22:23], v[8:9], v[177:178]
	v_fma_f64 v[4:5], v[4:5], v[38:39], v[20:21]
	v_fma_f64 v[1:2], v[2:3], v[38:39], -v[24:25]
	v_add_f64 v[16:17], v[16:17], v[26:27]
	v_add_f64 v[14:15], v[14:15], v[28:29]
	v_fma_f64 v[8:9], v[8:9], v[175:176], v[18:19]
	v_fma_f64 v[6:7], v[6:7], v[175:176], -v[22:23]
	s_delay_alu instid0(VALU_DEP_4) | instskip(NEXT) | instid1(VALU_DEP_4)
	v_add_f64 v[3:4], v[16:17], v[4:5]
	v_add_f64 v[1:2], v[14:15], v[1:2]
	s_delay_alu instid0(VALU_DEP_2) | instskip(NEXT) | instid1(VALU_DEP_2)
	v_add_f64 v[3:4], v[3:4], v[8:9]
	v_add_f64 v[1:2], v[1:2], v[6:7]
	s_waitcnt vmcnt(0)
	s_delay_alu instid0(VALU_DEP_2) | instskip(NEXT) | instid1(VALU_DEP_2)
	v_add_f64 v[3:4], v[12:13], -v[3:4]
	v_add_f64 v[1:2], v[10:11], -v[1:2]
	scratch_store_b128 off, v[1:4], off offset:64
	v_cmpx_lt_u32_e32 3, v156
	s_cbranch_execz .LBB56_349
; %bb.348:
	scratch_load_b128 v[1:4], v210, off
	v_mov_b32_e32 v5, 0
	s_delay_alu instid0(VALU_DEP_1)
	v_mov_b32_e32 v6, v5
	v_mov_b32_e32 v7, v5
	;; [unrolled: 1-line block ×3, first 2 shown]
	scratch_store_b128 off, v[5:8], off offset:48
	s_waitcnt vmcnt(0)
	ds_store_b128 v213, v[1:4]
.LBB56_349:
	s_or_b32 exec_lo, exec_lo, s2
	s_waitcnt lgkmcnt(0)
	s_waitcnt_vscnt null, 0x0
	s_barrier
	buffer_gl0_inv
	s_clause 0x7
	scratch_load_b128 v[2:5], off, off offset:64
	scratch_load_b128 v[6:9], off, off offset:80
	;; [unrolled: 1-line block ×8, first 2 shown]
	v_mov_b32_e32 v1, 0
	s_clause 0x1
	scratch_load_b128 v[34:37], off, off offset:192
	scratch_load_b128 v[179:182], off, off offset:208
	s_mov_b32 s2, exec_lo
	ds_load_b128 v[38:41], v1 offset:976
	ds_load_b128 v[175:178], v1 offset:992
	s_waitcnt vmcnt(9) lgkmcnt(1)
	v_mul_f64 v[167:168], v[40:41], v[4:5]
	v_mul_f64 v[4:5], v[38:39], v[4:5]
	s_waitcnt vmcnt(8) lgkmcnt(0)
	v_mul_f64 v[171:172], v[175:176], v[8:9]
	v_mul_f64 v[8:9], v[177:178], v[8:9]
	s_delay_alu instid0(VALU_DEP_4) | instskip(NEXT) | instid1(VALU_DEP_4)
	v_fma_f64 v[167:168], v[38:39], v[2:3], -v[167:168]
	v_fma_f64 v[183:184], v[40:41], v[2:3], v[4:5]
	ds_load_b128 v[2:5], v1 offset:1008
	scratch_load_b128 v[38:41], off, off offset:224
	v_fma_f64 v[171:172], v[177:178], v[6:7], v[171:172]
	v_fma_f64 v[187:188], v[175:176], v[6:7], -v[8:9]
	scratch_load_b128 v[175:178], off, off offset:240
	ds_load_b128 v[6:9], v1 offset:1024
	s_waitcnt vmcnt(9) lgkmcnt(1)
	v_mul_f64 v[185:186], v[2:3], v[12:13]
	v_mul_f64 v[12:13], v[4:5], v[12:13]
	s_waitcnt vmcnt(8) lgkmcnt(0)
	v_mul_f64 v[189:190], v[6:7], v[16:17]
	v_mul_f64 v[16:17], v[8:9], v[16:17]
	v_add_f64 v[167:168], v[167:168], 0
	v_add_f64 v[183:184], v[183:184], 0
	v_fma_f64 v[185:186], v[4:5], v[10:11], v[185:186]
	v_fma_f64 v[191:192], v[2:3], v[10:11], -v[12:13]
	ds_load_b128 v[2:5], v1 offset:1040
	scratch_load_b128 v[10:13], off, off offset:256
	v_add_f64 v[167:168], v[167:168], v[187:188]
	v_add_f64 v[171:172], v[183:184], v[171:172]
	v_fma_f64 v[187:188], v[8:9], v[14:15], v[189:190]
	v_fma_f64 v[189:190], v[6:7], v[14:15], -v[16:17]
	scratch_load_b128 v[14:17], off, off offset:272
	ds_load_b128 v[6:9], v1 offset:1056
	s_waitcnt vmcnt(9) lgkmcnt(1)
	v_mul_f64 v[183:184], v[2:3], v[20:21]
	v_mul_f64 v[20:21], v[4:5], v[20:21]
	v_add_f64 v[167:168], v[167:168], v[191:192]
	v_add_f64 v[171:172], v[171:172], v[185:186]
	s_waitcnt vmcnt(8) lgkmcnt(0)
	v_mul_f64 v[185:186], v[6:7], v[24:25]
	v_mul_f64 v[24:25], v[8:9], v[24:25]
	v_fma_f64 v[183:184], v[4:5], v[18:19], v[183:184]
	v_fma_f64 v[191:192], v[2:3], v[18:19], -v[20:21]
	ds_load_b128 v[2:5], v1 offset:1072
	scratch_load_b128 v[18:21], off, off offset:288
	v_add_f64 v[167:168], v[167:168], v[189:190]
	v_add_f64 v[171:172], v[171:172], v[187:188]
	v_fma_f64 v[185:186], v[8:9], v[22:23], v[185:186]
	v_fma_f64 v[189:190], v[6:7], v[22:23], -v[24:25]
	scratch_load_b128 v[22:25], off, off offset:304
	ds_load_b128 v[6:9], v1 offset:1088
	s_waitcnt vmcnt(9) lgkmcnt(1)
	v_mul_f64 v[187:188], v[2:3], v[28:29]
	v_mul_f64 v[28:29], v[4:5], v[28:29]
	v_add_f64 v[167:168], v[167:168], v[191:192]
	v_add_f64 v[171:172], v[171:172], v[183:184]
	s_waitcnt vmcnt(8) lgkmcnt(0)
	v_mul_f64 v[183:184], v[6:7], v[32:33]
	v_mul_f64 v[32:33], v[8:9], v[32:33]
	;; [unrolled: 18-line block ×17, first 2 shown]
	v_fma_f64 v[187:188], v[4:5], v[26:27], v[187:188]
	v_fma_f64 v[191:192], v[2:3], v[26:27], -v[28:29]
	ds_load_b128 v[2:5], v1 offset:1584
	scratch_load_b128 v[26:29], off, off offset:800
	v_add_f64 v[167:168], v[167:168], v[189:190]
	v_add_f64 v[171:172], v[171:172], v[185:186]
	v_fma_f64 v[183:184], v[8:9], v[30:31], v[183:184]
	v_fma_f64 v[189:190], v[6:7], v[30:31], -v[32:33]
	ds_load_b128 v[6:9], v1 offset:1600
	s_waitcnt vmcnt(8) lgkmcnt(1)
	v_mul_f64 v[185:186], v[2:3], v[36:37]
	v_mul_f64 v[36:37], v[4:5], v[36:37]
	scratch_load_b128 v[30:33], off, off offset:816
	v_add_f64 v[167:168], v[167:168], v[191:192]
	v_add_f64 v[171:172], v[171:172], v[187:188]
	s_waitcnt vmcnt(8) lgkmcnt(0)
	v_mul_f64 v[187:188], v[6:7], v[181:182]
	v_mul_f64 v[181:182], v[8:9], v[181:182]
	v_fma_f64 v[185:186], v[4:5], v[34:35], v[185:186]
	v_fma_f64 v[191:192], v[2:3], v[34:35], -v[36:37]
	scratch_load_b128 v[34:37], off, off offset:832
	ds_load_b128 v[2:5], v1 offset:1616
	v_add_f64 v[167:168], v[167:168], v[189:190]
	v_add_f64 v[171:172], v[171:172], v[183:184]
	v_fma_f64 v[187:188], v[8:9], v[179:180], v[187:188]
	v_fma_f64 v[189:190], v[6:7], v[179:180], -v[181:182]
	ds_load_b128 v[6:9], v1 offset:1632
	s_waitcnt vmcnt(8) lgkmcnt(1)
	v_mul_f64 v[183:184], v[2:3], v[40:41]
	v_mul_f64 v[40:41], v[4:5], v[40:41]
	scratch_load_b128 v[179:182], off, off offset:848
	v_add_f64 v[167:168], v[167:168], v[191:192]
	v_add_f64 v[171:172], v[171:172], v[185:186]
	s_waitcnt vmcnt(8) lgkmcnt(0)
	v_mul_f64 v[185:186], v[6:7], v[177:178]
	v_mul_f64 v[177:178], v[8:9], v[177:178]
	v_fma_f64 v[183:184], v[4:5], v[38:39], v[183:184]
	v_fma_f64 v[191:192], v[2:3], v[38:39], -v[40:41]
	scratch_load_b128 v[38:41], off, off offset:864
	ds_load_b128 v[2:5], v1 offset:1648
	;; [unrolled: 18-line block ×3, first 2 shown]
	v_add_f64 v[167:168], v[167:168], v[189:190]
	v_add_f64 v[171:172], v[171:172], v[185:186]
	v_fma_f64 v[183:184], v[8:9], v[14:15], v[183:184]
	v_fma_f64 v[14:15], v[6:7], v[14:15], -v[16:17]
	ds_load_b128 v[6:9], v1 offset:1696
	s_waitcnt vmcnt(8) lgkmcnt(1)
	v_mul_f64 v[185:186], v[2:3], v[20:21]
	v_mul_f64 v[20:21], v[4:5], v[20:21]
	v_add_f64 v[16:17], v[167:168], v[191:192]
	v_add_f64 v[167:168], v[171:172], v[187:188]
	s_waitcnt vmcnt(7) lgkmcnt(0)
	v_mul_f64 v[171:172], v[6:7], v[24:25]
	v_mul_f64 v[24:25], v[8:9], v[24:25]
	v_fma_f64 v[185:186], v[4:5], v[18:19], v[185:186]
	v_fma_f64 v[18:19], v[2:3], v[18:19], -v[20:21]
	ds_load_b128 v[2:5], v1 offset:1712
	v_add_f64 v[14:15], v[16:17], v[14:15]
	v_add_f64 v[16:17], v[167:168], v[183:184]
	v_fma_f64 v[167:168], v[8:9], v[22:23], v[171:172]
	v_fma_f64 v[22:23], v[6:7], v[22:23], -v[24:25]
	ds_load_b128 v[6:9], v1 offset:1728
	s_waitcnt vmcnt(5) lgkmcnt(0)
	v_mul_f64 v[171:172], v[6:7], v[32:33]
	v_mul_f64 v[32:33], v[8:9], v[32:33]
	v_add_f64 v[18:19], v[14:15], v[18:19]
	v_add_f64 v[24:25], v[16:17], v[185:186]
	scratch_load_b128 v[14:17], off, off offset:48
	v_mul_f64 v[20:21], v[2:3], v[28:29]
	v_mul_f64 v[28:29], v[4:5], v[28:29]
	v_add_f64 v[18:19], v[18:19], v[22:23]
	v_add_f64 v[22:23], v[24:25], v[167:168]
	s_delay_alu instid0(VALU_DEP_4) | instskip(NEXT) | instid1(VALU_DEP_4)
	v_fma_f64 v[20:21], v[4:5], v[26:27], v[20:21]
	v_fma_f64 v[26:27], v[2:3], v[26:27], -v[28:29]
	ds_load_b128 v[2:5], v1 offset:1744
	s_waitcnt vmcnt(5) lgkmcnt(0)
	v_mul_f64 v[24:25], v[2:3], v[36:37]
	v_mul_f64 v[28:29], v[4:5], v[36:37]
	v_fma_f64 v[36:37], v[8:9], v[30:31], v[171:172]
	v_fma_f64 v[30:31], v[6:7], v[30:31], -v[32:33]
	ds_load_b128 v[6:9], v1 offset:1760
	v_add_f64 v[20:21], v[22:23], v[20:21]
	v_add_f64 v[18:19], v[18:19], v[26:27]
	v_fma_f64 v[24:25], v[4:5], v[34:35], v[24:25]
	v_fma_f64 v[28:29], v[2:3], v[34:35], -v[28:29]
	ds_load_b128 v[2:5], v1 offset:1776
	s_waitcnt vmcnt(4) lgkmcnt(1)
	v_mul_f64 v[22:23], v[6:7], v[181:182]
	v_mul_f64 v[26:27], v[8:9], v[181:182]
	v_add_f64 v[20:21], v[20:21], v[36:37]
	v_add_f64 v[18:19], v[18:19], v[30:31]
	s_waitcnt vmcnt(3) lgkmcnt(0)
	v_mul_f64 v[30:31], v[2:3], v[40:41]
	v_mul_f64 v[32:33], v[4:5], v[40:41]
	v_fma_f64 v[22:23], v[8:9], v[179:180], v[22:23]
	v_fma_f64 v[26:27], v[6:7], v[179:180], -v[26:27]
	ds_load_b128 v[6:9], v1 offset:1792
	v_add_f64 v[20:21], v[20:21], v[24:25]
	v_add_f64 v[18:19], v[18:19], v[28:29]
	v_fma_f64 v[30:31], v[4:5], v[38:39], v[30:31]
	v_fma_f64 v[32:33], v[2:3], v[38:39], -v[32:33]
	ds_load_b128 v[2:5], v1 offset:1808
	s_waitcnt vmcnt(2) lgkmcnt(1)
	v_mul_f64 v[24:25], v[6:7], v[177:178]
	v_mul_f64 v[28:29], v[8:9], v[177:178]
	v_add_f64 v[20:21], v[20:21], v[22:23]
	v_add_f64 v[18:19], v[18:19], v[26:27]
	s_waitcnt vmcnt(1) lgkmcnt(0)
	v_mul_f64 v[22:23], v[2:3], v[12:13]
	v_mul_f64 v[12:13], v[4:5], v[12:13]
	v_fma_f64 v[8:9], v[8:9], v[175:176], v[24:25]
	v_fma_f64 v[6:7], v[6:7], v[175:176], -v[28:29]
	v_add_f64 v[20:21], v[20:21], v[30:31]
	v_add_f64 v[18:19], v[18:19], v[32:33]
	v_fma_f64 v[4:5], v[4:5], v[10:11], v[22:23]
	v_fma_f64 v[2:3], v[2:3], v[10:11], -v[12:13]
	s_delay_alu instid0(VALU_DEP_4) | instskip(NEXT) | instid1(VALU_DEP_4)
	v_add_f64 v[8:9], v[20:21], v[8:9]
	v_add_f64 v[6:7], v[18:19], v[6:7]
	s_delay_alu instid0(VALU_DEP_2) | instskip(NEXT) | instid1(VALU_DEP_2)
	v_add_f64 v[4:5], v[8:9], v[4:5]
	v_add_f64 v[2:3], v[6:7], v[2:3]
	s_waitcnt vmcnt(0)
	s_delay_alu instid0(VALU_DEP_2) | instskip(NEXT) | instid1(VALU_DEP_2)
	v_add_f64 v[4:5], v[16:17], -v[4:5]
	v_add_f64 v[2:3], v[14:15], -v[2:3]
	scratch_store_b128 off, v[2:5], off offset:48
	v_cmpx_lt_u32_e32 2, v156
	s_cbranch_execz .LBB56_351
; %bb.350:
	scratch_load_b128 v[5:8], v211, off
	v_mov_b32_e32 v2, v1
	v_mov_b32_e32 v3, v1
	;; [unrolled: 1-line block ×3, first 2 shown]
	scratch_store_b128 off, v[1:4], off offset:32
	s_waitcnt vmcnt(0)
	ds_store_b128 v213, v[5:8]
.LBB56_351:
	s_or_b32 exec_lo, exec_lo, s2
	s_waitcnt lgkmcnt(0)
	s_waitcnt_vscnt null, 0x0
	s_barrier
	buffer_gl0_inv
	s_clause 0x7
	scratch_load_b128 v[2:5], off, off offset:48
	scratch_load_b128 v[6:9], off, off offset:64
	;; [unrolled: 1-line block ×8, first 2 shown]
	ds_load_b128 v[38:41], v1 offset:960
	ds_load_b128 v[175:178], v1 offset:976
	s_clause 0x1
	scratch_load_b128 v[34:37], off, off offset:176
	scratch_load_b128 v[179:182], off, off offset:192
	s_mov_b32 s2, exec_lo
	s_waitcnt vmcnt(9) lgkmcnt(1)
	v_mul_f64 v[167:168], v[40:41], v[4:5]
	v_mul_f64 v[4:5], v[38:39], v[4:5]
	s_waitcnt vmcnt(8) lgkmcnt(0)
	v_mul_f64 v[171:172], v[175:176], v[8:9]
	v_mul_f64 v[8:9], v[177:178], v[8:9]
	s_delay_alu instid0(VALU_DEP_4) | instskip(NEXT) | instid1(VALU_DEP_4)
	v_fma_f64 v[167:168], v[38:39], v[2:3], -v[167:168]
	v_fma_f64 v[183:184], v[40:41], v[2:3], v[4:5]
	ds_load_b128 v[2:5], v1 offset:992
	scratch_load_b128 v[38:41], off, off offset:208
	v_fma_f64 v[171:172], v[177:178], v[6:7], v[171:172]
	v_fma_f64 v[187:188], v[175:176], v[6:7], -v[8:9]
	scratch_load_b128 v[175:178], off, off offset:224
	ds_load_b128 v[6:9], v1 offset:1008
	s_waitcnt vmcnt(9) lgkmcnt(1)
	v_mul_f64 v[185:186], v[2:3], v[12:13]
	v_mul_f64 v[12:13], v[4:5], v[12:13]
	s_waitcnt vmcnt(8) lgkmcnt(0)
	v_mul_f64 v[189:190], v[6:7], v[16:17]
	v_mul_f64 v[16:17], v[8:9], v[16:17]
	v_add_f64 v[167:168], v[167:168], 0
	v_add_f64 v[183:184], v[183:184], 0
	v_fma_f64 v[185:186], v[4:5], v[10:11], v[185:186]
	v_fma_f64 v[191:192], v[2:3], v[10:11], -v[12:13]
	ds_load_b128 v[2:5], v1 offset:1024
	scratch_load_b128 v[10:13], off, off offset:240
	v_add_f64 v[167:168], v[167:168], v[187:188]
	v_add_f64 v[171:172], v[183:184], v[171:172]
	v_fma_f64 v[187:188], v[8:9], v[14:15], v[189:190]
	v_fma_f64 v[189:190], v[6:7], v[14:15], -v[16:17]
	scratch_load_b128 v[14:17], off, off offset:256
	ds_load_b128 v[6:9], v1 offset:1040
	s_waitcnt vmcnt(9) lgkmcnt(1)
	v_mul_f64 v[183:184], v[2:3], v[20:21]
	v_mul_f64 v[20:21], v[4:5], v[20:21]
	v_add_f64 v[167:168], v[167:168], v[191:192]
	v_add_f64 v[171:172], v[171:172], v[185:186]
	s_waitcnt vmcnt(8) lgkmcnt(0)
	v_mul_f64 v[185:186], v[6:7], v[24:25]
	v_mul_f64 v[24:25], v[8:9], v[24:25]
	v_fma_f64 v[183:184], v[4:5], v[18:19], v[183:184]
	v_fma_f64 v[191:192], v[2:3], v[18:19], -v[20:21]
	ds_load_b128 v[2:5], v1 offset:1056
	scratch_load_b128 v[18:21], off, off offset:272
	v_add_f64 v[167:168], v[167:168], v[189:190]
	v_add_f64 v[171:172], v[171:172], v[187:188]
	v_fma_f64 v[185:186], v[8:9], v[22:23], v[185:186]
	v_fma_f64 v[189:190], v[6:7], v[22:23], -v[24:25]
	scratch_load_b128 v[22:25], off, off offset:288
	ds_load_b128 v[6:9], v1 offset:1072
	s_waitcnt vmcnt(9) lgkmcnt(1)
	v_mul_f64 v[187:188], v[2:3], v[28:29]
	v_mul_f64 v[28:29], v[4:5], v[28:29]
	v_add_f64 v[167:168], v[167:168], v[191:192]
	v_add_f64 v[171:172], v[171:172], v[183:184]
	s_waitcnt vmcnt(8) lgkmcnt(0)
	v_mul_f64 v[183:184], v[6:7], v[32:33]
	v_mul_f64 v[32:33], v[8:9], v[32:33]
	;; [unrolled: 18-line block ×17, first 2 shown]
	v_fma_f64 v[187:188], v[4:5], v[26:27], v[187:188]
	v_fma_f64 v[191:192], v[2:3], v[26:27], -v[28:29]
	ds_load_b128 v[2:5], v1 offset:1568
	scratch_load_b128 v[26:29], off, off offset:784
	v_add_f64 v[167:168], v[167:168], v[189:190]
	v_add_f64 v[171:172], v[171:172], v[185:186]
	v_fma_f64 v[183:184], v[8:9], v[30:31], v[183:184]
	v_fma_f64 v[189:190], v[6:7], v[30:31], -v[32:33]
	ds_load_b128 v[6:9], v1 offset:1584
	s_waitcnt vmcnt(8) lgkmcnt(1)
	v_mul_f64 v[185:186], v[2:3], v[36:37]
	v_mul_f64 v[36:37], v[4:5], v[36:37]
	scratch_load_b128 v[30:33], off, off offset:800
	v_add_f64 v[167:168], v[167:168], v[191:192]
	v_add_f64 v[171:172], v[171:172], v[187:188]
	s_waitcnt vmcnt(8) lgkmcnt(0)
	v_mul_f64 v[187:188], v[6:7], v[181:182]
	v_mul_f64 v[181:182], v[8:9], v[181:182]
	v_fma_f64 v[185:186], v[4:5], v[34:35], v[185:186]
	v_fma_f64 v[191:192], v[2:3], v[34:35], -v[36:37]
	ds_load_b128 v[2:5], v1 offset:1600
	scratch_load_b128 v[34:37], off, off offset:816
	v_add_f64 v[167:168], v[167:168], v[189:190]
	v_add_f64 v[171:172], v[171:172], v[183:184]
	v_fma_f64 v[187:188], v[8:9], v[179:180], v[187:188]
	v_fma_f64 v[189:190], v[6:7], v[179:180], -v[181:182]
	ds_load_b128 v[6:9], v1 offset:1616
	s_waitcnt vmcnt(8) lgkmcnt(1)
	v_mul_f64 v[183:184], v[2:3], v[40:41]
	v_mul_f64 v[40:41], v[4:5], v[40:41]
	scratch_load_b128 v[179:182], off, off offset:832
	v_add_f64 v[167:168], v[167:168], v[191:192]
	v_add_f64 v[171:172], v[171:172], v[185:186]
	s_waitcnt vmcnt(8) lgkmcnt(0)
	v_mul_f64 v[185:186], v[6:7], v[177:178]
	v_mul_f64 v[177:178], v[8:9], v[177:178]
	v_fma_f64 v[183:184], v[4:5], v[38:39], v[183:184]
	v_fma_f64 v[191:192], v[2:3], v[38:39], -v[40:41]
	scratch_load_b128 v[38:41], off, off offset:848
	ds_load_b128 v[2:5], v1 offset:1632
	v_add_f64 v[167:168], v[167:168], v[189:190]
	v_add_f64 v[171:172], v[171:172], v[187:188]
	v_fma_f64 v[185:186], v[8:9], v[175:176], v[185:186]
	v_fma_f64 v[189:190], v[6:7], v[175:176], -v[177:178]
	ds_load_b128 v[6:9], v1 offset:1648
	s_waitcnt vmcnt(8) lgkmcnt(1)
	v_mul_f64 v[187:188], v[2:3], v[12:13]
	v_mul_f64 v[12:13], v[4:5], v[12:13]
	scratch_load_b128 v[175:178], off, off offset:864
	v_add_f64 v[167:168], v[167:168], v[191:192]
	v_add_f64 v[171:172], v[171:172], v[183:184]
	s_waitcnt vmcnt(8) lgkmcnt(0)
	v_mul_f64 v[183:184], v[6:7], v[16:17]
	v_mul_f64 v[16:17], v[8:9], v[16:17]
	v_fma_f64 v[187:188], v[4:5], v[10:11], v[187:188]
	v_fma_f64 v[191:192], v[2:3], v[10:11], -v[12:13]
	scratch_load_b128 v[10:13], off, off offset:880
	ds_load_b128 v[2:5], v1 offset:1664
	v_add_f64 v[167:168], v[167:168], v[189:190]
	v_add_f64 v[171:172], v[171:172], v[185:186]
	v_fma_f64 v[183:184], v[8:9], v[14:15], v[183:184]
	v_fma_f64 v[189:190], v[6:7], v[14:15], -v[16:17]
	ds_load_b128 v[6:9], v1 offset:1680
	s_waitcnt vmcnt(8) lgkmcnt(1)
	v_mul_f64 v[185:186], v[2:3], v[20:21]
	v_mul_f64 v[20:21], v[4:5], v[20:21]
	scratch_load_b128 v[14:17], off, off offset:896
	v_add_f64 v[167:168], v[167:168], v[191:192]
	v_add_f64 v[171:172], v[171:172], v[187:188]
	s_waitcnt vmcnt(8) lgkmcnt(0)
	v_mul_f64 v[187:188], v[6:7], v[24:25]
	v_mul_f64 v[24:25], v[8:9], v[24:25]
	v_fma_f64 v[185:186], v[4:5], v[18:19], v[185:186]
	v_fma_f64 v[18:19], v[2:3], v[18:19], -v[20:21]
	ds_load_b128 v[2:5], v1 offset:1696
	v_add_f64 v[20:21], v[167:168], v[189:190]
	v_add_f64 v[167:168], v[171:172], v[183:184]
	v_fma_f64 v[183:184], v[8:9], v[22:23], v[187:188]
	v_fma_f64 v[22:23], v[6:7], v[22:23], -v[24:25]
	ds_load_b128 v[6:9], v1 offset:1712
	s_waitcnt vmcnt(7) lgkmcnt(1)
	v_mul_f64 v[171:172], v[2:3], v[28:29]
	v_mul_f64 v[28:29], v[4:5], v[28:29]
	v_add_f64 v[18:19], v[20:21], v[18:19]
	v_add_f64 v[20:21], v[167:168], v[185:186]
	s_delay_alu instid0(VALU_DEP_4) | instskip(NEXT) | instid1(VALU_DEP_4)
	v_fma_f64 v[167:168], v[4:5], v[26:27], v[171:172]
	v_fma_f64 v[26:27], v[2:3], v[26:27], -v[28:29]
	ds_load_b128 v[2:5], v1 offset:1728
	v_add_f64 v[22:23], v[18:19], v[22:23]
	v_add_f64 v[28:29], v[20:21], v[183:184]
	scratch_load_b128 v[18:21], off, off offset:32
	s_waitcnt vmcnt(7) lgkmcnt(1)
	v_mul_f64 v[24:25], v[6:7], v[32:33]
	v_mul_f64 v[32:33], v[8:9], v[32:33]
	v_add_f64 v[22:23], v[22:23], v[26:27]
	v_add_f64 v[26:27], v[28:29], v[167:168]
	s_delay_alu instid0(VALU_DEP_4) | instskip(NEXT) | instid1(VALU_DEP_4)
	v_fma_f64 v[24:25], v[8:9], v[30:31], v[24:25]
	v_fma_f64 v[30:31], v[6:7], v[30:31], -v[32:33]
	ds_load_b128 v[6:9], v1 offset:1744
	s_waitcnt vmcnt(6) lgkmcnt(1)
	v_mul_f64 v[171:172], v[2:3], v[36:37]
	v_mul_f64 v[36:37], v[4:5], v[36:37]
	s_waitcnt vmcnt(5) lgkmcnt(0)
	v_mul_f64 v[28:29], v[6:7], v[181:182]
	v_mul_f64 v[32:33], v[8:9], v[181:182]
	v_add_f64 v[24:25], v[26:27], v[24:25]
	v_add_f64 v[22:23], v[22:23], v[30:31]
	v_fma_f64 v[167:168], v[4:5], v[34:35], v[171:172]
	v_fma_f64 v[34:35], v[2:3], v[34:35], -v[36:37]
	ds_load_b128 v[2:5], v1 offset:1760
	v_fma_f64 v[28:29], v[8:9], v[179:180], v[28:29]
	v_fma_f64 v[32:33], v[6:7], v[179:180], -v[32:33]
	ds_load_b128 v[6:9], v1 offset:1776
	s_waitcnt vmcnt(4) lgkmcnt(1)
	v_mul_f64 v[26:27], v[2:3], v[40:41]
	v_mul_f64 v[30:31], v[4:5], v[40:41]
	v_add_f64 v[24:25], v[24:25], v[167:168]
	v_add_f64 v[22:23], v[22:23], v[34:35]
	s_waitcnt vmcnt(3) lgkmcnt(0)
	v_mul_f64 v[34:35], v[6:7], v[177:178]
	v_mul_f64 v[36:37], v[8:9], v[177:178]
	v_fma_f64 v[26:27], v[4:5], v[38:39], v[26:27]
	v_fma_f64 v[30:31], v[2:3], v[38:39], -v[30:31]
	ds_load_b128 v[2:5], v1 offset:1792
	v_add_f64 v[24:25], v[24:25], v[28:29]
	v_add_f64 v[22:23], v[22:23], v[32:33]
	v_fma_f64 v[32:33], v[8:9], v[175:176], v[34:35]
	v_fma_f64 v[34:35], v[6:7], v[175:176], -v[36:37]
	ds_load_b128 v[6:9], v1 offset:1808
	s_waitcnt vmcnt(2) lgkmcnt(1)
	v_mul_f64 v[28:29], v[2:3], v[12:13]
	v_mul_f64 v[12:13], v[4:5], v[12:13]
	v_add_f64 v[24:25], v[24:25], v[26:27]
	v_add_f64 v[22:23], v[22:23], v[30:31]
	s_waitcnt vmcnt(1) lgkmcnt(0)
	v_mul_f64 v[26:27], v[6:7], v[16:17]
	v_mul_f64 v[16:17], v[8:9], v[16:17]
	v_fma_f64 v[4:5], v[4:5], v[10:11], v[28:29]
	v_fma_f64 v[1:2], v[2:3], v[10:11], -v[12:13]
	v_add_f64 v[12:13], v[24:25], v[32:33]
	v_add_f64 v[10:11], v[22:23], v[34:35]
	v_fma_f64 v[8:9], v[8:9], v[14:15], v[26:27]
	v_fma_f64 v[6:7], v[6:7], v[14:15], -v[16:17]
	s_delay_alu instid0(VALU_DEP_4) | instskip(NEXT) | instid1(VALU_DEP_4)
	v_add_f64 v[3:4], v[12:13], v[4:5]
	v_add_f64 v[1:2], v[10:11], v[1:2]
	s_delay_alu instid0(VALU_DEP_2) | instskip(NEXT) | instid1(VALU_DEP_2)
	v_add_f64 v[3:4], v[3:4], v[8:9]
	v_add_f64 v[1:2], v[1:2], v[6:7]
	s_waitcnt vmcnt(0)
	s_delay_alu instid0(VALU_DEP_2) | instskip(NEXT) | instid1(VALU_DEP_2)
	v_add_f64 v[3:4], v[20:21], -v[3:4]
	v_add_f64 v[1:2], v[18:19], -v[1:2]
	scratch_store_b128 off, v[1:4], off offset:32
	v_cmpx_lt_u32_e32 1, v156
	s_cbranch_execz .LBB56_353
; %bb.352:
	scratch_load_b128 v[1:4], v212, off
	v_mov_b32_e32 v5, 0
	s_delay_alu instid0(VALU_DEP_1)
	v_mov_b32_e32 v6, v5
	v_mov_b32_e32 v7, v5
	;; [unrolled: 1-line block ×3, first 2 shown]
	scratch_store_b128 off, v[5:8], off offset:16
	s_waitcnt vmcnt(0)
	ds_store_b128 v213, v[1:4]
.LBB56_353:
	s_or_b32 exec_lo, exec_lo, s2
	s_waitcnt lgkmcnt(0)
	s_waitcnt_vscnt null, 0x0
	s_barrier
	buffer_gl0_inv
	s_clause 0x7
	scratch_load_b128 v[2:5], off, off offset:32
	scratch_load_b128 v[6:9], off, off offset:48
	;; [unrolled: 1-line block ×8, first 2 shown]
	v_mov_b32_e32 v1, 0
	s_clause 0x1
	scratch_load_b128 v[34:37], off, off offset:160
	scratch_load_b128 v[179:182], off, off offset:176
	s_mov_b32 s2, exec_lo
	ds_load_b128 v[38:41], v1 offset:944
	ds_load_b128 v[175:178], v1 offset:960
	s_waitcnt vmcnt(9) lgkmcnt(1)
	v_mul_f64 v[167:168], v[40:41], v[4:5]
	v_mul_f64 v[4:5], v[38:39], v[4:5]
	s_waitcnt vmcnt(8) lgkmcnt(0)
	v_mul_f64 v[171:172], v[175:176], v[8:9]
	v_mul_f64 v[8:9], v[177:178], v[8:9]
	s_delay_alu instid0(VALU_DEP_4) | instskip(NEXT) | instid1(VALU_DEP_4)
	v_fma_f64 v[167:168], v[38:39], v[2:3], -v[167:168]
	v_fma_f64 v[183:184], v[40:41], v[2:3], v[4:5]
	ds_load_b128 v[2:5], v1 offset:976
	scratch_load_b128 v[38:41], off, off offset:192
	v_fma_f64 v[171:172], v[177:178], v[6:7], v[171:172]
	v_fma_f64 v[187:188], v[175:176], v[6:7], -v[8:9]
	scratch_load_b128 v[175:178], off, off offset:208
	ds_load_b128 v[6:9], v1 offset:992
	s_waitcnt vmcnt(9) lgkmcnt(1)
	v_mul_f64 v[185:186], v[2:3], v[12:13]
	v_mul_f64 v[12:13], v[4:5], v[12:13]
	s_waitcnt vmcnt(8) lgkmcnt(0)
	v_mul_f64 v[189:190], v[6:7], v[16:17]
	v_mul_f64 v[16:17], v[8:9], v[16:17]
	v_add_f64 v[167:168], v[167:168], 0
	v_add_f64 v[183:184], v[183:184], 0
	v_fma_f64 v[185:186], v[4:5], v[10:11], v[185:186]
	v_fma_f64 v[191:192], v[2:3], v[10:11], -v[12:13]
	ds_load_b128 v[2:5], v1 offset:1008
	scratch_load_b128 v[10:13], off, off offset:224
	v_add_f64 v[167:168], v[167:168], v[187:188]
	v_add_f64 v[171:172], v[183:184], v[171:172]
	v_fma_f64 v[187:188], v[8:9], v[14:15], v[189:190]
	v_fma_f64 v[189:190], v[6:7], v[14:15], -v[16:17]
	scratch_load_b128 v[14:17], off, off offset:240
	ds_load_b128 v[6:9], v1 offset:1024
	s_waitcnt vmcnt(9) lgkmcnt(1)
	v_mul_f64 v[183:184], v[2:3], v[20:21]
	v_mul_f64 v[20:21], v[4:5], v[20:21]
	v_add_f64 v[167:168], v[167:168], v[191:192]
	v_add_f64 v[171:172], v[171:172], v[185:186]
	s_waitcnt vmcnt(8) lgkmcnt(0)
	v_mul_f64 v[185:186], v[6:7], v[24:25]
	v_mul_f64 v[24:25], v[8:9], v[24:25]
	v_fma_f64 v[183:184], v[4:5], v[18:19], v[183:184]
	v_fma_f64 v[191:192], v[2:3], v[18:19], -v[20:21]
	ds_load_b128 v[2:5], v1 offset:1040
	scratch_load_b128 v[18:21], off, off offset:256
	v_add_f64 v[167:168], v[167:168], v[189:190]
	v_add_f64 v[171:172], v[171:172], v[187:188]
	v_fma_f64 v[185:186], v[8:9], v[22:23], v[185:186]
	v_fma_f64 v[189:190], v[6:7], v[22:23], -v[24:25]
	scratch_load_b128 v[22:25], off, off offset:272
	ds_load_b128 v[6:9], v1 offset:1056
	s_waitcnt vmcnt(9) lgkmcnt(1)
	v_mul_f64 v[187:188], v[2:3], v[28:29]
	v_mul_f64 v[28:29], v[4:5], v[28:29]
	v_add_f64 v[167:168], v[167:168], v[191:192]
	v_add_f64 v[171:172], v[171:172], v[183:184]
	s_waitcnt vmcnt(8) lgkmcnt(0)
	v_mul_f64 v[183:184], v[6:7], v[32:33]
	v_mul_f64 v[32:33], v[8:9], v[32:33]
	;; [unrolled: 18-line block ×18, first 2 shown]
	v_fma_f64 v[185:186], v[4:5], v[34:35], v[185:186]
	v_fma_f64 v[191:192], v[2:3], v[34:35], -v[36:37]
	ds_load_b128 v[2:5], v1 offset:1584
	scratch_load_b128 v[34:37], off, off offset:800
	v_add_f64 v[167:168], v[167:168], v[189:190]
	v_add_f64 v[171:172], v[171:172], v[183:184]
	v_fma_f64 v[187:188], v[8:9], v[179:180], v[187:188]
	v_fma_f64 v[189:190], v[6:7], v[179:180], -v[181:182]
	ds_load_b128 v[6:9], v1 offset:1600
	s_waitcnt vmcnt(8) lgkmcnt(1)
	v_mul_f64 v[183:184], v[2:3], v[40:41]
	v_mul_f64 v[40:41], v[4:5], v[40:41]
	scratch_load_b128 v[179:182], off, off offset:816
	v_add_f64 v[167:168], v[167:168], v[191:192]
	v_add_f64 v[171:172], v[171:172], v[185:186]
	s_waitcnt vmcnt(8) lgkmcnt(0)
	v_mul_f64 v[185:186], v[6:7], v[177:178]
	v_mul_f64 v[177:178], v[8:9], v[177:178]
	v_fma_f64 v[183:184], v[4:5], v[38:39], v[183:184]
	v_fma_f64 v[191:192], v[2:3], v[38:39], -v[40:41]
	scratch_load_b128 v[38:41], off, off offset:832
	ds_load_b128 v[2:5], v1 offset:1616
	v_add_f64 v[167:168], v[167:168], v[189:190]
	v_add_f64 v[171:172], v[171:172], v[187:188]
	v_fma_f64 v[185:186], v[8:9], v[175:176], v[185:186]
	v_fma_f64 v[189:190], v[6:7], v[175:176], -v[177:178]
	ds_load_b128 v[6:9], v1 offset:1632
	s_waitcnt vmcnt(8) lgkmcnt(1)
	v_mul_f64 v[187:188], v[2:3], v[12:13]
	v_mul_f64 v[12:13], v[4:5], v[12:13]
	scratch_load_b128 v[175:178], off, off offset:848
	v_add_f64 v[167:168], v[167:168], v[191:192]
	v_add_f64 v[171:172], v[171:172], v[183:184]
	s_waitcnt vmcnt(8) lgkmcnt(0)
	v_mul_f64 v[183:184], v[6:7], v[16:17]
	v_mul_f64 v[16:17], v[8:9], v[16:17]
	v_fma_f64 v[187:188], v[4:5], v[10:11], v[187:188]
	v_fma_f64 v[191:192], v[2:3], v[10:11], -v[12:13]
	scratch_load_b128 v[10:13], off, off offset:864
	ds_load_b128 v[2:5], v1 offset:1648
	;; [unrolled: 18-line block ×3, first 2 shown]
	v_add_f64 v[167:168], v[167:168], v[189:190]
	v_add_f64 v[171:172], v[171:172], v[183:184]
	v_fma_f64 v[187:188], v[8:9], v[22:23], v[187:188]
	v_fma_f64 v[22:23], v[6:7], v[22:23], -v[24:25]
	ds_load_b128 v[6:9], v1 offset:1696
	s_waitcnt vmcnt(8) lgkmcnt(1)
	v_mul_f64 v[183:184], v[2:3], v[28:29]
	v_mul_f64 v[28:29], v[4:5], v[28:29]
	v_add_f64 v[24:25], v[167:168], v[191:192]
	v_add_f64 v[167:168], v[171:172], v[185:186]
	s_waitcnt vmcnt(7) lgkmcnt(0)
	v_mul_f64 v[171:172], v[6:7], v[32:33]
	v_mul_f64 v[32:33], v[8:9], v[32:33]
	v_fma_f64 v[183:184], v[4:5], v[26:27], v[183:184]
	v_fma_f64 v[26:27], v[2:3], v[26:27], -v[28:29]
	ds_load_b128 v[2:5], v1 offset:1712
	v_add_f64 v[22:23], v[24:25], v[22:23]
	v_add_f64 v[24:25], v[167:168], v[187:188]
	v_fma_f64 v[167:168], v[8:9], v[30:31], v[171:172]
	v_fma_f64 v[30:31], v[6:7], v[30:31], -v[32:33]
	ds_load_b128 v[6:9], v1 offset:1728
	s_waitcnt vmcnt(5) lgkmcnt(0)
	v_mul_f64 v[171:172], v[6:7], v[181:182]
	v_mul_f64 v[181:182], v[8:9], v[181:182]
	v_add_f64 v[26:27], v[22:23], v[26:27]
	v_add_f64 v[32:33], v[24:25], v[183:184]
	scratch_load_b128 v[22:25], off, off offset:16
	v_mul_f64 v[28:29], v[2:3], v[36:37]
	v_mul_f64 v[36:37], v[4:5], v[36:37]
	v_add_f64 v[26:27], v[26:27], v[30:31]
	v_add_f64 v[30:31], v[32:33], v[167:168]
	v_fma_f64 v[167:168], v[6:7], v[179:180], -v[181:182]
	v_fma_f64 v[28:29], v[4:5], v[34:35], v[28:29]
	v_fma_f64 v[34:35], v[2:3], v[34:35], -v[36:37]
	ds_load_b128 v[2:5], v1 offset:1744
	s_waitcnt vmcnt(5) lgkmcnt(0)
	v_mul_f64 v[32:33], v[2:3], v[40:41]
	v_mul_f64 v[36:37], v[4:5], v[40:41]
	v_fma_f64 v[40:41], v[8:9], v[179:180], v[171:172]
	ds_load_b128 v[6:9], v1 offset:1760
	v_add_f64 v[28:29], v[30:31], v[28:29]
	v_add_f64 v[26:27], v[26:27], v[34:35]
	v_fma_f64 v[32:33], v[4:5], v[38:39], v[32:33]
	v_fma_f64 v[36:37], v[2:3], v[38:39], -v[36:37]
	ds_load_b128 v[2:5], v1 offset:1776
	s_waitcnt vmcnt(4) lgkmcnt(1)
	v_mul_f64 v[30:31], v[6:7], v[177:178]
	v_mul_f64 v[34:35], v[8:9], v[177:178]
	v_add_f64 v[28:29], v[28:29], v[40:41]
	v_add_f64 v[26:27], v[26:27], v[167:168]
	s_waitcnt vmcnt(3) lgkmcnt(0)
	v_mul_f64 v[38:39], v[2:3], v[12:13]
	v_mul_f64 v[12:13], v[4:5], v[12:13]
	v_fma_f64 v[30:31], v[8:9], v[175:176], v[30:31]
	v_fma_f64 v[34:35], v[6:7], v[175:176], -v[34:35]
	ds_load_b128 v[6:9], v1 offset:1792
	v_add_f64 v[28:29], v[28:29], v[32:33]
	v_add_f64 v[26:27], v[26:27], v[36:37]
	v_fma_f64 v[36:37], v[4:5], v[10:11], v[38:39]
	v_fma_f64 v[10:11], v[2:3], v[10:11], -v[12:13]
	ds_load_b128 v[2:5], v1 offset:1808
	s_waitcnt vmcnt(2) lgkmcnt(1)
	v_mul_f64 v[32:33], v[6:7], v[16:17]
	v_mul_f64 v[16:17], v[8:9], v[16:17]
	v_add_f64 v[12:13], v[26:27], v[34:35]
	v_add_f64 v[26:27], v[28:29], v[30:31]
	s_waitcnt vmcnt(1) lgkmcnt(0)
	v_mul_f64 v[28:29], v[2:3], v[20:21]
	v_mul_f64 v[20:21], v[4:5], v[20:21]
	v_fma_f64 v[8:9], v[8:9], v[14:15], v[32:33]
	v_fma_f64 v[6:7], v[6:7], v[14:15], -v[16:17]
	v_add_f64 v[10:11], v[12:13], v[10:11]
	v_add_f64 v[12:13], v[26:27], v[36:37]
	v_fma_f64 v[4:5], v[4:5], v[18:19], v[28:29]
	v_fma_f64 v[2:3], v[2:3], v[18:19], -v[20:21]
	s_delay_alu instid0(VALU_DEP_4) | instskip(NEXT) | instid1(VALU_DEP_4)
	v_add_f64 v[6:7], v[10:11], v[6:7]
	v_add_f64 v[8:9], v[12:13], v[8:9]
	s_delay_alu instid0(VALU_DEP_2) | instskip(NEXT) | instid1(VALU_DEP_2)
	v_add_f64 v[2:3], v[6:7], v[2:3]
	v_add_f64 v[4:5], v[8:9], v[4:5]
	s_waitcnt vmcnt(0)
	s_delay_alu instid0(VALU_DEP_2) | instskip(NEXT) | instid1(VALU_DEP_2)
	v_add_f64 v[2:3], v[22:23], -v[2:3]
	v_add_f64 v[4:5], v[24:25], -v[4:5]
	scratch_store_b128 off, v[2:5], off offset:16
	v_cmpx_ne_u32_e32 0, v156
	s_cbranch_execz .LBB56_355
; %bb.354:
	scratch_load_b128 v[5:8], off, off
	v_mov_b32_e32 v2, v1
	v_mov_b32_e32 v3, v1
	;; [unrolled: 1-line block ×3, first 2 shown]
	scratch_store_b128 off, v[1:4], off
	s_waitcnt vmcnt(0)
	ds_store_b128 v213, v[5:8]
.LBB56_355:
	s_or_b32 exec_lo, exec_lo, s2
	s_waitcnt lgkmcnt(0)
	s_waitcnt_vscnt null, 0x0
	s_barrier
	buffer_gl0_inv
	s_clause 0x7
	scratch_load_b128 v[2:5], off, off offset:16
	scratch_load_b128 v[6:9], off, off offset:32
	;; [unrolled: 1-line block ×8, first 2 shown]
	ds_load_b128 v[38:41], v1 offset:928
	ds_load_b128 v[175:178], v1 offset:944
	s_clause 0x1
	scratch_load_b128 v[34:37], off, off offset:144
	scratch_load_b128 v[179:182], off, off offset:160
	s_and_b32 vcc_lo, exec_lo, s20
	s_waitcnt vmcnt(9) lgkmcnt(1)
	v_mul_f64 v[167:168], v[40:41], v[4:5]
	v_mul_f64 v[4:5], v[38:39], v[4:5]
	s_waitcnt vmcnt(8) lgkmcnt(0)
	v_mul_f64 v[171:172], v[175:176], v[8:9]
	v_mul_f64 v[8:9], v[177:178], v[8:9]
	s_delay_alu instid0(VALU_DEP_4) | instskip(NEXT) | instid1(VALU_DEP_4)
	v_fma_f64 v[167:168], v[38:39], v[2:3], -v[167:168]
	v_fma_f64 v[183:184], v[40:41], v[2:3], v[4:5]
	ds_load_b128 v[2:5], v1 offset:960
	scratch_load_b128 v[38:41], off, off offset:176
	v_fma_f64 v[171:172], v[177:178], v[6:7], v[171:172]
	v_fma_f64 v[187:188], v[175:176], v[6:7], -v[8:9]
	scratch_load_b128 v[175:178], off, off offset:192
	ds_load_b128 v[6:9], v1 offset:976
	s_waitcnt vmcnt(9) lgkmcnt(1)
	v_mul_f64 v[185:186], v[2:3], v[12:13]
	v_mul_f64 v[12:13], v[4:5], v[12:13]
	s_waitcnt vmcnt(8) lgkmcnt(0)
	v_mul_f64 v[189:190], v[6:7], v[16:17]
	v_mul_f64 v[16:17], v[8:9], v[16:17]
	v_add_f64 v[167:168], v[167:168], 0
	v_add_f64 v[183:184], v[183:184], 0
	v_fma_f64 v[185:186], v[4:5], v[10:11], v[185:186]
	v_fma_f64 v[191:192], v[2:3], v[10:11], -v[12:13]
	ds_load_b128 v[2:5], v1 offset:992
	scratch_load_b128 v[10:13], off, off offset:208
	v_add_f64 v[167:168], v[167:168], v[187:188]
	v_add_f64 v[171:172], v[183:184], v[171:172]
	v_fma_f64 v[187:188], v[8:9], v[14:15], v[189:190]
	v_fma_f64 v[189:190], v[6:7], v[14:15], -v[16:17]
	scratch_load_b128 v[14:17], off, off offset:224
	ds_load_b128 v[6:9], v1 offset:1008
	s_waitcnt vmcnt(9) lgkmcnt(1)
	v_mul_f64 v[183:184], v[2:3], v[20:21]
	v_mul_f64 v[20:21], v[4:5], v[20:21]
	v_add_f64 v[167:168], v[167:168], v[191:192]
	v_add_f64 v[171:172], v[171:172], v[185:186]
	s_waitcnt vmcnt(8) lgkmcnt(0)
	v_mul_f64 v[185:186], v[6:7], v[24:25]
	v_mul_f64 v[24:25], v[8:9], v[24:25]
	v_fma_f64 v[183:184], v[4:5], v[18:19], v[183:184]
	v_fma_f64 v[191:192], v[2:3], v[18:19], -v[20:21]
	ds_load_b128 v[2:5], v1 offset:1024
	scratch_load_b128 v[18:21], off, off offset:240
	v_add_f64 v[167:168], v[167:168], v[189:190]
	v_add_f64 v[171:172], v[171:172], v[187:188]
	v_fma_f64 v[185:186], v[8:9], v[22:23], v[185:186]
	v_fma_f64 v[189:190], v[6:7], v[22:23], -v[24:25]
	scratch_load_b128 v[22:25], off, off offset:256
	ds_load_b128 v[6:9], v1 offset:1040
	s_waitcnt vmcnt(9) lgkmcnt(1)
	v_mul_f64 v[187:188], v[2:3], v[28:29]
	v_mul_f64 v[28:29], v[4:5], v[28:29]
	v_add_f64 v[167:168], v[167:168], v[191:192]
	v_add_f64 v[171:172], v[171:172], v[183:184]
	s_waitcnt vmcnt(8) lgkmcnt(0)
	v_mul_f64 v[183:184], v[6:7], v[32:33]
	v_mul_f64 v[32:33], v[8:9], v[32:33]
	;; [unrolled: 18-line block ×18, first 2 shown]
	v_fma_f64 v[185:186], v[4:5], v[34:35], v[185:186]
	v_fma_f64 v[191:192], v[2:3], v[34:35], -v[36:37]
	ds_load_b128 v[2:5], v1 offset:1568
	scratch_load_b128 v[34:37], off, off offset:784
	v_add_f64 v[167:168], v[167:168], v[189:190]
	v_add_f64 v[171:172], v[171:172], v[183:184]
	v_fma_f64 v[187:188], v[8:9], v[179:180], v[187:188]
	v_fma_f64 v[189:190], v[6:7], v[179:180], -v[181:182]
	ds_load_b128 v[6:9], v1 offset:1584
	s_waitcnt vmcnt(8) lgkmcnt(1)
	v_mul_f64 v[183:184], v[2:3], v[40:41]
	v_mul_f64 v[40:41], v[4:5], v[40:41]
	scratch_load_b128 v[179:182], off, off offset:800
	v_add_f64 v[167:168], v[167:168], v[191:192]
	v_add_f64 v[171:172], v[171:172], v[185:186]
	s_waitcnt vmcnt(8) lgkmcnt(0)
	v_mul_f64 v[185:186], v[6:7], v[177:178]
	v_mul_f64 v[177:178], v[8:9], v[177:178]
	v_fma_f64 v[183:184], v[4:5], v[38:39], v[183:184]
	v_fma_f64 v[191:192], v[2:3], v[38:39], -v[40:41]
	ds_load_b128 v[2:5], v1 offset:1600
	scratch_load_b128 v[38:41], off, off offset:816
	v_add_f64 v[167:168], v[167:168], v[189:190]
	v_add_f64 v[171:172], v[171:172], v[187:188]
	v_fma_f64 v[185:186], v[8:9], v[175:176], v[185:186]
	v_fma_f64 v[189:190], v[6:7], v[175:176], -v[177:178]
	ds_load_b128 v[6:9], v1 offset:1616
	s_waitcnt vmcnt(8) lgkmcnt(1)
	v_mul_f64 v[187:188], v[2:3], v[12:13]
	v_mul_f64 v[12:13], v[4:5], v[12:13]
	scratch_load_b128 v[175:178], off, off offset:832
	v_add_f64 v[167:168], v[167:168], v[191:192]
	v_add_f64 v[171:172], v[171:172], v[183:184]
	s_waitcnt vmcnt(8) lgkmcnt(0)
	v_mul_f64 v[183:184], v[6:7], v[16:17]
	v_mul_f64 v[16:17], v[8:9], v[16:17]
	v_fma_f64 v[187:188], v[4:5], v[10:11], v[187:188]
	v_fma_f64 v[191:192], v[2:3], v[10:11], -v[12:13]
	scratch_load_b128 v[10:13], off, off offset:848
	ds_load_b128 v[2:5], v1 offset:1632
	v_add_f64 v[167:168], v[167:168], v[189:190]
	v_add_f64 v[171:172], v[171:172], v[185:186]
	v_fma_f64 v[183:184], v[8:9], v[14:15], v[183:184]
	v_fma_f64 v[189:190], v[6:7], v[14:15], -v[16:17]
	ds_load_b128 v[6:9], v1 offset:1648
	s_waitcnt vmcnt(8) lgkmcnt(1)
	v_mul_f64 v[185:186], v[2:3], v[20:21]
	v_mul_f64 v[20:21], v[4:5], v[20:21]
	scratch_load_b128 v[14:17], off, off offset:864
	v_add_f64 v[167:168], v[167:168], v[191:192]
	v_add_f64 v[171:172], v[171:172], v[187:188]
	s_waitcnt vmcnt(8) lgkmcnt(0)
	v_mul_f64 v[187:188], v[6:7], v[24:25]
	v_mul_f64 v[24:25], v[8:9], v[24:25]
	v_fma_f64 v[185:186], v[4:5], v[18:19], v[185:186]
	v_fma_f64 v[191:192], v[2:3], v[18:19], -v[20:21]
	scratch_load_b128 v[18:21], off, off offset:880
	ds_load_b128 v[2:5], v1 offset:1664
	v_add_f64 v[167:168], v[167:168], v[189:190]
	v_add_f64 v[171:172], v[171:172], v[183:184]
	v_fma_f64 v[187:188], v[8:9], v[22:23], v[187:188]
	v_fma_f64 v[189:190], v[6:7], v[22:23], -v[24:25]
	ds_load_b128 v[6:9], v1 offset:1680
	s_waitcnt vmcnt(8) lgkmcnt(1)
	v_mul_f64 v[183:184], v[2:3], v[28:29]
	v_mul_f64 v[28:29], v[4:5], v[28:29]
	scratch_load_b128 v[22:25], off, off offset:896
	v_add_f64 v[167:168], v[167:168], v[191:192]
	v_add_f64 v[171:172], v[171:172], v[185:186]
	s_waitcnt vmcnt(8) lgkmcnt(0)
	v_mul_f64 v[185:186], v[6:7], v[32:33]
	v_mul_f64 v[32:33], v[8:9], v[32:33]
	v_fma_f64 v[183:184], v[4:5], v[26:27], v[183:184]
	v_fma_f64 v[26:27], v[2:3], v[26:27], -v[28:29]
	ds_load_b128 v[2:5], v1 offset:1696
	v_add_f64 v[28:29], v[167:168], v[189:190]
	v_add_f64 v[167:168], v[171:172], v[187:188]
	v_fma_f64 v[185:186], v[8:9], v[30:31], v[185:186]
	v_fma_f64 v[30:31], v[6:7], v[30:31], -v[32:33]
	ds_load_b128 v[6:9], v1 offset:1712
	s_waitcnt vmcnt(7) lgkmcnt(1)
	v_mul_f64 v[171:172], v[2:3], v[36:37]
	v_mul_f64 v[36:37], v[4:5], v[36:37]
	v_add_f64 v[26:27], v[28:29], v[26:27]
	v_add_f64 v[28:29], v[167:168], v[183:184]
	s_delay_alu instid0(VALU_DEP_4) | instskip(NEXT) | instid1(VALU_DEP_4)
	v_fma_f64 v[171:172], v[4:5], v[34:35], v[171:172]
	v_fma_f64 v[34:35], v[2:3], v[34:35], -v[36:37]
	ds_load_b128 v[2:5], v1 offset:1728
	v_add_f64 v[30:31], v[26:27], v[30:31]
	v_add_f64 v[36:37], v[28:29], v[185:186]
	scratch_load_b128 v[26:29], off, off
	s_waitcnt vmcnt(7) lgkmcnt(1)
	v_mul_f64 v[32:33], v[6:7], v[181:182]
	v_mul_f64 v[167:168], v[8:9], v[181:182]
	v_add_f64 v[30:31], v[30:31], v[34:35]
	v_add_f64 v[34:35], v[36:37], v[171:172]
	s_delay_alu instid0(VALU_DEP_4) | instskip(NEXT) | instid1(VALU_DEP_4)
	v_fma_f64 v[32:33], v[8:9], v[179:180], v[32:33]
	v_fma_f64 v[167:168], v[6:7], v[179:180], -v[167:168]
	ds_load_b128 v[6:9], v1 offset:1744
	s_waitcnt vmcnt(6) lgkmcnt(1)
	v_mul_f64 v[181:182], v[2:3], v[40:41]
	v_mul_f64 v[40:41], v[4:5], v[40:41]
	s_waitcnt vmcnt(5) lgkmcnt(0)
	v_mul_f64 v[36:37], v[6:7], v[177:178]
	v_mul_f64 v[171:172], v[8:9], v[177:178]
	v_add_f64 v[32:33], v[34:35], v[32:33]
	v_add_f64 v[30:31], v[30:31], v[167:168]
	v_fma_f64 v[177:178], v[4:5], v[38:39], v[181:182]
	v_fma_f64 v[38:39], v[2:3], v[38:39], -v[40:41]
	ds_load_b128 v[2:5], v1 offset:1760
	v_fma_f64 v[36:37], v[8:9], v[175:176], v[36:37]
	v_fma_f64 v[40:41], v[6:7], v[175:176], -v[171:172]
	ds_load_b128 v[6:9], v1 offset:1776
	s_waitcnt vmcnt(4) lgkmcnt(1)
	v_mul_f64 v[34:35], v[2:3], v[12:13]
	v_mul_f64 v[12:13], v[4:5], v[12:13]
	v_add_f64 v[32:33], v[32:33], v[177:178]
	v_add_f64 v[30:31], v[30:31], v[38:39]
	s_waitcnt vmcnt(3) lgkmcnt(0)
	v_mul_f64 v[38:39], v[6:7], v[16:17]
	v_mul_f64 v[16:17], v[8:9], v[16:17]
	v_fma_f64 v[34:35], v[4:5], v[10:11], v[34:35]
	v_fma_f64 v[10:11], v[2:3], v[10:11], -v[12:13]
	ds_load_b128 v[2:5], v1 offset:1792
	v_add_f64 v[12:13], v[30:31], v[40:41]
	v_add_f64 v[30:31], v[32:33], v[36:37]
	v_fma_f64 v[36:37], v[8:9], v[14:15], v[38:39]
	v_fma_f64 v[14:15], v[6:7], v[14:15], -v[16:17]
	ds_load_b128 v[6:9], v1 offset:1808
	s_waitcnt vmcnt(2) lgkmcnt(1)
	v_mul_f64 v[32:33], v[2:3], v[20:21]
	v_mul_f64 v[20:21], v[4:5], v[20:21]
	s_waitcnt vmcnt(1) lgkmcnt(0)
	v_mul_f64 v[16:17], v[6:7], v[24:25]
	v_mul_f64 v[24:25], v[8:9], v[24:25]
	v_add_f64 v[10:11], v[12:13], v[10:11]
	v_add_f64 v[12:13], v[30:31], v[34:35]
	v_fma_f64 v[4:5], v[4:5], v[18:19], v[32:33]
	v_fma_f64 v[1:2], v[2:3], v[18:19], -v[20:21]
	v_fma_f64 v[8:9], v[8:9], v[22:23], v[16:17]
	v_fma_f64 v[6:7], v[6:7], v[22:23], -v[24:25]
	v_add_f64 v[10:11], v[10:11], v[14:15]
	v_add_f64 v[12:13], v[12:13], v[36:37]
	s_delay_alu instid0(VALU_DEP_2) | instskip(NEXT) | instid1(VALU_DEP_2)
	v_add_f64 v[1:2], v[10:11], v[1:2]
	v_add_f64 v[3:4], v[12:13], v[4:5]
	s_delay_alu instid0(VALU_DEP_2) | instskip(NEXT) | instid1(VALU_DEP_2)
	v_add_f64 v[1:2], v[1:2], v[6:7]
	v_add_f64 v[3:4], v[3:4], v[8:9]
	s_waitcnt vmcnt(0)
	s_delay_alu instid0(VALU_DEP_2) | instskip(NEXT) | instid1(VALU_DEP_2)
	v_add_f64 v[1:2], v[26:27], -v[1:2]
	v_add_f64 v[3:4], v[28:29], -v[3:4]
	scratch_store_b128 off, v[1:4], off
	s_cbranch_vccz .LBB56_469
; %bb.356:
	v_dual_mov_b32 v1, s16 :: v_dual_mov_b32 v2, s17
	s_load_b64 s[0:1], s[0:1], 0x4
	flat_load_b32 v1, v[1:2] offset:220
	v_bfe_u32 v2, v0, 10, 10
	v_bfe_u32 v0, v0, 20, 10
	s_waitcnt lgkmcnt(0)
	s_lshr_b32 s0, s0, 16
	s_delay_alu instid0(VALU_DEP_2) | instskip(SKIP_1) | instid1(SALU_CYCLE_1)
	v_mul_u32_u24_e32 v2, s1, v2
	s_mul_i32 s0, s0, s1
	v_mul_u32_u24_e32 v3, s0, v156
	s_mov_b32 s0, exec_lo
	s_delay_alu instid0(VALU_DEP_1) | instskip(NEXT) | instid1(VALU_DEP_1)
	v_add3_u32 v0, v3, v2, v0
	v_lshl_add_u32 v0, v0, 4, 0x728
	s_waitcnt vmcnt(0)
	v_cmpx_ne_u32_e32 56, v1
	s_cbranch_execz .LBB56_358
; %bb.357:
	v_lshl_add_u32 v9, v1, 4, 0
	s_clause 0x1
	scratch_load_b128 v[1:4], v158, off
	scratch_load_b128 v[5:8], v9, off offset:-16
	s_waitcnt vmcnt(1)
	ds_store_2addr_b64 v0, v[1:2], v[3:4] offset1:1
	s_waitcnt vmcnt(0)
	s_clause 0x1
	scratch_store_b128 v158, v[5:8], off
	scratch_store_b128 v9, v[1:4], off offset:-16
.LBB56_358:
	s_or_b32 exec_lo, exec_lo, s0
	v_dual_mov_b32 v1, s16 :: v_dual_mov_b32 v2, s17
	s_mov_b32 s0, exec_lo
	flat_load_b32 v1, v[1:2] offset:216
	s_waitcnt vmcnt(0) lgkmcnt(0)
	v_cmpx_ne_u32_e32 55, v1
	s_cbranch_execz .LBB56_360
; %bb.359:
	v_lshl_add_u32 v9, v1, 4, 0
	s_clause 0x1
	scratch_load_b128 v[1:4], v159, off
	scratch_load_b128 v[5:8], v9, off offset:-16
	s_waitcnt vmcnt(1)
	ds_store_2addr_b64 v0, v[1:2], v[3:4] offset1:1
	s_waitcnt vmcnt(0)
	s_clause 0x1
	scratch_store_b128 v159, v[5:8], off
	scratch_store_b128 v9, v[1:4], off offset:-16
.LBB56_360:
	s_or_b32 exec_lo, exec_lo, s0
	v_dual_mov_b32 v1, s16 :: v_dual_mov_b32 v2, s17
	s_mov_b32 s0, exec_lo
	flat_load_b32 v1, v[1:2] offset:212
	s_waitcnt vmcnt(0) lgkmcnt(0)
	v_cmpx_ne_u32_e32 54, v1
	s_cbranch_execz .LBB56_362
; %bb.361:
	v_lshl_add_u32 v9, v1, 4, 0
	s_clause 0x1
	scratch_load_b128 v[1:4], v160, off
	scratch_load_b128 v[5:8], v9, off offset:-16
	s_waitcnt vmcnt(1)
	ds_store_2addr_b64 v0, v[1:2], v[3:4] offset1:1
	s_waitcnt vmcnt(0)
	s_clause 0x1
	scratch_store_b128 v160, v[5:8], off
	scratch_store_b128 v9, v[1:4], off offset:-16
.LBB56_362:
	s_or_b32 exec_lo, exec_lo, s0
	v_dual_mov_b32 v1, s16 :: v_dual_mov_b32 v2, s17
	s_mov_b32 s0, exec_lo
	flat_load_b32 v1, v[1:2] offset:208
	s_waitcnt vmcnt(0) lgkmcnt(0)
	v_cmpx_ne_u32_e32 53, v1
	s_cbranch_execz .LBB56_364
; %bb.363:
	v_lshl_add_u32 v9, v1, 4, 0
	s_clause 0x1
	scratch_load_b128 v[1:4], v161, off
	scratch_load_b128 v[5:8], v9, off offset:-16
	s_waitcnt vmcnt(1)
	ds_store_2addr_b64 v0, v[1:2], v[3:4] offset1:1
	s_waitcnt vmcnt(0)
	s_clause 0x1
	scratch_store_b128 v161, v[5:8], off
	scratch_store_b128 v9, v[1:4], off offset:-16
.LBB56_364:
	s_or_b32 exec_lo, exec_lo, s0
	v_dual_mov_b32 v1, s16 :: v_dual_mov_b32 v2, s17
	s_mov_b32 s0, exec_lo
	flat_load_b32 v1, v[1:2] offset:204
	s_waitcnt vmcnt(0) lgkmcnt(0)
	v_cmpx_ne_u32_e32 52, v1
	s_cbranch_execz .LBB56_366
; %bb.365:
	v_lshl_add_u32 v9, v1, 4, 0
	s_clause 0x1
	scratch_load_b128 v[1:4], v162, off
	scratch_load_b128 v[5:8], v9, off offset:-16
	s_waitcnt vmcnt(1)
	ds_store_2addr_b64 v0, v[1:2], v[3:4] offset1:1
	s_waitcnt vmcnt(0)
	s_clause 0x1
	scratch_store_b128 v162, v[5:8], off
	scratch_store_b128 v9, v[1:4], off offset:-16
.LBB56_366:
	s_or_b32 exec_lo, exec_lo, s0
	v_dual_mov_b32 v1, s16 :: v_dual_mov_b32 v2, s17
	s_mov_b32 s0, exec_lo
	flat_load_b32 v1, v[1:2] offset:200
	s_waitcnt vmcnt(0) lgkmcnt(0)
	v_cmpx_ne_u32_e32 51, v1
	s_cbranch_execz .LBB56_368
; %bb.367:
	v_lshl_add_u32 v9, v1, 4, 0
	s_clause 0x1
	scratch_load_b128 v[1:4], v163, off
	scratch_load_b128 v[5:8], v9, off offset:-16
	s_waitcnt vmcnt(1)
	ds_store_2addr_b64 v0, v[1:2], v[3:4] offset1:1
	s_waitcnt vmcnt(0)
	s_clause 0x1
	scratch_store_b128 v163, v[5:8], off
	scratch_store_b128 v9, v[1:4], off offset:-16
.LBB56_368:
	s_or_b32 exec_lo, exec_lo, s0
	v_dual_mov_b32 v1, s16 :: v_dual_mov_b32 v2, s17
	s_mov_b32 s0, exec_lo
	flat_load_b32 v1, v[1:2] offset:196
	s_waitcnt vmcnt(0) lgkmcnt(0)
	v_cmpx_ne_u32_e32 50, v1
	s_cbranch_execz .LBB56_370
; %bb.369:
	v_lshl_add_u32 v9, v1, 4, 0
	s_clause 0x1
	scratch_load_b128 v[1:4], v164, off
	scratch_load_b128 v[5:8], v9, off offset:-16
	s_waitcnt vmcnt(1)
	ds_store_2addr_b64 v0, v[1:2], v[3:4] offset1:1
	s_waitcnt vmcnt(0)
	s_clause 0x1
	scratch_store_b128 v164, v[5:8], off
	scratch_store_b128 v9, v[1:4], off offset:-16
.LBB56_370:
	s_or_b32 exec_lo, exec_lo, s0
	v_dual_mov_b32 v1, s16 :: v_dual_mov_b32 v2, s17
	s_mov_b32 s0, exec_lo
	flat_load_b32 v1, v[1:2] offset:192
	s_waitcnt vmcnt(0) lgkmcnt(0)
	v_cmpx_ne_u32_e32 49, v1
	s_cbranch_execz .LBB56_372
; %bb.371:
	v_lshl_add_u32 v9, v1, 4, 0
	s_clause 0x1
	scratch_load_b128 v[1:4], v165, off
	scratch_load_b128 v[5:8], v9, off offset:-16
	s_waitcnt vmcnt(1)
	ds_store_2addr_b64 v0, v[1:2], v[3:4] offset1:1
	s_waitcnt vmcnt(0)
	s_clause 0x1
	scratch_store_b128 v165, v[5:8], off
	scratch_store_b128 v9, v[1:4], off offset:-16
.LBB56_372:
	s_or_b32 exec_lo, exec_lo, s0
	v_dual_mov_b32 v1, s16 :: v_dual_mov_b32 v2, s17
	s_mov_b32 s0, exec_lo
	flat_load_b32 v1, v[1:2] offset:188
	s_waitcnt vmcnt(0) lgkmcnt(0)
	v_cmpx_ne_u32_e32 48, v1
	s_cbranch_execz .LBB56_374
; %bb.373:
	v_lshl_add_u32 v9, v1, 4, 0
	s_clause 0x1
	scratch_load_b128 v[1:4], v166, off
	scratch_load_b128 v[5:8], v9, off offset:-16
	s_waitcnt vmcnt(1)
	ds_store_2addr_b64 v0, v[1:2], v[3:4] offset1:1
	s_waitcnt vmcnt(0)
	s_clause 0x1
	scratch_store_b128 v166, v[5:8], off
	scratch_store_b128 v9, v[1:4], off offset:-16
.LBB56_374:
	s_or_b32 exec_lo, exec_lo, s0
	v_dual_mov_b32 v1, s16 :: v_dual_mov_b32 v2, s17
	s_mov_b32 s0, exec_lo
	flat_load_b32 v1, v[1:2] offset:184
	s_waitcnt vmcnt(0) lgkmcnt(0)
	v_cmpx_ne_u32_e32 47, v1
	s_cbranch_execz .LBB56_376
; %bb.375:
	v_lshl_add_u32 v9, v1, 4, 0
	s_clause 0x1
	scratch_load_b128 v[1:4], v169, off
	scratch_load_b128 v[5:8], v9, off offset:-16
	s_waitcnt vmcnt(1)
	ds_store_2addr_b64 v0, v[1:2], v[3:4] offset1:1
	s_waitcnt vmcnt(0)
	s_clause 0x1
	scratch_store_b128 v169, v[5:8], off
	scratch_store_b128 v9, v[1:4], off offset:-16
.LBB56_376:
	s_or_b32 exec_lo, exec_lo, s0
	v_dual_mov_b32 v1, s16 :: v_dual_mov_b32 v2, s17
	s_mov_b32 s0, exec_lo
	flat_load_b32 v1, v[1:2] offset:180
	s_waitcnt vmcnt(0) lgkmcnt(0)
	v_cmpx_ne_u32_e32 46, v1
	s_cbranch_execz .LBB56_378
; %bb.377:
	v_lshl_add_u32 v9, v1, 4, 0
	s_clause 0x1
	scratch_load_b128 v[1:4], v170, off
	scratch_load_b128 v[5:8], v9, off offset:-16
	s_waitcnt vmcnt(1)
	ds_store_2addr_b64 v0, v[1:2], v[3:4] offset1:1
	s_waitcnt vmcnt(0)
	s_clause 0x1
	scratch_store_b128 v170, v[5:8], off
	scratch_store_b128 v9, v[1:4], off offset:-16
.LBB56_378:
	s_or_b32 exec_lo, exec_lo, s0
	v_dual_mov_b32 v1, s16 :: v_dual_mov_b32 v2, s17
	s_mov_b32 s0, exec_lo
	flat_load_b32 v1, v[1:2] offset:176
	s_waitcnt vmcnt(0) lgkmcnt(0)
	v_cmpx_ne_u32_e32 45, v1
	s_cbranch_execz .LBB56_380
; %bb.379:
	v_lshl_add_u32 v9, v1, 4, 0
	s_clause 0x1
	scratch_load_b128 v[1:4], v173, off
	scratch_load_b128 v[5:8], v9, off offset:-16
	s_waitcnt vmcnt(1)
	ds_store_2addr_b64 v0, v[1:2], v[3:4] offset1:1
	s_waitcnt vmcnt(0)
	s_clause 0x1
	scratch_store_b128 v173, v[5:8], off
	scratch_store_b128 v9, v[1:4], off offset:-16
.LBB56_380:
	s_or_b32 exec_lo, exec_lo, s0
	v_dual_mov_b32 v1, s16 :: v_dual_mov_b32 v2, s17
	s_mov_b32 s0, exec_lo
	flat_load_b32 v1, v[1:2] offset:172
	s_waitcnt vmcnt(0) lgkmcnt(0)
	v_cmpx_ne_u32_e32 44, v1
	s_cbranch_execz .LBB56_382
; %bb.381:
	v_lshl_add_u32 v9, v1, 4, 0
	s_clause 0x1
	scratch_load_b128 v[1:4], v174, off
	scratch_load_b128 v[5:8], v9, off offset:-16
	s_waitcnt vmcnt(1)
	ds_store_2addr_b64 v0, v[1:2], v[3:4] offset1:1
	s_waitcnt vmcnt(0)
	s_clause 0x1
	scratch_store_b128 v174, v[5:8], off
	scratch_store_b128 v9, v[1:4], off offset:-16
.LBB56_382:
	s_or_b32 exec_lo, exec_lo, s0
	v_dual_mov_b32 v1, s16 :: v_dual_mov_b32 v2, s17
	s_mov_b32 s0, exec_lo
	flat_load_b32 v1, v[1:2] offset:168
	s_waitcnt vmcnt(0) lgkmcnt(0)
	v_cmpx_ne_u32_e32 43, v1
	s_cbranch_execz .LBB56_384
; %bb.383:
	v_lshl_add_u32 v9, v1, 4, 0
	s_clause 0x1
	scratch_load_b128 v[1:4], v214, off
	scratch_load_b128 v[5:8], v9, off offset:-16
	s_waitcnt vmcnt(1)
	ds_store_2addr_b64 v0, v[1:2], v[3:4] offset1:1
	s_waitcnt vmcnt(0)
	s_clause 0x1
	scratch_store_b128 v214, v[5:8], off
	scratch_store_b128 v9, v[1:4], off offset:-16
.LBB56_384:
	s_or_b32 exec_lo, exec_lo, s0
	v_dual_mov_b32 v1, s16 :: v_dual_mov_b32 v2, s17
	s_mov_b32 s0, exec_lo
	flat_load_b32 v1, v[1:2] offset:164
	s_waitcnt vmcnt(0) lgkmcnt(0)
	v_cmpx_ne_u32_e32 42, v1
	s_cbranch_execz .LBB56_386
; %bb.385:
	v_lshl_add_u32 v9, v1, 4, 0
	s_clause 0x1
	scratch_load_b128 v[1:4], v215, off
	scratch_load_b128 v[5:8], v9, off offset:-16
	s_waitcnt vmcnt(1)
	ds_store_2addr_b64 v0, v[1:2], v[3:4] offset1:1
	s_waitcnt vmcnt(0)
	s_clause 0x1
	scratch_store_b128 v215, v[5:8], off
	scratch_store_b128 v9, v[1:4], off offset:-16
.LBB56_386:
	s_or_b32 exec_lo, exec_lo, s0
	v_dual_mov_b32 v1, s16 :: v_dual_mov_b32 v2, s17
	s_mov_b32 s0, exec_lo
	flat_load_b32 v1, v[1:2] offset:160
	s_waitcnt vmcnt(0) lgkmcnt(0)
	v_cmpx_ne_u32_e32 41, v1
	s_cbranch_execz .LBB56_388
; %bb.387:
	v_lshl_add_u32 v9, v1, 4, 0
	s_clause 0x1
	scratch_load_b128 v[1:4], v216, off
	scratch_load_b128 v[5:8], v9, off offset:-16
	s_waitcnt vmcnt(1)
	ds_store_2addr_b64 v0, v[1:2], v[3:4] offset1:1
	s_waitcnt vmcnt(0)
	s_clause 0x1
	scratch_store_b128 v216, v[5:8], off
	scratch_store_b128 v9, v[1:4], off offset:-16
.LBB56_388:
	s_or_b32 exec_lo, exec_lo, s0
	v_dual_mov_b32 v1, s16 :: v_dual_mov_b32 v2, s17
	s_mov_b32 s0, exec_lo
	flat_load_b32 v1, v[1:2] offset:156
	s_waitcnt vmcnt(0) lgkmcnt(0)
	v_cmpx_ne_u32_e32 40, v1
	s_cbranch_execz .LBB56_390
; %bb.389:
	v_lshl_add_u32 v9, v1, 4, 0
	s_clause 0x1
	scratch_load_b128 v[1:4], v217, off
	scratch_load_b128 v[5:8], v9, off offset:-16
	s_waitcnt vmcnt(1)
	ds_store_2addr_b64 v0, v[1:2], v[3:4] offset1:1
	s_waitcnt vmcnt(0)
	s_clause 0x1
	scratch_store_b128 v217, v[5:8], off
	scratch_store_b128 v9, v[1:4], off offset:-16
.LBB56_390:
	s_or_b32 exec_lo, exec_lo, s0
	v_dual_mov_b32 v1, s16 :: v_dual_mov_b32 v2, s17
	s_mov_b32 s0, exec_lo
	flat_load_b32 v1, v[1:2] offset:152
	s_waitcnt vmcnt(0) lgkmcnt(0)
	v_cmpx_ne_u32_e32 39, v1
	s_cbranch_execz .LBB56_392
; %bb.391:
	v_lshl_add_u32 v9, v1, 4, 0
	s_clause 0x1
	scratch_load_b128 v[1:4], v218, off
	scratch_load_b128 v[5:8], v9, off offset:-16
	s_waitcnt vmcnt(1)
	ds_store_2addr_b64 v0, v[1:2], v[3:4] offset1:1
	s_waitcnt vmcnt(0)
	s_clause 0x1
	scratch_store_b128 v218, v[5:8], off
	scratch_store_b128 v9, v[1:4], off offset:-16
.LBB56_392:
	s_or_b32 exec_lo, exec_lo, s0
	v_dual_mov_b32 v1, s16 :: v_dual_mov_b32 v2, s17
	s_mov_b32 s0, exec_lo
	flat_load_b32 v1, v[1:2] offset:148
	s_waitcnt vmcnt(0) lgkmcnt(0)
	v_cmpx_ne_u32_e32 38, v1
	s_cbranch_execz .LBB56_394
; %bb.393:
	v_lshl_add_u32 v9, v1, 4, 0
	s_clause 0x1
	scratch_load_b128 v[1:4], v219, off
	scratch_load_b128 v[5:8], v9, off offset:-16
	s_waitcnt vmcnt(1)
	ds_store_2addr_b64 v0, v[1:2], v[3:4] offset1:1
	s_waitcnt vmcnt(0)
	s_clause 0x1
	scratch_store_b128 v219, v[5:8], off
	scratch_store_b128 v9, v[1:4], off offset:-16
.LBB56_394:
	s_or_b32 exec_lo, exec_lo, s0
	v_dual_mov_b32 v1, s16 :: v_dual_mov_b32 v2, s17
	s_mov_b32 s0, exec_lo
	flat_load_b32 v1, v[1:2] offset:144
	s_waitcnt vmcnt(0) lgkmcnt(0)
	v_cmpx_ne_u32_e32 37, v1
	s_cbranch_execz .LBB56_396
; %bb.395:
	v_lshl_add_u32 v9, v1, 4, 0
	s_clause 0x1
	scratch_load_b128 v[1:4], v220, off
	scratch_load_b128 v[5:8], v9, off offset:-16
	s_waitcnt vmcnt(1)
	ds_store_2addr_b64 v0, v[1:2], v[3:4] offset1:1
	s_waitcnt vmcnt(0)
	s_clause 0x1
	scratch_store_b128 v220, v[5:8], off
	scratch_store_b128 v9, v[1:4], off offset:-16
.LBB56_396:
	s_or_b32 exec_lo, exec_lo, s0
	v_dual_mov_b32 v1, s16 :: v_dual_mov_b32 v2, s17
	s_mov_b32 s0, exec_lo
	flat_load_b32 v1, v[1:2] offset:140
	s_waitcnt vmcnt(0) lgkmcnt(0)
	v_cmpx_ne_u32_e32 36, v1
	s_cbranch_execz .LBB56_398
; %bb.397:
	v_lshl_add_u32 v9, v1, 4, 0
	s_clause 0x1
	scratch_load_b128 v[1:4], v221, off
	scratch_load_b128 v[5:8], v9, off offset:-16
	s_waitcnt vmcnt(1)
	ds_store_2addr_b64 v0, v[1:2], v[3:4] offset1:1
	s_waitcnt vmcnt(0)
	s_clause 0x1
	scratch_store_b128 v221, v[5:8], off
	scratch_store_b128 v9, v[1:4], off offset:-16
.LBB56_398:
	s_or_b32 exec_lo, exec_lo, s0
	v_dual_mov_b32 v1, s16 :: v_dual_mov_b32 v2, s17
	s_mov_b32 s0, exec_lo
	flat_load_b32 v1, v[1:2] offset:136
	s_waitcnt vmcnt(0) lgkmcnt(0)
	v_cmpx_ne_u32_e32 35, v1
	s_cbranch_execz .LBB56_400
; %bb.399:
	v_lshl_add_u32 v9, v1, 4, 0
	s_clause 0x1
	scratch_load_b128 v[1:4], v222, off
	scratch_load_b128 v[5:8], v9, off offset:-16
	s_waitcnt vmcnt(1)
	ds_store_2addr_b64 v0, v[1:2], v[3:4] offset1:1
	s_waitcnt vmcnt(0)
	s_clause 0x1
	scratch_store_b128 v222, v[5:8], off
	scratch_store_b128 v9, v[1:4], off offset:-16
.LBB56_400:
	s_or_b32 exec_lo, exec_lo, s0
	v_dual_mov_b32 v1, s16 :: v_dual_mov_b32 v2, s17
	s_mov_b32 s0, exec_lo
	flat_load_b32 v1, v[1:2] offset:132
	s_waitcnt vmcnt(0) lgkmcnt(0)
	v_cmpx_ne_u32_e32 34, v1
	s_cbranch_execz .LBB56_402
; %bb.401:
	v_lshl_add_u32 v9, v1, 4, 0
	s_clause 0x1
	scratch_load_b128 v[1:4], v223, off
	scratch_load_b128 v[5:8], v9, off offset:-16
	s_waitcnt vmcnt(1)
	ds_store_2addr_b64 v0, v[1:2], v[3:4] offset1:1
	s_waitcnt vmcnt(0)
	s_clause 0x1
	scratch_store_b128 v223, v[5:8], off
	scratch_store_b128 v9, v[1:4], off offset:-16
.LBB56_402:
	s_or_b32 exec_lo, exec_lo, s0
	v_dual_mov_b32 v1, s16 :: v_dual_mov_b32 v2, s17
	s_mov_b32 s0, exec_lo
	flat_load_b32 v1, v[1:2] offset:128
	s_waitcnt vmcnt(0) lgkmcnt(0)
	v_cmpx_ne_u32_e32 33, v1
	s_cbranch_execz .LBB56_404
; %bb.403:
	v_lshl_add_u32 v9, v1, 4, 0
	s_clause 0x1
	scratch_load_b128 v[1:4], v224, off
	scratch_load_b128 v[5:8], v9, off offset:-16
	s_waitcnt vmcnt(1)
	ds_store_2addr_b64 v0, v[1:2], v[3:4] offset1:1
	s_waitcnt vmcnt(0)
	s_clause 0x1
	scratch_store_b128 v224, v[5:8], off
	scratch_store_b128 v9, v[1:4], off offset:-16
.LBB56_404:
	s_or_b32 exec_lo, exec_lo, s0
	v_dual_mov_b32 v1, s16 :: v_dual_mov_b32 v2, s17
	s_mov_b32 s0, exec_lo
	flat_load_b32 v1, v[1:2] offset:124
	s_waitcnt vmcnt(0) lgkmcnt(0)
	v_cmpx_ne_u32_e32 32, v1
	s_cbranch_execz .LBB56_406
; %bb.405:
	v_lshl_add_u32 v9, v1, 4, 0
	s_clause 0x1
	scratch_load_b128 v[1:4], v225, off
	scratch_load_b128 v[5:8], v9, off offset:-16
	s_waitcnt vmcnt(1)
	ds_store_2addr_b64 v0, v[1:2], v[3:4] offset1:1
	s_waitcnt vmcnt(0)
	s_clause 0x1
	scratch_store_b128 v225, v[5:8], off
	scratch_store_b128 v9, v[1:4], off offset:-16
.LBB56_406:
	s_or_b32 exec_lo, exec_lo, s0
	v_dual_mov_b32 v1, s16 :: v_dual_mov_b32 v2, s17
	s_mov_b32 s0, exec_lo
	flat_load_b32 v1, v[1:2] offset:120
	s_waitcnt vmcnt(0) lgkmcnt(0)
	v_cmpx_ne_u32_e32 31, v1
	s_cbranch_execz .LBB56_408
; %bb.407:
	v_lshl_add_u32 v9, v1, 4, 0
	s_clause 0x1
	scratch_load_b128 v[1:4], v226, off
	scratch_load_b128 v[5:8], v9, off offset:-16
	s_waitcnt vmcnt(1)
	ds_store_2addr_b64 v0, v[1:2], v[3:4] offset1:1
	s_waitcnt vmcnt(0)
	s_clause 0x1
	scratch_store_b128 v226, v[5:8], off
	scratch_store_b128 v9, v[1:4], off offset:-16
.LBB56_408:
	s_or_b32 exec_lo, exec_lo, s0
	v_dual_mov_b32 v1, s16 :: v_dual_mov_b32 v2, s17
	s_mov_b32 s0, exec_lo
	flat_load_b32 v1, v[1:2] offset:116
	s_waitcnt vmcnt(0) lgkmcnt(0)
	v_cmpx_ne_u32_e32 30, v1
	s_cbranch_execz .LBB56_410
; %bb.409:
	v_lshl_add_u32 v9, v1, 4, 0
	s_clause 0x1
	scratch_load_b128 v[1:4], v227, off
	scratch_load_b128 v[5:8], v9, off offset:-16
	s_waitcnt vmcnt(1)
	ds_store_2addr_b64 v0, v[1:2], v[3:4] offset1:1
	s_waitcnt vmcnt(0)
	s_clause 0x1
	scratch_store_b128 v227, v[5:8], off
	scratch_store_b128 v9, v[1:4], off offset:-16
.LBB56_410:
	s_or_b32 exec_lo, exec_lo, s0
	v_dual_mov_b32 v1, s16 :: v_dual_mov_b32 v2, s17
	s_mov_b32 s0, exec_lo
	flat_load_b32 v1, v[1:2] offset:112
	s_waitcnt vmcnt(0) lgkmcnt(0)
	v_cmpx_ne_u32_e32 29, v1
	s_cbranch_execz .LBB56_412
; %bb.411:
	v_lshl_add_u32 v9, v1, 4, 0
	s_clause 0x1
	scratch_load_b128 v[1:4], v228, off
	scratch_load_b128 v[5:8], v9, off offset:-16
	s_waitcnt vmcnt(1)
	ds_store_2addr_b64 v0, v[1:2], v[3:4] offset1:1
	s_waitcnt vmcnt(0)
	s_clause 0x1
	scratch_store_b128 v228, v[5:8], off
	scratch_store_b128 v9, v[1:4], off offset:-16
.LBB56_412:
	s_or_b32 exec_lo, exec_lo, s0
	v_dual_mov_b32 v1, s16 :: v_dual_mov_b32 v2, s17
	s_mov_b32 s0, exec_lo
	flat_load_b32 v1, v[1:2] offset:108
	s_waitcnt vmcnt(0) lgkmcnt(0)
	v_cmpx_ne_u32_e32 28, v1
	s_cbranch_execz .LBB56_414
; %bb.413:
	v_lshl_add_u32 v9, v1, 4, 0
	s_clause 0x1
	scratch_load_b128 v[1:4], v229, off
	scratch_load_b128 v[5:8], v9, off offset:-16
	s_waitcnt vmcnt(1)
	ds_store_2addr_b64 v0, v[1:2], v[3:4] offset1:1
	s_waitcnt vmcnt(0)
	s_clause 0x1
	scratch_store_b128 v229, v[5:8], off
	scratch_store_b128 v9, v[1:4], off offset:-16
.LBB56_414:
	s_or_b32 exec_lo, exec_lo, s0
	v_dual_mov_b32 v1, s16 :: v_dual_mov_b32 v2, s17
	s_mov_b32 s0, exec_lo
	flat_load_b32 v1, v[1:2] offset:104
	s_waitcnt vmcnt(0) lgkmcnt(0)
	v_cmpx_ne_u32_e32 27, v1
	s_cbranch_execz .LBB56_416
; %bb.415:
	v_lshl_add_u32 v9, v1, 4, 0
	s_clause 0x1
	scratch_load_b128 v[1:4], v230, off
	scratch_load_b128 v[5:8], v9, off offset:-16
	s_waitcnt vmcnt(1)
	ds_store_2addr_b64 v0, v[1:2], v[3:4] offset1:1
	s_waitcnt vmcnt(0)
	s_clause 0x1
	scratch_store_b128 v230, v[5:8], off
	scratch_store_b128 v9, v[1:4], off offset:-16
.LBB56_416:
	s_or_b32 exec_lo, exec_lo, s0
	v_dual_mov_b32 v1, s16 :: v_dual_mov_b32 v2, s17
	s_mov_b32 s0, exec_lo
	flat_load_b32 v1, v[1:2] offset:100
	s_waitcnt vmcnt(0) lgkmcnt(0)
	v_cmpx_ne_u32_e32 26, v1
	s_cbranch_execz .LBB56_418
; %bb.417:
	v_lshl_add_u32 v9, v1, 4, 0
	s_clause 0x1
	scratch_load_b128 v[1:4], v231, off
	scratch_load_b128 v[5:8], v9, off offset:-16
	s_waitcnt vmcnt(1)
	ds_store_2addr_b64 v0, v[1:2], v[3:4] offset1:1
	s_waitcnt vmcnt(0)
	s_clause 0x1
	scratch_store_b128 v231, v[5:8], off
	scratch_store_b128 v9, v[1:4], off offset:-16
.LBB56_418:
	s_or_b32 exec_lo, exec_lo, s0
	v_dual_mov_b32 v1, s16 :: v_dual_mov_b32 v2, s17
	s_mov_b32 s0, exec_lo
	flat_load_b32 v1, v[1:2] offset:96
	s_waitcnt vmcnt(0) lgkmcnt(0)
	v_cmpx_ne_u32_e32 25, v1
	s_cbranch_execz .LBB56_420
; %bb.419:
	v_lshl_add_u32 v9, v1, 4, 0
	s_clause 0x1
	scratch_load_b128 v[1:4], v232, off
	scratch_load_b128 v[5:8], v9, off offset:-16
	s_waitcnt vmcnt(1)
	ds_store_2addr_b64 v0, v[1:2], v[3:4] offset1:1
	s_waitcnt vmcnt(0)
	s_clause 0x1
	scratch_store_b128 v232, v[5:8], off
	scratch_store_b128 v9, v[1:4], off offset:-16
.LBB56_420:
	s_or_b32 exec_lo, exec_lo, s0
	v_dual_mov_b32 v1, s16 :: v_dual_mov_b32 v2, s17
	s_mov_b32 s0, exec_lo
	flat_load_b32 v1, v[1:2] offset:92
	s_waitcnt vmcnt(0) lgkmcnt(0)
	v_cmpx_ne_u32_e32 24, v1
	s_cbranch_execz .LBB56_422
; %bb.421:
	v_lshl_add_u32 v9, v1, 4, 0
	s_clause 0x1
	scratch_load_b128 v[1:4], v253, off
	scratch_load_b128 v[5:8], v9, off offset:-16
	s_waitcnt vmcnt(1)
	ds_store_2addr_b64 v0, v[1:2], v[3:4] offset1:1
	s_waitcnt vmcnt(0)
	s_clause 0x1
	scratch_store_b128 v253, v[5:8], off
	scratch_store_b128 v9, v[1:4], off offset:-16
.LBB56_422:
	s_or_b32 exec_lo, exec_lo, s0
	v_dual_mov_b32 v1, s16 :: v_dual_mov_b32 v2, s17
	s_mov_b32 s0, exec_lo
	flat_load_b32 v1, v[1:2] offset:88
	s_waitcnt vmcnt(0) lgkmcnt(0)
	v_cmpx_ne_u32_e32 23, v1
	s_cbranch_execz .LBB56_424
; %bb.423:
	v_lshl_add_u32 v9, v1, 4, 0
	s_clause 0x1
	scratch_load_b128 v[1:4], v254, off
	scratch_load_b128 v[5:8], v9, off offset:-16
	s_waitcnt vmcnt(1)
	ds_store_2addr_b64 v0, v[1:2], v[3:4] offset1:1
	s_waitcnt vmcnt(0)
	s_clause 0x1
	scratch_store_b128 v254, v[5:8], off
	scratch_store_b128 v9, v[1:4], off offset:-16
.LBB56_424:
	s_or_b32 exec_lo, exec_lo, s0
	v_dual_mov_b32 v1, s16 :: v_dual_mov_b32 v2, s17
	s_mov_b32 s0, exec_lo
	flat_load_b32 v1, v[1:2] offset:84
	s_waitcnt vmcnt(0) lgkmcnt(0)
	v_cmpx_ne_u32_e32 22, v1
	s_cbranch_execz .LBB56_426
; %bb.425:
	v_lshl_add_u32 v9, v1, 4, 0
	s_clause 0x1
	scratch_load_b128 v[1:4], v255, off
	scratch_load_b128 v[5:8], v9, off offset:-16
	s_waitcnt vmcnt(1)
	ds_store_2addr_b64 v0, v[1:2], v[3:4] offset1:1
	s_waitcnt vmcnt(0)
	s_clause 0x1
	scratch_store_b128 v255, v[5:8], off
	scratch_store_b128 v9, v[1:4], off offset:-16
.LBB56_426:
	s_or_b32 exec_lo, exec_lo, s0
	v_dual_mov_b32 v1, s16 :: v_dual_mov_b32 v2, s17
	s_mov_b32 s0, exec_lo
	flat_load_b32 v1, v[1:2] offset:80
	s_waitcnt vmcnt(0) lgkmcnt(0)
	v_cmpx_ne_u32_e32 21, v1
	s_cbranch_execz .LBB56_428
; %bb.427:
	v_lshl_add_u32 v9, v1, 4, 0
	s_clause 0x1
	scratch_load_b128 v[1:4], v193, off
	scratch_load_b128 v[5:8], v9, off offset:-16
	s_waitcnt vmcnt(1)
	ds_store_2addr_b64 v0, v[1:2], v[3:4] offset1:1
	s_waitcnt vmcnt(0)
	s_clause 0x1
	scratch_store_b128 v193, v[5:8], off
	scratch_store_b128 v9, v[1:4], off offset:-16
.LBB56_428:
	s_or_b32 exec_lo, exec_lo, s0
	v_dual_mov_b32 v1, s16 :: v_dual_mov_b32 v2, s17
	s_mov_b32 s0, exec_lo
	flat_load_b32 v1, v[1:2] offset:76
	s_waitcnt vmcnt(0) lgkmcnt(0)
	v_cmpx_ne_u32_e32 20, v1
	s_cbranch_execz .LBB56_430
; %bb.429:
	v_lshl_add_u32 v9, v1, 4, 0
	s_clause 0x1
	scratch_load_b128 v[1:4], v194, off
	scratch_load_b128 v[5:8], v9, off offset:-16
	s_waitcnt vmcnt(1)
	ds_store_2addr_b64 v0, v[1:2], v[3:4] offset1:1
	s_waitcnt vmcnt(0)
	s_clause 0x1
	scratch_store_b128 v194, v[5:8], off
	scratch_store_b128 v9, v[1:4], off offset:-16
.LBB56_430:
	s_or_b32 exec_lo, exec_lo, s0
	v_dual_mov_b32 v1, s16 :: v_dual_mov_b32 v2, s17
	s_mov_b32 s0, exec_lo
	flat_load_b32 v1, v[1:2] offset:72
	s_waitcnt vmcnt(0) lgkmcnt(0)
	v_cmpx_ne_u32_e32 19, v1
	s_cbranch_execz .LBB56_432
; %bb.431:
	v_lshl_add_u32 v9, v1, 4, 0
	s_clause 0x1
	scratch_load_b128 v[1:4], v195, off
	scratch_load_b128 v[5:8], v9, off offset:-16
	s_waitcnt vmcnt(1)
	ds_store_2addr_b64 v0, v[1:2], v[3:4] offset1:1
	s_waitcnt vmcnt(0)
	s_clause 0x1
	scratch_store_b128 v195, v[5:8], off
	scratch_store_b128 v9, v[1:4], off offset:-16
.LBB56_432:
	s_or_b32 exec_lo, exec_lo, s0
	v_dual_mov_b32 v1, s16 :: v_dual_mov_b32 v2, s17
	s_mov_b32 s0, exec_lo
	flat_load_b32 v1, v[1:2] offset:68
	s_waitcnt vmcnt(0) lgkmcnt(0)
	v_cmpx_ne_u32_e32 18, v1
	s_cbranch_execz .LBB56_434
; %bb.433:
	v_lshl_add_u32 v9, v1, 4, 0
	s_clause 0x1
	scratch_load_b128 v[1:4], v196, off
	scratch_load_b128 v[5:8], v9, off offset:-16
	s_waitcnt vmcnt(1)
	ds_store_2addr_b64 v0, v[1:2], v[3:4] offset1:1
	s_waitcnt vmcnt(0)
	s_clause 0x1
	scratch_store_b128 v196, v[5:8], off
	scratch_store_b128 v9, v[1:4], off offset:-16
.LBB56_434:
	s_or_b32 exec_lo, exec_lo, s0
	v_dual_mov_b32 v1, s16 :: v_dual_mov_b32 v2, s17
	s_mov_b32 s0, exec_lo
	flat_load_b32 v1, v[1:2] offset:64
	s_waitcnt vmcnt(0) lgkmcnt(0)
	v_cmpx_ne_u32_e32 17, v1
	s_cbranch_execz .LBB56_436
; %bb.435:
	v_lshl_add_u32 v9, v1, 4, 0
	s_clause 0x1
	scratch_load_b128 v[1:4], v197, off
	scratch_load_b128 v[5:8], v9, off offset:-16
	s_waitcnt vmcnt(1)
	ds_store_2addr_b64 v0, v[1:2], v[3:4] offset1:1
	s_waitcnt vmcnt(0)
	s_clause 0x1
	scratch_store_b128 v197, v[5:8], off
	scratch_store_b128 v9, v[1:4], off offset:-16
.LBB56_436:
	s_or_b32 exec_lo, exec_lo, s0
	v_dual_mov_b32 v1, s16 :: v_dual_mov_b32 v2, s17
	s_mov_b32 s0, exec_lo
	flat_load_b32 v1, v[1:2] offset:60
	s_waitcnt vmcnt(0) lgkmcnt(0)
	v_cmpx_ne_u32_e32 16, v1
	s_cbranch_execz .LBB56_438
; %bb.437:
	v_lshl_add_u32 v9, v1, 4, 0
	s_clause 0x1
	scratch_load_b128 v[1:4], v198, off
	scratch_load_b128 v[5:8], v9, off offset:-16
	s_waitcnt vmcnt(1)
	ds_store_2addr_b64 v0, v[1:2], v[3:4] offset1:1
	s_waitcnt vmcnt(0)
	s_clause 0x1
	scratch_store_b128 v198, v[5:8], off
	scratch_store_b128 v9, v[1:4], off offset:-16
.LBB56_438:
	s_or_b32 exec_lo, exec_lo, s0
	v_dual_mov_b32 v1, s16 :: v_dual_mov_b32 v2, s17
	s_mov_b32 s0, exec_lo
	flat_load_b32 v1, v[1:2] offset:56
	s_waitcnt vmcnt(0) lgkmcnt(0)
	v_cmpx_ne_u32_e32 15, v1
	s_cbranch_execz .LBB56_440
; %bb.439:
	v_lshl_add_u32 v9, v1, 4, 0
	s_clause 0x1
	scratch_load_b128 v[1:4], v199, off
	scratch_load_b128 v[5:8], v9, off offset:-16
	s_waitcnt vmcnt(1)
	ds_store_2addr_b64 v0, v[1:2], v[3:4] offset1:1
	s_waitcnt vmcnt(0)
	s_clause 0x1
	scratch_store_b128 v199, v[5:8], off
	scratch_store_b128 v9, v[1:4], off offset:-16
.LBB56_440:
	s_or_b32 exec_lo, exec_lo, s0
	v_dual_mov_b32 v1, s16 :: v_dual_mov_b32 v2, s17
	s_mov_b32 s0, exec_lo
	flat_load_b32 v1, v[1:2] offset:52
	s_waitcnt vmcnt(0) lgkmcnt(0)
	v_cmpx_ne_u32_e32 14, v1
	s_cbranch_execz .LBB56_442
; %bb.441:
	v_lshl_add_u32 v9, v1, 4, 0
	s_clause 0x1
	scratch_load_b128 v[1:4], v200, off
	scratch_load_b128 v[5:8], v9, off offset:-16
	s_waitcnt vmcnt(1)
	ds_store_2addr_b64 v0, v[1:2], v[3:4] offset1:1
	s_waitcnt vmcnt(0)
	s_clause 0x1
	scratch_store_b128 v200, v[5:8], off
	scratch_store_b128 v9, v[1:4], off offset:-16
.LBB56_442:
	s_or_b32 exec_lo, exec_lo, s0
	v_dual_mov_b32 v1, s16 :: v_dual_mov_b32 v2, s17
	s_mov_b32 s0, exec_lo
	flat_load_b32 v1, v[1:2] offset:48
	s_waitcnt vmcnt(0) lgkmcnt(0)
	v_cmpx_ne_u32_e32 13, v1
	s_cbranch_execz .LBB56_444
; %bb.443:
	v_lshl_add_u32 v9, v1, 4, 0
	s_clause 0x1
	scratch_load_b128 v[1:4], v201, off
	scratch_load_b128 v[5:8], v9, off offset:-16
	s_waitcnt vmcnt(1)
	ds_store_2addr_b64 v0, v[1:2], v[3:4] offset1:1
	s_waitcnt vmcnt(0)
	s_clause 0x1
	scratch_store_b128 v201, v[5:8], off
	scratch_store_b128 v9, v[1:4], off offset:-16
.LBB56_444:
	s_or_b32 exec_lo, exec_lo, s0
	v_dual_mov_b32 v1, s16 :: v_dual_mov_b32 v2, s17
	s_mov_b32 s0, exec_lo
	flat_load_b32 v1, v[1:2] offset:44
	s_waitcnt vmcnt(0) lgkmcnt(0)
	v_cmpx_ne_u32_e32 12, v1
	s_cbranch_execz .LBB56_446
; %bb.445:
	v_lshl_add_u32 v9, v1, 4, 0
	s_clause 0x1
	scratch_load_b128 v[1:4], v202, off
	scratch_load_b128 v[5:8], v9, off offset:-16
	s_waitcnt vmcnt(1)
	ds_store_2addr_b64 v0, v[1:2], v[3:4] offset1:1
	s_waitcnt vmcnt(0)
	s_clause 0x1
	scratch_store_b128 v202, v[5:8], off
	scratch_store_b128 v9, v[1:4], off offset:-16
.LBB56_446:
	s_or_b32 exec_lo, exec_lo, s0
	v_dual_mov_b32 v1, s16 :: v_dual_mov_b32 v2, s17
	s_mov_b32 s0, exec_lo
	flat_load_b32 v1, v[1:2] offset:40
	s_waitcnt vmcnt(0) lgkmcnt(0)
	v_cmpx_ne_u32_e32 11, v1
	s_cbranch_execz .LBB56_448
; %bb.447:
	v_lshl_add_u32 v9, v1, 4, 0
	s_clause 0x1
	scratch_load_b128 v[1:4], v203, off
	scratch_load_b128 v[5:8], v9, off offset:-16
	s_waitcnt vmcnt(1)
	ds_store_2addr_b64 v0, v[1:2], v[3:4] offset1:1
	s_waitcnt vmcnt(0)
	s_clause 0x1
	scratch_store_b128 v203, v[5:8], off
	scratch_store_b128 v9, v[1:4], off offset:-16
.LBB56_448:
	s_or_b32 exec_lo, exec_lo, s0
	v_dual_mov_b32 v1, s16 :: v_dual_mov_b32 v2, s17
	s_mov_b32 s0, exec_lo
	flat_load_b32 v1, v[1:2] offset:36
	s_waitcnt vmcnt(0) lgkmcnt(0)
	v_cmpx_ne_u32_e32 10, v1
	s_cbranch_execz .LBB56_450
; %bb.449:
	v_lshl_add_u32 v9, v1, 4, 0
	s_clause 0x1
	scratch_load_b128 v[1:4], v204, off
	scratch_load_b128 v[5:8], v9, off offset:-16
	s_waitcnt vmcnt(1)
	ds_store_2addr_b64 v0, v[1:2], v[3:4] offset1:1
	s_waitcnt vmcnt(0)
	s_clause 0x1
	scratch_store_b128 v204, v[5:8], off
	scratch_store_b128 v9, v[1:4], off offset:-16
.LBB56_450:
	s_or_b32 exec_lo, exec_lo, s0
	v_dual_mov_b32 v1, s16 :: v_dual_mov_b32 v2, s17
	s_mov_b32 s0, exec_lo
	flat_load_b32 v1, v[1:2] offset:32
	s_waitcnt vmcnt(0) lgkmcnt(0)
	v_cmpx_ne_u32_e32 9, v1
	s_cbranch_execz .LBB56_452
; %bb.451:
	v_lshl_add_u32 v9, v1, 4, 0
	s_clause 0x1
	scratch_load_b128 v[1:4], v205, off
	scratch_load_b128 v[5:8], v9, off offset:-16
	s_waitcnt vmcnt(1)
	ds_store_2addr_b64 v0, v[1:2], v[3:4] offset1:1
	s_waitcnt vmcnt(0)
	s_clause 0x1
	scratch_store_b128 v205, v[5:8], off
	scratch_store_b128 v9, v[1:4], off offset:-16
.LBB56_452:
	s_or_b32 exec_lo, exec_lo, s0
	v_dual_mov_b32 v1, s16 :: v_dual_mov_b32 v2, s17
	s_mov_b32 s0, exec_lo
	flat_load_b32 v1, v[1:2] offset:28
	s_waitcnt vmcnt(0) lgkmcnt(0)
	v_cmpx_ne_u32_e32 8, v1
	s_cbranch_execz .LBB56_454
; %bb.453:
	v_lshl_add_u32 v9, v1, 4, 0
	s_clause 0x1
	scratch_load_b128 v[1:4], v206, off
	scratch_load_b128 v[5:8], v9, off offset:-16
	s_waitcnt vmcnt(1)
	ds_store_2addr_b64 v0, v[1:2], v[3:4] offset1:1
	s_waitcnt vmcnt(0)
	s_clause 0x1
	scratch_store_b128 v206, v[5:8], off
	scratch_store_b128 v9, v[1:4], off offset:-16
.LBB56_454:
	s_or_b32 exec_lo, exec_lo, s0
	v_dual_mov_b32 v1, s16 :: v_dual_mov_b32 v2, s17
	s_mov_b32 s0, exec_lo
	flat_load_b32 v1, v[1:2] offset:24
	s_waitcnt vmcnt(0) lgkmcnt(0)
	v_cmpx_ne_u32_e32 7, v1
	s_cbranch_execz .LBB56_456
; %bb.455:
	v_lshl_add_u32 v9, v1, 4, 0
	s_clause 0x1
	scratch_load_b128 v[1:4], v207, off
	scratch_load_b128 v[5:8], v9, off offset:-16
	s_waitcnt vmcnt(1)
	ds_store_2addr_b64 v0, v[1:2], v[3:4] offset1:1
	s_waitcnt vmcnt(0)
	s_clause 0x1
	scratch_store_b128 v207, v[5:8], off
	scratch_store_b128 v9, v[1:4], off offset:-16
.LBB56_456:
	s_or_b32 exec_lo, exec_lo, s0
	v_dual_mov_b32 v1, s16 :: v_dual_mov_b32 v2, s17
	s_mov_b32 s0, exec_lo
	flat_load_b32 v1, v[1:2] offset:20
	s_waitcnt vmcnt(0) lgkmcnt(0)
	v_cmpx_ne_u32_e32 6, v1
	s_cbranch_execz .LBB56_458
; %bb.457:
	v_lshl_add_u32 v9, v1, 4, 0
	s_clause 0x1
	scratch_load_b128 v[1:4], v208, off
	scratch_load_b128 v[5:8], v9, off offset:-16
	s_waitcnt vmcnt(1)
	ds_store_2addr_b64 v0, v[1:2], v[3:4] offset1:1
	s_waitcnt vmcnt(0)
	s_clause 0x1
	scratch_store_b128 v208, v[5:8], off
	scratch_store_b128 v9, v[1:4], off offset:-16
.LBB56_458:
	s_or_b32 exec_lo, exec_lo, s0
	v_dual_mov_b32 v1, s16 :: v_dual_mov_b32 v2, s17
	s_mov_b32 s0, exec_lo
	flat_load_b32 v1, v[1:2] offset:16
	s_waitcnt vmcnt(0) lgkmcnt(0)
	v_cmpx_ne_u32_e32 5, v1
	s_cbranch_execz .LBB56_460
; %bb.459:
	v_lshl_add_u32 v9, v1, 4, 0
	s_clause 0x1
	scratch_load_b128 v[1:4], v209, off
	scratch_load_b128 v[5:8], v9, off offset:-16
	s_waitcnt vmcnt(1)
	ds_store_2addr_b64 v0, v[1:2], v[3:4] offset1:1
	s_waitcnt vmcnt(0)
	s_clause 0x1
	scratch_store_b128 v209, v[5:8], off
	scratch_store_b128 v9, v[1:4], off offset:-16
.LBB56_460:
	s_or_b32 exec_lo, exec_lo, s0
	v_dual_mov_b32 v1, s16 :: v_dual_mov_b32 v2, s17
	s_mov_b32 s0, exec_lo
	flat_load_b32 v1, v[1:2] offset:12
	s_waitcnt vmcnt(0) lgkmcnt(0)
	v_cmpx_ne_u32_e32 4, v1
	s_cbranch_execz .LBB56_462
; %bb.461:
	v_lshl_add_u32 v9, v1, 4, 0
	s_clause 0x1
	scratch_load_b128 v[1:4], v210, off
	scratch_load_b128 v[5:8], v9, off offset:-16
	s_waitcnt vmcnt(1)
	ds_store_2addr_b64 v0, v[1:2], v[3:4] offset1:1
	s_waitcnt vmcnt(0)
	s_clause 0x1
	scratch_store_b128 v210, v[5:8], off
	scratch_store_b128 v9, v[1:4], off offset:-16
.LBB56_462:
	s_or_b32 exec_lo, exec_lo, s0
	v_dual_mov_b32 v1, s16 :: v_dual_mov_b32 v2, s17
	s_mov_b32 s0, exec_lo
	flat_load_b32 v1, v[1:2] offset:8
	s_waitcnt vmcnt(0) lgkmcnt(0)
	v_cmpx_ne_u32_e32 3, v1
	s_cbranch_execz .LBB56_464
; %bb.463:
	v_lshl_add_u32 v9, v1, 4, 0
	s_clause 0x1
	scratch_load_b128 v[1:4], v211, off
	scratch_load_b128 v[5:8], v9, off offset:-16
	s_waitcnt vmcnt(1)
	ds_store_2addr_b64 v0, v[1:2], v[3:4] offset1:1
	s_waitcnt vmcnt(0)
	s_clause 0x1
	scratch_store_b128 v211, v[5:8], off
	scratch_store_b128 v9, v[1:4], off offset:-16
.LBB56_464:
	s_or_b32 exec_lo, exec_lo, s0
	v_dual_mov_b32 v1, s16 :: v_dual_mov_b32 v2, s17
	s_mov_b32 s0, exec_lo
	flat_load_b32 v1, v[1:2] offset:4
	s_waitcnt vmcnt(0) lgkmcnt(0)
	v_cmpx_ne_u32_e32 2, v1
	s_cbranch_execz .LBB56_466
; %bb.465:
	v_lshl_add_u32 v9, v1, 4, 0
	s_clause 0x1
	scratch_load_b128 v[1:4], v212, off
	scratch_load_b128 v[5:8], v9, off offset:-16
	s_waitcnt vmcnt(1)
	ds_store_2addr_b64 v0, v[1:2], v[3:4] offset1:1
	s_waitcnt vmcnt(0)
	s_clause 0x1
	scratch_store_b128 v212, v[5:8], off
	scratch_store_b128 v9, v[1:4], off offset:-16
.LBB56_466:
	s_or_b32 exec_lo, exec_lo, s0
	v_dual_mov_b32 v1, s16 :: v_dual_mov_b32 v2, s17
	s_mov_b32 s0, exec_lo
	flat_load_b32 v1, v[1:2]
	s_waitcnt vmcnt(0) lgkmcnt(0)
	v_cmpx_ne_u32_e32 1, v1
	s_cbranch_execz .LBB56_468
; %bb.467:
	v_lshl_add_u32 v9, v1, 4, 0
	scratch_load_b128 v[1:4], off, off
	scratch_load_b128 v[5:8], v9, off offset:-16
	s_waitcnt vmcnt(1)
	ds_store_2addr_b64 v0, v[1:2], v[3:4] offset1:1
	s_waitcnt vmcnt(0)
	scratch_store_b128 off, v[5:8], off
	scratch_store_b128 v9, v[1:4], off offset:-16
.LBB56_468:
	s_or_b32 exec_lo, exec_lo, s0
.LBB56_469:
	scratch_load_b128 v[0:3], off, off
	s_clause 0x13
	scratch_load_b128 v[4:7], v212, off
	scratch_load_b128 v[8:11], v211, off
	;; [unrolled: 1-line block ×20, first 2 shown]
	s_waitcnt vmcnt(20)
	global_store_b128 v[42:43], v[0:3], off
	s_clause 0x1
	scratch_load_b128 v[0:3], v255, off
	scratch_load_b128 v[40:43], v254, off
	s_waitcnt vmcnt(21)
	global_store_b128 v[44:45], v[4:7], off
	s_clause 0x1
	scratch_load_b128 v[4:7], v253, off
	scratch_load_b128 v[241:244], v232, off
	s_waitcnt vmcnt(22)
	global_store_b128 v[46:47], v[8:11], off
	s_clause 0x1
	scratch_load_b128 v[8:11], v231, off
	scratch_load_b128 v[44:47], v230, off
	s_waitcnt vmcnt(23)
	global_store_b128 v[48:49], v[12:15], off
	s_clause 0x1
	scratch_load_b128 v[12:15], v229, off
	scratch_load_b128 v[228:231], v228, off
	s_waitcnt vmcnt(24)
	global_store_b128 v[50:51], v[16:19], off
	s_clause 0x1
	scratch_load_b128 v[16:19], v227, off
	scratch_load_b128 v[48:51], v226, off
	s_waitcnt vmcnt(25)
	global_store_b128 v[52:53], v[20:23], off
	s_clause 0x1
	scratch_load_b128 v[20:23], v225, off
	scratch_load_b128 v[224:227], v224, off
	s_waitcnt vmcnt(26)
	global_store_b128 v[54:55], v[24:27], off
	s_clause 0x1
	scratch_load_b128 v[24:27], v223, off
	scratch_load_b128 v[52:55], v222, off
	s_waitcnt vmcnt(27)
	global_store_b128 v[56:57], v[28:31], off
	s_clause 0x1
	scratch_load_b128 v[28:31], v221, off
	scratch_load_b128 v[220:223], v220, off
	s_waitcnt vmcnt(28)
	global_store_b128 v[58:59], v[32:35], off
	s_clause 0x1
	scratch_load_b128 v[32:35], v219, off
	scratch_load_b128 v[56:59], v218, off
	s_waitcnt vmcnt(29)
	global_store_b128 v[70:71], v[36:39], off
	s_clause 0x1
	scratch_load_b128 v[36:39], v217, off
	scratch_load_b128 v[216:219], v216, off
	s_waitcnt vmcnt(30)
	global_store_b128 v[60:61], v[175:178], off
	s_clause 0x1
	scratch_load_b128 v[175:178], v215, off
	scratch_load_b128 v[211:214], v214, off
	s_waitcnt vmcnt(31)
	global_store_b128 v[72:73], v[179:182], off
	s_clause 0x1
	scratch_load_b128 v[70:73], v174, off
	scratch_load_b128 v[171:174], v173, off
	s_waitcnt vmcnt(32)
	global_store_b128 v[62:63], v[183:186], off
	s_clause 0x1
	scratch_load_b128 v[60:63], v170, off
	scratch_load_b128 v[167:170], v169, off
	s_waitcnt vmcnt(33)
	global_store_b128 v[66:67], v[187:190], off
	s_clause 0x1
	scratch_load_b128 v[179:182], v166, off
	scratch_load_b128 v[183:186], v165, off
	s_waitcnt vmcnt(34)
	global_store_b128 v[64:65], v[199:202], off
	s_clause 0x1
	scratch_load_b128 v[64:67], v164, off
	scratch_load_b128 v[163:166], v163, off
	s_waitcnt vmcnt(35)
	global_store_b128 v[68:69], v[203:206], off
	s_clause 0x1
	scratch_load_b128 v[187:190], v162, off
	scratch_load_b128 v[199:202], v161, off
	s_waitcnt vmcnt(36)
	global_store_b128 v[74:75], v[207:210], off
	s_clause 0x1
	scratch_load_b128 v[203:206], v160, off
	scratch_load_b128 v[159:162], v159, off
	s_waitcnt vmcnt(37)
	global_store_b128 v[76:77], v[233:236], off
	s_clause 0x1
	scratch_load_b128 v[74:77], v158, off
	scratch_load_b128 v[207:210], v157, off
	s_waitcnt vmcnt(38)
	global_store_b128 v[78:79], v[195:198], off
	s_waitcnt vmcnt(37)
	global_store_b128 v[80:81], v[237:240], off
	;; [unrolled: 2-line block ×39, first 2 shown]
	s_endpgm
	.section	.rodata,"a",@progbits
	.p2align	6, 0x0
	.amdhsa_kernel _ZN9rocsolver6v33100L18getri_kernel_smallILi57E19rocblas_complex_numIdEPS3_EEvT1_iilPiilS6_bb
		.amdhsa_group_segment_fixed_size 2856
		.amdhsa_private_segment_fixed_size 928
		.amdhsa_kernarg_size 60
		.amdhsa_user_sgpr_count 15
		.amdhsa_user_sgpr_dispatch_ptr 1
		.amdhsa_user_sgpr_queue_ptr 0
		.amdhsa_user_sgpr_kernarg_segment_ptr 1
		.amdhsa_user_sgpr_dispatch_id 0
		.amdhsa_user_sgpr_private_segment_size 0
		.amdhsa_wavefront_size32 1
		.amdhsa_uses_dynamic_stack 0
		.amdhsa_enable_private_segment 1
		.amdhsa_system_sgpr_workgroup_id_x 1
		.amdhsa_system_sgpr_workgroup_id_y 0
		.amdhsa_system_sgpr_workgroup_id_z 0
		.amdhsa_system_sgpr_workgroup_info 0
		.amdhsa_system_vgpr_workitem_id 2
		.amdhsa_next_free_vgpr 256
		.amdhsa_next_free_sgpr 63
		.amdhsa_reserve_vcc 1
		.amdhsa_float_round_mode_32 0
		.amdhsa_float_round_mode_16_64 0
		.amdhsa_float_denorm_mode_32 3
		.amdhsa_float_denorm_mode_16_64 3
		.amdhsa_dx10_clamp 1
		.amdhsa_ieee_mode 1
		.amdhsa_fp16_overflow 0
		.amdhsa_workgroup_processor_mode 1
		.amdhsa_memory_ordered 1
		.amdhsa_forward_progress 0
		.amdhsa_shared_vgpr_count 0
		.amdhsa_exception_fp_ieee_invalid_op 0
		.amdhsa_exception_fp_denorm_src 0
		.amdhsa_exception_fp_ieee_div_zero 0
		.amdhsa_exception_fp_ieee_overflow 0
		.amdhsa_exception_fp_ieee_underflow 0
		.amdhsa_exception_fp_ieee_inexact 0
		.amdhsa_exception_int_div_zero 0
	.end_amdhsa_kernel
	.section	.text._ZN9rocsolver6v33100L18getri_kernel_smallILi57E19rocblas_complex_numIdEPS3_EEvT1_iilPiilS6_bb,"axG",@progbits,_ZN9rocsolver6v33100L18getri_kernel_smallILi57E19rocblas_complex_numIdEPS3_EEvT1_iilPiilS6_bb,comdat
.Lfunc_end56:
	.size	_ZN9rocsolver6v33100L18getri_kernel_smallILi57E19rocblas_complex_numIdEPS3_EEvT1_iilPiilS6_bb, .Lfunc_end56-_ZN9rocsolver6v33100L18getri_kernel_smallILi57E19rocblas_complex_numIdEPS3_EEvT1_iilPiilS6_bb
                                        ; -- End function
	.section	.AMDGPU.csdata,"",@progbits
; Kernel info:
; codeLenInByte = 143892
; NumSgprs: 65
; NumVgprs: 256
; ScratchSize: 928
; MemoryBound: 0
; FloatMode: 240
; IeeeMode: 1
; LDSByteSize: 2856 bytes/workgroup (compile time only)
; SGPRBlocks: 8
; VGPRBlocks: 31
; NumSGPRsForWavesPerEU: 65
; NumVGPRsForWavesPerEU: 256
; Occupancy: 5
; WaveLimiterHint : 1
; COMPUTE_PGM_RSRC2:SCRATCH_EN: 1
; COMPUTE_PGM_RSRC2:USER_SGPR: 15
; COMPUTE_PGM_RSRC2:TRAP_HANDLER: 0
; COMPUTE_PGM_RSRC2:TGID_X_EN: 1
; COMPUTE_PGM_RSRC2:TGID_Y_EN: 0
; COMPUTE_PGM_RSRC2:TGID_Z_EN: 0
; COMPUTE_PGM_RSRC2:TIDIG_COMP_CNT: 2
	.section	.text._ZN9rocsolver6v33100L18getri_kernel_smallILi58E19rocblas_complex_numIdEPS3_EEvT1_iilPiilS6_bb,"axG",@progbits,_ZN9rocsolver6v33100L18getri_kernel_smallILi58E19rocblas_complex_numIdEPS3_EEvT1_iilPiilS6_bb,comdat
	.globl	_ZN9rocsolver6v33100L18getri_kernel_smallILi58E19rocblas_complex_numIdEPS3_EEvT1_iilPiilS6_bb ; -- Begin function _ZN9rocsolver6v33100L18getri_kernel_smallILi58E19rocblas_complex_numIdEPS3_EEvT1_iilPiilS6_bb
	.p2align	8
	.type	_ZN9rocsolver6v33100L18getri_kernel_smallILi58E19rocblas_complex_numIdEPS3_EEvT1_iilPiilS6_bb,@function
_ZN9rocsolver6v33100L18getri_kernel_smallILi58E19rocblas_complex_numIdEPS3_EEvT1_iilPiilS6_bb: ; @_ZN9rocsolver6v33100L18getri_kernel_smallILi58E19rocblas_complex_numIdEPS3_EEvT1_iilPiilS6_bb
; %bb.0:
	v_and_b32_e32 v158, 0x3ff, v0
	s_mov_b32 s4, exec_lo
	s_delay_alu instid0(VALU_DEP_1)
	v_cmpx_gt_u32_e32 58, v158
	s_cbranch_execz .LBB57_246
; %bb.1:
	s_mov_b32 s18, s15
	s_clause 0x2
	s_load_b32 s21, s[2:3], 0x38
	s_load_b128 s[12:15], s[2:3], 0x10
	s_load_b128 s[4:7], s[2:3], 0x28
                                        ; implicit-def: $sgpr16_sgpr17
	s_waitcnt lgkmcnt(0)
	s_bitcmp1_b32 s21, 8
	s_cselect_b32 s20, -1, 0
	s_bfe_u32 s8, s21, 0x10008
	s_ashr_i32 s19, s18, 31
	s_cmp_eq_u32 s8, 0
	s_cbranch_scc1 .LBB57_3
; %bb.2:
	s_load_b32 s8, s[2:3], 0x20
	s_mul_i32 s5, s18, s5
	s_mul_hi_u32 s9, s18, s4
	s_mul_i32 s10, s19, s4
	s_add_i32 s5, s9, s5
	s_mul_i32 s4, s18, s4
	s_add_i32 s5, s5, s10
	s_delay_alu instid0(SALU_CYCLE_1)
	s_lshl_b64 s[4:5], s[4:5], 2
	s_waitcnt lgkmcnt(0)
	s_ashr_i32 s9, s8, 31
	s_add_u32 s10, s14, s4
	s_addc_u32 s11, s15, s5
	s_lshl_b64 s[4:5], s[8:9], 2
	s_delay_alu instid0(SALU_CYCLE_1)
	s_add_u32 s16, s10, s4
	s_addc_u32 s17, s11, s5
.LBB57_3:
	s_load_b128 s[8:11], s[2:3], 0x0
	s_mul_i32 s2, s18, s13
	s_mul_hi_u32 s3, s18, s12
	s_mul_i32 s4, s19, s12
	s_add_i32 s3, s3, s2
	s_mul_i32 s2, s18, s12
	s_add_i32 s3, s3, s4
	v_lshlrev_b32_e32 v13, 4, v158
	s_lshl_b64 s[2:3], s[2:3], 4
	s_movk_i32 s27, 0x160
	s_movk_i32 s28, 0x170
	;; [unrolled: 1-line block ×11, first 2 shown]
	s_waitcnt lgkmcnt(0)
	s_ashr_i32 s5, s10, 31
	s_mov_b32 s4, s10
	s_add_u32 s8, s8, s2
	s_addc_u32 s9, s9, s3
	s_lshl_b64 s[2:3], s[4:5], 4
	v_add3_u32 v5, s11, s11, v158
	s_add_u32 s2, s8, s2
	s_addc_u32 s3, s9, s3
	v_add_co_u32 v42, s8, s2, v13
	global_load_b128 v[1:4], v13, s[2:3]
	v_add_nc_u32_e32 v7, s11, v5
	v_ashrrev_i32_e32 v6, 31, v5
	s_mov_b32 s4, s11
	s_ashr_i32 s5, s11, 31
	v_add_co_ci_u32_e64 v43, null, s3, 0, s8
	v_add_nc_u32_e32 v9, s11, v7
	v_ashrrev_i32_e32 v8, 31, v7
	v_lshlrev_b64 v[5:6], 4, v[5:6]
	s_lshl_b64 s[4:5], s[4:5], 4
	s_movk_i32 s39, 0x210
	v_add_nc_u32_e32 v14, s11, v9
	v_ashrrev_i32_e32 v10, 31, v9
	v_add_co_u32 v25, vcc_lo, v42, s4
	v_lshlrev_b64 v[17:18], 4, v[7:8]
	s_delay_alu instid0(VALU_DEP_4) | instskip(SKIP_2) | instid1(VALU_DEP_3)
	v_add_nc_u32_e32 v16, s11, v14
	v_add_co_ci_u32_e32 v26, vcc_lo, s5, v43, vcc_lo
	v_add_co_u32 v11, vcc_lo, s2, v5
	v_add_nc_u32_e32 v22, s11, v16
	v_lshlrev_b64 v[19:20], 4, v[9:10]
	v_add_co_ci_u32_e32 v12, vcc_lo, s3, v6, vcc_lo
	v_add_co_u32 v33, vcc_lo, s2, v17
	s_delay_alu instid0(VALU_DEP_4) | instskip(SKIP_2) | instid1(VALU_DEP_3)
	v_add_nc_u32_e32 v24, s11, v22
	v_add_co_ci_u32_e32 v34, vcc_lo, s3, v18, vcc_lo
	v_add_co_u32 v18, vcc_lo, s2, v19
	v_add_nc_u32_e32 v30, s11, v24
	v_ashrrev_i32_e32 v15, 31, v14
	v_add_co_ci_u32_e32 v19, vcc_lo, s3, v20, vcc_lo
	v_ashrrev_i32_e32 v17, 31, v16
	s_delay_alu instid0(VALU_DEP_4)
	v_add_nc_u32_e32 v32, s11, v30
	s_clause 0x1
	scratch_store_b64 off, v[25:26], off offset:1004
	scratch_store_b64 off, v[18:19], off offset:1012
	s_clause 0x1
	global_load_b128 v[5:8], v[25:26], off
	global_load_b128 v[18:21], v[18:19], off
	v_add_nc_u32_e32 v38, s11, v32
	v_lshlrev_b64 v[25:26], 4, v[14:15]
	scratch_store_b64 off, v[33:34], off offset:1020 ; 8-byte Folded Spill
	v_lshlrev_b64 v[27:28], 4, v[16:17]
	v_ashrrev_i32_e32 v23, 31, v22
	v_add_nc_u32_e32 v40, s11, v38
	global_load_b128 v[14:17], v[33:34], off
	v_add_co_u32 v44, vcc_lo, s2, v25
	v_add_co_ci_u32_e32 v45, vcc_lo, s3, v26, vcc_lo
	v_add_nc_u32_e32 v64, s11, v40
	v_add_co_u32 v26, vcc_lo, s2, v27
	v_add_co_ci_u32_e32 v27, vcc_lo, s3, v28, vcc_lo
	s_delay_alu instid0(VALU_DEP_3)
	v_add_nc_u32_e32 v68, s11, v64
	v_ashrrev_i32_e32 v25, 31, v24
	s_clause 0x1
	scratch_store_b64 off, v[44:45], off offset:1036
	scratch_store_b64 off, v[26:27], off offset:1028
	global_load_b128 v[26:29], v[26:27], off
	v_add_nc_u32_e32 v72, s11, v68
	v_lshlrev_b64 v[33:34], 4, v[22:23]
	v_ashrrev_i32_e32 v31, 31, v30
	v_lshlrev_b64 v[35:36], 4, v[24:25]
	global_load_b128 v[22:25], v[44:45], off
	v_add_nc_u32_e32 v74, s11, v72
	scratch_store_b64 off, v[11:12], off offset:996 ; 8-byte Folded Spill
	v_add_co_u32 v44, vcc_lo, s2, v33
	v_ashrrev_i32_e32 v33, 31, v32
	v_add_nc_u32_e32 v76, s11, v74
	v_lshlrev_b64 v[60:61], 4, v[30:31]
	global_load_b128 v[9:12], v[11:12], off
	v_ashrrev_i32_e32 v39, 31, v38
	v_add_co_ci_u32_e32 v45, vcc_lo, s3, v34, vcc_lo
	v_add_nc_u32_e32 v78, s11, v76
	v_add_co_u32 v34, vcc_lo, s2, v35
	v_lshlrev_b64 v[65:66], 4, v[32:33]
	v_add_co_ci_u32_e32 v35, vcc_lo, s3, v36, vcc_lo
	s_delay_alu instid0(VALU_DEP_4) | instskip(SKIP_3) | instid1(VALU_DEP_4)
	v_add_nc_u32_e32 v80, s11, v78
	v_add_co_u32 v62, vcc_lo, s2, v60
	v_lshlrev_b64 v[69:70], 4, v[38:39]
	v_ashrrev_i32_e32 v41, 31, v40
	v_add_nc_u32_e32 v82, s11, v80
	v_add_co_ci_u32_e32 v63, vcc_lo, s3, v61, vcc_lo
	v_add_co_u32 v60, vcc_lo, s2, v65
	s_delay_alu instid0(VALU_DEP_3) | instskip(SKIP_3) | instid1(VALU_DEP_4)
	v_add_nc_u32_e32 v84, s11, v82
	v_ashrrev_i32_e32 v65, 31, v64
	v_add_co_ci_u32_e32 v61, vcc_lo, s3, v66, vcc_lo
	v_lshlrev_b64 v[97:98], 4, v[40:41]
	v_add_nc_u32_e32 v86, s11, v84
	v_add_co_u32 v66, vcc_lo, s2, v69
	v_ashrrev_i32_e32 v69, 31, v68
	v_add_co_ci_u32_e32 v67, vcc_lo, s3, v70, vcc_lo
	s_delay_alu instid0(VALU_DEP_4) | instskip(SKIP_3) | instid1(VALU_DEP_4)
	v_add_nc_u32_e32 v88, s11, v86
	v_lshlrev_b64 v[70:71], 4, v[64:65]
	v_ashrrev_i32_e32 v73, 31, v72
	v_add_co_u32 v64, vcc_lo, s2, v97
	v_add_nc_u32_e32 v90, s11, v88
	v_lshlrev_b64 v[68:69], 4, v[68:69]
	s_clause 0x1
	scratch_store_b64 off, v[44:45], off offset:1052
	scratch_store_b64 off, v[34:35], off offset:1044
	s_clause 0x1
	global_load_b128 v[30:33], v[44:45], off
	global_load_b128 v[34:37], v[34:35], off
	v_add_nc_u32_e32 v92, s11, v90
	v_ashrrev_i32_e32 v75, 31, v74
	s_clause 0x1
	global_load_b128 v[38:41], v[62:63], off
	global_load_b128 v[122:125], v[60:61], off
	v_add_co_ci_u32_e32 v65, vcc_lo, s3, v98, vcc_lo
	v_add_nc_u32_e32 v94, s11, v92
	v_add_co_u32 v70, vcc_lo, s2, v70
	v_lshlrev_b64 v[72:73], 4, v[72:73]
	v_ashrrev_i32_e32 v77, 31, v76
	s_delay_alu instid0(VALU_DEP_4) | instskip(SKIP_2) | instid1(VALU_DEP_3)
	v_add_nc_u32_e32 v96, s11, v94
	v_add_co_ci_u32_e32 v71, vcc_lo, s3, v71, vcc_lo
	v_add_co_u32 v68, vcc_lo, s2, v68
	v_add_nc_u32_e32 v100, s11, v96
	v_lshlrev_b64 v[97:98], 4, v[74:75]
	v_ashrrev_i32_e32 v79, 31, v78
	v_add_co_ci_u32_e32 v69, vcc_lo, s3, v69, vcc_lo
	s_delay_alu instid0(VALU_DEP_4)
	v_add_nc_u32_e32 v102, s11, v100
	v_add_co_u32 v74, vcc_lo, s2, v72
	v_lshlrev_b64 v[76:77], 4, v[76:77]
	s_clause 0x1
	global_load_b128 v[126:129], v[66:67], off
	global_load_b128 v[130:133], v[64:65], off
	v_add_nc_u32_e32 v104, s11, v102
	v_ashrrev_i32_e32 v81, 31, v80
	v_add_co_ci_u32_e32 v75, vcc_lo, s3, v73, vcc_lo
	v_add_co_u32 v72, vcc_lo, s2, v97
	s_delay_alu instid0(VALU_DEP_4) | instskip(SKIP_3) | instid1(VALU_DEP_4)
	v_add_nc_u32_e32 v106, s11, v104
	v_lshlrev_b64 v[78:79], 4, v[78:79]
	v_ashrrev_i32_e32 v83, 31, v82
	v_add_co_ci_u32_e32 v73, vcc_lo, s3, v98, vcc_lo
	v_add_nc_u32_e32 v108, s11, v106
	v_add_co_u32 v76, vcc_lo, s2, v76
	v_lshlrev_b64 v[80:81], 4, v[80:81]
	s_clause 0x1
	global_load_b128 v[134:137], v[70:71], off
	global_load_b128 v[138:141], v[68:69], off
	v_add_nc_u32_e32 v110, s11, v108
	v_ashrrev_i32_e32 v85, 31, v84
	v_add_co_ci_u32_e32 v77, vcc_lo, s3, v77, vcc_lo
	v_add_co_u32 v78, vcc_lo, s2, v78
	s_delay_alu instid0(VALU_DEP_4) | instskip(SKIP_3) | instid1(VALU_DEP_4)
	v_add_nc_u32_e32 v112, s11, v110
	v_lshlrev_b64 v[82:83], 4, v[82:83]
	v_ashrrev_i32_e32 v87, 31, v86
	v_add_co_ci_u32_e32 v79, vcc_lo, s3, v79, vcc_lo
	v_add_nc_u32_e32 v114, s11, v112
	v_add_co_u32 v80, vcc_lo, s2, v80
	v_lshlrev_b64 v[84:85], 4, v[84:85]
	v_ashrrev_i32_e32 v89, 31, v88
	s_delay_alu instid0(VALU_DEP_4) | instskip(SKIP_2) | instid1(VALU_DEP_3)
	v_add_nc_u32_e32 v116, s11, v114
	v_add_co_ci_u32_e32 v81, vcc_lo, s3, v81, vcc_lo
	v_add_co_u32 v82, vcc_lo, s2, v82
	v_add_nc_u32_e32 v118, s11, v116
	v_lshlrev_b64 v[86:87], 4, v[86:87]
	v_ashrrev_i32_e32 v91, 31, v90
	v_add_co_ci_u32_e32 v83, vcc_lo, s3, v83, vcc_lo
	s_delay_alu instid0(VALU_DEP_4) | instskip(SKIP_3) | instid1(VALU_DEP_4)
	v_add_nc_u32_e32 v120, s11, v118
	v_add_co_u32 v84, vcc_lo, s2, v84
	v_lshlrev_b64 v[88:89], 4, v[88:89]
	v_ashrrev_i32_e32 v93, 31, v92
	v_add_nc_u32_e32 v195, s11, v120
	v_add_co_ci_u32_e32 v85, vcc_lo, s3, v85, vcc_lo
	v_add_co_u32 v86, vcc_lo, s2, v86
	s_delay_alu instid0(VALU_DEP_3) | instskip(SKIP_3) | instid1(VALU_DEP_4)
	v_add_nc_u32_e32 v197, s11, v195
	v_lshlrev_b64 v[90:91], 4, v[90:91]
	v_add_co_ci_u32_e32 v87, vcc_lo, s3, v87, vcc_lo
	v_add_co_u32 v88, vcc_lo, s2, v88
	v_add_nc_u32_e32 v199, s11, v197
	v_lshlrev_b64 v[92:93], 4, v[92:93]
	v_ashrrev_i32_e32 v95, 31, v94
	s_clause 0x1
	global_load_b128 v[142:145], v[74:75], off
	global_load_b128 v[146:149], v[72:73], off
	v_add_co_ci_u32_e32 v89, vcc_lo, s3, v89, vcc_lo
	v_add_nc_u32_e32 v201, s11, v199
	v_add_co_u32 v90, vcc_lo, s2, v90
	v_ashrrev_i32_e32 v97, 31, v96
	v_add_co_ci_u32_e32 v91, vcc_lo, s3, v91, vcc_lo
	s_delay_alu instid0(VALU_DEP_4) | instskip(SKIP_3) | instid1(VALU_DEP_4)
	v_add_nc_u32_e32 v203, s11, v201
	v_lshlrev_b64 v[98:99], 4, v[94:95]
	v_add_co_u32 v94, vcc_lo, s2, v92
	v_add_co_ci_u32_e32 v95, vcc_lo, s3, v93, vcc_lo
	v_add_nc_u32_e32 v205, s11, v203
	v_lshlrev_b64 v[92:93], 4, v[96:97]
	v_add_co_u32 v96, vcc_lo, s2, v98
	v_add_co_ci_u32_e32 v97, vcc_lo, s3, v99, vcc_lo
	s_delay_alu instid0(VALU_DEP_4) | instskip(NEXT) | instid1(VALU_DEP_4)
	v_add_nc_u32_e32 v207, s11, v205
	v_add_co_u32 v98, vcc_lo, s2, v92
	s_clause 0x1
	global_load_b128 v[150:153], v[76:77], off
	global_load_b128 v[154:157], v[78:79], off
	v_add_co_ci_u32_e32 v99, vcc_lo, s3, v93, vcc_lo
	v_add_nc_u32_e32 v209, s11, v207
	v_ashrrev_i32_e32 v101, 31, v100
	s_clause 0x7
	global_load_b128 v[159:162], v[80:81], off
	global_load_b128 v[163:166], v[82:83], off
	;; [unrolled: 1-line block ×8, first 2 shown]
	v_add_nc_u32_e32 v211, s11, v209
	v_lshlrev_b64 v[100:101], 4, v[100:101]
	global_load_b128 v[191:194], v[98:99], off
	v_ashrrev_i32_e32 v103, 31, v102
	v_ashrrev_i32_e32 v105, 31, v104
	v_add_nc_u32_e32 v213, s11, v211
	v_ashrrev_i32_e32 v107, 31, v106
	v_ashrrev_i32_e32 v109, 31, v108
	v_lshlrev_b64 v[102:103], 4, v[102:103]
	v_lshlrev_b64 v[104:105], 4, v[104:105]
	v_add_nc_u32_e32 v44, s11, v213
	v_lshlrev_b64 v[106:107], 4, v[106:107]
	v_ashrrev_i32_e32 v111, 31, v110
	v_lshlrev_b64 v[108:109], 4, v[108:109]
	v_ashrrev_i32_e32 v113, 31, v112
	v_add_nc_u32_e32 v46, s11, v44
	v_ashrrev_i32_e32 v115, 31, v114
	v_lshlrev_b64 v[110:111], 4, v[110:111]
	v_ashrrev_i32_e32 v117, 31, v116
	v_lshlrev_b64 v[112:113], 4, v[112:113]
	v_add_nc_u32_e32 v48, s11, v46
	v_lshlrev_b64 v[114:115], 4, v[114:115]
	v_ashrrev_i32_e32 v119, 31, v118
	v_lshlrev_b64 v[116:117], 4, v[116:117]
	v_ashrrev_i32_e32 v121, 31, v120
	v_add_nc_u32_e32 v50, s11, v48
	v_ashrrev_i32_e32 v196, 31, v195
	v_lshlrev_b64 v[118:119], 4, v[118:119]
	v_ashrrev_i32_e32 v198, 31, v197
	v_lshlrev_b64 v[120:121], 4, v[120:121]
	v_add_nc_u32_e32 v52, s11, v50
	v_lshlrev_b64 v[195:196], 4, v[195:196]
	v_ashrrev_i32_e32 v200, 31, v199
	v_lshlrev_b64 v[197:198], 4, v[197:198]
	v_ashrrev_i32_e32 v202, 31, v201
	v_add_nc_u32_e32 v54, s11, v52
	v_ashrrev_i32_e32 v204, 31, v203
	v_ashrrev_i32_e32 v206, 31, v205
	;; [unrolled: 1-line block ×4, first 2 shown]
	v_add_nc_u32_e32 v56, s11, v54
	v_ashrrev_i32_e32 v212, 31, v211
	v_ashrrev_i32_e32 v214, 31, v213
	;; [unrolled: 1-line block ×4, first 2 shown]
	v_add_nc_u32_e32 v58, s11, v56
	v_ashrrev_i32_e32 v49, 31, v48
	v_ashrrev_i32_e32 v51, 31, v50
	v_lshlrev_b64 v[44:45], 4, v[44:45]
	v_lshlrev_b64 v[46:47], 4, v[46:47]
	v_add_nc_u32_e32 v92, s11, v58
	v_ashrrev_i32_e32 v53, 31, v52
	v_ashrrev_i32_e32 v55, 31, v54
	;; [unrolled: 1-line block ×5, first 2 shown]
	s_movk_i32 s40, 0x220
	s_movk_i32 s41, 0x230
	;; [unrolled: 1-line block ×4, first 2 shown]
	v_lshlrev_b64 v[92:93], 4, v[92:93]
	s_movk_i32 s44, 0x260
	s_movk_i32 s4, 0x70
	;; [unrolled: 1-line block ×5, first 2 shown]
	v_add_co_u32 v92, vcc_lo, s2, v92
	v_add_co_ci_u32_e32 v93, vcc_lo, s3, v93, vcc_lo
	v_add_co_u32 v100, vcc_lo, s2, v100
	v_add_co_ci_u32_e32 v101, vcc_lo, s3, v101, vcc_lo
	global_load_b128 v[216:219], v[92:93], off
	v_add_co_u32 v102, vcc_lo, s2, v102
	v_add_co_ci_u32_e32 v103, vcc_lo, s3, v103, vcc_lo
	v_add_co_u32 v104, vcc_lo, s2, v104
	v_add_co_ci_u32_e32 v105, vcc_lo, s3, v105, vcc_lo
	v_add_co_u32 v106, vcc_lo, s2, v106
	s_waitcnt vmcnt(28)
	scratch_store_b128 off, v[1:4], off
	global_load_b128 v[1:4], v[100:101], off
	v_add_co_ci_u32_e32 v107, vcc_lo, s3, v107, vcc_lo
	v_add_co_u32 v108, vcc_lo, s2, v108
	v_add_co_ci_u32_e32 v109, vcc_lo, s3, v109, vcc_lo
	v_add_co_u32 v110, vcc_lo, s2, v110
	;; [unrolled: 2-line block ×3, first 2 shown]
	v_add_co_ci_u32_e32 v113, vcc_lo, s3, v113, vcc_lo
	s_waitcnt vmcnt(28)
	scratch_store_b128 off, v[5:8], off offset:16
	s_waitcnt vmcnt(23)
	scratch_store_b128 off, v[9:12], off offset:32
	s_clause 0x1
	global_load_b128 v[5:8], v[102:103], off
	global_load_b128 v[9:12], v[104:105], off
	s_clause 0x1
	scratch_store_b128 off, v[14:17], off offset:48
	scratch_store_b128 off, v[18:21], off offset:64
	s_clause 0x1
	global_load_b128 v[14:17], v[106:107], off
	global_load_b128 v[18:21], v[108:109], off
	s_clause 0x1
	scratch_store_b128 off, v[22:25], off offset:80
	scratch_store_b128 off, v[26:29], off offset:96
	s_clause 0x1
	global_load_b128 v[22:25], v[110:111], off
	global_load_b128 v[26:29], v[112:113], off
	v_add_co_u32 v114, vcc_lo, s2, v114
	v_add_co_ci_u32_e32 v115, vcc_lo, s3, v115, vcc_lo
	v_add_co_u32 v116, vcc_lo, s2, v116
	v_add_co_ci_u32_e32 v117, vcc_lo, s3, v117, vcc_lo
	;; [unrolled: 2-line block ×3, first 2 shown]
	v_add_co_u32 v120, vcc_lo, s2, v120
	s_waitcnt vmcnt(28)
	scratch_store_b128 off, v[30:33], off offset:112
	s_waitcnt vmcnt(27)
	scratch_store_b128 off, v[34:37], off offset:128
	v_add_co_ci_u32_e32 v121, vcc_lo, s3, v121, vcc_lo
	s_clause 0x1
	global_load_b128 v[30:33], v[114:115], off
	global_load_b128 v[34:37], v[116:117], off
	s_waitcnt vmcnt(28)
	scratch_store_b128 off, v[38:41], off offset:144
	s_waitcnt vmcnt(27)
	scratch_store_b128 off, v[122:125], off offset:160
	v_add_co_u32 v122, vcc_lo, s2, v195
	v_add_co_ci_u32_e32 v123, vcc_lo, s3, v196, vcc_lo
	v_lshlrev_b64 v[195:196], 4, v[199:200]
	v_add_co_u32 v124, vcc_lo, s2, v197
	v_add_co_ci_u32_e32 v125, vcc_lo, s3, v198, vcc_lo
	v_lshlrev_b64 v[197:198], 4, v[201:202]
	s_clause 0x1
	global_load_b128 v[38:41], v[118:119], off
	global_load_b128 v[220:223], v[120:121], off
	s_waitcnt vmcnt(28)
	scratch_store_b128 off, v[126:129], off offset:176
	s_waitcnt vmcnt(27)
	scratch_store_b128 off, v[130:133], off offset:192
	v_add_co_u32 v126, vcc_lo, s2, v195
	v_lshlrev_b64 v[130:131], 4, v[203:204]
	v_add_co_ci_u32_e32 v127, vcc_lo, s3, v196, vcc_lo
	v_add_co_u32 v128, vcc_lo, s2, v197
	v_lshlrev_b64 v[132:133], 4, v[205:206]
	v_add_co_ci_u32_e32 v129, vcc_lo, s3, v198, vcc_lo
	s_clause 0x1
	global_load_b128 v[224:227], v[122:123], off
	global_load_b128 v[228:231], v[124:125], off
	s_waitcnt vmcnt(28)
	scratch_store_b128 off, v[134:137], off offset:208
	s_waitcnt vmcnt(27)
	scratch_store_b128 off, v[138:141], off offset:224
	v_add_co_u32 v130, vcc_lo, s2, v130
	v_lshlrev_b64 v[134:135], 4, v[207:208]
	v_add_co_ci_u32_e32 v131, vcc_lo, s3, v131, vcc_lo
	v_add_co_u32 v132, vcc_lo, s2, v132
	v_lshlrev_b64 v[136:137], 4, v[209:210]
	v_add_co_ci_u32_e32 v133, vcc_lo, s3, v133, vcc_lo
	;; [unrolled: 3-line block ×4, first 2 shown]
	v_add_co_u32 v138, vcc_lo, s2, v138
	v_add_co_ci_u32_e32 v139, vcc_lo, s3, v139, vcc_lo
	s_delay_alu instid0(VALU_DEP_4)
	v_add_co_u32 v140, vcc_lo, s2, v140
	v_add_co_ci_u32_e32 v141, vcc_lo, s3, v141, vcc_lo
	s_clause 0x1
	global_load_b128 v[232:235], v[126:127], off
	global_load_b128 v[236:239], v[128:129], off
	s_waitcnt vmcnt(28)
	scratch_store_b128 off, v[142:145], off offset:240
	s_waitcnt vmcnt(27)
	scratch_store_b128 off, v[146:149], off offset:256
	v_add_co_u32 v142, vcc_lo, s2, v44
	v_add_co_ci_u32_e32 v143, vcc_lo, s3, v45, vcc_lo
	v_lshlrev_b64 v[44:45], 4, v[48:49]
	v_add_co_u32 v144, vcc_lo, s2, v46
	v_add_co_ci_u32_e32 v145, vcc_lo, s3, v47, vcc_lo
	v_lshlrev_b64 v[46:47], 4, v[50:51]
	s_delay_alu instid0(VALU_DEP_4) | instskip(SKIP_2) | instid1(VALU_DEP_4)
	v_add_co_u32 v146, vcc_lo, s2, v44
	v_add_co_ci_u32_e32 v147, vcc_lo, s3, v45, vcc_lo
	v_lshlrev_b64 v[44:45], 4, v[52:53]
	v_add_co_u32 v148, vcc_lo, s2, v46
	v_add_co_ci_u32_e32 v149, vcc_lo, s3, v47, vcc_lo
	v_lshlrev_b64 v[46:47], 4, v[54:55]
	s_clause 0x1
	global_load_b128 v[240:243], v[130:131], off
	global_load_b128 v[244:247], v[132:133], off
	s_waitcnt vmcnt(28)
	scratch_store_b128 off, v[150:153], off offset:272
	s_waitcnt vmcnt(27)
	scratch_store_b128 off, v[154:157], off offset:288
	v_add_co_u32 v150, vcc_lo, s2, v44
	v_add_co_ci_u32_e32 v151, vcc_lo, s3, v45, vcc_lo
	v_lshlrev_b64 v[44:45], 4, v[56:57]
	v_add_co_u32 v152, vcc_lo, s2, v46
	v_add_co_ci_u32_e32 v153, vcc_lo, s3, v47, vcc_lo
	s_clause 0x1
	global_load_b128 v[248:251], v[134:135], off
	global_load_b128 v[252:255], v[136:137], off
	v_add_co_u32 v154, vcc_lo, s2, v44
	v_add_co_ci_u32_e32 v155, vcc_lo, s3, v45, vcc_lo
	v_lshlrev_b64 v[44:45], 4, v[58:59]
	s_waitcnt vmcnt(28)
	scratch_store_b128 off, v[159:162], off offset:304
	s_waitcnt vmcnt(27)
	scratch_store_b128 off, v[163:166], off offset:320
	s_clause 0x1
	global_load_b128 v[159:162], v[138:139], off
	global_load_b128 v[163:166], v[140:141], off
	s_waitcnt vmcnt(28)
	scratch_store_b128 off, v[167:170], off offset:336
	s_waitcnt vmcnt(27)
	scratch_store_b128 off, v[171:174], off offset:352
	s_clause 0x1
	global_load_b128 v[167:170], v[142:143], off
	global_load_b128 v[171:174], v[144:145], off
	s_waitcnt vmcnt(28)
	scratch_store_b128 off, v[175:178], off offset:368
	s_waitcnt vmcnt(27)
	scratch_store_b128 off, v[179:182], off offset:384
	;; [unrolled: 2-line block ×5, first 2 shown]
	v_add_co_u32 v156, vcc_lo, s2, v44
	s_clause 0x4
	global_load_b128 v[175:178], v[146:147], off
	global_load_b128 v[179:182], v[148:149], off
	;; [unrolled: 1-line block ×5, first 2 shown]
	v_add_co_ci_u32_e32 v157, vcc_lo, s3, v45, vcc_lo
	s_movk_i32 s2, 0x50
	s_movk_i32 s3, 0x60
	;; [unrolled: 1-line block ×32, first 2 shown]
	v_add_nc_u32_e64 v215, 0, 16
	v_add_nc_u32_e64 v214, 0, 32
	;; [unrolled: 1-line block ×21, first 2 shown]
	s_mov_b32 s3, -1
	s_bitcmp0_b32 s21, 0
	s_waitcnt vmcnt(27)
	scratch_store_b128 off, v[1:4], off offset:448
	global_load_b128 v[1:4], v[156:157], off
	s_waitcnt vmcnt(27)
	scratch_store_b128 off, v[5:8], off offset:464
	v_add_nc_u32_e64 v5, s27, 0
	s_waitcnt vmcnt(26)
	scratch_store_b128 off, v[9:12], off offset:480
	s_waitcnt vmcnt(25)
	scratch_store_b128 off, v[14:17], off offset:496
	;; [unrolled: 2-line block ×3, first 2 shown]
	s_waitcnt vmcnt(23)
	s_clause 0x1
	scratch_store_b128 off, v[22:25], off offset:528
	scratch_store_b32 off, v5, off offset:988
	s_waitcnt vmcnt(22)
	scratch_store_b128 off, v[26:29], off offset:544
	v_add_nc_u32_e64 v5, s28, 0
	scratch_store_b32 off, v5, off offset:992 ; 4-byte Folded Spill
	v_add_nc_u32_e64 v5, s29, 0
	scratch_store_b32 off, v5, off offset:984 ; 4-byte Folded Spill
	v_add_nc_u32_e64 v5, s30, 0
	scratch_store_b32 off, v5, off offset:980 ; 4-byte Folded Spill
	v_add_nc_u32_e64 v5, s31, 0
	scratch_store_b32 off, v5, off offset:972 ; 4-byte Folded Spill
	s_waitcnt vmcnt(21)
	scratch_store_b128 off, v[30:33], off offset:560
	v_add_nc_u32_e64 v5, s33, 0
	scratch_store_b32 off, v5, off offset:976 ; 4-byte Folded Spill
	v_add_nc_u32_e64 v5, s34, 0
	scratch_store_b32 off, v5, off offset:968 ; 4-byte Folded Spill
	v_add_nc_u32_e64 v5, s35, 0
	scratch_store_b32 off, v5, off offset:964 ; 4-byte Folded Spill
	v_add_nc_u32_e64 v5, s36, 0
	scratch_store_b32 off, v5, off offset:956 ; 4-byte Folded Spill
	;; [unrolled: 10-line block ×4, first 2 shown]
	s_waitcnt vmcnt(18)
	scratch_store_b128 off, v[220:223], off offset:608
	v_add_nc_u32_e64 v222, s45, 0
	v_add_nc_u32_e64 v221, s46, 0
	;; [unrolled: 1-line block ×3, first 2 shown]
	s_waitcnt vmcnt(17)
	scratch_store_b128 off, v[224:227], off offset:624
	s_waitcnt vmcnt(16)
	scratch_store_b128 off, v[228:231], off offset:640
	;; [unrolled: 2-line block ×17, first 2 shown]
	v_add_nc_u32_e64 v178, s48, 0
	v_add_nc_u32_e64 v177, s49, 0
	;; [unrolled: 1-line block ×16, first 2 shown]
	s_waitcnt vmcnt(0)
	s_clause 0x1
	scratch_store_b128 off, v[1:4], off offset:896
	scratch_store_b128 off, v[216:219], off offset:912
	s_cbranch_scc1 .LBB57_244
; %bb.4:
	v_cmp_eq_u32_e64 s2, 0, v158
	s_delay_alu instid0(VALU_DEP_1)
	s_and_saveexec_b32 s3, s2
	s_cbranch_execz .LBB57_6
; %bb.5:
	v_mov_b32_e32 v1, 0
	ds_store_b32 v1, v1 offset:1856
.LBB57_6:
	s_or_b32 exec_lo, exec_lo, s3
	s_waitcnt lgkmcnt(0)
	s_waitcnt_vscnt null, 0x0
	s_barrier
	buffer_gl0_inv
	scratch_load_b128 v[1:4], v13, off
	s_waitcnt vmcnt(0)
	v_cmp_eq_f64_e32 vcc_lo, 0, v[1:2]
	v_cmp_eq_f64_e64 s3, 0, v[3:4]
	s_delay_alu instid0(VALU_DEP_1) | instskip(NEXT) | instid1(SALU_CYCLE_1)
	s_and_b32 s3, vcc_lo, s3
	s_and_saveexec_b32 s4, s3
	s_cbranch_execz .LBB57_10
; %bb.7:
	v_mov_b32_e32 v1, 0
	s_mov_b32 s5, 0
	ds_load_b32 v2, v1 offset:1856
	s_waitcnt lgkmcnt(0)
	v_readfirstlane_b32 s3, v2
	v_add_nc_u32_e32 v2, 1, v158
	s_delay_alu instid0(VALU_DEP_2) | instskip(NEXT) | instid1(VALU_DEP_1)
	s_cmp_eq_u32 s3, 0
	v_cmp_gt_i32_e32 vcc_lo, s3, v2
	s_cselect_b32 s8, -1, 0
	s_delay_alu instid0(SALU_CYCLE_1) | instskip(NEXT) | instid1(SALU_CYCLE_1)
	s_or_b32 s8, s8, vcc_lo
	s_and_b32 exec_lo, exec_lo, s8
	s_cbranch_execz .LBB57_10
; %bb.8:
	v_mov_b32_e32 v3, s3
.LBB57_9:                               ; =>This Inner Loop Header: Depth=1
	ds_cmpstore_rtn_b32 v3, v1, v2, v3 offset:1856
	s_waitcnt lgkmcnt(0)
	v_cmp_ne_u32_e32 vcc_lo, 0, v3
	v_cmp_le_i32_e64 s3, v3, v2
	s_delay_alu instid0(VALU_DEP_1) | instskip(NEXT) | instid1(SALU_CYCLE_1)
	s_and_b32 s3, vcc_lo, s3
	s_and_b32 s3, exec_lo, s3
	s_delay_alu instid0(SALU_CYCLE_1) | instskip(NEXT) | instid1(SALU_CYCLE_1)
	s_or_b32 s5, s3, s5
	s_and_not1_b32 exec_lo, exec_lo, s5
	s_cbranch_execnz .LBB57_9
.LBB57_10:
	s_or_b32 exec_lo, exec_lo, s4
	v_mov_b32_e32 v1, 0
	s_barrier
	buffer_gl0_inv
	ds_load_b32 v2, v1 offset:1856
	s_and_saveexec_b32 s3, s2
	s_cbranch_execz .LBB57_12
; %bb.11:
	s_lshl_b64 s[4:5], s[18:19], 2
	s_delay_alu instid0(SALU_CYCLE_1)
	s_add_u32 s4, s6, s4
	s_addc_u32 s5, s7, s5
	s_waitcnt lgkmcnt(0)
	global_store_b32 v1, v2, s[4:5]
.LBB57_12:
	s_or_b32 exec_lo, exec_lo, s3
	s_waitcnt lgkmcnt(0)
	v_cmp_ne_u32_e32 vcc_lo, 0, v2
	s_mov_b32 s3, 0
	s_cbranch_vccnz .LBB57_244
; %bb.13:
	v_add_nc_u32_e32 v14, 0, v13
                                        ; implicit-def: $vgpr9_vgpr10
	scratch_load_b128 v[1:4], v14, off
	s_waitcnt vmcnt(0)
	v_mov_b32_e32 v5, v1
	v_cmp_gt_f64_e32 vcc_lo, 0, v[1:2]
	v_xor_b32_e32 v6, 0x80000000, v2
	v_xor_b32_e32 v7, 0x80000000, v4
	s_delay_alu instid0(VALU_DEP_2) | instskip(SKIP_1) | instid1(VALU_DEP_3)
	v_cndmask_b32_e32 v6, v2, v6, vcc_lo
	v_cmp_gt_f64_e32 vcc_lo, 0, v[3:4]
	v_dual_cndmask_b32 v8, v4, v7 :: v_dual_mov_b32 v7, v3
	s_delay_alu instid0(VALU_DEP_1) | instskip(SKIP_1) | instid1(SALU_CYCLE_1)
	v_cmp_ngt_f64_e32 vcc_lo, v[5:6], v[7:8]
                                        ; implicit-def: $vgpr5_vgpr6
	s_and_saveexec_b32 s3, vcc_lo
	s_xor_b32 s3, exec_lo, s3
	s_cbranch_execz .LBB57_15
; %bb.14:
	v_div_scale_f64 v[5:6], null, v[3:4], v[3:4], v[1:2]
	v_div_scale_f64 v[11:12], vcc_lo, v[1:2], v[3:4], v[1:2]
	s_delay_alu instid0(VALU_DEP_2) | instskip(SKIP_2) | instid1(VALU_DEP_1)
	v_rcp_f64_e32 v[7:8], v[5:6]
	s_waitcnt_depctr 0xfff
	v_fma_f64 v[9:10], -v[5:6], v[7:8], 1.0
	v_fma_f64 v[7:8], v[7:8], v[9:10], v[7:8]
	s_delay_alu instid0(VALU_DEP_1) | instskip(NEXT) | instid1(VALU_DEP_1)
	v_fma_f64 v[9:10], -v[5:6], v[7:8], 1.0
	v_fma_f64 v[7:8], v[7:8], v[9:10], v[7:8]
	s_delay_alu instid0(VALU_DEP_1) | instskip(NEXT) | instid1(VALU_DEP_1)
	v_mul_f64 v[9:10], v[11:12], v[7:8]
	v_fma_f64 v[5:6], -v[5:6], v[9:10], v[11:12]
	s_delay_alu instid0(VALU_DEP_1) | instskip(NEXT) | instid1(VALU_DEP_1)
	v_div_fmas_f64 v[5:6], v[5:6], v[7:8], v[9:10]
	v_div_fixup_f64 v[5:6], v[5:6], v[3:4], v[1:2]
	s_delay_alu instid0(VALU_DEP_1) | instskip(NEXT) | instid1(VALU_DEP_1)
	v_fma_f64 v[1:2], v[1:2], v[5:6], v[3:4]
	v_div_scale_f64 v[3:4], null, v[1:2], v[1:2], 1.0
	v_div_scale_f64 v[11:12], vcc_lo, 1.0, v[1:2], 1.0
	s_delay_alu instid0(VALU_DEP_2) | instskip(SKIP_2) | instid1(VALU_DEP_1)
	v_rcp_f64_e32 v[7:8], v[3:4]
	s_waitcnt_depctr 0xfff
	v_fma_f64 v[9:10], -v[3:4], v[7:8], 1.0
	v_fma_f64 v[7:8], v[7:8], v[9:10], v[7:8]
	s_delay_alu instid0(VALU_DEP_1) | instskip(NEXT) | instid1(VALU_DEP_1)
	v_fma_f64 v[9:10], -v[3:4], v[7:8], 1.0
	v_fma_f64 v[7:8], v[7:8], v[9:10], v[7:8]
	s_delay_alu instid0(VALU_DEP_1) | instskip(NEXT) | instid1(VALU_DEP_1)
	v_mul_f64 v[9:10], v[11:12], v[7:8]
	v_fma_f64 v[3:4], -v[3:4], v[9:10], v[11:12]
	s_delay_alu instid0(VALU_DEP_1) | instskip(NEXT) | instid1(VALU_DEP_1)
	v_div_fmas_f64 v[3:4], v[3:4], v[7:8], v[9:10]
	v_div_fixup_f64 v[7:8], v[3:4], v[1:2], 1.0
                                        ; implicit-def: $vgpr1_vgpr2
	s_delay_alu instid0(VALU_DEP_1) | instskip(SKIP_1) | instid1(VALU_DEP_2)
	v_mul_f64 v[5:6], v[5:6], v[7:8]
	v_xor_b32_e32 v8, 0x80000000, v8
	v_xor_b32_e32 v10, 0x80000000, v6
	s_delay_alu instid0(VALU_DEP_3)
	v_mov_b32_e32 v9, v5
.LBB57_15:
	s_and_not1_saveexec_b32 s3, s3
	s_cbranch_execz .LBB57_17
; %bb.16:
	v_div_scale_f64 v[5:6], null, v[1:2], v[1:2], v[3:4]
	v_div_scale_f64 v[11:12], vcc_lo, v[3:4], v[1:2], v[3:4]
	s_delay_alu instid0(VALU_DEP_2) | instskip(SKIP_2) | instid1(VALU_DEP_1)
	v_rcp_f64_e32 v[7:8], v[5:6]
	s_waitcnt_depctr 0xfff
	v_fma_f64 v[9:10], -v[5:6], v[7:8], 1.0
	v_fma_f64 v[7:8], v[7:8], v[9:10], v[7:8]
	s_delay_alu instid0(VALU_DEP_1) | instskip(NEXT) | instid1(VALU_DEP_1)
	v_fma_f64 v[9:10], -v[5:6], v[7:8], 1.0
	v_fma_f64 v[7:8], v[7:8], v[9:10], v[7:8]
	s_delay_alu instid0(VALU_DEP_1) | instskip(NEXT) | instid1(VALU_DEP_1)
	v_mul_f64 v[9:10], v[11:12], v[7:8]
	v_fma_f64 v[5:6], -v[5:6], v[9:10], v[11:12]
	s_delay_alu instid0(VALU_DEP_1) | instskip(NEXT) | instid1(VALU_DEP_1)
	v_div_fmas_f64 v[5:6], v[5:6], v[7:8], v[9:10]
	v_div_fixup_f64 v[7:8], v[5:6], v[1:2], v[3:4]
	s_delay_alu instid0(VALU_DEP_1) | instskip(NEXT) | instid1(VALU_DEP_1)
	v_fma_f64 v[1:2], v[3:4], v[7:8], v[1:2]
	v_div_scale_f64 v[3:4], null, v[1:2], v[1:2], 1.0
	s_delay_alu instid0(VALU_DEP_1) | instskip(SKIP_2) | instid1(VALU_DEP_1)
	v_rcp_f64_e32 v[5:6], v[3:4]
	s_waitcnt_depctr 0xfff
	v_fma_f64 v[9:10], -v[3:4], v[5:6], 1.0
	v_fma_f64 v[5:6], v[5:6], v[9:10], v[5:6]
	s_delay_alu instid0(VALU_DEP_1) | instskip(NEXT) | instid1(VALU_DEP_1)
	v_fma_f64 v[9:10], -v[3:4], v[5:6], 1.0
	v_fma_f64 v[5:6], v[5:6], v[9:10], v[5:6]
	v_div_scale_f64 v[9:10], vcc_lo, 1.0, v[1:2], 1.0
	s_delay_alu instid0(VALU_DEP_1) | instskip(NEXT) | instid1(VALU_DEP_1)
	v_mul_f64 v[11:12], v[9:10], v[5:6]
	v_fma_f64 v[3:4], -v[3:4], v[11:12], v[9:10]
	s_delay_alu instid0(VALU_DEP_1) | instskip(NEXT) | instid1(VALU_DEP_1)
	v_div_fmas_f64 v[3:4], v[3:4], v[5:6], v[11:12]
	v_div_fixup_f64 v[5:6], v[3:4], v[1:2], 1.0
	s_delay_alu instid0(VALU_DEP_1)
	v_mul_f64 v[7:8], v[7:8], -v[5:6]
	v_xor_b32_e32 v10, 0x80000000, v6
	v_mov_b32_e32 v9, v5
.LBB57_17:
	s_or_b32 exec_lo, exec_lo, s3
	scratch_store_b128 v14, v[5:8], off
	scratch_load_b128 v[1:4], v215, off
	v_xor_b32_e32 v12, 0x80000000, v8
	v_mov_b32_e32 v11, v7
	v_add_nc_u32_e32 v5, 0x3a0, v13
	ds_store_b128 v13, v[9:12]
	s_waitcnt vmcnt(0)
	ds_store_b128 v13, v[1:4] offset:928
	s_waitcnt lgkmcnt(0)
	s_waitcnt_vscnt null, 0x0
	s_barrier
	buffer_gl0_inv
	s_and_saveexec_b32 s3, s2
	s_cbranch_execz .LBB57_19
; %bb.18:
	scratch_load_b128 v[1:4], v14, off
	ds_load_b128 v[6:9], v5
	v_mov_b32_e32 v10, 0
	ds_load_b128 v[15:18], v10 offset:16
	s_waitcnt vmcnt(0) lgkmcnt(1)
	v_mul_f64 v[10:11], v[6:7], v[3:4]
	v_mul_f64 v[3:4], v[8:9], v[3:4]
	s_delay_alu instid0(VALU_DEP_2) | instskip(NEXT) | instid1(VALU_DEP_2)
	v_fma_f64 v[8:9], v[8:9], v[1:2], v[10:11]
	v_fma_f64 v[1:2], v[6:7], v[1:2], -v[3:4]
	s_delay_alu instid0(VALU_DEP_2) | instskip(NEXT) | instid1(VALU_DEP_2)
	v_add_f64 v[3:4], v[8:9], 0
	v_add_f64 v[1:2], v[1:2], 0
	s_waitcnt lgkmcnt(0)
	s_delay_alu instid0(VALU_DEP_2) | instskip(NEXT) | instid1(VALU_DEP_2)
	v_mul_f64 v[6:7], v[3:4], v[17:18]
	v_mul_f64 v[8:9], v[1:2], v[17:18]
	s_delay_alu instid0(VALU_DEP_2) | instskip(NEXT) | instid1(VALU_DEP_2)
	v_fma_f64 v[1:2], v[1:2], v[15:16], -v[6:7]
	v_fma_f64 v[3:4], v[3:4], v[15:16], v[8:9]
	scratch_store_b128 off, v[1:4], off offset:16
.LBB57_19:
	s_or_b32 exec_lo, exec_lo, s3
	s_waitcnt_vscnt null, 0x0
	s_barrier
	buffer_gl0_inv
	scratch_load_b128 v[1:4], v214, off
	s_mov_b32 s3, exec_lo
	s_waitcnt vmcnt(0)
	ds_store_b128 v5, v[1:4]
	s_waitcnt lgkmcnt(0)
	s_barrier
	buffer_gl0_inv
	v_cmpx_gt_u32_e32 2, v158
	s_cbranch_execz .LBB57_23
; %bb.20:
	scratch_load_b128 v[1:4], v14, off
	ds_load_b128 v[6:9], v5
	s_waitcnt vmcnt(0) lgkmcnt(0)
	v_mul_f64 v[10:11], v[8:9], v[3:4]
	v_mul_f64 v[3:4], v[6:7], v[3:4]
	s_delay_alu instid0(VALU_DEP_2) | instskip(NEXT) | instid1(VALU_DEP_2)
	v_fma_f64 v[6:7], v[6:7], v[1:2], -v[10:11]
	v_fma_f64 v[3:4], v[8:9], v[1:2], v[3:4]
	s_delay_alu instid0(VALU_DEP_2) | instskip(NEXT) | instid1(VALU_DEP_2)
	v_add_f64 v[1:2], v[6:7], 0
	v_add_f64 v[3:4], v[3:4], 0
	s_and_saveexec_b32 s4, s2
	s_cbranch_execz .LBB57_22
; %bb.21:
	scratch_load_b128 v[6:9], off, off offset:16
	v_mov_b32_e32 v10, 0
	ds_load_b128 v[15:18], v10 offset:944
	s_waitcnt vmcnt(0) lgkmcnt(0)
	v_mul_f64 v[10:11], v[15:16], v[8:9]
	v_mul_f64 v[8:9], v[17:18], v[8:9]
	s_delay_alu instid0(VALU_DEP_2) | instskip(NEXT) | instid1(VALU_DEP_2)
	v_fma_f64 v[10:11], v[17:18], v[6:7], v[10:11]
	v_fma_f64 v[6:7], v[15:16], v[6:7], -v[8:9]
	s_delay_alu instid0(VALU_DEP_2) | instskip(NEXT) | instid1(VALU_DEP_2)
	v_add_f64 v[3:4], v[3:4], v[10:11]
	v_add_f64 v[1:2], v[1:2], v[6:7]
.LBB57_22:
	s_or_b32 exec_lo, exec_lo, s4
	v_mov_b32_e32 v6, 0
	ds_load_b128 v[6:9], v6 offset:32
	s_waitcnt lgkmcnt(0)
	v_mul_f64 v[10:11], v[3:4], v[8:9]
	v_mul_f64 v[8:9], v[1:2], v[8:9]
	s_delay_alu instid0(VALU_DEP_2) | instskip(NEXT) | instid1(VALU_DEP_2)
	v_fma_f64 v[1:2], v[1:2], v[6:7], -v[10:11]
	v_fma_f64 v[3:4], v[3:4], v[6:7], v[8:9]
	scratch_store_b128 off, v[1:4], off offset:32
.LBB57_23:
	s_or_b32 exec_lo, exec_lo, s3
	s_waitcnt_vscnt null, 0x0
	s_barrier
	buffer_gl0_inv
	scratch_load_b128 v[1:4], v213, off
	v_add_nc_u32_e32 v6, -1, v158
	s_mov_b32 s2, exec_lo
	s_waitcnt vmcnt(0)
	ds_store_b128 v5, v[1:4]
	s_waitcnt lgkmcnt(0)
	s_barrier
	buffer_gl0_inv
	v_cmpx_gt_u32_e32 3, v158
	s_cbranch_execz .LBB57_27
; %bb.24:
	v_dual_mov_b32 v1, 0 :: v_dual_add_nc_u32 v8, 0x3a0, v13
	v_dual_mov_b32 v2, 0 :: v_dual_add_nc_u32 v7, -1, v158
	v_or_b32_e32 v9, 8, v14
	s_mov_b32 s3, 0
	s_delay_alu instid0(VALU_DEP_2)
	v_dual_mov_b32 v4, v2 :: v_dual_mov_b32 v3, v1
	.p2align	6
.LBB57_25:                              ; =>This Inner Loop Header: Depth=1
	scratch_load_b128 v[15:18], v9, off offset:-8
	ds_load_b128 v[19:22], v8
	v_add_nc_u32_e32 v7, 1, v7
	v_add_nc_u32_e32 v8, 16, v8
	;; [unrolled: 1-line block ×3, first 2 shown]
	s_delay_alu instid0(VALU_DEP_3) | instskip(SKIP_4) | instid1(VALU_DEP_2)
	v_cmp_lt_u32_e32 vcc_lo, 1, v7
	s_or_b32 s3, vcc_lo, s3
	s_waitcnt vmcnt(0) lgkmcnt(0)
	v_mul_f64 v[10:11], v[21:22], v[17:18]
	v_mul_f64 v[17:18], v[19:20], v[17:18]
	v_fma_f64 v[10:11], v[19:20], v[15:16], -v[10:11]
	s_delay_alu instid0(VALU_DEP_2) | instskip(NEXT) | instid1(VALU_DEP_2)
	v_fma_f64 v[15:16], v[21:22], v[15:16], v[17:18]
	v_add_f64 v[3:4], v[3:4], v[10:11]
	s_delay_alu instid0(VALU_DEP_2)
	v_add_f64 v[1:2], v[1:2], v[15:16]
	s_and_not1_b32 exec_lo, exec_lo, s3
	s_cbranch_execnz .LBB57_25
; %bb.26:
	s_or_b32 exec_lo, exec_lo, s3
	v_mov_b32_e32 v7, 0
	ds_load_b128 v[7:10], v7 offset:48
	s_waitcnt lgkmcnt(0)
	v_mul_f64 v[11:12], v[1:2], v[9:10]
	v_mul_f64 v[15:16], v[3:4], v[9:10]
	s_delay_alu instid0(VALU_DEP_2) | instskip(NEXT) | instid1(VALU_DEP_2)
	v_fma_f64 v[9:10], v[3:4], v[7:8], -v[11:12]
	v_fma_f64 v[11:12], v[1:2], v[7:8], v[15:16]
	scratch_store_b128 off, v[9:12], off offset:48
.LBB57_27:
	s_or_b32 exec_lo, exec_lo, s2
	s_waitcnt_vscnt null, 0x0
	s_barrier
	buffer_gl0_inv
	scratch_load_b128 v[1:4], v212, off
	s_mov_b32 s2, exec_lo
	s_waitcnt vmcnt(0)
	ds_store_b128 v5, v[1:4]
	s_waitcnt lgkmcnt(0)
	s_barrier
	buffer_gl0_inv
	v_cmpx_gt_u32_e32 4, v158
	s_cbranch_execz .LBB57_31
; %bb.28:
	v_dual_mov_b32 v1, 0 :: v_dual_add_nc_u32 v8, 0x3a0, v13
	v_dual_mov_b32 v2, 0 :: v_dual_add_nc_u32 v7, -1, v158
	v_or_b32_e32 v9, 8, v14
	s_mov_b32 s3, 0
	s_delay_alu instid0(VALU_DEP_2)
	v_dual_mov_b32 v4, v2 :: v_dual_mov_b32 v3, v1
	.p2align	6
.LBB57_29:                              ; =>This Inner Loop Header: Depth=1
	scratch_load_b128 v[15:18], v9, off offset:-8
	ds_load_b128 v[19:22], v8
	v_add_nc_u32_e32 v7, 1, v7
	v_add_nc_u32_e32 v8, 16, v8
	;; [unrolled: 1-line block ×3, first 2 shown]
	s_delay_alu instid0(VALU_DEP_3) | instskip(SKIP_4) | instid1(VALU_DEP_2)
	v_cmp_lt_u32_e32 vcc_lo, 2, v7
	s_or_b32 s3, vcc_lo, s3
	s_waitcnt vmcnt(0) lgkmcnt(0)
	v_mul_f64 v[10:11], v[21:22], v[17:18]
	v_mul_f64 v[17:18], v[19:20], v[17:18]
	v_fma_f64 v[10:11], v[19:20], v[15:16], -v[10:11]
	s_delay_alu instid0(VALU_DEP_2) | instskip(NEXT) | instid1(VALU_DEP_2)
	v_fma_f64 v[15:16], v[21:22], v[15:16], v[17:18]
	v_add_f64 v[3:4], v[3:4], v[10:11]
	s_delay_alu instid0(VALU_DEP_2)
	v_add_f64 v[1:2], v[1:2], v[15:16]
	s_and_not1_b32 exec_lo, exec_lo, s3
	s_cbranch_execnz .LBB57_29
; %bb.30:
	s_or_b32 exec_lo, exec_lo, s3
	v_mov_b32_e32 v7, 0
	ds_load_b128 v[7:10], v7 offset:64
	s_waitcnt lgkmcnt(0)
	v_mul_f64 v[11:12], v[1:2], v[9:10]
	v_mul_f64 v[15:16], v[3:4], v[9:10]
	s_delay_alu instid0(VALU_DEP_2) | instskip(NEXT) | instid1(VALU_DEP_2)
	v_fma_f64 v[9:10], v[3:4], v[7:8], -v[11:12]
	v_fma_f64 v[11:12], v[1:2], v[7:8], v[15:16]
	scratch_store_b128 off, v[9:12], off offset:64
.LBB57_31:
	s_or_b32 exec_lo, exec_lo, s2
	s_waitcnt_vscnt null, 0x0
	s_barrier
	buffer_gl0_inv
	scratch_load_b128 v[1:4], v211, off
	s_mov_b32 s2, exec_lo
	s_waitcnt vmcnt(0)
	ds_store_b128 v5, v[1:4]
	s_waitcnt lgkmcnt(0)
	s_barrier
	buffer_gl0_inv
	v_cmpx_gt_u32_e32 5, v158
	s_cbranch_execz .LBB57_35
; %bb.32:
	v_dual_mov_b32 v1, 0 :: v_dual_add_nc_u32 v8, 0x3a0, v13
	v_dual_mov_b32 v2, 0 :: v_dual_add_nc_u32 v7, -1, v158
	v_or_b32_e32 v9, 8, v14
	s_mov_b32 s3, 0
	s_delay_alu instid0(VALU_DEP_2)
	v_dual_mov_b32 v4, v2 :: v_dual_mov_b32 v3, v1
	.p2align	6
.LBB57_33:                              ; =>This Inner Loop Header: Depth=1
	scratch_load_b128 v[15:18], v9, off offset:-8
	ds_load_b128 v[19:22], v8
	v_add_nc_u32_e32 v7, 1, v7
	v_add_nc_u32_e32 v8, 16, v8
	;; [unrolled: 1-line block ×3, first 2 shown]
	s_delay_alu instid0(VALU_DEP_3) | instskip(SKIP_4) | instid1(VALU_DEP_2)
	v_cmp_lt_u32_e32 vcc_lo, 3, v7
	s_or_b32 s3, vcc_lo, s3
	s_waitcnt vmcnt(0) lgkmcnt(0)
	v_mul_f64 v[10:11], v[21:22], v[17:18]
	v_mul_f64 v[17:18], v[19:20], v[17:18]
	v_fma_f64 v[10:11], v[19:20], v[15:16], -v[10:11]
	s_delay_alu instid0(VALU_DEP_2) | instskip(NEXT) | instid1(VALU_DEP_2)
	v_fma_f64 v[15:16], v[21:22], v[15:16], v[17:18]
	v_add_f64 v[3:4], v[3:4], v[10:11]
	s_delay_alu instid0(VALU_DEP_2)
	v_add_f64 v[1:2], v[1:2], v[15:16]
	s_and_not1_b32 exec_lo, exec_lo, s3
	s_cbranch_execnz .LBB57_33
; %bb.34:
	s_or_b32 exec_lo, exec_lo, s3
	v_mov_b32_e32 v7, 0
	ds_load_b128 v[7:10], v7 offset:80
	s_waitcnt lgkmcnt(0)
	v_mul_f64 v[11:12], v[1:2], v[9:10]
	v_mul_f64 v[15:16], v[3:4], v[9:10]
	s_delay_alu instid0(VALU_DEP_2) | instskip(NEXT) | instid1(VALU_DEP_2)
	v_fma_f64 v[9:10], v[3:4], v[7:8], -v[11:12]
	v_fma_f64 v[11:12], v[1:2], v[7:8], v[15:16]
	scratch_store_b128 off, v[9:12], off offset:80
.LBB57_35:
	s_or_b32 exec_lo, exec_lo, s2
	s_waitcnt_vscnt null, 0x0
	s_barrier
	buffer_gl0_inv
	scratch_load_b128 v[1:4], v210, off
	s_mov_b32 s2, exec_lo
	s_waitcnt vmcnt(0)
	ds_store_b128 v5, v[1:4]
	s_waitcnt lgkmcnt(0)
	s_barrier
	buffer_gl0_inv
	v_cmpx_gt_u32_e32 6, v158
	s_cbranch_execz .LBB57_39
; %bb.36:
	v_dual_mov_b32 v1, 0 :: v_dual_add_nc_u32 v8, 0x3a0, v13
	v_dual_mov_b32 v2, 0 :: v_dual_add_nc_u32 v7, -1, v158
	v_or_b32_e32 v9, 8, v14
	s_mov_b32 s3, 0
	s_delay_alu instid0(VALU_DEP_2)
	v_dual_mov_b32 v4, v2 :: v_dual_mov_b32 v3, v1
	.p2align	6
.LBB57_37:                              ; =>This Inner Loop Header: Depth=1
	scratch_load_b128 v[15:18], v9, off offset:-8
	ds_load_b128 v[19:22], v8
	v_add_nc_u32_e32 v7, 1, v7
	v_add_nc_u32_e32 v8, 16, v8
	;; [unrolled: 1-line block ×3, first 2 shown]
	s_delay_alu instid0(VALU_DEP_3) | instskip(SKIP_4) | instid1(VALU_DEP_2)
	v_cmp_lt_u32_e32 vcc_lo, 4, v7
	s_or_b32 s3, vcc_lo, s3
	s_waitcnt vmcnt(0) lgkmcnt(0)
	v_mul_f64 v[10:11], v[21:22], v[17:18]
	v_mul_f64 v[17:18], v[19:20], v[17:18]
	v_fma_f64 v[10:11], v[19:20], v[15:16], -v[10:11]
	s_delay_alu instid0(VALU_DEP_2) | instskip(NEXT) | instid1(VALU_DEP_2)
	v_fma_f64 v[15:16], v[21:22], v[15:16], v[17:18]
	v_add_f64 v[3:4], v[3:4], v[10:11]
	s_delay_alu instid0(VALU_DEP_2)
	v_add_f64 v[1:2], v[1:2], v[15:16]
	s_and_not1_b32 exec_lo, exec_lo, s3
	s_cbranch_execnz .LBB57_37
; %bb.38:
	s_or_b32 exec_lo, exec_lo, s3
	v_mov_b32_e32 v7, 0
	ds_load_b128 v[7:10], v7 offset:96
	s_waitcnt lgkmcnt(0)
	v_mul_f64 v[11:12], v[1:2], v[9:10]
	v_mul_f64 v[15:16], v[3:4], v[9:10]
	s_delay_alu instid0(VALU_DEP_2) | instskip(NEXT) | instid1(VALU_DEP_2)
	v_fma_f64 v[9:10], v[3:4], v[7:8], -v[11:12]
	v_fma_f64 v[11:12], v[1:2], v[7:8], v[15:16]
	scratch_store_b128 off, v[9:12], off offset:96
.LBB57_39:
	s_or_b32 exec_lo, exec_lo, s2
	s_waitcnt_vscnt null, 0x0
	s_barrier
	buffer_gl0_inv
	scratch_load_b128 v[1:4], v209, off
	s_mov_b32 s2, exec_lo
	s_waitcnt vmcnt(0)
	ds_store_b128 v5, v[1:4]
	s_waitcnt lgkmcnt(0)
	s_barrier
	buffer_gl0_inv
	v_cmpx_gt_u32_e32 7, v158
	s_cbranch_execz .LBB57_43
; %bb.40:
	v_dual_mov_b32 v1, 0 :: v_dual_add_nc_u32 v8, 0x3a0, v13
	v_dual_mov_b32 v2, 0 :: v_dual_add_nc_u32 v7, -1, v158
	v_or_b32_e32 v9, 8, v14
	s_mov_b32 s3, 0
	s_delay_alu instid0(VALU_DEP_2)
	v_dual_mov_b32 v4, v2 :: v_dual_mov_b32 v3, v1
	.p2align	6
.LBB57_41:                              ; =>This Inner Loop Header: Depth=1
	scratch_load_b128 v[15:18], v9, off offset:-8
	ds_load_b128 v[19:22], v8
	v_add_nc_u32_e32 v7, 1, v7
	v_add_nc_u32_e32 v8, 16, v8
	;; [unrolled: 1-line block ×3, first 2 shown]
	s_delay_alu instid0(VALU_DEP_3) | instskip(SKIP_4) | instid1(VALU_DEP_2)
	v_cmp_lt_u32_e32 vcc_lo, 5, v7
	s_or_b32 s3, vcc_lo, s3
	s_waitcnt vmcnt(0) lgkmcnt(0)
	v_mul_f64 v[10:11], v[21:22], v[17:18]
	v_mul_f64 v[17:18], v[19:20], v[17:18]
	v_fma_f64 v[10:11], v[19:20], v[15:16], -v[10:11]
	s_delay_alu instid0(VALU_DEP_2) | instskip(NEXT) | instid1(VALU_DEP_2)
	v_fma_f64 v[15:16], v[21:22], v[15:16], v[17:18]
	v_add_f64 v[3:4], v[3:4], v[10:11]
	s_delay_alu instid0(VALU_DEP_2)
	v_add_f64 v[1:2], v[1:2], v[15:16]
	s_and_not1_b32 exec_lo, exec_lo, s3
	s_cbranch_execnz .LBB57_41
; %bb.42:
	s_or_b32 exec_lo, exec_lo, s3
	v_mov_b32_e32 v7, 0
	ds_load_b128 v[7:10], v7 offset:112
	s_waitcnt lgkmcnt(0)
	v_mul_f64 v[11:12], v[1:2], v[9:10]
	v_mul_f64 v[15:16], v[3:4], v[9:10]
	s_delay_alu instid0(VALU_DEP_2) | instskip(NEXT) | instid1(VALU_DEP_2)
	v_fma_f64 v[9:10], v[3:4], v[7:8], -v[11:12]
	v_fma_f64 v[11:12], v[1:2], v[7:8], v[15:16]
	scratch_store_b128 off, v[9:12], off offset:112
.LBB57_43:
	s_or_b32 exec_lo, exec_lo, s2
	s_waitcnt_vscnt null, 0x0
	s_barrier
	buffer_gl0_inv
	scratch_load_b128 v[1:4], v208, off
	s_mov_b32 s2, exec_lo
	s_waitcnt vmcnt(0)
	ds_store_b128 v5, v[1:4]
	s_waitcnt lgkmcnt(0)
	s_barrier
	buffer_gl0_inv
	v_cmpx_gt_u32_e32 8, v158
	s_cbranch_execz .LBB57_47
; %bb.44:
	v_dual_mov_b32 v1, 0 :: v_dual_add_nc_u32 v8, 0x3a0, v13
	v_dual_mov_b32 v2, 0 :: v_dual_add_nc_u32 v7, -1, v158
	v_or_b32_e32 v9, 8, v14
	s_mov_b32 s3, 0
	s_delay_alu instid0(VALU_DEP_2)
	v_dual_mov_b32 v4, v2 :: v_dual_mov_b32 v3, v1
	.p2align	6
.LBB57_45:                              ; =>This Inner Loop Header: Depth=1
	scratch_load_b128 v[15:18], v9, off offset:-8
	ds_load_b128 v[19:22], v8
	v_add_nc_u32_e32 v7, 1, v7
	v_add_nc_u32_e32 v8, 16, v8
	v_add_nc_u32_e32 v9, 16, v9
	s_delay_alu instid0(VALU_DEP_3) | instskip(SKIP_4) | instid1(VALU_DEP_2)
	v_cmp_lt_u32_e32 vcc_lo, 6, v7
	s_or_b32 s3, vcc_lo, s3
	s_waitcnt vmcnt(0) lgkmcnt(0)
	v_mul_f64 v[10:11], v[21:22], v[17:18]
	v_mul_f64 v[17:18], v[19:20], v[17:18]
	v_fma_f64 v[10:11], v[19:20], v[15:16], -v[10:11]
	s_delay_alu instid0(VALU_DEP_2) | instskip(NEXT) | instid1(VALU_DEP_2)
	v_fma_f64 v[15:16], v[21:22], v[15:16], v[17:18]
	v_add_f64 v[3:4], v[3:4], v[10:11]
	s_delay_alu instid0(VALU_DEP_2)
	v_add_f64 v[1:2], v[1:2], v[15:16]
	s_and_not1_b32 exec_lo, exec_lo, s3
	s_cbranch_execnz .LBB57_45
; %bb.46:
	s_or_b32 exec_lo, exec_lo, s3
	v_mov_b32_e32 v7, 0
	ds_load_b128 v[7:10], v7 offset:128
	s_waitcnt lgkmcnt(0)
	v_mul_f64 v[11:12], v[1:2], v[9:10]
	v_mul_f64 v[15:16], v[3:4], v[9:10]
	s_delay_alu instid0(VALU_DEP_2) | instskip(NEXT) | instid1(VALU_DEP_2)
	v_fma_f64 v[9:10], v[3:4], v[7:8], -v[11:12]
	v_fma_f64 v[11:12], v[1:2], v[7:8], v[15:16]
	scratch_store_b128 off, v[9:12], off offset:128
.LBB57_47:
	s_or_b32 exec_lo, exec_lo, s2
	s_waitcnt_vscnt null, 0x0
	s_barrier
	buffer_gl0_inv
	scratch_load_b128 v[1:4], v207, off
	s_mov_b32 s2, exec_lo
	s_waitcnt vmcnt(0)
	ds_store_b128 v5, v[1:4]
	s_waitcnt lgkmcnt(0)
	s_barrier
	buffer_gl0_inv
	v_cmpx_gt_u32_e32 9, v158
	s_cbranch_execz .LBB57_51
; %bb.48:
	v_dual_mov_b32 v1, 0 :: v_dual_add_nc_u32 v8, 0x3a0, v13
	v_dual_mov_b32 v2, 0 :: v_dual_add_nc_u32 v7, -1, v158
	v_or_b32_e32 v9, 8, v14
	s_mov_b32 s3, 0
	s_delay_alu instid0(VALU_DEP_2)
	v_dual_mov_b32 v4, v2 :: v_dual_mov_b32 v3, v1
	.p2align	6
.LBB57_49:                              ; =>This Inner Loop Header: Depth=1
	scratch_load_b128 v[15:18], v9, off offset:-8
	ds_load_b128 v[19:22], v8
	v_add_nc_u32_e32 v7, 1, v7
	v_add_nc_u32_e32 v8, 16, v8
	v_add_nc_u32_e32 v9, 16, v9
	s_delay_alu instid0(VALU_DEP_3) | instskip(SKIP_4) | instid1(VALU_DEP_2)
	v_cmp_lt_u32_e32 vcc_lo, 7, v7
	s_or_b32 s3, vcc_lo, s3
	s_waitcnt vmcnt(0) lgkmcnt(0)
	v_mul_f64 v[10:11], v[21:22], v[17:18]
	v_mul_f64 v[17:18], v[19:20], v[17:18]
	v_fma_f64 v[10:11], v[19:20], v[15:16], -v[10:11]
	s_delay_alu instid0(VALU_DEP_2) | instskip(NEXT) | instid1(VALU_DEP_2)
	v_fma_f64 v[15:16], v[21:22], v[15:16], v[17:18]
	v_add_f64 v[3:4], v[3:4], v[10:11]
	s_delay_alu instid0(VALU_DEP_2)
	v_add_f64 v[1:2], v[1:2], v[15:16]
	s_and_not1_b32 exec_lo, exec_lo, s3
	s_cbranch_execnz .LBB57_49
; %bb.50:
	s_or_b32 exec_lo, exec_lo, s3
	v_mov_b32_e32 v7, 0
	ds_load_b128 v[7:10], v7 offset:144
	s_waitcnt lgkmcnt(0)
	v_mul_f64 v[11:12], v[1:2], v[9:10]
	v_mul_f64 v[15:16], v[3:4], v[9:10]
	s_delay_alu instid0(VALU_DEP_2) | instskip(NEXT) | instid1(VALU_DEP_2)
	v_fma_f64 v[9:10], v[3:4], v[7:8], -v[11:12]
	v_fma_f64 v[11:12], v[1:2], v[7:8], v[15:16]
	scratch_store_b128 off, v[9:12], off offset:144
.LBB57_51:
	s_or_b32 exec_lo, exec_lo, s2
	s_waitcnt_vscnt null, 0x0
	s_barrier
	buffer_gl0_inv
	scratch_load_b128 v[1:4], v206, off
	s_mov_b32 s2, exec_lo
	s_waitcnt vmcnt(0)
	ds_store_b128 v5, v[1:4]
	s_waitcnt lgkmcnt(0)
	s_barrier
	buffer_gl0_inv
	v_cmpx_gt_u32_e32 10, v158
	s_cbranch_execz .LBB57_55
; %bb.52:
	v_dual_mov_b32 v1, 0 :: v_dual_add_nc_u32 v8, 0x3a0, v13
	v_dual_mov_b32 v2, 0 :: v_dual_add_nc_u32 v7, -1, v158
	v_or_b32_e32 v9, 8, v14
	s_mov_b32 s3, 0
	s_delay_alu instid0(VALU_DEP_2)
	v_dual_mov_b32 v4, v2 :: v_dual_mov_b32 v3, v1
	.p2align	6
.LBB57_53:                              ; =>This Inner Loop Header: Depth=1
	scratch_load_b128 v[15:18], v9, off offset:-8
	ds_load_b128 v[19:22], v8
	v_add_nc_u32_e32 v7, 1, v7
	v_add_nc_u32_e32 v8, 16, v8
	;; [unrolled: 1-line block ×3, first 2 shown]
	s_delay_alu instid0(VALU_DEP_3) | instskip(SKIP_4) | instid1(VALU_DEP_2)
	v_cmp_lt_u32_e32 vcc_lo, 8, v7
	s_or_b32 s3, vcc_lo, s3
	s_waitcnt vmcnt(0) lgkmcnt(0)
	v_mul_f64 v[10:11], v[21:22], v[17:18]
	v_mul_f64 v[17:18], v[19:20], v[17:18]
	v_fma_f64 v[10:11], v[19:20], v[15:16], -v[10:11]
	s_delay_alu instid0(VALU_DEP_2) | instskip(NEXT) | instid1(VALU_DEP_2)
	v_fma_f64 v[15:16], v[21:22], v[15:16], v[17:18]
	v_add_f64 v[3:4], v[3:4], v[10:11]
	s_delay_alu instid0(VALU_DEP_2)
	v_add_f64 v[1:2], v[1:2], v[15:16]
	s_and_not1_b32 exec_lo, exec_lo, s3
	s_cbranch_execnz .LBB57_53
; %bb.54:
	s_or_b32 exec_lo, exec_lo, s3
	v_mov_b32_e32 v7, 0
	ds_load_b128 v[7:10], v7 offset:160
	s_waitcnt lgkmcnt(0)
	v_mul_f64 v[11:12], v[1:2], v[9:10]
	v_mul_f64 v[15:16], v[3:4], v[9:10]
	s_delay_alu instid0(VALU_DEP_2) | instskip(NEXT) | instid1(VALU_DEP_2)
	v_fma_f64 v[9:10], v[3:4], v[7:8], -v[11:12]
	v_fma_f64 v[11:12], v[1:2], v[7:8], v[15:16]
	scratch_store_b128 off, v[9:12], off offset:160
.LBB57_55:
	s_or_b32 exec_lo, exec_lo, s2
	s_waitcnt_vscnt null, 0x0
	s_barrier
	buffer_gl0_inv
	scratch_load_b128 v[1:4], v205, off
	s_mov_b32 s2, exec_lo
	s_waitcnt vmcnt(0)
	ds_store_b128 v5, v[1:4]
	s_waitcnt lgkmcnt(0)
	s_barrier
	buffer_gl0_inv
	v_cmpx_gt_u32_e32 11, v158
	s_cbranch_execz .LBB57_59
; %bb.56:
	v_dual_mov_b32 v1, 0 :: v_dual_add_nc_u32 v8, 0x3a0, v13
	v_dual_mov_b32 v2, 0 :: v_dual_add_nc_u32 v7, -1, v158
	v_or_b32_e32 v9, 8, v14
	s_mov_b32 s3, 0
	s_delay_alu instid0(VALU_DEP_2)
	v_dual_mov_b32 v4, v2 :: v_dual_mov_b32 v3, v1
	.p2align	6
.LBB57_57:                              ; =>This Inner Loop Header: Depth=1
	scratch_load_b128 v[15:18], v9, off offset:-8
	ds_load_b128 v[19:22], v8
	v_add_nc_u32_e32 v7, 1, v7
	v_add_nc_u32_e32 v8, 16, v8
	;; [unrolled: 1-line block ×3, first 2 shown]
	s_delay_alu instid0(VALU_DEP_3) | instskip(SKIP_4) | instid1(VALU_DEP_2)
	v_cmp_lt_u32_e32 vcc_lo, 9, v7
	s_or_b32 s3, vcc_lo, s3
	s_waitcnt vmcnt(0) lgkmcnt(0)
	v_mul_f64 v[10:11], v[21:22], v[17:18]
	v_mul_f64 v[17:18], v[19:20], v[17:18]
	v_fma_f64 v[10:11], v[19:20], v[15:16], -v[10:11]
	s_delay_alu instid0(VALU_DEP_2) | instskip(NEXT) | instid1(VALU_DEP_2)
	v_fma_f64 v[15:16], v[21:22], v[15:16], v[17:18]
	v_add_f64 v[3:4], v[3:4], v[10:11]
	s_delay_alu instid0(VALU_DEP_2)
	v_add_f64 v[1:2], v[1:2], v[15:16]
	s_and_not1_b32 exec_lo, exec_lo, s3
	s_cbranch_execnz .LBB57_57
; %bb.58:
	s_or_b32 exec_lo, exec_lo, s3
	v_mov_b32_e32 v7, 0
	ds_load_b128 v[7:10], v7 offset:176
	s_waitcnt lgkmcnt(0)
	v_mul_f64 v[11:12], v[1:2], v[9:10]
	v_mul_f64 v[15:16], v[3:4], v[9:10]
	s_delay_alu instid0(VALU_DEP_2) | instskip(NEXT) | instid1(VALU_DEP_2)
	v_fma_f64 v[9:10], v[3:4], v[7:8], -v[11:12]
	v_fma_f64 v[11:12], v[1:2], v[7:8], v[15:16]
	scratch_store_b128 off, v[9:12], off offset:176
.LBB57_59:
	s_or_b32 exec_lo, exec_lo, s2
	s_waitcnt_vscnt null, 0x0
	s_barrier
	buffer_gl0_inv
	scratch_load_b128 v[1:4], v204, off
	s_mov_b32 s2, exec_lo
	s_waitcnt vmcnt(0)
	ds_store_b128 v5, v[1:4]
	s_waitcnt lgkmcnt(0)
	s_barrier
	buffer_gl0_inv
	v_cmpx_gt_u32_e32 12, v158
	s_cbranch_execz .LBB57_63
; %bb.60:
	v_dual_mov_b32 v1, 0 :: v_dual_add_nc_u32 v8, 0x3a0, v13
	v_dual_mov_b32 v2, 0 :: v_dual_add_nc_u32 v7, -1, v158
	v_or_b32_e32 v9, 8, v14
	s_mov_b32 s3, 0
	s_delay_alu instid0(VALU_DEP_2)
	v_dual_mov_b32 v4, v2 :: v_dual_mov_b32 v3, v1
	.p2align	6
.LBB57_61:                              ; =>This Inner Loop Header: Depth=1
	scratch_load_b128 v[15:18], v9, off offset:-8
	ds_load_b128 v[19:22], v8
	v_add_nc_u32_e32 v7, 1, v7
	v_add_nc_u32_e32 v8, 16, v8
	;; [unrolled: 1-line block ×3, first 2 shown]
	s_delay_alu instid0(VALU_DEP_3) | instskip(SKIP_4) | instid1(VALU_DEP_2)
	v_cmp_lt_u32_e32 vcc_lo, 10, v7
	s_or_b32 s3, vcc_lo, s3
	s_waitcnt vmcnt(0) lgkmcnt(0)
	v_mul_f64 v[10:11], v[21:22], v[17:18]
	v_mul_f64 v[17:18], v[19:20], v[17:18]
	v_fma_f64 v[10:11], v[19:20], v[15:16], -v[10:11]
	s_delay_alu instid0(VALU_DEP_2) | instskip(NEXT) | instid1(VALU_DEP_2)
	v_fma_f64 v[15:16], v[21:22], v[15:16], v[17:18]
	v_add_f64 v[3:4], v[3:4], v[10:11]
	s_delay_alu instid0(VALU_DEP_2)
	v_add_f64 v[1:2], v[1:2], v[15:16]
	s_and_not1_b32 exec_lo, exec_lo, s3
	s_cbranch_execnz .LBB57_61
; %bb.62:
	s_or_b32 exec_lo, exec_lo, s3
	v_mov_b32_e32 v7, 0
	ds_load_b128 v[7:10], v7 offset:192
	s_waitcnt lgkmcnt(0)
	v_mul_f64 v[11:12], v[1:2], v[9:10]
	v_mul_f64 v[15:16], v[3:4], v[9:10]
	s_delay_alu instid0(VALU_DEP_2) | instskip(NEXT) | instid1(VALU_DEP_2)
	v_fma_f64 v[9:10], v[3:4], v[7:8], -v[11:12]
	v_fma_f64 v[11:12], v[1:2], v[7:8], v[15:16]
	scratch_store_b128 off, v[9:12], off offset:192
.LBB57_63:
	s_or_b32 exec_lo, exec_lo, s2
	s_waitcnt_vscnt null, 0x0
	s_barrier
	buffer_gl0_inv
	scratch_load_b128 v[1:4], v203, off
	s_mov_b32 s2, exec_lo
	s_waitcnt vmcnt(0)
	ds_store_b128 v5, v[1:4]
	s_waitcnt lgkmcnt(0)
	s_barrier
	buffer_gl0_inv
	v_cmpx_gt_u32_e32 13, v158
	s_cbranch_execz .LBB57_67
; %bb.64:
	v_dual_mov_b32 v1, 0 :: v_dual_add_nc_u32 v8, 0x3a0, v13
	v_dual_mov_b32 v2, 0 :: v_dual_add_nc_u32 v7, -1, v158
	v_or_b32_e32 v9, 8, v14
	s_mov_b32 s3, 0
	s_delay_alu instid0(VALU_DEP_2)
	v_dual_mov_b32 v4, v2 :: v_dual_mov_b32 v3, v1
	.p2align	6
.LBB57_65:                              ; =>This Inner Loop Header: Depth=1
	scratch_load_b128 v[15:18], v9, off offset:-8
	ds_load_b128 v[19:22], v8
	v_add_nc_u32_e32 v7, 1, v7
	v_add_nc_u32_e32 v8, 16, v8
	;; [unrolled: 1-line block ×3, first 2 shown]
	s_delay_alu instid0(VALU_DEP_3) | instskip(SKIP_4) | instid1(VALU_DEP_2)
	v_cmp_lt_u32_e32 vcc_lo, 11, v7
	s_or_b32 s3, vcc_lo, s3
	s_waitcnt vmcnt(0) lgkmcnt(0)
	v_mul_f64 v[10:11], v[21:22], v[17:18]
	v_mul_f64 v[17:18], v[19:20], v[17:18]
	v_fma_f64 v[10:11], v[19:20], v[15:16], -v[10:11]
	s_delay_alu instid0(VALU_DEP_2) | instskip(NEXT) | instid1(VALU_DEP_2)
	v_fma_f64 v[15:16], v[21:22], v[15:16], v[17:18]
	v_add_f64 v[3:4], v[3:4], v[10:11]
	s_delay_alu instid0(VALU_DEP_2)
	v_add_f64 v[1:2], v[1:2], v[15:16]
	s_and_not1_b32 exec_lo, exec_lo, s3
	s_cbranch_execnz .LBB57_65
; %bb.66:
	s_or_b32 exec_lo, exec_lo, s3
	v_mov_b32_e32 v7, 0
	ds_load_b128 v[7:10], v7 offset:208
	s_waitcnt lgkmcnt(0)
	v_mul_f64 v[11:12], v[1:2], v[9:10]
	v_mul_f64 v[15:16], v[3:4], v[9:10]
	s_delay_alu instid0(VALU_DEP_2) | instskip(NEXT) | instid1(VALU_DEP_2)
	v_fma_f64 v[9:10], v[3:4], v[7:8], -v[11:12]
	v_fma_f64 v[11:12], v[1:2], v[7:8], v[15:16]
	scratch_store_b128 off, v[9:12], off offset:208
.LBB57_67:
	s_or_b32 exec_lo, exec_lo, s2
	s_waitcnt_vscnt null, 0x0
	s_barrier
	buffer_gl0_inv
	scratch_load_b128 v[1:4], v202, off
	s_mov_b32 s2, exec_lo
	s_waitcnt vmcnt(0)
	ds_store_b128 v5, v[1:4]
	s_waitcnt lgkmcnt(0)
	s_barrier
	buffer_gl0_inv
	v_cmpx_gt_u32_e32 14, v158
	s_cbranch_execz .LBB57_71
; %bb.68:
	v_dual_mov_b32 v1, 0 :: v_dual_add_nc_u32 v8, 0x3a0, v13
	v_dual_mov_b32 v2, 0 :: v_dual_add_nc_u32 v7, -1, v158
	v_or_b32_e32 v9, 8, v14
	s_mov_b32 s3, 0
	s_delay_alu instid0(VALU_DEP_2)
	v_dual_mov_b32 v4, v2 :: v_dual_mov_b32 v3, v1
	.p2align	6
.LBB57_69:                              ; =>This Inner Loop Header: Depth=1
	scratch_load_b128 v[15:18], v9, off offset:-8
	ds_load_b128 v[19:22], v8
	v_add_nc_u32_e32 v7, 1, v7
	v_add_nc_u32_e32 v8, 16, v8
	;; [unrolled: 1-line block ×3, first 2 shown]
	s_delay_alu instid0(VALU_DEP_3) | instskip(SKIP_4) | instid1(VALU_DEP_2)
	v_cmp_lt_u32_e32 vcc_lo, 12, v7
	s_or_b32 s3, vcc_lo, s3
	s_waitcnt vmcnt(0) lgkmcnt(0)
	v_mul_f64 v[10:11], v[21:22], v[17:18]
	v_mul_f64 v[17:18], v[19:20], v[17:18]
	v_fma_f64 v[10:11], v[19:20], v[15:16], -v[10:11]
	s_delay_alu instid0(VALU_DEP_2) | instskip(NEXT) | instid1(VALU_DEP_2)
	v_fma_f64 v[15:16], v[21:22], v[15:16], v[17:18]
	v_add_f64 v[3:4], v[3:4], v[10:11]
	s_delay_alu instid0(VALU_DEP_2)
	v_add_f64 v[1:2], v[1:2], v[15:16]
	s_and_not1_b32 exec_lo, exec_lo, s3
	s_cbranch_execnz .LBB57_69
; %bb.70:
	s_or_b32 exec_lo, exec_lo, s3
	v_mov_b32_e32 v7, 0
	ds_load_b128 v[7:10], v7 offset:224
	s_waitcnt lgkmcnt(0)
	v_mul_f64 v[11:12], v[1:2], v[9:10]
	v_mul_f64 v[15:16], v[3:4], v[9:10]
	s_delay_alu instid0(VALU_DEP_2) | instskip(NEXT) | instid1(VALU_DEP_2)
	v_fma_f64 v[9:10], v[3:4], v[7:8], -v[11:12]
	v_fma_f64 v[11:12], v[1:2], v[7:8], v[15:16]
	scratch_store_b128 off, v[9:12], off offset:224
.LBB57_71:
	s_or_b32 exec_lo, exec_lo, s2
	s_waitcnt_vscnt null, 0x0
	s_barrier
	buffer_gl0_inv
	scratch_load_b128 v[1:4], v201, off
	s_mov_b32 s2, exec_lo
	s_waitcnt vmcnt(0)
	ds_store_b128 v5, v[1:4]
	s_waitcnt lgkmcnt(0)
	s_barrier
	buffer_gl0_inv
	v_cmpx_gt_u32_e32 15, v158
	s_cbranch_execz .LBB57_75
; %bb.72:
	v_dual_mov_b32 v1, 0 :: v_dual_add_nc_u32 v8, 0x3a0, v13
	v_dual_mov_b32 v2, 0 :: v_dual_add_nc_u32 v7, -1, v158
	v_or_b32_e32 v9, 8, v14
	s_mov_b32 s3, 0
	s_delay_alu instid0(VALU_DEP_2)
	v_dual_mov_b32 v4, v2 :: v_dual_mov_b32 v3, v1
	.p2align	6
.LBB57_73:                              ; =>This Inner Loop Header: Depth=1
	scratch_load_b128 v[15:18], v9, off offset:-8
	ds_load_b128 v[19:22], v8
	v_add_nc_u32_e32 v7, 1, v7
	v_add_nc_u32_e32 v8, 16, v8
	;; [unrolled: 1-line block ×3, first 2 shown]
	s_delay_alu instid0(VALU_DEP_3) | instskip(SKIP_4) | instid1(VALU_DEP_2)
	v_cmp_lt_u32_e32 vcc_lo, 13, v7
	s_or_b32 s3, vcc_lo, s3
	s_waitcnt vmcnt(0) lgkmcnt(0)
	v_mul_f64 v[10:11], v[21:22], v[17:18]
	v_mul_f64 v[17:18], v[19:20], v[17:18]
	v_fma_f64 v[10:11], v[19:20], v[15:16], -v[10:11]
	s_delay_alu instid0(VALU_DEP_2) | instskip(NEXT) | instid1(VALU_DEP_2)
	v_fma_f64 v[15:16], v[21:22], v[15:16], v[17:18]
	v_add_f64 v[3:4], v[3:4], v[10:11]
	s_delay_alu instid0(VALU_DEP_2)
	v_add_f64 v[1:2], v[1:2], v[15:16]
	s_and_not1_b32 exec_lo, exec_lo, s3
	s_cbranch_execnz .LBB57_73
; %bb.74:
	s_or_b32 exec_lo, exec_lo, s3
	v_mov_b32_e32 v7, 0
	ds_load_b128 v[7:10], v7 offset:240
	s_waitcnt lgkmcnt(0)
	v_mul_f64 v[11:12], v[1:2], v[9:10]
	v_mul_f64 v[15:16], v[3:4], v[9:10]
	s_delay_alu instid0(VALU_DEP_2) | instskip(NEXT) | instid1(VALU_DEP_2)
	v_fma_f64 v[9:10], v[3:4], v[7:8], -v[11:12]
	v_fma_f64 v[11:12], v[1:2], v[7:8], v[15:16]
	scratch_store_b128 off, v[9:12], off offset:240
.LBB57_75:
	s_or_b32 exec_lo, exec_lo, s2
	s_waitcnt_vscnt null, 0x0
	s_barrier
	buffer_gl0_inv
	scratch_load_b128 v[1:4], v200, off
	s_mov_b32 s2, exec_lo
	s_waitcnt vmcnt(0)
	ds_store_b128 v5, v[1:4]
	s_waitcnt lgkmcnt(0)
	s_barrier
	buffer_gl0_inv
	v_cmpx_gt_u32_e32 16, v158
	s_cbranch_execz .LBB57_79
; %bb.76:
	v_dual_mov_b32 v1, 0 :: v_dual_add_nc_u32 v8, 0x3a0, v13
	v_dual_mov_b32 v2, 0 :: v_dual_add_nc_u32 v7, -1, v158
	v_or_b32_e32 v9, 8, v14
	s_mov_b32 s3, 0
	s_delay_alu instid0(VALU_DEP_2)
	v_dual_mov_b32 v4, v2 :: v_dual_mov_b32 v3, v1
	.p2align	6
.LBB57_77:                              ; =>This Inner Loop Header: Depth=1
	scratch_load_b128 v[15:18], v9, off offset:-8
	ds_load_b128 v[19:22], v8
	v_add_nc_u32_e32 v7, 1, v7
	v_add_nc_u32_e32 v8, 16, v8
	;; [unrolled: 1-line block ×3, first 2 shown]
	s_delay_alu instid0(VALU_DEP_3) | instskip(SKIP_4) | instid1(VALU_DEP_2)
	v_cmp_lt_u32_e32 vcc_lo, 14, v7
	s_or_b32 s3, vcc_lo, s3
	s_waitcnt vmcnt(0) lgkmcnt(0)
	v_mul_f64 v[10:11], v[21:22], v[17:18]
	v_mul_f64 v[17:18], v[19:20], v[17:18]
	v_fma_f64 v[10:11], v[19:20], v[15:16], -v[10:11]
	s_delay_alu instid0(VALU_DEP_2) | instskip(NEXT) | instid1(VALU_DEP_2)
	v_fma_f64 v[15:16], v[21:22], v[15:16], v[17:18]
	v_add_f64 v[3:4], v[3:4], v[10:11]
	s_delay_alu instid0(VALU_DEP_2)
	v_add_f64 v[1:2], v[1:2], v[15:16]
	s_and_not1_b32 exec_lo, exec_lo, s3
	s_cbranch_execnz .LBB57_77
; %bb.78:
	s_or_b32 exec_lo, exec_lo, s3
	v_mov_b32_e32 v7, 0
	ds_load_b128 v[7:10], v7 offset:256
	s_waitcnt lgkmcnt(0)
	v_mul_f64 v[11:12], v[1:2], v[9:10]
	v_mul_f64 v[15:16], v[3:4], v[9:10]
	s_delay_alu instid0(VALU_DEP_2) | instskip(NEXT) | instid1(VALU_DEP_2)
	v_fma_f64 v[9:10], v[3:4], v[7:8], -v[11:12]
	v_fma_f64 v[11:12], v[1:2], v[7:8], v[15:16]
	scratch_store_b128 off, v[9:12], off offset:256
.LBB57_79:
	s_or_b32 exec_lo, exec_lo, s2
	s_waitcnt_vscnt null, 0x0
	s_barrier
	buffer_gl0_inv
	scratch_load_b128 v[1:4], v199, off
	s_mov_b32 s2, exec_lo
	s_waitcnt vmcnt(0)
	ds_store_b128 v5, v[1:4]
	s_waitcnt lgkmcnt(0)
	s_barrier
	buffer_gl0_inv
	v_cmpx_gt_u32_e32 17, v158
	s_cbranch_execz .LBB57_83
; %bb.80:
	v_dual_mov_b32 v1, 0 :: v_dual_add_nc_u32 v8, 0x3a0, v13
	v_dual_mov_b32 v2, 0 :: v_dual_add_nc_u32 v7, -1, v158
	v_or_b32_e32 v9, 8, v14
	s_mov_b32 s3, 0
	s_delay_alu instid0(VALU_DEP_2)
	v_dual_mov_b32 v4, v2 :: v_dual_mov_b32 v3, v1
	.p2align	6
.LBB57_81:                              ; =>This Inner Loop Header: Depth=1
	scratch_load_b128 v[15:18], v9, off offset:-8
	ds_load_b128 v[19:22], v8
	v_add_nc_u32_e32 v7, 1, v7
	v_add_nc_u32_e32 v8, 16, v8
	;; [unrolled: 1-line block ×3, first 2 shown]
	s_delay_alu instid0(VALU_DEP_3) | instskip(SKIP_4) | instid1(VALU_DEP_2)
	v_cmp_lt_u32_e32 vcc_lo, 15, v7
	s_or_b32 s3, vcc_lo, s3
	s_waitcnt vmcnt(0) lgkmcnt(0)
	v_mul_f64 v[10:11], v[21:22], v[17:18]
	v_mul_f64 v[17:18], v[19:20], v[17:18]
	v_fma_f64 v[10:11], v[19:20], v[15:16], -v[10:11]
	s_delay_alu instid0(VALU_DEP_2) | instskip(NEXT) | instid1(VALU_DEP_2)
	v_fma_f64 v[15:16], v[21:22], v[15:16], v[17:18]
	v_add_f64 v[3:4], v[3:4], v[10:11]
	s_delay_alu instid0(VALU_DEP_2)
	v_add_f64 v[1:2], v[1:2], v[15:16]
	s_and_not1_b32 exec_lo, exec_lo, s3
	s_cbranch_execnz .LBB57_81
; %bb.82:
	s_or_b32 exec_lo, exec_lo, s3
	v_mov_b32_e32 v7, 0
	ds_load_b128 v[7:10], v7 offset:272
	s_waitcnt lgkmcnt(0)
	v_mul_f64 v[11:12], v[1:2], v[9:10]
	v_mul_f64 v[15:16], v[3:4], v[9:10]
	s_delay_alu instid0(VALU_DEP_2) | instskip(NEXT) | instid1(VALU_DEP_2)
	v_fma_f64 v[9:10], v[3:4], v[7:8], -v[11:12]
	v_fma_f64 v[11:12], v[1:2], v[7:8], v[15:16]
	scratch_store_b128 off, v[9:12], off offset:272
.LBB57_83:
	s_or_b32 exec_lo, exec_lo, s2
	s_waitcnt_vscnt null, 0x0
	s_barrier
	buffer_gl0_inv
	scratch_load_b128 v[1:4], v197, off
	s_mov_b32 s2, exec_lo
	s_waitcnt vmcnt(0)
	ds_store_b128 v5, v[1:4]
	s_waitcnt lgkmcnt(0)
	s_barrier
	buffer_gl0_inv
	v_cmpx_gt_u32_e32 18, v158
	s_cbranch_execz .LBB57_87
; %bb.84:
	v_dual_mov_b32 v1, 0 :: v_dual_add_nc_u32 v8, 0x3a0, v13
	v_dual_mov_b32 v2, 0 :: v_dual_add_nc_u32 v7, -1, v158
	v_or_b32_e32 v9, 8, v14
	s_mov_b32 s3, 0
	s_delay_alu instid0(VALU_DEP_2)
	v_dual_mov_b32 v4, v2 :: v_dual_mov_b32 v3, v1
	.p2align	6
.LBB57_85:                              ; =>This Inner Loop Header: Depth=1
	scratch_load_b128 v[15:18], v9, off offset:-8
	ds_load_b128 v[19:22], v8
	v_add_nc_u32_e32 v7, 1, v7
	v_add_nc_u32_e32 v8, 16, v8
	;; [unrolled: 1-line block ×3, first 2 shown]
	s_delay_alu instid0(VALU_DEP_3) | instskip(SKIP_4) | instid1(VALU_DEP_2)
	v_cmp_lt_u32_e32 vcc_lo, 16, v7
	s_or_b32 s3, vcc_lo, s3
	s_waitcnt vmcnt(0) lgkmcnt(0)
	v_mul_f64 v[10:11], v[21:22], v[17:18]
	v_mul_f64 v[17:18], v[19:20], v[17:18]
	v_fma_f64 v[10:11], v[19:20], v[15:16], -v[10:11]
	s_delay_alu instid0(VALU_DEP_2) | instskip(NEXT) | instid1(VALU_DEP_2)
	v_fma_f64 v[15:16], v[21:22], v[15:16], v[17:18]
	v_add_f64 v[3:4], v[3:4], v[10:11]
	s_delay_alu instid0(VALU_DEP_2)
	v_add_f64 v[1:2], v[1:2], v[15:16]
	s_and_not1_b32 exec_lo, exec_lo, s3
	s_cbranch_execnz .LBB57_85
; %bb.86:
	s_or_b32 exec_lo, exec_lo, s3
	v_mov_b32_e32 v7, 0
	ds_load_b128 v[7:10], v7 offset:288
	s_waitcnt lgkmcnt(0)
	v_mul_f64 v[11:12], v[1:2], v[9:10]
	v_mul_f64 v[15:16], v[3:4], v[9:10]
	s_delay_alu instid0(VALU_DEP_2) | instskip(NEXT) | instid1(VALU_DEP_2)
	v_fma_f64 v[9:10], v[3:4], v[7:8], -v[11:12]
	v_fma_f64 v[11:12], v[1:2], v[7:8], v[15:16]
	scratch_store_b128 off, v[9:12], off offset:288
.LBB57_87:
	s_or_b32 exec_lo, exec_lo, s2
	s_waitcnt_vscnt null, 0x0
	s_barrier
	buffer_gl0_inv
	scratch_load_b128 v[1:4], v198, off
	s_mov_b32 s2, exec_lo
	s_waitcnt vmcnt(0)
	ds_store_b128 v5, v[1:4]
	s_waitcnt lgkmcnt(0)
	s_barrier
	buffer_gl0_inv
	v_cmpx_gt_u32_e32 19, v158
	s_cbranch_execz .LBB57_91
; %bb.88:
	v_dual_mov_b32 v1, 0 :: v_dual_add_nc_u32 v8, 0x3a0, v13
	v_dual_mov_b32 v2, 0 :: v_dual_add_nc_u32 v7, -1, v158
	v_or_b32_e32 v9, 8, v14
	s_mov_b32 s3, 0
	s_delay_alu instid0(VALU_DEP_2)
	v_dual_mov_b32 v4, v2 :: v_dual_mov_b32 v3, v1
	.p2align	6
.LBB57_89:                              ; =>This Inner Loop Header: Depth=1
	scratch_load_b128 v[15:18], v9, off offset:-8
	ds_load_b128 v[19:22], v8
	v_add_nc_u32_e32 v7, 1, v7
	v_add_nc_u32_e32 v8, 16, v8
	;; [unrolled: 1-line block ×3, first 2 shown]
	s_delay_alu instid0(VALU_DEP_3) | instskip(SKIP_4) | instid1(VALU_DEP_2)
	v_cmp_lt_u32_e32 vcc_lo, 17, v7
	s_or_b32 s3, vcc_lo, s3
	s_waitcnt vmcnt(0) lgkmcnt(0)
	v_mul_f64 v[10:11], v[21:22], v[17:18]
	v_mul_f64 v[17:18], v[19:20], v[17:18]
	v_fma_f64 v[10:11], v[19:20], v[15:16], -v[10:11]
	s_delay_alu instid0(VALU_DEP_2) | instskip(NEXT) | instid1(VALU_DEP_2)
	v_fma_f64 v[15:16], v[21:22], v[15:16], v[17:18]
	v_add_f64 v[3:4], v[3:4], v[10:11]
	s_delay_alu instid0(VALU_DEP_2)
	v_add_f64 v[1:2], v[1:2], v[15:16]
	s_and_not1_b32 exec_lo, exec_lo, s3
	s_cbranch_execnz .LBB57_89
; %bb.90:
	s_or_b32 exec_lo, exec_lo, s3
	v_mov_b32_e32 v7, 0
	ds_load_b128 v[7:10], v7 offset:304
	s_waitcnt lgkmcnt(0)
	v_mul_f64 v[11:12], v[1:2], v[9:10]
	v_mul_f64 v[15:16], v[3:4], v[9:10]
	s_delay_alu instid0(VALU_DEP_2) | instskip(NEXT) | instid1(VALU_DEP_2)
	v_fma_f64 v[9:10], v[3:4], v[7:8], -v[11:12]
	v_fma_f64 v[11:12], v[1:2], v[7:8], v[15:16]
	scratch_store_b128 off, v[9:12], off offset:304
.LBB57_91:
	s_or_b32 exec_lo, exec_lo, s2
	s_waitcnt_vscnt null, 0x0
	s_barrier
	buffer_gl0_inv
	scratch_load_b128 v[1:4], v196, off
	s_mov_b32 s2, exec_lo
	s_waitcnt vmcnt(0)
	ds_store_b128 v5, v[1:4]
	s_waitcnt lgkmcnt(0)
	s_barrier
	buffer_gl0_inv
	v_cmpx_gt_u32_e32 20, v158
	s_cbranch_execz .LBB57_95
; %bb.92:
	v_dual_mov_b32 v1, 0 :: v_dual_add_nc_u32 v8, 0x3a0, v13
	v_dual_mov_b32 v2, 0 :: v_dual_add_nc_u32 v7, -1, v158
	v_or_b32_e32 v9, 8, v14
	s_mov_b32 s3, 0
	s_delay_alu instid0(VALU_DEP_2)
	v_dual_mov_b32 v4, v2 :: v_dual_mov_b32 v3, v1
	.p2align	6
.LBB57_93:                              ; =>This Inner Loop Header: Depth=1
	scratch_load_b128 v[15:18], v9, off offset:-8
	ds_load_b128 v[19:22], v8
	v_add_nc_u32_e32 v7, 1, v7
	v_add_nc_u32_e32 v8, 16, v8
	;; [unrolled: 1-line block ×3, first 2 shown]
	s_delay_alu instid0(VALU_DEP_3) | instskip(SKIP_4) | instid1(VALU_DEP_2)
	v_cmp_lt_u32_e32 vcc_lo, 18, v7
	s_or_b32 s3, vcc_lo, s3
	s_waitcnt vmcnt(0) lgkmcnt(0)
	v_mul_f64 v[10:11], v[21:22], v[17:18]
	v_mul_f64 v[17:18], v[19:20], v[17:18]
	v_fma_f64 v[10:11], v[19:20], v[15:16], -v[10:11]
	s_delay_alu instid0(VALU_DEP_2) | instskip(NEXT) | instid1(VALU_DEP_2)
	v_fma_f64 v[15:16], v[21:22], v[15:16], v[17:18]
	v_add_f64 v[3:4], v[3:4], v[10:11]
	s_delay_alu instid0(VALU_DEP_2)
	v_add_f64 v[1:2], v[1:2], v[15:16]
	s_and_not1_b32 exec_lo, exec_lo, s3
	s_cbranch_execnz .LBB57_93
; %bb.94:
	s_or_b32 exec_lo, exec_lo, s3
	v_mov_b32_e32 v7, 0
	ds_load_b128 v[7:10], v7 offset:320
	s_waitcnt lgkmcnt(0)
	v_mul_f64 v[11:12], v[1:2], v[9:10]
	v_mul_f64 v[15:16], v[3:4], v[9:10]
	s_delay_alu instid0(VALU_DEP_2) | instskip(NEXT) | instid1(VALU_DEP_2)
	v_fma_f64 v[9:10], v[3:4], v[7:8], -v[11:12]
	v_fma_f64 v[11:12], v[1:2], v[7:8], v[15:16]
	scratch_store_b128 off, v[9:12], off offset:320
.LBB57_95:
	s_or_b32 exec_lo, exec_lo, s2
	s_waitcnt_vscnt null, 0x0
	s_barrier
	buffer_gl0_inv
	scratch_load_b128 v[1:4], v195, off
	s_mov_b32 s2, exec_lo
	s_waitcnt vmcnt(0)
	ds_store_b128 v5, v[1:4]
	s_waitcnt lgkmcnt(0)
	s_barrier
	buffer_gl0_inv
	v_cmpx_gt_u32_e32 21, v158
	s_cbranch_execz .LBB57_99
; %bb.96:
	v_dual_mov_b32 v1, 0 :: v_dual_add_nc_u32 v8, 0x3a0, v13
	v_dual_mov_b32 v2, 0 :: v_dual_add_nc_u32 v7, -1, v158
	v_or_b32_e32 v9, 8, v14
	s_mov_b32 s3, 0
	s_delay_alu instid0(VALU_DEP_2)
	v_dual_mov_b32 v4, v2 :: v_dual_mov_b32 v3, v1
	.p2align	6
.LBB57_97:                              ; =>This Inner Loop Header: Depth=1
	scratch_load_b128 v[15:18], v9, off offset:-8
	ds_load_b128 v[19:22], v8
	v_add_nc_u32_e32 v7, 1, v7
	v_add_nc_u32_e32 v8, 16, v8
	;; [unrolled: 1-line block ×3, first 2 shown]
	s_delay_alu instid0(VALU_DEP_3) | instskip(SKIP_4) | instid1(VALU_DEP_2)
	v_cmp_lt_u32_e32 vcc_lo, 19, v7
	s_or_b32 s3, vcc_lo, s3
	s_waitcnt vmcnt(0) lgkmcnt(0)
	v_mul_f64 v[10:11], v[21:22], v[17:18]
	v_mul_f64 v[17:18], v[19:20], v[17:18]
	v_fma_f64 v[10:11], v[19:20], v[15:16], -v[10:11]
	s_delay_alu instid0(VALU_DEP_2) | instskip(NEXT) | instid1(VALU_DEP_2)
	v_fma_f64 v[15:16], v[21:22], v[15:16], v[17:18]
	v_add_f64 v[3:4], v[3:4], v[10:11]
	s_delay_alu instid0(VALU_DEP_2)
	v_add_f64 v[1:2], v[1:2], v[15:16]
	s_and_not1_b32 exec_lo, exec_lo, s3
	s_cbranch_execnz .LBB57_97
; %bb.98:
	s_or_b32 exec_lo, exec_lo, s3
	v_mov_b32_e32 v7, 0
	ds_load_b128 v[7:10], v7 offset:336
	s_waitcnt lgkmcnt(0)
	v_mul_f64 v[11:12], v[1:2], v[9:10]
	v_mul_f64 v[15:16], v[3:4], v[9:10]
	s_delay_alu instid0(VALU_DEP_2) | instskip(NEXT) | instid1(VALU_DEP_2)
	v_fma_f64 v[9:10], v[3:4], v[7:8], -v[11:12]
	v_fma_f64 v[11:12], v[1:2], v[7:8], v[15:16]
	scratch_store_b128 off, v[9:12], off offset:336
.LBB57_99:
	s_or_b32 exec_lo, exec_lo, s2
	s_waitcnt_vscnt null, 0x0
	s_barrier
	buffer_gl0_inv
	scratch_load_b32 v1, off, off offset:988 ; 4-byte Folded Reload
	s_mov_b32 s2, exec_lo
	s_waitcnt vmcnt(0)
	scratch_load_b128 v[1:4], v1, off
	s_waitcnt vmcnt(0)
	ds_store_b128 v5, v[1:4]
	s_waitcnt lgkmcnt(0)
	s_barrier
	buffer_gl0_inv
	v_cmpx_gt_u32_e32 22, v158
	s_cbranch_execz .LBB57_103
; %bb.100:
	v_dual_mov_b32 v1, 0 :: v_dual_add_nc_u32 v8, 0x3a0, v13
	v_dual_mov_b32 v2, 0 :: v_dual_add_nc_u32 v7, -1, v158
	v_or_b32_e32 v9, 8, v14
	s_mov_b32 s3, 0
	s_delay_alu instid0(VALU_DEP_2)
	v_dual_mov_b32 v4, v2 :: v_dual_mov_b32 v3, v1
	.p2align	6
.LBB57_101:                             ; =>This Inner Loop Header: Depth=1
	scratch_load_b128 v[15:18], v9, off offset:-8
	ds_load_b128 v[19:22], v8
	v_add_nc_u32_e32 v7, 1, v7
	v_add_nc_u32_e32 v8, 16, v8
	;; [unrolled: 1-line block ×3, first 2 shown]
	s_delay_alu instid0(VALU_DEP_3) | instskip(SKIP_4) | instid1(VALU_DEP_2)
	v_cmp_lt_u32_e32 vcc_lo, 20, v7
	s_or_b32 s3, vcc_lo, s3
	s_waitcnt vmcnt(0) lgkmcnt(0)
	v_mul_f64 v[10:11], v[21:22], v[17:18]
	v_mul_f64 v[17:18], v[19:20], v[17:18]
	v_fma_f64 v[10:11], v[19:20], v[15:16], -v[10:11]
	s_delay_alu instid0(VALU_DEP_2) | instskip(NEXT) | instid1(VALU_DEP_2)
	v_fma_f64 v[15:16], v[21:22], v[15:16], v[17:18]
	v_add_f64 v[3:4], v[3:4], v[10:11]
	s_delay_alu instid0(VALU_DEP_2)
	v_add_f64 v[1:2], v[1:2], v[15:16]
	s_and_not1_b32 exec_lo, exec_lo, s3
	s_cbranch_execnz .LBB57_101
; %bb.102:
	s_or_b32 exec_lo, exec_lo, s3
	v_mov_b32_e32 v7, 0
	ds_load_b128 v[7:10], v7 offset:352
	s_waitcnt lgkmcnt(0)
	v_mul_f64 v[11:12], v[1:2], v[9:10]
	v_mul_f64 v[15:16], v[3:4], v[9:10]
	s_delay_alu instid0(VALU_DEP_2) | instskip(NEXT) | instid1(VALU_DEP_2)
	v_fma_f64 v[9:10], v[3:4], v[7:8], -v[11:12]
	v_fma_f64 v[11:12], v[1:2], v[7:8], v[15:16]
	scratch_store_b128 off, v[9:12], off offset:352
.LBB57_103:
	s_or_b32 exec_lo, exec_lo, s2
	s_waitcnt_vscnt null, 0x0
	s_barrier
	buffer_gl0_inv
	scratch_load_b32 v1, off, off offset:992 ; 4-byte Folded Reload
	s_mov_b32 s2, exec_lo
	s_waitcnt vmcnt(0)
	scratch_load_b128 v[1:4], v1, off
	s_waitcnt vmcnt(0)
	ds_store_b128 v5, v[1:4]
	s_waitcnt lgkmcnt(0)
	s_barrier
	buffer_gl0_inv
	v_cmpx_gt_u32_e32 23, v158
	s_cbranch_execz .LBB57_107
; %bb.104:
	v_dual_mov_b32 v1, 0 :: v_dual_add_nc_u32 v8, 0x3a0, v13
	v_dual_mov_b32 v2, 0 :: v_dual_add_nc_u32 v7, -1, v158
	v_or_b32_e32 v9, 8, v14
	s_mov_b32 s3, 0
	s_delay_alu instid0(VALU_DEP_2)
	v_dual_mov_b32 v4, v2 :: v_dual_mov_b32 v3, v1
	.p2align	6
.LBB57_105:                             ; =>This Inner Loop Header: Depth=1
	scratch_load_b128 v[15:18], v9, off offset:-8
	ds_load_b128 v[19:22], v8
	v_add_nc_u32_e32 v7, 1, v7
	v_add_nc_u32_e32 v8, 16, v8
	;; [unrolled: 1-line block ×3, first 2 shown]
	s_delay_alu instid0(VALU_DEP_3) | instskip(SKIP_4) | instid1(VALU_DEP_2)
	v_cmp_lt_u32_e32 vcc_lo, 21, v7
	s_or_b32 s3, vcc_lo, s3
	s_waitcnt vmcnt(0) lgkmcnt(0)
	v_mul_f64 v[10:11], v[21:22], v[17:18]
	v_mul_f64 v[17:18], v[19:20], v[17:18]
	v_fma_f64 v[10:11], v[19:20], v[15:16], -v[10:11]
	s_delay_alu instid0(VALU_DEP_2) | instskip(NEXT) | instid1(VALU_DEP_2)
	v_fma_f64 v[15:16], v[21:22], v[15:16], v[17:18]
	v_add_f64 v[3:4], v[3:4], v[10:11]
	s_delay_alu instid0(VALU_DEP_2)
	v_add_f64 v[1:2], v[1:2], v[15:16]
	s_and_not1_b32 exec_lo, exec_lo, s3
	s_cbranch_execnz .LBB57_105
; %bb.106:
	s_or_b32 exec_lo, exec_lo, s3
	v_mov_b32_e32 v7, 0
	ds_load_b128 v[7:10], v7 offset:368
	s_waitcnt lgkmcnt(0)
	v_mul_f64 v[11:12], v[1:2], v[9:10]
	v_mul_f64 v[15:16], v[3:4], v[9:10]
	s_delay_alu instid0(VALU_DEP_2) | instskip(NEXT) | instid1(VALU_DEP_2)
	v_fma_f64 v[9:10], v[3:4], v[7:8], -v[11:12]
	v_fma_f64 v[11:12], v[1:2], v[7:8], v[15:16]
	scratch_store_b128 off, v[9:12], off offset:368
.LBB57_107:
	s_or_b32 exec_lo, exec_lo, s2
	s_waitcnt_vscnt null, 0x0
	s_barrier
	buffer_gl0_inv
	scratch_load_b32 v1, off, off offset:984 ; 4-byte Folded Reload
	s_mov_b32 s2, exec_lo
	s_waitcnt vmcnt(0)
	scratch_load_b128 v[1:4], v1, off
	s_waitcnt vmcnt(0)
	ds_store_b128 v5, v[1:4]
	s_waitcnt lgkmcnt(0)
	s_barrier
	buffer_gl0_inv
	v_cmpx_gt_u32_e32 24, v158
	s_cbranch_execz .LBB57_111
; %bb.108:
	v_dual_mov_b32 v1, 0 :: v_dual_add_nc_u32 v8, 0x3a0, v13
	v_dual_mov_b32 v2, 0 :: v_dual_add_nc_u32 v7, -1, v158
	v_or_b32_e32 v9, 8, v14
	s_mov_b32 s3, 0
	s_delay_alu instid0(VALU_DEP_2)
	v_dual_mov_b32 v4, v2 :: v_dual_mov_b32 v3, v1
	.p2align	6
.LBB57_109:                             ; =>This Inner Loop Header: Depth=1
	scratch_load_b128 v[15:18], v9, off offset:-8
	ds_load_b128 v[19:22], v8
	v_add_nc_u32_e32 v7, 1, v7
	v_add_nc_u32_e32 v8, 16, v8
	;; [unrolled: 1-line block ×3, first 2 shown]
	s_delay_alu instid0(VALU_DEP_3) | instskip(SKIP_4) | instid1(VALU_DEP_2)
	v_cmp_lt_u32_e32 vcc_lo, 22, v7
	s_or_b32 s3, vcc_lo, s3
	s_waitcnt vmcnt(0) lgkmcnt(0)
	v_mul_f64 v[10:11], v[21:22], v[17:18]
	v_mul_f64 v[17:18], v[19:20], v[17:18]
	v_fma_f64 v[10:11], v[19:20], v[15:16], -v[10:11]
	s_delay_alu instid0(VALU_DEP_2) | instskip(NEXT) | instid1(VALU_DEP_2)
	v_fma_f64 v[15:16], v[21:22], v[15:16], v[17:18]
	v_add_f64 v[3:4], v[3:4], v[10:11]
	s_delay_alu instid0(VALU_DEP_2)
	v_add_f64 v[1:2], v[1:2], v[15:16]
	s_and_not1_b32 exec_lo, exec_lo, s3
	s_cbranch_execnz .LBB57_109
; %bb.110:
	s_or_b32 exec_lo, exec_lo, s3
	v_mov_b32_e32 v7, 0
	ds_load_b128 v[7:10], v7 offset:384
	s_waitcnt lgkmcnt(0)
	v_mul_f64 v[11:12], v[1:2], v[9:10]
	v_mul_f64 v[15:16], v[3:4], v[9:10]
	s_delay_alu instid0(VALU_DEP_2) | instskip(NEXT) | instid1(VALU_DEP_2)
	v_fma_f64 v[9:10], v[3:4], v[7:8], -v[11:12]
	v_fma_f64 v[11:12], v[1:2], v[7:8], v[15:16]
	scratch_store_b128 off, v[9:12], off offset:384
.LBB57_111:
	s_or_b32 exec_lo, exec_lo, s2
	s_waitcnt_vscnt null, 0x0
	s_barrier
	buffer_gl0_inv
	scratch_load_b32 v1, off, off offset:980 ; 4-byte Folded Reload
	s_mov_b32 s2, exec_lo
	s_waitcnt vmcnt(0)
	scratch_load_b128 v[1:4], v1, off
	s_waitcnt vmcnt(0)
	ds_store_b128 v5, v[1:4]
	s_waitcnt lgkmcnt(0)
	s_barrier
	buffer_gl0_inv
	v_cmpx_gt_u32_e32 25, v158
	s_cbranch_execz .LBB57_115
; %bb.112:
	v_dual_mov_b32 v1, 0 :: v_dual_add_nc_u32 v8, 0x3a0, v13
	v_dual_mov_b32 v2, 0 :: v_dual_add_nc_u32 v7, -1, v158
	v_or_b32_e32 v9, 8, v14
	s_mov_b32 s3, 0
	s_delay_alu instid0(VALU_DEP_2)
	v_dual_mov_b32 v4, v2 :: v_dual_mov_b32 v3, v1
	.p2align	6
.LBB57_113:                             ; =>This Inner Loop Header: Depth=1
	scratch_load_b128 v[15:18], v9, off offset:-8
	ds_load_b128 v[19:22], v8
	v_add_nc_u32_e32 v7, 1, v7
	v_add_nc_u32_e32 v8, 16, v8
	;; [unrolled: 1-line block ×3, first 2 shown]
	s_delay_alu instid0(VALU_DEP_3) | instskip(SKIP_4) | instid1(VALU_DEP_2)
	v_cmp_lt_u32_e32 vcc_lo, 23, v7
	s_or_b32 s3, vcc_lo, s3
	s_waitcnt vmcnt(0) lgkmcnt(0)
	v_mul_f64 v[10:11], v[21:22], v[17:18]
	v_mul_f64 v[17:18], v[19:20], v[17:18]
	v_fma_f64 v[10:11], v[19:20], v[15:16], -v[10:11]
	s_delay_alu instid0(VALU_DEP_2) | instskip(NEXT) | instid1(VALU_DEP_2)
	v_fma_f64 v[15:16], v[21:22], v[15:16], v[17:18]
	v_add_f64 v[3:4], v[3:4], v[10:11]
	s_delay_alu instid0(VALU_DEP_2)
	v_add_f64 v[1:2], v[1:2], v[15:16]
	s_and_not1_b32 exec_lo, exec_lo, s3
	s_cbranch_execnz .LBB57_113
; %bb.114:
	s_or_b32 exec_lo, exec_lo, s3
	v_mov_b32_e32 v7, 0
	ds_load_b128 v[7:10], v7 offset:400
	s_waitcnt lgkmcnt(0)
	v_mul_f64 v[11:12], v[1:2], v[9:10]
	v_mul_f64 v[15:16], v[3:4], v[9:10]
	s_delay_alu instid0(VALU_DEP_2) | instskip(NEXT) | instid1(VALU_DEP_2)
	v_fma_f64 v[9:10], v[3:4], v[7:8], -v[11:12]
	v_fma_f64 v[11:12], v[1:2], v[7:8], v[15:16]
	scratch_store_b128 off, v[9:12], off offset:400
.LBB57_115:
	s_or_b32 exec_lo, exec_lo, s2
	s_waitcnt_vscnt null, 0x0
	s_barrier
	buffer_gl0_inv
	scratch_load_b32 v1, off, off offset:972 ; 4-byte Folded Reload
	s_mov_b32 s2, exec_lo
	s_waitcnt vmcnt(0)
	scratch_load_b128 v[1:4], v1, off
	s_waitcnt vmcnt(0)
	ds_store_b128 v5, v[1:4]
	s_waitcnt lgkmcnt(0)
	s_barrier
	buffer_gl0_inv
	v_cmpx_gt_u32_e32 26, v158
	s_cbranch_execz .LBB57_119
; %bb.116:
	v_dual_mov_b32 v1, 0 :: v_dual_add_nc_u32 v8, 0x3a0, v13
	v_dual_mov_b32 v2, 0 :: v_dual_add_nc_u32 v7, -1, v158
	v_or_b32_e32 v9, 8, v14
	s_mov_b32 s3, 0
	s_delay_alu instid0(VALU_DEP_2)
	v_dual_mov_b32 v4, v2 :: v_dual_mov_b32 v3, v1
	.p2align	6
.LBB57_117:                             ; =>This Inner Loop Header: Depth=1
	scratch_load_b128 v[15:18], v9, off offset:-8
	ds_load_b128 v[19:22], v8
	v_add_nc_u32_e32 v7, 1, v7
	v_add_nc_u32_e32 v8, 16, v8
	;; [unrolled: 1-line block ×3, first 2 shown]
	s_delay_alu instid0(VALU_DEP_3) | instskip(SKIP_4) | instid1(VALU_DEP_2)
	v_cmp_lt_u32_e32 vcc_lo, 24, v7
	s_or_b32 s3, vcc_lo, s3
	s_waitcnt vmcnt(0) lgkmcnt(0)
	v_mul_f64 v[10:11], v[21:22], v[17:18]
	v_mul_f64 v[17:18], v[19:20], v[17:18]
	v_fma_f64 v[10:11], v[19:20], v[15:16], -v[10:11]
	s_delay_alu instid0(VALU_DEP_2) | instskip(NEXT) | instid1(VALU_DEP_2)
	v_fma_f64 v[15:16], v[21:22], v[15:16], v[17:18]
	v_add_f64 v[3:4], v[3:4], v[10:11]
	s_delay_alu instid0(VALU_DEP_2)
	v_add_f64 v[1:2], v[1:2], v[15:16]
	s_and_not1_b32 exec_lo, exec_lo, s3
	s_cbranch_execnz .LBB57_117
; %bb.118:
	s_or_b32 exec_lo, exec_lo, s3
	v_mov_b32_e32 v7, 0
	ds_load_b128 v[7:10], v7 offset:416
	s_waitcnt lgkmcnt(0)
	v_mul_f64 v[11:12], v[1:2], v[9:10]
	v_mul_f64 v[15:16], v[3:4], v[9:10]
	s_delay_alu instid0(VALU_DEP_2) | instskip(NEXT) | instid1(VALU_DEP_2)
	v_fma_f64 v[9:10], v[3:4], v[7:8], -v[11:12]
	v_fma_f64 v[11:12], v[1:2], v[7:8], v[15:16]
	scratch_store_b128 off, v[9:12], off offset:416
.LBB57_119:
	s_or_b32 exec_lo, exec_lo, s2
	s_waitcnt_vscnt null, 0x0
	s_barrier
	buffer_gl0_inv
	scratch_load_b32 v1, off, off offset:976 ; 4-byte Folded Reload
	s_mov_b32 s2, exec_lo
	s_waitcnt vmcnt(0)
	scratch_load_b128 v[1:4], v1, off
	s_waitcnt vmcnt(0)
	ds_store_b128 v5, v[1:4]
	s_waitcnt lgkmcnt(0)
	s_barrier
	buffer_gl0_inv
	v_cmpx_gt_u32_e32 27, v158
	s_cbranch_execz .LBB57_123
; %bb.120:
	v_dual_mov_b32 v1, 0 :: v_dual_add_nc_u32 v8, 0x3a0, v13
	v_dual_mov_b32 v2, 0 :: v_dual_add_nc_u32 v7, -1, v158
	v_or_b32_e32 v9, 8, v14
	s_mov_b32 s3, 0
	s_delay_alu instid0(VALU_DEP_2)
	v_dual_mov_b32 v4, v2 :: v_dual_mov_b32 v3, v1
	.p2align	6
.LBB57_121:                             ; =>This Inner Loop Header: Depth=1
	scratch_load_b128 v[15:18], v9, off offset:-8
	ds_load_b128 v[19:22], v8
	v_add_nc_u32_e32 v7, 1, v7
	v_add_nc_u32_e32 v8, 16, v8
	;; [unrolled: 1-line block ×3, first 2 shown]
	s_delay_alu instid0(VALU_DEP_3) | instskip(SKIP_4) | instid1(VALU_DEP_2)
	v_cmp_lt_u32_e32 vcc_lo, 25, v7
	s_or_b32 s3, vcc_lo, s3
	s_waitcnt vmcnt(0) lgkmcnt(0)
	v_mul_f64 v[10:11], v[21:22], v[17:18]
	v_mul_f64 v[17:18], v[19:20], v[17:18]
	v_fma_f64 v[10:11], v[19:20], v[15:16], -v[10:11]
	s_delay_alu instid0(VALU_DEP_2) | instskip(NEXT) | instid1(VALU_DEP_2)
	v_fma_f64 v[15:16], v[21:22], v[15:16], v[17:18]
	v_add_f64 v[3:4], v[3:4], v[10:11]
	s_delay_alu instid0(VALU_DEP_2)
	v_add_f64 v[1:2], v[1:2], v[15:16]
	s_and_not1_b32 exec_lo, exec_lo, s3
	s_cbranch_execnz .LBB57_121
; %bb.122:
	s_or_b32 exec_lo, exec_lo, s3
	v_mov_b32_e32 v7, 0
	ds_load_b128 v[7:10], v7 offset:432
	s_waitcnt lgkmcnt(0)
	v_mul_f64 v[11:12], v[1:2], v[9:10]
	v_mul_f64 v[15:16], v[3:4], v[9:10]
	s_delay_alu instid0(VALU_DEP_2) | instskip(NEXT) | instid1(VALU_DEP_2)
	v_fma_f64 v[9:10], v[3:4], v[7:8], -v[11:12]
	v_fma_f64 v[11:12], v[1:2], v[7:8], v[15:16]
	scratch_store_b128 off, v[9:12], off offset:432
.LBB57_123:
	s_or_b32 exec_lo, exec_lo, s2
	s_waitcnt_vscnt null, 0x0
	s_barrier
	buffer_gl0_inv
	scratch_load_b32 v1, off, off offset:968 ; 4-byte Folded Reload
	s_mov_b32 s2, exec_lo
	s_waitcnt vmcnt(0)
	scratch_load_b128 v[1:4], v1, off
	s_waitcnt vmcnt(0)
	ds_store_b128 v5, v[1:4]
	s_waitcnt lgkmcnt(0)
	s_barrier
	buffer_gl0_inv
	v_cmpx_gt_u32_e32 28, v158
	s_cbranch_execz .LBB57_127
; %bb.124:
	v_dual_mov_b32 v1, 0 :: v_dual_add_nc_u32 v8, 0x3a0, v13
	v_dual_mov_b32 v2, 0 :: v_dual_add_nc_u32 v7, -1, v158
	v_or_b32_e32 v9, 8, v14
	s_mov_b32 s3, 0
	s_delay_alu instid0(VALU_DEP_2)
	v_dual_mov_b32 v4, v2 :: v_dual_mov_b32 v3, v1
	.p2align	6
.LBB57_125:                             ; =>This Inner Loop Header: Depth=1
	scratch_load_b128 v[15:18], v9, off offset:-8
	ds_load_b128 v[19:22], v8
	v_add_nc_u32_e32 v7, 1, v7
	v_add_nc_u32_e32 v8, 16, v8
	v_add_nc_u32_e32 v9, 16, v9
	s_delay_alu instid0(VALU_DEP_3) | instskip(SKIP_4) | instid1(VALU_DEP_2)
	v_cmp_lt_u32_e32 vcc_lo, 26, v7
	s_or_b32 s3, vcc_lo, s3
	s_waitcnt vmcnt(0) lgkmcnt(0)
	v_mul_f64 v[10:11], v[21:22], v[17:18]
	v_mul_f64 v[17:18], v[19:20], v[17:18]
	v_fma_f64 v[10:11], v[19:20], v[15:16], -v[10:11]
	s_delay_alu instid0(VALU_DEP_2) | instskip(NEXT) | instid1(VALU_DEP_2)
	v_fma_f64 v[15:16], v[21:22], v[15:16], v[17:18]
	v_add_f64 v[3:4], v[3:4], v[10:11]
	s_delay_alu instid0(VALU_DEP_2)
	v_add_f64 v[1:2], v[1:2], v[15:16]
	s_and_not1_b32 exec_lo, exec_lo, s3
	s_cbranch_execnz .LBB57_125
; %bb.126:
	s_or_b32 exec_lo, exec_lo, s3
	v_mov_b32_e32 v7, 0
	ds_load_b128 v[7:10], v7 offset:448
	s_waitcnt lgkmcnt(0)
	v_mul_f64 v[11:12], v[1:2], v[9:10]
	v_mul_f64 v[15:16], v[3:4], v[9:10]
	s_delay_alu instid0(VALU_DEP_2) | instskip(NEXT) | instid1(VALU_DEP_2)
	v_fma_f64 v[9:10], v[3:4], v[7:8], -v[11:12]
	v_fma_f64 v[11:12], v[1:2], v[7:8], v[15:16]
	scratch_store_b128 off, v[9:12], off offset:448
.LBB57_127:
	s_or_b32 exec_lo, exec_lo, s2
	s_waitcnt_vscnt null, 0x0
	s_barrier
	buffer_gl0_inv
	scratch_load_b32 v1, off, off offset:964 ; 4-byte Folded Reload
	s_mov_b32 s2, exec_lo
	s_waitcnt vmcnt(0)
	scratch_load_b128 v[1:4], v1, off
	s_waitcnt vmcnt(0)
	ds_store_b128 v5, v[1:4]
	s_waitcnt lgkmcnt(0)
	s_barrier
	buffer_gl0_inv
	v_cmpx_gt_u32_e32 29, v158
	s_cbranch_execz .LBB57_131
; %bb.128:
	v_dual_mov_b32 v1, 0 :: v_dual_add_nc_u32 v8, 0x3a0, v13
	v_dual_mov_b32 v2, 0 :: v_dual_add_nc_u32 v7, -1, v158
	v_or_b32_e32 v9, 8, v14
	s_mov_b32 s3, 0
	s_delay_alu instid0(VALU_DEP_2)
	v_dual_mov_b32 v4, v2 :: v_dual_mov_b32 v3, v1
	.p2align	6
.LBB57_129:                             ; =>This Inner Loop Header: Depth=1
	scratch_load_b128 v[15:18], v9, off offset:-8
	ds_load_b128 v[19:22], v8
	v_add_nc_u32_e32 v7, 1, v7
	v_add_nc_u32_e32 v8, 16, v8
	;; [unrolled: 1-line block ×3, first 2 shown]
	s_delay_alu instid0(VALU_DEP_3) | instskip(SKIP_4) | instid1(VALU_DEP_2)
	v_cmp_lt_u32_e32 vcc_lo, 27, v7
	s_or_b32 s3, vcc_lo, s3
	s_waitcnt vmcnt(0) lgkmcnt(0)
	v_mul_f64 v[10:11], v[21:22], v[17:18]
	v_mul_f64 v[17:18], v[19:20], v[17:18]
	v_fma_f64 v[10:11], v[19:20], v[15:16], -v[10:11]
	s_delay_alu instid0(VALU_DEP_2) | instskip(NEXT) | instid1(VALU_DEP_2)
	v_fma_f64 v[15:16], v[21:22], v[15:16], v[17:18]
	v_add_f64 v[3:4], v[3:4], v[10:11]
	s_delay_alu instid0(VALU_DEP_2)
	v_add_f64 v[1:2], v[1:2], v[15:16]
	s_and_not1_b32 exec_lo, exec_lo, s3
	s_cbranch_execnz .LBB57_129
; %bb.130:
	s_or_b32 exec_lo, exec_lo, s3
	v_mov_b32_e32 v7, 0
	ds_load_b128 v[7:10], v7 offset:464
	s_waitcnt lgkmcnt(0)
	v_mul_f64 v[11:12], v[1:2], v[9:10]
	v_mul_f64 v[15:16], v[3:4], v[9:10]
	s_delay_alu instid0(VALU_DEP_2) | instskip(NEXT) | instid1(VALU_DEP_2)
	v_fma_f64 v[9:10], v[3:4], v[7:8], -v[11:12]
	v_fma_f64 v[11:12], v[1:2], v[7:8], v[15:16]
	scratch_store_b128 off, v[9:12], off offset:464
.LBB57_131:
	s_or_b32 exec_lo, exec_lo, s2
	s_waitcnt_vscnt null, 0x0
	s_barrier
	buffer_gl0_inv
	scratch_load_b32 v1, off, off offset:956 ; 4-byte Folded Reload
	s_mov_b32 s2, exec_lo
	s_waitcnt vmcnt(0)
	scratch_load_b128 v[1:4], v1, off
	s_waitcnt vmcnt(0)
	ds_store_b128 v5, v[1:4]
	s_waitcnt lgkmcnt(0)
	s_barrier
	buffer_gl0_inv
	v_cmpx_gt_u32_e32 30, v158
	s_cbranch_execz .LBB57_135
; %bb.132:
	v_dual_mov_b32 v1, 0 :: v_dual_add_nc_u32 v8, 0x3a0, v13
	v_dual_mov_b32 v2, 0 :: v_dual_add_nc_u32 v7, -1, v158
	v_or_b32_e32 v9, 8, v14
	s_mov_b32 s3, 0
	s_delay_alu instid0(VALU_DEP_2)
	v_dual_mov_b32 v4, v2 :: v_dual_mov_b32 v3, v1
	.p2align	6
.LBB57_133:                             ; =>This Inner Loop Header: Depth=1
	scratch_load_b128 v[15:18], v9, off offset:-8
	ds_load_b128 v[19:22], v8
	v_add_nc_u32_e32 v7, 1, v7
	v_add_nc_u32_e32 v8, 16, v8
	;; [unrolled: 1-line block ×3, first 2 shown]
	s_delay_alu instid0(VALU_DEP_3) | instskip(SKIP_4) | instid1(VALU_DEP_2)
	v_cmp_lt_u32_e32 vcc_lo, 28, v7
	s_or_b32 s3, vcc_lo, s3
	s_waitcnt vmcnt(0) lgkmcnt(0)
	v_mul_f64 v[10:11], v[21:22], v[17:18]
	v_mul_f64 v[17:18], v[19:20], v[17:18]
	v_fma_f64 v[10:11], v[19:20], v[15:16], -v[10:11]
	s_delay_alu instid0(VALU_DEP_2) | instskip(NEXT) | instid1(VALU_DEP_2)
	v_fma_f64 v[15:16], v[21:22], v[15:16], v[17:18]
	v_add_f64 v[3:4], v[3:4], v[10:11]
	s_delay_alu instid0(VALU_DEP_2)
	v_add_f64 v[1:2], v[1:2], v[15:16]
	s_and_not1_b32 exec_lo, exec_lo, s3
	s_cbranch_execnz .LBB57_133
; %bb.134:
	s_or_b32 exec_lo, exec_lo, s3
	v_mov_b32_e32 v7, 0
	ds_load_b128 v[7:10], v7 offset:480
	s_waitcnt lgkmcnt(0)
	v_mul_f64 v[11:12], v[1:2], v[9:10]
	v_mul_f64 v[15:16], v[3:4], v[9:10]
	s_delay_alu instid0(VALU_DEP_2) | instskip(NEXT) | instid1(VALU_DEP_2)
	v_fma_f64 v[9:10], v[3:4], v[7:8], -v[11:12]
	v_fma_f64 v[11:12], v[1:2], v[7:8], v[15:16]
	scratch_store_b128 off, v[9:12], off offset:480
.LBB57_135:
	s_or_b32 exec_lo, exec_lo, s2
	s_waitcnt_vscnt null, 0x0
	s_barrier
	buffer_gl0_inv
	scratch_load_b32 v1, off, off offset:960 ; 4-byte Folded Reload
	s_mov_b32 s2, exec_lo
	s_waitcnt vmcnt(0)
	scratch_load_b128 v[1:4], v1, off
	s_waitcnt vmcnt(0)
	ds_store_b128 v5, v[1:4]
	s_waitcnt lgkmcnt(0)
	s_barrier
	buffer_gl0_inv
	v_cmpx_gt_u32_e32 31, v158
	s_cbranch_execz .LBB57_139
; %bb.136:
	v_dual_mov_b32 v1, 0 :: v_dual_add_nc_u32 v8, 0x3a0, v13
	v_dual_mov_b32 v2, 0 :: v_dual_add_nc_u32 v7, -1, v158
	v_or_b32_e32 v9, 8, v14
	s_mov_b32 s3, 0
	s_delay_alu instid0(VALU_DEP_2)
	v_dual_mov_b32 v4, v2 :: v_dual_mov_b32 v3, v1
	.p2align	6
.LBB57_137:                             ; =>This Inner Loop Header: Depth=1
	scratch_load_b128 v[15:18], v9, off offset:-8
	ds_load_b128 v[19:22], v8
	v_add_nc_u32_e32 v7, 1, v7
	v_add_nc_u32_e32 v8, 16, v8
	;; [unrolled: 1-line block ×3, first 2 shown]
	s_delay_alu instid0(VALU_DEP_3) | instskip(SKIP_4) | instid1(VALU_DEP_2)
	v_cmp_lt_u32_e32 vcc_lo, 29, v7
	s_or_b32 s3, vcc_lo, s3
	s_waitcnt vmcnt(0) lgkmcnt(0)
	v_mul_f64 v[10:11], v[21:22], v[17:18]
	v_mul_f64 v[17:18], v[19:20], v[17:18]
	v_fma_f64 v[10:11], v[19:20], v[15:16], -v[10:11]
	s_delay_alu instid0(VALU_DEP_2) | instskip(NEXT) | instid1(VALU_DEP_2)
	v_fma_f64 v[15:16], v[21:22], v[15:16], v[17:18]
	v_add_f64 v[3:4], v[3:4], v[10:11]
	s_delay_alu instid0(VALU_DEP_2)
	v_add_f64 v[1:2], v[1:2], v[15:16]
	s_and_not1_b32 exec_lo, exec_lo, s3
	s_cbranch_execnz .LBB57_137
; %bb.138:
	s_or_b32 exec_lo, exec_lo, s3
	v_mov_b32_e32 v7, 0
	ds_load_b128 v[7:10], v7 offset:496
	s_waitcnt lgkmcnt(0)
	v_mul_f64 v[11:12], v[1:2], v[9:10]
	v_mul_f64 v[15:16], v[3:4], v[9:10]
	s_delay_alu instid0(VALU_DEP_2) | instskip(NEXT) | instid1(VALU_DEP_2)
	v_fma_f64 v[9:10], v[3:4], v[7:8], -v[11:12]
	v_fma_f64 v[11:12], v[1:2], v[7:8], v[15:16]
	scratch_store_b128 off, v[9:12], off offset:496
.LBB57_139:
	s_or_b32 exec_lo, exec_lo, s2
	s_waitcnt_vscnt null, 0x0
	s_barrier
	buffer_gl0_inv
	scratch_load_b32 v1, off, off offset:952 ; 4-byte Folded Reload
	s_mov_b32 s2, exec_lo
	s_waitcnt vmcnt(0)
	scratch_load_b128 v[1:4], v1, off
	s_waitcnt vmcnt(0)
	ds_store_b128 v5, v[1:4]
	s_waitcnt lgkmcnt(0)
	s_barrier
	buffer_gl0_inv
	v_cmpx_gt_u32_e32 32, v158
	s_cbranch_execz .LBB57_143
; %bb.140:
	v_dual_mov_b32 v1, 0 :: v_dual_add_nc_u32 v8, 0x3a0, v13
	v_dual_mov_b32 v2, 0 :: v_dual_add_nc_u32 v7, -1, v158
	v_or_b32_e32 v9, 8, v14
	s_mov_b32 s3, 0
	s_delay_alu instid0(VALU_DEP_2)
	v_dual_mov_b32 v4, v2 :: v_dual_mov_b32 v3, v1
	.p2align	6
.LBB57_141:                             ; =>This Inner Loop Header: Depth=1
	scratch_load_b128 v[15:18], v9, off offset:-8
	ds_load_b128 v[19:22], v8
	v_add_nc_u32_e32 v7, 1, v7
	v_add_nc_u32_e32 v8, 16, v8
	;; [unrolled: 1-line block ×3, first 2 shown]
	s_delay_alu instid0(VALU_DEP_3) | instskip(SKIP_4) | instid1(VALU_DEP_2)
	v_cmp_lt_u32_e32 vcc_lo, 30, v7
	s_or_b32 s3, vcc_lo, s3
	s_waitcnt vmcnt(0) lgkmcnt(0)
	v_mul_f64 v[10:11], v[21:22], v[17:18]
	v_mul_f64 v[17:18], v[19:20], v[17:18]
	v_fma_f64 v[10:11], v[19:20], v[15:16], -v[10:11]
	s_delay_alu instid0(VALU_DEP_2) | instskip(NEXT) | instid1(VALU_DEP_2)
	v_fma_f64 v[15:16], v[21:22], v[15:16], v[17:18]
	v_add_f64 v[3:4], v[3:4], v[10:11]
	s_delay_alu instid0(VALU_DEP_2)
	v_add_f64 v[1:2], v[1:2], v[15:16]
	s_and_not1_b32 exec_lo, exec_lo, s3
	s_cbranch_execnz .LBB57_141
; %bb.142:
	s_or_b32 exec_lo, exec_lo, s3
	v_mov_b32_e32 v7, 0
	ds_load_b128 v[7:10], v7 offset:512
	s_waitcnt lgkmcnt(0)
	v_mul_f64 v[11:12], v[1:2], v[9:10]
	v_mul_f64 v[15:16], v[3:4], v[9:10]
	s_delay_alu instid0(VALU_DEP_2) | instskip(NEXT) | instid1(VALU_DEP_2)
	v_fma_f64 v[9:10], v[3:4], v[7:8], -v[11:12]
	v_fma_f64 v[11:12], v[1:2], v[7:8], v[15:16]
	scratch_store_b128 off, v[9:12], off offset:512
.LBB57_143:
	s_or_b32 exec_lo, exec_lo, s2
	s_waitcnt_vscnt null, 0x0
	s_barrier
	buffer_gl0_inv
	scratch_load_b32 v1, off, off offset:948 ; 4-byte Folded Reload
	s_mov_b32 s2, exec_lo
	s_waitcnt vmcnt(0)
	scratch_load_b128 v[1:4], v1, off
	s_waitcnt vmcnt(0)
	ds_store_b128 v5, v[1:4]
	s_waitcnt lgkmcnt(0)
	s_barrier
	buffer_gl0_inv
	v_cmpx_gt_u32_e32 33, v158
	s_cbranch_execz .LBB57_147
; %bb.144:
	v_dual_mov_b32 v1, 0 :: v_dual_add_nc_u32 v8, 0x3a0, v13
	v_dual_mov_b32 v2, 0 :: v_dual_add_nc_u32 v7, -1, v158
	v_or_b32_e32 v9, 8, v14
	s_mov_b32 s3, 0
	s_delay_alu instid0(VALU_DEP_2)
	v_dual_mov_b32 v4, v2 :: v_dual_mov_b32 v3, v1
	.p2align	6
.LBB57_145:                             ; =>This Inner Loop Header: Depth=1
	scratch_load_b128 v[15:18], v9, off offset:-8
	ds_load_b128 v[19:22], v8
	v_add_nc_u32_e32 v7, 1, v7
	v_add_nc_u32_e32 v8, 16, v8
	;; [unrolled: 1-line block ×3, first 2 shown]
	s_delay_alu instid0(VALU_DEP_3) | instskip(SKIP_4) | instid1(VALU_DEP_2)
	v_cmp_lt_u32_e32 vcc_lo, 31, v7
	s_or_b32 s3, vcc_lo, s3
	s_waitcnt vmcnt(0) lgkmcnt(0)
	v_mul_f64 v[10:11], v[21:22], v[17:18]
	v_mul_f64 v[17:18], v[19:20], v[17:18]
	v_fma_f64 v[10:11], v[19:20], v[15:16], -v[10:11]
	s_delay_alu instid0(VALU_DEP_2) | instskip(NEXT) | instid1(VALU_DEP_2)
	v_fma_f64 v[15:16], v[21:22], v[15:16], v[17:18]
	v_add_f64 v[3:4], v[3:4], v[10:11]
	s_delay_alu instid0(VALU_DEP_2)
	v_add_f64 v[1:2], v[1:2], v[15:16]
	s_and_not1_b32 exec_lo, exec_lo, s3
	s_cbranch_execnz .LBB57_145
; %bb.146:
	s_or_b32 exec_lo, exec_lo, s3
	v_mov_b32_e32 v7, 0
	ds_load_b128 v[7:10], v7 offset:528
	s_waitcnt lgkmcnt(0)
	v_mul_f64 v[11:12], v[1:2], v[9:10]
	v_mul_f64 v[15:16], v[3:4], v[9:10]
	s_delay_alu instid0(VALU_DEP_2) | instskip(NEXT) | instid1(VALU_DEP_2)
	v_fma_f64 v[9:10], v[3:4], v[7:8], -v[11:12]
	v_fma_f64 v[11:12], v[1:2], v[7:8], v[15:16]
	scratch_store_b128 off, v[9:12], off offset:528
.LBB57_147:
	s_or_b32 exec_lo, exec_lo, s2
	s_waitcnt_vscnt null, 0x0
	s_barrier
	buffer_gl0_inv
	scratch_load_b32 v1, off, off offset:940 ; 4-byte Folded Reload
	s_mov_b32 s2, exec_lo
	s_waitcnt vmcnt(0)
	scratch_load_b128 v[1:4], v1, off
	s_waitcnt vmcnt(0)
	ds_store_b128 v5, v[1:4]
	s_waitcnt lgkmcnt(0)
	s_barrier
	buffer_gl0_inv
	v_cmpx_gt_u32_e32 34, v158
	s_cbranch_execz .LBB57_151
; %bb.148:
	v_dual_mov_b32 v1, 0 :: v_dual_add_nc_u32 v8, 0x3a0, v13
	v_dual_mov_b32 v2, 0 :: v_dual_add_nc_u32 v7, -1, v158
	v_or_b32_e32 v9, 8, v14
	s_mov_b32 s3, 0
	s_delay_alu instid0(VALU_DEP_2)
	v_dual_mov_b32 v4, v2 :: v_dual_mov_b32 v3, v1
	.p2align	6
.LBB57_149:                             ; =>This Inner Loop Header: Depth=1
	scratch_load_b128 v[15:18], v9, off offset:-8
	ds_load_b128 v[19:22], v8
	v_add_nc_u32_e32 v7, 1, v7
	v_add_nc_u32_e32 v8, 16, v8
	;; [unrolled: 1-line block ×3, first 2 shown]
	s_delay_alu instid0(VALU_DEP_3) | instskip(SKIP_4) | instid1(VALU_DEP_2)
	v_cmp_lt_u32_e32 vcc_lo, 32, v7
	s_or_b32 s3, vcc_lo, s3
	s_waitcnt vmcnt(0) lgkmcnt(0)
	v_mul_f64 v[10:11], v[21:22], v[17:18]
	v_mul_f64 v[17:18], v[19:20], v[17:18]
	v_fma_f64 v[10:11], v[19:20], v[15:16], -v[10:11]
	s_delay_alu instid0(VALU_DEP_2) | instskip(NEXT) | instid1(VALU_DEP_2)
	v_fma_f64 v[15:16], v[21:22], v[15:16], v[17:18]
	v_add_f64 v[3:4], v[3:4], v[10:11]
	s_delay_alu instid0(VALU_DEP_2)
	v_add_f64 v[1:2], v[1:2], v[15:16]
	s_and_not1_b32 exec_lo, exec_lo, s3
	s_cbranch_execnz .LBB57_149
; %bb.150:
	s_or_b32 exec_lo, exec_lo, s3
	v_mov_b32_e32 v7, 0
	ds_load_b128 v[7:10], v7 offset:544
	s_waitcnt lgkmcnt(0)
	v_mul_f64 v[11:12], v[1:2], v[9:10]
	v_mul_f64 v[15:16], v[3:4], v[9:10]
	s_delay_alu instid0(VALU_DEP_2) | instskip(NEXT) | instid1(VALU_DEP_2)
	v_fma_f64 v[9:10], v[3:4], v[7:8], -v[11:12]
	v_fma_f64 v[11:12], v[1:2], v[7:8], v[15:16]
	scratch_store_b128 off, v[9:12], off offset:544
.LBB57_151:
	s_or_b32 exec_lo, exec_lo, s2
	s_waitcnt_vscnt null, 0x0
	s_barrier
	buffer_gl0_inv
	scratch_load_b32 v1, off, off offset:944 ; 4-byte Folded Reload
	s_mov_b32 s2, exec_lo
	s_waitcnt vmcnt(0)
	scratch_load_b128 v[1:4], v1, off
	s_waitcnt vmcnt(0)
	ds_store_b128 v5, v[1:4]
	s_waitcnt lgkmcnt(0)
	s_barrier
	buffer_gl0_inv
	v_cmpx_gt_u32_e32 35, v158
	s_cbranch_execz .LBB57_155
; %bb.152:
	v_dual_mov_b32 v1, 0 :: v_dual_add_nc_u32 v8, 0x3a0, v13
	v_dual_mov_b32 v2, 0 :: v_dual_add_nc_u32 v7, -1, v158
	v_or_b32_e32 v9, 8, v14
	s_mov_b32 s3, 0
	s_delay_alu instid0(VALU_DEP_2)
	v_dual_mov_b32 v4, v2 :: v_dual_mov_b32 v3, v1
	.p2align	6
.LBB57_153:                             ; =>This Inner Loop Header: Depth=1
	scratch_load_b128 v[15:18], v9, off offset:-8
	ds_load_b128 v[19:22], v8
	v_add_nc_u32_e32 v7, 1, v7
	v_add_nc_u32_e32 v8, 16, v8
	;; [unrolled: 1-line block ×3, first 2 shown]
	s_delay_alu instid0(VALU_DEP_3) | instskip(SKIP_4) | instid1(VALU_DEP_2)
	v_cmp_lt_u32_e32 vcc_lo, 33, v7
	s_or_b32 s3, vcc_lo, s3
	s_waitcnt vmcnt(0) lgkmcnt(0)
	v_mul_f64 v[10:11], v[21:22], v[17:18]
	v_mul_f64 v[17:18], v[19:20], v[17:18]
	v_fma_f64 v[10:11], v[19:20], v[15:16], -v[10:11]
	s_delay_alu instid0(VALU_DEP_2) | instskip(NEXT) | instid1(VALU_DEP_2)
	v_fma_f64 v[15:16], v[21:22], v[15:16], v[17:18]
	v_add_f64 v[3:4], v[3:4], v[10:11]
	s_delay_alu instid0(VALU_DEP_2)
	v_add_f64 v[1:2], v[1:2], v[15:16]
	s_and_not1_b32 exec_lo, exec_lo, s3
	s_cbranch_execnz .LBB57_153
; %bb.154:
	s_or_b32 exec_lo, exec_lo, s3
	v_mov_b32_e32 v7, 0
	ds_load_b128 v[7:10], v7 offset:560
	s_waitcnt lgkmcnt(0)
	v_mul_f64 v[11:12], v[1:2], v[9:10]
	v_mul_f64 v[15:16], v[3:4], v[9:10]
	s_delay_alu instid0(VALU_DEP_2) | instskip(NEXT) | instid1(VALU_DEP_2)
	v_fma_f64 v[9:10], v[3:4], v[7:8], -v[11:12]
	v_fma_f64 v[11:12], v[1:2], v[7:8], v[15:16]
	scratch_store_b128 off, v[9:12], off offset:560
.LBB57_155:
	s_or_b32 exec_lo, exec_lo, s2
	s_waitcnt_vscnt null, 0x0
	s_barrier
	buffer_gl0_inv
	scratch_load_b32 v1, off, off offset:936 ; 4-byte Folded Reload
	s_mov_b32 s2, exec_lo
	s_waitcnt vmcnt(0)
	scratch_load_b128 v[1:4], v1, off
	s_waitcnt vmcnt(0)
	ds_store_b128 v5, v[1:4]
	s_waitcnt lgkmcnt(0)
	s_barrier
	buffer_gl0_inv
	v_cmpx_gt_u32_e32 36, v158
	s_cbranch_execz .LBB57_159
; %bb.156:
	v_dual_mov_b32 v1, 0 :: v_dual_add_nc_u32 v8, 0x3a0, v13
	v_dual_mov_b32 v2, 0 :: v_dual_add_nc_u32 v7, -1, v158
	v_or_b32_e32 v9, 8, v14
	s_mov_b32 s3, 0
	s_delay_alu instid0(VALU_DEP_2)
	v_dual_mov_b32 v4, v2 :: v_dual_mov_b32 v3, v1
	.p2align	6
.LBB57_157:                             ; =>This Inner Loop Header: Depth=1
	scratch_load_b128 v[15:18], v9, off offset:-8
	ds_load_b128 v[19:22], v8
	v_add_nc_u32_e32 v7, 1, v7
	v_add_nc_u32_e32 v8, 16, v8
	;; [unrolled: 1-line block ×3, first 2 shown]
	s_delay_alu instid0(VALU_DEP_3) | instskip(SKIP_4) | instid1(VALU_DEP_2)
	v_cmp_lt_u32_e32 vcc_lo, 34, v7
	s_or_b32 s3, vcc_lo, s3
	s_waitcnt vmcnt(0) lgkmcnt(0)
	v_mul_f64 v[10:11], v[21:22], v[17:18]
	v_mul_f64 v[17:18], v[19:20], v[17:18]
	v_fma_f64 v[10:11], v[19:20], v[15:16], -v[10:11]
	s_delay_alu instid0(VALU_DEP_2) | instskip(NEXT) | instid1(VALU_DEP_2)
	v_fma_f64 v[15:16], v[21:22], v[15:16], v[17:18]
	v_add_f64 v[3:4], v[3:4], v[10:11]
	s_delay_alu instid0(VALU_DEP_2)
	v_add_f64 v[1:2], v[1:2], v[15:16]
	s_and_not1_b32 exec_lo, exec_lo, s3
	s_cbranch_execnz .LBB57_157
; %bb.158:
	s_or_b32 exec_lo, exec_lo, s3
	v_mov_b32_e32 v7, 0
	ds_load_b128 v[7:10], v7 offset:576
	s_waitcnt lgkmcnt(0)
	v_mul_f64 v[11:12], v[1:2], v[9:10]
	v_mul_f64 v[15:16], v[3:4], v[9:10]
	s_delay_alu instid0(VALU_DEP_2) | instskip(NEXT) | instid1(VALU_DEP_2)
	v_fma_f64 v[9:10], v[3:4], v[7:8], -v[11:12]
	v_fma_f64 v[11:12], v[1:2], v[7:8], v[15:16]
	scratch_store_b128 off, v[9:12], off offset:576
.LBB57_159:
	s_or_b32 exec_lo, exec_lo, s2
	s_waitcnt_vscnt null, 0x0
	s_barrier
	buffer_gl0_inv
	scratch_load_b32 v1, off, off offset:932 ; 4-byte Folded Reload
	s_mov_b32 s2, exec_lo
	s_waitcnt vmcnt(0)
	scratch_load_b128 v[1:4], v1, off
	s_waitcnt vmcnt(0)
	ds_store_b128 v5, v[1:4]
	s_waitcnt lgkmcnt(0)
	s_barrier
	buffer_gl0_inv
	v_cmpx_gt_u32_e32 37, v158
	s_cbranch_execz .LBB57_163
; %bb.160:
	v_dual_mov_b32 v1, 0 :: v_dual_add_nc_u32 v8, 0x3a0, v13
	v_dual_mov_b32 v2, 0 :: v_dual_add_nc_u32 v7, -1, v158
	v_or_b32_e32 v9, 8, v14
	s_mov_b32 s3, 0
	s_delay_alu instid0(VALU_DEP_2)
	v_dual_mov_b32 v4, v2 :: v_dual_mov_b32 v3, v1
	.p2align	6
.LBB57_161:                             ; =>This Inner Loop Header: Depth=1
	scratch_load_b128 v[15:18], v9, off offset:-8
	ds_load_b128 v[19:22], v8
	v_add_nc_u32_e32 v7, 1, v7
	v_add_nc_u32_e32 v8, 16, v8
	;; [unrolled: 1-line block ×3, first 2 shown]
	s_delay_alu instid0(VALU_DEP_3) | instskip(SKIP_4) | instid1(VALU_DEP_2)
	v_cmp_lt_u32_e32 vcc_lo, 35, v7
	s_or_b32 s3, vcc_lo, s3
	s_waitcnt vmcnt(0) lgkmcnt(0)
	v_mul_f64 v[10:11], v[21:22], v[17:18]
	v_mul_f64 v[17:18], v[19:20], v[17:18]
	v_fma_f64 v[10:11], v[19:20], v[15:16], -v[10:11]
	s_delay_alu instid0(VALU_DEP_2) | instskip(NEXT) | instid1(VALU_DEP_2)
	v_fma_f64 v[15:16], v[21:22], v[15:16], v[17:18]
	v_add_f64 v[3:4], v[3:4], v[10:11]
	s_delay_alu instid0(VALU_DEP_2)
	v_add_f64 v[1:2], v[1:2], v[15:16]
	s_and_not1_b32 exec_lo, exec_lo, s3
	s_cbranch_execnz .LBB57_161
; %bb.162:
	s_or_b32 exec_lo, exec_lo, s3
	v_mov_b32_e32 v7, 0
	ds_load_b128 v[7:10], v7 offset:592
	s_waitcnt lgkmcnt(0)
	v_mul_f64 v[11:12], v[1:2], v[9:10]
	v_mul_f64 v[15:16], v[3:4], v[9:10]
	s_delay_alu instid0(VALU_DEP_2) | instskip(NEXT) | instid1(VALU_DEP_2)
	v_fma_f64 v[9:10], v[3:4], v[7:8], -v[11:12]
	v_fma_f64 v[11:12], v[1:2], v[7:8], v[15:16]
	scratch_store_b128 off, v[9:12], off offset:592
.LBB57_163:
	s_or_b32 exec_lo, exec_lo, s2
	s_waitcnt_vscnt null, 0x0
	s_barrier
	buffer_gl0_inv
	scratch_load_b32 v1, off, off offset:928 ; 4-byte Folded Reload
	s_mov_b32 s2, exec_lo
	s_waitcnt vmcnt(0)
	scratch_load_b128 v[1:4], v1, off
	s_waitcnt vmcnt(0)
	ds_store_b128 v5, v[1:4]
	s_waitcnt lgkmcnt(0)
	s_barrier
	buffer_gl0_inv
	v_cmpx_gt_u32_e32 38, v158
	s_cbranch_execz .LBB57_167
; %bb.164:
	v_dual_mov_b32 v1, 0 :: v_dual_add_nc_u32 v8, 0x3a0, v13
	v_dual_mov_b32 v2, 0 :: v_dual_add_nc_u32 v7, -1, v158
	v_or_b32_e32 v9, 8, v14
	s_mov_b32 s3, 0
	s_delay_alu instid0(VALU_DEP_2)
	v_dual_mov_b32 v4, v2 :: v_dual_mov_b32 v3, v1
	.p2align	6
.LBB57_165:                             ; =>This Inner Loop Header: Depth=1
	scratch_load_b128 v[15:18], v9, off offset:-8
	ds_load_b128 v[19:22], v8
	v_add_nc_u32_e32 v7, 1, v7
	v_add_nc_u32_e32 v8, 16, v8
	;; [unrolled: 1-line block ×3, first 2 shown]
	s_delay_alu instid0(VALU_DEP_3) | instskip(SKIP_4) | instid1(VALU_DEP_2)
	v_cmp_lt_u32_e32 vcc_lo, 36, v7
	s_or_b32 s3, vcc_lo, s3
	s_waitcnt vmcnt(0) lgkmcnt(0)
	v_mul_f64 v[10:11], v[21:22], v[17:18]
	v_mul_f64 v[17:18], v[19:20], v[17:18]
	v_fma_f64 v[10:11], v[19:20], v[15:16], -v[10:11]
	s_delay_alu instid0(VALU_DEP_2) | instskip(NEXT) | instid1(VALU_DEP_2)
	v_fma_f64 v[15:16], v[21:22], v[15:16], v[17:18]
	v_add_f64 v[3:4], v[3:4], v[10:11]
	s_delay_alu instid0(VALU_DEP_2)
	v_add_f64 v[1:2], v[1:2], v[15:16]
	s_and_not1_b32 exec_lo, exec_lo, s3
	s_cbranch_execnz .LBB57_165
; %bb.166:
	s_or_b32 exec_lo, exec_lo, s3
	v_mov_b32_e32 v7, 0
	ds_load_b128 v[7:10], v7 offset:608
	s_waitcnt lgkmcnt(0)
	v_mul_f64 v[11:12], v[1:2], v[9:10]
	v_mul_f64 v[15:16], v[3:4], v[9:10]
	s_delay_alu instid0(VALU_DEP_2) | instskip(NEXT) | instid1(VALU_DEP_2)
	v_fma_f64 v[9:10], v[3:4], v[7:8], -v[11:12]
	v_fma_f64 v[11:12], v[1:2], v[7:8], v[15:16]
	scratch_store_b128 off, v[9:12], off offset:608
.LBB57_167:
	s_or_b32 exec_lo, exec_lo, s2
	s_waitcnt_vscnt null, 0x0
	s_barrier
	buffer_gl0_inv
	scratch_load_b128 v[1:4], v222, off
	s_mov_b32 s2, exec_lo
	s_waitcnt vmcnt(0)
	ds_store_b128 v5, v[1:4]
	s_waitcnt lgkmcnt(0)
	s_barrier
	buffer_gl0_inv
	v_cmpx_gt_u32_e32 39, v158
	s_cbranch_execz .LBB57_171
; %bb.168:
	v_dual_mov_b32 v1, 0 :: v_dual_add_nc_u32 v8, 0x3a0, v13
	v_dual_mov_b32 v2, 0 :: v_dual_add_nc_u32 v7, -1, v158
	v_or_b32_e32 v9, 8, v14
	s_mov_b32 s3, 0
	s_delay_alu instid0(VALU_DEP_2)
	v_dual_mov_b32 v4, v2 :: v_dual_mov_b32 v3, v1
	.p2align	6
.LBB57_169:                             ; =>This Inner Loop Header: Depth=1
	scratch_load_b128 v[15:18], v9, off offset:-8
	ds_load_b128 v[19:22], v8
	v_add_nc_u32_e32 v7, 1, v7
	v_add_nc_u32_e32 v8, 16, v8
	;; [unrolled: 1-line block ×3, first 2 shown]
	s_delay_alu instid0(VALU_DEP_3) | instskip(SKIP_4) | instid1(VALU_DEP_2)
	v_cmp_lt_u32_e32 vcc_lo, 37, v7
	s_or_b32 s3, vcc_lo, s3
	s_waitcnt vmcnt(0) lgkmcnt(0)
	v_mul_f64 v[10:11], v[21:22], v[17:18]
	v_mul_f64 v[17:18], v[19:20], v[17:18]
	v_fma_f64 v[10:11], v[19:20], v[15:16], -v[10:11]
	s_delay_alu instid0(VALU_DEP_2) | instskip(NEXT) | instid1(VALU_DEP_2)
	v_fma_f64 v[15:16], v[21:22], v[15:16], v[17:18]
	v_add_f64 v[3:4], v[3:4], v[10:11]
	s_delay_alu instid0(VALU_DEP_2)
	v_add_f64 v[1:2], v[1:2], v[15:16]
	s_and_not1_b32 exec_lo, exec_lo, s3
	s_cbranch_execnz .LBB57_169
; %bb.170:
	s_or_b32 exec_lo, exec_lo, s3
	v_mov_b32_e32 v7, 0
	ds_load_b128 v[7:10], v7 offset:624
	s_waitcnt lgkmcnt(0)
	v_mul_f64 v[11:12], v[1:2], v[9:10]
	v_mul_f64 v[15:16], v[3:4], v[9:10]
	s_delay_alu instid0(VALU_DEP_2) | instskip(NEXT) | instid1(VALU_DEP_2)
	v_fma_f64 v[9:10], v[3:4], v[7:8], -v[11:12]
	v_fma_f64 v[11:12], v[1:2], v[7:8], v[15:16]
	scratch_store_b128 off, v[9:12], off offset:624
.LBB57_171:
	s_or_b32 exec_lo, exec_lo, s2
	s_waitcnt_vscnt null, 0x0
	s_barrier
	buffer_gl0_inv
	scratch_load_b128 v[1:4], v221, off
	s_mov_b32 s2, exec_lo
	s_waitcnt vmcnt(0)
	ds_store_b128 v5, v[1:4]
	s_waitcnt lgkmcnt(0)
	s_barrier
	buffer_gl0_inv
	v_cmpx_gt_u32_e32 40, v158
	s_cbranch_execz .LBB57_175
; %bb.172:
	v_dual_mov_b32 v1, 0 :: v_dual_add_nc_u32 v8, 0x3a0, v13
	v_dual_mov_b32 v2, 0 :: v_dual_add_nc_u32 v7, -1, v158
	v_or_b32_e32 v9, 8, v14
	s_mov_b32 s3, 0
	s_delay_alu instid0(VALU_DEP_2)
	v_dual_mov_b32 v4, v2 :: v_dual_mov_b32 v3, v1
	.p2align	6
.LBB57_173:                             ; =>This Inner Loop Header: Depth=1
	scratch_load_b128 v[15:18], v9, off offset:-8
	ds_load_b128 v[19:22], v8
	v_add_nc_u32_e32 v7, 1, v7
	v_add_nc_u32_e32 v8, 16, v8
	v_add_nc_u32_e32 v9, 16, v9
	s_delay_alu instid0(VALU_DEP_3) | instskip(SKIP_4) | instid1(VALU_DEP_2)
	v_cmp_lt_u32_e32 vcc_lo, 38, v7
	s_or_b32 s3, vcc_lo, s3
	s_waitcnt vmcnt(0) lgkmcnt(0)
	v_mul_f64 v[10:11], v[21:22], v[17:18]
	v_mul_f64 v[17:18], v[19:20], v[17:18]
	v_fma_f64 v[10:11], v[19:20], v[15:16], -v[10:11]
	s_delay_alu instid0(VALU_DEP_2) | instskip(NEXT) | instid1(VALU_DEP_2)
	v_fma_f64 v[15:16], v[21:22], v[15:16], v[17:18]
	v_add_f64 v[3:4], v[3:4], v[10:11]
	s_delay_alu instid0(VALU_DEP_2)
	v_add_f64 v[1:2], v[1:2], v[15:16]
	s_and_not1_b32 exec_lo, exec_lo, s3
	s_cbranch_execnz .LBB57_173
; %bb.174:
	s_or_b32 exec_lo, exec_lo, s3
	v_mov_b32_e32 v7, 0
	ds_load_b128 v[7:10], v7 offset:640
	s_waitcnt lgkmcnt(0)
	v_mul_f64 v[11:12], v[1:2], v[9:10]
	v_mul_f64 v[15:16], v[3:4], v[9:10]
	s_delay_alu instid0(VALU_DEP_2) | instskip(NEXT) | instid1(VALU_DEP_2)
	v_fma_f64 v[9:10], v[3:4], v[7:8], -v[11:12]
	v_fma_f64 v[11:12], v[1:2], v[7:8], v[15:16]
	scratch_store_b128 off, v[9:12], off offset:640
.LBB57_175:
	s_or_b32 exec_lo, exec_lo, s2
	s_waitcnt_vscnt null, 0x0
	s_barrier
	buffer_gl0_inv
	scratch_load_b128 v[1:4], v220, off
	s_mov_b32 s2, exec_lo
	s_waitcnt vmcnt(0)
	ds_store_b128 v5, v[1:4]
	s_waitcnt lgkmcnt(0)
	s_barrier
	buffer_gl0_inv
	v_cmpx_gt_u32_e32 41, v158
	s_cbranch_execz .LBB57_179
; %bb.176:
	v_dual_mov_b32 v1, 0 :: v_dual_add_nc_u32 v8, 0x3a0, v13
	v_dual_mov_b32 v2, 0 :: v_dual_add_nc_u32 v7, -1, v158
	v_or_b32_e32 v9, 8, v14
	s_mov_b32 s3, 0
	s_delay_alu instid0(VALU_DEP_2)
	v_dual_mov_b32 v4, v2 :: v_dual_mov_b32 v3, v1
	.p2align	6
.LBB57_177:                             ; =>This Inner Loop Header: Depth=1
	scratch_load_b128 v[15:18], v9, off offset:-8
	ds_load_b128 v[19:22], v8
	v_add_nc_u32_e32 v7, 1, v7
	v_add_nc_u32_e32 v8, 16, v8
	;; [unrolled: 1-line block ×3, first 2 shown]
	s_delay_alu instid0(VALU_DEP_3) | instskip(SKIP_4) | instid1(VALU_DEP_2)
	v_cmp_lt_u32_e32 vcc_lo, 39, v7
	s_or_b32 s3, vcc_lo, s3
	s_waitcnt vmcnt(0) lgkmcnt(0)
	v_mul_f64 v[10:11], v[21:22], v[17:18]
	v_mul_f64 v[17:18], v[19:20], v[17:18]
	v_fma_f64 v[10:11], v[19:20], v[15:16], -v[10:11]
	s_delay_alu instid0(VALU_DEP_2) | instskip(NEXT) | instid1(VALU_DEP_2)
	v_fma_f64 v[15:16], v[21:22], v[15:16], v[17:18]
	v_add_f64 v[3:4], v[3:4], v[10:11]
	s_delay_alu instid0(VALU_DEP_2)
	v_add_f64 v[1:2], v[1:2], v[15:16]
	s_and_not1_b32 exec_lo, exec_lo, s3
	s_cbranch_execnz .LBB57_177
; %bb.178:
	s_or_b32 exec_lo, exec_lo, s3
	v_mov_b32_e32 v7, 0
	ds_load_b128 v[7:10], v7 offset:656
	s_waitcnt lgkmcnt(0)
	v_mul_f64 v[11:12], v[1:2], v[9:10]
	v_mul_f64 v[15:16], v[3:4], v[9:10]
	s_delay_alu instid0(VALU_DEP_2) | instskip(NEXT) | instid1(VALU_DEP_2)
	v_fma_f64 v[9:10], v[3:4], v[7:8], -v[11:12]
	v_fma_f64 v[11:12], v[1:2], v[7:8], v[15:16]
	scratch_store_b128 off, v[9:12], off offset:656
.LBB57_179:
	s_or_b32 exec_lo, exec_lo, s2
	s_waitcnt_vscnt null, 0x0
	s_barrier
	buffer_gl0_inv
	scratch_load_b128 v[1:4], v178, off
	s_mov_b32 s2, exec_lo
	s_waitcnt vmcnt(0)
	ds_store_b128 v5, v[1:4]
	s_waitcnt lgkmcnt(0)
	s_barrier
	buffer_gl0_inv
	v_cmpx_gt_u32_e32 42, v158
	s_cbranch_execz .LBB57_183
; %bb.180:
	v_dual_mov_b32 v1, 0 :: v_dual_add_nc_u32 v8, 0x3a0, v13
	v_dual_mov_b32 v2, 0 :: v_dual_add_nc_u32 v7, -1, v158
	v_or_b32_e32 v9, 8, v14
	s_mov_b32 s3, 0
	s_delay_alu instid0(VALU_DEP_2)
	v_dual_mov_b32 v4, v2 :: v_dual_mov_b32 v3, v1
	.p2align	6
.LBB57_181:                             ; =>This Inner Loop Header: Depth=1
	scratch_load_b128 v[15:18], v9, off offset:-8
	ds_load_b128 v[19:22], v8
	v_add_nc_u32_e32 v7, 1, v7
	v_add_nc_u32_e32 v8, 16, v8
	;; [unrolled: 1-line block ×3, first 2 shown]
	s_delay_alu instid0(VALU_DEP_3) | instskip(SKIP_4) | instid1(VALU_DEP_2)
	v_cmp_lt_u32_e32 vcc_lo, 40, v7
	s_or_b32 s3, vcc_lo, s3
	s_waitcnt vmcnt(0) lgkmcnt(0)
	v_mul_f64 v[10:11], v[21:22], v[17:18]
	v_mul_f64 v[17:18], v[19:20], v[17:18]
	v_fma_f64 v[10:11], v[19:20], v[15:16], -v[10:11]
	s_delay_alu instid0(VALU_DEP_2) | instskip(NEXT) | instid1(VALU_DEP_2)
	v_fma_f64 v[15:16], v[21:22], v[15:16], v[17:18]
	v_add_f64 v[3:4], v[3:4], v[10:11]
	s_delay_alu instid0(VALU_DEP_2)
	v_add_f64 v[1:2], v[1:2], v[15:16]
	s_and_not1_b32 exec_lo, exec_lo, s3
	s_cbranch_execnz .LBB57_181
; %bb.182:
	s_or_b32 exec_lo, exec_lo, s3
	v_mov_b32_e32 v7, 0
	ds_load_b128 v[7:10], v7 offset:672
	s_waitcnt lgkmcnt(0)
	v_mul_f64 v[11:12], v[1:2], v[9:10]
	v_mul_f64 v[15:16], v[3:4], v[9:10]
	s_delay_alu instid0(VALU_DEP_2) | instskip(NEXT) | instid1(VALU_DEP_2)
	v_fma_f64 v[9:10], v[3:4], v[7:8], -v[11:12]
	v_fma_f64 v[11:12], v[1:2], v[7:8], v[15:16]
	scratch_store_b128 off, v[9:12], off offset:672
.LBB57_183:
	s_or_b32 exec_lo, exec_lo, s2
	s_waitcnt_vscnt null, 0x0
	s_barrier
	buffer_gl0_inv
	scratch_load_b128 v[1:4], v177, off
	s_mov_b32 s2, exec_lo
	s_waitcnt vmcnt(0)
	ds_store_b128 v5, v[1:4]
	s_waitcnt lgkmcnt(0)
	s_barrier
	buffer_gl0_inv
	v_cmpx_gt_u32_e32 43, v158
	s_cbranch_execz .LBB57_187
; %bb.184:
	v_dual_mov_b32 v1, 0 :: v_dual_add_nc_u32 v8, 0x3a0, v13
	v_dual_mov_b32 v2, 0 :: v_dual_add_nc_u32 v7, -1, v158
	v_or_b32_e32 v9, 8, v14
	s_mov_b32 s3, 0
	s_delay_alu instid0(VALU_DEP_2)
	v_dual_mov_b32 v4, v2 :: v_dual_mov_b32 v3, v1
	.p2align	6
.LBB57_185:                             ; =>This Inner Loop Header: Depth=1
	scratch_load_b128 v[15:18], v9, off offset:-8
	ds_load_b128 v[19:22], v8
	v_add_nc_u32_e32 v7, 1, v7
	v_add_nc_u32_e32 v8, 16, v8
	;; [unrolled: 1-line block ×3, first 2 shown]
	s_delay_alu instid0(VALU_DEP_3) | instskip(SKIP_4) | instid1(VALU_DEP_2)
	v_cmp_lt_u32_e32 vcc_lo, 41, v7
	s_or_b32 s3, vcc_lo, s3
	s_waitcnt vmcnt(0) lgkmcnt(0)
	v_mul_f64 v[10:11], v[21:22], v[17:18]
	v_mul_f64 v[17:18], v[19:20], v[17:18]
	v_fma_f64 v[10:11], v[19:20], v[15:16], -v[10:11]
	s_delay_alu instid0(VALU_DEP_2) | instskip(NEXT) | instid1(VALU_DEP_2)
	v_fma_f64 v[15:16], v[21:22], v[15:16], v[17:18]
	v_add_f64 v[3:4], v[3:4], v[10:11]
	s_delay_alu instid0(VALU_DEP_2)
	v_add_f64 v[1:2], v[1:2], v[15:16]
	s_and_not1_b32 exec_lo, exec_lo, s3
	s_cbranch_execnz .LBB57_185
; %bb.186:
	s_or_b32 exec_lo, exec_lo, s3
	v_mov_b32_e32 v7, 0
	ds_load_b128 v[7:10], v7 offset:688
	s_waitcnt lgkmcnt(0)
	v_mul_f64 v[11:12], v[1:2], v[9:10]
	v_mul_f64 v[15:16], v[3:4], v[9:10]
	s_delay_alu instid0(VALU_DEP_2) | instskip(NEXT) | instid1(VALU_DEP_2)
	v_fma_f64 v[9:10], v[3:4], v[7:8], -v[11:12]
	v_fma_f64 v[11:12], v[1:2], v[7:8], v[15:16]
	scratch_store_b128 off, v[9:12], off offset:688
.LBB57_187:
	s_or_b32 exec_lo, exec_lo, s2
	s_waitcnt_vscnt null, 0x0
	s_barrier
	buffer_gl0_inv
	scratch_load_b128 v[1:4], v174, off
	s_mov_b32 s2, exec_lo
	s_waitcnt vmcnt(0)
	ds_store_b128 v5, v[1:4]
	s_waitcnt lgkmcnt(0)
	s_barrier
	buffer_gl0_inv
	v_cmpx_gt_u32_e32 44, v158
	s_cbranch_execz .LBB57_191
; %bb.188:
	v_dual_mov_b32 v1, 0 :: v_dual_add_nc_u32 v8, 0x3a0, v13
	v_dual_mov_b32 v2, 0 :: v_dual_add_nc_u32 v7, -1, v158
	v_or_b32_e32 v9, 8, v14
	s_mov_b32 s3, 0
	s_delay_alu instid0(VALU_DEP_2)
	v_dual_mov_b32 v4, v2 :: v_dual_mov_b32 v3, v1
	.p2align	6
.LBB57_189:                             ; =>This Inner Loop Header: Depth=1
	scratch_load_b128 v[15:18], v9, off offset:-8
	ds_load_b128 v[19:22], v8
	v_add_nc_u32_e32 v7, 1, v7
	v_add_nc_u32_e32 v8, 16, v8
	;; [unrolled: 1-line block ×3, first 2 shown]
	s_delay_alu instid0(VALU_DEP_3) | instskip(SKIP_4) | instid1(VALU_DEP_2)
	v_cmp_lt_u32_e32 vcc_lo, 42, v7
	s_or_b32 s3, vcc_lo, s3
	s_waitcnt vmcnt(0) lgkmcnt(0)
	v_mul_f64 v[10:11], v[21:22], v[17:18]
	v_mul_f64 v[17:18], v[19:20], v[17:18]
	v_fma_f64 v[10:11], v[19:20], v[15:16], -v[10:11]
	s_delay_alu instid0(VALU_DEP_2) | instskip(NEXT) | instid1(VALU_DEP_2)
	v_fma_f64 v[15:16], v[21:22], v[15:16], v[17:18]
	v_add_f64 v[3:4], v[3:4], v[10:11]
	s_delay_alu instid0(VALU_DEP_2)
	v_add_f64 v[1:2], v[1:2], v[15:16]
	s_and_not1_b32 exec_lo, exec_lo, s3
	s_cbranch_execnz .LBB57_189
; %bb.190:
	s_or_b32 exec_lo, exec_lo, s3
	v_mov_b32_e32 v7, 0
	ds_load_b128 v[7:10], v7 offset:704
	s_waitcnt lgkmcnt(0)
	v_mul_f64 v[11:12], v[1:2], v[9:10]
	v_mul_f64 v[15:16], v[3:4], v[9:10]
	s_delay_alu instid0(VALU_DEP_2) | instskip(NEXT) | instid1(VALU_DEP_2)
	v_fma_f64 v[9:10], v[3:4], v[7:8], -v[11:12]
	v_fma_f64 v[11:12], v[1:2], v[7:8], v[15:16]
	scratch_store_b128 off, v[9:12], off offset:704
.LBB57_191:
	s_or_b32 exec_lo, exec_lo, s2
	s_waitcnt_vscnt null, 0x0
	s_barrier
	buffer_gl0_inv
	scratch_load_b128 v[1:4], v173, off
	s_mov_b32 s2, exec_lo
	s_waitcnt vmcnt(0)
	ds_store_b128 v5, v[1:4]
	s_waitcnt lgkmcnt(0)
	s_barrier
	buffer_gl0_inv
	v_cmpx_gt_u32_e32 45, v158
	s_cbranch_execz .LBB57_195
; %bb.192:
	v_dual_mov_b32 v1, 0 :: v_dual_add_nc_u32 v8, 0x3a0, v13
	v_dual_mov_b32 v2, 0 :: v_dual_add_nc_u32 v7, -1, v158
	v_or_b32_e32 v9, 8, v14
	s_mov_b32 s3, 0
	s_delay_alu instid0(VALU_DEP_2)
	v_dual_mov_b32 v4, v2 :: v_dual_mov_b32 v3, v1
	.p2align	6
.LBB57_193:                             ; =>This Inner Loop Header: Depth=1
	scratch_load_b128 v[15:18], v9, off offset:-8
	ds_load_b128 v[19:22], v8
	v_add_nc_u32_e32 v7, 1, v7
	v_add_nc_u32_e32 v8, 16, v8
	;; [unrolled: 1-line block ×3, first 2 shown]
	s_delay_alu instid0(VALU_DEP_3) | instskip(SKIP_4) | instid1(VALU_DEP_2)
	v_cmp_lt_u32_e32 vcc_lo, 43, v7
	s_or_b32 s3, vcc_lo, s3
	s_waitcnt vmcnt(0) lgkmcnt(0)
	v_mul_f64 v[10:11], v[21:22], v[17:18]
	v_mul_f64 v[17:18], v[19:20], v[17:18]
	v_fma_f64 v[10:11], v[19:20], v[15:16], -v[10:11]
	s_delay_alu instid0(VALU_DEP_2) | instskip(NEXT) | instid1(VALU_DEP_2)
	v_fma_f64 v[15:16], v[21:22], v[15:16], v[17:18]
	v_add_f64 v[3:4], v[3:4], v[10:11]
	s_delay_alu instid0(VALU_DEP_2)
	v_add_f64 v[1:2], v[1:2], v[15:16]
	s_and_not1_b32 exec_lo, exec_lo, s3
	s_cbranch_execnz .LBB57_193
; %bb.194:
	s_or_b32 exec_lo, exec_lo, s3
	v_mov_b32_e32 v7, 0
	ds_load_b128 v[7:10], v7 offset:720
	s_waitcnt lgkmcnt(0)
	v_mul_f64 v[11:12], v[1:2], v[9:10]
	v_mul_f64 v[15:16], v[3:4], v[9:10]
	s_delay_alu instid0(VALU_DEP_2) | instskip(NEXT) | instid1(VALU_DEP_2)
	v_fma_f64 v[9:10], v[3:4], v[7:8], -v[11:12]
	v_fma_f64 v[11:12], v[1:2], v[7:8], v[15:16]
	scratch_store_b128 off, v[9:12], off offset:720
.LBB57_195:
	s_or_b32 exec_lo, exec_lo, s2
	s_waitcnt_vscnt null, 0x0
	s_barrier
	buffer_gl0_inv
	scratch_load_b128 v[1:4], v170, off
	s_mov_b32 s2, exec_lo
	s_waitcnt vmcnt(0)
	ds_store_b128 v5, v[1:4]
	s_waitcnt lgkmcnt(0)
	s_barrier
	buffer_gl0_inv
	v_cmpx_gt_u32_e32 46, v158
	s_cbranch_execz .LBB57_199
; %bb.196:
	v_dual_mov_b32 v1, 0 :: v_dual_add_nc_u32 v8, 0x3a0, v13
	v_dual_mov_b32 v2, 0 :: v_dual_add_nc_u32 v7, -1, v158
	v_or_b32_e32 v9, 8, v14
	s_mov_b32 s3, 0
	s_delay_alu instid0(VALU_DEP_2)
	v_dual_mov_b32 v4, v2 :: v_dual_mov_b32 v3, v1
	.p2align	6
.LBB57_197:                             ; =>This Inner Loop Header: Depth=1
	scratch_load_b128 v[15:18], v9, off offset:-8
	ds_load_b128 v[19:22], v8
	v_add_nc_u32_e32 v7, 1, v7
	v_add_nc_u32_e32 v8, 16, v8
	;; [unrolled: 1-line block ×3, first 2 shown]
	s_delay_alu instid0(VALU_DEP_3) | instskip(SKIP_4) | instid1(VALU_DEP_2)
	v_cmp_lt_u32_e32 vcc_lo, 44, v7
	s_or_b32 s3, vcc_lo, s3
	s_waitcnt vmcnt(0) lgkmcnt(0)
	v_mul_f64 v[10:11], v[21:22], v[17:18]
	v_mul_f64 v[17:18], v[19:20], v[17:18]
	v_fma_f64 v[10:11], v[19:20], v[15:16], -v[10:11]
	s_delay_alu instid0(VALU_DEP_2) | instskip(NEXT) | instid1(VALU_DEP_2)
	v_fma_f64 v[15:16], v[21:22], v[15:16], v[17:18]
	v_add_f64 v[3:4], v[3:4], v[10:11]
	s_delay_alu instid0(VALU_DEP_2)
	v_add_f64 v[1:2], v[1:2], v[15:16]
	s_and_not1_b32 exec_lo, exec_lo, s3
	s_cbranch_execnz .LBB57_197
; %bb.198:
	s_or_b32 exec_lo, exec_lo, s3
	v_mov_b32_e32 v7, 0
	ds_load_b128 v[7:10], v7 offset:736
	s_waitcnt lgkmcnt(0)
	v_mul_f64 v[11:12], v[1:2], v[9:10]
	v_mul_f64 v[15:16], v[3:4], v[9:10]
	s_delay_alu instid0(VALU_DEP_2) | instskip(NEXT) | instid1(VALU_DEP_2)
	v_fma_f64 v[9:10], v[3:4], v[7:8], -v[11:12]
	v_fma_f64 v[11:12], v[1:2], v[7:8], v[15:16]
	scratch_store_b128 off, v[9:12], off offset:736
.LBB57_199:
	s_or_b32 exec_lo, exec_lo, s2
	s_waitcnt_vscnt null, 0x0
	s_barrier
	buffer_gl0_inv
	scratch_load_b128 v[1:4], v169, off
	s_mov_b32 s2, exec_lo
	s_waitcnt vmcnt(0)
	ds_store_b128 v5, v[1:4]
	s_waitcnt lgkmcnt(0)
	s_barrier
	buffer_gl0_inv
	v_cmpx_gt_u32_e32 47, v158
	s_cbranch_execz .LBB57_203
; %bb.200:
	v_dual_mov_b32 v1, 0 :: v_dual_add_nc_u32 v8, 0x3a0, v13
	v_dual_mov_b32 v2, 0 :: v_dual_add_nc_u32 v7, -1, v158
	v_or_b32_e32 v9, 8, v14
	s_mov_b32 s3, 0
	s_delay_alu instid0(VALU_DEP_2)
	v_dual_mov_b32 v4, v2 :: v_dual_mov_b32 v3, v1
	.p2align	6
.LBB57_201:                             ; =>This Inner Loop Header: Depth=1
	scratch_load_b128 v[15:18], v9, off offset:-8
	ds_load_b128 v[19:22], v8
	v_add_nc_u32_e32 v7, 1, v7
	v_add_nc_u32_e32 v8, 16, v8
	;; [unrolled: 1-line block ×3, first 2 shown]
	s_delay_alu instid0(VALU_DEP_3) | instskip(SKIP_4) | instid1(VALU_DEP_2)
	v_cmp_lt_u32_e32 vcc_lo, 45, v7
	s_or_b32 s3, vcc_lo, s3
	s_waitcnt vmcnt(0) lgkmcnt(0)
	v_mul_f64 v[10:11], v[21:22], v[17:18]
	v_mul_f64 v[17:18], v[19:20], v[17:18]
	v_fma_f64 v[10:11], v[19:20], v[15:16], -v[10:11]
	s_delay_alu instid0(VALU_DEP_2) | instskip(NEXT) | instid1(VALU_DEP_2)
	v_fma_f64 v[15:16], v[21:22], v[15:16], v[17:18]
	v_add_f64 v[3:4], v[3:4], v[10:11]
	s_delay_alu instid0(VALU_DEP_2)
	v_add_f64 v[1:2], v[1:2], v[15:16]
	s_and_not1_b32 exec_lo, exec_lo, s3
	s_cbranch_execnz .LBB57_201
; %bb.202:
	s_or_b32 exec_lo, exec_lo, s3
	v_mov_b32_e32 v7, 0
	ds_load_b128 v[7:10], v7 offset:752
	s_waitcnt lgkmcnt(0)
	v_mul_f64 v[11:12], v[1:2], v[9:10]
	v_mul_f64 v[15:16], v[3:4], v[9:10]
	s_delay_alu instid0(VALU_DEP_2) | instskip(NEXT) | instid1(VALU_DEP_2)
	v_fma_f64 v[9:10], v[3:4], v[7:8], -v[11:12]
	v_fma_f64 v[11:12], v[1:2], v[7:8], v[15:16]
	scratch_store_b128 off, v[9:12], off offset:752
.LBB57_203:
	s_or_b32 exec_lo, exec_lo, s2
	s_waitcnt_vscnt null, 0x0
	s_barrier
	buffer_gl0_inv
	scratch_load_b128 v[1:4], v168, off
	s_mov_b32 s2, exec_lo
	s_waitcnt vmcnt(0)
	ds_store_b128 v5, v[1:4]
	s_waitcnt lgkmcnt(0)
	s_barrier
	buffer_gl0_inv
	v_cmpx_gt_u32_e32 48, v158
	s_cbranch_execz .LBB57_207
; %bb.204:
	v_dual_mov_b32 v1, 0 :: v_dual_add_nc_u32 v8, 0x3a0, v13
	v_dual_mov_b32 v2, 0 :: v_dual_add_nc_u32 v7, -1, v158
	v_or_b32_e32 v9, 8, v14
	s_mov_b32 s3, 0
	s_delay_alu instid0(VALU_DEP_2)
	v_dual_mov_b32 v4, v2 :: v_dual_mov_b32 v3, v1
	.p2align	6
.LBB57_205:                             ; =>This Inner Loop Header: Depth=1
	scratch_load_b128 v[15:18], v9, off offset:-8
	ds_load_b128 v[19:22], v8
	v_add_nc_u32_e32 v7, 1, v7
	v_add_nc_u32_e32 v8, 16, v8
	;; [unrolled: 1-line block ×3, first 2 shown]
	s_delay_alu instid0(VALU_DEP_3) | instskip(SKIP_4) | instid1(VALU_DEP_2)
	v_cmp_lt_u32_e32 vcc_lo, 46, v7
	s_or_b32 s3, vcc_lo, s3
	s_waitcnt vmcnt(0) lgkmcnt(0)
	v_mul_f64 v[10:11], v[21:22], v[17:18]
	v_mul_f64 v[17:18], v[19:20], v[17:18]
	v_fma_f64 v[10:11], v[19:20], v[15:16], -v[10:11]
	s_delay_alu instid0(VALU_DEP_2) | instskip(NEXT) | instid1(VALU_DEP_2)
	v_fma_f64 v[15:16], v[21:22], v[15:16], v[17:18]
	v_add_f64 v[3:4], v[3:4], v[10:11]
	s_delay_alu instid0(VALU_DEP_2)
	v_add_f64 v[1:2], v[1:2], v[15:16]
	s_and_not1_b32 exec_lo, exec_lo, s3
	s_cbranch_execnz .LBB57_205
; %bb.206:
	s_or_b32 exec_lo, exec_lo, s3
	v_mov_b32_e32 v7, 0
	ds_load_b128 v[7:10], v7 offset:768
	s_waitcnt lgkmcnt(0)
	v_mul_f64 v[11:12], v[1:2], v[9:10]
	v_mul_f64 v[15:16], v[3:4], v[9:10]
	s_delay_alu instid0(VALU_DEP_2) | instskip(NEXT) | instid1(VALU_DEP_2)
	v_fma_f64 v[9:10], v[3:4], v[7:8], -v[11:12]
	v_fma_f64 v[11:12], v[1:2], v[7:8], v[15:16]
	scratch_store_b128 off, v[9:12], off offset:768
.LBB57_207:
	s_or_b32 exec_lo, exec_lo, s2
	s_waitcnt_vscnt null, 0x0
	s_barrier
	buffer_gl0_inv
	scratch_load_b128 v[1:4], v167, off
	s_mov_b32 s2, exec_lo
	s_waitcnt vmcnt(0)
	ds_store_b128 v5, v[1:4]
	s_waitcnt lgkmcnt(0)
	s_barrier
	buffer_gl0_inv
	v_cmpx_gt_u32_e32 49, v158
	s_cbranch_execz .LBB57_211
; %bb.208:
	v_dual_mov_b32 v1, 0 :: v_dual_add_nc_u32 v8, 0x3a0, v13
	v_dual_mov_b32 v2, 0 :: v_dual_add_nc_u32 v7, -1, v158
	v_or_b32_e32 v9, 8, v14
	s_mov_b32 s3, 0
	s_delay_alu instid0(VALU_DEP_2)
	v_dual_mov_b32 v4, v2 :: v_dual_mov_b32 v3, v1
	.p2align	6
.LBB57_209:                             ; =>This Inner Loop Header: Depth=1
	scratch_load_b128 v[15:18], v9, off offset:-8
	ds_load_b128 v[19:22], v8
	v_add_nc_u32_e32 v7, 1, v7
	v_add_nc_u32_e32 v8, 16, v8
	v_add_nc_u32_e32 v9, 16, v9
	s_delay_alu instid0(VALU_DEP_3) | instskip(SKIP_4) | instid1(VALU_DEP_2)
	v_cmp_lt_u32_e32 vcc_lo, 47, v7
	s_or_b32 s3, vcc_lo, s3
	s_waitcnt vmcnt(0) lgkmcnt(0)
	v_mul_f64 v[10:11], v[21:22], v[17:18]
	v_mul_f64 v[17:18], v[19:20], v[17:18]
	v_fma_f64 v[10:11], v[19:20], v[15:16], -v[10:11]
	s_delay_alu instid0(VALU_DEP_2) | instskip(NEXT) | instid1(VALU_DEP_2)
	v_fma_f64 v[15:16], v[21:22], v[15:16], v[17:18]
	v_add_f64 v[3:4], v[3:4], v[10:11]
	s_delay_alu instid0(VALU_DEP_2)
	v_add_f64 v[1:2], v[1:2], v[15:16]
	s_and_not1_b32 exec_lo, exec_lo, s3
	s_cbranch_execnz .LBB57_209
; %bb.210:
	s_or_b32 exec_lo, exec_lo, s3
	v_mov_b32_e32 v7, 0
	ds_load_b128 v[7:10], v7 offset:784
	s_waitcnt lgkmcnt(0)
	v_mul_f64 v[11:12], v[1:2], v[9:10]
	v_mul_f64 v[15:16], v[3:4], v[9:10]
	s_delay_alu instid0(VALU_DEP_2) | instskip(NEXT) | instid1(VALU_DEP_2)
	v_fma_f64 v[9:10], v[3:4], v[7:8], -v[11:12]
	v_fma_f64 v[11:12], v[1:2], v[7:8], v[15:16]
	scratch_store_b128 off, v[9:12], off offset:784
.LBB57_211:
	s_or_b32 exec_lo, exec_lo, s2
	s_waitcnt_vscnt null, 0x0
	s_barrier
	buffer_gl0_inv
	scratch_load_b128 v[1:4], v166, off
	s_mov_b32 s2, exec_lo
	s_waitcnt vmcnt(0)
	ds_store_b128 v5, v[1:4]
	s_waitcnt lgkmcnt(0)
	s_barrier
	buffer_gl0_inv
	v_cmpx_gt_u32_e32 50, v158
	s_cbranch_execz .LBB57_215
; %bb.212:
	v_dual_mov_b32 v1, 0 :: v_dual_add_nc_u32 v8, 0x3a0, v13
	v_dual_mov_b32 v2, 0 :: v_dual_add_nc_u32 v7, -1, v158
	v_or_b32_e32 v9, 8, v14
	s_mov_b32 s3, 0
	s_delay_alu instid0(VALU_DEP_2)
	v_dual_mov_b32 v4, v2 :: v_dual_mov_b32 v3, v1
	.p2align	6
.LBB57_213:                             ; =>This Inner Loop Header: Depth=1
	scratch_load_b128 v[15:18], v9, off offset:-8
	ds_load_b128 v[19:22], v8
	v_add_nc_u32_e32 v7, 1, v7
	v_add_nc_u32_e32 v8, 16, v8
	;; [unrolled: 1-line block ×3, first 2 shown]
	s_delay_alu instid0(VALU_DEP_3) | instskip(SKIP_4) | instid1(VALU_DEP_2)
	v_cmp_lt_u32_e32 vcc_lo, 48, v7
	s_or_b32 s3, vcc_lo, s3
	s_waitcnt vmcnt(0) lgkmcnt(0)
	v_mul_f64 v[10:11], v[21:22], v[17:18]
	v_mul_f64 v[17:18], v[19:20], v[17:18]
	v_fma_f64 v[10:11], v[19:20], v[15:16], -v[10:11]
	s_delay_alu instid0(VALU_DEP_2) | instskip(NEXT) | instid1(VALU_DEP_2)
	v_fma_f64 v[15:16], v[21:22], v[15:16], v[17:18]
	v_add_f64 v[3:4], v[3:4], v[10:11]
	s_delay_alu instid0(VALU_DEP_2)
	v_add_f64 v[1:2], v[1:2], v[15:16]
	s_and_not1_b32 exec_lo, exec_lo, s3
	s_cbranch_execnz .LBB57_213
; %bb.214:
	s_or_b32 exec_lo, exec_lo, s3
	v_mov_b32_e32 v7, 0
	ds_load_b128 v[7:10], v7 offset:800
	s_waitcnt lgkmcnt(0)
	v_mul_f64 v[11:12], v[1:2], v[9:10]
	v_mul_f64 v[15:16], v[3:4], v[9:10]
	s_delay_alu instid0(VALU_DEP_2) | instskip(NEXT) | instid1(VALU_DEP_2)
	v_fma_f64 v[9:10], v[3:4], v[7:8], -v[11:12]
	v_fma_f64 v[11:12], v[1:2], v[7:8], v[15:16]
	scratch_store_b128 off, v[9:12], off offset:800
.LBB57_215:
	s_or_b32 exec_lo, exec_lo, s2
	s_waitcnt_vscnt null, 0x0
	s_barrier
	buffer_gl0_inv
	scratch_load_b128 v[1:4], v165, off
	s_mov_b32 s2, exec_lo
	s_waitcnt vmcnt(0)
	ds_store_b128 v5, v[1:4]
	s_waitcnt lgkmcnt(0)
	s_barrier
	buffer_gl0_inv
	v_cmpx_gt_u32_e32 51, v158
	s_cbranch_execz .LBB57_219
; %bb.216:
	v_dual_mov_b32 v1, 0 :: v_dual_add_nc_u32 v8, 0x3a0, v13
	v_dual_mov_b32 v2, 0 :: v_dual_add_nc_u32 v7, -1, v158
	v_or_b32_e32 v9, 8, v14
	s_mov_b32 s3, 0
	s_delay_alu instid0(VALU_DEP_2)
	v_dual_mov_b32 v4, v2 :: v_dual_mov_b32 v3, v1
	.p2align	6
.LBB57_217:                             ; =>This Inner Loop Header: Depth=1
	scratch_load_b128 v[15:18], v9, off offset:-8
	ds_load_b128 v[19:22], v8
	v_add_nc_u32_e32 v7, 1, v7
	v_add_nc_u32_e32 v8, 16, v8
	;; [unrolled: 1-line block ×3, first 2 shown]
	s_delay_alu instid0(VALU_DEP_3) | instskip(SKIP_4) | instid1(VALU_DEP_2)
	v_cmp_lt_u32_e32 vcc_lo, 49, v7
	s_or_b32 s3, vcc_lo, s3
	s_waitcnt vmcnt(0) lgkmcnt(0)
	v_mul_f64 v[10:11], v[21:22], v[17:18]
	v_mul_f64 v[17:18], v[19:20], v[17:18]
	v_fma_f64 v[10:11], v[19:20], v[15:16], -v[10:11]
	s_delay_alu instid0(VALU_DEP_2) | instskip(NEXT) | instid1(VALU_DEP_2)
	v_fma_f64 v[15:16], v[21:22], v[15:16], v[17:18]
	v_add_f64 v[3:4], v[3:4], v[10:11]
	s_delay_alu instid0(VALU_DEP_2)
	v_add_f64 v[1:2], v[1:2], v[15:16]
	s_and_not1_b32 exec_lo, exec_lo, s3
	s_cbranch_execnz .LBB57_217
; %bb.218:
	s_or_b32 exec_lo, exec_lo, s3
	v_mov_b32_e32 v7, 0
	ds_load_b128 v[7:10], v7 offset:816
	s_waitcnt lgkmcnt(0)
	v_mul_f64 v[11:12], v[1:2], v[9:10]
	v_mul_f64 v[15:16], v[3:4], v[9:10]
	s_delay_alu instid0(VALU_DEP_2) | instskip(NEXT) | instid1(VALU_DEP_2)
	v_fma_f64 v[9:10], v[3:4], v[7:8], -v[11:12]
	v_fma_f64 v[11:12], v[1:2], v[7:8], v[15:16]
	scratch_store_b128 off, v[9:12], off offset:816
.LBB57_219:
	s_or_b32 exec_lo, exec_lo, s2
	s_waitcnt_vscnt null, 0x0
	s_barrier
	buffer_gl0_inv
	scratch_load_b128 v[1:4], v164, off
	s_mov_b32 s2, exec_lo
	s_waitcnt vmcnt(0)
	ds_store_b128 v5, v[1:4]
	s_waitcnt lgkmcnt(0)
	s_barrier
	buffer_gl0_inv
	v_cmpx_gt_u32_e32 52, v158
	s_cbranch_execz .LBB57_223
; %bb.220:
	v_dual_mov_b32 v1, 0 :: v_dual_add_nc_u32 v8, 0x3a0, v13
	v_dual_mov_b32 v2, 0 :: v_dual_add_nc_u32 v7, -1, v158
	v_or_b32_e32 v9, 8, v14
	s_mov_b32 s3, 0
	s_delay_alu instid0(VALU_DEP_2)
	v_dual_mov_b32 v4, v2 :: v_dual_mov_b32 v3, v1
	.p2align	6
.LBB57_221:                             ; =>This Inner Loop Header: Depth=1
	scratch_load_b128 v[15:18], v9, off offset:-8
	ds_load_b128 v[19:22], v8
	v_add_nc_u32_e32 v7, 1, v7
	v_add_nc_u32_e32 v8, 16, v8
	;; [unrolled: 1-line block ×3, first 2 shown]
	s_delay_alu instid0(VALU_DEP_3) | instskip(SKIP_4) | instid1(VALU_DEP_2)
	v_cmp_lt_u32_e32 vcc_lo, 50, v7
	s_or_b32 s3, vcc_lo, s3
	s_waitcnt vmcnt(0) lgkmcnt(0)
	v_mul_f64 v[10:11], v[21:22], v[17:18]
	v_mul_f64 v[17:18], v[19:20], v[17:18]
	v_fma_f64 v[10:11], v[19:20], v[15:16], -v[10:11]
	s_delay_alu instid0(VALU_DEP_2) | instskip(NEXT) | instid1(VALU_DEP_2)
	v_fma_f64 v[15:16], v[21:22], v[15:16], v[17:18]
	v_add_f64 v[3:4], v[3:4], v[10:11]
	s_delay_alu instid0(VALU_DEP_2)
	v_add_f64 v[1:2], v[1:2], v[15:16]
	s_and_not1_b32 exec_lo, exec_lo, s3
	s_cbranch_execnz .LBB57_221
; %bb.222:
	s_or_b32 exec_lo, exec_lo, s3
	v_mov_b32_e32 v7, 0
	ds_load_b128 v[7:10], v7 offset:832
	s_waitcnt lgkmcnt(0)
	v_mul_f64 v[11:12], v[1:2], v[9:10]
	v_mul_f64 v[15:16], v[3:4], v[9:10]
	s_delay_alu instid0(VALU_DEP_2) | instskip(NEXT) | instid1(VALU_DEP_2)
	v_fma_f64 v[9:10], v[3:4], v[7:8], -v[11:12]
	v_fma_f64 v[11:12], v[1:2], v[7:8], v[15:16]
	scratch_store_b128 off, v[9:12], off offset:832
.LBB57_223:
	s_or_b32 exec_lo, exec_lo, s2
	s_waitcnt_vscnt null, 0x0
	s_barrier
	buffer_gl0_inv
	scratch_load_b128 v[1:4], v163, off
	s_mov_b32 s2, exec_lo
	s_waitcnt vmcnt(0)
	ds_store_b128 v5, v[1:4]
	s_waitcnt lgkmcnt(0)
	s_barrier
	buffer_gl0_inv
	v_cmpx_gt_u32_e32 53, v158
	s_cbranch_execz .LBB57_227
; %bb.224:
	v_dual_mov_b32 v1, 0 :: v_dual_add_nc_u32 v8, 0x3a0, v13
	v_dual_mov_b32 v2, 0 :: v_dual_add_nc_u32 v7, -1, v158
	v_or_b32_e32 v9, 8, v14
	s_mov_b32 s3, 0
	s_delay_alu instid0(VALU_DEP_2)
	v_dual_mov_b32 v4, v2 :: v_dual_mov_b32 v3, v1
	.p2align	6
.LBB57_225:                             ; =>This Inner Loop Header: Depth=1
	scratch_load_b128 v[15:18], v9, off offset:-8
	ds_load_b128 v[19:22], v8
	v_add_nc_u32_e32 v7, 1, v7
	v_add_nc_u32_e32 v8, 16, v8
	v_add_nc_u32_e32 v9, 16, v9
	s_delay_alu instid0(VALU_DEP_3) | instskip(SKIP_4) | instid1(VALU_DEP_2)
	v_cmp_lt_u32_e32 vcc_lo, 51, v7
	s_or_b32 s3, vcc_lo, s3
	s_waitcnt vmcnt(0) lgkmcnt(0)
	v_mul_f64 v[10:11], v[21:22], v[17:18]
	v_mul_f64 v[17:18], v[19:20], v[17:18]
	v_fma_f64 v[10:11], v[19:20], v[15:16], -v[10:11]
	s_delay_alu instid0(VALU_DEP_2) | instskip(NEXT) | instid1(VALU_DEP_2)
	v_fma_f64 v[15:16], v[21:22], v[15:16], v[17:18]
	v_add_f64 v[3:4], v[3:4], v[10:11]
	s_delay_alu instid0(VALU_DEP_2)
	v_add_f64 v[1:2], v[1:2], v[15:16]
	s_and_not1_b32 exec_lo, exec_lo, s3
	s_cbranch_execnz .LBB57_225
; %bb.226:
	s_or_b32 exec_lo, exec_lo, s3
	v_mov_b32_e32 v7, 0
	ds_load_b128 v[7:10], v7 offset:848
	s_waitcnt lgkmcnt(0)
	v_mul_f64 v[11:12], v[1:2], v[9:10]
	v_mul_f64 v[15:16], v[3:4], v[9:10]
	s_delay_alu instid0(VALU_DEP_2) | instskip(NEXT) | instid1(VALU_DEP_2)
	v_fma_f64 v[9:10], v[3:4], v[7:8], -v[11:12]
	v_fma_f64 v[11:12], v[1:2], v[7:8], v[15:16]
	scratch_store_b128 off, v[9:12], off offset:848
.LBB57_227:
	s_or_b32 exec_lo, exec_lo, s2
	s_waitcnt_vscnt null, 0x0
	s_barrier
	buffer_gl0_inv
	scratch_load_b128 v[1:4], v162, off
	s_mov_b32 s2, exec_lo
	s_waitcnt vmcnt(0)
	ds_store_b128 v5, v[1:4]
	s_waitcnt lgkmcnt(0)
	s_barrier
	buffer_gl0_inv
	v_cmpx_gt_u32_e32 54, v158
	s_cbranch_execz .LBB57_231
; %bb.228:
	v_dual_mov_b32 v1, 0 :: v_dual_add_nc_u32 v8, 0x3a0, v13
	v_dual_mov_b32 v2, 0 :: v_dual_add_nc_u32 v7, -1, v158
	v_or_b32_e32 v9, 8, v14
	s_mov_b32 s3, 0
	s_delay_alu instid0(VALU_DEP_2)
	v_dual_mov_b32 v4, v2 :: v_dual_mov_b32 v3, v1
	.p2align	6
.LBB57_229:                             ; =>This Inner Loop Header: Depth=1
	scratch_load_b128 v[15:18], v9, off offset:-8
	ds_load_b128 v[19:22], v8
	v_add_nc_u32_e32 v7, 1, v7
	v_add_nc_u32_e32 v8, 16, v8
	;; [unrolled: 1-line block ×3, first 2 shown]
	s_delay_alu instid0(VALU_DEP_3) | instskip(SKIP_4) | instid1(VALU_DEP_2)
	v_cmp_lt_u32_e32 vcc_lo, 52, v7
	s_or_b32 s3, vcc_lo, s3
	s_waitcnt vmcnt(0) lgkmcnt(0)
	v_mul_f64 v[10:11], v[21:22], v[17:18]
	v_mul_f64 v[17:18], v[19:20], v[17:18]
	v_fma_f64 v[10:11], v[19:20], v[15:16], -v[10:11]
	s_delay_alu instid0(VALU_DEP_2) | instskip(NEXT) | instid1(VALU_DEP_2)
	v_fma_f64 v[15:16], v[21:22], v[15:16], v[17:18]
	v_add_f64 v[3:4], v[3:4], v[10:11]
	s_delay_alu instid0(VALU_DEP_2)
	v_add_f64 v[1:2], v[1:2], v[15:16]
	s_and_not1_b32 exec_lo, exec_lo, s3
	s_cbranch_execnz .LBB57_229
; %bb.230:
	s_or_b32 exec_lo, exec_lo, s3
	v_mov_b32_e32 v7, 0
	ds_load_b128 v[7:10], v7 offset:864
	s_waitcnt lgkmcnt(0)
	v_mul_f64 v[11:12], v[1:2], v[9:10]
	v_mul_f64 v[15:16], v[3:4], v[9:10]
	s_delay_alu instid0(VALU_DEP_2) | instskip(NEXT) | instid1(VALU_DEP_2)
	v_fma_f64 v[9:10], v[3:4], v[7:8], -v[11:12]
	v_fma_f64 v[11:12], v[1:2], v[7:8], v[15:16]
	scratch_store_b128 off, v[9:12], off offset:864
.LBB57_231:
	s_or_b32 exec_lo, exec_lo, s2
	s_waitcnt_vscnt null, 0x0
	s_barrier
	buffer_gl0_inv
	scratch_load_b128 v[1:4], v161, off
	s_mov_b32 s2, exec_lo
	s_waitcnt vmcnt(0)
	ds_store_b128 v5, v[1:4]
	s_waitcnt lgkmcnt(0)
	s_barrier
	buffer_gl0_inv
	v_cmpx_gt_u32_e32 55, v158
	s_cbranch_execz .LBB57_235
; %bb.232:
	v_dual_mov_b32 v1, 0 :: v_dual_add_nc_u32 v8, 0x3a0, v13
	v_dual_mov_b32 v2, 0 :: v_dual_add_nc_u32 v7, -1, v158
	v_or_b32_e32 v9, 8, v14
	s_mov_b32 s3, 0
	s_delay_alu instid0(VALU_DEP_2)
	v_dual_mov_b32 v4, v2 :: v_dual_mov_b32 v3, v1
	.p2align	6
.LBB57_233:                             ; =>This Inner Loop Header: Depth=1
	scratch_load_b128 v[15:18], v9, off offset:-8
	ds_load_b128 v[19:22], v8
	v_add_nc_u32_e32 v7, 1, v7
	v_add_nc_u32_e32 v8, 16, v8
	;; [unrolled: 1-line block ×3, first 2 shown]
	s_delay_alu instid0(VALU_DEP_3) | instskip(SKIP_4) | instid1(VALU_DEP_2)
	v_cmp_lt_u32_e32 vcc_lo, 53, v7
	s_or_b32 s3, vcc_lo, s3
	s_waitcnt vmcnt(0) lgkmcnt(0)
	v_mul_f64 v[10:11], v[21:22], v[17:18]
	v_mul_f64 v[17:18], v[19:20], v[17:18]
	v_fma_f64 v[10:11], v[19:20], v[15:16], -v[10:11]
	s_delay_alu instid0(VALU_DEP_2) | instskip(NEXT) | instid1(VALU_DEP_2)
	v_fma_f64 v[15:16], v[21:22], v[15:16], v[17:18]
	v_add_f64 v[3:4], v[3:4], v[10:11]
	s_delay_alu instid0(VALU_DEP_2)
	v_add_f64 v[1:2], v[1:2], v[15:16]
	s_and_not1_b32 exec_lo, exec_lo, s3
	s_cbranch_execnz .LBB57_233
; %bb.234:
	s_or_b32 exec_lo, exec_lo, s3
	v_mov_b32_e32 v7, 0
	ds_load_b128 v[7:10], v7 offset:880
	s_waitcnt lgkmcnt(0)
	v_mul_f64 v[11:12], v[1:2], v[9:10]
	v_mul_f64 v[15:16], v[3:4], v[9:10]
	s_delay_alu instid0(VALU_DEP_2) | instskip(NEXT) | instid1(VALU_DEP_2)
	v_fma_f64 v[9:10], v[3:4], v[7:8], -v[11:12]
	v_fma_f64 v[11:12], v[1:2], v[7:8], v[15:16]
	scratch_store_b128 off, v[9:12], off offset:880
.LBB57_235:
	s_or_b32 exec_lo, exec_lo, s2
	s_waitcnt_vscnt null, 0x0
	s_barrier
	buffer_gl0_inv
	scratch_load_b128 v[1:4], v160, off
	s_mov_b32 s2, exec_lo
	s_waitcnt vmcnt(0)
	ds_store_b128 v5, v[1:4]
	s_waitcnt lgkmcnt(0)
	s_barrier
	buffer_gl0_inv
	v_cmpx_gt_u32_e32 56, v158
	s_cbranch_execz .LBB57_239
; %bb.236:
	v_dual_mov_b32 v1, 0 :: v_dual_add_nc_u32 v8, 0x3a0, v13
	v_dual_mov_b32 v2, 0 :: v_dual_add_nc_u32 v7, -1, v158
	v_or_b32_e32 v9, 8, v14
	s_mov_b32 s3, 0
	s_delay_alu instid0(VALU_DEP_2)
	v_dual_mov_b32 v4, v2 :: v_dual_mov_b32 v3, v1
	.p2align	6
.LBB57_237:                             ; =>This Inner Loop Header: Depth=1
	scratch_load_b128 v[10:13], v9, off offset:-8
	ds_load_b128 v[15:18], v8
	v_add_nc_u32_e32 v7, 1, v7
	v_add_nc_u32_e32 v8, 16, v8
	v_add_nc_u32_e32 v9, 16, v9
	s_delay_alu instid0(VALU_DEP_3) | instskip(SKIP_4) | instid1(VALU_DEP_2)
	v_cmp_lt_u32_e32 vcc_lo, 54, v7
	s_or_b32 s3, vcc_lo, s3
	s_waitcnt vmcnt(0) lgkmcnt(0)
	v_mul_f64 v[19:20], v[17:18], v[12:13]
	v_mul_f64 v[12:13], v[15:16], v[12:13]
	v_fma_f64 v[15:16], v[15:16], v[10:11], -v[19:20]
	s_delay_alu instid0(VALU_DEP_2) | instskip(NEXT) | instid1(VALU_DEP_2)
	v_fma_f64 v[10:11], v[17:18], v[10:11], v[12:13]
	v_add_f64 v[3:4], v[3:4], v[15:16]
	s_delay_alu instid0(VALU_DEP_2)
	v_add_f64 v[1:2], v[1:2], v[10:11]
	s_and_not1_b32 exec_lo, exec_lo, s3
	s_cbranch_execnz .LBB57_237
; %bb.238:
	s_or_b32 exec_lo, exec_lo, s3
	v_mov_b32_e32 v7, 0
	ds_load_b128 v[7:10], v7 offset:896
	s_waitcnt lgkmcnt(0)
	v_mul_f64 v[11:12], v[1:2], v[9:10]
	v_mul_f64 v[15:16], v[3:4], v[9:10]
	s_delay_alu instid0(VALU_DEP_2) | instskip(NEXT) | instid1(VALU_DEP_2)
	v_fma_f64 v[9:10], v[3:4], v[7:8], -v[11:12]
	v_fma_f64 v[11:12], v[1:2], v[7:8], v[15:16]
	scratch_store_b128 off, v[9:12], off offset:896
.LBB57_239:
	s_or_b32 exec_lo, exec_lo, s2
	s_waitcnt_vscnt null, 0x0
	s_barrier
	buffer_gl0_inv
	scratch_load_b128 v[1:4], v159, off
	s_mov_b32 s2, exec_lo
	s_waitcnt vmcnt(0)
	ds_store_b128 v5, v[1:4]
	s_waitcnt lgkmcnt(0)
	s_barrier
	buffer_gl0_inv
	v_cmpx_ne_u32_e32 57, v158
	s_cbranch_execz .LBB57_243
; %bb.240:
	v_mov_b32_e32 v1, 0
	v_mov_b32_e32 v2, 0
	v_or_b32_e32 v7, 8, v14
	s_mov_b32 s3, 0
	s_delay_alu instid0(VALU_DEP_2)
	v_dual_mov_b32 v4, v2 :: v_dual_mov_b32 v3, v1
	.p2align	6
.LBB57_241:                             ; =>This Inner Loop Header: Depth=1
	scratch_load_b128 v[8:11], v7, off offset:-8
	ds_load_b128 v[12:15], v5
	v_add_nc_u32_e32 v6, 1, v6
	v_add_nc_u32_e32 v5, 16, v5
	;; [unrolled: 1-line block ×3, first 2 shown]
	s_delay_alu instid0(VALU_DEP_3) | instskip(SKIP_4) | instid1(VALU_DEP_2)
	v_cmp_lt_u32_e32 vcc_lo, 55, v6
	s_or_b32 s3, vcc_lo, s3
	s_waitcnt vmcnt(0) lgkmcnt(0)
	v_mul_f64 v[16:17], v[14:15], v[10:11]
	v_mul_f64 v[10:11], v[12:13], v[10:11]
	v_fma_f64 v[12:13], v[12:13], v[8:9], -v[16:17]
	s_delay_alu instid0(VALU_DEP_2) | instskip(NEXT) | instid1(VALU_DEP_2)
	v_fma_f64 v[8:9], v[14:15], v[8:9], v[10:11]
	v_add_f64 v[3:4], v[3:4], v[12:13]
	s_delay_alu instid0(VALU_DEP_2)
	v_add_f64 v[1:2], v[1:2], v[8:9]
	s_and_not1_b32 exec_lo, exec_lo, s3
	s_cbranch_execnz .LBB57_241
; %bb.242:
	s_or_b32 exec_lo, exec_lo, s3
	v_mov_b32_e32 v5, 0
	ds_load_b128 v[5:8], v5 offset:912
	s_waitcnt lgkmcnt(0)
	v_mul_f64 v[9:10], v[1:2], v[7:8]
	v_mul_f64 v[7:8], v[3:4], v[7:8]
	s_delay_alu instid0(VALU_DEP_2) | instskip(NEXT) | instid1(VALU_DEP_2)
	v_fma_f64 v[3:4], v[3:4], v[5:6], -v[9:10]
	v_fma_f64 v[5:6], v[1:2], v[5:6], v[7:8]
	scratch_store_b128 off, v[3:6], off offset:912
.LBB57_243:
	s_or_b32 exec_lo, exec_lo, s2
	s_mov_b32 s3, -1
	s_waitcnt_vscnt null, 0x0
	s_barrier
	buffer_gl0_inv
.LBB57_244:
	s_and_b32 vcc_lo, exec_lo, s3
	s_cbranch_vccz .LBB57_246
; %bb.245:
	s_lshl_b64 s[2:3], s[18:19], 2
	v_mov_b32_e32 v1, 0
	s_add_u32 s2, s6, s2
	s_addc_u32 s3, s7, s3
	global_load_b32 v1, v1, s[2:3]
	s_waitcnt vmcnt(0)
	v_cmp_ne_u32_e32 vcc_lo, 0, v1
	s_cbranch_vccz .LBB57_247
.LBB57_246:
	s_endpgm
.LBB57_247:
	v_lshl_add_u32 v216, v158, 4, 0x3a0
	s_mov_b32 s2, exec_lo
	v_cmpx_eq_u32_e32 57, v158
	s_cbranch_execz .LBB57_249
; %bb.248:
	scratch_load_b128 v[1:4], v160, off
	v_mov_b32_e32 v5, 0
	s_delay_alu instid0(VALU_DEP_1)
	v_mov_b32_e32 v6, v5
	v_mov_b32_e32 v7, v5
	;; [unrolled: 1-line block ×3, first 2 shown]
	scratch_store_b128 off, v[5:8], off offset:896
	s_waitcnt vmcnt(0)
	ds_store_b128 v216, v[1:4]
.LBB57_249:
	s_or_b32 exec_lo, exec_lo, s2
	s_waitcnt lgkmcnt(0)
	s_waitcnt_vscnt null, 0x0
	s_barrier
	buffer_gl0_inv
	s_clause 0x1
	scratch_load_b128 v[2:5], off, off offset:912
	scratch_load_b128 v[6:9], off, off offset:896
	v_mov_b32_e32 v1, 0
	s_mov_b32 s2, exec_lo
	ds_load_b128 v[10:13], v1 offset:1840
	s_waitcnt vmcnt(1) lgkmcnt(0)
	v_mul_f64 v[14:15], v[12:13], v[4:5]
	v_mul_f64 v[4:5], v[10:11], v[4:5]
	s_delay_alu instid0(VALU_DEP_2) | instskip(NEXT) | instid1(VALU_DEP_2)
	v_fma_f64 v[10:11], v[10:11], v[2:3], -v[14:15]
	v_fma_f64 v[2:3], v[12:13], v[2:3], v[4:5]
	s_delay_alu instid0(VALU_DEP_2) | instskip(NEXT) | instid1(VALU_DEP_2)
	v_add_f64 v[4:5], v[10:11], 0
	v_add_f64 v[10:11], v[2:3], 0
	s_waitcnt vmcnt(0)
	s_delay_alu instid0(VALU_DEP_2) | instskip(NEXT) | instid1(VALU_DEP_2)
	v_add_f64 v[2:3], v[6:7], -v[4:5]
	v_add_f64 v[4:5], v[8:9], -v[10:11]
	scratch_store_b128 off, v[2:5], off offset:896
	v_cmpx_lt_u32_e32 55, v158
	s_cbranch_execz .LBB57_251
; %bb.250:
	scratch_load_b128 v[5:8], v161, off
	v_mov_b32_e32 v2, v1
	v_mov_b32_e32 v3, v1
	;; [unrolled: 1-line block ×3, first 2 shown]
	scratch_store_b128 off, v[1:4], off offset:880
	s_waitcnt vmcnt(0)
	ds_store_b128 v216, v[5:8]
.LBB57_251:
	s_or_b32 exec_lo, exec_lo, s2
	s_waitcnt lgkmcnt(0)
	s_waitcnt_vscnt null, 0x0
	s_barrier
	buffer_gl0_inv
	s_clause 0x2
	scratch_load_b128 v[2:5], off, off offset:896
	scratch_load_b128 v[6:9], off, off offset:912
	;; [unrolled: 1-line block ×3, first 2 shown]
	ds_load_b128 v[14:17], v1 offset:1824
	ds_load_b128 v[18:21], v1 offset:1840
	s_mov_b32 s2, exec_lo
	s_waitcnt vmcnt(2) lgkmcnt(1)
	v_mul_f64 v[22:23], v[16:17], v[4:5]
	v_mul_f64 v[4:5], v[14:15], v[4:5]
	s_waitcnt vmcnt(1) lgkmcnt(0)
	v_mul_f64 v[24:25], v[18:19], v[8:9]
	v_mul_f64 v[8:9], v[20:21], v[8:9]
	s_delay_alu instid0(VALU_DEP_4) | instskip(NEXT) | instid1(VALU_DEP_4)
	v_fma_f64 v[14:15], v[14:15], v[2:3], -v[22:23]
	v_fma_f64 v[1:2], v[16:17], v[2:3], v[4:5]
	s_delay_alu instid0(VALU_DEP_4) | instskip(NEXT) | instid1(VALU_DEP_4)
	v_fma_f64 v[3:4], v[20:21], v[6:7], v[24:25]
	v_fma_f64 v[5:6], v[18:19], v[6:7], -v[8:9]
	s_delay_alu instid0(VALU_DEP_4) | instskip(NEXT) | instid1(VALU_DEP_4)
	v_add_f64 v[7:8], v[14:15], 0
	v_add_f64 v[1:2], v[1:2], 0
	s_delay_alu instid0(VALU_DEP_2) | instskip(NEXT) | instid1(VALU_DEP_2)
	v_add_f64 v[5:6], v[7:8], v[5:6]
	v_add_f64 v[3:4], v[1:2], v[3:4]
	s_waitcnt vmcnt(0)
	s_delay_alu instid0(VALU_DEP_2) | instskip(NEXT) | instid1(VALU_DEP_2)
	v_add_f64 v[1:2], v[10:11], -v[5:6]
	v_add_f64 v[3:4], v[12:13], -v[3:4]
	scratch_store_b128 off, v[1:4], off offset:880
	v_cmpx_lt_u32_e32 54, v158
	s_cbranch_execz .LBB57_253
; %bb.252:
	scratch_load_b128 v[1:4], v162, off
	v_mov_b32_e32 v5, 0
	s_delay_alu instid0(VALU_DEP_1)
	v_mov_b32_e32 v6, v5
	v_mov_b32_e32 v7, v5
	;; [unrolled: 1-line block ×3, first 2 shown]
	scratch_store_b128 off, v[5:8], off offset:864
	s_waitcnt vmcnt(0)
	ds_store_b128 v216, v[1:4]
.LBB57_253:
	s_or_b32 exec_lo, exec_lo, s2
	s_waitcnt lgkmcnt(0)
	s_waitcnt_vscnt null, 0x0
	s_barrier
	buffer_gl0_inv
	s_clause 0x3
	scratch_load_b128 v[2:5], off, off offset:880
	scratch_load_b128 v[6:9], off, off offset:896
	;; [unrolled: 1-line block ×4, first 2 shown]
	v_mov_b32_e32 v1, 0
	ds_load_b128 v[18:21], v1 offset:1808
	ds_load_b128 v[22:25], v1 offset:1824
	s_mov_b32 s2, exec_lo
	s_waitcnt vmcnt(3) lgkmcnt(1)
	v_mul_f64 v[26:27], v[20:21], v[4:5]
	v_mul_f64 v[4:5], v[18:19], v[4:5]
	s_waitcnt vmcnt(2) lgkmcnt(0)
	v_mul_f64 v[28:29], v[22:23], v[8:9]
	v_mul_f64 v[8:9], v[24:25], v[8:9]
	s_delay_alu instid0(VALU_DEP_4) | instskip(NEXT) | instid1(VALU_DEP_4)
	v_fma_f64 v[18:19], v[18:19], v[2:3], -v[26:27]
	v_fma_f64 v[20:21], v[20:21], v[2:3], v[4:5]
	ds_load_b128 v[2:5], v1 offset:1840
	v_fma_f64 v[24:25], v[24:25], v[6:7], v[28:29]
	v_fma_f64 v[6:7], v[22:23], v[6:7], -v[8:9]
	s_waitcnt vmcnt(1) lgkmcnt(0)
	v_mul_f64 v[26:27], v[2:3], v[12:13]
	v_mul_f64 v[12:13], v[4:5], v[12:13]
	v_add_f64 v[8:9], v[18:19], 0
	v_add_f64 v[18:19], v[20:21], 0
	s_delay_alu instid0(VALU_DEP_4) | instskip(NEXT) | instid1(VALU_DEP_4)
	v_fma_f64 v[4:5], v[4:5], v[10:11], v[26:27]
	v_fma_f64 v[2:3], v[2:3], v[10:11], -v[12:13]
	s_delay_alu instid0(VALU_DEP_4) | instskip(NEXT) | instid1(VALU_DEP_4)
	v_add_f64 v[6:7], v[8:9], v[6:7]
	v_add_f64 v[8:9], v[18:19], v[24:25]
	s_delay_alu instid0(VALU_DEP_2) | instskip(NEXT) | instid1(VALU_DEP_2)
	v_add_f64 v[2:3], v[6:7], v[2:3]
	v_add_f64 v[4:5], v[8:9], v[4:5]
	s_waitcnt vmcnt(0)
	s_delay_alu instid0(VALU_DEP_2) | instskip(NEXT) | instid1(VALU_DEP_2)
	v_add_f64 v[2:3], v[14:15], -v[2:3]
	v_add_f64 v[4:5], v[16:17], -v[4:5]
	scratch_store_b128 off, v[2:5], off offset:864
	v_cmpx_lt_u32_e32 53, v158
	s_cbranch_execz .LBB57_255
; %bb.254:
	scratch_load_b128 v[5:8], v163, off
	v_mov_b32_e32 v2, v1
	v_mov_b32_e32 v3, v1
	;; [unrolled: 1-line block ×3, first 2 shown]
	scratch_store_b128 off, v[1:4], off offset:848
	s_waitcnt vmcnt(0)
	ds_store_b128 v216, v[5:8]
.LBB57_255:
	s_or_b32 exec_lo, exec_lo, s2
	s_waitcnt lgkmcnt(0)
	s_waitcnt_vscnt null, 0x0
	s_barrier
	buffer_gl0_inv
	s_clause 0x4
	scratch_load_b128 v[2:5], off, off offset:864
	scratch_load_b128 v[6:9], off, off offset:880
	;; [unrolled: 1-line block ×5, first 2 shown]
	ds_load_b128 v[22:25], v1 offset:1792
	ds_load_b128 v[26:29], v1 offset:1808
	s_mov_b32 s2, exec_lo
	s_waitcnt vmcnt(4) lgkmcnt(1)
	v_mul_f64 v[30:31], v[24:25], v[4:5]
	v_mul_f64 v[4:5], v[22:23], v[4:5]
	s_waitcnt vmcnt(3) lgkmcnt(0)
	v_mul_f64 v[32:33], v[26:27], v[8:9]
	v_mul_f64 v[8:9], v[28:29], v[8:9]
	s_delay_alu instid0(VALU_DEP_4) | instskip(NEXT) | instid1(VALU_DEP_4)
	v_fma_f64 v[30:31], v[22:23], v[2:3], -v[30:31]
	v_fma_f64 v[34:35], v[24:25], v[2:3], v[4:5]
	ds_load_b128 v[2:5], v1 offset:1824
	ds_load_b128 v[22:25], v1 offset:1840
	v_fma_f64 v[28:29], v[28:29], v[6:7], v[32:33]
	v_fma_f64 v[6:7], v[26:27], v[6:7], -v[8:9]
	s_waitcnt vmcnt(2) lgkmcnt(1)
	v_mul_f64 v[36:37], v[2:3], v[12:13]
	v_mul_f64 v[12:13], v[4:5], v[12:13]
	v_add_f64 v[8:9], v[30:31], 0
	v_add_f64 v[26:27], v[34:35], 0
	s_waitcnt vmcnt(1) lgkmcnt(0)
	v_mul_f64 v[30:31], v[22:23], v[16:17]
	v_mul_f64 v[16:17], v[24:25], v[16:17]
	v_fma_f64 v[4:5], v[4:5], v[10:11], v[36:37]
	v_fma_f64 v[1:2], v[2:3], v[10:11], -v[12:13]
	v_add_f64 v[6:7], v[8:9], v[6:7]
	v_add_f64 v[8:9], v[26:27], v[28:29]
	v_fma_f64 v[10:11], v[24:25], v[14:15], v[30:31]
	v_fma_f64 v[12:13], v[22:23], v[14:15], -v[16:17]
	s_delay_alu instid0(VALU_DEP_4) | instskip(NEXT) | instid1(VALU_DEP_4)
	v_add_f64 v[1:2], v[6:7], v[1:2]
	v_add_f64 v[3:4], v[8:9], v[4:5]
	s_delay_alu instid0(VALU_DEP_2) | instskip(NEXT) | instid1(VALU_DEP_2)
	v_add_f64 v[1:2], v[1:2], v[12:13]
	v_add_f64 v[3:4], v[3:4], v[10:11]
	s_waitcnt vmcnt(0)
	s_delay_alu instid0(VALU_DEP_2) | instskip(NEXT) | instid1(VALU_DEP_2)
	v_add_f64 v[1:2], v[18:19], -v[1:2]
	v_add_f64 v[3:4], v[20:21], -v[3:4]
	scratch_store_b128 off, v[1:4], off offset:848
	v_cmpx_lt_u32_e32 52, v158
	s_cbranch_execz .LBB57_257
; %bb.256:
	scratch_load_b128 v[1:4], v164, off
	v_mov_b32_e32 v5, 0
	s_delay_alu instid0(VALU_DEP_1)
	v_mov_b32_e32 v6, v5
	v_mov_b32_e32 v7, v5
	;; [unrolled: 1-line block ×3, first 2 shown]
	scratch_store_b128 off, v[5:8], off offset:832
	s_waitcnt vmcnt(0)
	ds_store_b128 v216, v[1:4]
.LBB57_257:
	s_or_b32 exec_lo, exec_lo, s2
	s_waitcnt lgkmcnt(0)
	s_waitcnt_vscnt null, 0x0
	s_barrier
	buffer_gl0_inv
	s_clause 0x5
	scratch_load_b128 v[2:5], off, off offset:848
	scratch_load_b128 v[6:9], off, off offset:864
	scratch_load_b128 v[10:13], off, off offset:880
	scratch_load_b128 v[14:17], off, off offset:896
	scratch_load_b128 v[18:21], off, off offset:912
	scratch_load_b128 v[22:25], off, off offset:832
	v_mov_b32_e32 v1, 0
	ds_load_b128 v[26:29], v1 offset:1776
	ds_load_b128 v[30:33], v1 offset:1792
	s_mov_b32 s2, exec_lo
	s_waitcnt vmcnt(5) lgkmcnt(1)
	v_mul_f64 v[34:35], v[28:29], v[4:5]
	v_mul_f64 v[4:5], v[26:27], v[4:5]
	s_waitcnt vmcnt(4) lgkmcnt(0)
	v_mul_f64 v[36:37], v[30:31], v[8:9]
	v_mul_f64 v[8:9], v[32:33], v[8:9]
	s_delay_alu instid0(VALU_DEP_4) | instskip(NEXT) | instid1(VALU_DEP_4)
	v_fma_f64 v[34:35], v[26:27], v[2:3], -v[34:35]
	v_fma_f64 v[38:39], v[28:29], v[2:3], v[4:5]
	ds_load_b128 v[2:5], v1 offset:1808
	ds_load_b128 v[26:29], v1 offset:1824
	v_fma_f64 v[32:33], v[32:33], v[6:7], v[36:37]
	v_fma_f64 v[6:7], v[30:31], v[6:7], -v[8:9]
	s_waitcnt vmcnt(3) lgkmcnt(1)
	v_mul_f64 v[40:41], v[2:3], v[12:13]
	v_mul_f64 v[12:13], v[4:5], v[12:13]
	v_add_f64 v[8:9], v[34:35], 0
	v_add_f64 v[30:31], v[38:39], 0
	s_waitcnt vmcnt(2) lgkmcnt(0)
	v_mul_f64 v[34:35], v[26:27], v[16:17]
	v_mul_f64 v[16:17], v[28:29], v[16:17]
	v_fma_f64 v[36:37], v[4:5], v[10:11], v[40:41]
	v_fma_f64 v[10:11], v[2:3], v[10:11], -v[12:13]
	ds_load_b128 v[2:5], v1 offset:1840
	v_add_f64 v[6:7], v[8:9], v[6:7]
	v_add_f64 v[8:9], v[30:31], v[32:33]
	v_fma_f64 v[28:29], v[28:29], v[14:15], v[34:35]
	v_fma_f64 v[14:15], v[26:27], v[14:15], -v[16:17]
	s_waitcnt vmcnt(1) lgkmcnt(0)
	v_mul_f64 v[12:13], v[2:3], v[20:21]
	v_mul_f64 v[20:21], v[4:5], v[20:21]
	v_add_f64 v[6:7], v[6:7], v[10:11]
	v_add_f64 v[8:9], v[8:9], v[36:37]
	s_delay_alu instid0(VALU_DEP_4) | instskip(NEXT) | instid1(VALU_DEP_4)
	v_fma_f64 v[4:5], v[4:5], v[18:19], v[12:13]
	v_fma_f64 v[2:3], v[2:3], v[18:19], -v[20:21]
	s_delay_alu instid0(VALU_DEP_4) | instskip(NEXT) | instid1(VALU_DEP_4)
	v_add_f64 v[6:7], v[6:7], v[14:15]
	v_add_f64 v[8:9], v[8:9], v[28:29]
	s_delay_alu instid0(VALU_DEP_2) | instskip(NEXT) | instid1(VALU_DEP_2)
	v_add_f64 v[2:3], v[6:7], v[2:3]
	v_add_f64 v[4:5], v[8:9], v[4:5]
	s_waitcnt vmcnt(0)
	s_delay_alu instid0(VALU_DEP_2) | instskip(NEXT) | instid1(VALU_DEP_2)
	v_add_f64 v[2:3], v[22:23], -v[2:3]
	v_add_f64 v[4:5], v[24:25], -v[4:5]
	scratch_store_b128 off, v[2:5], off offset:832
	v_cmpx_lt_u32_e32 51, v158
	s_cbranch_execz .LBB57_259
; %bb.258:
	scratch_load_b128 v[5:8], v165, off
	v_mov_b32_e32 v2, v1
	v_mov_b32_e32 v3, v1
	;; [unrolled: 1-line block ×3, first 2 shown]
	scratch_store_b128 off, v[1:4], off offset:816
	s_waitcnt vmcnt(0)
	ds_store_b128 v216, v[5:8]
.LBB57_259:
	s_or_b32 exec_lo, exec_lo, s2
	s_waitcnt lgkmcnt(0)
	s_waitcnt_vscnt null, 0x0
	s_barrier
	buffer_gl0_inv
	s_clause 0x5
	scratch_load_b128 v[2:5], off, off offset:832
	scratch_load_b128 v[6:9], off, off offset:848
	;; [unrolled: 1-line block ×6, first 2 shown]
	ds_load_b128 v[26:29], v1 offset:1760
	ds_load_b128 v[34:37], v1 offset:1776
	scratch_load_b128 v[30:33], off, off offset:816
	s_mov_b32 s2, exec_lo
	s_waitcnt vmcnt(6) lgkmcnt(1)
	v_mul_f64 v[38:39], v[28:29], v[4:5]
	v_mul_f64 v[4:5], v[26:27], v[4:5]
	s_waitcnt vmcnt(5) lgkmcnt(0)
	v_mul_f64 v[40:41], v[34:35], v[8:9]
	v_mul_f64 v[8:9], v[36:37], v[8:9]
	s_delay_alu instid0(VALU_DEP_4) | instskip(NEXT) | instid1(VALU_DEP_4)
	v_fma_f64 v[38:39], v[26:27], v[2:3], -v[38:39]
	v_fma_f64 v[44:45], v[28:29], v[2:3], v[4:5]
	ds_load_b128 v[2:5], v1 offset:1792
	ds_load_b128 v[26:29], v1 offset:1808
	v_fma_f64 v[36:37], v[36:37], v[6:7], v[40:41]
	v_fma_f64 v[6:7], v[34:35], v[6:7], -v[8:9]
	s_waitcnt vmcnt(4) lgkmcnt(1)
	v_mul_f64 v[46:47], v[2:3], v[12:13]
	v_mul_f64 v[12:13], v[4:5], v[12:13]
	v_add_f64 v[8:9], v[38:39], 0
	v_add_f64 v[34:35], v[44:45], 0
	s_waitcnt vmcnt(3) lgkmcnt(0)
	v_mul_f64 v[38:39], v[26:27], v[16:17]
	v_mul_f64 v[16:17], v[28:29], v[16:17]
	v_fma_f64 v[40:41], v[4:5], v[10:11], v[46:47]
	v_fma_f64 v[10:11], v[2:3], v[10:11], -v[12:13]
	v_add_f64 v[12:13], v[8:9], v[6:7]
	v_add_f64 v[34:35], v[34:35], v[36:37]
	ds_load_b128 v[2:5], v1 offset:1824
	ds_load_b128 v[6:9], v1 offset:1840
	v_fma_f64 v[28:29], v[28:29], v[14:15], v[38:39]
	v_fma_f64 v[14:15], v[26:27], v[14:15], -v[16:17]
	s_waitcnt vmcnt(2) lgkmcnt(1)
	v_mul_f64 v[36:37], v[2:3], v[20:21]
	v_mul_f64 v[20:21], v[4:5], v[20:21]
	s_waitcnt vmcnt(1) lgkmcnt(0)
	v_mul_f64 v[16:17], v[6:7], v[24:25]
	v_mul_f64 v[24:25], v[8:9], v[24:25]
	v_add_f64 v[10:11], v[12:13], v[10:11]
	v_add_f64 v[12:13], v[34:35], v[40:41]
	v_fma_f64 v[4:5], v[4:5], v[18:19], v[36:37]
	v_fma_f64 v[1:2], v[2:3], v[18:19], -v[20:21]
	v_fma_f64 v[8:9], v[8:9], v[22:23], v[16:17]
	v_fma_f64 v[6:7], v[6:7], v[22:23], -v[24:25]
	v_add_f64 v[10:11], v[10:11], v[14:15]
	v_add_f64 v[12:13], v[12:13], v[28:29]
	s_delay_alu instid0(VALU_DEP_2) | instskip(NEXT) | instid1(VALU_DEP_2)
	v_add_f64 v[1:2], v[10:11], v[1:2]
	v_add_f64 v[3:4], v[12:13], v[4:5]
	s_delay_alu instid0(VALU_DEP_2) | instskip(NEXT) | instid1(VALU_DEP_2)
	v_add_f64 v[1:2], v[1:2], v[6:7]
	v_add_f64 v[3:4], v[3:4], v[8:9]
	s_waitcnt vmcnt(0)
	s_delay_alu instid0(VALU_DEP_2) | instskip(NEXT) | instid1(VALU_DEP_2)
	v_add_f64 v[1:2], v[30:31], -v[1:2]
	v_add_f64 v[3:4], v[32:33], -v[3:4]
	scratch_store_b128 off, v[1:4], off offset:816
	v_cmpx_lt_u32_e32 50, v158
	s_cbranch_execz .LBB57_261
; %bb.260:
	scratch_load_b128 v[1:4], v166, off
	v_mov_b32_e32 v5, 0
	s_delay_alu instid0(VALU_DEP_1)
	v_mov_b32_e32 v6, v5
	v_mov_b32_e32 v7, v5
	;; [unrolled: 1-line block ×3, first 2 shown]
	scratch_store_b128 off, v[5:8], off offset:800
	s_waitcnt vmcnt(0)
	ds_store_b128 v216, v[1:4]
.LBB57_261:
	s_or_b32 exec_lo, exec_lo, s2
	s_waitcnt lgkmcnt(0)
	s_waitcnt_vscnt null, 0x0
	s_barrier
	buffer_gl0_inv
	s_clause 0x6
	scratch_load_b128 v[2:5], off, off offset:816
	scratch_load_b128 v[6:9], off, off offset:832
	;; [unrolled: 1-line block ×7, first 2 shown]
	v_mov_b32_e32 v1, 0
	scratch_load_b128 v[34:37], off, off offset:800
	s_mov_b32 s2, exec_lo
	ds_load_b128 v[30:33], v1 offset:1744
	ds_load_b128 v[38:41], v1 offset:1760
	s_waitcnt vmcnt(7) lgkmcnt(1)
	v_mul_f64 v[44:45], v[32:33], v[4:5]
	v_mul_f64 v[4:5], v[30:31], v[4:5]
	s_waitcnt vmcnt(6) lgkmcnt(0)
	v_mul_f64 v[46:47], v[38:39], v[8:9]
	v_mul_f64 v[8:9], v[40:41], v[8:9]
	s_delay_alu instid0(VALU_DEP_4) | instskip(NEXT) | instid1(VALU_DEP_4)
	v_fma_f64 v[44:45], v[30:31], v[2:3], -v[44:45]
	v_fma_f64 v[48:49], v[32:33], v[2:3], v[4:5]
	ds_load_b128 v[2:5], v1 offset:1776
	ds_load_b128 v[30:33], v1 offset:1792
	v_fma_f64 v[40:41], v[40:41], v[6:7], v[46:47]
	v_fma_f64 v[6:7], v[38:39], v[6:7], -v[8:9]
	s_waitcnt vmcnt(5) lgkmcnt(1)
	v_mul_f64 v[50:51], v[2:3], v[12:13]
	v_mul_f64 v[12:13], v[4:5], v[12:13]
	v_add_f64 v[8:9], v[44:45], 0
	v_add_f64 v[38:39], v[48:49], 0
	s_waitcnt vmcnt(4) lgkmcnt(0)
	v_mul_f64 v[44:45], v[30:31], v[16:17]
	v_mul_f64 v[16:17], v[32:33], v[16:17]
	v_fma_f64 v[46:47], v[4:5], v[10:11], v[50:51]
	v_fma_f64 v[10:11], v[2:3], v[10:11], -v[12:13]
	v_add_f64 v[12:13], v[8:9], v[6:7]
	v_add_f64 v[38:39], v[38:39], v[40:41]
	ds_load_b128 v[2:5], v1 offset:1808
	ds_load_b128 v[6:9], v1 offset:1824
	v_fma_f64 v[32:33], v[32:33], v[14:15], v[44:45]
	v_fma_f64 v[14:15], v[30:31], v[14:15], -v[16:17]
	s_waitcnt vmcnt(3) lgkmcnt(1)
	v_mul_f64 v[40:41], v[2:3], v[20:21]
	v_mul_f64 v[20:21], v[4:5], v[20:21]
	s_waitcnt vmcnt(2) lgkmcnt(0)
	v_mul_f64 v[16:17], v[6:7], v[24:25]
	v_mul_f64 v[24:25], v[8:9], v[24:25]
	v_add_f64 v[10:11], v[12:13], v[10:11]
	v_add_f64 v[12:13], v[38:39], v[46:47]
	v_fma_f64 v[30:31], v[4:5], v[18:19], v[40:41]
	v_fma_f64 v[18:19], v[2:3], v[18:19], -v[20:21]
	ds_load_b128 v[2:5], v1 offset:1840
	v_fma_f64 v[8:9], v[8:9], v[22:23], v[16:17]
	v_fma_f64 v[6:7], v[6:7], v[22:23], -v[24:25]
	v_add_f64 v[10:11], v[10:11], v[14:15]
	v_add_f64 v[12:13], v[12:13], v[32:33]
	s_waitcnt vmcnt(1) lgkmcnt(0)
	v_mul_f64 v[14:15], v[2:3], v[28:29]
	v_mul_f64 v[20:21], v[4:5], v[28:29]
	s_delay_alu instid0(VALU_DEP_4) | instskip(NEXT) | instid1(VALU_DEP_4)
	v_add_f64 v[10:11], v[10:11], v[18:19]
	v_add_f64 v[12:13], v[12:13], v[30:31]
	s_delay_alu instid0(VALU_DEP_4) | instskip(NEXT) | instid1(VALU_DEP_4)
	v_fma_f64 v[4:5], v[4:5], v[26:27], v[14:15]
	v_fma_f64 v[2:3], v[2:3], v[26:27], -v[20:21]
	s_delay_alu instid0(VALU_DEP_4) | instskip(NEXT) | instid1(VALU_DEP_4)
	v_add_f64 v[6:7], v[10:11], v[6:7]
	v_add_f64 v[8:9], v[12:13], v[8:9]
	s_delay_alu instid0(VALU_DEP_2) | instskip(NEXT) | instid1(VALU_DEP_2)
	v_add_f64 v[2:3], v[6:7], v[2:3]
	v_add_f64 v[4:5], v[8:9], v[4:5]
	s_waitcnt vmcnt(0)
	s_delay_alu instid0(VALU_DEP_2) | instskip(NEXT) | instid1(VALU_DEP_2)
	v_add_f64 v[2:3], v[34:35], -v[2:3]
	v_add_f64 v[4:5], v[36:37], -v[4:5]
	scratch_store_b128 off, v[2:5], off offset:800
	v_cmpx_lt_u32_e32 49, v158
	s_cbranch_execz .LBB57_263
; %bb.262:
	scratch_load_b128 v[5:8], v167, off
	v_mov_b32_e32 v2, v1
	v_mov_b32_e32 v3, v1
	;; [unrolled: 1-line block ×3, first 2 shown]
	scratch_store_b128 off, v[1:4], off offset:784
	s_waitcnt vmcnt(0)
	ds_store_b128 v216, v[5:8]
.LBB57_263:
	s_or_b32 exec_lo, exec_lo, s2
	s_waitcnt lgkmcnt(0)
	s_waitcnt_vscnt null, 0x0
	s_barrier
	buffer_gl0_inv
	s_clause 0x7
	scratch_load_b128 v[2:5], off, off offset:800
	scratch_load_b128 v[6:9], off, off offset:816
	;; [unrolled: 1-line block ×8, first 2 shown]
	ds_load_b128 v[34:37], v1 offset:1728
	ds_load_b128 v[38:41], v1 offset:1744
	scratch_load_b128 v[179:182], off, off offset:784
	s_mov_b32 s2, exec_lo
	s_waitcnt vmcnt(8) lgkmcnt(1)
	v_mul_f64 v[44:45], v[36:37], v[4:5]
	v_mul_f64 v[4:5], v[34:35], v[4:5]
	s_waitcnt vmcnt(7) lgkmcnt(0)
	v_mul_f64 v[46:47], v[38:39], v[8:9]
	v_mul_f64 v[8:9], v[40:41], v[8:9]
	s_delay_alu instid0(VALU_DEP_4) | instskip(NEXT) | instid1(VALU_DEP_4)
	v_fma_f64 v[44:45], v[34:35], v[2:3], -v[44:45]
	v_fma_f64 v[48:49], v[36:37], v[2:3], v[4:5]
	ds_load_b128 v[2:5], v1 offset:1760
	ds_load_b128 v[34:37], v1 offset:1776
	v_fma_f64 v[40:41], v[40:41], v[6:7], v[46:47]
	v_fma_f64 v[6:7], v[38:39], v[6:7], -v[8:9]
	s_waitcnt vmcnt(6) lgkmcnt(1)
	v_mul_f64 v[50:51], v[2:3], v[12:13]
	v_mul_f64 v[12:13], v[4:5], v[12:13]
	v_add_f64 v[8:9], v[44:45], 0
	v_add_f64 v[38:39], v[48:49], 0
	s_waitcnt vmcnt(5) lgkmcnt(0)
	v_mul_f64 v[44:45], v[34:35], v[16:17]
	v_mul_f64 v[16:17], v[36:37], v[16:17]
	v_fma_f64 v[46:47], v[4:5], v[10:11], v[50:51]
	v_fma_f64 v[10:11], v[2:3], v[10:11], -v[12:13]
	v_add_f64 v[12:13], v[8:9], v[6:7]
	v_add_f64 v[38:39], v[38:39], v[40:41]
	ds_load_b128 v[2:5], v1 offset:1792
	ds_load_b128 v[6:9], v1 offset:1808
	v_fma_f64 v[36:37], v[36:37], v[14:15], v[44:45]
	v_fma_f64 v[14:15], v[34:35], v[14:15], -v[16:17]
	s_waitcnt vmcnt(4) lgkmcnt(1)
	v_mul_f64 v[40:41], v[2:3], v[20:21]
	v_mul_f64 v[20:21], v[4:5], v[20:21]
	s_waitcnt vmcnt(3) lgkmcnt(0)
	v_mul_f64 v[16:17], v[6:7], v[24:25]
	v_mul_f64 v[24:25], v[8:9], v[24:25]
	v_add_f64 v[10:11], v[12:13], v[10:11]
	v_add_f64 v[12:13], v[38:39], v[46:47]
	v_fma_f64 v[34:35], v[4:5], v[18:19], v[40:41]
	v_fma_f64 v[18:19], v[2:3], v[18:19], -v[20:21]
	v_fma_f64 v[8:9], v[8:9], v[22:23], v[16:17]
	v_fma_f64 v[6:7], v[6:7], v[22:23], -v[24:25]
	v_add_f64 v[14:15], v[10:11], v[14:15]
	v_add_f64 v[20:21], v[12:13], v[36:37]
	ds_load_b128 v[2:5], v1 offset:1824
	ds_load_b128 v[10:13], v1 offset:1840
	s_waitcnt vmcnt(2) lgkmcnt(1)
	v_mul_f64 v[36:37], v[2:3], v[28:29]
	v_mul_f64 v[28:29], v[4:5], v[28:29]
	v_add_f64 v[14:15], v[14:15], v[18:19]
	v_add_f64 v[16:17], v[20:21], v[34:35]
	s_waitcnt vmcnt(1) lgkmcnt(0)
	v_mul_f64 v[18:19], v[10:11], v[32:33]
	v_mul_f64 v[20:21], v[12:13], v[32:33]
	v_fma_f64 v[4:5], v[4:5], v[26:27], v[36:37]
	v_fma_f64 v[1:2], v[2:3], v[26:27], -v[28:29]
	v_add_f64 v[6:7], v[14:15], v[6:7]
	v_add_f64 v[8:9], v[16:17], v[8:9]
	v_fma_f64 v[12:13], v[12:13], v[30:31], v[18:19]
	v_fma_f64 v[10:11], v[10:11], v[30:31], -v[20:21]
	s_delay_alu instid0(VALU_DEP_4) | instskip(NEXT) | instid1(VALU_DEP_4)
	v_add_f64 v[1:2], v[6:7], v[1:2]
	v_add_f64 v[3:4], v[8:9], v[4:5]
	s_delay_alu instid0(VALU_DEP_2) | instskip(NEXT) | instid1(VALU_DEP_2)
	v_add_f64 v[1:2], v[1:2], v[10:11]
	v_add_f64 v[3:4], v[3:4], v[12:13]
	s_waitcnt vmcnt(0)
	s_delay_alu instid0(VALU_DEP_2) | instskip(NEXT) | instid1(VALU_DEP_2)
	v_add_f64 v[1:2], v[179:180], -v[1:2]
	v_add_f64 v[3:4], v[181:182], -v[3:4]
	scratch_store_b128 off, v[1:4], off offset:784
	v_cmpx_lt_u32_e32 48, v158
	s_cbranch_execz .LBB57_265
; %bb.264:
	scratch_load_b128 v[1:4], v168, off
	v_mov_b32_e32 v5, 0
	s_delay_alu instid0(VALU_DEP_1)
	v_mov_b32_e32 v6, v5
	v_mov_b32_e32 v7, v5
	;; [unrolled: 1-line block ×3, first 2 shown]
	scratch_store_b128 off, v[5:8], off offset:768
	s_waitcnt vmcnt(0)
	ds_store_b128 v216, v[1:4]
.LBB57_265:
	s_or_b32 exec_lo, exec_lo, s2
	s_waitcnt lgkmcnt(0)
	s_waitcnt_vscnt null, 0x0
	s_barrier
	buffer_gl0_inv
	s_clause 0x7
	scratch_load_b128 v[2:5], off, off offset:784
	scratch_load_b128 v[6:9], off, off offset:800
	scratch_load_b128 v[10:13], off, off offset:816
	scratch_load_b128 v[14:17], off, off offset:832
	scratch_load_b128 v[18:21], off, off offset:848
	scratch_load_b128 v[22:25], off, off offset:864
	scratch_load_b128 v[26:29], off, off offset:880
	scratch_load_b128 v[30:33], off, off offset:896
	v_mov_b32_e32 v1, 0
	s_mov_b32 s2, exec_lo
	ds_load_b128 v[34:37], v1 offset:1712
	s_clause 0x1
	scratch_load_b128 v[38:41], off, off offset:912
	scratch_load_b128 v[179:182], off, off offset:768
	ds_load_b128 v[183:186], v1 offset:1728
	s_waitcnt vmcnt(9) lgkmcnt(1)
	v_mul_f64 v[44:45], v[36:37], v[4:5]
	v_mul_f64 v[4:5], v[34:35], v[4:5]
	s_waitcnt vmcnt(8) lgkmcnt(0)
	v_mul_f64 v[46:47], v[183:184], v[8:9]
	v_mul_f64 v[8:9], v[185:186], v[8:9]
	s_delay_alu instid0(VALU_DEP_4) | instskip(NEXT) | instid1(VALU_DEP_4)
	v_fma_f64 v[44:45], v[34:35], v[2:3], -v[44:45]
	v_fma_f64 v[48:49], v[36:37], v[2:3], v[4:5]
	ds_load_b128 v[2:5], v1 offset:1744
	ds_load_b128 v[34:37], v1 offset:1760
	v_fma_f64 v[46:47], v[185:186], v[6:7], v[46:47]
	v_fma_f64 v[6:7], v[183:184], v[6:7], -v[8:9]
	s_waitcnt vmcnt(7) lgkmcnt(1)
	v_mul_f64 v[50:51], v[2:3], v[12:13]
	v_mul_f64 v[12:13], v[4:5], v[12:13]
	v_add_f64 v[8:9], v[44:45], 0
	v_add_f64 v[44:45], v[48:49], 0
	s_waitcnt vmcnt(6) lgkmcnt(0)
	v_mul_f64 v[48:49], v[34:35], v[16:17]
	v_mul_f64 v[16:17], v[36:37], v[16:17]
	v_fma_f64 v[50:51], v[4:5], v[10:11], v[50:51]
	v_fma_f64 v[10:11], v[2:3], v[10:11], -v[12:13]
	v_add_f64 v[12:13], v[8:9], v[6:7]
	v_add_f64 v[44:45], v[44:45], v[46:47]
	ds_load_b128 v[2:5], v1 offset:1776
	ds_load_b128 v[6:9], v1 offset:1792
	v_fma_f64 v[36:37], v[36:37], v[14:15], v[48:49]
	v_fma_f64 v[14:15], v[34:35], v[14:15], -v[16:17]
	s_waitcnt vmcnt(5) lgkmcnt(1)
	v_mul_f64 v[46:47], v[2:3], v[20:21]
	v_mul_f64 v[20:21], v[4:5], v[20:21]
	s_waitcnt vmcnt(4) lgkmcnt(0)
	v_mul_f64 v[16:17], v[6:7], v[24:25]
	v_mul_f64 v[24:25], v[8:9], v[24:25]
	v_add_f64 v[10:11], v[12:13], v[10:11]
	v_add_f64 v[12:13], v[44:45], v[50:51]
	v_fma_f64 v[34:35], v[4:5], v[18:19], v[46:47]
	v_fma_f64 v[18:19], v[2:3], v[18:19], -v[20:21]
	v_fma_f64 v[8:9], v[8:9], v[22:23], v[16:17]
	v_fma_f64 v[6:7], v[6:7], v[22:23], -v[24:25]
	v_add_f64 v[14:15], v[10:11], v[14:15]
	v_add_f64 v[20:21], v[12:13], v[36:37]
	ds_load_b128 v[2:5], v1 offset:1808
	ds_load_b128 v[10:13], v1 offset:1824
	s_waitcnt vmcnt(3) lgkmcnt(1)
	v_mul_f64 v[36:37], v[2:3], v[28:29]
	v_mul_f64 v[28:29], v[4:5], v[28:29]
	v_add_f64 v[14:15], v[14:15], v[18:19]
	v_add_f64 v[16:17], v[20:21], v[34:35]
	s_waitcnt vmcnt(2) lgkmcnt(0)
	v_mul_f64 v[18:19], v[10:11], v[32:33]
	v_mul_f64 v[20:21], v[12:13], v[32:33]
	v_fma_f64 v[22:23], v[4:5], v[26:27], v[36:37]
	v_fma_f64 v[24:25], v[2:3], v[26:27], -v[28:29]
	ds_load_b128 v[2:5], v1 offset:1840
	v_add_f64 v[6:7], v[14:15], v[6:7]
	v_add_f64 v[8:9], v[16:17], v[8:9]
	v_fma_f64 v[12:13], v[12:13], v[30:31], v[18:19]
	v_fma_f64 v[10:11], v[10:11], v[30:31], -v[20:21]
	s_waitcnt vmcnt(1) lgkmcnt(0)
	v_mul_f64 v[14:15], v[2:3], v[40:41]
	v_mul_f64 v[16:17], v[4:5], v[40:41]
	v_add_f64 v[6:7], v[6:7], v[24:25]
	v_add_f64 v[8:9], v[8:9], v[22:23]
	s_delay_alu instid0(VALU_DEP_4) | instskip(NEXT) | instid1(VALU_DEP_4)
	v_fma_f64 v[4:5], v[4:5], v[38:39], v[14:15]
	v_fma_f64 v[2:3], v[2:3], v[38:39], -v[16:17]
	s_delay_alu instid0(VALU_DEP_4) | instskip(NEXT) | instid1(VALU_DEP_4)
	v_add_f64 v[6:7], v[6:7], v[10:11]
	v_add_f64 v[8:9], v[8:9], v[12:13]
	s_delay_alu instid0(VALU_DEP_2) | instskip(NEXT) | instid1(VALU_DEP_2)
	v_add_f64 v[2:3], v[6:7], v[2:3]
	v_add_f64 v[4:5], v[8:9], v[4:5]
	s_waitcnt vmcnt(0)
	s_delay_alu instid0(VALU_DEP_2) | instskip(NEXT) | instid1(VALU_DEP_2)
	v_add_f64 v[2:3], v[179:180], -v[2:3]
	v_add_f64 v[4:5], v[181:182], -v[4:5]
	scratch_store_b128 off, v[2:5], off offset:768
	v_cmpx_lt_u32_e32 47, v158
	s_cbranch_execz .LBB57_267
; %bb.266:
	scratch_load_b128 v[5:8], v169, off
	v_mov_b32_e32 v2, v1
	v_mov_b32_e32 v3, v1
	;; [unrolled: 1-line block ×3, first 2 shown]
	scratch_store_b128 off, v[1:4], off offset:752
	s_waitcnt vmcnt(0)
	ds_store_b128 v216, v[5:8]
.LBB57_267:
	s_or_b32 exec_lo, exec_lo, s2
	s_waitcnt lgkmcnt(0)
	s_waitcnt_vscnt null, 0x0
	s_barrier
	buffer_gl0_inv
	s_clause 0x8
	scratch_load_b128 v[2:5], off, off offset:768
	scratch_load_b128 v[6:9], off, off offset:784
	;; [unrolled: 1-line block ×9, first 2 shown]
	ds_load_b128 v[38:41], v1 offset:1696
	ds_load_b128 v[179:182], v1 offset:1712
	s_clause 0x1
	scratch_load_b128 v[183:186], off, off offset:752
	scratch_load_b128 v[187:190], off, off offset:912
	s_mov_b32 s2, exec_lo
	s_waitcnt vmcnt(10) lgkmcnt(1)
	v_mul_f64 v[44:45], v[40:41], v[4:5]
	v_mul_f64 v[4:5], v[38:39], v[4:5]
	s_waitcnt vmcnt(9) lgkmcnt(0)
	v_mul_f64 v[46:47], v[179:180], v[8:9]
	v_mul_f64 v[8:9], v[181:182], v[8:9]
	s_delay_alu instid0(VALU_DEP_4) | instskip(NEXT) | instid1(VALU_DEP_4)
	v_fma_f64 v[44:45], v[38:39], v[2:3], -v[44:45]
	v_fma_f64 v[48:49], v[40:41], v[2:3], v[4:5]
	ds_load_b128 v[2:5], v1 offset:1728
	ds_load_b128 v[38:41], v1 offset:1744
	v_fma_f64 v[46:47], v[181:182], v[6:7], v[46:47]
	v_fma_f64 v[6:7], v[179:180], v[6:7], -v[8:9]
	s_waitcnt vmcnt(8) lgkmcnt(1)
	v_mul_f64 v[50:51], v[2:3], v[12:13]
	v_mul_f64 v[12:13], v[4:5], v[12:13]
	v_add_f64 v[8:9], v[44:45], 0
	v_add_f64 v[44:45], v[48:49], 0
	s_waitcnt vmcnt(7) lgkmcnt(0)
	v_mul_f64 v[48:49], v[38:39], v[16:17]
	v_mul_f64 v[16:17], v[40:41], v[16:17]
	v_fma_f64 v[50:51], v[4:5], v[10:11], v[50:51]
	v_fma_f64 v[10:11], v[2:3], v[10:11], -v[12:13]
	v_add_f64 v[12:13], v[8:9], v[6:7]
	v_add_f64 v[44:45], v[44:45], v[46:47]
	ds_load_b128 v[2:5], v1 offset:1760
	ds_load_b128 v[6:9], v1 offset:1776
	v_fma_f64 v[40:41], v[40:41], v[14:15], v[48:49]
	v_fma_f64 v[14:15], v[38:39], v[14:15], -v[16:17]
	s_waitcnt vmcnt(6) lgkmcnt(1)
	v_mul_f64 v[46:47], v[2:3], v[20:21]
	v_mul_f64 v[20:21], v[4:5], v[20:21]
	s_waitcnt vmcnt(5) lgkmcnt(0)
	v_mul_f64 v[16:17], v[6:7], v[24:25]
	v_mul_f64 v[24:25], v[8:9], v[24:25]
	v_add_f64 v[10:11], v[12:13], v[10:11]
	v_add_f64 v[12:13], v[44:45], v[50:51]
	v_fma_f64 v[38:39], v[4:5], v[18:19], v[46:47]
	v_fma_f64 v[18:19], v[2:3], v[18:19], -v[20:21]
	v_fma_f64 v[8:9], v[8:9], v[22:23], v[16:17]
	v_fma_f64 v[6:7], v[6:7], v[22:23], -v[24:25]
	v_add_f64 v[14:15], v[10:11], v[14:15]
	v_add_f64 v[20:21], v[12:13], v[40:41]
	ds_load_b128 v[2:5], v1 offset:1792
	ds_load_b128 v[10:13], v1 offset:1808
	s_waitcnt vmcnt(4) lgkmcnt(1)
	v_mul_f64 v[40:41], v[2:3], v[28:29]
	v_mul_f64 v[28:29], v[4:5], v[28:29]
	v_add_f64 v[14:15], v[14:15], v[18:19]
	v_add_f64 v[16:17], v[20:21], v[38:39]
	s_waitcnt vmcnt(3) lgkmcnt(0)
	v_mul_f64 v[18:19], v[10:11], v[32:33]
	v_mul_f64 v[20:21], v[12:13], v[32:33]
	v_fma_f64 v[22:23], v[4:5], v[26:27], v[40:41]
	v_fma_f64 v[24:25], v[2:3], v[26:27], -v[28:29]
	v_add_f64 v[14:15], v[14:15], v[6:7]
	v_add_f64 v[16:17], v[16:17], v[8:9]
	ds_load_b128 v[2:5], v1 offset:1824
	ds_load_b128 v[6:9], v1 offset:1840
	v_fma_f64 v[12:13], v[12:13], v[30:31], v[18:19]
	v_fma_f64 v[10:11], v[10:11], v[30:31], -v[20:21]
	s_waitcnt vmcnt(2) lgkmcnt(1)
	v_mul_f64 v[26:27], v[2:3], v[36:37]
	v_mul_f64 v[28:29], v[4:5], v[36:37]
	s_waitcnt vmcnt(0) lgkmcnt(0)
	v_mul_f64 v[18:19], v[6:7], v[189:190]
	v_mul_f64 v[20:21], v[8:9], v[189:190]
	v_add_f64 v[14:15], v[14:15], v[24:25]
	v_add_f64 v[16:17], v[16:17], v[22:23]
	v_fma_f64 v[4:5], v[4:5], v[34:35], v[26:27]
	v_fma_f64 v[1:2], v[2:3], v[34:35], -v[28:29]
	v_fma_f64 v[8:9], v[8:9], v[187:188], v[18:19]
	v_fma_f64 v[6:7], v[6:7], v[187:188], -v[20:21]
	v_add_f64 v[10:11], v[14:15], v[10:11]
	v_add_f64 v[12:13], v[16:17], v[12:13]
	s_delay_alu instid0(VALU_DEP_2) | instskip(NEXT) | instid1(VALU_DEP_2)
	v_add_f64 v[1:2], v[10:11], v[1:2]
	v_add_f64 v[3:4], v[12:13], v[4:5]
	s_delay_alu instid0(VALU_DEP_2) | instskip(NEXT) | instid1(VALU_DEP_2)
	;; [unrolled: 3-line block ×3, first 2 shown]
	v_add_f64 v[1:2], v[183:184], -v[1:2]
	v_add_f64 v[3:4], v[185:186], -v[3:4]
	scratch_store_b128 off, v[1:4], off offset:752
	v_cmpx_lt_u32_e32 46, v158
	s_cbranch_execz .LBB57_269
; %bb.268:
	scratch_load_b128 v[1:4], v170, off
	v_mov_b32_e32 v5, 0
	s_delay_alu instid0(VALU_DEP_1)
	v_mov_b32_e32 v6, v5
	v_mov_b32_e32 v7, v5
	;; [unrolled: 1-line block ×3, first 2 shown]
	scratch_store_b128 off, v[5:8], off offset:736
	s_waitcnt vmcnt(0)
	ds_store_b128 v216, v[1:4]
.LBB57_269:
	s_or_b32 exec_lo, exec_lo, s2
	s_waitcnt lgkmcnt(0)
	s_waitcnt_vscnt null, 0x0
	s_barrier
	buffer_gl0_inv
	s_clause 0x7
	scratch_load_b128 v[2:5], off, off offset:752
	scratch_load_b128 v[6:9], off, off offset:768
	;; [unrolled: 1-line block ×8, first 2 shown]
	v_mov_b32_e32 v1, 0
	s_clause 0x1
	scratch_load_b128 v[38:41], off, off offset:880
	scratch_load_b128 v[183:186], off, off offset:896
	s_mov_b32 s2, exec_lo
	ds_load_b128 v[34:37], v1 offset:1680
	ds_load_b128 v[179:182], v1 offset:1696
	s_waitcnt vmcnt(9) lgkmcnt(1)
	v_mul_f64 v[44:45], v[36:37], v[4:5]
	v_mul_f64 v[4:5], v[34:35], v[4:5]
	s_waitcnt vmcnt(8) lgkmcnt(0)
	v_mul_f64 v[46:47], v[179:180], v[8:9]
	v_mul_f64 v[8:9], v[181:182], v[8:9]
	s_delay_alu instid0(VALU_DEP_4) | instskip(NEXT) | instid1(VALU_DEP_4)
	v_fma_f64 v[44:45], v[34:35], v[2:3], -v[44:45]
	v_fma_f64 v[48:49], v[36:37], v[2:3], v[4:5]
	ds_load_b128 v[2:5], v1 offset:1712
	scratch_load_b128 v[34:37], off, off offset:912
	v_fma_f64 v[46:47], v[181:182], v[6:7], v[46:47]
	v_fma_f64 v[52:53], v[179:180], v[6:7], -v[8:9]
	ds_load_b128 v[6:9], v1 offset:1728
	s_waitcnt vmcnt(8) lgkmcnt(1)
	v_mul_f64 v[50:51], v[2:3], v[12:13]
	v_mul_f64 v[12:13], v[4:5], v[12:13]
	s_waitcnt vmcnt(7) lgkmcnt(0)
	v_mul_f64 v[54:55], v[6:7], v[16:17]
	v_mul_f64 v[16:17], v[8:9], v[16:17]
	v_add_f64 v[44:45], v[44:45], 0
	v_add_f64 v[48:49], v[48:49], 0
	v_fma_f64 v[50:51], v[4:5], v[10:11], v[50:51]
	v_fma_f64 v[10:11], v[2:3], v[10:11], -v[12:13]
	ds_load_b128 v[2:5], v1 offset:1744
	v_add_f64 v[12:13], v[44:45], v[52:53]
	v_add_f64 v[44:45], v[48:49], v[46:47]
	v_fma_f64 v[48:49], v[8:9], v[14:15], v[54:55]
	v_fma_f64 v[14:15], v[6:7], v[14:15], -v[16:17]
	ds_load_b128 v[6:9], v1 offset:1760
	s_waitcnt vmcnt(6) lgkmcnt(1)
	v_mul_f64 v[46:47], v[2:3], v[20:21]
	v_mul_f64 v[20:21], v[4:5], v[20:21]
	v_add_f64 v[16:17], v[12:13], v[10:11]
	v_add_f64 v[44:45], v[44:45], v[50:51]
	scratch_load_b128 v[10:13], off, off offset:736
	s_waitcnt vmcnt(6) lgkmcnt(0)
	v_mul_f64 v[50:51], v[6:7], v[24:25]
	v_mul_f64 v[24:25], v[8:9], v[24:25]
	v_fma_f64 v[46:47], v[4:5], v[18:19], v[46:47]
	v_fma_f64 v[18:19], v[2:3], v[18:19], -v[20:21]
	ds_load_b128 v[2:5], v1 offset:1776
	v_add_f64 v[14:15], v[16:17], v[14:15]
	v_add_f64 v[16:17], v[44:45], v[48:49]
	v_fma_f64 v[44:45], v[8:9], v[22:23], v[50:51]
	v_fma_f64 v[22:23], v[6:7], v[22:23], -v[24:25]
	ds_load_b128 v[6:9], v1 offset:1792
	s_waitcnt vmcnt(5) lgkmcnt(1)
	v_mul_f64 v[20:21], v[2:3], v[28:29]
	v_mul_f64 v[28:29], v[4:5], v[28:29]
	s_waitcnt vmcnt(4) lgkmcnt(0)
	v_mul_f64 v[24:25], v[8:9], v[32:33]
	v_add_f64 v[14:15], v[14:15], v[18:19]
	v_add_f64 v[16:17], v[16:17], v[46:47]
	v_mul_f64 v[18:19], v[6:7], v[32:33]
	v_fma_f64 v[20:21], v[4:5], v[26:27], v[20:21]
	v_fma_f64 v[26:27], v[2:3], v[26:27], -v[28:29]
	ds_load_b128 v[2:5], v1 offset:1808
	v_fma_f64 v[24:25], v[6:7], v[30:31], -v[24:25]
	v_add_f64 v[14:15], v[14:15], v[22:23]
	v_add_f64 v[16:17], v[16:17], v[44:45]
	v_fma_f64 v[18:19], v[8:9], v[30:31], v[18:19]
	ds_load_b128 v[6:9], v1 offset:1824
	s_waitcnt vmcnt(3) lgkmcnt(1)
	v_mul_f64 v[22:23], v[2:3], v[40:41]
	v_mul_f64 v[28:29], v[4:5], v[40:41]
	v_add_f64 v[14:15], v[14:15], v[26:27]
	v_add_f64 v[16:17], v[16:17], v[20:21]
	s_waitcnt vmcnt(2) lgkmcnt(0)
	v_mul_f64 v[20:21], v[6:7], v[185:186]
	v_mul_f64 v[26:27], v[8:9], v[185:186]
	v_fma_f64 v[22:23], v[4:5], v[38:39], v[22:23]
	v_fma_f64 v[28:29], v[2:3], v[38:39], -v[28:29]
	ds_load_b128 v[2:5], v1 offset:1840
	v_add_f64 v[14:15], v[14:15], v[24:25]
	v_add_f64 v[16:17], v[16:17], v[18:19]
	v_fma_f64 v[8:9], v[8:9], v[183:184], v[20:21]
	v_fma_f64 v[6:7], v[6:7], v[183:184], -v[26:27]
	s_waitcnt vmcnt(1) lgkmcnt(0)
	v_mul_f64 v[18:19], v[2:3], v[36:37]
	v_mul_f64 v[24:25], v[4:5], v[36:37]
	v_add_f64 v[14:15], v[14:15], v[28:29]
	v_add_f64 v[16:17], v[16:17], v[22:23]
	s_delay_alu instid0(VALU_DEP_4) | instskip(NEXT) | instid1(VALU_DEP_4)
	v_fma_f64 v[4:5], v[4:5], v[34:35], v[18:19]
	v_fma_f64 v[2:3], v[2:3], v[34:35], -v[24:25]
	s_delay_alu instid0(VALU_DEP_4) | instskip(NEXT) | instid1(VALU_DEP_4)
	v_add_f64 v[6:7], v[14:15], v[6:7]
	v_add_f64 v[8:9], v[16:17], v[8:9]
	s_delay_alu instid0(VALU_DEP_2) | instskip(NEXT) | instid1(VALU_DEP_2)
	v_add_f64 v[2:3], v[6:7], v[2:3]
	v_add_f64 v[4:5], v[8:9], v[4:5]
	s_waitcnt vmcnt(0)
	s_delay_alu instid0(VALU_DEP_2) | instskip(NEXT) | instid1(VALU_DEP_2)
	v_add_f64 v[2:3], v[10:11], -v[2:3]
	v_add_f64 v[4:5], v[12:13], -v[4:5]
	scratch_store_b128 off, v[2:5], off offset:736
	v_cmpx_lt_u32_e32 45, v158
	s_cbranch_execz .LBB57_271
; %bb.270:
	scratch_load_b128 v[5:8], v173, off
	v_mov_b32_e32 v2, v1
	v_mov_b32_e32 v3, v1
	;; [unrolled: 1-line block ×3, first 2 shown]
	scratch_store_b128 off, v[1:4], off offset:720
	s_waitcnt vmcnt(0)
	ds_store_b128 v216, v[5:8]
.LBB57_271:
	s_or_b32 exec_lo, exec_lo, s2
	s_waitcnt lgkmcnt(0)
	s_waitcnt_vscnt null, 0x0
	s_barrier
	buffer_gl0_inv
	s_clause 0x7
	scratch_load_b128 v[2:5], off, off offset:736
	scratch_load_b128 v[6:9], off, off offset:752
	;; [unrolled: 1-line block ×8, first 2 shown]
	ds_load_b128 v[34:37], v1 offset:1664
	ds_load_b128 v[179:182], v1 offset:1680
	s_clause 0x1
	scratch_load_b128 v[38:41], off, off offset:864
	scratch_load_b128 v[183:186], off, off offset:880
	s_mov_b32 s2, exec_lo
	s_waitcnt vmcnt(9) lgkmcnt(1)
	v_mul_f64 v[44:45], v[36:37], v[4:5]
	v_mul_f64 v[4:5], v[34:35], v[4:5]
	s_waitcnt vmcnt(8) lgkmcnt(0)
	v_mul_f64 v[46:47], v[179:180], v[8:9]
	v_mul_f64 v[8:9], v[181:182], v[8:9]
	s_delay_alu instid0(VALU_DEP_4) | instskip(NEXT) | instid1(VALU_DEP_4)
	v_fma_f64 v[44:45], v[34:35], v[2:3], -v[44:45]
	v_fma_f64 v[48:49], v[36:37], v[2:3], v[4:5]
	scratch_load_b128 v[34:37], off, off offset:896
	ds_load_b128 v[2:5], v1 offset:1696
	v_fma_f64 v[46:47], v[181:182], v[6:7], v[46:47]
	v_fma_f64 v[52:53], v[179:180], v[6:7], -v[8:9]
	ds_load_b128 v[6:9], v1 offset:1712
	scratch_load_b128 v[179:182], off, off offset:912
	s_waitcnt vmcnt(9) lgkmcnt(1)
	v_mul_f64 v[50:51], v[2:3], v[12:13]
	v_mul_f64 v[12:13], v[4:5], v[12:13]
	s_waitcnt vmcnt(8) lgkmcnt(0)
	v_mul_f64 v[54:55], v[6:7], v[16:17]
	v_mul_f64 v[16:17], v[8:9], v[16:17]
	v_add_f64 v[44:45], v[44:45], 0
	v_add_f64 v[48:49], v[48:49], 0
	v_fma_f64 v[50:51], v[4:5], v[10:11], v[50:51]
	v_fma_f64 v[10:11], v[2:3], v[10:11], -v[12:13]
	ds_load_b128 v[2:5], v1 offset:1728
	v_add_f64 v[12:13], v[44:45], v[52:53]
	v_add_f64 v[44:45], v[48:49], v[46:47]
	v_fma_f64 v[48:49], v[8:9], v[14:15], v[54:55]
	v_fma_f64 v[14:15], v[6:7], v[14:15], -v[16:17]
	ds_load_b128 v[6:9], v1 offset:1744
	s_waitcnt vmcnt(7) lgkmcnt(1)
	v_mul_f64 v[46:47], v[2:3], v[20:21]
	v_mul_f64 v[20:21], v[4:5], v[20:21]
	s_waitcnt vmcnt(6) lgkmcnt(0)
	v_mul_f64 v[16:17], v[6:7], v[24:25]
	v_mul_f64 v[24:25], v[8:9], v[24:25]
	v_add_f64 v[10:11], v[12:13], v[10:11]
	v_add_f64 v[12:13], v[44:45], v[50:51]
	v_fma_f64 v[44:45], v[4:5], v[18:19], v[46:47]
	v_fma_f64 v[18:19], v[2:3], v[18:19], -v[20:21]
	ds_load_b128 v[2:5], v1 offset:1760
	v_fma_f64 v[16:17], v[8:9], v[22:23], v[16:17]
	v_fma_f64 v[22:23], v[6:7], v[22:23], -v[24:25]
	ds_load_b128 v[6:9], v1 offset:1776
	s_waitcnt vmcnt(5) lgkmcnt(1)
	v_mul_f64 v[46:47], v[2:3], v[28:29]
	v_mul_f64 v[28:29], v[4:5], v[28:29]
	v_add_f64 v[14:15], v[10:11], v[14:15]
	v_add_f64 v[20:21], v[12:13], v[48:49]
	scratch_load_b128 v[10:13], off, off offset:720
	s_waitcnt vmcnt(5) lgkmcnt(0)
	v_mul_f64 v[24:25], v[8:9], v[32:33]
	v_add_f64 v[14:15], v[14:15], v[18:19]
	v_add_f64 v[18:19], v[20:21], v[44:45]
	v_mul_f64 v[20:21], v[6:7], v[32:33]
	v_fma_f64 v[32:33], v[4:5], v[26:27], v[46:47]
	v_fma_f64 v[26:27], v[2:3], v[26:27], -v[28:29]
	ds_load_b128 v[2:5], v1 offset:1792
	v_fma_f64 v[24:25], v[6:7], v[30:31], -v[24:25]
	v_add_f64 v[14:15], v[14:15], v[22:23]
	v_add_f64 v[16:17], v[18:19], v[16:17]
	v_fma_f64 v[20:21], v[8:9], v[30:31], v[20:21]
	ds_load_b128 v[6:9], v1 offset:1808
	s_waitcnt vmcnt(4) lgkmcnt(1)
	v_mul_f64 v[18:19], v[2:3], v[40:41]
	v_mul_f64 v[22:23], v[4:5], v[40:41]
	s_waitcnt vmcnt(3) lgkmcnt(0)
	v_mul_f64 v[28:29], v[8:9], v[185:186]
	v_add_f64 v[14:15], v[14:15], v[26:27]
	v_add_f64 v[16:17], v[16:17], v[32:33]
	v_mul_f64 v[26:27], v[6:7], v[185:186]
	v_fma_f64 v[18:19], v[4:5], v[38:39], v[18:19]
	v_fma_f64 v[22:23], v[2:3], v[38:39], -v[22:23]
	ds_load_b128 v[2:5], v1 offset:1824
	v_fma_f64 v[28:29], v[6:7], v[183:184], -v[28:29]
	v_add_f64 v[14:15], v[14:15], v[24:25]
	v_add_f64 v[16:17], v[16:17], v[20:21]
	v_fma_f64 v[26:27], v[8:9], v[183:184], v[26:27]
	ds_load_b128 v[6:9], v1 offset:1840
	s_waitcnt vmcnt(2) lgkmcnt(1)
	v_mul_f64 v[20:21], v[2:3], v[36:37]
	v_mul_f64 v[24:25], v[4:5], v[36:37]
	v_add_f64 v[14:15], v[14:15], v[22:23]
	v_add_f64 v[16:17], v[16:17], v[18:19]
	s_waitcnt vmcnt(1) lgkmcnt(0)
	v_mul_f64 v[18:19], v[6:7], v[181:182]
	v_mul_f64 v[22:23], v[8:9], v[181:182]
	v_fma_f64 v[4:5], v[4:5], v[34:35], v[20:21]
	v_fma_f64 v[1:2], v[2:3], v[34:35], -v[24:25]
	v_add_f64 v[14:15], v[14:15], v[28:29]
	v_add_f64 v[16:17], v[16:17], v[26:27]
	v_fma_f64 v[8:9], v[8:9], v[179:180], v[18:19]
	v_fma_f64 v[6:7], v[6:7], v[179:180], -v[22:23]
	s_delay_alu instid0(VALU_DEP_4) | instskip(NEXT) | instid1(VALU_DEP_4)
	v_add_f64 v[1:2], v[14:15], v[1:2]
	v_add_f64 v[3:4], v[16:17], v[4:5]
	s_delay_alu instid0(VALU_DEP_2) | instskip(NEXT) | instid1(VALU_DEP_2)
	v_add_f64 v[1:2], v[1:2], v[6:7]
	v_add_f64 v[3:4], v[3:4], v[8:9]
	s_waitcnt vmcnt(0)
	s_delay_alu instid0(VALU_DEP_2) | instskip(NEXT) | instid1(VALU_DEP_2)
	v_add_f64 v[1:2], v[10:11], -v[1:2]
	v_add_f64 v[3:4], v[12:13], -v[3:4]
	scratch_store_b128 off, v[1:4], off offset:720
	v_cmpx_lt_u32_e32 44, v158
	s_cbranch_execz .LBB57_273
; %bb.272:
	scratch_load_b128 v[1:4], v174, off
	v_mov_b32_e32 v5, 0
	s_delay_alu instid0(VALU_DEP_1)
	v_mov_b32_e32 v6, v5
	v_mov_b32_e32 v7, v5
	;; [unrolled: 1-line block ×3, first 2 shown]
	scratch_store_b128 off, v[5:8], off offset:704
	s_waitcnt vmcnt(0)
	ds_store_b128 v216, v[1:4]
.LBB57_273:
	s_or_b32 exec_lo, exec_lo, s2
	s_waitcnt lgkmcnt(0)
	s_waitcnt_vscnt null, 0x0
	s_barrier
	buffer_gl0_inv
	s_clause 0x7
	scratch_load_b128 v[2:5], off, off offset:720
	scratch_load_b128 v[6:9], off, off offset:736
	;; [unrolled: 1-line block ×8, first 2 shown]
	v_mov_b32_e32 v1, 0
	s_clause 0x1
	scratch_load_b128 v[38:41], off, off offset:848
	scratch_load_b128 v[183:186], off, off offset:864
	s_mov_b32 s2, exec_lo
	ds_load_b128 v[34:37], v1 offset:1648
	ds_load_b128 v[179:182], v1 offset:1664
	s_waitcnt vmcnt(9) lgkmcnt(1)
	v_mul_f64 v[44:45], v[36:37], v[4:5]
	v_mul_f64 v[4:5], v[34:35], v[4:5]
	s_waitcnt vmcnt(8) lgkmcnt(0)
	v_mul_f64 v[46:47], v[179:180], v[8:9]
	v_mul_f64 v[8:9], v[181:182], v[8:9]
	s_delay_alu instid0(VALU_DEP_4) | instskip(NEXT) | instid1(VALU_DEP_4)
	v_fma_f64 v[44:45], v[34:35], v[2:3], -v[44:45]
	v_fma_f64 v[48:49], v[36:37], v[2:3], v[4:5]
	ds_load_b128 v[2:5], v1 offset:1680
	scratch_load_b128 v[34:37], off, off offset:880
	v_fma_f64 v[46:47], v[181:182], v[6:7], v[46:47]
	v_fma_f64 v[52:53], v[179:180], v[6:7], -v[8:9]
	ds_load_b128 v[6:9], v1 offset:1696
	scratch_load_b128 v[179:182], off, off offset:896
	s_waitcnt vmcnt(9) lgkmcnt(1)
	v_mul_f64 v[50:51], v[2:3], v[12:13]
	v_mul_f64 v[12:13], v[4:5], v[12:13]
	s_waitcnt vmcnt(8) lgkmcnt(0)
	v_mul_f64 v[54:55], v[6:7], v[16:17]
	v_mul_f64 v[16:17], v[8:9], v[16:17]
	v_add_f64 v[44:45], v[44:45], 0
	v_add_f64 v[48:49], v[48:49], 0
	v_fma_f64 v[50:51], v[4:5], v[10:11], v[50:51]
	v_fma_f64 v[56:57], v[2:3], v[10:11], -v[12:13]
	scratch_load_b128 v[10:13], off, off offset:912
	ds_load_b128 v[2:5], v1 offset:1712
	v_add_f64 v[44:45], v[44:45], v[52:53]
	v_add_f64 v[46:47], v[48:49], v[46:47]
	v_fma_f64 v[52:53], v[8:9], v[14:15], v[54:55]
	v_fma_f64 v[14:15], v[6:7], v[14:15], -v[16:17]
	ds_load_b128 v[6:9], v1 offset:1728
	s_waitcnt vmcnt(8) lgkmcnt(1)
	v_mul_f64 v[48:49], v[2:3], v[20:21]
	v_mul_f64 v[20:21], v[4:5], v[20:21]
	v_add_f64 v[16:17], v[44:45], v[56:57]
	v_add_f64 v[44:45], v[46:47], v[50:51]
	s_waitcnt vmcnt(7) lgkmcnt(0)
	v_mul_f64 v[46:47], v[6:7], v[24:25]
	v_mul_f64 v[24:25], v[8:9], v[24:25]
	v_fma_f64 v[48:49], v[4:5], v[18:19], v[48:49]
	v_fma_f64 v[18:19], v[2:3], v[18:19], -v[20:21]
	ds_load_b128 v[2:5], v1 offset:1744
	v_add_f64 v[14:15], v[16:17], v[14:15]
	v_add_f64 v[16:17], v[44:45], v[52:53]
	v_fma_f64 v[44:45], v[8:9], v[22:23], v[46:47]
	v_fma_f64 v[22:23], v[6:7], v[22:23], -v[24:25]
	ds_load_b128 v[6:9], v1 offset:1760
	s_waitcnt vmcnt(6) lgkmcnt(1)
	v_mul_f64 v[20:21], v[2:3], v[28:29]
	v_mul_f64 v[28:29], v[4:5], v[28:29]
	s_waitcnt vmcnt(5) lgkmcnt(0)
	v_mul_f64 v[46:47], v[6:7], v[32:33]
	v_mul_f64 v[32:33], v[8:9], v[32:33]
	v_add_f64 v[18:19], v[14:15], v[18:19]
	v_add_f64 v[24:25], v[16:17], v[48:49]
	scratch_load_b128 v[14:17], off, off offset:704
	v_fma_f64 v[20:21], v[4:5], v[26:27], v[20:21]
	v_fma_f64 v[26:27], v[2:3], v[26:27], -v[28:29]
	ds_load_b128 v[2:5], v1 offset:1776
	s_waitcnt vmcnt(5) lgkmcnt(0)
	v_mul_f64 v[28:29], v[4:5], v[40:41]
	v_add_f64 v[18:19], v[18:19], v[22:23]
	v_add_f64 v[22:23], v[24:25], v[44:45]
	v_mul_f64 v[24:25], v[2:3], v[40:41]
	v_fma_f64 v[40:41], v[8:9], v[30:31], v[46:47]
	v_fma_f64 v[30:31], v[6:7], v[30:31], -v[32:33]
	ds_load_b128 v[6:9], v1 offset:1792
	v_fma_f64 v[28:29], v[2:3], v[38:39], -v[28:29]
	v_add_f64 v[18:19], v[18:19], v[26:27]
	v_add_f64 v[20:21], v[22:23], v[20:21]
	v_fma_f64 v[24:25], v[4:5], v[38:39], v[24:25]
	ds_load_b128 v[2:5], v1 offset:1808
	s_waitcnt vmcnt(4) lgkmcnt(1)
	v_mul_f64 v[22:23], v[6:7], v[185:186]
	v_mul_f64 v[26:27], v[8:9], v[185:186]
	v_add_f64 v[18:19], v[18:19], v[30:31]
	v_add_f64 v[20:21], v[20:21], v[40:41]
	s_delay_alu instid0(VALU_DEP_4) | instskip(NEXT) | instid1(VALU_DEP_4)
	v_fma_f64 v[22:23], v[8:9], v[183:184], v[22:23]
	v_fma_f64 v[26:27], v[6:7], v[183:184], -v[26:27]
	ds_load_b128 v[6:9], v1 offset:1824
	s_waitcnt vmcnt(3) lgkmcnt(1)
	v_mul_f64 v[30:31], v[2:3], v[36:37]
	v_mul_f64 v[32:33], v[4:5], v[36:37]
	v_add_f64 v[18:19], v[18:19], v[28:29]
	v_add_f64 v[20:21], v[20:21], v[24:25]
	s_delay_alu instid0(VALU_DEP_4) | instskip(NEXT) | instid1(VALU_DEP_4)
	v_fma_f64 v[30:31], v[4:5], v[34:35], v[30:31]
	v_fma_f64 v[32:33], v[2:3], v[34:35], -v[32:33]
	ds_load_b128 v[2:5], v1 offset:1840
	s_waitcnt vmcnt(2) lgkmcnt(1)
	v_mul_f64 v[24:25], v[6:7], v[181:182]
	v_mul_f64 v[28:29], v[8:9], v[181:182]
	v_add_f64 v[18:19], v[18:19], v[26:27]
	v_add_f64 v[20:21], v[20:21], v[22:23]
	s_waitcnt vmcnt(1) lgkmcnt(0)
	v_mul_f64 v[22:23], v[2:3], v[12:13]
	v_mul_f64 v[12:13], v[4:5], v[12:13]
	v_fma_f64 v[8:9], v[8:9], v[179:180], v[24:25]
	v_fma_f64 v[6:7], v[6:7], v[179:180], -v[28:29]
	v_add_f64 v[18:19], v[18:19], v[32:33]
	v_add_f64 v[20:21], v[20:21], v[30:31]
	v_fma_f64 v[4:5], v[4:5], v[10:11], v[22:23]
	v_fma_f64 v[2:3], v[2:3], v[10:11], -v[12:13]
	s_delay_alu instid0(VALU_DEP_4) | instskip(NEXT) | instid1(VALU_DEP_4)
	v_add_f64 v[6:7], v[18:19], v[6:7]
	v_add_f64 v[8:9], v[20:21], v[8:9]
	s_delay_alu instid0(VALU_DEP_2) | instskip(NEXT) | instid1(VALU_DEP_2)
	v_add_f64 v[2:3], v[6:7], v[2:3]
	v_add_f64 v[4:5], v[8:9], v[4:5]
	s_waitcnt vmcnt(0)
	s_delay_alu instid0(VALU_DEP_2) | instskip(NEXT) | instid1(VALU_DEP_2)
	v_add_f64 v[2:3], v[14:15], -v[2:3]
	v_add_f64 v[4:5], v[16:17], -v[4:5]
	scratch_store_b128 off, v[2:5], off offset:704
	v_cmpx_lt_u32_e32 43, v158
	s_cbranch_execz .LBB57_275
; %bb.274:
	scratch_load_b128 v[5:8], v177, off
	v_mov_b32_e32 v2, v1
	v_mov_b32_e32 v3, v1
	;; [unrolled: 1-line block ×3, first 2 shown]
	scratch_store_b128 off, v[1:4], off offset:688
	s_waitcnt vmcnt(0)
	ds_store_b128 v216, v[5:8]
.LBB57_275:
	s_or_b32 exec_lo, exec_lo, s2
	s_waitcnt lgkmcnt(0)
	s_waitcnt_vscnt null, 0x0
	s_barrier
	buffer_gl0_inv
	s_clause 0x7
	scratch_load_b128 v[2:5], off, off offset:704
	scratch_load_b128 v[6:9], off, off offset:720
	;; [unrolled: 1-line block ×8, first 2 shown]
	ds_load_b128 v[34:37], v1 offset:1632
	ds_load_b128 v[179:182], v1 offset:1648
	s_clause 0x1
	scratch_load_b128 v[38:41], off, off offset:832
	scratch_load_b128 v[183:186], off, off offset:848
	s_mov_b32 s2, exec_lo
	s_waitcnt vmcnt(9) lgkmcnt(1)
	v_mul_f64 v[44:45], v[36:37], v[4:5]
	v_mul_f64 v[4:5], v[34:35], v[4:5]
	s_waitcnt vmcnt(8) lgkmcnt(0)
	v_mul_f64 v[46:47], v[179:180], v[8:9]
	v_mul_f64 v[8:9], v[181:182], v[8:9]
	s_delay_alu instid0(VALU_DEP_4) | instskip(NEXT) | instid1(VALU_DEP_4)
	v_fma_f64 v[44:45], v[34:35], v[2:3], -v[44:45]
	v_fma_f64 v[48:49], v[36:37], v[2:3], v[4:5]
	scratch_load_b128 v[34:37], off, off offset:864
	ds_load_b128 v[2:5], v1 offset:1664
	v_fma_f64 v[46:47], v[181:182], v[6:7], v[46:47]
	v_fma_f64 v[52:53], v[179:180], v[6:7], -v[8:9]
	ds_load_b128 v[6:9], v1 offset:1680
	scratch_load_b128 v[179:182], off, off offset:880
	s_waitcnt vmcnt(9) lgkmcnt(1)
	v_mul_f64 v[50:51], v[2:3], v[12:13]
	v_mul_f64 v[12:13], v[4:5], v[12:13]
	s_waitcnt vmcnt(8) lgkmcnt(0)
	v_mul_f64 v[54:55], v[6:7], v[16:17]
	v_mul_f64 v[16:17], v[8:9], v[16:17]
	v_add_f64 v[44:45], v[44:45], 0
	v_add_f64 v[48:49], v[48:49], 0
	v_fma_f64 v[50:51], v[4:5], v[10:11], v[50:51]
	v_fma_f64 v[56:57], v[2:3], v[10:11], -v[12:13]
	scratch_load_b128 v[10:13], off, off offset:896
	ds_load_b128 v[2:5], v1 offset:1696
	v_add_f64 v[44:45], v[44:45], v[52:53]
	v_add_f64 v[46:47], v[48:49], v[46:47]
	v_fma_f64 v[52:53], v[8:9], v[14:15], v[54:55]
	v_fma_f64 v[54:55], v[6:7], v[14:15], -v[16:17]
	ds_load_b128 v[6:9], v1 offset:1712
	scratch_load_b128 v[14:17], off, off offset:912
	s_waitcnt vmcnt(9) lgkmcnt(1)
	v_mul_f64 v[48:49], v[2:3], v[20:21]
	v_mul_f64 v[20:21], v[4:5], v[20:21]
	v_add_f64 v[44:45], v[44:45], v[56:57]
	v_add_f64 v[46:47], v[46:47], v[50:51]
	s_waitcnt vmcnt(8) lgkmcnt(0)
	v_mul_f64 v[50:51], v[6:7], v[24:25]
	v_mul_f64 v[24:25], v[8:9], v[24:25]
	v_fma_f64 v[48:49], v[4:5], v[18:19], v[48:49]
	v_fma_f64 v[18:19], v[2:3], v[18:19], -v[20:21]
	ds_load_b128 v[2:5], v1 offset:1728
	v_add_f64 v[20:21], v[44:45], v[54:55]
	v_add_f64 v[44:45], v[46:47], v[52:53]
	v_fma_f64 v[50:51], v[8:9], v[22:23], v[50:51]
	v_fma_f64 v[22:23], v[6:7], v[22:23], -v[24:25]
	ds_load_b128 v[6:9], v1 offset:1744
	s_waitcnt vmcnt(7) lgkmcnt(1)
	v_mul_f64 v[46:47], v[2:3], v[28:29]
	v_mul_f64 v[28:29], v[4:5], v[28:29]
	s_waitcnt vmcnt(6) lgkmcnt(0)
	v_mul_f64 v[24:25], v[6:7], v[32:33]
	v_mul_f64 v[32:33], v[8:9], v[32:33]
	v_add_f64 v[18:19], v[20:21], v[18:19]
	v_add_f64 v[20:21], v[44:45], v[48:49]
	v_fma_f64 v[44:45], v[4:5], v[26:27], v[46:47]
	v_fma_f64 v[26:27], v[2:3], v[26:27], -v[28:29]
	ds_load_b128 v[2:5], v1 offset:1760
	v_fma_f64 v[24:25], v[8:9], v[30:31], v[24:25]
	v_fma_f64 v[30:31], v[6:7], v[30:31], -v[32:33]
	ds_load_b128 v[6:9], v1 offset:1776
	v_add_f64 v[22:23], v[18:19], v[22:23]
	v_add_f64 v[28:29], v[20:21], v[50:51]
	scratch_load_b128 v[18:21], off, off offset:688
	s_waitcnt vmcnt(6) lgkmcnt(1)
	v_mul_f64 v[46:47], v[2:3], v[40:41]
	v_mul_f64 v[40:41], v[4:5], v[40:41]
	s_waitcnt vmcnt(5) lgkmcnt(0)
	v_mul_f64 v[32:33], v[8:9], v[185:186]
	v_add_f64 v[22:23], v[22:23], v[26:27]
	v_add_f64 v[26:27], v[28:29], v[44:45]
	v_mul_f64 v[28:29], v[6:7], v[185:186]
	v_fma_f64 v[44:45], v[4:5], v[38:39], v[46:47]
	v_fma_f64 v[38:39], v[2:3], v[38:39], -v[40:41]
	ds_load_b128 v[2:5], v1 offset:1792
	v_fma_f64 v[32:33], v[6:7], v[183:184], -v[32:33]
	v_add_f64 v[22:23], v[22:23], v[30:31]
	v_add_f64 v[24:25], v[26:27], v[24:25]
	v_fma_f64 v[28:29], v[8:9], v[183:184], v[28:29]
	ds_load_b128 v[6:9], v1 offset:1808
	s_waitcnt vmcnt(4) lgkmcnt(1)
	v_mul_f64 v[26:27], v[2:3], v[36:37]
	v_mul_f64 v[30:31], v[4:5], v[36:37]
	s_waitcnt vmcnt(3) lgkmcnt(0)
	v_mul_f64 v[36:37], v[6:7], v[181:182]
	v_add_f64 v[22:23], v[22:23], v[38:39]
	v_add_f64 v[24:25], v[24:25], v[44:45]
	v_mul_f64 v[38:39], v[8:9], v[181:182]
	v_fma_f64 v[26:27], v[4:5], v[34:35], v[26:27]
	v_fma_f64 v[30:31], v[2:3], v[34:35], -v[30:31]
	ds_load_b128 v[2:5], v1 offset:1824
	v_add_f64 v[22:23], v[22:23], v[32:33]
	v_add_f64 v[24:25], v[24:25], v[28:29]
	v_fma_f64 v[32:33], v[8:9], v[179:180], v[36:37]
	v_fma_f64 v[34:35], v[6:7], v[179:180], -v[38:39]
	ds_load_b128 v[6:9], v1 offset:1840
	s_waitcnt vmcnt(2) lgkmcnt(1)
	v_mul_f64 v[28:29], v[2:3], v[12:13]
	v_mul_f64 v[12:13], v[4:5], v[12:13]
	v_add_f64 v[22:23], v[22:23], v[30:31]
	v_add_f64 v[24:25], v[24:25], v[26:27]
	s_waitcnt vmcnt(1) lgkmcnt(0)
	v_mul_f64 v[26:27], v[6:7], v[16:17]
	v_mul_f64 v[16:17], v[8:9], v[16:17]
	v_fma_f64 v[4:5], v[4:5], v[10:11], v[28:29]
	v_fma_f64 v[1:2], v[2:3], v[10:11], -v[12:13]
	v_add_f64 v[10:11], v[22:23], v[34:35]
	v_add_f64 v[12:13], v[24:25], v[32:33]
	v_fma_f64 v[8:9], v[8:9], v[14:15], v[26:27]
	v_fma_f64 v[6:7], v[6:7], v[14:15], -v[16:17]
	s_delay_alu instid0(VALU_DEP_4) | instskip(NEXT) | instid1(VALU_DEP_4)
	v_add_f64 v[1:2], v[10:11], v[1:2]
	v_add_f64 v[3:4], v[12:13], v[4:5]
	s_delay_alu instid0(VALU_DEP_2) | instskip(NEXT) | instid1(VALU_DEP_2)
	v_add_f64 v[1:2], v[1:2], v[6:7]
	v_add_f64 v[3:4], v[3:4], v[8:9]
	s_waitcnt vmcnt(0)
	s_delay_alu instid0(VALU_DEP_2) | instskip(NEXT) | instid1(VALU_DEP_2)
	v_add_f64 v[1:2], v[18:19], -v[1:2]
	v_add_f64 v[3:4], v[20:21], -v[3:4]
	scratch_store_b128 off, v[1:4], off offset:688
	v_cmpx_lt_u32_e32 42, v158
	s_cbranch_execz .LBB57_277
; %bb.276:
	scratch_load_b128 v[1:4], v178, off
	v_mov_b32_e32 v5, 0
	s_delay_alu instid0(VALU_DEP_1)
	v_mov_b32_e32 v6, v5
	v_mov_b32_e32 v7, v5
	;; [unrolled: 1-line block ×3, first 2 shown]
	scratch_store_b128 off, v[5:8], off offset:672
	s_waitcnt vmcnt(0)
	ds_store_b128 v216, v[1:4]
.LBB57_277:
	s_or_b32 exec_lo, exec_lo, s2
	s_waitcnt lgkmcnt(0)
	s_waitcnt_vscnt null, 0x0
	s_barrier
	buffer_gl0_inv
	s_clause 0x7
	scratch_load_b128 v[2:5], off, off offset:688
	scratch_load_b128 v[6:9], off, off offset:704
	;; [unrolled: 1-line block ×8, first 2 shown]
	v_mov_b32_e32 v1, 0
	s_clause 0x1
	scratch_load_b128 v[38:41], off, off offset:816
	scratch_load_b128 v[183:186], off, off offset:832
	s_mov_b32 s2, exec_lo
	ds_load_b128 v[34:37], v1 offset:1616
	ds_load_b128 v[179:182], v1 offset:1632
	s_waitcnt vmcnt(9) lgkmcnt(1)
	v_mul_f64 v[44:45], v[36:37], v[4:5]
	v_mul_f64 v[4:5], v[34:35], v[4:5]
	s_waitcnt vmcnt(8) lgkmcnt(0)
	v_mul_f64 v[46:47], v[179:180], v[8:9]
	v_mul_f64 v[8:9], v[181:182], v[8:9]
	s_delay_alu instid0(VALU_DEP_4) | instskip(NEXT) | instid1(VALU_DEP_4)
	v_fma_f64 v[44:45], v[34:35], v[2:3], -v[44:45]
	v_fma_f64 v[48:49], v[36:37], v[2:3], v[4:5]
	ds_load_b128 v[2:5], v1 offset:1648
	scratch_load_b128 v[34:37], off, off offset:848
	v_fma_f64 v[46:47], v[181:182], v[6:7], v[46:47]
	v_fma_f64 v[52:53], v[179:180], v[6:7], -v[8:9]
	ds_load_b128 v[6:9], v1 offset:1664
	scratch_load_b128 v[179:182], off, off offset:864
	s_waitcnt vmcnt(9) lgkmcnt(1)
	v_mul_f64 v[50:51], v[2:3], v[12:13]
	v_mul_f64 v[12:13], v[4:5], v[12:13]
	s_waitcnt vmcnt(8) lgkmcnt(0)
	v_mul_f64 v[54:55], v[6:7], v[16:17]
	v_mul_f64 v[16:17], v[8:9], v[16:17]
	v_add_f64 v[44:45], v[44:45], 0
	v_add_f64 v[48:49], v[48:49], 0
	v_fma_f64 v[50:51], v[4:5], v[10:11], v[50:51]
	v_fma_f64 v[56:57], v[2:3], v[10:11], -v[12:13]
	scratch_load_b128 v[10:13], off, off offset:880
	ds_load_b128 v[2:5], v1 offset:1680
	v_add_f64 v[44:45], v[44:45], v[52:53]
	v_add_f64 v[46:47], v[48:49], v[46:47]
	v_fma_f64 v[52:53], v[8:9], v[14:15], v[54:55]
	v_fma_f64 v[54:55], v[6:7], v[14:15], -v[16:17]
	ds_load_b128 v[6:9], v1 offset:1696
	scratch_load_b128 v[14:17], off, off offset:896
	s_waitcnt vmcnt(9) lgkmcnt(1)
	v_mul_f64 v[48:49], v[2:3], v[20:21]
	v_mul_f64 v[20:21], v[4:5], v[20:21]
	v_add_f64 v[44:45], v[44:45], v[56:57]
	v_add_f64 v[46:47], v[46:47], v[50:51]
	s_waitcnt vmcnt(8) lgkmcnt(0)
	v_mul_f64 v[50:51], v[6:7], v[24:25]
	v_mul_f64 v[24:25], v[8:9], v[24:25]
	v_fma_f64 v[48:49], v[4:5], v[18:19], v[48:49]
	v_fma_f64 v[56:57], v[2:3], v[18:19], -v[20:21]
	scratch_load_b128 v[18:21], off, off offset:912
	ds_load_b128 v[2:5], v1 offset:1712
	v_add_f64 v[44:45], v[44:45], v[54:55]
	v_add_f64 v[46:47], v[46:47], v[52:53]
	v_fma_f64 v[50:51], v[8:9], v[22:23], v[50:51]
	v_fma_f64 v[22:23], v[6:7], v[22:23], -v[24:25]
	ds_load_b128 v[6:9], v1 offset:1728
	s_waitcnt vmcnt(8) lgkmcnt(1)
	v_mul_f64 v[52:53], v[2:3], v[28:29]
	v_mul_f64 v[28:29], v[4:5], v[28:29]
	v_add_f64 v[24:25], v[44:45], v[56:57]
	v_add_f64 v[44:45], v[46:47], v[48:49]
	s_waitcnt vmcnt(7) lgkmcnt(0)
	v_mul_f64 v[46:47], v[6:7], v[32:33]
	v_mul_f64 v[32:33], v[8:9], v[32:33]
	v_fma_f64 v[48:49], v[4:5], v[26:27], v[52:53]
	v_fma_f64 v[26:27], v[2:3], v[26:27], -v[28:29]
	ds_load_b128 v[2:5], v1 offset:1744
	v_add_f64 v[22:23], v[24:25], v[22:23]
	v_add_f64 v[24:25], v[44:45], v[50:51]
	v_fma_f64 v[44:45], v[8:9], v[30:31], v[46:47]
	v_fma_f64 v[30:31], v[6:7], v[30:31], -v[32:33]
	ds_load_b128 v[6:9], v1 offset:1760
	s_waitcnt vmcnt(5) lgkmcnt(0)
	v_mul_f64 v[46:47], v[6:7], v[185:186]
	v_add_f64 v[26:27], v[22:23], v[26:27]
	v_add_f64 v[32:33], v[24:25], v[48:49]
	scratch_load_b128 v[22:25], off, off offset:672
	v_mul_f64 v[28:29], v[2:3], v[40:41]
	v_mul_f64 v[40:41], v[4:5], v[40:41]
	;; [unrolled: 1-line block ×3, first 2 shown]
	v_add_f64 v[26:27], v[26:27], v[30:31]
	v_add_f64 v[30:31], v[32:33], v[44:45]
	v_fma_f64 v[28:29], v[4:5], v[38:39], v[28:29]
	v_fma_f64 v[38:39], v[2:3], v[38:39], -v[40:41]
	ds_load_b128 v[2:5], v1 offset:1776
	v_fma_f64 v[40:41], v[8:9], v[183:184], v[46:47]
	v_fma_f64 v[44:45], v[6:7], v[183:184], -v[48:49]
	ds_load_b128 v[6:9], v1 offset:1792
	s_waitcnt vmcnt(5) lgkmcnt(1)
	v_mul_f64 v[32:33], v[2:3], v[36:37]
	v_mul_f64 v[36:37], v[4:5], v[36:37]
	v_add_f64 v[28:29], v[30:31], v[28:29]
	v_add_f64 v[26:27], v[26:27], v[38:39]
	s_waitcnt vmcnt(4) lgkmcnt(0)
	v_mul_f64 v[30:31], v[6:7], v[181:182]
	v_mul_f64 v[38:39], v[8:9], v[181:182]
	v_fma_f64 v[32:33], v[4:5], v[34:35], v[32:33]
	v_fma_f64 v[34:35], v[2:3], v[34:35], -v[36:37]
	ds_load_b128 v[2:5], v1 offset:1808
	v_add_f64 v[28:29], v[28:29], v[40:41]
	v_add_f64 v[26:27], v[26:27], v[44:45]
	v_fma_f64 v[30:31], v[8:9], v[179:180], v[30:31]
	v_fma_f64 v[38:39], v[6:7], v[179:180], -v[38:39]
	ds_load_b128 v[6:9], v1 offset:1824
	s_waitcnt vmcnt(3) lgkmcnt(1)
	v_mul_f64 v[36:37], v[2:3], v[12:13]
	v_mul_f64 v[12:13], v[4:5], v[12:13]
	v_add_f64 v[28:29], v[28:29], v[32:33]
	v_add_f64 v[26:27], v[26:27], v[34:35]
	s_waitcnt vmcnt(2) lgkmcnt(0)
	v_mul_f64 v[32:33], v[6:7], v[16:17]
	v_mul_f64 v[16:17], v[8:9], v[16:17]
	v_fma_f64 v[34:35], v[4:5], v[10:11], v[36:37]
	v_fma_f64 v[10:11], v[2:3], v[10:11], -v[12:13]
	ds_load_b128 v[2:5], v1 offset:1840
	v_add_f64 v[12:13], v[26:27], v[38:39]
	v_add_f64 v[26:27], v[28:29], v[30:31]
	s_waitcnt vmcnt(1) lgkmcnt(0)
	v_mul_f64 v[28:29], v[2:3], v[20:21]
	v_mul_f64 v[20:21], v[4:5], v[20:21]
	v_fma_f64 v[8:9], v[8:9], v[14:15], v[32:33]
	v_fma_f64 v[6:7], v[6:7], v[14:15], -v[16:17]
	v_add_f64 v[10:11], v[12:13], v[10:11]
	v_add_f64 v[12:13], v[26:27], v[34:35]
	v_fma_f64 v[4:5], v[4:5], v[18:19], v[28:29]
	v_fma_f64 v[2:3], v[2:3], v[18:19], -v[20:21]
	s_delay_alu instid0(VALU_DEP_4) | instskip(NEXT) | instid1(VALU_DEP_4)
	v_add_f64 v[6:7], v[10:11], v[6:7]
	v_add_f64 v[8:9], v[12:13], v[8:9]
	s_delay_alu instid0(VALU_DEP_2) | instskip(NEXT) | instid1(VALU_DEP_2)
	v_add_f64 v[2:3], v[6:7], v[2:3]
	v_add_f64 v[4:5], v[8:9], v[4:5]
	s_waitcnt vmcnt(0)
	s_delay_alu instid0(VALU_DEP_2) | instskip(NEXT) | instid1(VALU_DEP_2)
	v_add_f64 v[2:3], v[22:23], -v[2:3]
	v_add_f64 v[4:5], v[24:25], -v[4:5]
	scratch_store_b128 off, v[2:5], off offset:672
	v_cmpx_lt_u32_e32 41, v158
	s_cbranch_execz .LBB57_279
; %bb.278:
	scratch_load_b128 v[5:8], v220, off
	v_mov_b32_e32 v2, v1
	v_mov_b32_e32 v3, v1
	;; [unrolled: 1-line block ×3, first 2 shown]
	scratch_store_b128 off, v[1:4], off offset:656
	s_waitcnt vmcnt(0)
	ds_store_b128 v216, v[5:8]
.LBB57_279:
	s_or_b32 exec_lo, exec_lo, s2
	s_waitcnt lgkmcnt(0)
	s_waitcnt_vscnt null, 0x0
	s_barrier
	buffer_gl0_inv
	s_clause 0x7
	scratch_load_b128 v[2:5], off, off offset:672
	scratch_load_b128 v[6:9], off, off offset:688
	scratch_load_b128 v[10:13], off, off offset:704
	scratch_load_b128 v[14:17], off, off offset:720
	scratch_load_b128 v[18:21], off, off offset:736
	scratch_load_b128 v[22:25], off, off offset:752
	scratch_load_b128 v[26:29], off, off offset:768
	scratch_load_b128 v[30:33], off, off offset:784
	ds_load_b128 v[34:37], v1 offset:1600
	ds_load_b128 v[179:182], v1 offset:1616
	s_clause 0x1
	scratch_load_b128 v[38:41], off, off offset:800
	scratch_load_b128 v[183:186], off, off offset:816
	s_mov_b32 s2, exec_lo
	s_waitcnt vmcnt(9) lgkmcnt(1)
	v_mul_f64 v[44:45], v[36:37], v[4:5]
	v_mul_f64 v[4:5], v[34:35], v[4:5]
	s_waitcnt vmcnt(8) lgkmcnt(0)
	v_mul_f64 v[46:47], v[179:180], v[8:9]
	v_mul_f64 v[8:9], v[181:182], v[8:9]
	s_delay_alu instid0(VALU_DEP_4) | instskip(NEXT) | instid1(VALU_DEP_4)
	v_fma_f64 v[44:45], v[34:35], v[2:3], -v[44:45]
	v_fma_f64 v[48:49], v[36:37], v[2:3], v[4:5]
	ds_load_b128 v[2:5], v1 offset:1632
	scratch_load_b128 v[34:37], off, off offset:832
	v_fma_f64 v[46:47], v[181:182], v[6:7], v[46:47]
	v_fma_f64 v[52:53], v[179:180], v[6:7], -v[8:9]
	ds_load_b128 v[6:9], v1 offset:1648
	scratch_load_b128 v[179:182], off, off offset:848
	s_waitcnt vmcnt(9) lgkmcnt(1)
	v_mul_f64 v[50:51], v[2:3], v[12:13]
	v_mul_f64 v[12:13], v[4:5], v[12:13]
	s_waitcnt vmcnt(8) lgkmcnt(0)
	v_mul_f64 v[54:55], v[6:7], v[16:17]
	v_mul_f64 v[16:17], v[8:9], v[16:17]
	v_add_f64 v[44:45], v[44:45], 0
	v_add_f64 v[48:49], v[48:49], 0
	v_fma_f64 v[50:51], v[4:5], v[10:11], v[50:51]
	v_fma_f64 v[56:57], v[2:3], v[10:11], -v[12:13]
	scratch_load_b128 v[10:13], off, off offset:864
	ds_load_b128 v[2:5], v1 offset:1664
	v_add_f64 v[44:45], v[44:45], v[52:53]
	v_add_f64 v[46:47], v[48:49], v[46:47]
	v_fma_f64 v[52:53], v[8:9], v[14:15], v[54:55]
	v_fma_f64 v[54:55], v[6:7], v[14:15], -v[16:17]
	ds_load_b128 v[6:9], v1 offset:1680
	scratch_load_b128 v[14:17], off, off offset:880
	s_waitcnt vmcnt(9) lgkmcnt(1)
	v_mul_f64 v[48:49], v[2:3], v[20:21]
	v_mul_f64 v[20:21], v[4:5], v[20:21]
	v_add_f64 v[44:45], v[44:45], v[56:57]
	v_add_f64 v[46:47], v[46:47], v[50:51]
	s_waitcnt vmcnt(8) lgkmcnt(0)
	v_mul_f64 v[50:51], v[6:7], v[24:25]
	v_mul_f64 v[24:25], v[8:9], v[24:25]
	v_fma_f64 v[48:49], v[4:5], v[18:19], v[48:49]
	v_fma_f64 v[56:57], v[2:3], v[18:19], -v[20:21]
	scratch_load_b128 v[18:21], off, off offset:896
	ds_load_b128 v[2:5], v1 offset:1696
	v_add_f64 v[44:45], v[44:45], v[54:55]
	v_add_f64 v[46:47], v[46:47], v[52:53]
	v_fma_f64 v[50:51], v[8:9], v[22:23], v[50:51]
	v_fma_f64 v[54:55], v[6:7], v[22:23], -v[24:25]
	ds_load_b128 v[6:9], v1 offset:1712
	s_waitcnt vmcnt(8) lgkmcnt(1)
	v_mul_f64 v[52:53], v[2:3], v[28:29]
	v_mul_f64 v[28:29], v[4:5], v[28:29]
	scratch_load_b128 v[22:25], off, off offset:912
	v_add_f64 v[44:45], v[44:45], v[56:57]
	v_add_f64 v[46:47], v[46:47], v[48:49]
	s_waitcnt vmcnt(8) lgkmcnt(0)
	v_mul_f64 v[48:49], v[6:7], v[32:33]
	v_mul_f64 v[32:33], v[8:9], v[32:33]
	v_fma_f64 v[52:53], v[4:5], v[26:27], v[52:53]
	v_fma_f64 v[26:27], v[2:3], v[26:27], -v[28:29]
	ds_load_b128 v[2:5], v1 offset:1728
	v_add_f64 v[28:29], v[44:45], v[54:55]
	v_add_f64 v[44:45], v[46:47], v[50:51]
	v_fma_f64 v[48:49], v[8:9], v[30:31], v[48:49]
	v_fma_f64 v[30:31], v[6:7], v[30:31], -v[32:33]
	ds_load_b128 v[6:9], v1 offset:1744
	s_waitcnt vmcnt(7) lgkmcnt(1)
	v_mul_f64 v[46:47], v[2:3], v[40:41]
	v_mul_f64 v[40:41], v[4:5], v[40:41]
	v_add_f64 v[26:27], v[28:29], v[26:27]
	v_add_f64 v[28:29], v[44:45], v[52:53]
	s_delay_alu instid0(VALU_DEP_4) | instskip(NEXT) | instid1(VALU_DEP_4)
	v_fma_f64 v[46:47], v[4:5], v[38:39], v[46:47]
	v_fma_f64 v[38:39], v[2:3], v[38:39], -v[40:41]
	ds_load_b128 v[2:5], v1 offset:1760
	v_add_f64 v[30:31], v[26:27], v[30:31]
	v_add_f64 v[40:41], v[28:29], v[48:49]
	scratch_load_b128 v[26:29], off, off offset:656
	s_waitcnt vmcnt(7) lgkmcnt(1)
	v_mul_f64 v[32:33], v[6:7], v[185:186]
	v_mul_f64 v[44:45], v[8:9], v[185:186]
	v_add_f64 v[30:31], v[30:31], v[38:39]
	v_add_f64 v[38:39], v[40:41], v[46:47]
	s_delay_alu instid0(VALU_DEP_4) | instskip(NEXT) | instid1(VALU_DEP_4)
	v_fma_f64 v[32:33], v[8:9], v[183:184], v[32:33]
	v_fma_f64 v[44:45], v[6:7], v[183:184], -v[44:45]
	ds_load_b128 v[6:9], v1 offset:1776
	s_waitcnt vmcnt(6) lgkmcnt(1)
	v_mul_f64 v[48:49], v[2:3], v[36:37]
	v_mul_f64 v[36:37], v[4:5], v[36:37]
	s_waitcnt vmcnt(5) lgkmcnt(0)
	v_mul_f64 v[40:41], v[6:7], v[181:182]
	v_mul_f64 v[46:47], v[8:9], v[181:182]
	v_add_f64 v[32:33], v[38:39], v[32:33]
	v_add_f64 v[30:31], v[30:31], v[44:45]
	v_fma_f64 v[48:49], v[4:5], v[34:35], v[48:49]
	v_fma_f64 v[34:35], v[2:3], v[34:35], -v[36:37]
	ds_load_b128 v[2:5], v1 offset:1792
	v_fma_f64 v[38:39], v[8:9], v[179:180], v[40:41]
	v_fma_f64 v[40:41], v[6:7], v[179:180], -v[46:47]
	ds_load_b128 v[6:9], v1 offset:1808
	s_waitcnt vmcnt(4) lgkmcnt(1)
	v_mul_f64 v[36:37], v[2:3], v[12:13]
	v_mul_f64 v[12:13], v[4:5], v[12:13]
	v_add_f64 v[32:33], v[32:33], v[48:49]
	v_add_f64 v[30:31], v[30:31], v[34:35]
	s_waitcnt vmcnt(3) lgkmcnt(0)
	v_mul_f64 v[34:35], v[6:7], v[16:17]
	v_mul_f64 v[16:17], v[8:9], v[16:17]
	v_fma_f64 v[36:37], v[4:5], v[10:11], v[36:37]
	v_fma_f64 v[10:11], v[2:3], v[10:11], -v[12:13]
	ds_load_b128 v[2:5], v1 offset:1824
	v_add_f64 v[12:13], v[30:31], v[40:41]
	v_add_f64 v[30:31], v[32:33], v[38:39]
	v_fma_f64 v[34:35], v[8:9], v[14:15], v[34:35]
	v_fma_f64 v[14:15], v[6:7], v[14:15], -v[16:17]
	ds_load_b128 v[6:9], v1 offset:1840
	s_waitcnt vmcnt(2) lgkmcnt(1)
	v_mul_f64 v[32:33], v[2:3], v[20:21]
	v_mul_f64 v[20:21], v[4:5], v[20:21]
	s_waitcnt vmcnt(1) lgkmcnt(0)
	v_mul_f64 v[16:17], v[6:7], v[24:25]
	v_mul_f64 v[24:25], v[8:9], v[24:25]
	v_add_f64 v[10:11], v[12:13], v[10:11]
	v_add_f64 v[12:13], v[30:31], v[36:37]
	v_fma_f64 v[4:5], v[4:5], v[18:19], v[32:33]
	v_fma_f64 v[1:2], v[2:3], v[18:19], -v[20:21]
	v_fma_f64 v[8:9], v[8:9], v[22:23], v[16:17]
	v_fma_f64 v[6:7], v[6:7], v[22:23], -v[24:25]
	v_add_f64 v[10:11], v[10:11], v[14:15]
	v_add_f64 v[12:13], v[12:13], v[34:35]
	s_delay_alu instid0(VALU_DEP_2) | instskip(NEXT) | instid1(VALU_DEP_2)
	v_add_f64 v[1:2], v[10:11], v[1:2]
	v_add_f64 v[3:4], v[12:13], v[4:5]
	s_delay_alu instid0(VALU_DEP_2) | instskip(NEXT) | instid1(VALU_DEP_2)
	v_add_f64 v[1:2], v[1:2], v[6:7]
	v_add_f64 v[3:4], v[3:4], v[8:9]
	s_waitcnt vmcnt(0)
	s_delay_alu instid0(VALU_DEP_2) | instskip(NEXT) | instid1(VALU_DEP_2)
	v_add_f64 v[1:2], v[26:27], -v[1:2]
	v_add_f64 v[3:4], v[28:29], -v[3:4]
	scratch_store_b128 off, v[1:4], off offset:656
	v_cmpx_lt_u32_e32 40, v158
	s_cbranch_execz .LBB57_281
; %bb.280:
	scratch_load_b128 v[1:4], v221, off
	v_mov_b32_e32 v5, 0
	s_delay_alu instid0(VALU_DEP_1)
	v_mov_b32_e32 v6, v5
	v_mov_b32_e32 v7, v5
	v_mov_b32_e32 v8, v5
	scratch_store_b128 off, v[5:8], off offset:640
	s_waitcnt vmcnt(0)
	ds_store_b128 v216, v[1:4]
.LBB57_281:
	s_or_b32 exec_lo, exec_lo, s2
	s_waitcnt lgkmcnt(0)
	s_waitcnt_vscnt null, 0x0
	s_barrier
	buffer_gl0_inv
	s_clause 0x7
	scratch_load_b128 v[2:5], off, off offset:656
	scratch_load_b128 v[6:9], off, off offset:672
	;; [unrolled: 1-line block ×8, first 2 shown]
	v_mov_b32_e32 v1, 0
	s_clause 0x1
	scratch_load_b128 v[38:41], off, off offset:784
	scratch_load_b128 v[183:186], off, off offset:800
	s_mov_b32 s2, exec_lo
	ds_load_b128 v[34:37], v1 offset:1584
	ds_load_b128 v[179:182], v1 offset:1600
	s_waitcnt vmcnt(9) lgkmcnt(1)
	v_mul_f64 v[44:45], v[36:37], v[4:5]
	v_mul_f64 v[4:5], v[34:35], v[4:5]
	s_waitcnt vmcnt(8) lgkmcnt(0)
	v_mul_f64 v[46:47], v[179:180], v[8:9]
	v_mul_f64 v[8:9], v[181:182], v[8:9]
	s_delay_alu instid0(VALU_DEP_4) | instskip(NEXT) | instid1(VALU_DEP_4)
	v_fma_f64 v[44:45], v[34:35], v[2:3], -v[44:45]
	v_fma_f64 v[48:49], v[36:37], v[2:3], v[4:5]
	ds_load_b128 v[2:5], v1 offset:1616
	v_fma_f64 v[46:47], v[181:182], v[6:7], v[46:47]
	v_fma_f64 v[52:53], v[179:180], v[6:7], -v[8:9]
	ds_load_b128 v[6:9], v1 offset:1632
	s_clause 0x1
	scratch_load_b128 v[34:37], off, off offset:816
	scratch_load_b128 v[179:182], off, off offset:832
	s_waitcnt vmcnt(9) lgkmcnt(1)
	v_mul_f64 v[50:51], v[2:3], v[12:13]
	v_mul_f64 v[12:13], v[4:5], v[12:13]
	s_waitcnt vmcnt(8) lgkmcnt(0)
	v_mul_f64 v[54:55], v[6:7], v[16:17]
	v_mul_f64 v[16:17], v[8:9], v[16:17]
	v_add_f64 v[44:45], v[44:45], 0
	v_add_f64 v[48:49], v[48:49], 0
	v_fma_f64 v[50:51], v[4:5], v[10:11], v[50:51]
	v_fma_f64 v[56:57], v[2:3], v[10:11], -v[12:13]
	scratch_load_b128 v[10:13], off, off offset:848
	ds_load_b128 v[2:5], v1 offset:1648
	v_add_f64 v[44:45], v[44:45], v[52:53]
	v_add_f64 v[46:47], v[48:49], v[46:47]
	v_fma_f64 v[52:53], v[8:9], v[14:15], v[54:55]
	v_fma_f64 v[54:55], v[6:7], v[14:15], -v[16:17]
	ds_load_b128 v[6:9], v1 offset:1664
	scratch_load_b128 v[14:17], off, off offset:864
	s_waitcnt vmcnt(9) lgkmcnt(1)
	v_mul_f64 v[48:49], v[2:3], v[20:21]
	v_mul_f64 v[20:21], v[4:5], v[20:21]
	v_add_f64 v[44:45], v[44:45], v[56:57]
	v_add_f64 v[46:47], v[46:47], v[50:51]
	s_waitcnt vmcnt(8) lgkmcnt(0)
	v_mul_f64 v[50:51], v[6:7], v[24:25]
	v_mul_f64 v[24:25], v[8:9], v[24:25]
	v_fma_f64 v[48:49], v[4:5], v[18:19], v[48:49]
	v_fma_f64 v[56:57], v[2:3], v[18:19], -v[20:21]
	scratch_load_b128 v[18:21], off, off offset:880
	ds_load_b128 v[2:5], v1 offset:1680
	v_add_f64 v[44:45], v[44:45], v[54:55]
	v_add_f64 v[46:47], v[46:47], v[52:53]
	v_fma_f64 v[50:51], v[8:9], v[22:23], v[50:51]
	v_fma_f64 v[54:55], v[6:7], v[22:23], -v[24:25]
	ds_load_b128 v[6:9], v1 offset:1696
	s_waitcnt vmcnt(8) lgkmcnt(1)
	v_mul_f64 v[52:53], v[2:3], v[28:29]
	v_mul_f64 v[28:29], v[4:5], v[28:29]
	scratch_load_b128 v[22:25], off, off offset:896
	v_add_f64 v[44:45], v[44:45], v[56:57]
	v_add_f64 v[46:47], v[46:47], v[48:49]
	s_waitcnt vmcnt(8) lgkmcnt(0)
	v_mul_f64 v[48:49], v[6:7], v[32:33]
	v_mul_f64 v[32:33], v[8:9], v[32:33]
	v_fma_f64 v[52:53], v[4:5], v[26:27], v[52:53]
	v_fma_f64 v[56:57], v[2:3], v[26:27], -v[28:29]
	scratch_load_b128 v[26:29], off, off offset:912
	ds_load_b128 v[2:5], v1 offset:1712
	v_add_f64 v[44:45], v[44:45], v[54:55]
	v_add_f64 v[46:47], v[46:47], v[50:51]
	v_fma_f64 v[48:49], v[8:9], v[30:31], v[48:49]
	v_fma_f64 v[30:31], v[6:7], v[30:31], -v[32:33]
	ds_load_b128 v[6:9], v1 offset:1728
	s_waitcnt vmcnt(8) lgkmcnt(1)
	v_mul_f64 v[50:51], v[2:3], v[40:41]
	v_mul_f64 v[40:41], v[4:5], v[40:41]
	v_add_f64 v[32:33], v[44:45], v[56:57]
	v_add_f64 v[44:45], v[46:47], v[52:53]
	s_delay_alu instid0(VALU_DEP_4) | instskip(NEXT) | instid1(VALU_DEP_4)
	v_fma_f64 v[50:51], v[4:5], v[38:39], v[50:51]
	v_fma_f64 v[38:39], v[2:3], v[38:39], -v[40:41]
	ds_load_b128 v[2:5], v1 offset:1744
	v_add_f64 v[30:31], v[32:33], v[30:31]
	v_add_f64 v[32:33], v[44:45], v[48:49]
	s_delay_alu instid0(VALU_DEP_2) | instskip(NEXT) | instid1(VALU_DEP_2)
	v_add_f64 v[38:39], v[30:31], v[38:39]
	v_add_f64 v[48:49], v[32:33], v[50:51]
	scratch_load_b128 v[30:33], off, off offset:640
	s_waitcnt vmcnt(8) lgkmcnt(1)
	v_mul_f64 v[46:47], v[6:7], v[185:186]
	v_mul_f64 v[52:53], v[8:9], v[185:186]
	s_delay_alu instid0(VALU_DEP_2) | instskip(NEXT) | instid1(VALU_DEP_2)
	v_fma_f64 v[44:45], v[8:9], v[183:184], v[46:47]
	v_fma_f64 v[46:47], v[6:7], v[183:184], -v[52:53]
	ds_load_b128 v[6:9], v1 offset:1760
	s_waitcnt vmcnt(7) lgkmcnt(1)
	v_mul_f64 v[40:41], v[2:3], v[36:37]
	v_mul_f64 v[36:37], v[4:5], v[36:37]
	s_waitcnt vmcnt(6) lgkmcnt(0)
	v_mul_f64 v[50:51], v[6:7], v[181:182]
	v_mul_f64 v[52:53], v[8:9], v[181:182]
	s_delay_alu instid0(VALU_DEP_4) | instskip(NEXT) | instid1(VALU_DEP_4)
	v_fma_f64 v[40:41], v[4:5], v[34:35], v[40:41]
	v_fma_f64 v[34:35], v[2:3], v[34:35], -v[36:37]
	v_add_f64 v[36:37], v[38:39], v[46:47]
	v_add_f64 v[38:39], v[48:49], v[44:45]
	ds_load_b128 v[2:5], v1 offset:1776
	v_fma_f64 v[46:47], v[8:9], v[179:180], v[50:51]
	v_fma_f64 v[48:49], v[6:7], v[179:180], -v[52:53]
	ds_load_b128 v[6:9], v1 offset:1792
	s_waitcnt vmcnt(5) lgkmcnt(1)
	v_mul_f64 v[44:45], v[2:3], v[12:13]
	v_mul_f64 v[12:13], v[4:5], v[12:13]
	v_add_f64 v[34:35], v[36:37], v[34:35]
	v_add_f64 v[36:37], v[38:39], v[40:41]
	s_waitcnt vmcnt(4) lgkmcnt(0)
	v_mul_f64 v[38:39], v[6:7], v[16:17]
	v_mul_f64 v[16:17], v[8:9], v[16:17]
	v_fma_f64 v[40:41], v[4:5], v[10:11], v[44:45]
	v_fma_f64 v[10:11], v[2:3], v[10:11], -v[12:13]
	ds_load_b128 v[2:5], v1 offset:1808
	v_add_f64 v[12:13], v[34:35], v[48:49]
	v_add_f64 v[34:35], v[36:37], v[46:47]
	v_fma_f64 v[38:39], v[8:9], v[14:15], v[38:39]
	v_fma_f64 v[14:15], v[6:7], v[14:15], -v[16:17]
	ds_load_b128 v[6:9], v1 offset:1824
	s_waitcnt vmcnt(3) lgkmcnt(1)
	v_mul_f64 v[36:37], v[2:3], v[20:21]
	v_mul_f64 v[20:21], v[4:5], v[20:21]
	s_waitcnt vmcnt(2) lgkmcnt(0)
	v_mul_f64 v[16:17], v[6:7], v[24:25]
	v_mul_f64 v[24:25], v[8:9], v[24:25]
	v_add_f64 v[10:11], v[12:13], v[10:11]
	v_add_f64 v[12:13], v[34:35], v[40:41]
	v_fma_f64 v[34:35], v[4:5], v[18:19], v[36:37]
	v_fma_f64 v[18:19], v[2:3], v[18:19], -v[20:21]
	ds_load_b128 v[2:5], v1 offset:1840
	v_fma_f64 v[8:9], v[8:9], v[22:23], v[16:17]
	v_fma_f64 v[6:7], v[6:7], v[22:23], -v[24:25]
	s_waitcnt vmcnt(1) lgkmcnt(0)
	v_mul_f64 v[20:21], v[4:5], v[28:29]
	v_add_f64 v[10:11], v[10:11], v[14:15]
	v_add_f64 v[12:13], v[12:13], v[38:39]
	v_mul_f64 v[14:15], v[2:3], v[28:29]
	s_delay_alu instid0(VALU_DEP_4) | instskip(NEXT) | instid1(VALU_DEP_4)
	v_fma_f64 v[2:3], v[2:3], v[26:27], -v[20:21]
	v_add_f64 v[10:11], v[10:11], v[18:19]
	s_delay_alu instid0(VALU_DEP_4) | instskip(NEXT) | instid1(VALU_DEP_4)
	v_add_f64 v[12:13], v[12:13], v[34:35]
	v_fma_f64 v[4:5], v[4:5], v[26:27], v[14:15]
	s_delay_alu instid0(VALU_DEP_3) | instskip(NEXT) | instid1(VALU_DEP_3)
	v_add_f64 v[6:7], v[10:11], v[6:7]
	v_add_f64 v[8:9], v[12:13], v[8:9]
	s_delay_alu instid0(VALU_DEP_2) | instskip(NEXT) | instid1(VALU_DEP_2)
	v_add_f64 v[2:3], v[6:7], v[2:3]
	v_add_f64 v[4:5], v[8:9], v[4:5]
	s_waitcnt vmcnt(0)
	s_delay_alu instid0(VALU_DEP_2) | instskip(NEXT) | instid1(VALU_DEP_2)
	v_add_f64 v[2:3], v[30:31], -v[2:3]
	v_add_f64 v[4:5], v[32:33], -v[4:5]
	scratch_store_b128 off, v[2:5], off offset:640
	v_cmpx_lt_u32_e32 39, v158
	s_cbranch_execz .LBB57_283
; %bb.282:
	scratch_load_b128 v[5:8], v222, off
	v_mov_b32_e32 v2, v1
	v_mov_b32_e32 v3, v1
	;; [unrolled: 1-line block ×3, first 2 shown]
	scratch_store_b128 off, v[1:4], off offset:624
	s_waitcnt vmcnt(0)
	ds_store_b128 v216, v[5:8]
.LBB57_283:
	s_or_b32 exec_lo, exec_lo, s2
	s_waitcnt lgkmcnt(0)
	s_waitcnt_vscnt null, 0x0
	s_barrier
	buffer_gl0_inv
	s_clause 0x7
	scratch_load_b128 v[2:5], off, off offset:640
	scratch_load_b128 v[6:9], off, off offset:656
	;; [unrolled: 1-line block ×8, first 2 shown]
	ds_load_b128 v[34:37], v1 offset:1568
	ds_load_b128 v[179:182], v1 offset:1584
	s_clause 0x1
	scratch_load_b128 v[38:41], off, off offset:768
	scratch_load_b128 v[183:186], off, off offset:784
	s_mov_b32 s2, exec_lo
	s_waitcnt vmcnt(9) lgkmcnt(1)
	v_mul_f64 v[44:45], v[36:37], v[4:5]
	v_mul_f64 v[4:5], v[34:35], v[4:5]
	s_waitcnt vmcnt(8) lgkmcnt(0)
	v_mul_f64 v[46:47], v[179:180], v[8:9]
	v_mul_f64 v[8:9], v[181:182], v[8:9]
	s_delay_alu instid0(VALU_DEP_4) | instskip(NEXT) | instid1(VALU_DEP_4)
	v_fma_f64 v[44:45], v[34:35], v[2:3], -v[44:45]
	v_fma_f64 v[48:49], v[36:37], v[2:3], v[4:5]
	scratch_load_b128 v[34:37], off, off offset:800
	ds_load_b128 v[2:5], v1 offset:1600
	v_fma_f64 v[46:47], v[181:182], v[6:7], v[46:47]
	v_fma_f64 v[52:53], v[179:180], v[6:7], -v[8:9]
	ds_load_b128 v[6:9], v1 offset:1616
	scratch_load_b128 v[179:182], off, off offset:816
	s_waitcnt vmcnt(9) lgkmcnt(1)
	v_mul_f64 v[50:51], v[2:3], v[12:13]
	v_mul_f64 v[12:13], v[4:5], v[12:13]
	s_waitcnt vmcnt(8) lgkmcnt(0)
	v_mul_f64 v[54:55], v[6:7], v[16:17]
	v_mul_f64 v[16:17], v[8:9], v[16:17]
	v_add_f64 v[44:45], v[44:45], 0
	v_add_f64 v[48:49], v[48:49], 0
	v_fma_f64 v[50:51], v[4:5], v[10:11], v[50:51]
	v_fma_f64 v[56:57], v[2:3], v[10:11], -v[12:13]
	scratch_load_b128 v[10:13], off, off offset:832
	ds_load_b128 v[2:5], v1 offset:1632
	v_add_f64 v[44:45], v[44:45], v[52:53]
	v_add_f64 v[46:47], v[48:49], v[46:47]
	v_fma_f64 v[52:53], v[8:9], v[14:15], v[54:55]
	v_fma_f64 v[54:55], v[6:7], v[14:15], -v[16:17]
	ds_load_b128 v[6:9], v1 offset:1648
	scratch_load_b128 v[14:17], off, off offset:848
	s_waitcnt vmcnt(9) lgkmcnt(1)
	v_mul_f64 v[48:49], v[2:3], v[20:21]
	v_mul_f64 v[20:21], v[4:5], v[20:21]
	v_add_f64 v[44:45], v[44:45], v[56:57]
	v_add_f64 v[46:47], v[46:47], v[50:51]
	s_waitcnt vmcnt(8) lgkmcnt(0)
	v_mul_f64 v[50:51], v[6:7], v[24:25]
	v_mul_f64 v[24:25], v[8:9], v[24:25]
	v_fma_f64 v[48:49], v[4:5], v[18:19], v[48:49]
	v_fma_f64 v[56:57], v[2:3], v[18:19], -v[20:21]
	scratch_load_b128 v[18:21], off, off offset:864
	ds_load_b128 v[2:5], v1 offset:1664
	v_add_f64 v[44:45], v[44:45], v[54:55]
	v_add_f64 v[46:47], v[46:47], v[52:53]
	v_fma_f64 v[50:51], v[8:9], v[22:23], v[50:51]
	v_fma_f64 v[54:55], v[6:7], v[22:23], -v[24:25]
	ds_load_b128 v[6:9], v1 offset:1680
	s_waitcnt vmcnt(8) lgkmcnt(1)
	v_mul_f64 v[52:53], v[2:3], v[28:29]
	v_mul_f64 v[28:29], v[4:5], v[28:29]
	scratch_load_b128 v[22:25], off, off offset:880
	v_add_f64 v[44:45], v[44:45], v[56:57]
	v_add_f64 v[46:47], v[46:47], v[48:49]
	s_waitcnt vmcnt(8) lgkmcnt(0)
	v_mul_f64 v[48:49], v[6:7], v[32:33]
	v_mul_f64 v[32:33], v[8:9], v[32:33]
	v_fma_f64 v[52:53], v[4:5], v[26:27], v[52:53]
	v_fma_f64 v[56:57], v[2:3], v[26:27], -v[28:29]
	scratch_load_b128 v[26:29], off, off offset:896
	ds_load_b128 v[2:5], v1 offset:1696
	v_add_f64 v[44:45], v[44:45], v[54:55]
	v_add_f64 v[46:47], v[46:47], v[50:51]
	v_fma_f64 v[48:49], v[8:9], v[30:31], v[48:49]
	v_fma_f64 v[54:55], v[6:7], v[30:31], -v[32:33]
	ds_load_b128 v[6:9], v1 offset:1712
	s_waitcnt vmcnt(8) lgkmcnt(1)
	v_mul_f64 v[50:51], v[2:3], v[40:41]
	v_mul_f64 v[40:41], v[4:5], v[40:41]
	scratch_load_b128 v[30:33], off, off offset:912
	v_add_f64 v[44:45], v[44:45], v[56:57]
	v_add_f64 v[46:47], v[46:47], v[52:53]
	v_fma_f64 v[50:51], v[4:5], v[38:39], v[50:51]
	v_fma_f64 v[38:39], v[2:3], v[38:39], -v[40:41]
	ds_load_b128 v[2:5], v1 offset:1728
	v_add_f64 v[40:41], v[44:45], v[54:55]
	v_add_f64 v[44:45], v[46:47], v[48:49]
	s_waitcnt vmcnt(7) lgkmcnt(0)
	v_mul_f64 v[46:47], v[2:3], v[36:37]
	v_mul_f64 v[36:37], v[4:5], v[36:37]
	s_delay_alu instid0(VALU_DEP_4) | instskip(NEXT) | instid1(VALU_DEP_4)
	v_add_f64 v[38:39], v[40:41], v[38:39]
	v_add_f64 v[40:41], v[44:45], v[50:51]
	s_delay_alu instid0(VALU_DEP_4) | instskip(NEXT) | instid1(VALU_DEP_4)
	v_fma_f64 v[46:47], v[4:5], v[34:35], v[46:47]
	v_fma_f64 v[54:55], v[2:3], v[34:35], -v[36:37]
	scratch_load_b128 v[34:37], off, off offset:624
	v_mul_f64 v[52:53], v[6:7], v[185:186]
	v_mul_f64 v[56:57], v[8:9], v[185:186]
	ds_load_b128 v[2:5], v1 offset:1760
	v_fma_f64 v[48:49], v[8:9], v[183:184], v[52:53]
	v_fma_f64 v[52:53], v[6:7], v[183:184], -v[56:57]
	ds_load_b128 v[6:9], v1 offset:1744
	s_waitcnt vmcnt(7) lgkmcnt(0)
	v_mul_f64 v[44:45], v[6:7], v[181:182]
	v_mul_f64 v[50:51], v[8:9], v[181:182]
	v_add_f64 v[40:41], v[40:41], v[48:49]
	v_add_f64 v[38:39], v[38:39], v[52:53]
	s_waitcnt vmcnt(6)
	v_mul_f64 v[48:49], v[2:3], v[12:13]
	v_mul_f64 v[12:13], v[4:5], v[12:13]
	v_fma_f64 v[44:45], v[8:9], v[179:180], v[44:45]
	v_fma_f64 v[50:51], v[6:7], v[179:180], -v[50:51]
	ds_load_b128 v[6:9], v1 offset:1776
	v_add_f64 v[40:41], v[40:41], v[46:47]
	v_add_f64 v[38:39], v[38:39], v[54:55]
	v_fma_f64 v[48:49], v[4:5], v[10:11], v[48:49]
	v_fma_f64 v[10:11], v[2:3], v[10:11], -v[12:13]
	ds_load_b128 v[2:5], v1 offset:1792
	s_waitcnt vmcnt(5) lgkmcnt(1)
	v_mul_f64 v[46:47], v[6:7], v[16:17]
	v_mul_f64 v[16:17], v[8:9], v[16:17]
	v_add_f64 v[12:13], v[38:39], v[50:51]
	v_add_f64 v[38:39], v[40:41], v[44:45]
	s_waitcnt vmcnt(4) lgkmcnt(0)
	v_mul_f64 v[40:41], v[2:3], v[20:21]
	v_mul_f64 v[20:21], v[4:5], v[20:21]
	v_fma_f64 v[44:45], v[8:9], v[14:15], v[46:47]
	v_fma_f64 v[14:15], v[6:7], v[14:15], -v[16:17]
	ds_load_b128 v[6:9], v1 offset:1808
	v_add_f64 v[10:11], v[12:13], v[10:11]
	v_add_f64 v[12:13], v[38:39], v[48:49]
	v_fma_f64 v[38:39], v[4:5], v[18:19], v[40:41]
	v_fma_f64 v[18:19], v[2:3], v[18:19], -v[20:21]
	ds_load_b128 v[2:5], v1 offset:1824
	s_waitcnt vmcnt(3) lgkmcnt(1)
	v_mul_f64 v[16:17], v[6:7], v[24:25]
	v_mul_f64 v[24:25], v[8:9], v[24:25]
	s_waitcnt vmcnt(2) lgkmcnt(0)
	v_mul_f64 v[20:21], v[4:5], v[28:29]
	v_add_f64 v[10:11], v[10:11], v[14:15]
	v_add_f64 v[12:13], v[12:13], v[44:45]
	v_mul_f64 v[14:15], v[2:3], v[28:29]
	v_fma_f64 v[16:17], v[8:9], v[22:23], v[16:17]
	v_fma_f64 v[22:23], v[6:7], v[22:23], -v[24:25]
	ds_load_b128 v[6:9], v1 offset:1840
	v_fma_f64 v[1:2], v[2:3], v[26:27], -v[20:21]
	s_waitcnt vmcnt(1) lgkmcnt(0)
	v_mul_f64 v[24:25], v[8:9], v[32:33]
	v_add_f64 v[10:11], v[10:11], v[18:19]
	v_add_f64 v[12:13], v[12:13], v[38:39]
	v_mul_f64 v[18:19], v[6:7], v[32:33]
	v_fma_f64 v[4:5], v[4:5], v[26:27], v[14:15]
	v_fma_f64 v[6:7], v[6:7], v[30:31], -v[24:25]
	v_add_f64 v[10:11], v[10:11], v[22:23]
	v_add_f64 v[12:13], v[12:13], v[16:17]
	v_fma_f64 v[8:9], v[8:9], v[30:31], v[18:19]
	s_delay_alu instid0(VALU_DEP_3) | instskip(NEXT) | instid1(VALU_DEP_3)
	v_add_f64 v[1:2], v[10:11], v[1:2]
	v_add_f64 v[3:4], v[12:13], v[4:5]
	s_delay_alu instid0(VALU_DEP_2) | instskip(NEXT) | instid1(VALU_DEP_2)
	v_add_f64 v[1:2], v[1:2], v[6:7]
	v_add_f64 v[3:4], v[3:4], v[8:9]
	s_waitcnt vmcnt(0)
	s_delay_alu instid0(VALU_DEP_2) | instskip(NEXT) | instid1(VALU_DEP_2)
	v_add_f64 v[1:2], v[34:35], -v[1:2]
	v_add_f64 v[3:4], v[36:37], -v[3:4]
	scratch_store_b128 off, v[1:4], off offset:624
	v_cmpx_lt_u32_e32 38, v158
	s_cbranch_execz .LBB57_285
; %bb.284:
	scratch_load_b32 v1, off, off offset:928 ; 4-byte Folded Reload
	v_mov_b32_e32 v5, 0
	s_delay_alu instid0(VALU_DEP_1)
	v_mov_b32_e32 v6, v5
	v_mov_b32_e32 v7, v5
	;; [unrolled: 1-line block ×3, first 2 shown]
	s_waitcnt vmcnt(0)
	scratch_load_b128 v[1:4], v1, off
	scratch_store_b128 off, v[5:8], off offset:608
	s_waitcnt vmcnt(0)
	ds_store_b128 v216, v[1:4]
.LBB57_285:
	s_or_b32 exec_lo, exec_lo, s2
	s_waitcnt lgkmcnt(0)
	s_waitcnt_vscnt null, 0x0
	s_barrier
	buffer_gl0_inv
	s_clause 0x7
	scratch_load_b128 v[2:5], off, off offset:624
	scratch_load_b128 v[6:9], off, off offset:640
	;; [unrolled: 1-line block ×8, first 2 shown]
	v_mov_b32_e32 v1, 0
	s_clause 0x1
	scratch_load_b128 v[38:41], off, off offset:752
	scratch_load_b128 v[183:186], off, off offset:768
	s_mov_b32 s2, exec_lo
	ds_load_b128 v[34:37], v1 offset:1552
	ds_load_b128 v[179:182], v1 offset:1568
	s_waitcnt vmcnt(9) lgkmcnt(1)
	v_mul_f64 v[44:45], v[36:37], v[4:5]
	v_mul_f64 v[4:5], v[34:35], v[4:5]
	s_waitcnt vmcnt(8) lgkmcnt(0)
	v_mul_f64 v[46:47], v[179:180], v[8:9]
	v_mul_f64 v[8:9], v[181:182], v[8:9]
	s_delay_alu instid0(VALU_DEP_4) | instskip(NEXT) | instid1(VALU_DEP_4)
	v_fma_f64 v[44:45], v[34:35], v[2:3], -v[44:45]
	v_fma_f64 v[48:49], v[36:37], v[2:3], v[4:5]
	ds_load_b128 v[2:5], v1 offset:1584
	scratch_load_b128 v[34:37], off, off offset:784
	v_fma_f64 v[46:47], v[181:182], v[6:7], v[46:47]
	v_fma_f64 v[52:53], v[179:180], v[6:7], -v[8:9]
	ds_load_b128 v[6:9], v1 offset:1600
	scratch_load_b128 v[179:182], off, off offset:800
	s_waitcnt vmcnt(9) lgkmcnt(1)
	v_mul_f64 v[50:51], v[2:3], v[12:13]
	v_mul_f64 v[12:13], v[4:5], v[12:13]
	s_waitcnt vmcnt(8) lgkmcnt(0)
	v_mul_f64 v[54:55], v[6:7], v[16:17]
	v_mul_f64 v[16:17], v[8:9], v[16:17]
	v_add_f64 v[44:45], v[44:45], 0
	v_add_f64 v[48:49], v[48:49], 0
	v_fma_f64 v[50:51], v[4:5], v[10:11], v[50:51]
	v_fma_f64 v[56:57], v[2:3], v[10:11], -v[12:13]
	ds_load_b128 v[2:5], v1 offset:1616
	scratch_load_b128 v[10:13], off, off offset:816
	v_add_f64 v[44:45], v[44:45], v[52:53]
	v_add_f64 v[46:47], v[48:49], v[46:47]
	v_fma_f64 v[52:53], v[8:9], v[14:15], v[54:55]
	v_fma_f64 v[54:55], v[6:7], v[14:15], -v[16:17]
	ds_load_b128 v[6:9], v1 offset:1632
	scratch_load_b128 v[14:17], off, off offset:832
	s_waitcnt vmcnt(9) lgkmcnt(1)
	v_mul_f64 v[48:49], v[2:3], v[20:21]
	v_mul_f64 v[20:21], v[4:5], v[20:21]
	v_add_f64 v[44:45], v[44:45], v[56:57]
	v_add_f64 v[46:47], v[46:47], v[50:51]
	s_waitcnt vmcnt(8) lgkmcnt(0)
	v_mul_f64 v[50:51], v[6:7], v[24:25]
	v_mul_f64 v[24:25], v[8:9], v[24:25]
	v_fma_f64 v[48:49], v[4:5], v[18:19], v[48:49]
	v_fma_f64 v[56:57], v[2:3], v[18:19], -v[20:21]
	scratch_load_b128 v[18:21], off, off offset:848
	ds_load_b128 v[2:5], v1 offset:1648
	v_add_f64 v[44:45], v[44:45], v[54:55]
	v_add_f64 v[46:47], v[46:47], v[52:53]
	v_fma_f64 v[50:51], v[8:9], v[22:23], v[50:51]
	v_fma_f64 v[54:55], v[6:7], v[22:23], -v[24:25]
	ds_load_b128 v[6:9], v1 offset:1664
	s_waitcnt vmcnt(8) lgkmcnt(1)
	v_mul_f64 v[52:53], v[2:3], v[28:29]
	v_mul_f64 v[28:29], v[4:5], v[28:29]
	scratch_load_b128 v[22:25], off, off offset:864
	v_add_f64 v[44:45], v[44:45], v[56:57]
	v_add_f64 v[46:47], v[46:47], v[48:49]
	s_waitcnt vmcnt(8) lgkmcnt(0)
	v_mul_f64 v[48:49], v[6:7], v[32:33]
	v_mul_f64 v[32:33], v[8:9], v[32:33]
	v_fma_f64 v[52:53], v[4:5], v[26:27], v[52:53]
	v_fma_f64 v[56:57], v[2:3], v[26:27], -v[28:29]
	scratch_load_b128 v[26:29], off, off offset:880
	ds_load_b128 v[2:5], v1 offset:1680
	v_add_f64 v[44:45], v[44:45], v[54:55]
	v_add_f64 v[46:47], v[46:47], v[50:51]
	v_fma_f64 v[48:49], v[8:9], v[30:31], v[48:49]
	v_fma_f64 v[54:55], v[6:7], v[30:31], -v[32:33]
	ds_load_b128 v[6:9], v1 offset:1696
	s_waitcnt vmcnt(8) lgkmcnt(1)
	v_mul_f64 v[50:51], v[2:3], v[40:41]
	v_mul_f64 v[40:41], v[4:5], v[40:41]
	scratch_load_b128 v[30:33], off, off offset:896
	v_add_f64 v[44:45], v[44:45], v[56:57]
	v_add_f64 v[46:47], v[46:47], v[52:53]
	s_waitcnt vmcnt(8) lgkmcnt(0)
	v_mul_f64 v[52:53], v[6:7], v[185:186]
	v_mul_f64 v[56:57], v[8:9], v[185:186]
	v_fma_f64 v[50:51], v[4:5], v[38:39], v[50:51]
	v_fma_f64 v[58:59], v[2:3], v[38:39], -v[40:41]
	scratch_load_b128 v[38:41], off, off offset:912
	ds_load_b128 v[2:5], v1 offset:1712
	v_add_f64 v[44:45], v[44:45], v[54:55]
	v_add_f64 v[46:47], v[46:47], v[48:49]
	v_fma_f64 v[52:53], v[8:9], v[183:184], v[52:53]
	v_fma_f64 v[54:55], v[6:7], v[183:184], -v[56:57]
	ds_load_b128 v[6:9], v1 offset:1728
	s_waitcnt vmcnt(8) lgkmcnt(1)
	v_mul_f64 v[48:49], v[2:3], v[36:37]
	v_mul_f64 v[36:37], v[4:5], v[36:37]
	v_add_f64 v[44:45], v[44:45], v[58:59]
	v_add_f64 v[46:47], v[46:47], v[50:51]
	s_delay_alu instid0(VALU_DEP_4) | instskip(NEXT) | instid1(VALU_DEP_4)
	v_fma_f64 v[48:49], v[4:5], v[34:35], v[48:49]
	v_fma_f64 v[34:35], v[2:3], v[34:35], -v[36:37]
	ds_load_b128 v[2:5], v1 offset:1744
	v_add_f64 v[36:37], v[44:45], v[54:55]
	v_add_f64 v[44:45], v[46:47], v[52:53]
	s_delay_alu instid0(VALU_DEP_2)
	v_add_f64 v[54:55], v[36:37], v[34:35]
	scratch_load_b128 v[34:37], off, off offset:608
	s_waitcnt vmcnt(8) lgkmcnt(1)
	v_mul_f64 v[50:51], v[6:7], v[181:182]
	v_mul_f64 v[56:57], v[8:9], v[181:182]
	v_add_f64 v[44:45], v[44:45], v[48:49]
	s_delay_alu instid0(VALU_DEP_3) | instskip(NEXT) | instid1(VALU_DEP_3)
	v_fma_f64 v[50:51], v[8:9], v[179:180], v[50:51]
	v_fma_f64 v[52:53], v[6:7], v[179:180], -v[56:57]
	ds_load_b128 v[6:9], v1 offset:1760
	s_waitcnt vmcnt(7) lgkmcnt(1)
	v_mul_f64 v[46:47], v[2:3], v[12:13]
	v_mul_f64 v[12:13], v[4:5], v[12:13]
	s_waitcnt vmcnt(6) lgkmcnt(0)
	v_mul_f64 v[48:49], v[6:7], v[16:17]
	v_mul_f64 v[16:17], v[8:9], v[16:17]
	v_add_f64 v[44:45], v[44:45], v[50:51]
	v_fma_f64 v[46:47], v[4:5], v[10:11], v[46:47]
	v_fma_f64 v[10:11], v[2:3], v[10:11], -v[12:13]
	v_add_f64 v[12:13], v[54:55], v[52:53]
	ds_load_b128 v[2:5], v1 offset:1776
	v_fma_f64 v[48:49], v[8:9], v[14:15], v[48:49]
	v_fma_f64 v[14:15], v[6:7], v[14:15], -v[16:17]
	ds_load_b128 v[6:9], v1 offset:1792
	s_waitcnt vmcnt(5) lgkmcnt(1)
	v_mul_f64 v[50:51], v[2:3], v[20:21]
	v_mul_f64 v[20:21], v[4:5], v[20:21]
	v_add_f64 v[10:11], v[12:13], v[10:11]
	v_add_f64 v[12:13], v[44:45], v[46:47]
	s_waitcnt vmcnt(4) lgkmcnt(0)
	v_mul_f64 v[16:17], v[6:7], v[24:25]
	v_mul_f64 v[24:25], v[8:9], v[24:25]
	v_fma_f64 v[44:45], v[4:5], v[18:19], v[50:51]
	v_fma_f64 v[18:19], v[2:3], v[18:19], -v[20:21]
	ds_load_b128 v[2:5], v1 offset:1808
	v_add_f64 v[10:11], v[10:11], v[14:15]
	v_add_f64 v[12:13], v[12:13], v[48:49]
	v_fma_f64 v[16:17], v[8:9], v[22:23], v[16:17]
	v_fma_f64 v[22:23], v[6:7], v[22:23], -v[24:25]
	ds_load_b128 v[6:9], v1 offset:1824
	s_waitcnt vmcnt(3) lgkmcnt(1)
	v_mul_f64 v[14:15], v[2:3], v[28:29]
	v_mul_f64 v[20:21], v[4:5], v[28:29]
	s_waitcnt vmcnt(2) lgkmcnt(0)
	v_mul_f64 v[24:25], v[8:9], v[32:33]
	v_add_f64 v[10:11], v[10:11], v[18:19]
	v_add_f64 v[12:13], v[12:13], v[44:45]
	v_mul_f64 v[18:19], v[6:7], v[32:33]
	v_fma_f64 v[14:15], v[4:5], v[26:27], v[14:15]
	v_fma_f64 v[20:21], v[2:3], v[26:27], -v[20:21]
	ds_load_b128 v[2:5], v1 offset:1840
	v_fma_f64 v[6:7], v[6:7], v[30:31], -v[24:25]
	v_add_f64 v[10:11], v[10:11], v[22:23]
	v_add_f64 v[12:13], v[12:13], v[16:17]
	s_waitcnt vmcnt(1) lgkmcnt(0)
	v_mul_f64 v[16:17], v[2:3], v[40:41]
	v_mul_f64 v[22:23], v[4:5], v[40:41]
	v_fma_f64 v[8:9], v[8:9], v[30:31], v[18:19]
	v_add_f64 v[10:11], v[10:11], v[20:21]
	v_add_f64 v[12:13], v[12:13], v[14:15]
	v_fma_f64 v[4:5], v[4:5], v[38:39], v[16:17]
	v_fma_f64 v[2:3], v[2:3], v[38:39], -v[22:23]
	s_delay_alu instid0(VALU_DEP_4) | instskip(NEXT) | instid1(VALU_DEP_4)
	v_add_f64 v[6:7], v[10:11], v[6:7]
	v_add_f64 v[8:9], v[12:13], v[8:9]
	s_delay_alu instid0(VALU_DEP_2) | instskip(NEXT) | instid1(VALU_DEP_2)
	v_add_f64 v[2:3], v[6:7], v[2:3]
	v_add_f64 v[4:5], v[8:9], v[4:5]
	s_waitcnt vmcnt(0)
	s_delay_alu instid0(VALU_DEP_2) | instskip(NEXT) | instid1(VALU_DEP_2)
	v_add_f64 v[2:3], v[34:35], -v[2:3]
	v_add_f64 v[4:5], v[36:37], -v[4:5]
	scratch_store_b128 off, v[2:5], off offset:608
	v_cmpx_lt_u32_e32 37, v158
	s_cbranch_execz .LBB57_287
; %bb.286:
	scratch_load_b32 v2, off, off offset:932 ; 4-byte Folded Reload
	v_mov_b32_e32 v3, v1
	v_mov_b32_e32 v4, v1
	s_waitcnt vmcnt(0)
	scratch_load_b128 v[5:8], v2, off
	v_mov_b32_e32 v2, v1
	scratch_store_b128 off, v[1:4], off offset:592
	s_waitcnt vmcnt(0)
	ds_store_b128 v216, v[5:8]
.LBB57_287:
	s_or_b32 exec_lo, exec_lo, s2
	s_waitcnt lgkmcnt(0)
	s_waitcnt_vscnt null, 0x0
	s_barrier
	buffer_gl0_inv
	s_clause 0x7
	scratch_load_b128 v[2:5], off, off offset:608
	scratch_load_b128 v[6:9], off, off offset:624
	;; [unrolled: 1-line block ×8, first 2 shown]
	ds_load_b128 v[34:37], v1 offset:1536
	ds_load_b128 v[179:182], v1 offset:1552
	s_clause 0x1
	scratch_load_b128 v[38:41], off, off offset:736
	scratch_load_b128 v[183:186], off, off offset:752
	s_mov_b32 s2, exec_lo
	s_waitcnt vmcnt(9) lgkmcnt(1)
	v_mul_f64 v[44:45], v[36:37], v[4:5]
	v_mul_f64 v[4:5], v[34:35], v[4:5]
	s_waitcnt vmcnt(8) lgkmcnt(0)
	v_mul_f64 v[46:47], v[179:180], v[8:9]
	v_mul_f64 v[8:9], v[181:182], v[8:9]
	s_delay_alu instid0(VALU_DEP_4) | instskip(NEXT) | instid1(VALU_DEP_4)
	v_fma_f64 v[44:45], v[34:35], v[2:3], -v[44:45]
	v_fma_f64 v[48:49], v[36:37], v[2:3], v[4:5]
	ds_load_b128 v[2:5], v1 offset:1568
	scratch_load_b128 v[34:37], off, off offset:768
	v_fma_f64 v[46:47], v[181:182], v[6:7], v[46:47]
	v_fma_f64 v[52:53], v[179:180], v[6:7], -v[8:9]
	ds_load_b128 v[6:9], v1 offset:1584
	scratch_load_b128 v[179:182], off, off offset:784
	s_waitcnt vmcnt(9) lgkmcnt(1)
	v_mul_f64 v[50:51], v[2:3], v[12:13]
	v_mul_f64 v[12:13], v[4:5], v[12:13]
	s_waitcnt vmcnt(8) lgkmcnt(0)
	v_mul_f64 v[54:55], v[6:7], v[16:17]
	v_mul_f64 v[16:17], v[8:9], v[16:17]
	v_add_f64 v[44:45], v[44:45], 0
	v_add_f64 v[48:49], v[48:49], 0
	v_fma_f64 v[50:51], v[4:5], v[10:11], v[50:51]
	v_fma_f64 v[56:57], v[2:3], v[10:11], -v[12:13]
	scratch_load_b128 v[10:13], off, off offset:800
	ds_load_b128 v[2:5], v1 offset:1600
	v_add_f64 v[44:45], v[44:45], v[52:53]
	v_add_f64 v[46:47], v[48:49], v[46:47]
	v_fma_f64 v[52:53], v[8:9], v[14:15], v[54:55]
	v_fma_f64 v[54:55], v[6:7], v[14:15], -v[16:17]
	ds_load_b128 v[6:9], v1 offset:1616
	scratch_load_b128 v[14:17], off, off offset:816
	s_waitcnt vmcnt(9) lgkmcnt(1)
	v_mul_f64 v[48:49], v[2:3], v[20:21]
	v_mul_f64 v[20:21], v[4:5], v[20:21]
	v_add_f64 v[44:45], v[44:45], v[56:57]
	v_add_f64 v[46:47], v[46:47], v[50:51]
	s_waitcnt vmcnt(8) lgkmcnt(0)
	v_mul_f64 v[50:51], v[6:7], v[24:25]
	v_mul_f64 v[24:25], v[8:9], v[24:25]
	v_fma_f64 v[48:49], v[4:5], v[18:19], v[48:49]
	v_fma_f64 v[56:57], v[2:3], v[18:19], -v[20:21]
	scratch_load_b128 v[18:21], off, off offset:832
	ds_load_b128 v[2:5], v1 offset:1632
	v_add_f64 v[44:45], v[44:45], v[54:55]
	v_add_f64 v[46:47], v[46:47], v[52:53]
	v_fma_f64 v[50:51], v[8:9], v[22:23], v[50:51]
	v_fma_f64 v[54:55], v[6:7], v[22:23], -v[24:25]
	ds_load_b128 v[6:9], v1 offset:1648
	s_waitcnt vmcnt(8) lgkmcnt(1)
	v_mul_f64 v[52:53], v[2:3], v[28:29]
	v_mul_f64 v[28:29], v[4:5], v[28:29]
	scratch_load_b128 v[22:25], off, off offset:848
	v_add_f64 v[44:45], v[44:45], v[56:57]
	v_add_f64 v[46:47], v[46:47], v[48:49]
	s_waitcnt vmcnt(8) lgkmcnt(0)
	v_mul_f64 v[48:49], v[6:7], v[32:33]
	v_mul_f64 v[32:33], v[8:9], v[32:33]
	v_fma_f64 v[52:53], v[4:5], v[26:27], v[52:53]
	v_fma_f64 v[56:57], v[2:3], v[26:27], -v[28:29]
	scratch_load_b128 v[26:29], off, off offset:864
	ds_load_b128 v[2:5], v1 offset:1664
	v_add_f64 v[44:45], v[44:45], v[54:55]
	v_add_f64 v[46:47], v[46:47], v[50:51]
	v_fma_f64 v[48:49], v[8:9], v[30:31], v[48:49]
	v_fma_f64 v[54:55], v[6:7], v[30:31], -v[32:33]
	ds_load_b128 v[6:9], v1 offset:1680
	s_waitcnt vmcnt(8) lgkmcnt(1)
	v_mul_f64 v[50:51], v[2:3], v[40:41]
	v_mul_f64 v[40:41], v[4:5], v[40:41]
	scratch_load_b128 v[30:33], off, off offset:880
	v_add_f64 v[44:45], v[44:45], v[56:57]
	v_add_f64 v[46:47], v[46:47], v[52:53]
	s_waitcnt vmcnt(8) lgkmcnt(0)
	v_mul_f64 v[52:53], v[6:7], v[185:186]
	v_mul_f64 v[56:57], v[8:9], v[185:186]
	v_fma_f64 v[50:51], v[4:5], v[38:39], v[50:51]
	v_fma_f64 v[58:59], v[2:3], v[38:39], -v[40:41]
	scratch_load_b128 v[38:41], off, off offset:896
	ds_load_b128 v[2:5], v1 offset:1696
	v_add_f64 v[44:45], v[44:45], v[54:55]
	v_add_f64 v[46:47], v[46:47], v[48:49]
	v_fma_f64 v[52:53], v[8:9], v[183:184], v[52:53]
	v_fma_f64 v[54:55], v[6:7], v[183:184], -v[56:57]
	ds_load_b128 v[6:9], v1 offset:1712
	scratch_load_b128 v[183:186], off, off offset:912
	s_waitcnt vmcnt(9) lgkmcnt(1)
	v_mul_f64 v[48:49], v[2:3], v[36:37]
	v_mul_f64 v[36:37], v[4:5], v[36:37]
	v_add_f64 v[44:45], v[44:45], v[58:59]
	v_add_f64 v[46:47], v[46:47], v[50:51]
	s_delay_alu instid0(VALU_DEP_4) | instskip(NEXT) | instid1(VALU_DEP_4)
	v_fma_f64 v[48:49], v[4:5], v[34:35], v[48:49]
	v_fma_f64 v[34:35], v[2:3], v[34:35], -v[36:37]
	ds_load_b128 v[2:5], v1 offset:1728
	v_add_f64 v[36:37], v[44:45], v[54:55]
	v_add_f64 v[44:45], v[46:47], v[52:53]
	s_waitcnt vmcnt(7) lgkmcnt(0)
	v_mul_f64 v[46:47], v[2:3], v[12:13]
	v_mul_f64 v[12:13], v[4:5], v[12:13]
	s_delay_alu instid0(VALU_DEP_4) | instskip(NEXT) | instid1(VALU_DEP_4)
	v_add_f64 v[34:35], v[36:37], v[34:35]
	v_add_f64 v[36:37], v[44:45], v[48:49]
	s_delay_alu instid0(VALU_DEP_4) | instskip(NEXT) | instid1(VALU_DEP_4)
	v_fma_f64 v[46:47], v[4:5], v[10:11], v[46:47]
	v_fma_f64 v[48:49], v[2:3], v[10:11], -v[12:13]
	scratch_load_b128 v[10:13], off, off offset:592
	v_mul_f64 v[50:51], v[6:7], v[181:182]
	v_mul_f64 v[56:57], v[8:9], v[181:182]
	ds_load_b128 v[2:5], v1 offset:1760
	v_fma_f64 v[50:51], v[8:9], v[179:180], v[50:51]
	v_fma_f64 v[52:53], v[6:7], v[179:180], -v[56:57]
	ds_load_b128 v[6:9], v1 offset:1744
	s_waitcnt vmcnt(7) lgkmcnt(0)
	v_mul_f64 v[44:45], v[6:7], v[16:17]
	v_mul_f64 v[16:17], v[8:9], v[16:17]
	v_add_f64 v[36:37], v[36:37], v[50:51]
	v_add_f64 v[34:35], v[34:35], v[52:53]
	s_waitcnt vmcnt(6)
	v_mul_f64 v[50:51], v[2:3], v[20:21]
	v_mul_f64 v[20:21], v[4:5], v[20:21]
	v_fma_f64 v[44:45], v[8:9], v[14:15], v[44:45]
	v_fma_f64 v[14:15], v[6:7], v[14:15], -v[16:17]
	ds_load_b128 v[6:9], v1 offset:1776
	v_add_f64 v[16:17], v[34:35], v[48:49]
	v_add_f64 v[34:35], v[36:37], v[46:47]
	v_fma_f64 v[46:47], v[4:5], v[18:19], v[50:51]
	v_fma_f64 v[18:19], v[2:3], v[18:19], -v[20:21]
	ds_load_b128 v[2:5], v1 offset:1792
	s_waitcnt vmcnt(5) lgkmcnt(1)
	v_mul_f64 v[36:37], v[6:7], v[24:25]
	v_mul_f64 v[24:25], v[8:9], v[24:25]
	s_waitcnt vmcnt(4) lgkmcnt(0)
	v_mul_f64 v[20:21], v[2:3], v[28:29]
	v_mul_f64 v[28:29], v[4:5], v[28:29]
	v_add_f64 v[14:15], v[16:17], v[14:15]
	v_add_f64 v[16:17], v[34:35], v[44:45]
	v_fma_f64 v[34:35], v[8:9], v[22:23], v[36:37]
	v_fma_f64 v[22:23], v[6:7], v[22:23], -v[24:25]
	ds_load_b128 v[6:9], v1 offset:1808
	v_fma_f64 v[20:21], v[4:5], v[26:27], v[20:21]
	v_fma_f64 v[26:27], v[2:3], v[26:27], -v[28:29]
	ds_load_b128 v[2:5], v1 offset:1824
	s_waitcnt vmcnt(3) lgkmcnt(1)
	v_mul_f64 v[24:25], v[8:9], v[32:33]
	v_add_f64 v[14:15], v[14:15], v[18:19]
	v_add_f64 v[16:17], v[16:17], v[46:47]
	v_mul_f64 v[18:19], v[6:7], v[32:33]
	s_waitcnt vmcnt(2) lgkmcnt(0)
	v_mul_f64 v[28:29], v[4:5], v[40:41]
	v_fma_f64 v[24:25], v[6:7], v[30:31], -v[24:25]
	v_add_f64 v[14:15], v[14:15], v[22:23]
	v_add_f64 v[16:17], v[16:17], v[34:35]
	v_mul_f64 v[22:23], v[2:3], v[40:41]
	v_fma_f64 v[18:19], v[8:9], v[30:31], v[18:19]
	ds_load_b128 v[6:9], v1 offset:1840
	v_fma_f64 v[1:2], v[2:3], v[38:39], -v[28:29]
	v_add_f64 v[14:15], v[14:15], v[26:27]
	v_add_f64 v[16:17], v[16:17], v[20:21]
	s_waitcnt vmcnt(1) lgkmcnt(0)
	v_mul_f64 v[20:21], v[6:7], v[185:186]
	v_mul_f64 v[26:27], v[8:9], v[185:186]
	v_fma_f64 v[4:5], v[4:5], v[38:39], v[22:23]
	v_add_f64 v[14:15], v[14:15], v[24:25]
	v_add_f64 v[16:17], v[16:17], v[18:19]
	v_fma_f64 v[8:9], v[8:9], v[183:184], v[20:21]
	v_fma_f64 v[6:7], v[6:7], v[183:184], -v[26:27]
	s_delay_alu instid0(VALU_DEP_4) | instskip(NEXT) | instid1(VALU_DEP_4)
	v_add_f64 v[1:2], v[14:15], v[1:2]
	v_add_f64 v[3:4], v[16:17], v[4:5]
	s_delay_alu instid0(VALU_DEP_2) | instskip(NEXT) | instid1(VALU_DEP_2)
	v_add_f64 v[1:2], v[1:2], v[6:7]
	v_add_f64 v[3:4], v[3:4], v[8:9]
	s_waitcnt vmcnt(0)
	s_delay_alu instid0(VALU_DEP_2) | instskip(NEXT) | instid1(VALU_DEP_2)
	v_add_f64 v[1:2], v[10:11], -v[1:2]
	v_add_f64 v[3:4], v[12:13], -v[3:4]
	scratch_store_b128 off, v[1:4], off offset:592
	v_cmpx_lt_u32_e32 36, v158
	s_cbranch_execz .LBB57_289
; %bb.288:
	scratch_load_b32 v1, off, off offset:936 ; 4-byte Folded Reload
	v_mov_b32_e32 v5, 0
	s_delay_alu instid0(VALU_DEP_1)
	v_mov_b32_e32 v6, v5
	v_mov_b32_e32 v7, v5
	;; [unrolled: 1-line block ×3, first 2 shown]
	s_waitcnt vmcnt(0)
	scratch_load_b128 v[1:4], v1, off
	scratch_store_b128 off, v[5:8], off offset:576
	s_waitcnt vmcnt(0)
	ds_store_b128 v216, v[1:4]
.LBB57_289:
	s_or_b32 exec_lo, exec_lo, s2
	s_waitcnt lgkmcnt(0)
	s_waitcnt_vscnt null, 0x0
	s_barrier
	buffer_gl0_inv
	s_clause 0x7
	scratch_load_b128 v[2:5], off, off offset:592
	scratch_load_b128 v[6:9], off, off offset:608
	;; [unrolled: 1-line block ×8, first 2 shown]
	v_mov_b32_e32 v1, 0
	s_clause 0x1
	scratch_load_b128 v[38:41], off, off offset:720
	scratch_load_b128 v[183:186], off, off offset:736
	s_mov_b32 s2, exec_lo
	ds_load_b128 v[34:37], v1 offset:1520
	ds_load_b128 v[179:182], v1 offset:1536
	s_waitcnt vmcnt(9) lgkmcnt(1)
	v_mul_f64 v[44:45], v[36:37], v[4:5]
	v_mul_f64 v[4:5], v[34:35], v[4:5]
	s_waitcnt vmcnt(8) lgkmcnt(0)
	v_mul_f64 v[46:47], v[179:180], v[8:9]
	v_mul_f64 v[8:9], v[181:182], v[8:9]
	s_delay_alu instid0(VALU_DEP_4) | instskip(NEXT) | instid1(VALU_DEP_4)
	v_fma_f64 v[44:45], v[34:35], v[2:3], -v[44:45]
	v_fma_f64 v[48:49], v[36:37], v[2:3], v[4:5]
	ds_load_b128 v[2:5], v1 offset:1552
	scratch_load_b128 v[34:37], off, off offset:752
	v_fma_f64 v[46:47], v[181:182], v[6:7], v[46:47]
	v_fma_f64 v[52:53], v[179:180], v[6:7], -v[8:9]
	scratch_load_b128 v[179:182], off, off offset:768
	ds_load_b128 v[6:9], v1 offset:1568
	s_waitcnt vmcnt(9) lgkmcnt(1)
	v_mul_f64 v[50:51], v[2:3], v[12:13]
	v_mul_f64 v[12:13], v[4:5], v[12:13]
	s_waitcnt vmcnt(8) lgkmcnt(0)
	v_mul_f64 v[54:55], v[6:7], v[16:17]
	v_mul_f64 v[16:17], v[8:9], v[16:17]
	v_add_f64 v[44:45], v[44:45], 0
	v_add_f64 v[48:49], v[48:49], 0
	v_fma_f64 v[50:51], v[4:5], v[10:11], v[50:51]
	v_fma_f64 v[56:57], v[2:3], v[10:11], -v[12:13]
	ds_load_b128 v[2:5], v1 offset:1584
	scratch_load_b128 v[10:13], off, off offset:784
	v_add_f64 v[44:45], v[44:45], v[52:53]
	v_add_f64 v[46:47], v[48:49], v[46:47]
	v_fma_f64 v[52:53], v[8:9], v[14:15], v[54:55]
	v_fma_f64 v[54:55], v[6:7], v[14:15], -v[16:17]
	scratch_load_b128 v[14:17], off, off offset:800
	ds_load_b128 v[6:9], v1 offset:1600
	s_waitcnt vmcnt(9) lgkmcnt(1)
	v_mul_f64 v[48:49], v[2:3], v[20:21]
	v_mul_f64 v[20:21], v[4:5], v[20:21]
	v_add_f64 v[44:45], v[44:45], v[56:57]
	v_add_f64 v[46:47], v[46:47], v[50:51]
	s_waitcnt vmcnt(8) lgkmcnt(0)
	v_mul_f64 v[50:51], v[6:7], v[24:25]
	v_mul_f64 v[24:25], v[8:9], v[24:25]
	v_fma_f64 v[48:49], v[4:5], v[18:19], v[48:49]
	v_fma_f64 v[56:57], v[2:3], v[18:19], -v[20:21]
	ds_load_b128 v[2:5], v1 offset:1616
	scratch_load_b128 v[18:21], off, off offset:816
	v_add_f64 v[44:45], v[44:45], v[54:55]
	v_add_f64 v[46:47], v[46:47], v[52:53]
	v_fma_f64 v[50:51], v[8:9], v[22:23], v[50:51]
	v_fma_f64 v[54:55], v[6:7], v[22:23], -v[24:25]
	ds_load_b128 v[6:9], v1 offset:1632
	s_waitcnt vmcnt(8) lgkmcnt(1)
	v_mul_f64 v[52:53], v[2:3], v[28:29]
	v_mul_f64 v[28:29], v[4:5], v[28:29]
	scratch_load_b128 v[22:25], off, off offset:832
	v_add_f64 v[44:45], v[44:45], v[56:57]
	v_add_f64 v[46:47], v[46:47], v[48:49]
	s_waitcnt vmcnt(8) lgkmcnt(0)
	v_mul_f64 v[48:49], v[6:7], v[32:33]
	v_mul_f64 v[32:33], v[8:9], v[32:33]
	v_fma_f64 v[52:53], v[4:5], v[26:27], v[52:53]
	v_fma_f64 v[56:57], v[2:3], v[26:27], -v[28:29]
	scratch_load_b128 v[26:29], off, off offset:848
	ds_load_b128 v[2:5], v1 offset:1648
	v_add_f64 v[44:45], v[44:45], v[54:55]
	v_add_f64 v[46:47], v[46:47], v[50:51]
	v_fma_f64 v[48:49], v[8:9], v[30:31], v[48:49]
	v_fma_f64 v[54:55], v[6:7], v[30:31], -v[32:33]
	ds_load_b128 v[6:9], v1 offset:1664
	s_waitcnt vmcnt(8) lgkmcnt(1)
	v_mul_f64 v[50:51], v[2:3], v[40:41]
	v_mul_f64 v[40:41], v[4:5], v[40:41]
	scratch_load_b128 v[30:33], off, off offset:864
	v_add_f64 v[44:45], v[44:45], v[56:57]
	v_add_f64 v[46:47], v[46:47], v[52:53]
	s_waitcnt vmcnt(8) lgkmcnt(0)
	v_mul_f64 v[52:53], v[6:7], v[185:186]
	v_mul_f64 v[56:57], v[8:9], v[185:186]
	v_fma_f64 v[50:51], v[4:5], v[38:39], v[50:51]
	v_fma_f64 v[58:59], v[2:3], v[38:39], -v[40:41]
	scratch_load_b128 v[38:41], off, off offset:880
	ds_load_b128 v[2:5], v1 offset:1680
	v_add_f64 v[44:45], v[44:45], v[54:55]
	v_add_f64 v[46:47], v[46:47], v[48:49]
	v_fma_f64 v[52:53], v[8:9], v[183:184], v[52:53]
	v_fma_f64 v[54:55], v[6:7], v[183:184], -v[56:57]
	ds_load_b128 v[6:9], v1 offset:1696
	scratch_load_b128 v[183:186], off, off offset:896
	s_waitcnt vmcnt(9) lgkmcnt(1)
	v_mul_f64 v[48:49], v[2:3], v[36:37]
	v_mul_f64 v[36:37], v[4:5], v[36:37]
	s_waitcnt vmcnt(8) lgkmcnt(0)
	v_mul_f64 v[56:57], v[8:9], v[181:182]
	v_add_f64 v[44:45], v[44:45], v[58:59]
	v_add_f64 v[46:47], v[46:47], v[50:51]
	v_mul_f64 v[50:51], v[6:7], v[181:182]
	v_fma_f64 v[48:49], v[4:5], v[34:35], v[48:49]
	v_fma_f64 v[58:59], v[2:3], v[34:35], -v[36:37]
	scratch_load_b128 v[34:37], off, off offset:912
	ds_load_b128 v[2:5], v1 offset:1712
	v_add_f64 v[44:45], v[44:45], v[54:55]
	v_add_f64 v[46:47], v[46:47], v[52:53]
	v_fma_f64 v[50:51], v[8:9], v[179:180], v[50:51]
	v_fma_f64 v[54:55], v[6:7], v[179:180], -v[56:57]
	ds_load_b128 v[6:9], v1 offset:1728
	s_waitcnt vmcnt(8) lgkmcnt(1)
	v_mul_f64 v[52:53], v[2:3], v[12:13]
	v_mul_f64 v[12:13], v[4:5], v[12:13]
	v_add_f64 v[44:45], v[44:45], v[58:59]
	v_add_f64 v[46:47], v[46:47], v[48:49]
	s_waitcnt vmcnt(7) lgkmcnt(0)
	v_mul_f64 v[48:49], v[6:7], v[16:17]
	v_mul_f64 v[16:17], v[8:9], v[16:17]
	v_fma_f64 v[52:53], v[4:5], v[10:11], v[52:53]
	v_fma_f64 v[10:11], v[2:3], v[10:11], -v[12:13]
	ds_load_b128 v[2:5], v1 offset:1744
	v_add_f64 v[12:13], v[44:45], v[54:55]
	v_add_f64 v[44:45], v[46:47], v[50:51]
	v_fma_f64 v[48:49], v[8:9], v[14:15], v[48:49]
	v_fma_f64 v[14:15], v[6:7], v[14:15], -v[16:17]
	ds_load_b128 v[6:9], v1 offset:1760
	s_waitcnt vmcnt(5) lgkmcnt(0)
	v_mul_f64 v[50:51], v[6:7], v[24:25]
	v_mul_f64 v[24:25], v[8:9], v[24:25]
	v_add_f64 v[16:17], v[12:13], v[10:11]
	v_add_f64 v[44:45], v[44:45], v[52:53]
	scratch_load_b128 v[10:13], off, off offset:576
	v_mul_f64 v[46:47], v[2:3], v[20:21]
	v_mul_f64 v[20:21], v[4:5], v[20:21]
	v_add_f64 v[14:15], v[16:17], v[14:15]
	v_add_f64 v[16:17], v[44:45], v[48:49]
	v_fma_f64 v[44:45], v[8:9], v[22:23], v[50:51]
	v_fma_f64 v[46:47], v[4:5], v[18:19], v[46:47]
	v_fma_f64 v[18:19], v[2:3], v[18:19], -v[20:21]
	ds_load_b128 v[2:5], v1 offset:1776
	v_fma_f64 v[22:23], v[6:7], v[22:23], -v[24:25]
	ds_load_b128 v[6:9], v1 offset:1792
	s_waitcnt vmcnt(5) lgkmcnt(1)
	v_mul_f64 v[20:21], v[2:3], v[28:29]
	v_mul_f64 v[28:29], v[4:5], v[28:29]
	s_waitcnt vmcnt(4) lgkmcnt(0)
	v_mul_f64 v[24:25], v[8:9], v[32:33]
	v_add_f64 v[16:17], v[16:17], v[46:47]
	v_add_f64 v[14:15], v[14:15], v[18:19]
	v_mul_f64 v[18:19], v[6:7], v[32:33]
	v_fma_f64 v[20:21], v[4:5], v[26:27], v[20:21]
	v_fma_f64 v[26:27], v[2:3], v[26:27], -v[28:29]
	ds_load_b128 v[2:5], v1 offset:1808
	v_fma_f64 v[24:25], v[6:7], v[30:31], -v[24:25]
	v_add_f64 v[16:17], v[16:17], v[44:45]
	v_add_f64 v[14:15], v[14:15], v[22:23]
	v_fma_f64 v[18:19], v[8:9], v[30:31], v[18:19]
	ds_load_b128 v[6:9], v1 offset:1824
	s_waitcnt vmcnt(3) lgkmcnt(1)
	v_mul_f64 v[22:23], v[2:3], v[40:41]
	v_mul_f64 v[28:29], v[4:5], v[40:41]
	v_add_f64 v[16:17], v[16:17], v[20:21]
	v_add_f64 v[14:15], v[14:15], v[26:27]
	s_waitcnt vmcnt(2) lgkmcnt(0)
	v_mul_f64 v[20:21], v[6:7], v[185:186]
	v_mul_f64 v[26:27], v[8:9], v[185:186]
	v_fma_f64 v[22:23], v[4:5], v[38:39], v[22:23]
	v_fma_f64 v[28:29], v[2:3], v[38:39], -v[28:29]
	ds_load_b128 v[2:5], v1 offset:1840
	v_add_f64 v[16:17], v[16:17], v[18:19]
	v_add_f64 v[14:15], v[14:15], v[24:25]
	s_waitcnt vmcnt(1) lgkmcnt(0)
	v_mul_f64 v[18:19], v[2:3], v[36:37]
	v_mul_f64 v[24:25], v[4:5], v[36:37]
	v_fma_f64 v[8:9], v[8:9], v[183:184], v[20:21]
	v_fma_f64 v[6:7], v[6:7], v[183:184], -v[26:27]
	v_add_f64 v[16:17], v[16:17], v[22:23]
	v_add_f64 v[14:15], v[14:15], v[28:29]
	v_fma_f64 v[4:5], v[4:5], v[34:35], v[18:19]
	v_fma_f64 v[2:3], v[2:3], v[34:35], -v[24:25]
	s_delay_alu instid0(VALU_DEP_4) | instskip(NEXT) | instid1(VALU_DEP_4)
	v_add_f64 v[8:9], v[16:17], v[8:9]
	v_add_f64 v[6:7], v[14:15], v[6:7]
	s_delay_alu instid0(VALU_DEP_2) | instskip(NEXT) | instid1(VALU_DEP_2)
	v_add_f64 v[4:5], v[8:9], v[4:5]
	v_add_f64 v[2:3], v[6:7], v[2:3]
	s_waitcnt vmcnt(0)
	s_delay_alu instid0(VALU_DEP_2) | instskip(NEXT) | instid1(VALU_DEP_2)
	v_add_f64 v[4:5], v[12:13], -v[4:5]
	v_add_f64 v[2:3], v[10:11], -v[2:3]
	scratch_store_b128 off, v[2:5], off offset:576
	v_cmpx_lt_u32_e32 35, v158
	s_cbranch_execz .LBB57_291
; %bb.290:
	scratch_load_b32 v2, off, off offset:944 ; 4-byte Folded Reload
	v_mov_b32_e32 v3, v1
	v_mov_b32_e32 v4, v1
	s_waitcnt vmcnt(0)
	scratch_load_b128 v[5:8], v2, off
	v_mov_b32_e32 v2, v1
	scratch_store_b128 off, v[1:4], off offset:560
	s_waitcnt vmcnt(0)
	ds_store_b128 v216, v[5:8]
.LBB57_291:
	s_or_b32 exec_lo, exec_lo, s2
	s_waitcnt lgkmcnt(0)
	s_waitcnt_vscnt null, 0x0
	s_barrier
	buffer_gl0_inv
	s_clause 0x7
	scratch_load_b128 v[2:5], off, off offset:576
	scratch_load_b128 v[6:9], off, off offset:592
	;; [unrolled: 1-line block ×8, first 2 shown]
	ds_load_b128 v[34:37], v1 offset:1504
	ds_load_b128 v[179:182], v1 offset:1520
	s_clause 0x1
	scratch_load_b128 v[38:41], off, off offset:704
	scratch_load_b128 v[183:186], off, off offset:720
	s_mov_b32 s2, exec_lo
	s_waitcnt vmcnt(9) lgkmcnt(1)
	v_mul_f64 v[44:45], v[36:37], v[4:5]
	v_mul_f64 v[4:5], v[34:35], v[4:5]
	s_waitcnt vmcnt(8) lgkmcnt(0)
	v_mul_f64 v[46:47], v[179:180], v[8:9]
	v_mul_f64 v[8:9], v[181:182], v[8:9]
	s_delay_alu instid0(VALU_DEP_4) | instskip(NEXT) | instid1(VALU_DEP_4)
	v_fma_f64 v[44:45], v[34:35], v[2:3], -v[44:45]
	v_fma_f64 v[48:49], v[36:37], v[2:3], v[4:5]
	ds_load_b128 v[2:5], v1 offset:1536
	scratch_load_b128 v[34:37], off, off offset:736
	v_fma_f64 v[46:47], v[181:182], v[6:7], v[46:47]
	v_fma_f64 v[52:53], v[179:180], v[6:7], -v[8:9]
	scratch_load_b128 v[179:182], off, off offset:752
	ds_load_b128 v[6:9], v1 offset:1552
	s_waitcnt vmcnt(9) lgkmcnt(1)
	v_mul_f64 v[50:51], v[2:3], v[12:13]
	v_mul_f64 v[12:13], v[4:5], v[12:13]
	s_waitcnt vmcnt(8) lgkmcnt(0)
	v_mul_f64 v[54:55], v[6:7], v[16:17]
	v_mul_f64 v[16:17], v[8:9], v[16:17]
	v_add_f64 v[44:45], v[44:45], 0
	v_add_f64 v[48:49], v[48:49], 0
	v_fma_f64 v[50:51], v[4:5], v[10:11], v[50:51]
	v_fma_f64 v[56:57], v[2:3], v[10:11], -v[12:13]
	ds_load_b128 v[2:5], v1 offset:1568
	scratch_load_b128 v[10:13], off, off offset:768
	v_add_f64 v[44:45], v[44:45], v[52:53]
	v_add_f64 v[46:47], v[48:49], v[46:47]
	v_fma_f64 v[52:53], v[8:9], v[14:15], v[54:55]
	v_fma_f64 v[54:55], v[6:7], v[14:15], -v[16:17]
	scratch_load_b128 v[14:17], off, off offset:784
	ds_load_b128 v[6:9], v1 offset:1584
	s_waitcnt vmcnt(9) lgkmcnt(1)
	v_mul_f64 v[48:49], v[2:3], v[20:21]
	v_mul_f64 v[20:21], v[4:5], v[20:21]
	v_add_f64 v[44:45], v[44:45], v[56:57]
	v_add_f64 v[46:47], v[46:47], v[50:51]
	s_waitcnt vmcnt(8) lgkmcnt(0)
	v_mul_f64 v[50:51], v[6:7], v[24:25]
	v_mul_f64 v[24:25], v[8:9], v[24:25]
	v_fma_f64 v[48:49], v[4:5], v[18:19], v[48:49]
	v_fma_f64 v[56:57], v[2:3], v[18:19], -v[20:21]
	ds_load_b128 v[2:5], v1 offset:1600
	scratch_load_b128 v[18:21], off, off offset:800
	v_add_f64 v[44:45], v[44:45], v[54:55]
	v_add_f64 v[46:47], v[46:47], v[52:53]
	v_fma_f64 v[50:51], v[8:9], v[22:23], v[50:51]
	v_fma_f64 v[54:55], v[6:7], v[22:23], -v[24:25]
	ds_load_b128 v[6:9], v1 offset:1616
	s_waitcnt vmcnt(8) lgkmcnt(1)
	v_mul_f64 v[52:53], v[2:3], v[28:29]
	v_mul_f64 v[28:29], v[4:5], v[28:29]
	scratch_load_b128 v[22:25], off, off offset:816
	v_add_f64 v[44:45], v[44:45], v[56:57]
	v_add_f64 v[46:47], v[46:47], v[48:49]
	s_waitcnt vmcnt(8) lgkmcnt(0)
	v_mul_f64 v[48:49], v[6:7], v[32:33]
	v_mul_f64 v[32:33], v[8:9], v[32:33]
	v_fma_f64 v[52:53], v[4:5], v[26:27], v[52:53]
	v_fma_f64 v[56:57], v[2:3], v[26:27], -v[28:29]
	ds_load_b128 v[2:5], v1 offset:1632
	scratch_load_b128 v[26:29], off, off offset:832
	v_add_f64 v[44:45], v[44:45], v[54:55]
	v_add_f64 v[46:47], v[46:47], v[50:51]
	v_fma_f64 v[48:49], v[8:9], v[30:31], v[48:49]
	v_fma_f64 v[54:55], v[6:7], v[30:31], -v[32:33]
	ds_load_b128 v[6:9], v1 offset:1648
	s_waitcnt vmcnt(8) lgkmcnt(1)
	v_mul_f64 v[50:51], v[2:3], v[40:41]
	v_mul_f64 v[40:41], v[4:5], v[40:41]
	scratch_load_b128 v[30:33], off, off offset:848
	v_add_f64 v[44:45], v[44:45], v[56:57]
	v_add_f64 v[46:47], v[46:47], v[52:53]
	s_waitcnt vmcnt(8) lgkmcnt(0)
	v_mul_f64 v[52:53], v[6:7], v[185:186]
	v_mul_f64 v[56:57], v[8:9], v[185:186]
	v_fma_f64 v[50:51], v[4:5], v[38:39], v[50:51]
	v_fma_f64 v[58:59], v[2:3], v[38:39], -v[40:41]
	scratch_load_b128 v[38:41], off, off offset:864
	ds_load_b128 v[2:5], v1 offset:1664
	v_add_f64 v[44:45], v[44:45], v[54:55]
	v_add_f64 v[46:47], v[46:47], v[48:49]
	v_fma_f64 v[52:53], v[8:9], v[183:184], v[52:53]
	v_fma_f64 v[54:55], v[6:7], v[183:184], -v[56:57]
	ds_load_b128 v[6:9], v1 offset:1680
	scratch_load_b128 v[183:186], off, off offset:880
	s_waitcnt vmcnt(9) lgkmcnt(1)
	v_mul_f64 v[48:49], v[2:3], v[36:37]
	v_mul_f64 v[36:37], v[4:5], v[36:37]
	s_waitcnt vmcnt(8) lgkmcnt(0)
	v_mul_f64 v[56:57], v[8:9], v[181:182]
	v_add_f64 v[44:45], v[44:45], v[58:59]
	v_add_f64 v[46:47], v[46:47], v[50:51]
	v_mul_f64 v[50:51], v[6:7], v[181:182]
	v_fma_f64 v[48:49], v[4:5], v[34:35], v[48:49]
	v_fma_f64 v[58:59], v[2:3], v[34:35], -v[36:37]
	scratch_load_b128 v[34:37], off, off offset:896
	ds_load_b128 v[2:5], v1 offset:1696
	v_add_f64 v[44:45], v[44:45], v[54:55]
	v_add_f64 v[46:47], v[46:47], v[52:53]
	v_fma_f64 v[50:51], v[8:9], v[179:180], v[50:51]
	v_fma_f64 v[54:55], v[6:7], v[179:180], -v[56:57]
	ds_load_b128 v[6:9], v1 offset:1712
	s_waitcnt vmcnt(8) lgkmcnt(1)
	v_mul_f64 v[52:53], v[2:3], v[12:13]
	v_mul_f64 v[12:13], v[4:5], v[12:13]
	scratch_load_b128 v[179:182], off, off offset:912
	v_add_f64 v[44:45], v[44:45], v[58:59]
	v_add_f64 v[46:47], v[46:47], v[48:49]
	s_waitcnt vmcnt(8) lgkmcnt(0)
	v_mul_f64 v[48:49], v[6:7], v[16:17]
	v_mul_f64 v[16:17], v[8:9], v[16:17]
	v_fma_f64 v[52:53], v[4:5], v[10:11], v[52:53]
	v_fma_f64 v[10:11], v[2:3], v[10:11], -v[12:13]
	ds_load_b128 v[2:5], v1 offset:1728
	v_add_f64 v[12:13], v[44:45], v[54:55]
	v_add_f64 v[44:45], v[46:47], v[50:51]
	v_fma_f64 v[48:49], v[8:9], v[14:15], v[48:49]
	v_fma_f64 v[14:15], v[6:7], v[14:15], -v[16:17]
	ds_load_b128 v[6:9], v1 offset:1744
	s_waitcnt vmcnt(7) lgkmcnt(1)
	v_mul_f64 v[46:47], v[2:3], v[20:21]
	v_mul_f64 v[20:21], v[4:5], v[20:21]
	v_add_f64 v[10:11], v[12:13], v[10:11]
	v_add_f64 v[12:13], v[44:45], v[52:53]
	s_delay_alu instid0(VALU_DEP_4) | instskip(NEXT) | instid1(VALU_DEP_4)
	v_fma_f64 v[44:45], v[4:5], v[18:19], v[46:47]
	v_fma_f64 v[18:19], v[2:3], v[18:19], -v[20:21]
	ds_load_b128 v[2:5], v1 offset:1760
	v_add_f64 v[14:15], v[10:11], v[14:15]
	v_add_f64 v[20:21], v[12:13], v[48:49]
	scratch_load_b128 v[10:13], off, off offset:560
	s_waitcnt vmcnt(7) lgkmcnt(1)
	v_mul_f64 v[16:17], v[6:7], v[24:25]
	v_mul_f64 v[24:25], v[8:9], v[24:25]
	v_add_f64 v[14:15], v[14:15], v[18:19]
	v_add_f64 v[18:19], v[20:21], v[44:45]
	s_delay_alu instid0(VALU_DEP_4) | instskip(NEXT) | instid1(VALU_DEP_4)
	v_fma_f64 v[16:17], v[8:9], v[22:23], v[16:17]
	v_fma_f64 v[22:23], v[6:7], v[22:23], -v[24:25]
	ds_load_b128 v[6:9], v1 offset:1776
	s_waitcnt vmcnt(6) lgkmcnt(1)
	v_mul_f64 v[46:47], v[2:3], v[28:29]
	v_mul_f64 v[28:29], v[4:5], v[28:29]
	s_waitcnt vmcnt(5) lgkmcnt(0)
	v_mul_f64 v[20:21], v[6:7], v[32:33]
	v_mul_f64 v[24:25], v[8:9], v[32:33]
	v_add_f64 v[16:17], v[18:19], v[16:17]
	v_add_f64 v[14:15], v[14:15], v[22:23]
	v_fma_f64 v[32:33], v[4:5], v[26:27], v[46:47]
	v_fma_f64 v[26:27], v[2:3], v[26:27], -v[28:29]
	ds_load_b128 v[2:5], v1 offset:1792
	v_fma_f64 v[20:21], v[8:9], v[30:31], v[20:21]
	v_fma_f64 v[24:25], v[6:7], v[30:31], -v[24:25]
	ds_load_b128 v[6:9], v1 offset:1808
	s_waitcnt vmcnt(4) lgkmcnt(1)
	v_mul_f64 v[18:19], v[2:3], v[40:41]
	v_mul_f64 v[22:23], v[4:5], v[40:41]
	v_add_f64 v[16:17], v[16:17], v[32:33]
	v_add_f64 v[14:15], v[14:15], v[26:27]
	s_waitcnt vmcnt(3) lgkmcnt(0)
	v_mul_f64 v[26:27], v[6:7], v[185:186]
	v_mul_f64 v[28:29], v[8:9], v[185:186]
	v_fma_f64 v[18:19], v[4:5], v[38:39], v[18:19]
	v_fma_f64 v[22:23], v[2:3], v[38:39], -v[22:23]
	ds_load_b128 v[2:5], v1 offset:1824
	v_add_f64 v[16:17], v[16:17], v[20:21]
	v_add_f64 v[14:15], v[14:15], v[24:25]
	v_fma_f64 v[26:27], v[8:9], v[183:184], v[26:27]
	v_fma_f64 v[28:29], v[6:7], v[183:184], -v[28:29]
	ds_load_b128 v[6:9], v1 offset:1840
	s_waitcnt vmcnt(2) lgkmcnt(1)
	v_mul_f64 v[20:21], v[2:3], v[36:37]
	v_mul_f64 v[24:25], v[4:5], v[36:37]
	v_add_f64 v[16:17], v[16:17], v[18:19]
	v_add_f64 v[14:15], v[14:15], v[22:23]
	s_waitcnt vmcnt(1) lgkmcnt(0)
	v_mul_f64 v[18:19], v[6:7], v[181:182]
	v_mul_f64 v[22:23], v[8:9], v[181:182]
	v_fma_f64 v[4:5], v[4:5], v[34:35], v[20:21]
	v_fma_f64 v[1:2], v[2:3], v[34:35], -v[24:25]
	v_add_f64 v[16:17], v[16:17], v[26:27]
	v_add_f64 v[14:15], v[14:15], v[28:29]
	v_fma_f64 v[8:9], v[8:9], v[179:180], v[18:19]
	v_fma_f64 v[6:7], v[6:7], v[179:180], -v[22:23]
	s_delay_alu instid0(VALU_DEP_4) | instskip(NEXT) | instid1(VALU_DEP_4)
	v_add_f64 v[3:4], v[16:17], v[4:5]
	v_add_f64 v[1:2], v[14:15], v[1:2]
	s_delay_alu instid0(VALU_DEP_2) | instskip(NEXT) | instid1(VALU_DEP_2)
	v_add_f64 v[3:4], v[3:4], v[8:9]
	v_add_f64 v[1:2], v[1:2], v[6:7]
	s_waitcnt vmcnt(0)
	s_delay_alu instid0(VALU_DEP_2) | instskip(NEXT) | instid1(VALU_DEP_2)
	v_add_f64 v[3:4], v[12:13], -v[3:4]
	v_add_f64 v[1:2], v[10:11], -v[1:2]
	scratch_store_b128 off, v[1:4], off offset:560
	v_cmpx_lt_u32_e32 34, v158
	s_cbranch_execz .LBB57_293
; %bb.292:
	scratch_load_b32 v1, off, off offset:940 ; 4-byte Folded Reload
	v_mov_b32_e32 v5, 0
	s_delay_alu instid0(VALU_DEP_1)
	v_mov_b32_e32 v6, v5
	v_mov_b32_e32 v7, v5
	;; [unrolled: 1-line block ×3, first 2 shown]
	s_waitcnt vmcnt(0)
	scratch_load_b128 v[1:4], v1, off
	scratch_store_b128 off, v[5:8], off offset:544
	s_waitcnt vmcnt(0)
	ds_store_b128 v216, v[1:4]
.LBB57_293:
	s_or_b32 exec_lo, exec_lo, s2
	s_waitcnt lgkmcnt(0)
	s_waitcnt_vscnt null, 0x0
	s_barrier
	buffer_gl0_inv
	s_clause 0x7
	scratch_load_b128 v[2:5], off, off offset:560
	scratch_load_b128 v[6:9], off, off offset:576
	;; [unrolled: 1-line block ×8, first 2 shown]
	v_mov_b32_e32 v1, 0
	s_clause 0x1
	scratch_load_b128 v[38:41], off, off offset:688
	scratch_load_b128 v[183:186], off, off offset:704
	s_mov_b32 s2, exec_lo
	ds_load_b128 v[34:37], v1 offset:1488
	ds_load_b128 v[179:182], v1 offset:1504
	s_waitcnt vmcnt(9) lgkmcnt(1)
	v_mul_f64 v[44:45], v[36:37], v[4:5]
	v_mul_f64 v[4:5], v[34:35], v[4:5]
	s_waitcnt vmcnt(8) lgkmcnt(0)
	v_mul_f64 v[46:47], v[179:180], v[8:9]
	v_mul_f64 v[8:9], v[181:182], v[8:9]
	s_delay_alu instid0(VALU_DEP_4) | instskip(NEXT) | instid1(VALU_DEP_4)
	v_fma_f64 v[44:45], v[34:35], v[2:3], -v[44:45]
	v_fma_f64 v[48:49], v[36:37], v[2:3], v[4:5]
	ds_load_b128 v[2:5], v1 offset:1520
	scratch_load_b128 v[34:37], off, off offset:720
	v_fma_f64 v[46:47], v[181:182], v[6:7], v[46:47]
	v_fma_f64 v[52:53], v[179:180], v[6:7], -v[8:9]
	scratch_load_b128 v[179:182], off, off offset:736
	ds_load_b128 v[6:9], v1 offset:1536
	s_waitcnt vmcnt(9) lgkmcnt(1)
	v_mul_f64 v[50:51], v[2:3], v[12:13]
	v_mul_f64 v[12:13], v[4:5], v[12:13]
	s_waitcnt vmcnt(8) lgkmcnt(0)
	v_mul_f64 v[54:55], v[6:7], v[16:17]
	v_mul_f64 v[16:17], v[8:9], v[16:17]
	v_add_f64 v[44:45], v[44:45], 0
	v_add_f64 v[48:49], v[48:49], 0
	v_fma_f64 v[50:51], v[4:5], v[10:11], v[50:51]
	v_fma_f64 v[56:57], v[2:3], v[10:11], -v[12:13]
	ds_load_b128 v[2:5], v1 offset:1552
	scratch_load_b128 v[10:13], off, off offset:752
	v_add_f64 v[44:45], v[44:45], v[52:53]
	v_add_f64 v[46:47], v[48:49], v[46:47]
	v_fma_f64 v[52:53], v[8:9], v[14:15], v[54:55]
	v_fma_f64 v[54:55], v[6:7], v[14:15], -v[16:17]
	scratch_load_b128 v[14:17], off, off offset:768
	ds_load_b128 v[6:9], v1 offset:1568
	s_waitcnt vmcnt(9) lgkmcnt(1)
	v_mul_f64 v[48:49], v[2:3], v[20:21]
	v_mul_f64 v[20:21], v[4:5], v[20:21]
	v_add_f64 v[44:45], v[44:45], v[56:57]
	v_add_f64 v[46:47], v[46:47], v[50:51]
	s_waitcnt vmcnt(8) lgkmcnt(0)
	v_mul_f64 v[50:51], v[6:7], v[24:25]
	v_mul_f64 v[24:25], v[8:9], v[24:25]
	v_fma_f64 v[48:49], v[4:5], v[18:19], v[48:49]
	v_fma_f64 v[56:57], v[2:3], v[18:19], -v[20:21]
	ds_load_b128 v[2:5], v1 offset:1584
	scratch_load_b128 v[18:21], off, off offset:784
	v_add_f64 v[44:45], v[44:45], v[54:55]
	v_add_f64 v[46:47], v[46:47], v[52:53]
	v_fma_f64 v[50:51], v[8:9], v[22:23], v[50:51]
	v_fma_f64 v[54:55], v[6:7], v[22:23], -v[24:25]
	scratch_load_b128 v[22:25], off, off offset:800
	ds_load_b128 v[6:9], v1 offset:1600
	s_waitcnt vmcnt(9) lgkmcnt(1)
	v_mul_f64 v[52:53], v[2:3], v[28:29]
	v_mul_f64 v[28:29], v[4:5], v[28:29]
	v_add_f64 v[44:45], v[44:45], v[56:57]
	v_add_f64 v[46:47], v[46:47], v[48:49]
	s_waitcnt vmcnt(8) lgkmcnt(0)
	v_mul_f64 v[48:49], v[6:7], v[32:33]
	v_mul_f64 v[32:33], v[8:9], v[32:33]
	v_fma_f64 v[52:53], v[4:5], v[26:27], v[52:53]
	v_fma_f64 v[56:57], v[2:3], v[26:27], -v[28:29]
	ds_load_b128 v[2:5], v1 offset:1616
	scratch_load_b128 v[26:29], off, off offset:816
	v_add_f64 v[44:45], v[44:45], v[54:55]
	v_add_f64 v[46:47], v[46:47], v[50:51]
	v_fma_f64 v[48:49], v[8:9], v[30:31], v[48:49]
	v_fma_f64 v[54:55], v[6:7], v[30:31], -v[32:33]
	ds_load_b128 v[6:9], v1 offset:1632
	s_waitcnt vmcnt(8) lgkmcnt(1)
	v_mul_f64 v[50:51], v[2:3], v[40:41]
	v_mul_f64 v[40:41], v[4:5], v[40:41]
	scratch_load_b128 v[30:33], off, off offset:832
	v_add_f64 v[44:45], v[44:45], v[56:57]
	v_add_f64 v[46:47], v[46:47], v[52:53]
	s_waitcnt vmcnt(8) lgkmcnt(0)
	v_mul_f64 v[52:53], v[6:7], v[185:186]
	v_mul_f64 v[56:57], v[8:9], v[185:186]
	v_fma_f64 v[50:51], v[4:5], v[38:39], v[50:51]
	v_fma_f64 v[58:59], v[2:3], v[38:39], -v[40:41]
	scratch_load_b128 v[38:41], off, off offset:848
	ds_load_b128 v[2:5], v1 offset:1648
	v_add_f64 v[44:45], v[44:45], v[54:55]
	v_add_f64 v[46:47], v[46:47], v[48:49]
	v_fma_f64 v[52:53], v[8:9], v[183:184], v[52:53]
	v_fma_f64 v[54:55], v[6:7], v[183:184], -v[56:57]
	ds_load_b128 v[6:9], v1 offset:1664
	scratch_load_b128 v[183:186], off, off offset:864
	s_waitcnt vmcnt(9) lgkmcnt(1)
	v_mul_f64 v[48:49], v[2:3], v[36:37]
	v_mul_f64 v[36:37], v[4:5], v[36:37]
	s_waitcnt vmcnt(8) lgkmcnt(0)
	v_mul_f64 v[56:57], v[8:9], v[181:182]
	v_add_f64 v[44:45], v[44:45], v[58:59]
	v_add_f64 v[46:47], v[46:47], v[50:51]
	v_mul_f64 v[50:51], v[6:7], v[181:182]
	v_fma_f64 v[48:49], v[4:5], v[34:35], v[48:49]
	v_fma_f64 v[58:59], v[2:3], v[34:35], -v[36:37]
	scratch_load_b128 v[34:37], off, off offset:880
	ds_load_b128 v[2:5], v1 offset:1680
	v_add_f64 v[44:45], v[44:45], v[54:55]
	v_add_f64 v[46:47], v[46:47], v[52:53]
	v_fma_f64 v[50:51], v[8:9], v[179:180], v[50:51]
	v_fma_f64 v[54:55], v[6:7], v[179:180], -v[56:57]
	ds_load_b128 v[6:9], v1 offset:1696
	s_waitcnt vmcnt(8) lgkmcnt(1)
	v_mul_f64 v[52:53], v[2:3], v[12:13]
	v_mul_f64 v[12:13], v[4:5], v[12:13]
	scratch_load_b128 v[179:182], off, off offset:896
	v_add_f64 v[44:45], v[44:45], v[58:59]
	v_add_f64 v[46:47], v[46:47], v[48:49]
	s_waitcnt vmcnt(8) lgkmcnt(0)
	v_mul_f64 v[48:49], v[6:7], v[16:17]
	v_mul_f64 v[16:17], v[8:9], v[16:17]
	v_fma_f64 v[52:53], v[4:5], v[10:11], v[52:53]
	v_fma_f64 v[56:57], v[2:3], v[10:11], -v[12:13]
	scratch_load_b128 v[10:13], off, off offset:912
	ds_load_b128 v[2:5], v1 offset:1712
	v_add_f64 v[44:45], v[44:45], v[54:55]
	v_add_f64 v[46:47], v[46:47], v[50:51]
	v_fma_f64 v[48:49], v[8:9], v[14:15], v[48:49]
	v_fma_f64 v[14:15], v[6:7], v[14:15], -v[16:17]
	ds_load_b128 v[6:9], v1 offset:1728
	s_waitcnt vmcnt(8) lgkmcnt(1)
	v_mul_f64 v[50:51], v[2:3], v[20:21]
	v_mul_f64 v[20:21], v[4:5], v[20:21]
	v_add_f64 v[16:17], v[44:45], v[56:57]
	v_add_f64 v[44:45], v[46:47], v[52:53]
	s_waitcnt vmcnt(7) lgkmcnt(0)
	v_mul_f64 v[46:47], v[6:7], v[24:25]
	v_mul_f64 v[24:25], v[8:9], v[24:25]
	v_fma_f64 v[50:51], v[4:5], v[18:19], v[50:51]
	v_fma_f64 v[18:19], v[2:3], v[18:19], -v[20:21]
	ds_load_b128 v[2:5], v1 offset:1744
	v_add_f64 v[14:15], v[16:17], v[14:15]
	v_add_f64 v[16:17], v[44:45], v[48:49]
	v_fma_f64 v[44:45], v[8:9], v[22:23], v[46:47]
	v_fma_f64 v[22:23], v[6:7], v[22:23], -v[24:25]
	ds_load_b128 v[6:9], v1 offset:1760
	s_waitcnt vmcnt(5) lgkmcnt(0)
	v_mul_f64 v[46:47], v[6:7], v[32:33]
	v_mul_f64 v[32:33], v[8:9], v[32:33]
	v_add_f64 v[18:19], v[14:15], v[18:19]
	v_add_f64 v[24:25], v[16:17], v[50:51]
	scratch_load_b128 v[14:17], off, off offset:544
	v_mul_f64 v[20:21], v[2:3], v[28:29]
	v_mul_f64 v[28:29], v[4:5], v[28:29]
	v_add_f64 v[18:19], v[18:19], v[22:23]
	v_add_f64 v[22:23], v[24:25], v[44:45]
	s_delay_alu instid0(VALU_DEP_4) | instskip(NEXT) | instid1(VALU_DEP_4)
	v_fma_f64 v[20:21], v[4:5], v[26:27], v[20:21]
	v_fma_f64 v[26:27], v[2:3], v[26:27], -v[28:29]
	ds_load_b128 v[2:5], v1 offset:1776
	s_waitcnt vmcnt(5) lgkmcnt(0)
	v_mul_f64 v[24:25], v[2:3], v[40:41]
	v_mul_f64 v[28:29], v[4:5], v[40:41]
	v_fma_f64 v[40:41], v[8:9], v[30:31], v[46:47]
	v_fma_f64 v[30:31], v[6:7], v[30:31], -v[32:33]
	ds_load_b128 v[6:9], v1 offset:1792
	v_add_f64 v[20:21], v[22:23], v[20:21]
	v_add_f64 v[18:19], v[18:19], v[26:27]
	v_fma_f64 v[24:25], v[4:5], v[38:39], v[24:25]
	v_fma_f64 v[28:29], v[2:3], v[38:39], -v[28:29]
	ds_load_b128 v[2:5], v1 offset:1808
	s_waitcnt vmcnt(4) lgkmcnt(1)
	v_mul_f64 v[22:23], v[6:7], v[185:186]
	v_mul_f64 v[26:27], v[8:9], v[185:186]
	v_add_f64 v[20:21], v[20:21], v[40:41]
	v_add_f64 v[18:19], v[18:19], v[30:31]
	s_waitcnt vmcnt(3) lgkmcnt(0)
	v_mul_f64 v[30:31], v[2:3], v[36:37]
	v_mul_f64 v[32:33], v[4:5], v[36:37]
	v_fma_f64 v[22:23], v[8:9], v[183:184], v[22:23]
	v_fma_f64 v[26:27], v[6:7], v[183:184], -v[26:27]
	ds_load_b128 v[6:9], v1 offset:1824
	v_add_f64 v[20:21], v[20:21], v[24:25]
	v_add_f64 v[18:19], v[18:19], v[28:29]
	v_fma_f64 v[30:31], v[4:5], v[34:35], v[30:31]
	v_fma_f64 v[32:33], v[2:3], v[34:35], -v[32:33]
	ds_load_b128 v[2:5], v1 offset:1840
	s_waitcnt vmcnt(2) lgkmcnt(1)
	v_mul_f64 v[24:25], v[6:7], v[181:182]
	v_mul_f64 v[28:29], v[8:9], v[181:182]
	v_add_f64 v[20:21], v[20:21], v[22:23]
	v_add_f64 v[18:19], v[18:19], v[26:27]
	s_waitcnt vmcnt(1) lgkmcnt(0)
	v_mul_f64 v[22:23], v[2:3], v[12:13]
	v_mul_f64 v[12:13], v[4:5], v[12:13]
	v_fma_f64 v[8:9], v[8:9], v[179:180], v[24:25]
	v_fma_f64 v[6:7], v[6:7], v[179:180], -v[28:29]
	v_add_f64 v[20:21], v[20:21], v[30:31]
	v_add_f64 v[18:19], v[18:19], v[32:33]
	v_fma_f64 v[4:5], v[4:5], v[10:11], v[22:23]
	v_fma_f64 v[2:3], v[2:3], v[10:11], -v[12:13]
	s_delay_alu instid0(VALU_DEP_4) | instskip(NEXT) | instid1(VALU_DEP_4)
	v_add_f64 v[8:9], v[20:21], v[8:9]
	v_add_f64 v[6:7], v[18:19], v[6:7]
	s_delay_alu instid0(VALU_DEP_2) | instskip(NEXT) | instid1(VALU_DEP_2)
	v_add_f64 v[4:5], v[8:9], v[4:5]
	v_add_f64 v[2:3], v[6:7], v[2:3]
	s_waitcnt vmcnt(0)
	s_delay_alu instid0(VALU_DEP_2) | instskip(NEXT) | instid1(VALU_DEP_2)
	v_add_f64 v[4:5], v[16:17], -v[4:5]
	v_add_f64 v[2:3], v[14:15], -v[2:3]
	scratch_store_b128 off, v[2:5], off offset:544
	v_cmpx_lt_u32_e32 33, v158
	s_cbranch_execz .LBB57_295
; %bb.294:
	scratch_load_b32 v2, off, off offset:948 ; 4-byte Folded Reload
	v_mov_b32_e32 v3, v1
	v_mov_b32_e32 v4, v1
	s_waitcnt vmcnt(0)
	scratch_load_b128 v[5:8], v2, off
	v_mov_b32_e32 v2, v1
	scratch_store_b128 off, v[1:4], off offset:528
	s_waitcnt vmcnt(0)
	ds_store_b128 v216, v[5:8]
.LBB57_295:
	s_or_b32 exec_lo, exec_lo, s2
	s_waitcnt lgkmcnt(0)
	s_waitcnt_vscnt null, 0x0
	s_barrier
	buffer_gl0_inv
	s_clause 0x7
	scratch_load_b128 v[2:5], off, off offset:544
	scratch_load_b128 v[6:9], off, off offset:560
	;; [unrolled: 1-line block ×8, first 2 shown]
	ds_load_b128 v[34:37], v1 offset:1472
	ds_load_b128 v[179:182], v1 offset:1488
	s_clause 0x1
	scratch_load_b128 v[38:41], off, off offset:672
	scratch_load_b128 v[183:186], off, off offset:688
	s_mov_b32 s2, exec_lo
	s_waitcnt vmcnt(9) lgkmcnt(1)
	v_mul_f64 v[44:45], v[36:37], v[4:5]
	v_mul_f64 v[4:5], v[34:35], v[4:5]
	s_waitcnt vmcnt(8) lgkmcnt(0)
	v_mul_f64 v[46:47], v[179:180], v[8:9]
	v_mul_f64 v[8:9], v[181:182], v[8:9]
	s_delay_alu instid0(VALU_DEP_4) | instskip(NEXT) | instid1(VALU_DEP_4)
	v_fma_f64 v[44:45], v[34:35], v[2:3], -v[44:45]
	v_fma_f64 v[48:49], v[36:37], v[2:3], v[4:5]
	ds_load_b128 v[2:5], v1 offset:1504
	scratch_load_b128 v[34:37], off, off offset:704
	v_fma_f64 v[46:47], v[181:182], v[6:7], v[46:47]
	v_fma_f64 v[52:53], v[179:180], v[6:7], -v[8:9]
	scratch_load_b128 v[179:182], off, off offset:720
	ds_load_b128 v[6:9], v1 offset:1520
	s_waitcnt vmcnt(9) lgkmcnt(1)
	v_mul_f64 v[50:51], v[2:3], v[12:13]
	v_mul_f64 v[12:13], v[4:5], v[12:13]
	s_waitcnt vmcnt(8) lgkmcnt(0)
	v_mul_f64 v[54:55], v[6:7], v[16:17]
	v_mul_f64 v[16:17], v[8:9], v[16:17]
	v_add_f64 v[44:45], v[44:45], 0
	v_add_f64 v[48:49], v[48:49], 0
	v_fma_f64 v[50:51], v[4:5], v[10:11], v[50:51]
	v_fma_f64 v[56:57], v[2:3], v[10:11], -v[12:13]
	ds_load_b128 v[2:5], v1 offset:1536
	scratch_load_b128 v[10:13], off, off offset:736
	v_add_f64 v[44:45], v[44:45], v[52:53]
	v_add_f64 v[46:47], v[48:49], v[46:47]
	v_fma_f64 v[52:53], v[8:9], v[14:15], v[54:55]
	v_fma_f64 v[54:55], v[6:7], v[14:15], -v[16:17]
	scratch_load_b128 v[14:17], off, off offset:752
	ds_load_b128 v[6:9], v1 offset:1552
	s_waitcnt vmcnt(9) lgkmcnt(1)
	v_mul_f64 v[48:49], v[2:3], v[20:21]
	v_mul_f64 v[20:21], v[4:5], v[20:21]
	v_add_f64 v[44:45], v[44:45], v[56:57]
	v_add_f64 v[46:47], v[46:47], v[50:51]
	s_waitcnt vmcnt(8) lgkmcnt(0)
	v_mul_f64 v[50:51], v[6:7], v[24:25]
	v_mul_f64 v[24:25], v[8:9], v[24:25]
	v_fma_f64 v[48:49], v[4:5], v[18:19], v[48:49]
	v_fma_f64 v[56:57], v[2:3], v[18:19], -v[20:21]
	ds_load_b128 v[2:5], v1 offset:1568
	scratch_load_b128 v[18:21], off, off offset:768
	v_add_f64 v[44:45], v[44:45], v[54:55]
	v_add_f64 v[46:47], v[46:47], v[52:53]
	v_fma_f64 v[50:51], v[8:9], v[22:23], v[50:51]
	v_fma_f64 v[54:55], v[6:7], v[22:23], -v[24:25]
	scratch_load_b128 v[22:25], off, off offset:784
	ds_load_b128 v[6:9], v1 offset:1584
	s_waitcnt vmcnt(9) lgkmcnt(1)
	v_mul_f64 v[52:53], v[2:3], v[28:29]
	v_mul_f64 v[28:29], v[4:5], v[28:29]
	v_add_f64 v[44:45], v[44:45], v[56:57]
	v_add_f64 v[46:47], v[46:47], v[48:49]
	s_waitcnt vmcnt(8) lgkmcnt(0)
	v_mul_f64 v[48:49], v[6:7], v[32:33]
	v_mul_f64 v[32:33], v[8:9], v[32:33]
	v_fma_f64 v[52:53], v[4:5], v[26:27], v[52:53]
	v_fma_f64 v[56:57], v[2:3], v[26:27], -v[28:29]
	ds_load_b128 v[2:5], v1 offset:1600
	scratch_load_b128 v[26:29], off, off offset:800
	v_add_f64 v[44:45], v[44:45], v[54:55]
	v_add_f64 v[46:47], v[46:47], v[50:51]
	v_fma_f64 v[48:49], v[8:9], v[30:31], v[48:49]
	v_fma_f64 v[54:55], v[6:7], v[30:31], -v[32:33]
	ds_load_b128 v[6:9], v1 offset:1616
	s_waitcnt vmcnt(8) lgkmcnt(1)
	v_mul_f64 v[50:51], v[2:3], v[40:41]
	v_mul_f64 v[40:41], v[4:5], v[40:41]
	scratch_load_b128 v[30:33], off, off offset:816
	v_add_f64 v[44:45], v[44:45], v[56:57]
	v_add_f64 v[46:47], v[46:47], v[52:53]
	s_waitcnt vmcnt(8) lgkmcnt(0)
	v_mul_f64 v[52:53], v[6:7], v[185:186]
	v_mul_f64 v[56:57], v[8:9], v[185:186]
	v_fma_f64 v[50:51], v[4:5], v[38:39], v[50:51]
	v_fma_f64 v[58:59], v[2:3], v[38:39], -v[40:41]
	ds_load_b128 v[2:5], v1 offset:1632
	scratch_load_b128 v[38:41], off, off offset:832
	v_add_f64 v[44:45], v[44:45], v[54:55]
	v_add_f64 v[46:47], v[46:47], v[48:49]
	v_fma_f64 v[52:53], v[8:9], v[183:184], v[52:53]
	v_fma_f64 v[54:55], v[6:7], v[183:184], -v[56:57]
	ds_load_b128 v[6:9], v1 offset:1648
	scratch_load_b128 v[183:186], off, off offset:848
	s_waitcnt vmcnt(9) lgkmcnt(1)
	v_mul_f64 v[48:49], v[2:3], v[36:37]
	v_mul_f64 v[36:37], v[4:5], v[36:37]
	s_waitcnt vmcnt(8) lgkmcnt(0)
	v_mul_f64 v[56:57], v[8:9], v[181:182]
	v_add_f64 v[44:45], v[44:45], v[58:59]
	v_add_f64 v[46:47], v[46:47], v[50:51]
	v_mul_f64 v[50:51], v[6:7], v[181:182]
	v_fma_f64 v[48:49], v[4:5], v[34:35], v[48:49]
	v_fma_f64 v[58:59], v[2:3], v[34:35], -v[36:37]
	scratch_load_b128 v[34:37], off, off offset:864
	ds_load_b128 v[2:5], v1 offset:1664
	v_add_f64 v[44:45], v[44:45], v[54:55]
	v_add_f64 v[46:47], v[46:47], v[52:53]
	v_fma_f64 v[50:51], v[8:9], v[179:180], v[50:51]
	v_fma_f64 v[54:55], v[6:7], v[179:180], -v[56:57]
	ds_load_b128 v[6:9], v1 offset:1680
	s_waitcnt vmcnt(8) lgkmcnt(1)
	v_mul_f64 v[52:53], v[2:3], v[12:13]
	v_mul_f64 v[12:13], v[4:5], v[12:13]
	scratch_load_b128 v[179:182], off, off offset:880
	v_add_f64 v[44:45], v[44:45], v[58:59]
	v_add_f64 v[46:47], v[46:47], v[48:49]
	s_waitcnt vmcnt(8) lgkmcnt(0)
	v_mul_f64 v[48:49], v[6:7], v[16:17]
	v_mul_f64 v[16:17], v[8:9], v[16:17]
	v_fma_f64 v[52:53], v[4:5], v[10:11], v[52:53]
	v_fma_f64 v[56:57], v[2:3], v[10:11], -v[12:13]
	scratch_load_b128 v[10:13], off, off offset:896
	ds_load_b128 v[2:5], v1 offset:1696
	v_add_f64 v[44:45], v[44:45], v[54:55]
	v_add_f64 v[46:47], v[46:47], v[50:51]
	v_fma_f64 v[48:49], v[8:9], v[14:15], v[48:49]
	v_fma_f64 v[54:55], v[6:7], v[14:15], -v[16:17]
	ds_load_b128 v[6:9], v1 offset:1712
	s_waitcnt vmcnt(8) lgkmcnt(1)
	v_mul_f64 v[50:51], v[2:3], v[20:21]
	v_mul_f64 v[20:21], v[4:5], v[20:21]
	scratch_load_b128 v[14:17], off, off offset:912
	v_add_f64 v[44:45], v[44:45], v[56:57]
	v_add_f64 v[46:47], v[46:47], v[52:53]
	s_waitcnt vmcnt(8) lgkmcnt(0)
	v_mul_f64 v[52:53], v[6:7], v[24:25]
	v_mul_f64 v[24:25], v[8:9], v[24:25]
	v_fma_f64 v[50:51], v[4:5], v[18:19], v[50:51]
	v_fma_f64 v[18:19], v[2:3], v[18:19], -v[20:21]
	ds_load_b128 v[2:5], v1 offset:1728
	v_add_f64 v[20:21], v[44:45], v[54:55]
	v_add_f64 v[44:45], v[46:47], v[48:49]
	v_fma_f64 v[48:49], v[8:9], v[22:23], v[52:53]
	v_fma_f64 v[22:23], v[6:7], v[22:23], -v[24:25]
	ds_load_b128 v[6:9], v1 offset:1744
	s_waitcnt vmcnt(7) lgkmcnt(1)
	v_mul_f64 v[46:47], v[2:3], v[28:29]
	v_mul_f64 v[28:29], v[4:5], v[28:29]
	v_add_f64 v[18:19], v[20:21], v[18:19]
	v_add_f64 v[20:21], v[44:45], v[50:51]
	s_delay_alu instid0(VALU_DEP_4) | instskip(NEXT) | instid1(VALU_DEP_4)
	v_fma_f64 v[44:45], v[4:5], v[26:27], v[46:47]
	v_fma_f64 v[26:27], v[2:3], v[26:27], -v[28:29]
	ds_load_b128 v[2:5], v1 offset:1760
	v_add_f64 v[22:23], v[18:19], v[22:23]
	v_add_f64 v[28:29], v[20:21], v[48:49]
	scratch_load_b128 v[18:21], off, off offset:528
	s_waitcnt vmcnt(7) lgkmcnt(1)
	v_mul_f64 v[24:25], v[6:7], v[32:33]
	v_mul_f64 v[32:33], v[8:9], v[32:33]
	v_add_f64 v[22:23], v[22:23], v[26:27]
	v_add_f64 v[26:27], v[28:29], v[44:45]
	s_delay_alu instid0(VALU_DEP_4) | instskip(NEXT) | instid1(VALU_DEP_4)
	v_fma_f64 v[24:25], v[8:9], v[30:31], v[24:25]
	v_fma_f64 v[30:31], v[6:7], v[30:31], -v[32:33]
	ds_load_b128 v[6:9], v1 offset:1776
	s_waitcnt vmcnt(6) lgkmcnt(1)
	v_mul_f64 v[46:47], v[2:3], v[40:41]
	v_mul_f64 v[40:41], v[4:5], v[40:41]
	s_waitcnt vmcnt(5) lgkmcnt(0)
	v_mul_f64 v[28:29], v[6:7], v[185:186]
	v_mul_f64 v[32:33], v[8:9], v[185:186]
	v_add_f64 v[24:25], v[26:27], v[24:25]
	v_add_f64 v[22:23], v[22:23], v[30:31]
	v_fma_f64 v[44:45], v[4:5], v[38:39], v[46:47]
	v_fma_f64 v[38:39], v[2:3], v[38:39], -v[40:41]
	ds_load_b128 v[2:5], v1 offset:1792
	v_fma_f64 v[28:29], v[8:9], v[183:184], v[28:29]
	v_fma_f64 v[32:33], v[6:7], v[183:184], -v[32:33]
	ds_load_b128 v[6:9], v1 offset:1808
	s_waitcnt vmcnt(4) lgkmcnt(1)
	v_mul_f64 v[26:27], v[2:3], v[36:37]
	v_mul_f64 v[30:31], v[4:5], v[36:37]
	v_add_f64 v[24:25], v[24:25], v[44:45]
	v_add_f64 v[22:23], v[22:23], v[38:39]
	s_waitcnt vmcnt(3) lgkmcnt(0)
	v_mul_f64 v[36:37], v[6:7], v[181:182]
	v_mul_f64 v[38:39], v[8:9], v[181:182]
	v_fma_f64 v[26:27], v[4:5], v[34:35], v[26:27]
	v_fma_f64 v[30:31], v[2:3], v[34:35], -v[30:31]
	ds_load_b128 v[2:5], v1 offset:1824
	v_add_f64 v[24:25], v[24:25], v[28:29]
	v_add_f64 v[22:23], v[22:23], v[32:33]
	v_fma_f64 v[32:33], v[8:9], v[179:180], v[36:37]
	v_fma_f64 v[34:35], v[6:7], v[179:180], -v[38:39]
	ds_load_b128 v[6:9], v1 offset:1840
	s_waitcnt vmcnt(2) lgkmcnt(1)
	v_mul_f64 v[28:29], v[2:3], v[12:13]
	v_mul_f64 v[12:13], v[4:5], v[12:13]
	v_add_f64 v[24:25], v[24:25], v[26:27]
	v_add_f64 v[22:23], v[22:23], v[30:31]
	s_waitcnt vmcnt(1) lgkmcnt(0)
	v_mul_f64 v[26:27], v[6:7], v[16:17]
	v_mul_f64 v[16:17], v[8:9], v[16:17]
	v_fma_f64 v[4:5], v[4:5], v[10:11], v[28:29]
	v_fma_f64 v[1:2], v[2:3], v[10:11], -v[12:13]
	v_add_f64 v[12:13], v[24:25], v[32:33]
	v_add_f64 v[10:11], v[22:23], v[34:35]
	v_fma_f64 v[8:9], v[8:9], v[14:15], v[26:27]
	v_fma_f64 v[6:7], v[6:7], v[14:15], -v[16:17]
	s_delay_alu instid0(VALU_DEP_4) | instskip(NEXT) | instid1(VALU_DEP_4)
	v_add_f64 v[3:4], v[12:13], v[4:5]
	v_add_f64 v[1:2], v[10:11], v[1:2]
	s_delay_alu instid0(VALU_DEP_2) | instskip(NEXT) | instid1(VALU_DEP_2)
	v_add_f64 v[3:4], v[3:4], v[8:9]
	v_add_f64 v[1:2], v[1:2], v[6:7]
	s_waitcnt vmcnt(0)
	s_delay_alu instid0(VALU_DEP_2) | instskip(NEXT) | instid1(VALU_DEP_2)
	v_add_f64 v[3:4], v[20:21], -v[3:4]
	v_add_f64 v[1:2], v[18:19], -v[1:2]
	scratch_store_b128 off, v[1:4], off offset:528
	v_cmpx_lt_u32_e32 32, v158
	s_cbranch_execz .LBB57_297
; %bb.296:
	scratch_load_b32 v1, off, off offset:952 ; 4-byte Folded Reload
	v_mov_b32_e32 v5, 0
	s_delay_alu instid0(VALU_DEP_1)
	v_mov_b32_e32 v6, v5
	v_mov_b32_e32 v7, v5
	v_mov_b32_e32 v8, v5
	s_waitcnt vmcnt(0)
	scratch_load_b128 v[1:4], v1, off
	scratch_store_b128 off, v[5:8], off offset:512
	s_waitcnt vmcnt(0)
	ds_store_b128 v216, v[1:4]
.LBB57_297:
	s_or_b32 exec_lo, exec_lo, s2
	s_waitcnt lgkmcnt(0)
	s_waitcnt_vscnt null, 0x0
	s_barrier
	buffer_gl0_inv
	s_clause 0x7
	scratch_load_b128 v[2:5], off, off offset:528
	scratch_load_b128 v[6:9], off, off offset:544
	;; [unrolled: 1-line block ×8, first 2 shown]
	v_mov_b32_e32 v1, 0
	s_clause 0x1
	scratch_load_b128 v[38:41], off, off offset:656
	scratch_load_b128 v[183:186], off, off offset:672
	s_mov_b32 s2, exec_lo
	ds_load_b128 v[34:37], v1 offset:1456
	ds_load_b128 v[179:182], v1 offset:1472
	s_waitcnt vmcnt(9) lgkmcnt(1)
	v_mul_f64 v[44:45], v[36:37], v[4:5]
	v_mul_f64 v[4:5], v[34:35], v[4:5]
	s_waitcnt vmcnt(8) lgkmcnt(0)
	v_mul_f64 v[46:47], v[179:180], v[8:9]
	v_mul_f64 v[8:9], v[181:182], v[8:9]
	s_delay_alu instid0(VALU_DEP_4) | instskip(NEXT) | instid1(VALU_DEP_4)
	v_fma_f64 v[44:45], v[34:35], v[2:3], -v[44:45]
	v_fma_f64 v[48:49], v[36:37], v[2:3], v[4:5]
	ds_load_b128 v[2:5], v1 offset:1488
	scratch_load_b128 v[34:37], off, off offset:688
	v_fma_f64 v[46:47], v[181:182], v[6:7], v[46:47]
	v_fma_f64 v[52:53], v[179:180], v[6:7], -v[8:9]
	scratch_load_b128 v[179:182], off, off offset:704
	ds_load_b128 v[6:9], v1 offset:1504
	s_waitcnt vmcnt(9) lgkmcnt(1)
	v_mul_f64 v[50:51], v[2:3], v[12:13]
	v_mul_f64 v[12:13], v[4:5], v[12:13]
	s_waitcnt vmcnt(8) lgkmcnt(0)
	v_mul_f64 v[54:55], v[6:7], v[16:17]
	v_mul_f64 v[16:17], v[8:9], v[16:17]
	v_add_f64 v[44:45], v[44:45], 0
	v_add_f64 v[48:49], v[48:49], 0
	v_fma_f64 v[50:51], v[4:5], v[10:11], v[50:51]
	v_fma_f64 v[56:57], v[2:3], v[10:11], -v[12:13]
	ds_load_b128 v[2:5], v1 offset:1520
	scratch_load_b128 v[10:13], off, off offset:720
	v_add_f64 v[44:45], v[44:45], v[52:53]
	v_add_f64 v[46:47], v[48:49], v[46:47]
	v_fma_f64 v[52:53], v[8:9], v[14:15], v[54:55]
	v_fma_f64 v[54:55], v[6:7], v[14:15], -v[16:17]
	scratch_load_b128 v[14:17], off, off offset:736
	ds_load_b128 v[6:9], v1 offset:1536
	s_waitcnt vmcnt(9) lgkmcnt(1)
	v_mul_f64 v[48:49], v[2:3], v[20:21]
	v_mul_f64 v[20:21], v[4:5], v[20:21]
	v_add_f64 v[44:45], v[44:45], v[56:57]
	v_add_f64 v[46:47], v[46:47], v[50:51]
	s_waitcnt vmcnt(8) lgkmcnt(0)
	v_mul_f64 v[50:51], v[6:7], v[24:25]
	v_mul_f64 v[24:25], v[8:9], v[24:25]
	v_fma_f64 v[48:49], v[4:5], v[18:19], v[48:49]
	v_fma_f64 v[56:57], v[2:3], v[18:19], -v[20:21]
	ds_load_b128 v[2:5], v1 offset:1552
	scratch_load_b128 v[18:21], off, off offset:752
	v_add_f64 v[44:45], v[44:45], v[54:55]
	v_add_f64 v[46:47], v[46:47], v[52:53]
	v_fma_f64 v[50:51], v[8:9], v[22:23], v[50:51]
	v_fma_f64 v[54:55], v[6:7], v[22:23], -v[24:25]
	scratch_load_b128 v[22:25], off, off offset:768
	ds_load_b128 v[6:9], v1 offset:1568
	s_waitcnt vmcnt(9) lgkmcnt(1)
	v_mul_f64 v[52:53], v[2:3], v[28:29]
	v_mul_f64 v[28:29], v[4:5], v[28:29]
	v_add_f64 v[44:45], v[44:45], v[56:57]
	v_add_f64 v[46:47], v[46:47], v[48:49]
	s_waitcnt vmcnt(8) lgkmcnt(0)
	v_mul_f64 v[48:49], v[6:7], v[32:33]
	v_mul_f64 v[32:33], v[8:9], v[32:33]
	;; [unrolled: 18-line block ×3, first 2 shown]
	v_fma_f64 v[50:51], v[4:5], v[38:39], v[50:51]
	v_fma_f64 v[58:59], v[2:3], v[38:39], -v[40:41]
	ds_load_b128 v[2:5], v1 offset:1616
	scratch_load_b128 v[38:41], off, off offset:816
	v_add_f64 v[44:45], v[44:45], v[54:55]
	v_add_f64 v[46:47], v[46:47], v[48:49]
	v_fma_f64 v[52:53], v[8:9], v[183:184], v[52:53]
	v_fma_f64 v[54:55], v[6:7], v[183:184], -v[56:57]
	ds_load_b128 v[6:9], v1 offset:1632
	scratch_load_b128 v[183:186], off, off offset:832
	s_waitcnt vmcnt(9) lgkmcnt(1)
	v_mul_f64 v[48:49], v[2:3], v[36:37]
	v_mul_f64 v[36:37], v[4:5], v[36:37]
	s_waitcnt vmcnt(8) lgkmcnt(0)
	v_mul_f64 v[56:57], v[8:9], v[181:182]
	v_add_f64 v[44:45], v[44:45], v[58:59]
	v_add_f64 v[46:47], v[46:47], v[50:51]
	v_mul_f64 v[50:51], v[6:7], v[181:182]
	v_fma_f64 v[48:49], v[4:5], v[34:35], v[48:49]
	v_fma_f64 v[58:59], v[2:3], v[34:35], -v[36:37]
	scratch_load_b128 v[34:37], off, off offset:848
	ds_load_b128 v[2:5], v1 offset:1648
	v_add_f64 v[44:45], v[44:45], v[54:55]
	v_add_f64 v[46:47], v[46:47], v[52:53]
	v_fma_f64 v[50:51], v[8:9], v[179:180], v[50:51]
	v_fma_f64 v[54:55], v[6:7], v[179:180], -v[56:57]
	ds_load_b128 v[6:9], v1 offset:1664
	s_waitcnt vmcnt(8) lgkmcnt(1)
	v_mul_f64 v[52:53], v[2:3], v[12:13]
	v_mul_f64 v[12:13], v[4:5], v[12:13]
	scratch_load_b128 v[179:182], off, off offset:864
	v_add_f64 v[44:45], v[44:45], v[58:59]
	v_add_f64 v[46:47], v[46:47], v[48:49]
	s_waitcnt vmcnt(8) lgkmcnt(0)
	v_mul_f64 v[48:49], v[6:7], v[16:17]
	v_mul_f64 v[16:17], v[8:9], v[16:17]
	v_fma_f64 v[52:53], v[4:5], v[10:11], v[52:53]
	v_fma_f64 v[56:57], v[2:3], v[10:11], -v[12:13]
	scratch_load_b128 v[10:13], off, off offset:880
	ds_load_b128 v[2:5], v1 offset:1680
	v_add_f64 v[44:45], v[44:45], v[54:55]
	v_add_f64 v[46:47], v[46:47], v[50:51]
	v_fma_f64 v[48:49], v[8:9], v[14:15], v[48:49]
	v_fma_f64 v[54:55], v[6:7], v[14:15], -v[16:17]
	ds_load_b128 v[6:9], v1 offset:1696
	s_waitcnt vmcnt(8) lgkmcnt(1)
	v_mul_f64 v[50:51], v[2:3], v[20:21]
	v_mul_f64 v[20:21], v[4:5], v[20:21]
	scratch_load_b128 v[14:17], off, off offset:896
	v_add_f64 v[44:45], v[44:45], v[56:57]
	v_add_f64 v[46:47], v[46:47], v[52:53]
	s_waitcnt vmcnt(8) lgkmcnt(0)
	v_mul_f64 v[52:53], v[6:7], v[24:25]
	v_mul_f64 v[24:25], v[8:9], v[24:25]
	v_fma_f64 v[50:51], v[4:5], v[18:19], v[50:51]
	v_fma_f64 v[56:57], v[2:3], v[18:19], -v[20:21]
	scratch_load_b128 v[18:21], off, off offset:912
	ds_load_b128 v[2:5], v1 offset:1712
	v_add_f64 v[44:45], v[44:45], v[54:55]
	v_add_f64 v[46:47], v[46:47], v[48:49]
	v_fma_f64 v[52:53], v[8:9], v[22:23], v[52:53]
	v_fma_f64 v[22:23], v[6:7], v[22:23], -v[24:25]
	ds_load_b128 v[6:9], v1 offset:1728
	s_waitcnt vmcnt(8) lgkmcnt(1)
	v_mul_f64 v[48:49], v[2:3], v[28:29]
	v_mul_f64 v[28:29], v[4:5], v[28:29]
	v_add_f64 v[24:25], v[44:45], v[56:57]
	v_add_f64 v[44:45], v[46:47], v[50:51]
	s_waitcnt vmcnt(7) lgkmcnt(0)
	v_mul_f64 v[46:47], v[6:7], v[32:33]
	v_mul_f64 v[32:33], v[8:9], v[32:33]
	v_fma_f64 v[48:49], v[4:5], v[26:27], v[48:49]
	v_fma_f64 v[26:27], v[2:3], v[26:27], -v[28:29]
	ds_load_b128 v[2:5], v1 offset:1744
	v_add_f64 v[22:23], v[24:25], v[22:23]
	v_add_f64 v[24:25], v[44:45], v[52:53]
	v_fma_f64 v[44:45], v[8:9], v[30:31], v[46:47]
	v_fma_f64 v[30:31], v[6:7], v[30:31], -v[32:33]
	ds_load_b128 v[6:9], v1 offset:1760
	s_waitcnt vmcnt(5) lgkmcnt(0)
	v_mul_f64 v[46:47], v[6:7], v[185:186]
	v_add_f64 v[26:27], v[22:23], v[26:27]
	v_add_f64 v[32:33], v[24:25], v[48:49]
	scratch_load_b128 v[22:25], off, off offset:512
	v_mul_f64 v[28:29], v[2:3], v[40:41]
	v_mul_f64 v[40:41], v[4:5], v[40:41]
	;; [unrolled: 1-line block ×3, first 2 shown]
	v_add_f64 v[26:27], v[26:27], v[30:31]
	v_add_f64 v[30:31], v[32:33], v[44:45]
	v_fma_f64 v[28:29], v[4:5], v[38:39], v[28:29]
	v_fma_f64 v[38:39], v[2:3], v[38:39], -v[40:41]
	ds_load_b128 v[2:5], v1 offset:1776
	v_fma_f64 v[40:41], v[8:9], v[183:184], v[46:47]
	v_fma_f64 v[44:45], v[6:7], v[183:184], -v[48:49]
	ds_load_b128 v[6:9], v1 offset:1792
	s_waitcnt vmcnt(5) lgkmcnt(1)
	v_mul_f64 v[32:33], v[2:3], v[36:37]
	v_mul_f64 v[36:37], v[4:5], v[36:37]
	v_add_f64 v[28:29], v[30:31], v[28:29]
	v_add_f64 v[26:27], v[26:27], v[38:39]
	s_waitcnt vmcnt(4) lgkmcnt(0)
	v_mul_f64 v[30:31], v[6:7], v[181:182]
	v_mul_f64 v[38:39], v[8:9], v[181:182]
	v_fma_f64 v[32:33], v[4:5], v[34:35], v[32:33]
	v_fma_f64 v[34:35], v[2:3], v[34:35], -v[36:37]
	ds_load_b128 v[2:5], v1 offset:1808
	v_add_f64 v[28:29], v[28:29], v[40:41]
	v_add_f64 v[26:27], v[26:27], v[44:45]
	v_fma_f64 v[30:31], v[8:9], v[179:180], v[30:31]
	v_fma_f64 v[38:39], v[6:7], v[179:180], -v[38:39]
	ds_load_b128 v[6:9], v1 offset:1824
	s_waitcnt vmcnt(3) lgkmcnt(1)
	v_mul_f64 v[36:37], v[2:3], v[12:13]
	v_mul_f64 v[12:13], v[4:5], v[12:13]
	v_add_f64 v[28:29], v[28:29], v[32:33]
	v_add_f64 v[26:27], v[26:27], v[34:35]
	s_waitcnt vmcnt(2) lgkmcnt(0)
	v_mul_f64 v[32:33], v[6:7], v[16:17]
	v_mul_f64 v[16:17], v[8:9], v[16:17]
	v_fma_f64 v[34:35], v[4:5], v[10:11], v[36:37]
	v_fma_f64 v[10:11], v[2:3], v[10:11], -v[12:13]
	ds_load_b128 v[2:5], v1 offset:1840
	v_add_f64 v[12:13], v[26:27], v[38:39]
	v_add_f64 v[26:27], v[28:29], v[30:31]
	s_waitcnt vmcnt(1) lgkmcnt(0)
	v_mul_f64 v[28:29], v[2:3], v[20:21]
	v_mul_f64 v[20:21], v[4:5], v[20:21]
	v_fma_f64 v[8:9], v[8:9], v[14:15], v[32:33]
	v_fma_f64 v[6:7], v[6:7], v[14:15], -v[16:17]
	v_add_f64 v[10:11], v[12:13], v[10:11]
	v_add_f64 v[12:13], v[26:27], v[34:35]
	v_fma_f64 v[4:5], v[4:5], v[18:19], v[28:29]
	v_fma_f64 v[2:3], v[2:3], v[18:19], -v[20:21]
	s_delay_alu instid0(VALU_DEP_4) | instskip(NEXT) | instid1(VALU_DEP_4)
	v_add_f64 v[6:7], v[10:11], v[6:7]
	v_add_f64 v[8:9], v[12:13], v[8:9]
	s_delay_alu instid0(VALU_DEP_2) | instskip(NEXT) | instid1(VALU_DEP_2)
	v_add_f64 v[2:3], v[6:7], v[2:3]
	v_add_f64 v[4:5], v[8:9], v[4:5]
	s_waitcnt vmcnt(0)
	s_delay_alu instid0(VALU_DEP_2) | instskip(NEXT) | instid1(VALU_DEP_2)
	v_add_f64 v[2:3], v[22:23], -v[2:3]
	v_add_f64 v[4:5], v[24:25], -v[4:5]
	scratch_store_b128 off, v[2:5], off offset:512
	v_cmpx_lt_u32_e32 31, v158
	s_cbranch_execz .LBB57_299
; %bb.298:
	scratch_load_b32 v2, off, off offset:960 ; 4-byte Folded Reload
	v_mov_b32_e32 v3, v1
	v_mov_b32_e32 v4, v1
	s_waitcnt vmcnt(0)
	scratch_load_b128 v[5:8], v2, off
	v_mov_b32_e32 v2, v1
	scratch_store_b128 off, v[1:4], off offset:496
	s_waitcnt vmcnt(0)
	ds_store_b128 v216, v[5:8]
.LBB57_299:
	s_or_b32 exec_lo, exec_lo, s2
	s_waitcnt lgkmcnt(0)
	s_waitcnt_vscnt null, 0x0
	s_barrier
	buffer_gl0_inv
	s_clause 0x7
	scratch_load_b128 v[2:5], off, off offset:512
	scratch_load_b128 v[6:9], off, off offset:528
	;; [unrolled: 1-line block ×8, first 2 shown]
	ds_load_b128 v[38:41], v1 offset:1440
	ds_load_b128 v[179:182], v1 offset:1456
	s_clause 0x1
	scratch_load_b128 v[34:37], off, off offset:640
	scratch_load_b128 v[183:186], off, off offset:656
	s_mov_b32 s2, exec_lo
	s_waitcnt vmcnt(9) lgkmcnt(1)
	v_mul_f64 v[44:45], v[40:41], v[4:5]
	v_mul_f64 v[4:5], v[38:39], v[4:5]
	s_waitcnt vmcnt(8) lgkmcnt(0)
	v_mul_f64 v[46:47], v[179:180], v[8:9]
	v_mul_f64 v[8:9], v[181:182], v[8:9]
	s_delay_alu instid0(VALU_DEP_4) | instskip(NEXT) | instid1(VALU_DEP_4)
	v_fma_f64 v[44:45], v[38:39], v[2:3], -v[44:45]
	v_fma_f64 v[48:49], v[40:41], v[2:3], v[4:5]
	ds_load_b128 v[2:5], v1 offset:1472
	scratch_load_b128 v[38:41], off, off offset:672
	v_fma_f64 v[46:47], v[181:182], v[6:7], v[46:47]
	v_fma_f64 v[52:53], v[179:180], v[6:7], -v[8:9]
	scratch_load_b128 v[179:182], off, off offset:688
	ds_load_b128 v[6:9], v1 offset:1488
	s_waitcnt vmcnt(9) lgkmcnt(1)
	v_mul_f64 v[50:51], v[2:3], v[12:13]
	v_mul_f64 v[12:13], v[4:5], v[12:13]
	s_waitcnt vmcnt(8) lgkmcnt(0)
	v_mul_f64 v[54:55], v[6:7], v[16:17]
	v_mul_f64 v[16:17], v[8:9], v[16:17]
	v_add_f64 v[44:45], v[44:45], 0
	v_add_f64 v[48:49], v[48:49], 0
	v_fma_f64 v[50:51], v[4:5], v[10:11], v[50:51]
	v_fma_f64 v[56:57], v[2:3], v[10:11], -v[12:13]
	ds_load_b128 v[2:5], v1 offset:1504
	scratch_load_b128 v[10:13], off, off offset:704
	v_add_f64 v[44:45], v[44:45], v[52:53]
	v_add_f64 v[46:47], v[48:49], v[46:47]
	v_fma_f64 v[52:53], v[8:9], v[14:15], v[54:55]
	v_fma_f64 v[54:55], v[6:7], v[14:15], -v[16:17]
	scratch_load_b128 v[14:17], off, off offset:720
	ds_load_b128 v[6:9], v1 offset:1520
	s_waitcnt vmcnt(9) lgkmcnt(1)
	v_mul_f64 v[48:49], v[2:3], v[20:21]
	v_mul_f64 v[20:21], v[4:5], v[20:21]
	v_add_f64 v[44:45], v[44:45], v[56:57]
	v_add_f64 v[46:47], v[46:47], v[50:51]
	s_waitcnt vmcnt(8) lgkmcnt(0)
	v_mul_f64 v[50:51], v[6:7], v[24:25]
	v_mul_f64 v[24:25], v[8:9], v[24:25]
	v_fma_f64 v[48:49], v[4:5], v[18:19], v[48:49]
	v_fma_f64 v[56:57], v[2:3], v[18:19], -v[20:21]
	ds_load_b128 v[2:5], v1 offset:1536
	scratch_load_b128 v[18:21], off, off offset:736
	v_add_f64 v[44:45], v[44:45], v[54:55]
	v_add_f64 v[46:47], v[46:47], v[52:53]
	v_fma_f64 v[50:51], v[8:9], v[22:23], v[50:51]
	v_fma_f64 v[54:55], v[6:7], v[22:23], -v[24:25]
	scratch_load_b128 v[22:25], off, off offset:752
	ds_load_b128 v[6:9], v1 offset:1552
	s_waitcnt vmcnt(9) lgkmcnt(1)
	v_mul_f64 v[52:53], v[2:3], v[28:29]
	v_mul_f64 v[28:29], v[4:5], v[28:29]
	v_add_f64 v[44:45], v[44:45], v[56:57]
	v_add_f64 v[46:47], v[46:47], v[48:49]
	s_waitcnt vmcnt(8) lgkmcnt(0)
	v_mul_f64 v[48:49], v[6:7], v[32:33]
	v_mul_f64 v[32:33], v[8:9], v[32:33]
	;; [unrolled: 18-line block ×3, first 2 shown]
	v_fma_f64 v[50:51], v[4:5], v[34:35], v[50:51]
	v_fma_f64 v[58:59], v[2:3], v[34:35], -v[36:37]
	ds_load_b128 v[2:5], v1 offset:1600
	scratch_load_b128 v[34:37], off, off offset:800
	v_add_f64 v[44:45], v[44:45], v[54:55]
	v_add_f64 v[46:47], v[46:47], v[48:49]
	v_fma_f64 v[52:53], v[8:9], v[183:184], v[52:53]
	v_fma_f64 v[54:55], v[6:7], v[183:184], -v[56:57]
	ds_load_b128 v[6:9], v1 offset:1616
	scratch_load_b128 v[183:186], off, off offset:816
	s_waitcnt vmcnt(9) lgkmcnt(1)
	v_mul_f64 v[48:49], v[2:3], v[40:41]
	v_mul_f64 v[40:41], v[4:5], v[40:41]
	s_waitcnt vmcnt(8) lgkmcnt(0)
	v_mul_f64 v[56:57], v[8:9], v[181:182]
	v_add_f64 v[44:45], v[44:45], v[58:59]
	v_add_f64 v[46:47], v[46:47], v[50:51]
	v_mul_f64 v[50:51], v[6:7], v[181:182]
	v_fma_f64 v[48:49], v[4:5], v[38:39], v[48:49]
	v_fma_f64 v[58:59], v[2:3], v[38:39], -v[40:41]
	ds_load_b128 v[2:5], v1 offset:1632
	scratch_load_b128 v[38:41], off, off offset:832
	v_add_f64 v[44:45], v[44:45], v[54:55]
	v_add_f64 v[46:47], v[46:47], v[52:53]
	v_fma_f64 v[50:51], v[8:9], v[179:180], v[50:51]
	v_fma_f64 v[54:55], v[6:7], v[179:180], -v[56:57]
	ds_load_b128 v[6:9], v1 offset:1648
	s_waitcnt vmcnt(8) lgkmcnt(1)
	v_mul_f64 v[52:53], v[2:3], v[12:13]
	v_mul_f64 v[12:13], v[4:5], v[12:13]
	scratch_load_b128 v[179:182], off, off offset:848
	v_add_f64 v[44:45], v[44:45], v[58:59]
	v_add_f64 v[46:47], v[46:47], v[48:49]
	s_waitcnt vmcnt(8) lgkmcnt(0)
	v_mul_f64 v[48:49], v[6:7], v[16:17]
	v_mul_f64 v[16:17], v[8:9], v[16:17]
	v_fma_f64 v[52:53], v[4:5], v[10:11], v[52:53]
	v_fma_f64 v[56:57], v[2:3], v[10:11], -v[12:13]
	scratch_load_b128 v[10:13], off, off offset:864
	ds_load_b128 v[2:5], v1 offset:1664
	v_add_f64 v[44:45], v[44:45], v[54:55]
	v_add_f64 v[46:47], v[46:47], v[50:51]
	v_fma_f64 v[48:49], v[8:9], v[14:15], v[48:49]
	v_fma_f64 v[54:55], v[6:7], v[14:15], -v[16:17]
	ds_load_b128 v[6:9], v1 offset:1680
	s_waitcnt vmcnt(8) lgkmcnt(1)
	v_mul_f64 v[50:51], v[2:3], v[20:21]
	v_mul_f64 v[20:21], v[4:5], v[20:21]
	scratch_load_b128 v[14:17], off, off offset:880
	v_add_f64 v[44:45], v[44:45], v[56:57]
	v_add_f64 v[46:47], v[46:47], v[52:53]
	s_waitcnt vmcnt(8) lgkmcnt(0)
	v_mul_f64 v[52:53], v[6:7], v[24:25]
	v_mul_f64 v[24:25], v[8:9], v[24:25]
	v_fma_f64 v[50:51], v[4:5], v[18:19], v[50:51]
	v_fma_f64 v[56:57], v[2:3], v[18:19], -v[20:21]
	scratch_load_b128 v[18:21], off, off offset:896
	ds_load_b128 v[2:5], v1 offset:1696
	v_add_f64 v[44:45], v[44:45], v[54:55]
	v_add_f64 v[46:47], v[46:47], v[48:49]
	v_fma_f64 v[52:53], v[8:9], v[22:23], v[52:53]
	v_fma_f64 v[54:55], v[6:7], v[22:23], -v[24:25]
	ds_load_b128 v[6:9], v1 offset:1712
	s_waitcnt vmcnt(8) lgkmcnt(1)
	v_mul_f64 v[48:49], v[2:3], v[28:29]
	v_mul_f64 v[28:29], v[4:5], v[28:29]
	scratch_load_b128 v[22:25], off, off offset:912
	v_add_f64 v[44:45], v[44:45], v[56:57]
	v_add_f64 v[46:47], v[46:47], v[50:51]
	s_waitcnt vmcnt(8) lgkmcnt(0)
	v_mul_f64 v[50:51], v[6:7], v[32:33]
	v_mul_f64 v[32:33], v[8:9], v[32:33]
	v_fma_f64 v[48:49], v[4:5], v[26:27], v[48:49]
	v_fma_f64 v[26:27], v[2:3], v[26:27], -v[28:29]
	ds_load_b128 v[2:5], v1 offset:1728
	v_add_f64 v[28:29], v[44:45], v[54:55]
	v_add_f64 v[44:45], v[46:47], v[52:53]
	v_fma_f64 v[50:51], v[8:9], v[30:31], v[50:51]
	v_fma_f64 v[30:31], v[6:7], v[30:31], -v[32:33]
	ds_load_b128 v[6:9], v1 offset:1744
	s_waitcnt vmcnt(7) lgkmcnt(1)
	v_mul_f64 v[46:47], v[2:3], v[36:37]
	v_mul_f64 v[36:37], v[4:5], v[36:37]
	v_add_f64 v[26:27], v[28:29], v[26:27]
	v_add_f64 v[28:29], v[44:45], v[48:49]
	s_delay_alu instid0(VALU_DEP_4) | instskip(NEXT) | instid1(VALU_DEP_4)
	v_fma_f64 v[46:47], v[4:5], v[34:35], v[46:47]
	v_fma_f64 v[34:35], v[2:3], v[34:35], -v[36:37]
	ds_load_b128 v[2:5], v1 offset:1760
	v_add_f64 v[30:31], v[26:27], v[30:31]
	v_add_f64 v[36:37], v[28:29], v[50:51]
	scratch_load_b128 v[26:29], off, off offset:496
	s_waitcnt vmcnt(7) lgkmcnt(1)
	v_mul_f64 v[32:33], v[6:7], v[185:186]
	v_mul_f64 v[44:45], v[8:9], v[185:186]
	v_add_f64 v[30:31], v[30:31], v[34:35]
	v_add_f64 v[34:35], v[36:37], v[46:47]
	s_delay_alu instid0(VALU_DEP_4) | instskip(NEXT) | instid1(VALU_DEP_4)
	v_fma_f64 v[32:33], v[8:9], v[183:184], v[32:33]
	v_fma_f64 v[44:45], v[6:7], v[183:184], -v[44:45]
	ds_load_b128 v[6:9], v1 offset:1776
	s_waitcnt vmcnt(6) lgkmcnt(1)
	v_mul_f64 v[48:49], v[2:3], v[40:41]
	v_mul_f64 v[40:41], v[4:5], v[40:41]
	s_waitcnt vmcnt(5) lgkmcnt(0)
	v_mul_f64 v[36:37], v[6:7], v[181:182]
	v_mul_f64 v[46:47], v[8:9], v[181:182]
	v_add_f64 v[32:33], v[34:35], v[32:33]
	v_add_f64 v[30:31], v[30:31], v[44:45]
	v_fma_f64 v[48:49], v[4:5], v[38:39], v[48:49]
	v_fma_f64 v[38:39], v[2:3], v[38:39], -v[40:41]
	ds_load_b128 v[2:5], v1 offset:1792
	v_fma_f64 v[36:37], v[8:9], v[179:180], v[36:37]
	v_fma_f64 v[40:41], v[6:7], v[179:180], -v[46:47]
	ds_load_b128 v[6:9], v1 offset:1808
	s_waitcnt vmcnt(4) lgkmcnt(1)
	v_mul_f64 v[34:35], v[2:3], v[12:13]
	v_mul_f64 v[12:13], v[4:5], v[12:13]
	v_add_f64 v[32:33], v[32:33], v[48:49]
	v_add_f64 v[30:31], v[30:31], v[38:39]
	s_waitcnt vmcnt(3) lgkmcnt(0)
	v_mul_f64 v[38:39], v[6:7], v[16:17]
	v_mul_f64 v[16:17], v[8:9], v[16:17]
	v_fma_f64 v[34:35], v[4:5], v[10:11], v[34:35]
	v_fma_f64 v[10:11], v[2:3], v[10:11], -v[12:13]
	ds_load_b128 v[2:5], v1 offset:1824
	v_add_f64 v[12:13], v[30:31], v[40:41]
	v_add_f64 v[30:31], v[32:33], v[36:37]
	v_fma_f64 v[36:37], v[8:9], v[14:15], v[38:39]
	v_fma_f64 v[14:15], v[6:7], v[14:15], -v[16:17]
	ds_load_b128 v[6:9], v1 offset:1840
	s_waitcnt vmcnt(2) lgkmcnt(1)
	v_mul_f64 v[32:33], v[2:3], v[20:21]
	v_mul_f64 v[20:21], v[4:5], v[20:21]
	s_waitcnt vmcnt(1) lgkmcnt(0)
	v_mul_f64 v[16:17], v[6:7], v[24:25]
	v_mul_f64 v[24:25], v[8:9], v[24:25]
	v_add_f64 v[10:11], v[12:13], v[10:11]
	v_add_f64 v[12:13], v[30:31], v[34:35]
	v_fma_f64 v[4:5], v[4:5], v[18:19], v[32:33]
	v_fma_f64 v[1:2], v[2:3], v[18:19], -v[20:21]
	v_fma_f64 v[8:9], v[8:9], v[22:23], v[16:17]
	v_fma_f64 v[6:7], v[6:7], v[22:23], -v[24:25]
	v_add_f64 v[10:11], v[10:11], v[14:15]
	v_add_f64 v[12:13], v[12:13], v[36:37]
	s_delay_alu instid0(VALU_DEP_2) | instskip(NEXT) | instid1(VALU_DEP_2)
	v_add_f64 v[1:2], v[10:11], v[1:2]
	v_add_f64 v[3:4], v[12:13], v[4:5]
	s_delay_alu instid0(VALU_DEP_2) | instskip(NEXT) | instid1(VALU_DEP_2)
	v_add_f64 v[1:2], v[1:2], v[6:7]
	v_add_f64 v[3:4], v[3:4], v[8:9]
	s_waitcnt vmcnt(0)
	s_delay_alu instid0(VALU_DEP_2) | instskip(NEXT) | instid1(VALU_DEP_2)
	v_add_f64 v[1:2], v[26:27], -v[1:2]
	v_add_f64 v[3:4], v[28:29], -v[3:4]
	scratch_store_b128 off, v[1:4], off offset:496
	v_cmpx_lt_u32_e32 30, v158
	s_cbranch_execz .LBB57_301
; %bb.300:
	scratch_load_b32 v1, off, off offset:956 ; 4-byte Folded Reload
	v_mov_b32_e32 v5, 0
	s_delay_alu instid0(VALU_DEP_1)
	v_mov_b32_e32 v6, v5
	v_mov_b32_e32 v7, v5
	;; [unrolled: 1-line block ×3, first 2 shown]
	s_waitcnt vmcnt(0)
	scratch_load_b128 v[1:4], v1, off
	scratch_store_b128 off, v[5:8], off offset:480
	s_waitcnt vmcnt(0)
	ds_store_b128 v216, v[1:4]
.LBB57_301:
	s_or_b32 exec_lo, exec_lo, s2
	s_waitcnt lgkmcnt(0)
	s_waitcnt_vscnt null, 0x0
	s_barrier
	buffer_gl0_inv
	s_clause 0x7
	scratch_load_b128 v[2:5], off, off offset:496
	scratch_load_b128 v[6:9], off, off offset:512
	;; [unrolled: 1-line block ×8, first 2 shown]
	v_mov_b32_e32 v1, 0
	s_clause 0x1
	scratch_load_b128 v[34:37], off, off offset:624
	scratch_load_b128 v[183:186], off, off offset:640
	s_mov_b32 s2, exec_lo
	ds_load_b128 v[38:41], v1 offset:1424
	ds_load_b128 v[179:182], v1 offset:1440
	s_waitcnt vmcnt(9) lgkmcnt(1)
	v_mul_f64 v[44:45], v[40:41], v[4:5]
	v_mul_f64 v[4:5], v[38:39], v[4:5]
	s_waitcnt vmcnt(8) lgkmcnt(0)
	v_mul_f64 v[46:47], v[179:180], v[8:9]
	v_mul_f64 v[8:9], v[181:182], v[8:9]
	s_delay_alu instid0(VALU_DEP_4) | instskip(NEXT) | instid1(VALU_DEP_4)
	v_fma_f64 v[44:45], v[38:39], v[2:3], -v[44:45]
	v_fma_f64 v[48:49], v[40:41], v[2:3], v[4:5]
	ds_load_b128 v[2:5], v1 offset:1456
	scratch_load_b128 v[38:41], off, off offset:656
	v_fma_f64 v[46:47], v[181:182], v[6:7], v[46:47]
	v_fma_f64 v[52:53], v[179:180], v[6:7], -v[8:9]
	scratch_load_b128 v[179:182], off, off offset:672
	ds_load_b128 v[6:9], v1 offset:1472
	s_waitcnt vmcnt(9) lgkmcnt(1)
	v_mul_f64 v[50:51], v[2:3], v[12:13]
	v_mul_f64 v[12:13], v[4:5], v[12:13]
	s_waitcnt vmcnt(8) lgkmcnt(0)
	v_mul_f64 v[54:55], v[6:7], v[16:17]
	v_mul_f64 v[16:17], v[8:9], v[16:17]
	v_add_f64 v[44:45], v[44:45], 0
	v_add_f64 v[48:49], v[48:49], 0
	v_fma_f64 v[50:51], v[4:5], v[10:11], v[50:51]
	v_fma_f64 v[56:57], v[2:3], v[10:11], -v[12:13]
	ds_load_b128 v[2:5], v1 offset:1488
	scratch_load_b128 v[10:13], off, off offset:688
	v_add_f64 v[44:45], v[44:45], v[52:53]
	v_add_f64 v[46:47], v[48:49], v[46:47]
	v_fma_f64 v[52:53], v[8:9], v[14:15], v[54:55]
	v_fma_f64 v[54:55], v[6:7], v[14:15], -v[16:17]
	scratch_load_b128 v[14:17], off, off offset:704
	ds_load_b128 v[6:9], v1 offset:1504
	s_waitcnt vmcnt(9) lgkmcnt(1)
	v_mul_f64 v[48:49], v[2:3], v[20:21]
	v_mul_f64 v[20:21], v[4:5], v[20:21]
	v_add_f64 v[44:45], v[44:45], v[56:57]
	v_add_f64 v[46:47], v[46:47], v[50:51]
	s_waitcnt vmcnt(8) lgkmcnt(0)
	v_mul_f64 v[50:51], v[6:7], v[24:25]
	v_mul_f64 v[24:25], v[8:9], v[24:25]
	v_fma_f64 v[48:49], v[4:5], v[18:19], v[48:49]
	v_fma_f64 v[56:57], v[2:3], v[18:19], -v[20:21]
	ds_load_b128 v[2:5], v1 offset:1520
	scratch_load_b128 v[18:21], off, off offset:720
	v_add_f64 v[44:45], v[44:45], v[54:55]
	v_add_f64 v[46:47], v[46:47], v[52:53]
	v_fma_f64 v[50:51], v[8:9], v[22:23], v[50:51]
	v_fma_f64 v[54:55], v[6:7], v[22:23], -v[24:25]
	scratch_load_b128 v[22:25], off, off offset:736
	ds_load_b128 v[6:9], v1 offset:1536
	s_waitcnt vmcnt(9) lgkmcnt(1)
	v_mul_f64 v[52:53], v[2:3], v[28:29]
	v_mul_f64 v[28:29], v[4:5], v[28:29]
	v_add_f64 v[44:45], v[44:45], v[56:57]
	v_add_f64 v[46:47], v[46:47], v[48:49]
	s_waitcnt vmcnt(8) lgkmcnt(0)
	v_mul_f64 v[48:49], v[6:7], v[32:33]
	v_mul_f64 v[32:33], v[8:9], v[32:33]
	;; [unrolled: 18-line block ×3, first 2 shown]
	v_fma_f64 v[50:51], v[4:5], v[34:35], v[50:51]
	v_fma_f64 v[58:59], v[2:3], v[34:35], -v[36:37]
	ds_load_b128 v[2:5], v1 offset:1584
	scratch_load_b128 v[34:37], off, off offset:784
	v_add_f64 v[44:45], v[44:45], v[54:55]
	v_add_f64 v[46:47], v[46:47], v[48:49]
	v_fma_f64 v[52:53], v[8:9], v[183:184], v[52:53]
	v_fma_f64 v[54:55], v[6:7], v[183:184], -v[56:57]
	scratch_load_b128 v[183:186], off, off offset:800
	ds_load_b128 v[6:9], v1 offset:1600
	s_waitcnt vmcnt(9) lgkmcnt(1)
	v_mul_f64 v[48:49], v[2:3], v[40:41]
	v_mul_f64 v[40:41], v[4:5], v[40:41]
	s_waitcnt vmcnt(8) lgkmcnt(0)
	v_mul_f64 v[56:57], v[8:9], v[181:182]
	v_add_f64 v[44:45], v[44:45], v[58:59]
	v_add_f64 v[46:47], v[46:47], v[50:51]
	v_mul_f64 v[50:51], v[6:7], v[181:182]
	v_fma_f64 v[48:49], v[4:5], v[38:39], v[48:49]
	v_fma_f64 v[58:59], v[2:3], v[38:39], -v[40:41]
	ds_load_b128 v[2:5], v1 offset:1616
	scratch_load_b128 v[38:41], off, off offset:816
	v_add_f64 v[44:45], v[44:45], v[54:55]
	v_add_f64 v[46:47], v[46:47], v[52:53]
	v_fma_f64 v[50:51], v[8:9], v[179:180], v[50:51]
	v_fma_f64 v[54:55], v[6:7], v[179:180], -v[56:57]
	ds_load_b128 v[6:9], v1 offset:1632
	s_waitcnt vmcnt(8) lgkmcnt(1)
	v_mul_f64 v[52:53], v[2:3], v[12:13]
	v_mul_f64 v[12:13], v[4:5], v[12:13]
	scratch_load_b128 v[179:182], off, off offset:832
	v_add_f64 v[44:45], v[44:45], v[58:59]
	v_add_f64 v[46:47], v[46:47], v[48:49]
	s_waitcnt vmcnt(8) lgkmcnt(0)
	v_mul_f64 v[48:49], v[6:7], v[16:17]
	v_mul_f64 v[16:17], v[8:9], v[16:17]
	v_fma_f64 v[52:53], v[4:5], v[10:11], v[52:53]
	v_fma_f64 v[56:57], v[2:3], v[10:11], -v[12:13]
	scratch_load_b128 v[10:13], off, off offset:848
	ds_load_b128 v[2:5], v1 offset:1648
	v_add_f64 v[44:45], v[44:45], v[54:55]
	v_add_f64 v[46:47], v[46:47], v[50:51]
	v_fma_f64 v[48:49], v[8:9], v[14:15], v[48:49]
	v_fma_f64 v[54:55], v[6:7], v[14:15], -v[16:17]
	ds_load_b128 v[6:9], v1 offset:1664
	s_waitcnt vmcnt(8) lgkmcnt(1)
	v_mul_f64 v[50:51], v[2:3], v[20:21]
	v_mul_f64 v[20:21], v[4:5], v[20:21]
	scratch_load_b128 v[14:17], off, off offset:864
	v_add_f64 v[44:45], v[44:45], v[56:57]
	v_add_f64 v[46:47], v[46:47], v[52:53]
	s_waitcnt vmcnt(8) lgkmcnt(0)
	v_mul_f64 v[52:53], v[6:7], v[24:25]
	v_mul_f64 v[24:25], v[8:9], v[24:25]
	v_fma_f64 v[50:51], v[4:5], v[18:19], v[50:51]
	v_fma_f64 v[56:57], v[2:3], v[18:19], -v[20:21]
	scratch_load_b128 v[18:21], off, off offset:880
	ds_load_b128 v[2:5], v1 offset:1680
	;; [unrolled: 18-line block ×3, first 2 shown]
	v_add_f64 v[44:45], v[44:45], v[54:55]
	v_add_f64 v[46:47], v[46:47], v[52:53]
	v_fma_f64 v[50:51], v[8:9], v[30:31], v[50:51]
	v_fma_f64 v[30:31], v[6:7], v[30:31], -v[32:33]
	ds_load_b128 v[6:9], v1 offset:1728
	s_waitcnt vmcnt(8) lgkmcnt(1)
	v_mul_f64 v[52:53], v[2:3], v[36:37]
	v_mul_f64 v[36:37], v[4:5], v[36:37]
	v_add_f64 v[32:33], v[44:45], v[56:57]
	v_add_f64 v[44:45], v[46:47], v[48:49]
	s_waitcnt vmcnt(7) lgkmcnt(0)
	v_mul_f64 v[46:47], v[6:7], v[185:186]
	v_mul_f64 v[48:49], v[8:9], v[185:186]
	v_fma_f64 v[52:53], v[4:5], v[34:35], v[52:53]
	v_fma_f64 v[34:35], v[2:3], v[34:35], -v[36:37]
	ds_load_b128 v[2:5], v1 offset:1744
	v_add_f64 v[30:31], v[32:33], v[30:31]
	v_add_f64 v[32:33], v[44:45], v[50:51]
	v_fma_f64 v[44:45], v[8:9], v[183:184], v[46:47]
	v_fma_f64 v[46:47], v[6:7], v[183:184], -v[48:49]
	ds_load_b128 v[6:9], v1 offset:1760
	s_waitcnt vmcnt(5) lgkmcnt(0)
	v_mul_f64 v[50:51], v[6:7], v[181:182]
	v_add_f64 v[34:35], v[30:31], v[34:35]
	v_add_f64 v[48:49], v[32:33], v[52:53]
	scratch_load_b128 v[30:33], off, off offset:480
	v_mul_f64 v[36:37], v[2:3], v[40:41]
	v_mul_f64 v[40:41], v[4:5], v[40:41]
	;; [unrolled: 1-line block ×3, first 2 shown]
	v_add_f64 v[34:35], v[34:35], v[46:47]
	v_fma_f64 v[46:47], v[8:9], v[179:180], v[50:51]
	v_fma_f64 v[36:37], v[4:5], v[38:39], v[36:37]
	v_fma_f64 v[38:39], v[2:3], v[38:39], -v[40:41]
	v_add_f64 v[40:41], v[48:49], v[44:45]
	ds_load_b128 v[2:5], v1 offset:1776
	v_fma_f64 v[48:49], v[6:7], v[179:180], -v[52:53]
	ds_load_b128 v[6:9], v1 offset:1792
	s_waitcnt vmcnt(5) lgkmcnt(1)
	v_mul_f64 v[44:45], v[2:3], v[12:13]
	v_mul_f64 v[12:13], v[4:5], v[12:13]
	v_add_f64 v[34:35], v[34:35], v[38:39]
	v_add_f64 v[36:37], v[40:41], v[36:37]
	s_waitcnt vmcnt(4) lgkmcnt(0)
	v_mul_f64 v[38:39], v[6:7], v[16:17]
	v_mul_f64 v[16:17], v[8:9], v[16:17]
	v_fma_f64 v[40:41], v[4:5], v[10:11], v[44:45]
	v_fma_f64 v[10:11], v[2:3], v[10:11], -v[12:13]
	ds_load_b128 v[2:5], v1 offset:1808
	v_add_f64 v[12:13], v[34:35], v[48:49]
	v_add_f64 v[34:35], v[36:37], v[46:47]
	v_fma_f64 v[38:39], v[8:9], v[14:15], v[38:39]
	v_fma_f64 v[14:15], v[6:7], v[14:15], -v[16:17]
	ds_load_b128 v[6:9], v1 offset:1824
	s_waitcnt vmcnt(3) lgkmcnt(1)
	v_mul_f64 v[36:37], v[2:3], v[20:21]
	v_mul_f64 v[20:21], v[4:5], v[20:21]
	s_waitcnt vmcnt(2) lgkmcnt(0)
	v_mul_f64 v[16:17], v[6:7], v[24:25]
	v_mul_f64 v[24:25], v[8:9], v[24:25]
	v_add_f64 v[10:11], v[12:13], v[10:11]
	v_add_f64 v[12:13], v[34:35], v[40:41]
	v_fma_f64 v[34:35], v[4:5], v[18:19], v[36:37]
	v_fma_f64 v[18:19], v[2:3], v[18:19], -v[20:21]
	ds_load_b128 v[2:5], v1 offset:1840
	v_fma_f64 v[8:9], v[8:9], v[22:23], v[16:17]
	v_fma_f64 v[6:7], v[6:7], v[22:23], -v[24:25]
	s_waitcnt vmcnt(1) lgkmcnt(0)
	v_mul_f64 v[20:21], v[4:5], v[28:29]
	v_add_f64 v[10:11], v[10:11], v[14:15]
	v_add_f64 v[12:13], v[12:13], v[38:39]
	v_mul_f64 v[14:15], v[2:3], v[28:29]
	s_delay_alu instid0(VALU_DEP_4) | instskip(NEXT) | instid1(VALU_DEP_4)
	v_fma_f64 v[2:3], v[2:3], v[26:27], -v[20:21]
	v_add_f64 v[10:11], v[10:11], v[18:19]
	s_delay_alu instid0(VALU_DEP_4) | instskip(NEXT) | instid1(VALU_DEP_4)
	v_add_f64 v[12:13], v[12:13], v[34:35]
	v_fma_f64 v[4:5], v[4:5], v[26:27], v[14:15]
	s_delay_alu instid0(VALU_DEP_3) | instskip(NEXT) | instid1(VALU_DEP_3)
	v_add_f64 v[6:7], v[10:11], v[6:7]
	v_add_f64 v[8:9], v[12:13], v[8:9]
	s_delay_alu instid0(VALU_DEP_2) | instskip(NEXT) | instid1(VALU_DEP_2)
	v_add_f64 v[2:3], v[6:7], v[2:3]
	v_add_f64 v[4:5], v[8:9], v[4:5]
	s_waitcnt vmcnt(0)
	s_delay_alu instid0(VALU_DEP_2) | instskip(NEXT) | instid1(VALU_DEP_2)
	v_add_f64 v[2:3], v[30:31], -v[2:3]
	v_add_f64 v[4:5], v[32:33], -v[4:5]
	scratch_store_b128 off, v[2:5], off offset:480
	v_cmpx_lt_u32_e32 29, v158
	s_cbranch_execz .LBB57_303
; %bb.302:
	scratch_load_b32 v2, off, off offset:964 ; 4-byte Folded Reload
	v_mov_b32_e32 v3, v1
	v_mov_b32_e32 v4, v1
	s_waitcnt vmcnt(0)
	scratch_load_b128 v[5:8], v2, off
	v_mov_b32_e32 v2, v1
	scratch_store_b128 off, v[1:4], off offset:464
	s_waitcnt vmcnt(0)
	ds_store_b128 v216, v[5:8]
.LBB57_303:
	s_or_b32 exec_lo, exec_lo, s2
	s_waitcnt lgkmcnt(0)
	s_waitcnt_vscnt null, 0x0
	s_barrier
	buffer_gl0_inv
	s_clause 0x7
	scratch_load_b128 v[2:5], off, off offset:480
	scratch_load_b128 v[6:9], off, off offset:496
	;; [unrolled: 1-line block ×8, first 2 shown]
	ds_load_b128 v[38:41], v1 offset:1408
	ds_load_b128 v[179:182], v1 offset:1424
	s_clause 0x1
	scratch_load_b128 v[34:37], off, off offset:608
	scratch_load_b128 v[183:186], off, off offset:624
	s_mov_b32 s2, exec_lo
	s_waitcnt vmcnt(9) lgkmcnt(1)
	v_mul_f64 v[44:45], v[40:41], v[4:5]
	v_mul_f64 v[4:5], v[38:39], v[4:5]
	s_waitcnt vmcnt(8) lgkmcnt(0)
	v_mul_f64 v[46:47], v[179:180], v[8:9]
	v_mul_f64 v[8:9], v[181:182], v[8:9]
	s_delay_alu instid0(VALU_DEP_4) | instskip(NEXT) | instid1(VALU_DEP_4)
	v_fma_f64 v[44:45], v[38:39], v[2:3], -v[44:45]
	v_fma_f64 v[48:49], v[40:41], v[2:3], v[4:5]
	ds_load_b128 v[2:5], v1 offset:1440
	scratch_load_b128 v[38:41], off, off offset:640
	v_fma_f64 v[46:47], v[181:182], v[6:7], v[46:47]
	v_fma_f64 v[52:53], v[179:180], v[6:7], -v[8:9]
	scratch_load_b128 v[179:182], off, off offset:656
	ds_load_b128 v[6:9], v1 offset:1456
	s_waitcnt vmcnt(9) lgkmcnt(1)
	v_mul_f64 v[50:51], v[2:3], v[12:13]
	v_mul_f64 v[12:13], v[4:5], v[12:13]
	s_waitcnt vmcnt(8) lgkmcnt(0)
	v_mul_f64 v[54:55], v[6:7], v[16:17]
	v_mul_f64 v[16:17], v[8:9], v[16:17]
	v_add_f64 v[44:45], v[44:45], 0
	v_add_f64 v[48:49], v[48:49], 0
	v_fma_f64 v[50:51], v[4:5], v[10:11], v[50:51]
	v_fma_f64 v[56:57], v[2:3], v[10:11], -v[12:13]
	ds_load_b128 v[2:5], v1 offset:1472
	scratch_load_b128 v[10:13], off, off offset:672
	v_add_f64 v[44:45], v[44:45], v[52:53]
	v_add_f64 v[46:47], v[48:49], v[46:47]
	v_fma_f64 v[52:53], v[8:9], v[14:15], v[54:55]
	v_fma_f64 v[54:55], v[6:7], v[14:15], -v[16:17]
	scratch_load_b128 v[14:17], off, off offset:688
	ds_load_b128 v[6:9], v1 offset:1488
	s_waitcnt vmcnt(9) lgkmcnt(1)
	v_mul_f64 v[48:49], v[2:3], v[20:21]
	v_mul_f64 v[20:21], v[4:5], v[20:21]
	v_add_f64 v[44:45], v[44:45], v[56:57]
	v_add_f64 v[46:47], v[46:47], v[50:51]
	s_waitcnt vmcnt(8) lgkmcnt(0)
	v_mul_f64 v[50:51], v[6:7], v[24:25]
	v_mul_f64 v[24:25], v[8:9], v[24:25]
	v_fma_f64 v[48:49], v[4:5], v[18:19], v[48:49]
	v_fma_f64 v[56:57], v[2:3], v[18:19], -v[20:21]
	ds_load_b128 v[2:5], v1 offset:1504
	scratch_load_b128 v[18:21], off, off offset:704
	v_add_f64 v[44:45], v[44:45], v[54:55]
	v_add_f64 v[46:47], v[46:47], v[52:53]
	v_fma_f64 v[50:51], v[8:9], v[22:23], v[50:51]
	v_fma_f64 v[54:55], v[6:7], v[22:23], -v[24:25]
	scratch_load_b128 v[22:25], off, off offset:720
	ds_load_b128 v[6:9], v1 offset:1520
	s_waitcnt vmcnt(9) lgkmcnt(1)
	v_mul_f64 v[52:53], v[2:3], v[28:29]
	v_mul_f64 v[28:29], v[4:5], v[28:29]
	v_add_f64 v[44:45], v[44:45], v[56:57]
	v_add_f64 v[46:47], v[46:47], v[48:49]
	s_waitcnt vmcnt(8) lgkmcnt(0)
	v_mul_f64 v[48:49], v[6:7], v[32:33]
	v_mul_f64 v[32:33], v[8:9], v[32:33]
	;; [unrolled: 18-line block ×3, first 2 shown]
	v_fma_f64 v[50:51], v[4:5], v[34:35], v[50:51]
	v_fma_f64 v[58:59], v[2:3], v[34:35], -v[36:37]
	ds_load_b128 v[2:5], v1 offset:1568
	scratch_load_b128 v[34:37], off, off offset:768
	v_add_f64 v[44:45], v[44:45], v[54:55]
	v_add_f64 v[46:47], v[46:47], v[48:49]
	v_fma_f64 v[52:53], v[8:9], v[183:184], v[52:53]
	v_fma_f64 v[54:55], v[6:7], v[183:184], -v[56:57]
	scratch_load_b128 v[183:186], off, off offset:784
	ds_load_b128 v[6:9], v1 offset:1584
	s_waitcnt vmcnt(9) lgkmcnt(1)
	v_mul_f64 v[48:49], v[2:3], v[40:41]
	v_mul_f64 v[40:41], v[4:5], v[40:41]
	s_waitcnt vmcnt(8) lgkmcnt(0)
	v_mul_f64 v[56:57], v[8:9], v[181:182]
	v_add_f64 v[44:45], v[44:45], v[58:59]
	v_add_f64 v[46:47], v[46:47], v[50:51]
	v_mul_f64 v[50:51], v[6:7], v[181:182]
	v_fma_f64 v[48:49], v[4:5], v[38:39], v[48:49]
	v_fma_f64 v[58:59], v[2:3], v[38:39], -v[40:41]
	ds_load_b128 v[2:5], v1 offset:1600
	scratch_load_b128 v[38:41], off, off offset:800
	v_add_f64 v[44:45], v[44:45], v[54:55]
	v_add_f64 v[46:47], v[46:47], v[52:53]
	v_fma_f64 v[50:51], v[8:9], v[179:180], v[50:51]
	v_fma_f64 v[54:55], v[6:7], v[179:180], -v[56:57]
	ds_load_b128 v[6:9], v1 offset:1616
	s_waitcnt vmcnt(8) lgkmcnt(1)
	v_mul_f64 v[52:53], v[2:3], v[12:13]
	v_mul_f64 v[12:13], v[4:5], v[12:13]
	scratch_load_b128 v[179:182], off, off offset:816
	v_add_f64 v[44:45], v[44:45], v[58:59]
	v_add_f64 v[46:47], v[46:47], v[48:49]
	s_waitcnt vmcnt(8) lgkmcnt(0)
	v_mul_f64 v[48:49], v[6:7], v[16:17]
	v_mul_f64 v[16:17], v[8:9], v[16:17]
	v_fma_f64 v[52:53], v[4:5], v[10:11], v[52:53]
	v_fma_f64 v[56:57], v[2:3], v[10:11], -v[12:13]
	ds_load_b128 v[2:5], v1 offset:1632
	scratch_load_b128 v[10:13], off, off offset:832
	v_add_f64 v[44:45], v[44:45], v[54:55]
	v_add_f64 v[46:47], v[46:47], v[50:51]
	v_fma_f64 v[48:49], v[8:9], v[14:15], v[48:49]
	v_fma_f64 v[54:55], v[6:7], v[14:15], -v[16:17]
	ds_load_b128 v[6:9], v1 offset:1648
	s_waitcnt vmcnt(8) lgkmcnt(1)
	v_mul_f64 v[50:51], v[2:3], v[20:21]
	v_mul_f64 v[20:21], v[4:5], v[20:21]
	scratch_load_b128 v[14:17], off, off offset:848
	v_add_f64 v[44:45], v[44:45], v[56:57]
	v_add_f64 v[46:47], v[46:47], v[52:53]
	s_waitcnt vmcnt(8) lgkmcnt(0)
	v_mul_f64 v[52:53], v[6:7], v[24:25]
	v_mul_f64 v[24:25], v[8:9], v[24:25]
	v_fma_f64 v[50:51], v[4:5], v[18:19], v[50:51]
	v_fma_f64 v[56:57], v[2:3], v[18:19], -v[20:21]
	scratch_load_b128 v[18:21], off, off offset:864
	ds_load_b128 v[2:5], v1 offset:1664
	v_add_f64 v[44:45], v[44:45], v[54:55]
	v_add_f64 v[46:47], v[46:47], v[48:49]
	v_fma_f64 v[52:53], v[8:9], v[22:23], v[52:53]
	v_fma_f64 v[54:55], v[6:7], v[22:23], -v[24:25]
	ds_load_b128 v[6:9], v1 offset:1680
	s_waitcnt vmcnt(8) lgkmcnt(1)
	v_mul_f64 v[48:49], v[2:3], v[28:29]
	v_mul_f64 v[28:29], v[4:5], v[28:29]
	scratch_load_b128 v[22:25], off, off offset:880
	v_add_f64 v[44:45], v[44:45], v[56:57]
	v_add_f64 v[46:47], v[46:47], v[50:51]
	s_waitcnt vmcnt(8) lgkmcnt(0)
	v_mul_f64 v[50:51], v[6:7], v[32:33]
	v_mul_f64 v[32:33], v[8:9], v[32:33]
	v_fma_f64 v[48:49], v[4:5], v[26:27], v[48:49]
	v_fma_f64 v[56:57], v[2:3], v[26:27], -v[28:29]
	scratch_load_b128 v[26:29], off, off offset:896
	ds_load_b128 v[2:5], v1 offset:1696
	v_add_f64 v[44:45], v[44:45], v[54:55]
	v_add_f64 v[46:47], v[46:47], v[52:53]
	v_fma_f64 v[50:51], v[8:9], v[30:31], v[50:51]
	v_fma_f64 v[54:55], v[6:7], v[30:31], -v[32:33]
	ds_load_b128 v[6:9], v1 offset:1712
	s_waitcnt vmcnt(8) lgkmcnt(1)
	v_mul_f64 v[52:53], v[2:3], v[36:37]
	v_mul_f64 v[36:37], v[4:5], v[36:37]
	scratch_load_b128 v[30:33], off, off offset:912
	v_add_f64 v[44:45], v[44:45], v[56:57]
	v_add_f64 v[46:47], v[46:47], v[48:49]
	s_waitcnt vmcnt(8) lgkmcnt(0)
	v_mul_f64 v[48:49], v[6:7], v[185:186]
	v_mul_f64 v[56:57], v[8:9], v[185:186]
	v_fma_f64 v[52:53], v[4:5], v[34:35], v[52:53]
	v_fma_f64 v[34:35], v[2:3], v[34:35], -v[36:37]
	ds_load_b128 v[2:5], v1 offset:1728
	v_add_f64 v[36:37], v[44:45], v[54:55]
	v_add_f64 v[44:45], v[46:47], v[50:51]
	v_fma_f64 v[48:49], v[8:9], v[183:184], v[48:49]
	v_fma_f64 v[50:51], v[6:7], v[183:184], -v[56:57]
	ds_load_b128 v[6:9], v1 offset:1744
	s_waitcnt vmcnt(7) lgkmcnt(1)
	v_mul_f64 v[46:47], v[2:3], v[40:41]
	v_mul_f64 v[40:41], v[4:5], v[40:41]
	v_add_f64 v[34:35], v[36:37], v[34:35]
	v_add_f64 v[36:37], v[44:45], v[52:53]
	s_delay_alu instid0(VALU_DEP_4) | instskip(NEXT) | instid1(VALU_DEP_4)
	v_fma_f64 v[46:47], v[4:5], v[38:39], v[46:47]
	v_fma_f64 v[38:39], v[2:3], v[38:39], -v[40:41]
	ds_load_b128 v[2:5], v1 offset:1760
	v_add_f64 v[40:41], v[34:35], v[50:51]
	v_add_f64 v[48:49], v[36:37], v[48:49]
	scratch_load_b128 v[34:37], off, off offset:464
	s_waitcnt vmcnt(7) lgkmcnt(1)
	v_mul_f64 v[44:45], v[6:7], v[181:182]
	v_mul_f64 v[52:53], v[8:9], v[181:182]
	v_add_f64 v[38:39], v[40:41], v[38:39]
	v_add_f64 v[40:41], v[48:49], v[46:47]
	s_delay_alu instid0(VALU_DEP_4) | instskip(NEXT) | instid1(VALU_DEP_4)
	v_fma_f64 v[44:45], v[8:9], v[179:180], v[44:45]
	v_fma_f64 v[52:53], v[6:7], v[179:180], -v[52:53]
	ds_load_b128 v[6:9], v1 offset:1776
	s_waitcnt vmcnt(6) lgkmcnt(1)
	v_mul_f64 v[50:51], v[2:3], v[12:13]
	v_mul_f64 v[12:13], v[4:5], v[12:13]
	s_waitcnt vmcnt(5) lgkmcnt(0)
	v_mul_f64 v[46:47], v[6:7], v[16:17]
	v_mul_f64 v[16:17], v[8:9], v[16:17]
	s_delay_alu instid0(VALU_DEP_4) | instskip(NEXT) | instid1(VALU_DEP_4)
	v_fma_f64 v[48:49], v[4:5], v[10:11], v[50:51]
	v_fma_f64 v[10:11], v[2:3], v[10:11], -v[12:13]
	v_add_f64 v[12:13], v[38:39], v[52:53]
	v_add_f64 v[38:39], v[40:41], v[44:45]
	ds_load_b128 v[2:5], v1 offset:1792
	v_fma_f64 v[44:45], v[8:9], v[14:15], v[46:47]
	v_fma_f64 v[14:15], v[6:7], v[14:15], -v[16:17]
	ds_load_b128 v[6:9], v1 offset:1808
	s_waitcnt vmcnt(4) lgkmcnt(1)
	v_mul_f64 v[40:41], v[2:3], v[20:21]
	v_mul_f64 v[20:21], v[4:5], v[20:21]
	v_add_f64 v[10:11], v[12:13], v[10:11]
	v_add_f64 v[12:13], v[38:39], v[48:49]
	s_waitcnt vmcnt(3) lgkmcnt(0)
	v_mul_f64 v[16:17], v[6:7], v[24:25]
	v_mul_f64 v[24:25], v[8:9], v[24:25]
	v_fma_f64 v[38:39], v[4:5], v[18:19], v[40:41]
	v_fma_f64 v[18:19], v[2:3], v[18:19], -v[20:21]
	ds_load_b128 v[2:5], v1 offset:1824
	v_add_f64 v[10:11], v[10:11], v[14:15]
	v_add_f64 v[12:13], v[12:13], v[44:45]
	v_fma_f64 v[16:17], v[8:9], v[22:23], v[16:17]
	v_fma_f64 v[22:23], v[6:7], v[22:23], -v[24:25]
	ds_load_b128 v[6:9], v1 offset:1840
	s_waitcnt vmcnt(2) lgkmcnt(1)
	v_mul_f64 v[14:15], v[2:3], v[28:29]
	v_mul_f64 v[20:21], v[4:5], v[28:29]
	s_waitcnt vmcnt(1) lgkmcnt(0)
	v_mul_f64 v[24:25], v[8:9], v[32:33]
	v_add_f64 v[10:11], v[10:11], v[18:19]
	v_add_f64 v[12:13], v[12:13], v[38:39]
	v_mul_f64 v[18:19], v[6:7], v[32:33]
	v_fma_f64 v[4:5], v[4:5], v[26:27], v[14:15]
	v_fma_f64 v[1:2], v[2:3], v[26:27], -v[20:21]
	v_fma_f64 v[6:7], v[6:7], v[30:31], -v[24:25]
	v_add_f64 v[10:11], v[10:11], v[22:23]
	v_add_f64 v[12:13], v[12:13], v[16:17]
	v_fma_f64 v[8:9], v[8:9], v[30:31], v[18:19]
	s_delay_alu instid0(VALU_DEP_3) | instskip(NEXT) | instid1(VALU_DEP_3)
	v_add_f64 v[1:2], v[10:11], v[1:2]
	v_add_f64 v[3:4], v[12:13], v[4:5]
	s_delay_alu instid0(VALU_DEP_2) | instskip(NEXT) | instid1(VALU_DEP_2)
	v_add_f64 v[1:2], v[1:2], v[6:7]
	v_add_f64 v[3:4], v[3:4], v[8:9]
	s_waitcnt vmcnt(0)
	s_delay_alu instid0(VALU_DEP_2) | instskip(NEXT) | instid1(VALU_DEP_2)
	v_add_f64 v[1:2], v[34:35], -v[1:2]
	v_add_f64 v[3:4], v[36:37], -v[3:4]
	scratch_store_b128 off, v[1:4], off offset:464
	v_cmpx_lt_u32_e32 28, v158
	s_cbranch_execz .LBB57_305
; %bb.304:
	scratch_load_b32 v1, off, off offset:968 ; 4-byte Folded Reload
	v_mov_b32_e32 v5, 0
	s_delay_alu instid0(VALU_DEP_1)
	v_mov_b32_e32 v6, v5
	v_mov_b32_e32 v7, v5
	;; [unrolled: 1-line block ×3, first 2 shown]
	s_waitcnt vmcnt(0)
	scratch_load_b128 v[1:4], v1, off
	scratch_store_b128 off, v[5:8], off offset:448
	s_waitcnt vmcnt(0)
	ds_store_b128 v216, v[1:4]
.LBB57_305:
	s_or_b32 exec_lo, exec_lo, s2
	s_waitcnt lgkmcnt(0)
	s_waitcnt_vscnt null, 0x0
	s_barrier
	buffer_gl0_inv
	s_clause 0x7
	scratch_load_b128 v[2:5], off, off offset:464
	scratch_load_b128 v[6:9], off, off offset:480
	;; [unrolled: 1-line block ×8, first 2 shown]
	v_mov_b32_e32 v1, 0
	s_clause 0x1
	scratch_load_b128 v[34:37], off, off offset:592
	scratch_load_b128 v[183:186], off, off offset:608
	s_mov_b32 s2, exec_lo
	ds_load_b128 v[38:41], v1 offset:1392
	ds_load_b128 v[179:182], v1 offset:1408
	s_waitcnt vmcnt(9) lgkmcnt(1)
	v_mul_f64 v[44:45], v[40:41], v[4:5]
	v_mul_f64 v[4:5], v[38:39], v[4:5]
	s_waitcnt vmcnt(8) lgkmcnt(0)
	v_mul_f64 v[46:47], v[179:180], v[8:9]
	v_mul_f64 v[8:9], v[181:182], v[8:9]
	s_delay_alu instid0(VALU_DEP_4) | instskip(NEXT) | instid1(VALU_DEP_4)
	v_fma_f64 v[44:45], v[38:39], v[2:3], -v[44:45]
	v_fma_f64 v[48:49], v[40:41], v[2:3], v[4:5]
	ds_load_b128 v[2:5], v1 offset:1424
	scratch_load_b128 v[38:41], off, off offset:624
	v_fma_f64 v[46:47], v[181:182], v[6:7], v[46:47]
	v_fma_f64 v[52:53], v[179:180], v[6:7], -v[8:9]
	scratch_load_b128 v[179:182], off, off offset:640
	ds_load_b128 v[6:9], v1 offset:1440
	s_waitcnt vmcnt(9) lgkmcnt(1)
	v_mul_f64 v[50:51], v[2:3], v[12:13]
	v_mul_f64 v[12:13], v[4:5], v[12:13]
	s_waitcnt vmcnt(8) lgkmcnt(0)
	v_mul_f64 v[54:55], v[6:7], v[16:17]
	v_mul_f64 v[16:17], v[8:9], v[16:17]
	v_add_f64 v[44:45], v[44:45], 0
	v_add_f64 v[48:49], v[48:49], 0
	v_fma_f64 v[50:51], v[4:5], v[10:11], v[50:51]
	v_fma_f64 v[56:57], v[2:3], v[10:11], -v[12:13]
	ds_load_b128 v[2:5], v1 offset:1456
	scratch_load_b128 v[10:13], off, off offset:656
	v_add_f64 v[44:45], v[44:45], v[52:53]
	v_add_f64 v[46:47], v[48:49], v[46:47]
	v_fma_f64 v[52:53], v[8:9], v[14:15], v[54:55]
	v_fma_f64 v[54:55], v[6:7], v[14:15], -v[16:17]
	scratch_load_b128 v[14:17], off, off offset:672
	ds_load_b128 v[6:9], v1 offset:1472
	s_waitcnt vmcnt(9) lgkmcnt(1)
	v_mul_f64 v[48:49], v[2:3], v[20:21]
	v_mul_f64 v[20:21], v[4:5], v[20:21]
	v_add_f64 v[44:45], v[44:45], v[56:57]
	v_add_f64 v[46:47], v[46:47], v[50:51]
	s_waitcnt vmcnt(8) lgkmcnt(0)
	v_mul_f64 v[50:51], v[6:7], v[24:25]
	v_mul_f64 v[24:25], v[8:9], v[24:25]
	v_fma_f64 v[48:49], v[4:5], v[18:19], v[48:49]
	v_fma_f64 v[56:57], v[2:3], v[18:19], -v[20:21]
	ds_load_b128 v[2:5], v1 offset:1488
	scratch_load_b128 v[18:21], off, off offset:688
	v_add_f64 v[44:45], v[44:45], v[54:55]
	v_add_f64 v[46:47], v[46:47], v[52:53]
	v_fma_f64 v[50:51], v[8:9], v[22:23], v[50:51]
	v_fma_f64 v[54:55], v[6:7], v[22:23], -v[24:25]
	scratch_load_b128 v[22:25], off, off offset:704
	ds_load_b128 v[6:9], v1 offset:1504
	s_waitcnt vmcnt(9) lgkmcnt(1)
	v_mul_f64 v[52:53], v[2:3], v[28:29]
	v_mul_f64 v[28:29], v[4:5], v[28:29]
	v_add_f64 v[44:45], v[44:45], v[56:57]
	v_add_f64 v[46:47], v[46:47], v[48:49]
	s_waitcnt vmcnt(8) lgkmcnt(0)
	v_mul_f64 v[48:49], v[6:7], v[32:33]
	v_mul_f64 v[32:33], v[8:9], v[32:33]
	;; [unrolled: 18-line block ×3, first 2 shown]
	v_fma_f64 v[50:51], v[4:5], v[34:35], v[50:51]
	v_fma_f64 v[58:59], v[2:3], v[34:35], -v[36:37]
	ds_load_b128 v[2:5], v1 offset:1552
	scratch_load_b128 v[34:37], off, off offset:752
	v_add_f64 v[44:45], v[44:45], v[54:55]
	v_add_f64 v[46:47], v[46:47], v[48:49]
	v_fma_f64 v[52:53], v[8:9], v[183:184], v[52:53]
	v_fma_f64 v[54:55], v[6:7], v[183:184], -v[56:57]
	scratch_load_b128 v[183:186], off, off offset:768
	ds_load_b128 v[6:9], v1 offset:1568
	s_waitcnt vmcnt(9) lgkmcnt(1)
	v_mul_f64 v[48:49], v[2:3], v[40:41]
	v_mul_f64 v[40:41], v[4:5], v[40:41]
	s_waitcnt vmcnt(8) lgkmcnt(0)
	v_mul_f64 v[56:57], v[8:9], v[181:182]
	v_add_f64 v[44:45], v[44:45], v[58:59]
	v_add_f64 v[46:47], v[46:47], v[50:51]
	v_mul_f64 v[50:51], v[6:7], v[181:182]
	v_fma_f64 v[48:49], v[4:5], v[38:39], v[48:49]
	v_fma_f64 v[58:59], v[2:3], v[38:39], -v[40:41]
	ds_load_b128 v[2:5], v1 offset:1584
	scratch_load_b128 v[38:41], off, off offset:784
	v_add_f64 v[44:45], v[44:45], v[54:55]
	v_add_f64 v[46:47], v[46:47], v[52:53]
	v_fma_f64 v[50:51], v[8:9], v[179:180], v[50:51]
	v_fma_f64 v[54:55], v[6:7], v[179:180], -v[56:57]
	ds_load_b128 v[6:9], v1 offset:1600
	s_waitcnt vmcnt(8) lgkmcnt(1)
	v_mul_f64 v[52:53], v[2:3], v[12:13]
	v_mul_f64 v[12:13], v[4:5], v[12:13]
	scratch_load_b128 v[179:182], off, off offset:800
	v_add_f64 v[44:45], v[44:45], v[58:59]
	v_add_f64 v[46:47], v[46:47], v[48:49]
	s_waitcnt vmcnt(8) lgkmcnt(0)
	v_mul_f64 v[48:49], v[6:7], v[16:17]
	v_mul_f64 v[16:17], v[8:9], v[16:17]
	v_fma_f64 v[52:53], v[4:5], v[10:11], v[52:53]
	v_fma_f64 v[56:57], v[2:3], v[10:11], -v[12:13]
	ds_load_b128 v[2:5], v1 offset:1616
	scratch_load_b128 v[10:13], off, off offset:816
	v_add_f64 v[44:45], v[44:45], v[54:55]
	v_add_f64 v[46:47], v[46:47], v[50:51]
	v_fma_f64 v[48:49], v[8:9], v[14:15], v[48:49]
	v_fma_f64 v[54:55], v[6:7], v[14:15], -v[16:17]
	ds_load_b128 v[6:9], v1 offset:1632
	s_waitcnt vmcnt(8) lgkmcnt(1)
	v_mul_f64 v[50:51], v[2:3], v[20:21]
	v_mul_f64 v[20:21], v[4:5], v[20:21]
	scratch_load_b128 v[14:17], off, off offset:832
	v_add_f64 v[44:45], v[44:45], v[56:57]
	v_add_f64 v[46:47], v[46:47], v[52:53]
	s_waitcnt vmcnt(8) lgkmcnt(0)
	v_mul_f64 v[52:53], v[6:7], v[24:25]
	v_mul_f64 v[24:25], v[8:9], v[24:25]
	v_fma_f64 v[50:51], v[4:5], v[18:19], v[50:51]
	v_fma_f64 v[56:57], v[2:3], v[18:19], -v[20:21]
	scratch_load_b128 v[18:21], off, off offset:848
	ds_load_b128 v[2:5], v1 offset:1648
	v_add_f64 v[44:45], v[44:45], v[54:55]
	v_add_f64 v[46:47], v[46:47], v[48:49]
	v_fma_f64 v[52:53], v[8:9], v[22:23], v[52:53]
	v_fma_f64 v[54:55], v[6:7], v[22:23], -v[24:25]
	ds_load_b128 v[6:9], v1 offset:1664
	s_waitcnt vmcnt(8) lgkmcnt(1)
	v_mul_f64 v[48:49], v[2:3], v[28:29]
	v_mul_f64 v[28:29], v[4:5], v[28:29]
	scratch_load_b128 v[22:25], off, off offset:864
	v_add_f64 v[44:45], v[44:45], v[56:57]
	v_add_f64 v[46:47], v[46:47], v[50:51]
	s_waitcnt vmcnt(8) lgkmcnt(0)
	v_mul_f64 v[50:51], v[6:7], v[32:33]
	v_mul_f64 v[32:33], v[8:9], v[32:33]
	v_fma_f64 v[48:49], v[4:5], v[26:27], v[48:49]
	v_fma_f64 v[56:57], v[2:3], v[26:27], -v[28:29]
	scratch_load_b128 v[26:29], off, off offset:880
	ds_load_b128 v[2:5], v1 offset:1680
	;; [unrolled: 18-line block ×3, first 2 shown]
	v_add_f64 v[44:45], v[44:45], v[54:55]
	v_add_f64 v[46:47], v[46:47], v[50:51]
	v_fma_f64 v[48:49], v[8:9], v[183:184], v[48:49]
	v_fma_f64 v[54:55], v[6:7], v[183:184], -v[56:57]
	ds_load_b128 v[6:9], v1 offset:1728
	s_waitcnt vmcnt(8) lgkmcnt(1)
	v_mul_f64 v[50:51], v[2:3], v[40:41]
	v_mul_f64 v[40:41], v[4:5], v[40:41]
	v_add_f64 v[44:45], v[44:45], v[58:59]
	v_add_f64 v[46:47], v[46:47], v[52:53]
	s_delay_alu instid0(VALU_DEP_4) | instskip(NEXT) | instid1(VALU_DEP_4)
	v_fma_f64 v[50:51], v[4:5], v[38:39], v[50:51]
	v_fma_f64 v[38:39], v[2:3], v[38:39], -v[40:41]
	ds_load_b128 v[2:5], v1 offset:1744
	v_add_f64 v[40:41], v[44:45], v[54:55]
	v_add_f64 v[44:45], v[46:47], v[48:49]
	s_delay_alu instid0(VALU_DEP_2)
	v_add_f64 v[54:55], v[40:41], v[38:39]
	scratch_load_b128 v[38:41], off, off offset:448
	s_waitcnt vmcnt(8) lgkmcnt(1)
	v_mul_f64 v[52:53], v[6:7], v[181:182]
	v_mul_f64 v[56:57], v[8:9], v[181:182]
	v_add_f64 v[44:45], v[44:45], v[50:51]
	s_delay_alu instid0(VALU_DEP_3) | instskip(NEXT) | instid1(VALU_DEP_3)
	v_fma_f64 v[48:49], v[8:9], v[179:180], v[52:53]
	v_fma_f64 v[52:53], v[6:7], v[179:180], -v[56:57]
	ds_load_b128 v[6:9], v1 offset:1760
	s_waitcnt vmcnt(7) lgkmcnt(1)
	v_mul_f64 v[46:47], v[2:3], v[12:13]
	v_mul_f64 v[12:13], v[4:5], v[12:13]
	s_waitcnt vmcnt(6) lgkmcnt(0)
	v_mul_f64 v[50:51], v[6:7], v[16:17]
	v_mul_f64 v[16:17], v[8:9], v[16:17]
	v_add_f64 v[44:45], v[44:45], v[48:49]
	v_fma_f64 v[46:47], v[4:5], v[10:11], v[46:47]
	v_fma_f64 v[10:11], v[2:3], v[10:11], -v[12:13]
	v_add_f64 v[12:13], v[54:55], v[52:53]
	ds_load_b128 v[2:5], v1 offset:1776
	v_fma_f64 v[50:51], v[8:9], v[14:15], v[50:51]
	v_fma_f64 v[14:15], v[6:7], v[14:15], -v[16:17]
	ds_load_b128 v[6:9], v1 offset:1792
	s_waitcnt vmcnt(5) lgkmcnt(1)
	v_mul_f64 v[48:49], v[2:3], v[20:21]
	v_mul_f64 v[20:21], v[4:5], v[20:21]
	v_add_f64 v[10:11], v[12:13], v[10:11]
	v_add_f64 v[12:13], v[44:45], v[46:47]
	s_waitcnt vmcnt(4) lgkmcnt(0)
	v_mul_f64 v[16:17], v[6:7], v[24:25]
	v_mul_f64 v[24:25], v[8:9], v[24:25]
	v_fma_f64 v[44:45], v[4:5], v[18:19], v[48:49]
	v_fma_f64 v[18:19], v[2:3], v[18:19], -v[20:21]
	ds_load_b128 v[2:5], v1 offset:1808
	v_add_f64 v[10:11], v[10:11], v[14:15]
	v_add_f64 v[12:13], v[12:13], v[50:51]
	v_fma_f64 v[16:17], v[8:9], v[22:23], v[16:17]
	v_fma_f64 v[22:23], v[6:7], v[22:23], -v[24:25]
	ds_load_b128 v[6:9], v1 offset:1824
	s_waitcnt vmcnt(3) lgkmcnt(1)
	v_mul_f64 v[14:15], v[2:3], v[28:29]
	v_mul_f64 v[20:21], v[4:5], v[28:29]
	s_waitcnt vmcnt(2) lgkmcnt(0)
	v_mul_f64 v[24:25], v[8:9], v[32:33]
	v_add_f64 v[10:11], v[10:11], v[18:19]
	v_add_f64 v[12:13], v[12:13], v[44:45]
	v_mul_f64 v[18:19], v[6:7], v[32:33]
	v_fma_f64 v[14:15], v[4:5], v[26:27], v[14:15]
	v_fma_f64 v[20:21], v[2:3], v[26:27], -v[20:21]
	ds_load_b128 v[2:5], v1 offset:1840
	v_fma_f64 v[6:7], v[6:7], v[30:31], -v[24:25]
	v_add_f64 v[10:11], v[10:11], v[22:23]
	v_add_f64 v[12:13], v[12:13], v[16:17]
	s_waitcnt vmcnt(1) lgkmcnt(0)
	v_mul_f64 v[16:17], v[2:3], v[36:37]
	v_mul_f64 v[22:23], v[4:5], v[36:37]
	v_fma_f64 v[8:9], v[8:9], v[30:31], v[18:19]
	v_add_f64 v[10:11], v[10:11], v[20:21]
	v_add_f64 v[12:13], v[12:13], v[14:15]
	v_fma_f64 v[4:5], v[4:5], v[34:35], v[16:17]
	v_fma_f64 v[2:3], v[2:3], v[34:35], -v[22:23]
	s_delay_alu instid0(VALU_DEP_4) | instskip(NEXT) | instid1(VALU_DEP_4)
	v_add_f64 v[6:7], v[10:11], v[6:7]
	v_add_f64 v[8:9], v[12:13], v[8:9]
	s_delay_alu instid0(VALU_DEP_2) | instskip(NEXT) | instid1(VALU_DEP_2)
	v_add_f64 v[2:3], v[6:7], v[2:3]
	v_add_f64 v[4:5], v[8:9], v[4:5]
	s_waitcnt vmcnt(0)
	s_delay_alu instid0(VALU_DEP_2) | instskip(NEXT) | instid1(VALU_DEP_2)
	v_add_f64 v[2:3], v[38:39], -v[2:3]
	v_add_f64 v[4:5], v[40:41], -v[4:5]
	scratch_store_b128 off, v[2:5], off offset:448
	v_cmpx_lt_u32_e32 27, v158
	s_cbranch_execz .LBB57_307
; %bb.306:
	scratch_load_b32 v2, off, off offset:976 ; 4-byte Folded Reload
	v_mov_b32_e32 v3, v1
	v_mov_b32_e32 v4, v1
	s_waitcnt vmcnt(0)
	scratch_load_b128 v[5:8], v2, off
	v_mov_b32_e32 v2, v1
	scratch_store_b128 off, v[1:4], off offset:432
	s_waitcnt vmcnt(0)
	ds_store_b128 v216, v[5:8]
.LBB57_307:
	s_or_b32 exec_lo, exec_lo, s2
	s_waitcnt lgkmcnt(0)
	s_waitcnt_vscnt null, 0x0
	s_barrier
	buffer_gl0_inv
	s_clause 0x7
	scratch_load_b128 v[2:5], off, off offset:448
	scratch_load_b128 v[6:9], off, off offset:464
	;; [unrolled: 1-line block ×8, first 2 shown]
	ds_load_b128 v[38:41], v1 offset:1376
	ds_load_b128 v[179:182], v1 offset:1392
	s_clause 0x1
	scratch_load_b128 v[34:37], off, off offset:576
	scratch_load_b128 v[183:186], off, off offset:592
	s_mov_b32 s2, exec_lo
	s_waitcnt vmcnt(9) lgkmcnt(1)
	v_mul_f64 v[44:45], v[40:41], v[4:5]
	v_mul_f64 v[4:5], v[38:39], v[4:5]
	s_waitcnt vmcnt(8) lgkmcnt(0)
	v_mul_f64 v[46:47], v[179:180], v[8:9]
	v_mul_f64 v[8:9], v[181:182], v[8:9]
	s_delay_alu instid0(VALU_DEP_4) | instskip(NEXT) | instid1(VALU_DEP_4)
	v_fma_f64 v[44:45], v[38:39], v[2:3], -v[44:45]
	v_fma_f64 v[48:49], v[40:41], v[2:3], v[4:5]
	ds_load_b128 v[2:5], v1 offset:1408
	scratch_load_b128 v[38:41], off, off offset:608
	v_fma_f64 v[46:47], v[181:182], v[6:7], v[46:47]
	v_fma_f64 v[52:53], v[179:180], v[6:7], -v[8:9]
	scratch_load_b128 v[179:182], off, off offset:624
	ds_load_b128 v[6:9], v1 offset:1424
	s_waitcnt vmcnt(9) lgkmcnt(1)
	v_mul_f64 v[50:51], v[2:3], v[12:13]
	v_mul_f64 v[12:13], v[4:5], v[12:13]
	s_waitcnt vmcnt(8) lgkmcnt(0)
	v_mul_f64 v[54:55], v[6:7], v[16:17]
	v_mul_f64 v[16:17], v[8:9], v[16:17]
	v_add_f64 v[44:45], v[44:45], 0
	v_add_f64 v[48:49], v[48:49], 0
	v_fma_f64 v[50:51], v[4:5], v[10:11], v[50:51]
	v_fma_f64 v[56:57], v[2:3], v[10:11], -v[12:13]
	scratch_load_b128 v[10:13], off, off offset:640
	ds_load_b128 v[2:5], v1 offset:1440
	v_add_f64 v[44:45], v[44:45], v[52:53]
	v_add_f64 v[46:47], v[48:49], v[46:47]
	v_fma_f64 v[52:53], v[8:9], v[14:15], v[54:55]
	v_fma_f64 v[54:55], v[6:7], v[14:15], -v[16:17]
	ds_load_b128 v[6:9], v1 offset:1456
	scratch_load_b128 v[14:17], off, off offset:656
	s_waitcnt vmcnt(9) lgkmcnt(1)
	v_mul_f64 v[48:49], v[2:3], v[20:21]
	v_mul_f64 v[20:21], v[4:5], v[20:21]
	v_add_f64 v[44:45], v[44:45], v[56:57]
	v_add_f64 v[46:47], v[46:47], v[50:51]
	s_waitcnt vmcnt(8) lgkmcnt(0)
	v_mul_f64 v[50:51], v[6:7], v[24:25]
	v_mul_f64 v[24:25], v[8:9], v[24:25]
	v_fma_f64 v[48:49], v[4:5], v[18:19], v[48:49]
	v_fma_f64 v[56:57], v[2:3], v[18:19], -v[20:21]
	ds_load_b128 v[2:5], v1 offset:1472
	scratch_load_b128 v[18:21], off, off offset:672
	v_add_f64 v[44:45], v[44:45], v[54:55]
	v_add_f64 v[46:47], v[46:47], v[52:53]
	v_fma_f64 v[50:51], v[8:9], v[22:23], v[50:51]
	v_fma_f64 v[54:55], v[6:7], v[22:23], -v[24:25]
	scratch_load_b128 v[22:25], off, off offset:688
	ds_load_b128 v[6:9], v1 offset:1488
	s_waitcnt vmcnt(9) lgkmcnt(1)
	v_mul_f64 v[52:53], v[2:3], v[28:29]
	v_mul_f64 v[28:29], v[4:5], v[28:29]
	v_add_f64 v[44:45], v[44:45], v[56:57]
	v_add_f64 v[46:47], v[46:47], v[48:49]
	s_waitcnt vmcnt(8) lgkmcnt(0)
	v_mul_f64 v[48:49], v[6:7], v[32:33]
	v_mul_f64 v[32:33], v[8:9], v[32:33]
	v_fma_f64 v[52:53], v[4:5], v[26:27], v[52:53]
	v_fma_f64 v[56:57], v[2:3], v[26:27], -v[28:29]
	ds_load_b128 v[2:5], v1 offset:1504
	scratch_load_b128 v[26:29], off, off offset:704
	v_add_f64 v[44:45], v[44:45], v[54:55]
	v_add_f64 v[46:47], v[46:47], v[50:51]
	v_fma_f64 v[48:49], v[8:9], v[30:31], v[48:49]
	v_fma_f64 v[54:55], v[6:7], v[30:31], -v[32:33]
	scratch_load_b128 v[30:33], off, off offset:720
	ds_load_b128 v[6:9], v1 offset:1520
	;; [unrolled: 18-line block ×3, first 2 shown]
	s_waitcnt vmcnt(9) lgkmcnt(1)
	v_mul_f64 v[48:49], v[2:3], v[40:41]
	v_mul_f64 v[40:41], v[4:5], v[40:41]
	s_waitcnt vmcnt(8) lgkmcnt(0)
	v_mul_f64 v[56:57], v[8:9], v[181:182]
	v_add_f64 v[44:45], v[44:45], v[58:59]
	v_add_f64 v[46:47], v[46:47], v[50:51]
	v_mul_f64 v[50:51], v[6:7], v[181:182]
	v_fma_f64 v[48:49], v[4:5], v[38:39], v[48:49]
	v_fma_f64 v[58:59], v[2:3], v[38:39], -v[40:41]
	ds_load_b128 v[2:5], v1 offset:1568
	scratch_load_b128 v[38:41], off, off offset:768
	v_add_f64 v[44:45], v[44:45], v[54:55]
	v_add_f64 v[46:47], v[46:47], v[52:53]
	v_fma_f64 v[50:51], v[8:9], v[179:180], v[50:51]
	v_fma_f64 v[54:55], v[6:7], v[179:180], -v[56:57]
	ds_load_b128 v[6:9], v1 offset:1584
	s_waitcnt vmcnt(8) lgkmcnt(1)
	v_mul_f64 v[52:53], v[2:3], v[12:13]
	v_mul_f64 v[12:13], v[4:5], v[12:13]
	scratch_load_b128 v[179:182], off, off offset:784
	v_add_f64 v[44:45], v[44:45], v[58:59]
	v_add_f64 v[46:47], v[46:47], v[48:49]
	s_waitcnt vmcnt(8) lgkmcnt(0)
	v_mul_f64 v[48:49], v[6:7], v[16:17]
	v_mul_f64 v[16:17], v[8:9], v[16:17]
	v_fma_f64 v[52:53], v[4:5], v[10:11], v[52:53]
	v_fma_f64 v[56:57], v[2:3], v[10:11], -v[12:13]
	scratch_load_b128 v[10:13], off, off offset:800
	ds_load_b128 v[2:5], v1 offset:1600
	v_add_f64 v[44:45], v[44:45], v[54:55]
	v_add_f64 v[46:47], v[46:47], v[50:51]
	v_fma_f64 v[48:49], v[8:9], v[14:15], v[48:49]
	v_fma_f64 v[54:55], v[6:7], v[14:15], -v[16:17]
	ds_load_b128 v[6:9], v1 offset:1616
	s_waitcnt vmcnt(8) lgkmcnt(1)
	v_mul_f64 v[50:51], v[2:3], v[20:21]
	v_mul_f64 v[20:21], v[4:5], v[20:21]
	scratch_load_b128 v[14:17], off, off offset:816
	v_add_f64 v[44:45], v[44:45], v[56:57]
	v_add_f64 v[46:47], v[46:47], v[52:53]
	s_waitcnt vmcnt(8) lgkmcnt(0)
	v_mul_f64 v[52:53], v[6:7], v[24:25]
	v_mul_f64 v[24:25], v[8:9], v[24:25]
	v_fma_f64 v[50:51], v[4:5], v[18:19], v[50:51]
	v_fma_f64 v[56:57], v[2:3], v[18:19], -v[20:21]
	scratch_load_b128 v[18:21], off, off offset:832
	ds_load_b128 v[2:5], v1 offset:1632
	v_add_f64 v[44:45], v[44:45], v[54:55]
	v_add_f64 v[46:47], v[46:47], v[48:49]
	v_fma_f64 v[52:53], v[8:9], v[22:23], v[52:53]
	v_fma_f64 v[54:55], v[6:7], v[22:23], -v[24:25]
	ds_load_b128 v[6:9], v1 offset:1648
	s_waitcnt vmcnt(8) lgkmcnt(1)
	v_mul_f64 v[48:49], v[2:3], v[28:29]
	v_mul_f64 v[28:29], v[4:5], v[28:29]
	scratch_load_b128 v[22:25], off, off offset:848
	v_add_f64 v[44:45], v[44:45], v[56:57]
	v_add_f64 v[46:47], v[46:47], v[50:51]
	s_waitcnt vmcnt(8) lgkmcnt(0)
	v_mul_f64 v[50:51], v[6:7], v[32:33]
	v_mul_f64 v[32:33], v[8:9], v[32:33]
	v_fma_f64 v[48:49], v[4:5], v[26:27], v[48:49]
	v_fma_f64 v[56:57], v[2:3], v[26:27], -v[28:29]
	scratch_load_b128 v[26:29], off, off offset:864
	ds_load_b128 v[2:5], v1 offset:1664
	v_add_f64 v[44:45], v[44:45], v[54:55]
	v_add_f64 v[46:47], v[46:47], v[52:53]
	v_fma_f64 v[50:51], v[8:9], v[30:31], v[50:51]
	v_fma_f64 v[54:55], v[6:7], v[30:31], -v[32:33]
	ds_load_b128 v[6:9], v1 offset:1680
	s_waitcnt vmcnt(8) lgkmcnt(1)
	v_mul_f64 v[52:53], v[2:3], v[36:37]
	v_mul_f64 v[36:37], v[4:5], v[36:37]
	scratch_load_b128 v[30:33], off, off offset:880
	v_add_f64 v[44:45], v[44:45], v[56:57]
	v_add_f64 v[46:47], v[46:47], v[48:49]
	s_waitcnt vmcnt(8) lgkmcnt(0)
	v_mul_f64 v[48:49], v[6:7], v[185:186]
	v_mul_f64 v[56:57], v[8:9], v[185:186]
	v_fma_f64 v[52:53], v[4:5], v[34:35], v[52:53]
	v_fma_f64 v[58:59], v[2:3], v[34:35], -v[36:37]
	scratch_load_b128 v[34:37], off, off offset:896
	ds_load_b128 v[2:5], v1 offset:1696
	v_add_f64 v[44:45], v[44:45], v[54:55]
	v_add_f64 v[46:47], v[46:47], v[50:51]
	v_fma_f64 v[48:49], v[8:9], v[183:184], v[48:49]
	v_fma_f64 v[54:55], v[6:7], v[183:184], -v[56:57]
	ds_load_b128 v[6:9], v1 offset:1712
	s_waitcnt vmcnt(8) lgkmcnt(1)
	v_mul_f64 v[50:51], v[2:3], v[40:41]
	v_mul_f64 v[40:41], v[4:5], v[40:41]
	scratch_load_b128 v[183:186], off, off offset:912
	v_add_f64 v[44:45], v[44:45], v[58:59]
	v_add_f64 v[46:47], v[46:47], v[52:53]
	v_fma_f64 v[50:51], v[4:5], v[38:39], v[50:51]
	v_fma_f64 v[38:39], v[2:3], v[38:39], -v[40:41]
	ds_load_b128 v[2:5], v1 offset:1728
	v_add_f64 v[40:41], v[44:45], v[54:55]
	v_add_f64 v[44:45], v[46:47], v[48:49]
	s_waitcnt vmcnt(7) lgkmcnt(0)
	v_mul_f64 v[46:47], v[2:3], v[12:13]
	v_mul_f64 v[12:13], v[4:5], v[12:13]
	s_delay_alu instid0(VALU_DEP_4) | instskip(NEXT) | instid1(VALU_DEP_4)
	v_add_f64 v[38:39], v[40:41], v[38:39]
	v_add_f64 v[40:41], v[44:45], v[50:51]
	s_delay_alu instid0(VALU_DEP_4) | instskip(NEXT) | instid1(VALU_DEP_4)
	v_fma_f64 v[46:47], v[4:5], v[10:11], v[46:47]
	v_fma_f64 v[50:51], v[2:3], v[10:11], -v[12:13]
	scratch_load_b128 v[10:13], off, off offset:432
	v_mul_f64 v[52:53], v[6:7], v[181:182]
	v_mul_f64 v[56:57], v[8:9], v[181:182]
	ds_load_b128 v[2:5], v1 offset:1760
	v_fma_f64 v[48:49], v[8:9], v[179:180], v[52:53]
	v_fma_f64 v[52:53], v[6:7], v[179:180], -v[56:57]
	ds_load_b128 v[6:9], v1 offset:1744
	s_waitcnt vmcnt(7) lgkmcnt(0)
	v_mul_f64 v[44:45], v[6:7], v[16:17]
	v_mul_f64 v[16:17], v[8:9], v[16:17]
	v_add_f64 v[40:41], v[40:41], v[48:49]
	v_add_f64 v[38:39], v[38:39], v[52:53]
	s_waitcnt vmcnt(6)
	v_mul_f64 v[48:49], v[2:3], v[20:21]
	v_mul_f64 v[20:21], v[4:5], v[20:21]
	v_fma_f64 v[44:45], v[8:9], v[14:15], v[44:45]
	v_fma_f64 v[14:15], v[6:7], v[14:15], -v[16:17]
	ds_load_b128 v[6:9], v1 offset:1776
	v_add_f64 v[16:17], v[38:39], v[50:51]
	v_add_f64 v[38:39], v[40:41], v[46:47]
	v_fma_f64 v[46:47], v[4:5], v[18:19], v[48:49]
	v_fma_f64 v[18:19], v[2:3], v[18:19], -v[20:21]
	ds_load_b128 v[2:5], v1 offset:1792
	s_waitcnt vmcnt(5) lgkmcnt(1)
	v_mul_f64 v[40:41], v[6:7], v[24:25]
	v_mul_f64 v[24:25], v[8:9], v[24:25]
	s_waitcnt vmcnt(4) lgkmcnt(0)
	v_mul_f64 v[20:21], v[2:3], v[28:29]
	v_mul_f64 v[28:29], v[4:5], v[28:29]
	v_add_f64 v[14:15], v[16:17], v[14:15]
	v_add_f64 v[16:17], v[38:39], v[44:45]
	v_fma_f64 v[38:39], v[8:9], v[22:23], v[40:41]
	v_fma_f64 v[22:23], v[6:7], v[22:23], -v[24:25]
	ds_load_b128 v[6:9], v1 offset:1808
	v_fma_f64 v[20:21], v[4:5], v[26:27], v[20:21]
	v_fma_f64 v[26:27], v[2:3], v[26:27], -v[28:29]
	ds_load_b128 v[2:5], v1 offset:1824
	s_waitcnt vmcnt(3) lgkmcnt(1)
	v_mul_f64 v[24:25], v[8:9], v[32:33]
	v_add_f64 v[14:15], v[14:15], v[18:19]
	v_add_f64 v[16:17], v[16:17], v[46:47]
	v_mul_f64 v[18:19], v[6:7], v[32:33]
	s_waitcnt vmcnt(2) lgkmcnt(0)
	v_mul_f64 v[28:29], v[4:5], v[36:37]
	v_fma_f64 v[24:25], v[6:7], v[30:31], -v[24:25]
	v_add_f64 v[14:15], v[14:15], v[22:23]
	v_add_f64 v[16:17], v[16:17], v[38:39]
	v_mul_f64 v[22:23], v[2:3], v[36:37]
	v_fma_f64 v[18:19], v[8:9], v[30:31], v[18:19]
	ds_load_b128 v[6:9], v1 offset:1840
	v_fma_f64 v[1:2], v[2:3], v[34:35], -v[28:29]
	v_add_f64 v[14:15], v[14:15], v[26:27]
	v_add_f64 v[16:17], v[16:17], v[20:21]
	s_waitcnt vmcnt(1) lgkmcnt(0)
	v_mul_f64 v[20:21], v[6:7], v[185:186]
	v_mul_f64 v[26:27], v[8:9], v[185:186]
	v_fma_f64 v[4:5], v[4:5], v[34:35], v[22:23]
	v_add_f64 v[14:15], v[14:15], v[24:25]
	v_add_f64 v[16:17], v[16:17], v[18:19]
	v_fma_f64 v[8:9], v[8:9], v[183:184], v[20:21]
	v_fma_f64 v[6:7], v[6:7], v[183:184], -v[26:27]
	s_delay_alu instid0(VALU_DEP_4) | instskip(NEXT) | instid1(VALU_DEP_4)
	v_add_f64 v[1:2], v[14:15], v[1:2]
	v_add_f64 v[3:4], v[16:17], v[4:5]
	s_delay_alu instid0(VALU_DEP_2) | instskip(NEXT) | instid1(VALU_DEP_2)
	v_add_f64 v[1:2], v[1:2], v[6:7]
	v_add_f64 v[3:4], v[3:4], v[8:9]
	s_waitcnt vmcnt(0)
	s_delay_alu instid0(VALU_DEP_2) | instskip(NEXT) | instid1(VALU_DEP_2)
	v_add_f64 v[1:2], v[10:11], -v[1:2]
	v_add_f64 v[3:4], v[12:13], -v[3:4]
	scratch_store_b128 off, v[1:4], off offset:432
	v_cmpx_lt_u32_e32 26, v158
	s_cbranch_execz .LBB57_309
; %bb.308:
	scratch_load_b32 v1, off, off offset:972 ; 4-byte Folded Reload
	v_mov_b32_e32 v5, 0
	s_delay_alu instid0(VALU_DEP_1)
	v_mov_b32_e32 v6, v5
	v_mov_b32_e32 v7, v5
	;; [unrolled: 1-line block ×3, first 2 shown]
	s_waitcnt vmcnt(0)
	scratch_load_b128 v[1:4], v1, off
	scratch_store_b128 off, v[5:8], off offset:416
	s_waitcnt vmcnt(0)
	ds_store_b128 v216, v[1:4]
.LBB57_309:
	s_or_b32 exec_lo, exec_lo, s2
	s_waitcnt lgkmcnt(0)
	s_waitcnt_vscnt null, 0x0
	s_barrier
	buffer_gl0_inv
	s_clause 0x7
	scratch_load_b128 v[2:5], off, off offset:432
	scratch_load_b128 v[6:9], off, off offset:448
	scratch_load_b128 v[10:13], off, off offset:464
	scratch_load_b128 v[14:17], off, off offset:480
	scratch_load_b128 v[18:21], off, off offset:496
	scratch_load_b128 v[22:25], off, off offset:512
	scratch_load_b128 v[26:29], off, off offset:528
	scratch_load_b128 v[30:33], off, off offset:544
	v_mov_b32_e32 v1, 0
	s_clause 0x1
	scratch_load_b128 v[34:37], off, off offset:560
	scratch_load_b128 v[183:186], off, off offset:576
	s_mov_b32 s2, exec_lo
	ds_load_b128 v[38:41], v1 offset:1360
	ds_load_b128 v[179:182], v1 offset:1376
	s_waitcnt vmcnt(9) lgkmcnt(1)
	v_mul_f64 v[44:45], v[40:41], v[4:5]
	v_mul_f64 v[4:5], v[38:39], v[4:5]
	s_waitcnt vmcnt(8) lgkmcnt(0)
	v_mul_f64 v[46:47], v[179:180], v[8:9]
	v_mul_f64 v[8:9], v[181:182], v[8:9]
	s_delay_alu instid0(VALU_DEP_4) | instskip(NEXT) | instid1(VALU_DEP_4)
	v_fma_f64 v[44:45], v[38:39], v[2:3], -v[44:45]
	v_fma_f64 v[48:49], v[40:41], v[2:3], v[4:5]
	ds_load_b128 v[2:5], v1 offset:1392
	scratch_load_b128 v[38:41], off, off offset:592
	v_fma_f64 v[46:47], v[181:182], v[6:7], v[46:47]
	v_fma_f64 v[52:53], v[179:180], v[6:7], -v[8:9]
	scratch_load_b128 v[179:182], off, off offset:608
	ds_load_b128 v[6:9], v1 offset:1408
	s_waitcnt vmcnt(9) lgkmcnt(1)
	v_mul_f64 v[50:51], v[2:3], v[12:13]
	v_mul_f64 v[12:13], v[4:5], v[12:13]
	s_waitcnt vmcnt(8) lgkmcnt(0)
	v_mul_f64 v[54:55], v[6:7], v[16:17]
	v_mul_f64 v[16:17], v[8:9], v[16:17]
	v_add_f64 v[44:45], v[44:45], 0
	v_add_f64 v[48:49], v[48:49], 0
	v_fma_f64 v[50:51], v[4:5], v[10:11], v[50:51]
	v_fma_f64 v[56:57], v[2:3], v[10:11], -v[12:13]
	ds_load_b128 v[2:5], v1 offset:1424
	scratch_load_b128 v[10:13], off, off offset:624
	v_add_f64 v[44:45], v[44:45], v[52:53]
	v_add_f64 v[46:47], v[48:49], v[46:47]
	v_fma_f64 v[52:53], v[8:9], v[14:15], v[54:55]
	v_fma_f64 v[54:55], v[6:7], v[14:15], -v[16:17]
	scratch_load_b128 v[14:17], off, off offset:640
	ds_load_b128 v[6:9], v1 offset:1440
	s_waitcnt vmcnt(9) lgkmcnt(1)
	v_mul_f64 v[48:49], v[2:3], v[20:21]
	v_mul_f64 v[20:21], v[4:5], v[20:21]
	v_add_f64 v[44:45], v[44:45], v[56:57]
	v_add_f64 v[46:47], v[46:47], v[50:51]
	s_waitcnt vmcnt(8) lgkmcnt(0)
	v_mul_f64 v[50:51], v[6:7], v[24:25]
	v_mul_f64 v[24:25], v[8:9], v[24:25]
	v_fma_f64 v[48:49], v[4:5], v[18:19], v[48:49]
	v_fma_f64 v[56:57], v[2:3], v[18:19], -v[20:21]
	ds_load_b128 v[2:5], v1 offset:1456
	scratch_load_b128 v[18:21], off, off offset:656
	v_add_f64 v[44:45], v[44:45], v[54:55]
	v_add_f64 v[46:47], v[46:47], v[52:53]
	v_fma_f64 v[50:51], v[8:9], v[22:23], v[50:51]
	v_fma_f64 v[54:55], v[6:7], v[22:23], -v[24:25]
	scratch_load_b128 v[22:25], off, off offset:672
	ds_load_b128 v[6:9], v1 offset:1472
	s_waitcnt vmcnt(9) lgkmcnt(1)
	v_mul_f64 v[52:53], v[2:3], v[28:29]
	v_mul_f64 v[28:29], v[4:5], v[28:29]
	v_add_f64 v[44:45], v[44:45], v[56:57]
	v_add_f64 v[46:47], v[46:47], v[48:49]
	s_waitcnt vmcnt(8) lgkmcnt(0)
	v_mul_f64 v[48:49], v[6:7], v[32:33]
	v_mul_f64 v[32:33], v[8:9], v[32:33]
	;; [unrolled: 18-line block ×3, first 2 shown]
	v_fma_f64 v[50:51], v[4:5], v[34:35], v[50:51]
	v_fma_f64 v[58:59], v[2:3], v[34:35], -v[36:37]
	ds_load_b128 v[2:5], v1 offset:1520
	scratch_load_b128 v[34:37], off, off offset:720
	v_add_f64 v[44:45], v[44:45], v[54:55]
	v_add_f64 v[46:47], v[46:47], v[48:49]
	v_fma_f64 v[52:53], v[8:9], v[183:184], v[52:53]
	v_fma_f64 v[54:55], v[6:7], v[183:184], -v[56:57]
	scratch_load_b128 v[183:186], off, off offset:736
	ds_load_b128 v[6:9], v1 offset:1536
	s_waitcnt vmcnt(9) lgkmcnt(1)
	v_mul_f64 v[48:49], v[2:3], v[40:41]
	v_mul_f64 v[40:41], v[4:5], v[40:41]
	s_waitcnt vmcnt(8) lgkmcnt(0)
	v_mul_f64 v[56:57], v[8:9], v[181:182]
	v_add_f64 v[44:45], v[44:45], v[58:59]
	v_add_f64 v[46:47], v[46:47], v[50:51]
	v_mul_f64 v[50:51], v[6:7], v[181:182]
	v_fma_f64 v[48:49], v[4:5], v[38:39], v[48:49]
	v_fma_f64 v[58:59], v[2:3], v[38:39], -v[40:41]
	ds_load_b128 v[2:5], v1 offset:1552
	scratch_load_b128 v[38:41], off, off offset:752
	v_add_f64 v[44:45], v[44:45], v[54:55]
	v_add_f64 v[46:47], v[46:47], v[52:53]
	v_fma_f64 v[50:51], v[8:9], v[179:180], v[50:51]
	v_fma_f64 v[54:55], v[6:7], v[179:180], -v[56:57]
	scratch_load_b128 v[179:182], off, off offset:768
	ds_load_b128 v[6:9], v1 offset:1568
	s_waitcnt vmcnt(9) lgkmcnt(1)
	v_mul_f64 v[52:53], v[2:3], v[12:13]
	v_mul_f64 v[12:13], v[4:5], v[12:13]
	v_add_f64 v[44:45], v[44:45], v[58:59]
	v_add_f64 v[46:47], v[46:47], v[48:49]
	s_waitcnt vmcnt(8) lgkmcnt(0)
	v_mul_f64 v[48:49], v[6:7], v[16:17]
	v_mul_f64 v[16:17], v[8:9], v[16:17]
	v_fma_f64 v[52:53], v[4:5], v[10:11], v[52:53]
	v_fma_f64 v[56:57], v[2:3], v[10:11], -v[12:13]
	ds_load_b128 v[2:5], v1 offset:1584
	scratch_load_b128 v[10:13], off, off offset:784
	v_add_f64 v[44:45], v[44:45], v[54:55]
	v_add_f64 v[46:47], v[46:47], v[50:51]
	v_fma_f64 v[48:49], v[8:9], v[14:15], v[48:49]
	v_fma_f64 v[54:55], v[6:7], v[14:15], -v[16:17]
	scratch_load_b128 v[14:17], off, off offset:800
	ds_load_b128 v[6:9], v1 offset:1600
	s_waitcnt vmcnt(9) lgkmcnt(1)
	v_mul_f64 v[50:51], v[2:3], v[20:21]
	v_mul_f64 v[20:21], v[4:5], v[20:21]
	v_add_f64 v[44:45], v[44:45], v[56:57]
	v_add_f64 v[46:47], v[46:47], v[52:53]
	s_waitcnt vmcnt(8) lgkmcnt(0)
	v_mul_f64 v[52:53], v[6:7], v[24:25]
	v_mul_f64 v[24:25], v[8:9], v[24:25]
	v_fma_f64 v[50:51], v[4:5], v[18:19], v[50:51]
	v_fma_f64 v[56:57], v[2:3], v[18:19], -v[20:21]
	ds_load_b128 v[2:5], v1 offset:1616
	scratch_load_b128 v[18:21], off, off offset:816
	v_add_f64 v[44:45], v[44:45], v[54:55]
	v_add_f64 v[46:47], v[46:47], v[48:49]
	v_fma_f64 v[52:53], v[8:9], v[22:23], v[52:53]
	v_fma_f64 v[54:55], v[6:7], v[22:23], -v[24:25]
	ds_load_b128 v[6:9], v1 offset:1632
	s_waitcnt vmcnt(8) lgkmcnt(1)
	v_mul_f64 v[48:49], v[2:3], v[28:29]
	v_mul_f64 v[28:29], v[4:5], v[28:29]
	scratch_load_b128 v[22:25], off, off offset:832
	v_add_f64 v[44:45], v[44:45], v[56:57]
	v_add_f64 v[46:47], v[46:47], v[50:51]
	s_waitcnt vmcnt(8) lgkmcnt(0)
	v_mul_f64 v[50:51], v[6:7], v[32:33]
	v_mul_f64 v[32:33], v[8:9], v[32:33]
	v_fma_f64 v[48:49], v[4:5], v[26:27], v[48:49]
	v_fma_f64 v[56:57], v[2:3], v[26:27], -v[28:29]
	scratch_load_b128 v[26:29], off, off offset:848
	ds_load_b128 v[2:5], v1 offset:1648
	v_add_f64 v[44:45], v[44:45], v[54:55]
	v_add_f64 v[46:47], v[46:47], v[52:53]
	v_fma_f64 v[50:51], v[8:9], v[30:31], v[50:51]
	v_fma_f64 v[54:55], v[6:7], v[30:31], -v[32:33]
	ds_load_b128 v[6:9], v1 offset:1664
	s_waitcnt vmcnt(8) lgkmcnt(1)
	v_mul_f64 v[52:53], v[2:3], v[36:37]
	v_mul_f64 v[36:37], v[4:5], v[36:37]
	scratch_load_b128 v[30:33], off, off offset:864
	v_add_f64 v[44:45], v[44:45], v[56:57]
	v_add_f64 v[46:47], v[46:47], v[48:49]
	s_waitcnt vmcnt(8) lgkmcnt(0)
	v_mul_f64 v[48:49], v[6:7], v[185:186]
	v_mul_f64 v[56:57], v[8:9], v[185:186]
	v_fma_f64 v[52:53], v[4:5], v[34:35], v[52:53]
	v_fma_f64 v[58:59], v[2:3], v[34:35], -v[36:37]
	scratch_load_b128 v[34:37], off, off offset:880
	ds_load_b128 v[2:5], v1 offset:1680
	v_add_f64 v[44:45], v[44:45], v[54:55]
	v_add_f64 v[46:47], v[46:47], v[50:51]
	v_fma_f64 v[48:49], v[8:9], v[183:184], v[48:49]
	v_fma_f64 v[54:55], v[6:7], v[183:184], -v[56:57]
	ds_load_b128 v[6:9], v1 offset:1696
	s_waitcnt vmcnt(8) lgkmcnt(1)
	v_mul_f64 v[50:51], v[2:3], v[40:41]
	v_mul_f64 v[40:41], v[4:5], v[40:41]
	scratch_load_b128 v[183:186], off, off offset:896
	s_waitcnt vmcnt(8) lgkmcnt(0)
	v_mul_f64 v[56:57], v[8:9], v[181:182]
	v_add_f64 v[44:45], v[44:45], v[58:59]
	v_add_f64 v[46:47], v[46:47], v[52:53]
	v_mul_f64 v[52:53], v[6:7], v[181:182]
	v_fma_f64 v[50:51], v[4:5], v[38:39], v[50:51]
	v_fma_f64 v[58:59], v[2:3], v[38:39], -v[40:41]
	scratch_load_b128 v[38:41], off, off offset:912
	ds_load_b128 v[2:5], v1 offset:1712
	v_add_f64 v[44:45], v[44:45], v[54:55]
	v_add_f64 v[46:47], v[46:47], v[48:49]
	v_fma_f64 v[52:53], v[8:9], v[179:180], v[52:53]
	v_fma_f64 v[54:55], v[6:7], v[179:180], -v[56:57]
	ds_load_b128 v[6:9], v1 offset:1728
	s_waitcnt vmcnt(8) lgkmcnt(1)
	v_mul_f64 v[48:49], v[2:3], v[12:13]
	v_mul_f64 v[12:13], v[4:5], v[12:13]
	v_add_f64 v[44:45], v[44:45], v[58:59]
	v_add_f64 v[46:47], v[46:47], v[50:51]
	s_waitcnt vmcnt(7) lgkmcnt(0)
	v_mul_f64 v[50:51], v[6:7], v[16:17]
	v_mul_f64 v[16:17], v[8:9], v[16:17]
	v_fma_f64 v[48:49], v[4:5], v[10:11], v[48:49]
	v_fma_f64 v[10:11], v[2:3], v[10:11], -v[12:13]
	ds_load_b128 v[2:5], v1 offset:1744
	v_add_f64 v[12:13], v[44:45], v[54:55]
	v_add_f64 v[44:45], v[46:47], v[52:53]
	v_fma_f64 v[50:51], v[8:9], v[14:15], v[50:51]
	v_fma_f64 v[14:15], v[6:7], v[14:15], -v[16:17]
	ds_load_b128 v[6:9], v1 offset:1760
	v_add_f64 v[16:17], v[12:13], v[10:11]
	v_add_f64 v[44:45], v[44:45], v[48:49]
	scratch_load_b128 v[10:13], off, off offset:416
	s_waitcnt vmcnt(7) lgkmcnt(1)
	v_mul_f64 v[46:47], v[2:3], v[20:21]
	v_mul_f64 v[20:21], v[4:5], v[20:21]
	s_waitcnt vmcnt(6) lgkmcnt(0)
	v_mul_f64 v[48:49], v[6:7], v[24:25]
	v_mul_f64 v[24:25], v[8:9], v[24:25]
	v_add_f64 v[14:15], v[16:17], v[14:15]
	v_add_f64 v[16:17], v[44:45], v[50:51]
	v_fma_f64 v[46:47], v[4:5], v[18:19], v[46:47]
	v_fma_f64 v[18:19], v[2:3], v[18:19], -v[20:21]
	ds_load_b128 v[2:5], v1 offset:1776
	v_fma_f64 v[44:45], v[8:9], v[22:23], v[48:49]
	v_fma_f64 v[22:23], v[6:7], v[22:23], -v[24:25]
	ds_load_b128 v[6:9], v1 offset:1792
	s_waitcnt vmcnt(5) lgkmcnt(1)
	v_mul_f64 v[20:21], v[2:3], v[28:29]
	v_mul_f64 v[28:29], v[4:5], v[28:29]
	s_waitcnt vmcnt(4) lgkmcnt(0)
	v_mul_f64 v[24:25], v[8:9], v[32:33]
	v_add_f64 v[16:17], v[16:17], v[46:47]
	v_add_f64 v[14:15], v[14:15], v[18:19]
	v_mul_f64 v[18:19], v[6:7], v[32:33]
	v_fma_f64 v[20:21], v[4:5], v[26:27], v[20:21]
	v_fma_f64 v[26:27], v[2:3], v[26:27], -v[28:29]
	ds_load_b128 v[2:5], v1 offset:1808
	v_fma_f64 v[24:25], v[6:7], v[30:31], -v[24:25]
	v_add_f64 v[16:17], v[16:17], v[44:45]
	v_add_f64 v[14:15], v[14:15], v[22:23]
	v_fma_f64 v[18:19], v[8:9], v[30:31], v[18:19]
	ds_load_b128 v[6:9], v1 offset:1824
	s_waitcnt vmcnt(3) lgkmcnt(1)
	v_mul_f64 v[22:23], v[2:3], v[36:37]
	v_mul_f64 v[28:29], v[4:5], v[36:37]
	v_add_f64 v[16:17], v[16:17], v[20:21]
	v_add_f64 v[14:15], v[14:15], v[26:27]
	s_waitcnt vmcnt(2) lgkmcnt(0)
	v_mul_f64 v[20:21], v[6:7], v[185:186]
	v_mul_f64 v[26:27], v[8:9], v[185:186]
	v_fma_f64 v[22:23], v[4:5], v[34:35], v[22:23]
	v_fma_f64 v[28:29], v[2:3], v[34:35], -v[28:29]
	ds_load_b128 v[2:5], v1 offset:1840
	v_add_f64 v[16:17], v[16:17], v[18:19]
	v_add_f64 v[14:15], v[14:15], v[24:25]
	s_waitcnt vmcnt(1) lgkmcnt(0)
	v_mul_f64 v[18:19], v[2:3], v[40:41]
	v_mul_f64 v[24:25], v[4:5], v[40:41]
	v_fma_f64 v[8:9], v[8:9], v[183:184], v[20:21]
	v_fma_f64 v[6:7], v[6:7], v[183:184], -v[26:27]
	v_add_f64 v[16:17], v[16:17], v[22:23]
	v_add_f64 v[14:15], v[14:15], v[28:29]
	v_fma_f64 v[4:5], v[4:5], v[38:39], v[18:19]
	v_fma_f64 v[2:3], v[2:3], v[38:39], -v[24:25]
	s_delay_alu instid0(VALU_DEP_4) | instskip(NEXT) | instid1(VALU_DEP_4)
	v_add_f64 v[8:9], v[16:17], v[8:9]
	v_add_f64 v[6:7], v[14:15], v[6:7]
	s_delay_alu instid0(VALU_DEP_2) | instskip(NEXT) | instid1(VALU_DEP_2)
	v_add_f64 v[4:5], v[8:9], v[4:5]
	v_add_f64 v[2:3], v[6:7], v[2:3]
	s_waitcnt vmcnt(0)
	s_delay_alu instid0(VALU_DEP_2) | instskip(NEXT) | instid1(VALU_DEP_2)
	v_add_f64 v[4:5], v[12:13], -v[4:5]
	v_add_f64 v[2:3], v[10:11], -v[2:3]
	scratch_store_b128 off, v[2:5], off offset:416
	v_cmpx_lt_u32_e32 25, v158
	s_cbranch_execz .LBB57_311
; %bb.310:
	scratch_load_b32 v2, off, off offset:980 ; 4-byte Folded Reload
	v_mov_b32_e32 v3, v1
	v_mov_b32_e32 v4, v1
	s_waitcnt vmcnt(0)
	scratch_load_b128 v[5:8], v2, off
	v_mov_b32_e32 v2, v1
	scratch_store_b128 off, v[1:4], off offset:400
	s_waitcnt vmcnt(0)
	ds_store_b128 v216, v[5:8]
.LBB57_311:
	s_or_b32 exec_lo, exec_lo, s2
	s_waitcnt lgkmcnt(0)
	s_waitcnt_vscnt null, 0x0
	s_barrier
	buffer_gl0_inv
	s_clause 0x7
	scratch_load_b128 v[2:5], off, off offset:416
	scratch_load_b128 v[6:9], off, off offset:432
	;; [unrolled: 1-line block ×8, first 2 shown]
	ds_load_b128 v[38:41], v1 offset:1344
	ds_load_b128 v[179:182], v1 offset:1360
	s_clause 0x1
	scratch_load_b128 v[34:37], off, off offset:544
	scratch_load_b128 v[183:186], off, off offset:560
	s_mov_b32 s2, exec_lo
	s_waitcnt vmcnt(9) lgkmcnt(1)
	v_mul_f64 v[44:45], v[40:41], v[4:5]
	v_mul_f64 v[4:5], v[38:39], v[4:5]
	s_waitcnt vmcnt(8) lgkmcnt(0)
	v_mul_f64 v[46:47], v[179:180], v[8:9]
	v_mul_f64 v[8:9], v[181:182], v[8:9]
	s_delay_alu instid0(VALU_DEP_4) | instskip(NEXT) | instid1(VALU_DEP_4)
	v_fma_f64 v[44:45], v[38:39], v[2:3], -v[44:45]
	v_fma_f64 v[48:49], v[40:41], v[2:3], v[4:5]
	ds_load_b128 v[2:5], v1 offset:1376
	scratch_load_b128 v[38:41], off, off offset:576
	v_fma_f64 v[46:47], v[181:182], v[6:7], v[46:47]
	v_fma_f64 v[52:53], v[179:180], v[6:7], -v[8:9]
	scratch_load_b128 v[179:182], off, off offset:592
	ds_load_b128 v[6:9], v1 offset:1392
	s_waitcnt vmcnt(9) lgkmcnt(1)
	v_mul_f64 v[50:51], v[2:3], v[12:13]
	v_mul_f64 v[12:13], v[4:5], v[12:13]
	s_waitcnt vmcnt(8) lgkmcnt(0)
	v_mul_f64 v[54:55], v[6:7], v[16:17]
	v_mul_f64 v[16:17], v[8:9], v[16:17]
	v_add_f64 v[44:45], v[44:45], 0
	v_add_f64 v[48:49], v[48:49], 0
	v_fma_f64 v[50:51], v[4:5], v[10:11], v[50:51]
	v_fma_f64 v[56:57], v[2:3], v[10:11], -v[12:13]
	ds_load_b128 v[2:5], v1 offset:1408
	scratch_load_b128 v[10:13], off, off offset:608
	v_add_f64 v[44:45], v[44:45], v[52:53]
	v_add_f64 v[46:47], v[48:49], v[46:47]
	v_fma_f64 v[52:53], v[8:9], v[14:15], v[54:55]
	v_fma_f64 v[54:55], v[6:7], v[14:15], -v[16:17]
	scratch_load_b128 v[14:17], off, off offset:624
	ds_load_b128 v[6:9], v1 offset:1424
	s_waitcnt vmcnt(9) lgkmcnt(1)
	v_mul_f64 v[48:49], v[2:3], v[20:21]
	v_mul_f64 v[20:21], v[4:5], v[20:21]
	v_add_f64 v[44:45], v[44:45], v[56:57]
	v_add_f64 v[46:47], v[46:47], v[50:51]
	s_waitcnt vmcnt(8) lgkmcnt(0)
	v_mul_f64 v[50:51], v[6:7], v[24:25]
	v_mul_f64 v[24:25], v[8:9], v[24:25]
	v_fma_f64 v[48:49], v[4:5], v[18:19], v[48:49]
	v_fma_f64 v[56:57], v[2:3], v[18:19], -v[20:21]
	ds_load_b128 v[2:5], v1 offset:1440
	scratch_load_b128 v[18:21], off, off offset:640
	v_add_f64 v[44:45], v[44:45], v[54:55]
	v_add_f64 v[46:47], v[46:47], v[52:53]
	v_fma_f64 v[50:51], v[8:9], v[22:23], v[50:51]
	v_fma_f64 v[54:55], v[6:7], v[22:23], -v[24:25]
	scratch_load_b128 v[22:25], off, off offset:656
	ds_load_b128 v[6:9], v1 offset:1456
	s_waitcnt vmcnt(9) lgkmcnt(1)
	v_mul_f64 v[52:53], v[2:3], v[28:29]
	v_mul_f64 v[28:29], v[4:5], v[28:29]
	v_add_f64 v[44:45], v[44:45], v[56:57]
	v_add_f64 v[46:47], v[46:47], v[48:49]
	s_waitcnt vmcnt(8) lgkmcnt(0)
	v_mul_f64 v[48:49], v[6:7], v[32:33]
	v_mul_f64 v[32:33], v[8:9], v[32:33]
	;; [unrolled: 18-line block ×3, first 2 shown]
	v_fma_f64 v[50:51], v[4:5], v[34:35], v[50:51]
	v_fma_f64 v[58:59], v[2:3], v[34:35], -v[36:37]
	ds_load_b128 v[2:5], v1 offset:1504
	scratch_load_b128 v[34:37], off, off offset:704
	v_add_f64 v[44:45], v[44:45], v[54:55]
	v_add_f64 v[46:47], v[46:47], v[48:49]
	v_fma_f64 v[52:53], v[8:9], v[183:184], v[52:53]
	v_fma_f64 v[54:55], v[6:7], v[183:184], -v[56:57]
	scratch_load_b128 v[183:186], off, off offset:720
	ds_load_b128 v[6:9], v1 offset:1520
	s_waitcnt vmcnt(9) lgkmcnt(1)
	v_mul_f64 v[48:49], v[2:3], v[40:41]
	v_mul_f64 v[40:41], v[4:5], v[40:41]
	s_waitcnt vmcnt(8) lgkmcnt(0)
	v_mul_f64 v[56:57], v[8:9], v[181:182]
	v_add_f64 v[44:45], v[44:45], v[58:59]
	v_add_f64 v[46:47], v[46:47], v[50:51]
	v_mul_f64 v[50:51], v[6:7], v[181:182]
	v_fma_f64 v[48:49], v[4:5], v[38:39], v[48:49]
	v_fma_f64 v[58:59], v[2:3], v[38:39], -v[40:41]
	ds_load_b128 v[2:5], v1 offset:1536
	scratch_load_b128 v[38:41], off, off offset:736
	v_add_f64 v[44:45], v[44:45], v[54:55]
	v_add_f64 v[46:47], v[46:47], v[52:53]
	v_fma_f64 v[50:51], v[8:9], v[179:180], v[50:51]
	v_fma_f64 v[54:55], v[6:7], v[179:180], -v[56:57]
	scratch_load_b128 v[179:182], off, off offset:752
	ds_load_b128 v[6:9], v1 offset:1552
	s_waitcnt vmcnt(9) lgkmcnt(1)
	v_mul_f64 v[52:53], v[2:3], v[12:13]
	v_mul_f64 v[12:13], v[4:5], v[12:13]
	v_add_f64 v[44:45], v[44:45], v[58:59]
	v_add_f64 v[46:47], v[46:47], v[48:49]
	s_waitcnt vmcnt(8) lgkmcnt(0)
	v_mul_f64 v[48:49], v[6:7], v[16:17]
	v_mul_f64 v[16:17], v[8:9], v[16:17]
	v_fma_f64 v[52:53], v[4:5], v[10:11], v[52:53]
	v_fma_f64 v[56:57], v[2:3], v[10:11], -v[12:13]
	ds_load_b128 v[2:5], v1 offset:1568
	scratch_load_b128 v[10:13], off, off offset:768
	v_add_f64 v[44:45], v[44:45], v[54:55]
	v_add_f64 v[46:47], v[46:47], v[50:51]
	v_fma_f64 v[48:49], v[8:9], v[14:15], v[48:49]
	v_fma_f64 v[54:55], v[6:7], v[14:15], -v[16:17]
	scratch_load_b128 v[14:17], off, off offset:784
	ds_load_b128 v[6:9], v1 offset:1584
	s_waitcnt vmcnt(9) lgkmcnt(1)
	v_mul_f64 v[50:51], v[2:3], v[20:21]
	v_mul_f64 v[20:21], v[4:5], v[20:21]
	v_add_f64 v[44:45], v[44:45], v[56:57]
	v_add_f64 v[46:47], v[46:47], v[52:53]
	s_waitcnt vmcnt(8) lgkmcnt(0)
	v_mul_f64 v[52:53], v[6:7], v[24:25]
	v_mul_f64 v[24:25], v[8:9], v[24:25]
	v_fma_f64 v[50:51], v[4:5], v[18:19], v[50:51]
	v_fma_f64 v[56:57], v[2:3], v[18:19], -v[20:21]
	ds_load_b128 v[2:5], v1 offset:1600
	scratch_load_b128 v[18:21], off, off offset:800
	v_add_f64 v[44:45], v[44:45], v[54:55]
	v_add_f64 v[46:47], v[46:47], v[48:49]
	v_fma_f64 v[52:53], v[8:9], v[22:23], v[52:53]
	v_fma_f64 v[54:55], v[6:7], v[22:23], -v[24:25]
	ds_load_b128 v[6:9], v1 offset:1616
	s_waitcnt vmcnt(8) lgkmcnt(1)
	v_mul_f64 v[48:49], v[2:3], v[28:29]
	v_mul_f64 v[28:29], v[4:5], v[28:29]
	scratch_load_b128 v[22:25], off, off offset:816
	v_add_f64 v[44:45], v[44:45], v[56:57]
	v_add_f64 v[46:47], v[46:47], v[50:51]
	s_waitcnt vmcnt(8) lgkmcnt(0)
	v_mul_f64 v[50:51], v[6:7], v[32:33]
	v_mul_f64 v[32:33], v[8:9], v[32:33]
	v_fma_f64 v[48:49], v[4:5], v[26:27], v[48:49]
	v_fma_f64 v[56:57], v[2:3], v[26:27], -v[28:29]
	ds_load_b128 v[2:5], v1 offset:1632
	scratch_load_b128 v[26:29], off, off offset:832
	v_add_f64 v[44:45], v[44:45], v[54:55]
	v_add_f64 v[46:47], v[46:47], v[52:53]
	v_fma_f64 v[50:51], v[8:9], v[30:31], v[50:51]
	v_fma_f64 v[54:55], v[6:7], v[30:31], -v[32:33]
	ds_load_b128 v[6:9], v1 offset:1648
	s_waitcnt vmcnt(8) lgkmcnt(1)
	v_mul_f64 v[52:53], v[2:3], v[36:37]
	v_mul_f64 v[36:37], v[4:5], v[36:37]
	scratch_load_b128 v[30:33], off, off offset:848
	v_add_f64 v[44:45], v[44:45], v[56:57]
	v_add_f64 v[46:47], v[46:47], v[48:49]
	s_waitcnt vmcnt(8) lgkmcnt(0)
	v_mul_f64 v[48:49], v[6:7], v[185:186]
	v_mul_f64 v[56:57], v[8:9], v[185:186]
	v_fma_f64 v[52:53], v[4:5], v[34:35], v[52:53]
	v_fma_f64 v[58:59], v[2:3], v[34:35], -v[36:37]
	scratch_load_b128 v[34:37], off, off offset:864
	ds_load_b128 v[2:5], v1 offset:1664
	v_add_f64 v[44:45], v[44:45], v[54:55]
	v_add_f64 v[46:47], v[46:47], v[50:51]
	v_fma_f64 v[48:49], v[8:9], v[183:184], v[48:49]
	v_fma_f64 v[54:55], v[6:7], v[183:184], -v[56:57]
	ds_load_b128 v[6:9], v1 offset:1680
	s_waitcnt vmcnt(8) lgkmcnt(1)
	v_mul_f64 v[50:51], v[2:3], v[40:41]
	v_mul_f64 v[40:41], v[4:5], v[40:41]
	scratch_load_b128 v[183:186], off, off offset:880
	s_waitcnt vmcnt(8) lgkmcnt(0)
	v_mul_f64 v[56:57], v[8:9], v[181:182]
	v_add_f64 v[44:45], v[44:45], v[58:59]
	v_add_f64 v[46:47], v[46:47], v[52:53]
	v_mul_f64 v[52:53], v[6:7], v[181:182]
	v_fma_f64 v[50:51], v[4:5], v[38:39], v[50:51]
	v_fma_f64 v[58:59], v[2:3], v[38:39], -v[40:41]
	scratch_load_b128 v[38:41], off, off offset:896
	ds_load_b128 v[2:5], v1 offset:1696
	v_add_f64 v[44:45], v[44:45], v[54:55]
	v_add_f64 v[46:47], v[46:47], v[48:49]
	v_fma_f64 v[52:53], v[8:9], v[179:180], v[52:53]
	v_fma_f64 v[54:55], v[6:7], v[179:180], -v[56:57]
	ds_load_b128 v[6:9], v1 offset:1712
	s_waitcnt vmcnt(8) lgkmcnt(1)
	v_mul_f64 v[48:49], v[2:3], v[12:13]
	v_mul_f64 v[12:13], v[4:5], v[12:13]
	scratch_load_b128 v[179:182], off, off offset:912
	v_add_f64 v[44:45], v[44:45], v[58:59]
	v_add_f64 v[46:47], v[46:47], v[50:51]
	s_waitcnt vmcnt(8) lgkmcnt(0)
	v_mul_f64 v[50:51], v[6:7], v[16:17]
	v_mul_f64 v[16:17], v[8:9], v[16:17]
	v_fma_f64 v[48:49], v[4:5], v[10:11], v[48:49]
	v_fma_f64 v[10:11], v[2:3], v[10:11], -v[12:13]
	ds_load_b128 v[2:5], v1 offset:1728
	v_add_f64 v[12:13], v[44:45], v[54:55]
	v_add_f64 v[44:45], v[46:47], v[52:53]
	v_fma_f64 v[50:51], v[8:9], v[14:15], v[50:51]
	v_fma_f64 v[14:15], v[6:7], v[14:15], -v[16:17]
	ds_load_b128 v[6:9], v1 offset:1744
	s_waitcnt vmcnt(7) lgkmcnt(1)
	v_mul_f64 v[46:47], v[2:3], v[20:21]
	v_mul_f64 v[20:21], v[4:5], v[20:21]
	v_add_f64 v[10:11], v[12:13], v[10:11]
	v_add_f64 v[12:13], v[44:45], v[48:49]
	s_delay_alu instid0(VALU_DEP_4) | instskip(NEXT) | instid1(VALU_DEP_4)
	v_fma_f64 v[44:45], v[4:5], v[18:19], v[46:47]
	v_fma_f64 v[18:19], v[2:3], v[18:19], -v[20:21]
	ds_load_b128 v[2:5], v1 offset:1760
	v_add_f64 v[14:15], v[10:11], v[14:15]
	v_add_f64 v[20:21], v[12:13], v[50:51]
	scratch_load_b128 v[10:13], off, off offset:400
	s_waitcnt vmcnt(7) lgkmcnt(1)
	v_mul_f64 v[16:17], v[6:7], v[24:25]
	v_mul_f64 v[24:25], v[8:9], v[24:25]
	v_add_f64 v[14:15], v[14:15], v[18:19]
	v_add_f64 v[18:19], v[20:21], v[44:45]
	s_delay_alu instid0(VALU_DEP_4) | instskip(NEXT) | instid1(VALU_DEP_4)
	v_fma_f64 v[16:17], v[8:9], v[22:23], v[16:17]
	v_fma_f64 v[22:23], v[6:7], v[22:23], -v[24:25]
	ds_load_b128 v[6:9], v1 offset:1776
	s_waitcnt vmcnt(6) lgkmcnt(1)
	v_mul_f64 v[46:47], v[2:3], v[28:29]
	v_mul_f64 v[28:29], v[4:5], v[28:29]
	s_waitcnt vmcnt(5) lgkmcnt(0)
	v_mul_f64 v[20:21], v[6:7], v[32:33]
	v_mul_f64 v[24:25], v[8:9], v[32:33]
	v_add_f64 v[16:17], v[18:19], v[16:17]
	v_add_f64 v[14:15], v[14:15], v[22:23]
	v_fma_f64 v[32:33], v[4:5], v[26:27], v[46:47]
	v_fma_f64 v[26:27], v[2:3], v[26:27], -v[28:29]
	ds_load_b128 v[2:5], v1 offset:1792
	v_fma_f64 v[20:21], v[8:9], v[30:31], v[20:21]
	v_fma_f64 v[24:25], v[6:7], v[30:31], -v[24:25]
	ds_load_b128 v[6:9], v1 offset:1808
	s_waitcnt vmcnt(4) lgkmcnt(1)
	v_mul_f64 v[18:19], v[2:3], v[36:37]
	v_mul_f64 v[22:23], v[4:5], v[36:37]
	v_add_f64 v[16:17], v[16:17], v[32:33]
	v_add_f64 v[14:15], v[14:15], v[26:27]
	s_waitcnt vmcnt(3) lgkmcnt(0)
	v_mul_f64 v[26:27], v[6:7], v[185:186]
	v_mul_f64 v[28:29], v[8:9], v[185:186]
	v_fma_f64 v[18:19], v[4:5], v[34:35], v[18:19]
	v_fma_f64 v[22:23], v[2:3], v[34:35], -v[22:23]
	ds_load_b128 v[2:5], v1 offset:1824
	v_add_f64 v[16:17], v[16:17], v[20:21]
	v_add_f64 v[14:15], v[14:15], v[24:25]
	v_fma_f64 v[26:27], v[8:9], v[183:184], v[26:27]
	v_fma_f64 v[28:29], v[6:7], v[183:184], -v[28:29]
	ds_load_b128 v[6:9], v1 offset:1840
	s_waitcnt vmcnt(2) lgkmcnt(1)
	v_mul_f64 v[20:21], v[2:3], v[40:41]
	v_mul_f64 v[24:25], v[4:5], v[40:41]
	v_add_f64 v[16:17], v[16:17], v[18:19]
	v_add_f64 v[14:15], v[14:15], v[22:23]
	s_waitcnt vmcnt(1) lgkmcnt(0)
	v_mul_f64 v[18:19], v[6:7], v[181:182]
	v_mul_f64 v[22:23], v[8:9], v[181:182]
	v_fma_f64 v[4:5], v[4:5], v[38:39], v[20:21]
	v_fma_f64 v[1:2], v[2:3], v[38:39], -v[24:25]
	v_add_f64 v[16:17], v[16:17], v[26:27]
	v_add_f64 v[14:15], v[14:15], v[28:29]
	v_fma_f64 v[8:9], v[8:9], v[179:180], v[18:19]
	v_fma_f64 v[6:7], v[6:7], v[179:180], -v[22:23]
	s_delay_alu instid0(VALU_DEP_4) | instskip(NEXT) | instid1(VALU_DEP_4)
	v_add_f64 v[3:4], v[16:17], v[4:5]
	v_add_f64 v[1:2], v[14:15], v[1:2]
	s_delay_alu instid0(VALU_DEP_2) | instskip(NEXT) | instid1(VALU_DEP_2)
	v_add_f64 v[3:4], v[3:4], v[8:9]
	v_add_f64 v[1:2], v[1:2], v[6:7]
	s_waitcnt vmcnt(0)
	s_delay_alu instid0(VALU_DEP_2) | instskip(NEXT) | instid1(VALU_DEP_2)
	v_add_f64 v[3:4], v[12:13], -v[3:4]
	v_add_f64 v[1:2], v[10:11], -v[1:2]
	scratch_store_b128 off, v[1:4], off offset:400
	v_cmpx_lt_u32_e32 24, v158
	s_cbranch_execz .LBB57_313
; %bb.312:
	scratch_load_b32 v1, off, off offset:984 ; 4-byte Folded Reload
	v_mov_b32_e32 v5, 0
	s_delay_alu instid0(VALU_DEP_1)
	v_mov_b32_e32 v6, v5
	v_mov_b32_e32 v7, v5
	;; [unrolled: 1-line block ×3, first 2 shown]
	s_waitcnt vmcnt(0)
	scratch_load_b128 v[1:4], v1, off
	scratch_store_b128 off, v[5:8], off offset:384
	s_waitcnt vmcnt(0)
	ds_store_b128 v216, v[1:4]
.LBB57_313:
	s_or_b32 exec_lo, exec_lo, s2
	s_waitcnt lgkmcnt(0)
	s_waitcnt_vscnt null, 0x0
	s_barrier
	buffer_gl0_inv
	s_clause 0x7
	scratch_load_b128 v[2:5], off, off offset:400
	scratch_load_b128 v[6:9], off, off offset:416
	;; [unrolled: 1-line block ×8, first 2 shown]
	v_mov_b32_e32 v1, 0
	s_clause 0x1
	scratch_load_b128 v[34:37], off, off offset:528
	scratch_load_b128 v[183:186], off, off offset:544
	s_mov_b32 s2, exec_lo
	ds_load_b128 v[38:41], v1 offset:1328
	ds_load_b128 v[179:182], v1 offset:1344
	s_waitcnt vmcnt(9) lgkmcnt(1)
	v_mul_f64 v[44:45], v[40:41], v[4:5]
	v_mul_f64 v[4:5], v[38:39], v[4:5]
	s_waitcnt vmcnt(8) lgkmcnt(0)
	v_mul_f64 v[46:47], v[179:180], v[8:9]
	v_mul_f64 v[8:9], v[181:182], v[8:9]
	s_delay_alu instid0(VALU_DEP_4) | instskip(NEXT) | instid1(VALU_DEP_4)
	v_fma_f64 v[44:45], v[38:39], v[2:3], -v[44:45]
	v_fma_f64 v[48:49], v[40:41], v[2:3], v[4:5]
	ds_load_b128 v[2:5], v1 offset:1360
	scratch_load_b128 v[38:41], off, off offset:560
	v_fma_f64 v[46:47], v[181:182], v[6:7], v[46:47]
	v_fma_f64 v[52:53], v[179:180], v[6:7], -v[8:9]
	scratch_load_b128 v[179:182], off, off offset:576
	ds_load_b128 v[6:9], v1 offset:1376
	s_waitcnt vmcnt(9) lgkmcnt(1)
	v_mul_f64 v[50:51], v[2:3], v[12:13]
	v_mul_f64 v[12:13], v[4:5], v[12:13]
	s_waitcnt vmcnt(8) lgkmcnt(0)
	v_mul_f64 v[54:55], v[6:7], v[16:17]
	v_mul_f64 v[16:17], v[8:9], v[16:17]
	v_add_f64 v[44:45], v[44:45], 0
	v_add_f64 v[48:49], v[48:49], 0
	v_fma_f64 v[50:51], v[4:5], v[10:11], v[50:51]
	v_fma_f64 v[56:57], v[2:3], v[10:11], -v[12:13]
	ds_load_b128 v[2:5], v1 offset:1392
	scratch_load_b128 v[10:13], off, off offset:592
	v_add_f64 v[44:45], v[44:45], v[52:53]
	v_add_f64 v[46:47], v[48:49], v[46:47]
	v_fma_f64 v[52:53], v[8:9], v[14:15], v[54:55]
	v_fma_f64 v[54:55], v[6:7], v[14:15], -v[16:17]
	scratch_load_b128 v[14:17], off, off offset:608
	ds_load_b128 v[6:9], v1 offset:1408
	s_waitcnt vmcnt(9) lgkmcnt(1)
	v_mul_f64 v[48:49], v[2:3], v[20:21]
	v_mul_f64 v[20:21], v[4:5], v[20:21]
	v_add_f64 v[44:45], v[44:45], v[56:57]
	v_add_f64 v[46:47], v[46:47], v[50:51]
	s_waitcnt vmcnt(8) lgkmcnt(0)
	v_mul_f64 v[50:51], v[6:7], v[24:25]
	v_mul_f64 v[24:25], v[8:9], v[24:25]
	v_fma_f64 v[48:49], v[4:5], v[18:19], v[48:49]
	v_fma_f64 v[56:57], v[2:3], v[18:19], -v[20:21]
	ds_load_b128 v[2:5], v1 offset:1424
	scratch_load_b128 v[18:21], off, off offset:624
	v_add_f64 v[44:45], v[44:45], v[54:55]
	v_add_f64 v[46:47], v[46:47], v[52:53]
	v_fma_f64 v[50:51], v[8:9], v[22:23], v[50:51]
	v_fma_f64 v[54:55], v[6:7], v[22:23], -v[24:25]
	scratch_load_b128 v[22:25], off, off offset:640
	ds_load_b128 v[6:9], v1 offset:1440
	s_waitcnt vmcnt(9) lgkmcnt(1)
	v_mul_f64 v[52:53], v[2:3], v[28:29]
	v_mul_f64 v[28:29], v[4:5], v[28:29]
	v_add_f64 v[44:45], v[44:45], v[56:57]
	v_add_f64 v[46:47], v[46:47], v[48:49]
	s_waitcnt vmcnt(8) lgkmcnt(0)
	v_mul_f64 v[48:49], v[6:7], v[32:33]
	v_mul_f64 v[32:33], v[8:9], v[32:33]
	;; [unrolled: 18-line block ×3, first 2 shown]
	v_fma_f64 v[50:51], v[4:5], v[34:35], v[50:51]
	v_fma_f64 v[58:59], v[2:3], v[34:35], -v[36:37]
	ds_load_b128 v[2:5], v1 offset:1488
	scratch_load_b128 v[34:37], off, off offset:688
	v_add_f64 v[44:45], v[44:45], v[54:55]
	v_add_f64 v[46:47], v[46:47], v[48:49]
	v_fma_f64 v[52:53], v[8:9], v[183:184], v[52:53]
	v_fma_f64 v[54:55], v[6:7], v[183:184], -v[56:57]
	scratch_load_b128 v[183:186], off, off offset:704
	ds_load_b128 v[6:9], v1 offset:1504
	s_waitcnt vmcnt(9) lgkmcnt(1)
	v_mul_f64 v[48:49], v[2:3], v[40:41]
	v_mul_f64 v[40:41], v[4:5], v[40:41]
	s_waitcnt vmcnt(8) lgkmcnt(0)
	v_mul_f64 v[56:57], v[8:9], v[181:182]
	v_add_f64 v[44:45], v[44:45], v[58:59]
	v_add_f64 v[46:47], v[46:47], v[50:51]
	v_mul_f64 v[50:51], v[6:7], v[181:182]
	v_fma_f64 v[48:49], v[4:5], v[38:39], v[48:49]
	v_fma_f64 v[58:59], v[2:3], v[38:39], -v[40:41]
	ds_load_b128 v[2:5], v1 offset:1520
	scratch_load_b128 v[38:41], off, off offset:720
	v_add_f64 v[44:45], v[44:45], v[54:55]
	v_add_f64 v[46:47], v[46:47], v[52:53]
	v_fma_f64 v[50:51], v[8:9], v[179:180], v[50:51]
	v_fma_f64 v[54:55], v[6:7], v[179:180], -v[56:57]
	scratch_load_b128 v[179:182], off, off offset:736
	ds_load_b128 v[6:9], v1 offset:1536
	s_waitcnt vmcnt(9) lgkmcnt(1)
	v_mul_f64 v[52:53], v[2:3], v[12:13]
	v_mul_f64 v[12:13], v[4:5], v[12:13]
	v_add_f64 v[44:45], v[44:45], v[58:59]
	v_add_f64 v[46:47], v[46:47], v[48:49]
	s_waitcnt vmcnt(8) lgkmcnt(0)
	v_mul_f64 v[48:49], v[6:7], v[16:17]
	v_mul_f64 v[16:17], v[8:9], v[16:17]
	v_fma_f64 v[52:53], v[4:5], v[10:11], v[52:53]
	v_fma_f64 v[56:57], v[2:3], v[10:11], -v[12:13]
	ds_load_b128 v[2:5], v1 offset:1552
	scratch_load_b128 v[10:13], off, off offset:752
	v_add_f64 v[44:45], v[44:45], v[54:55]
	v_add_f64 v[46:47], v[46:47], v[50:51]
	v_fma_f64 v[48:49], v[8:9], v[14:15], v[48:49]
	v_fma_f64 v[54:55], v[6:7], v[14:15], -v[16:17]
	scratch_load_b128 v[14:17], off, off offset:768
	ds_load_b128 v[6:9], v1 offset:1568
	s_waitcnt vmcnt(9) lgkmcnt(1)
	v_mul_f64 v[50:51], v[2:3], v[20:21]
	v_mul_f64 v[20:21], v[4:5], v[20:21]
	v_add_f64 v[44:45], v[44:45], v[56:57]
	v_add_f64 v[46:47], v[46:47], v[52:53]
	s_waitcnt vmcnt(8) lgkmcnt(0)
	v_mul_f64 v[52:53], v[6:7], v[24:25]
	v_mul_f64 v[24:25], v[8:9], v[24:25]
	v_fma_f64 v[50:51], v[4:5], v[18:19], v[50:51]
	v_fma_f64 v[56:57], v[2:3], v[18:19], -v[20:21]
	ds_load_b128 v[2:5], v1 offset:1584
	scratch_load_b128 v[18:21], off, off offset:784
	v_add_f64 v[44:45], v[44:45], v[54:55]
	v_add_f64 v[46:47], v[46:47], v[48:49]
	v_fma_f64 v[52:53], v[8:9], v[22:23], v[52:53]
	v_fma_f64 v[54:55], v[6:7], v[22:23], -v[24:25]
	scratch_load_b128 v[22:25], off, off offset:800
	ds_load_b128 v[6:9], v1 offset:1600
	s_waitcnt vmcnt(9) lgkmcnt(1)
	v_mul_f64 v[48:49], v[2:3], v[28:29]
	v_mul_f64 v[28:29], v[4:5], v[28:29]
	v_add_f64 v[44:45], v[44:45], v[56:57]
	v_add_f64 v[46:47], v[46:47], v[50:51]
	s_waitcnt vmcnt(8) lgkmcnt(0)
	v_mul_f64 v[50:51], v[6:7], v[32:33]
	v_mul_f64 v[32:33], v[8:9], v[32:33]
	v_fma_f64 v[48:49], v[4:5], v[26:27], v[48:49]
	v_fma_f64 v[56:57], v[2:3], v[26:27], -v[28:29]
	ds_load_b128 v[2:5], v1 offset:1616
	scratch_load_b128 v[26:29], off, off offset:816
	v_add_f64 v[44:45], v[44:45], v[54:55]
	v_add_f64 v[46:47], v[46:47], v[52:53]
	v_fma_f64 v[50:51], v[8:9], v[30:31], v[50:51]
	v_fma_f64 v[54:55], v[6:7], v[30:31], -v[32:33]
	ds_load_b128 v[6:9], v1 offset:1632
	s_waitcnt vmcnt(8) lgkmcnt(1)
	v_mul_f64 v[52:53], v[2:3], v[36:37]
	v_mul_f64 v[36:37], v[4:5], v[36:37]
	scratch_load_b128 v[30:33], off, off offset:832
	v_add_f64 v[44:45], v[44:45], v[56:57]
	v_add_f64 v[46:47], v[46:47], v[48:49]
	s_waitcnt vmcnt(8) lgkmcnt(0)
	v_mul_f64 v[48:49], v[6:7], v[185:186]
	v_mul_f64 v[56:57], v[8:9], v[185:186]
	v_fma_f64 v[52:53], v[4:5], v[34:35], v[52:53]
	v_fma_f64 v[58:59], v[2:3], v[34:35], -v[36:37]
	scratch_load_b128 v[34:37], off, off offset:848
	ds_load_b128 v[2:5], v1 offset:1648
	v_add_f64 v[44:45], v[44:45], v[54:55]
	v_add_f64 v[46:47], v[46:47], v[50:51]
	v_fma_f64 v[48:49], v[8:9], v[183:184], v[48:49]
	v_fma_f64 v[54:55], v[6:7], v[183:184], -v[56:57]
	ds_load_b128 v[6:9], v1 offset:1664
	s_waitcnt vmcnt(8) lgkmcnt(1)
	v_mul_f64 v[50:51], v[2:3], v[40:41]
	v_mul_f64 v[40:41], v[4:5], v[40:41]
	scratch_load_b128 v[183:186], off, off offset:864
	s_waitcnt vmcnt(8) lgkmcnt(0)
	v_mul_f64 v[56:57], v[8:9], v[181:182]
	v_add_f64 v[44:45], v[44:45], v[58:59]
	v_add_f64 v[46:47], v[46:47], v[52:53]
	v_mul_f64 v[52:53], v[6:7], v[181:182]
	v_fma_f64 v[50:51], v[4:5], v[38:39], v[50:51]
	v_fma_f64 v[58:59], v[2:3], v[38:39], -v[40:41]
	scratch_load_b128 v[38:41], off, off offset:880
	ds_load_b128 v[2:5], v1 offset:1680
	v_add_f64 v[44:45], v[44:45], v[54:55]
	v_add_f64 v[46:47], v[46:47], v[48:49]
	v_fma_f64 v[52:53], v[8:9], v[179:180], v[52:53]
	v_fma_f64 v[54:55], v[6:7], v[179:180], -v[56:57]
	ds_load_b128 v[6:9], v1 offset:1696
	s_waitcnt vmcnt(8) lgkmcnt(1)
	v_mul_f64 v[48:49], v[2:3], v[12:13]
	v_mul_f64 v[12:13], v[4:5], v[12:13]
	scratch_load_b128 v[179:182], off, off offset:896
	v_add_f64 v[44:45], v[44:45], v[58:59]
	v_add_f64 v[46:47], v[46:47], v[50:51]
	s_waitcnt vmcnt(8) lgkmcnt(0)
	v_mul_f64 v[50:51], v[6:7], v[16:17]
	v_mul_f64 v[16:17], v[8:9], v[16:17]
	v_fma_f64 v[48:49], v[4:5], v[10:11], v[48:49]
	v_fma_f64 v[56:57], v[2:3], v[10:11], -v[12:13]
	scratch_load_b128 v[10:13], off, off offset:912
	ds_load_b128 v[2:5], v1 offset:1712
	v_add_f64 v[44:45], v[44:45], v[54:55]
	v_add_f64 v[46:47], v[46:47], v[52:53]
	v_fma_f64 v[50:51], v[8:9], v[14:15], v[50:51]
	v_fma_f64 v[14:15], v[6:7], v[14:15], -v[16:17]
	ds_load_b128 v[6:9], v1 offset:1728
	s_waitcnt vmcnt(8) lgkmcnt(1)
	v_mul_f64 v[52:53], v[2:3], v[20:21]
	v_mul_f64 v[20:21], v[4:5], v[20:21]
	v_add_f64 v[16:17], v[44:45], v[56:57]
	v_add_f64 v[44:45], v[46:47], v[48:49]
	s_waitcnt vmcnt(7) lgkmcnt(0)
	v_mul_f64 v[46:47], v[6:7], v[24:25]
	v_mul_f64 v[24:25], v[8:9], v[24:25]
	v_fma_f64 v[48:49], v[4:5], v[18:19], v[52:53]
	v_fma_f64 v[18:19], v[2:3], v[18:19], -v[20:21]
	ds_load_b128 v[2:5], v1 offset:1744
	v_add_f64 v[14:15], v[16:17], v[14:15]
	v_add_f64 v[16:17], v[44:45], v[50:51]
	v_fma_f64 v[44:45], v[8:9], v[22:23], v[46:47]
	v_fma_f64 v[22:23], v[6:7], v[22:23], -v[24:25]
	ds_load_b128 v[6:9], v1 offset:1760
	s_waitcnt vmcnt(5) lgkmcnt(0)
	v_mul_f64 v[46:47], v[6:7], v[32:33]
	v_mul_f64 v[32:33], v[8:9], v[32:33]
	v_add_f64 v[18:19], v[14:15], v[18:19]
	v_add_f64 v[24:25], v[16:17], v[48:49]
	scratch_load_b128 v[14:17], off, off offset:384
	v_mul_f64 v[20:21], v[2:3], v[28:29]
	v_mul_f64 v[28:29], v[4:5], v[28:29]
	v_add_f64 v[18:19], v[18:19], v[22:23]
	v_add_f64 v[22:23], v[24:25], v[44:45]
	s_delay_alu instid0(VALU_DEP_4) | instskip(NEXT) | instid1(VALU_DEP_4)
	v_fma_f64 v[20:21], v[4:5], v[26:27], v[20:21]
	v_fma_f64 v[26:27], v[2:3], v[26:27], -v[28:29]
	ds_load_b128 v[2:5], v1 offset:1776
	s_waitcnt vmcnt(5) lgkmcnt(0)
	v_mul_f64 v[24:25], v[2:3], v[36:37]
	v_mul_f64 v[28:29], v[4:5], v[36:37]
	v_fma_f64 v[36:37], v[8:9], v[30:31], v[46:47]
	v_fma_f64 v[30:31], v[6:7], v[30:31], -v[32:33]
	ds_load_b128 v[6:9], v1 offset:1792
	v_add_f64 v[20:21], v[22:23], v[20:21]
	v_add_f64 v[18:19], v[18:19], v[26:27]
	v_fma_f64 v[24:25], v[4:5], v[34:35], v[24:25]
	v_fma_f64 v[28:29], v[2:3], v[34:35], -v[28:29]
	ds_load_b128 v[2:5], v1 offset:1808
	s_waitcnt vmcnt(4) lgkmcnt(1)
	v_mul_f64 v[22:23], v[6:7], v[185:186]
	v_mul_f64 v[26:27], v[8:9], v[185:186]
	v_add_f64 v[20:21], v[20:21], v[36:37]
	v_add_f64 v[18:19], v[18:19], v[30:31]
	s_waitcnt vmcnt(3) lgkmcnt(0)
	v_mul_f64 v[30:31], v[2:3], v[40:41]
	v_mul_f64 v[32:33], v[4:5], v[40:41]
	v_fma_f64 v[22:23], v[8:9], v[183:184], v[22:23]
	v_fma_f64 v[26:27], v[6:7], v[183:184], -v[26:27]
	ds_load_b128 v[6:9], v1 offset:1824
	v_add_f64 v[20:21], v[20:21], v[24:25]
	v_add_f64 v[18:19], v[18:19], v[28:29]
	v_fma_f64 v[30:31], v[4:5], v[38:39], v[30:31]
	v_fma_f64 v[32:33], v[2:3], v[38:39], -v[32:33]
	ds_load_b128 v[2:5], v1 offset:1840
	s_waitcnt vmcnt(2) lgkmcnt(1)
	v_mul_f64 v[24:25], v[6:7], v[181:182]
	v_mul_f64 v[28:29], v[8:9], v[181:182]
	v_add_f64 v[20:21], v[20:21], v[22:23]
	v_add_f64 v[18:19], v[18:19], v[26:27]
	s_waitcnt vmcnt(1) lgkmcnt(0)
	v_mul_f64 v[22:23], v[2:3], v[12:13]
	v_mul_f64 v[12:13], v[4:5], v[12:13]
	v_fma_f64 v[8:9], v[8:9], v[179:180], v[24:25]
	v_fma_f64 v[6:7], v[6:7], v[179:180], -v[28:29]
	v_add_f64 v[20:21], v[20:21], v[30:31]
	v_add_f64 v[18:19], v[18:19], v[32:33]
	v_fma_f64 v[4:5], v[4:5], v[10:11], v[22:23]
	v_fma_f64 v[2:3], v[2:3], v[10:11], -v[12:13]
	s_delay_alu instid0(VALU_DEP_4) | instskip(NEXT) | instid1(VALU_DEP_4)
	v_add_f64 v[8:9], v[20:21], v[8:9]
	v_add_f64 v[6:7], v[18:19], v[6:7]
	s_delay_alu instid0(VALU_DEP_2) | instskip(NEXT) | instid1(VALU_DEP_2)
	v_add_f64 v[4:5], v[8:9], v[4:5]
	v_add_f64 v[2:3], v[6:7], v[2:3]
	s_waitcnt vmcnt(0)
	s_delay_alu instid0(VALU_DEP_2) | instskip(NEXT) | instid1(VALU_DEP_2)
	v_add_f64 v[4:5], v[16:17], -v[4:5]
	v_add_f64 v[2:3], v[14:15], -v[2:3]
	scratch_store_b128 off, v[2:5], off offset:384
	v_cmpx_lt_u32_e32 23, v158
	s_cbranch_execz .LBB57_315
; %bb.314:
	scratch_load_b32 v2, off, off offset:992 ; 4-byte Folded Reload
	v_mov_b32_e32 v3, v1
	v_mov_b32_e32 v4, v1
	s_waitcnt vmcnt(0)
	scratch_load_b128 v[5:8], v2, off
	v_mov_b32_e32 v2, v1
	scratch_store_b128 off, v[1:4], off offset:368
	s_waitcnt vmcnt(0)
	ds_store_b128 v216, v[5:8]
.LBB57_315:
	s_or_b32 exec_lo, exec_lo, s2
	s_waitcnt lgkmcnt(0)
	s_waitcnt_vscnt null, 0x0
	s_barrier
	buffer_gl0_inv
	s_clause 0x7
	scratch_load_b128 v[2:5], off, off offset:384
	scratch_load_b128 v[6:9], off, off offset:400
	;; [unrolled: 1-line block ×8, first 2 shown]
	ds_load_b128 v[38:41], v1 offset:1312
	ds_load_b128 v[179:182], v1 offset:1328
	s_clause 0x1
	scratch_load_b128 v[34:37], off, off offset:512
	scratch_load_b128 v[183:186], off, off offset:528
	s_mov_b32 s2, exec_lo
	s_waitcnt vmcnt(9) lgkmcnt(1)
	v_mul_f64 v[44:45], v[40:41], v[4:5]
	v_mul_f64 v[4:5], v[38:39], v[4:5]
	s_waitcnt vmcnt(8) lgkmcnt(0)
	v_mul_f64 v[46:47], v[179:180], v[8:9]
	v_mul_f64 v[8:9], v[181:182], v[8:9]
	s_delay_alu instid0(VALU_DEP_4) | instskip(NEXT) | instid1(VALU_DEP_4)
	v_fma_f64 v[44:45], v[38:39], v[2:3], -v[44:45]
	v_fma_f64 v[48:49], v[40:41], v[2:3], v[4:5]
	ds_load_b128 v[2:5], v1 offset:1344
	scratch_load_b128 v[38:41], off, off offset:544
	v_fma_f64 v[46:47], v[181:182], v[6:7], v[46:47]
	v_fma_f64 v[52:53], v[179:180], v[6:7], -v[8:9]
	scratch_load_b128 v[179:182], off, off offset:560
	ds_load_b128 v[6:9], v1 offset:1360
	s_waitcnt vmcnt(9) lgkmcnt(1)
	v_mul_f64 v[50:51], v[2:3], v[12:13]
	v_mul_f64 v[12:13], v[4:5], v[12:13]
	s_waitcnt vmcnt(8) lgkmcnt(0)
	v_mul_f64 v[54:55], v[6:7], v[16:17]
	v_mul_f64 v[16:17], v[8:9], v[16:17]
	v_add_f64 v[44:45], v[44:45], 0
	v_add_f64 v[48:49], v[48:49], 0
	v_fma_f64 v[50:51], v[4:5], v[10:11], v[50:51]
	v_fma_f64 v[56:57], v[2:3], v[10:11], -v[12:13]
	ds_load_b128 v[2:5], v1 offset:1376
	scratch_load_b128 v[10:13], off, off offset:576
	v_add_f64 v[44:45], v[44:45], v[52:53]
	v_add_f64 v[46:47], v[48:49], v[46:47]
	v_fma_f64 v[52:53], v[8:9], v[14:15], v[54:55]
	v_fma_f64 v[54:55], v[6:7], v[14:15], -v[16:17]
	scratch_load_b128 v[14:17], off, off offset:592
	ds_load_b128 v[6:9], v1 offset:1392
	s_waitcnt vmcnt(9) lgkmcnt(1)
	v_mul_f64 v[48:49], v[2:3], v[20:21]
	v_mul_f64 v[20:21], v[4:5], v[20:21]
	v_add_f64 v[44:45], v[44:45], v[56:57]
	v_add_f64 v[46:47], v[46:47], v[50:51]
	s_waitcnt vmcnt(8) lgkmcnt(0)
	v_mul_f64 v[50:51], v[6:7], v[24:25]
	v_mul_f64 v[24:25], v[8:9], v[24:25]
	v_fma_f64 v[48:49], v[4:5], v[18:19], v[48:49]
	v_fma_f64 v[56:57], v[2:3], v[18:19], -v[20:21]
	ds_load_b128 v[2:5], v1 offset:1408
	scratch_load_b128 v[18:21], off, off offset:608
	v_add_f64 v[44:45], v[44:45], v[54:55]
	v_add_f64 v[46:47], v[46:47], v[52:53]
	v_fma_f64 v[50:51], v[8:9], v[22:23], v[50:51]
	v_fma_f64 v[54:55], v[6:7], v[22:23], -v[24:25]
	scratch_load_b128 v[22:25], off, off offset:624
	ds_load_b128 v[6:9], v1 offset:1424
	s_waitcnt vmcnt(9) lgkmcnt(1)
	v_mul_f64 v[52:53], v[2:3], v[28:29]
	v_mul_f64 v[28:29], v[4:5], v[28:29]
	v_add_f64 v[44:45], v[44:45], v[56:57]
	v_add_f64 v[46:47], v[46:47], v[48:49]
	s_waitcnt vmcnt(8) lgkmcnt(0)
	v_mul_f64 v[48:49], v[6:7], v[32:33]
	v_mul_f64 v[32:33], v[8:9], v[32:33]
	;; [unrolled: 18-line block ×3, first 2 shown]
	v_fma_f64 v[50:51], v[4:5], v[34:35], v[50:51]
	v_fma_f64 v[58:59], v[2:3], v[34:35], -v[36:37]
	ds_load_b128 v[2:5], v1 offset:1472
	scratch_load_b128 v[34:37], off, off offset:672
	v_add_f64 v[44:45], v[44:45], v[54:55]
	v_add_f64 v[46:47], v[46:47], v[48:49]
	v_fma_f64 v[52:53], v[8:9], v[183:184], v[52:53]
	v_fma_f64 v[54:55], v[6:7], v[183:184], -v[56:57]
	scratch_load_b128 v[183:186], off, off offset:688
	ds_load_b128 v[6:9], v1 offset:1488
	s_waitcnt vmcnt(9) lgkmcnt(1)
	v_mul_f64 v[48:49], v[2:3], v[40:41]
	v_mul_f64 v[40:41], v[4:5], v[40:41]
	s_waitcnt vmcnt(8) lgkmcnt(0)
	v_mul_f64 v[56:57], v[8:9], v[181:182]
	v_add_f64 v[44:45], v[44:45], v[58:59]
	v_add_f64 v[46:47], v[46:47], v[50:51]
	v_mul_f64 v[50:51], v[6:7], v[181:182]
	v_fma_f64 v[48:49], v[4:5], v[38:39], v[48:49]
	v_fma_f64 v[58:59], v[2:3], v[38:39], -v[40:41]
	ds_load_b128 v[2:5], v1 offset:1504
	scratch_load_b128 v[38:41], off, off offset:704
	v_add_f64 v[44:45], v[44:45], v[54:55]
	v_add_f64 v[46:47], v[46:47], v[52:53]
	v_fma_f64 v[50:51], v[8:9], v[179:180], v[50:51]
	v_fma_f64 v[54:55], v[6:7], v[179:180], -v[56:57]
	scratch_load_b128 v[179:182], off, off offset:720
	ds_load_b128 v[6:9], v1 offset:1520
	s_waitcnt vmcnt(9) lgkmcnt(1)
	v_mul_f64 v[52:53], v[2:3], v[12:13]
	v_mul_f64 v[12:13], v[4:5], v[12:13]
	v_add_f64 v[44:45], v[44:45], v[58:59]
	v_add_f64 v[46:47], v[46:47], v[48:49]
	s_waitcnt vmcnt(8) lgkmcnt(0)
	v_mul_f64 v[48:49], v[6:7], v[16:17]
	v_mul_f64 v[16:17], v[8:9], v[16:17]
	v_fma_f64 v[52:53], v[4:5], v[10:11], v[52:53]
	v_fma_f64 v[56:57], v[2:3], v[10:11], -v[12:13]
	ds_load_b128 v[2:5], v1 offset:1536
	scratch_load_b128 v[10:13], off, off offset:736
	v_add_f64 v[44:45], v[44:45], v[54:55]
	v_add_f64 v[46:47], v[46:47], v[50:51]
	v_fma_f64 v[48:49], v[8:9], v[14:15], v[48:49]
	v_fma_f64 v[54:55], v[6:7], v[14:15], -v[16:17]
	scratch_load_b128 v[14:17], off, off offset:752
	ds_load_b128 v[6:9], v1 offset:1552
	s_waitcnt vmcnt(9) lgkmcnt(1)
	v_mul_f64 v[50:51], v[2:3], v[20:21]
	v_mul_f64 v[20:21], v[4:5], v[20:21]
	v_add_f64 v[44:45], v[44:45], v[56:57]
	v_add_f64 v[46:47], v[46:47], v[52:53]
	s_waitcnt vmcnt(8) lgkmcnt(0)
	v_mul_f64 v[52:53], v[6:7], v[24:25]
	;; [unrolled: 18-line block ×3, first 2 shown]
	v_mul_f64 v[32:33], v[8:9], v[32:33]
	v_fma_f64 v[48:49], v[4:5], v[26:27], v[48:49]
	v_fma_f64 v[56:57], v[2:3], v[26:27], -v[28:29]
	ds_load_b128 v[2:5], v1 offset:1600
	scratch_load_b128 v[26:29], off, off offset:800
	v_add_f64 v[44:45], v[44:45], v[54:55]
	v_add_f64 v[46:47], v[46:47], v[52:53]
	v_fma_f64 v[50:51], v[8:9], v[30:31], v[50:51]
	v_fma_f64 v[54:55], v[6:7], v[30:31], -v[32:33]
	ds_load_b128 v[6:9], v1 offset:1616
	s_waitcnt vmcnt(8) lgkmcnt(1)
	v_mul_f64 v[52:53], v[2:3], v[36:37]
	v_mul_f64 v[36:37], v[4:5], v[36:37]
	scratch_load_b128 v[30:33], off, off offset:816
	v_add_f64 v[44:45], v[44:45], v[56:57]
	v_add_f64 v[46:47], v[46:47], v[48:49]
	s_waitcnt vmcnt(8) lgkmcnt(0)
	v_mul_f64 v[48:49], v[6:7], v[185:186]
	v_mul_f64 v[56:57], v[8:9], v[185:186]
	v_fma_f64 v[52:53], v[4:5], v[34:35], v[52:53]
	v_fma_f64 v[58:59], v[2:3], v[34:35], -v[36:37]
	ds_load_b128 v[2:5], v1 offset:1632
	scratch_load_b128 v[34:37], off, off offset:832
	v_add_f64 v[44:45], v[44:45], v[54:55]
	v_add_f64 v[46:47], v[46:47], v[50:51]
	v_fma_f64 v[48:49], v[8:9], v[183:184], v[48:49]
	v_fma_f64 v[54:55], v[6:7], v[183:184], -v[56:57]
	ds_load_b128 v[6:9], v1 offset:1648
	s_waitcnt vmcnt(8) lgkmcnt(1)
	v_mul_f64 v[50:51], v[2:3], v[40:41]
	v_mul_f64 v[40:41], v[4:5], v[40:41]
	scratch_load_b128 v[183:186], off, off offset:848
	s_waitcnt vmcnt(8) lgkmcnt(0)
	v_mul_f64 v[56:57], v[8:9], v[181:182]
	v_add_f64 v[44:45], v[44:45], v[58:59]
	v_add_f64 v[46:47], v[46:47], v[52:53]
	v_mul_f64 v[52:53], v[6:7], v[181:182]
	v_fma_f64 v[50:51], v[4:5], v[38:39], v[50:51]
	v_fma_f64 v[58:59], v[2:3], v[38:39], -v[40:41]
	scratch_load_b128 v[38:41], off, off offset:864
	ds_load_b128 v[2:5], v1 offset:1664
	v_add_f64 v[44:45], v[44:45], v[54:55]
	v_add_f64 v[46:47], v[46:47], v[48:49]
	v_fma_f64 v[52:53], v[8:9], v[179:180], v[52:53]
	v_fma_f64 v[54:55], v[6:7], v[179:180], -v[56:57]
	ds_load_b128 v[6:9], v1 offset:1680
	s_waitcnt vmcnt(8) lgkmcnt(1)
	v_mul_f64 v[48:49], v[2:3], v[12:13]
	v_mul_f64 v[12:13], v[4:5], v[12:13]
	scratch_load_b128 v[179:182], off, off offset:880
	v_add_f64 v[44:45], v[44:45], v[58:59]
	v_add_f64 v[46:47], v[46:47], v[50:51]
	s_waitcnt vmcnt(8) lgkmcnt(0)
	v_mul_f64 v[50:51], v[6:7], v[16:17]
	v_mul_f64 v[16:17], v[8:9], v[16:17]
	v_fma_f64 v[48:49], v[4:5], v[10:11], v[48:49]
	v_fma_f64 v[56:57], v[2:3], v[10:11], -v[12:13]
	scratch_load_b128 v[10:13], off, off offset:896
	ds_load_b128 v[2:5], v1 offset:1696
	v_add_f64 v[44:45], v[44:45], v[54:55]
	v_add_f64 v[46:47], v[46:47], v[52:53]
	v_fma_f64 v[50:51], v[8:9], v[14:15], v[50:51]
	v_fma_f64 v[54:55], v[6:7], v[14:15], -v[16:17]
	ds_load_b128 v[6:9], v1 offset:1712
	s_waitcnt vmcnt(8) lgkmcnt(1)
	v_mul_f64 v[52:53], v[2:3], v[20:21]
	v_mul_f64 v[20:21], v[4:5], v[20:21]
	scratch_load_b128 v[14:17], off, off offset:912
	v_add_f64 v[44:45], v[44:45], v[56:57]
	v_add_f64 v[46:47], v[46:47], v[48:49]
	s_waitcnt vmcnt(8) lgkmcnt(0)
	v_mul_f64 v[48:49], v[6:7], v[24:25]
	v_mul_f64 v[24:25], v[8:9], v[24:25]
	v_fma_f64 v[52:53], v[4:5], v[18:19], v[52:53]
	v_fma_f64 v[18:19], v[2:3], v[18:19], -v[20:21]
	ds_load_b128 v[2:5], v1 offset:1728
	v_add_f64 v[20:21], v[44:45], v[54:55]
	v_add_f64 v[44:45], v[46:47], v[50:51]
	v_fma_f64 v[48:49], v[8:9], v[22:23], v[48:49]
	v_fma_f64 v[22:23], v[6:7], v[22:23], -v[24:25]
	ds_load_b128 v[6:9], v1 offset:1744
	s_waitcnt vmcnt(7) lgkmcnt(1)
	v_mul_f64 v[46:47], v[2:3], v[28:29]
	v_mul_f64 v[28:29], v[4:5], v[28:29]
	v_add_f64 v[18:19], v[20:21], v[18:19]
	v_add_f64 v[20:21], v[44:45], v[52:53]
	s_delay_alu instid0(VALU_DEP_4) | instskip(NEXT) | instid1(VALU_DEP_4)
	v_fma_f64 v[44:45], v[4:5], v[26:27], v[46:47]
	v_fma_f64 v[26:27], v[2:3], v[26:27], -v[28:29]
	ds_load_b128 v[2:5], v1 offset:1760
	v_add_f64 v[22:23], v[18:19], v[22:23]
	v_add_f64 v[28:29], v[20:21], v[48:49]
	scratch_load_b128 v[18:21], off, off offset:368
	s_waitcnt vmcnt(7) lgkmcnt(1)
	v_mul_f64 v[24:25], v[6:7], v[32:33]
	v_mul_f64 v[32:33], v[8:9], v[32:33]
	v_add_f64 v[22:23], v[22:23], v[26:27]
	v_add_f64 v[26:27], v[28:29], v[44:45]
	s_delay_alu instid0(VALU_DEP_4) | instskip(NEXT) | instid1(VALU_DEP_4)
	v_fma_f64 v[24:25], v[8:9], v[30:31], v[24:25]
	v_fma_f64 v[30:31], v[6:7], v[30:31], -v[32:33]
	ds_load_b128 v[6:9], v1 offset:1776
	s_waitcnt vmcnt(6) lgkmcnt(1)
	v_mul_f64 v[46:47], v[2:3], v[36:37]
	v_mul_f64 v[36:37], v[4:5], v[36:37]
	s_waitcnt vmcnt(5) lgkmcnt(0)
	v_mul_f64 v[28:29], v[6:7], v[185:186]
	v_mul_f64 v[32:33], v[8:9], v[185:186]
	v_add_f64 v[24:25], v[26:27], v[24:25]
	v_add_f64 v[22:23], v[22:23], v[30:31]
	v_fma_f64 v[44:45], v[4:5], v[34:35], v[46:47]
	v_fma_f64 v[34:35], v[2:3], v[34:35], -v[36:37]
	ds_load_b128 v[2:5], v1 offset:1792
	v_fma_f64 v[28:29], v[8:9], v[183:184], v[28:29]
	v_fma_f64 v[32:33], v[6:7], v[183:184], -v[32:33]
	ds_load_b128 v[6:9], v1 offset:1808
	s_waitcnt vmcnt(4) lgkmcnt(1)
	v_mul_f64 v[26:27], v[2:3], v[40:41]
	v_mul_f64 v[30:31], v[4:5], v[40:41]
	v_add_f64 v[24:25], v[24:25], v[44:45]
	v_add_f64 v[22:23], v[22:23], v[34:35]
	s_waitcnt vmcnt(3) lgkmcnt(0)
	v_mul_f64 v[34:35], v[6:7], v[181:182]
	v_mul_f64 v[36:37], v[8:9], v[181:182]
	v_fma_f64 v[26:27], v[4:5], v[38:39], v[26:27]
	v_fma_f64 v[30:31], v[2:3], v[38:39], -v[30:31]
	ds_load_b128 v[2:5], v1 offset:1824
	v_add_f64 v[24:25], v[24:25], v[28:29]
	v_add_f64 v[22:23], v[22:23], v[32:33]
	v_fma_f64 v[32:33], v[8:9], v[179:180], v[34:35]
	v_fma_f64 v[34:35], v[6:7], v[179:180], -v[36:37]
	ds_load_b128 v[6:9], v1 offset:1840
	s_waitcnt vmcnt(2) lgkmcnt(1)
	v_mul_f64 v[28:29], v[2:3], v[12:13]
	v_mul_f64 v[12:13], v[4:5], v[12:13]
	v_add_f64 v[24:25], v[24:25], v[26:27]
	v_add_f64 v[22:23], v[22:23], v[30:31]
	s_waitcnt vmcnt(1) lgkmcnt(0)
	v_mul_f64 v[26:27], v[6:7], v[16:17]
	v_mul_f64 v[16:17], v[8:9], v[16:17]
	v_fma_f64 v[4:5], v[4:5], v[10:11], v[28:29]
	v_fma_f64 v[1:2], v[2:3], v[10:11], -v[12:13]
	v_add_f64 v[12:13], v[24:25], v[32:33]
	v_add_f64 v[10:11], v[22:23], v[34:35]
	v_fma_f64 v[8:9], v[8:9], v[14:15], v[26:27]
	v_fma_f64 v[6:7], v[6:7], v[14:15], -v[16:17]
	s_delay_alu instid0(VALU_DEP_4) | instskip(NEXT) | instid1(VALU_DEP_4)
	v_add_f64 v[3:4], v[12:13], v[4:5]
	v_add_f64 v[1:2], v[10:11], v[1:2]
	s_delay_alu instid0(VALU_DEP_2) | instskip(NEXT) | instid1(VALU_DEP_2)
	v_add_f64 v[3:4], v[3:4], v[8:9]
	v_add_f64 v[1:2], v[1:2], v[6:7]
	s_waitcnt vmcnt(0)
	s_delay_alu instid0(VALU_DEP_2) | instskip(NEXT) | instid1(VALU_DEP_2)
	v_add_f64 v[3:4], v[20:21], -v[3:4]
	v_add_f64 v[1:2], v[18:19], -v[1:2]
	scratch_store_b128 off, v[1:4], off offset:368
	v_cmpx_lt_u32_e32 22, v158
	s_cbranch_execz .LBB57_317
; %bb.316:
	scratch_load_b32 v1, off, off offset:988 ; 4-byte Folded Reload
	v_mov_b32_e32 v5, 0
	s_delay_alu instid0(VALU_DEP_1)
	v_mov_b32_e32 v6, v5
	v_mov_b32_e32 v7, v5
	v_mov_b32_e32 v8, v5
	s_waitcnt vmcnt(0)
	scratch_load_b128 v[1:4], v1, off
	scratch_store_b128 off, v[5:8], off offset:352
	s_waitcnt vmcnt(0)
	ds_store_b128 v216, v[1:4]
.LBB57_317:
	s_or_b32 exec_lo, exec_lo, s2
	s_waitcnt lgkmcnt(0)
	s_waitcnt_vscnt null, 0x0
	s_barrier
	buffer_gl0_inv
	s_clause 0x7
	scratch_load_b128 v[2:5], off, off offset:368
	scratch_load_b128 v[6:9], off, off offset:384
	;; [unrolled: 1-line block ×8, first 2 shown]
	v_mov_b32_e32 v1, 0
	s_clause 0x1
	scratch_load_b128 v[34:37], off, off offset:496
	scratch_load_b128 v[183:186], off, off offset:512
	s_mov_b32 s2, exec_lo
	ds_load_b128 v[38:41], v1 offset:1296
	ds_load_b128 v[179:182], v1 offset:1312
	s_waitcnt vmcnt(9) lgkmcnt(1)
	v_mul_f64 v[44:45], v[40:41], v[4:5]
	v_mul_f64 v[4:5], v[38:39], v[4:5]
	s_waitcnt vmcnt(8) lgkmcnt(0)
	v_mul_f64 v[46:47], v[179:180], v[8:9]
	v_mul_f64 v[8:9], v[181:182], v[8:9]
	s_delay_alu instid0(VALU_DEP_4) | instskip(NEXT) | instid1(VALU_DEP_4)
	v_fma_f64 v[44:45], v[38:39], v[2:3], -v[44:45]
	v_fma_f64 v[48:49], v[40:41], v[2:3], v[4:5]
	ds_load_b128 v[2:5], v1 offset:1328
	scratch_load_b128 v[38:41], off, off offset:528
	v_fma_f64 v[46:47], v[181:182], v[6:7], v[46:47]
	v_fma_f64 v[52:53], v[179:180], v[6:7], -v[8:9]
	scratch_load_b128 v[179:182], off, off offset:544
	ds_load_b128 v[6:9], v1 offset:1344
	s_waitcnt vmcnt(9) lgkmcnt(1)
	v_mul_f64 v[50:51], v[2:3], v[12:13]
	v_mul_f64 v[12:13], v[4:5], v[12:13]
	s_waitcnt vmcnt(8) lgkmcnt(0)
	v_mul_f64 v[54:55], v[6:7], v[16:17]
	v_mul_f64 v[16:17], v[8:9], v[16:17]
	v_add_f64 v[44:45], v[44:45], 0
	v_add_f64 v[48:49], v[48:49], 0
	v_fma_f64 v[50:51], v[4:5], v[10:11], v[50:51]
	v_fma_f64 v[56:57], v[2:3], v[10:11], -v[12:13]
	ds_load_b128 v[2:5], v1 offset:1360
	scratch_load_b128 v[10:13], off, off offset:560
	v_add_f64 v[44:45], v[44:45], v[52:53]
	v_add_f64 v[46:47], v[48:49], v[46:47]
	v_fma_f64 v[52:53], v[8:9], v[14:15], v[54:55]
	v_fma_f64 v[54:55], v[6:7], v[14:15], -v[16:17]
	scratch_load_b128 v[14:17], off, off offset:576
	ds_load_b128 v[6:9], v1 offset:1376
	s_waitcnt vmcnt(9) lgkmcnt(1)
	v_mul_f64 v[48:49], v[2:3], v[20:21]
	v_mul_f64 v[20:21], v[4:5], v[20:21]
	v_add_f64 v[44:45], v[44:45], v[56:57]
	v_add_f64 v[46:47], v[46:47], v[50:51]
	s_waitcnt vmcnt(8) lgkmcnt(0)
	v_mul_f64 v[50:51], v[6:7], v[24:25]
	v_mul_f64 v[24:25], v[8:9], v[24:25]
	v_fma_f64 v[48:49], v[4:5], v[18:19], v[48:49]
	v_fma_f64 v[56:57], v[2:3], v[18:19], -v[20:21]
	ds_load_b128 v[2:5], v1 offset:1392
	scratch_load_b128 v[18:21], off, off offset:592
	v_add_f64 v[44:45], v[44:45], v[54:55]
	v_add_f64 v[46:47], v[46:47], v[52:53]
	v_fma_f64 v[50:51], v[8:9], v[22:23], v[50:51]
	v_fma_f64 v[54:55], v[6:7], v[22:23], -v[24:25]
	scratch_load_b128 v[22:25], off, off offset:608
	ds_load_b128 v[6:9], v1 offset:1408
	s_waitcnt vmcnt(9) lgkmcnt(1)
	v_mul_f64 v[52:53], v[2:3], v[28:29]
	v_mul_f64 v[28:29], v[4:5], v[28:29]
	v_add_f64 v[44:45], v[44:45], v[56:57]
	v_add_f64 v[46:47], v[46:47], v[48:49]
	s_waitcnt vmcnt(8) lgkmcnt(0)
	v_mul_f64 v[48:49], v[6:7], v[32:33]
	v_mul_f64 v[32:33], v[8:9], v[32:33]
	;; [unrolled: 18-line block ×3, first 2 shown]
	v_fma_f64 v[50:51], v[4:5], v[34:35], v[50:51]
	v_fma_f64 v[58:59], v[2:3], v[34:35], -v[36:37]
	ds_load_b128 v[2:5], v1 offset:1456
	scratch_load_b128 v[34:37], off, off offset:656
	v_add_f64 v[44:45], v[44:45], v[54:55]
	v_add_f64 v[46:47], v[46:47], v[48:49]
	v_fma_f64 v[52:53], v[8:9], v[183:184], v[52:53]
	v_fma_f64 v[54:55], v[6:7], v[183:184], -v[56:57]
	scratch_load_b128 v[183:186], off, off offset:672
	ds_load_b128 v[6:9], v1 offset:1472
	s_waitcnt vmcnt(9) lgkmcnt(1)
	v_mul_f64 v[48:49], v[2:3], v[40:41]
	v_mul_f64 v[40:41], v[4:5], v[40:41]
	s_waitcnt vmcnt(8) lgkmcnt(0)
	v_mul_f64 v[56:57], v[8:9], v[181:182]
	v_add_f64 v[44:45], v[44:45], v[58:59]
	v_add_f64 v[46:47], v[46:47], v[50:51]
	v_mul_f64 v[50:51], v[6:7], v[181:182]
	v_fma_f64 v[48:49], v[4:5], v[38:39], v[48:49]
	v_fma_f64 v[58:59], v[2:3], v[38:39], -v[40:41]
	ds_load_b128 v[2:5], v1 offset:1488
	scratch_load_b128 v[38:41], off, off offset:688
	v_add_f64 v[44:45], v[44:45], v[54:55]
	v_add_f64 v[46:47], v[46:47], v[52:53]
	v_fma_f64 v[50:51], v[8:9], v[179:180], v[50:51]
	v_fma_f64 v[54:55], v[6:7], v[179:180], -v[56:57]
	scratch_load_b128 v[179:182], off, off offset:704
	ds_load_b128 v[6:9], v1 offset:1504
	s_waitcnt vmcnt(9) lgkmcnt(1)
	v_mul_f64 v[52:53], v[2:3], v[12:13]
	v_mul_f64 v[12:13], v[4:5], v[12:13]
	v_add_f64 v[44:45], v[44:45], v[58:59]
	v_add_f64 v[46:47], v[46:47], v[48:49]
	s_waitcnt vmcnt(8) lgkmcnt(0)
	v_mul_f64 v[48:49], v[6:7], v[16:17]
	v_mul_f64 v[16:17], v[8:9], v[16:17]
	v_fma_f64 v[52:53], v[4:5], v[10:11], v[52:53]
	v_fma_f64 v[56:57], v[2:3], v[10:11], -v[12:13]
	ds_load_b128 v[2:5], v1 offset:1520
	scratch_load_b128 v[10:13], off, off offset:720
	v_add_f64 v[44:45], v[44:45], v[54:55]
	v_add_f64 v[46:47], v[46:47], v[50:51]
	v_fma_f64 v[48:49], v[8:9], v[14:15], v[48:49]
	v_fma_f64 v[54:55], v[6:7], v[14:15], -v[16:17]
	scratch_load_b128 v[14:17], off, off offset:736
	ds_load_b128 v[6:9], v1 offset:1536
	s_waitcnt vmcnt(9) lgkmcnt(1)
	v_mul_f64 v[50:51], v[2:3], v[20:21]
	v_mul_f64 v[20:21], v[4:5], v[20:21]
	v_add_f64 v[44:45], v[44:45], v[56:57]
	v_add_f64 v[46:47], v[46:47], v[52:53]
	s_waitcnt vmcnt(8) lgkmcnt(0)
	v_mul_f64 v[52:53], v[6:7], v[24:25]
	;; [unrolled: 18-line block ×4, first 2 shown]
	v_mul_f64 v[56:57], v[8:9], v[185:186]
	v_fma_f64 v[52:53], v[4:5], v[34:35], v[52:53]
	v_fma_f64 v[58:59], v[2:3], v[34:35], -v[36:37]
	ds_load_b128 v[2:5], v1 offset:1616
	scratch_load_b128 v[34:37], off, off offset:816
	v_add_f64 v[44:45], v[44:45], v[54:55]
	v_add_f64 v[46:47], v[46:47], v[50:51]
	v_fma_f64 v[48:49], v[8:9], v[183:184], v[48:49]
	v_fma_f64 v[54:55], v[6:7], v[183:184], -v[56:57]
	ds_load_b128 v[6:9], v1 offset:1632
	s_waitcnt vmcnt(8) lgkmcnt(1)
	v_mul_f64 v[50:51], v[2:3], v[40:41]
	v_mul_f64 v[40:41], v[4:5], v[40:41]
	scratch_load_b128 v[183:186], off, off offset:832
	s_waitcnt vmcnt(8) lgkmcnt(0)
	v_mul_f64 v[56:57], v[8:9], v[181:182]
	v_add_f64 v[44:45], v[44:45], v[58:59]
	v_add_f64 v[46:47], v[46:47], v[52:53]
	v_mul_f64 v[52:53], v[6:7], v[181:182]
	v_fma_f64 v[50:51], v[4:5], v[38:39], v[50:51]
	v_fma_f64 v[58:59], v[2:3], v[38:39], -v[40:41]
	scratch_load_b128 v[38:41], off, off offset:848
	ds_load_b128 v[2:5], v1 offset:1648
	v_add_f64 v[44:45], v[44:45], v[54:55]
	v_add_f64 v[46:47], v[46:47], v[48:49]
	v_fma_f64 v[52:53], v[8:9], v[179:180], v[52:53]
	v_fma_f64 v[54:55], v[6:7], v[179:180], -v[56:57]
	ds_load_b128 v[6:9], v1 offset:1664
	s_waitcnt vmcnt(8) lgkmcnt(1)
	v_mul_f64 v[48:49], v[2:3], v[12:13]
	v_mul_f64 v[12:13], v[4:5], v[12:13]
	scratch_load_b128 v[179:182], off, off offset:864
	v_add_f64 v[44:45], v[44:45], v[58:59]
	v_add_f64 v[46:47], v[46:47], v[50:51]
	s_waitcnt vmcnt(8) lgkmcnt(0)
	v_mul_f64 v[50:51], v[6:7], v[16:17]
	v_mul_f64 v[16:17], v[8:9], v[16:17]
	v_fma_f64 v[48:49], v[4:5], v[10:11], v[48:49]
	v_fma_f64 v[56:57], v[2:3], v[10:11], -v[12:13]
	scratch_load_b128 v[10:13], off, off offset:880
	ds_load_b128 v[2:5], v1 offset:1680
	v_add_f64 v[44:45], v[44:45], v[54:55]
	v_add_f64 v[46:47], v[46:47], v[52:53]
	v_fma_f64 v[50:51], v[8:9], v[14:15], v[50:51]
	v_fma_f64 v[54:55], v[6:7], v[14:15], -v[16:17]
	ds_load_b128 v[6:9], v1 offset:1696
	s_waitcnt vmcnt(8) lgkmcnt(1)
	v_mul_f64 v[52:53], v[2:3], v[20:21]
	v_mul_f64 v[20:21], v[4:5], v[20:21]
	scratch_load_b128 v[14:17], off, off offset:896
	v_add_f64 v[44:45], v[44:45], v[56:57]
	v_add_f64 v[46:47], v[46:47], v[48:49]
	s_waitcnt vmcnt(8) lgkmcnt(0)
	v_mul_f64 v[48:49], v[6:7], v[24:25]
	v_mul_f64 v[24:25], v[8:9], v[24:25]
	v_fma_f64 v[52:53], v[4:5], v[18:19], v[52:53]
	v_fma_f64 v[56:57], v[2:3], v[18:19], -v[20:21]
	scratch_load_b128 v[18:21], off, off offset:912
	ds_load_b128 v[2:5], v1 offset:1712
	v_add_f64 v[44:45], v[44:45], v[54:55]
	v_add_f64 v[46:47], v[46:47], v[50:51]
	v_fma_f64 v[48:49], v[8:9], v[22:23], v[48:49]
	v_fma_f64 v[22:23], v[6:7], v[22:23], -v[24:25]
	ds_load_b128 v[6:9], v1 offset:1728
	s_waitcnt vmcnt(8) lgkmcnt(1)
	v_mul_f64 v[50:51], v[2:3], v[28:29]
	v_mul_f64 v[28:29], v[4:5], v[28:29]
	v_add_f64 v[24:25], v[44:45], v[56:57]
	v_add_f64 v[44:45], v[46:47], v[52:53]
	s_waitcnt vmcnt(7) lgkmcnt(0)
	v_mul_f64 v[46:47], v[6:7], v[32:33]
	v_mul_f64 v[32:33], v[8:9], v[32:33]
	v_fma_f64 v[50:51], v[4:5], v[26:27], v[50:51]
	v_fma_f64 v[26:27], v[2:3], v[26:27], -v[28:29]
	ds_load_b128 v[2:5], v1 offset:1744
	v_add_f64 v[22:23], v[24:25], v[22:23]
	v_add_f64 v[24:25], v[44:45], v[48:49]
	v_fma_f64 v[44:45], v[8:9], v[30:31], v[46:47]
	v_fma_f64 v[30:31], v[6:7], v[30:31], -v[32:33]
	ds_load_b128 v[6:9], v1 offset:1760
	s_waitcnt vmcnt(5) lgkmcnt(0)
	v_mul_f64 v[46:47], v[6:7], v[185:186]
	v_mul_f64 v[48:49], v[8:9], v[185:186]
	v_add_f64 v[26:27], v[22:23], v[26:27]
	v_add_f64 v[32:33], v[24:25], v[50:51]
	scratch_load_b128 v[22:25], off, off offset:352
	v_mul_f64 v[28:29], v[2:3], v[36:37]
	v_mul_f64 v[36:37], v[4:5], v[36:37]
	v_add_f64 v[26:27], v[26:27], v[30:31]
	v_add_f64 v[30:31], v[32:33], v[44:45]
	v_fma_f64 v[44:45], v[6:7], v[183:184], -v[48:49]
	v_fma_f64 v[28:29], v[4:5], v[34:35], v[28:29]
	v_fma_f64 v[34:35], v[2:3], v[34:35], -v[36:37]
	ds_load_b128 v[2:5], v1 offset:1776
	s_waitcnt vmcnt(5) lgkmcnt(0)
	v_mul_f64 v[32:33], v[2:3], v[40:41]
	v_mul_f64 v[36:37], v[4:5], v[40:41]
	v_fma_f64 v[40:41], v[8:9], v[183:184], v[46:47]
	ds_load_b128 v[6:9], v1 offset:1792
	v_add_f64 v[28:29], v[30:31], v[28:29]
	v_add_f64 v[26:27], v[26:27], v[34:35]
	v_fma_f64 v[32:33], v[4:5], v[38:39], v[32:33]
	v_fma_f64 v[36:37], v[2:3], v[38:39], -v[36:37]
	ds_load_b128 v[2:5], v1 offset:1808
	s_waitcnt vmcnt(4) lgkmcnt(1)
	v_mul_f64 v[30:31], v[6:7], v[181:182]
	v_mul_f64 v[34:35], v[8:9], v[181:182]
	v_add_f64 v[28:29], v[28:29], v[40:41]
	v_add_f64 v[26:27], v[26:27], v[44:45]
	s_waitcnt vmcnt(3) lgkmcnt(0)
	v_mul_f64 v[38:39], v[2:3], v[12:13]
	v_mul_f64 v[12:13], v[4:5], v[12:13]
	v_fma_f64 v[30:31], v[8:9], v[179:180], v[30:31]
	v_fma_f64 v[34:35], v[6:7], v[179:180], -v[34:35]
	ds_load_b128 v[6:9], v1 offset:1824
	v_add_f64 v[28:29], v[28:29], v[32:33]
	v_add_f64 v[26:27], v[26:27], v[36:37]
	v_fma_f64 v[36:37], v[4:5], v[10:11], v[38:39]
	v_fma_f64 v[10:11], v[2:3], v[10:11], -v[12:13]
	ds_load_b128 v[2:5], v1 offset:1840
	s_waitcnt vmcnt(2) lgkmcnt(1)
	v_mul_f64 v[32:33], v[6:7], v[16:17]
	v_mul_f64 v[16:17], v[8:9], v[16:17]
	v_add_f64 v[12:13], v[26:27], v[34:35]
	v_add_f64 v[26:27], v[28:29], v[30:31]
	s_waitcnt vmcnt(1) lgkmcnt(0)
	v_mul_f64 v[28:29], v[2:3], v[20:21]
	v_mul_f64 v[20:21], v[4:5], v[20:21]
	v_fma_f64 v[8:9], v[8:9], v[14:15], v[32:33]
	v_fma_f64 v[6:7], v[6:7], v[14:15], -v[16:17]
	v_add_f64 v[10:11], v[12:13], v[10:11]
	v_add_f64 v[12:13], v[26:27], v[36:37]
	v_fma_f64 v[4:5], v[4:5], v[18:19], v[28:29]
	v_fma_f64 v[2:3], v[2:3], v[18:19], -v[20:21]
	s_delay_alu instid0(VALU_DEP_4) | instskip(NEXT) | instid1(VALU_DEP_4)
	v_add_f64 v[6:7], v[10:11], v[6:7]
	v_add_f64 v[8:9], v[12:13], v[8:9]
	s_delay_alu instid0(VALU_DEP_2) | instskip(NEXT) | instid1(VALU_DEP_2)
	v_add_f64 v[2:3], v[6:7], v[2:3]
	v_add_f64 v[4:5], v[8:9], v[4:5]
	s_waitcnt vmcnt(0)
	s_delay_alu instid0(VALU_DEP_2) | instskip(NEXT) | instid1(VALU_DEP_2)
	v_add_f64 v[2:3], v[22:23], -v[2:3]
	v_add_f64 v[4:5], v[24:25], -v[4:5]
	scratch_store_b128 off, v[2:5], off offset:352
	v_cmpx_lt_u32_e32 21, v158
	s_cbranch_execz .LBB57_319
; %bb.318:
	scratch_load_b128 v[5:8], v195, off
	v_mov_b32_e32 v2, v1
	v_mov_b32_e32 v3, v1
	v_mov_b32_e32 v4, v1
	scratch_store_b128 off, v[1:4], off offset:336
	s_waitcnt vmcnt(0)
	ds_store_b128 v216, v[5:8]
.LBB57_319:
	s_or_b32 exec_lo, exec_lo, s2
	s_waitcnt lgkmcnt(0)
	s_waitcnt_vscnt null, 0x0
	s_barrier
	buffer_gl0_inv
	s_clause 0x7
	scratch_load_b128 v[2:5], off, off offset:352
	scratch_load_b128 v[6:9], off, off offset:368
	;; [unrolled: 1-line block ×8, first 2 shown]
	ds_load_b128 v[38:41], v1 offset:1280
	ds_load_b128 v[179:182], v1 offset:1296
	s_clause 0x1
	scratch_load_b128 v[34:37], off, off offset:480
	scratch_load_b128 v[183:186], off, off offset:496
	s_mov_b32 s2, exec_lo
	s_waitcnt vmcnt(9) lgkmcnt(1)
	v_mul_f64 v[44:45], v[40:41], v[4:5]
	v_mul_f64 v[4:5], v[38:39], v[4:5]
	s_waitcnt vmcnt(8) lgkmcnt(0)
	v_mul_f64 v[46:47], v[179:180], v[8:9]
	v_mul_f64 v[8:9], v[181:182], v[8:9]
	s_delay_alu instid0(VALU_DEP_4) | instskip(NEXT) | instid1(VALU_DEP_4)
	v_fma_f64 v[44:45], v[38:39], v[2:3], -v[44:45]
	v_fma_f64 v[48:49], v[40:41], v[2:3], v[4:5]
	ds_load_b128 v[2:5], v1 offset:1312
	scratch_load_b128 v[38:41], off, off offset:512
	v_fma_f64 v[46:47], v[181:182], v[6:7], v[46:47]
	v_fma_f64 v[52:53], v[179:180], v[6:7], -v[8:9]
	scratch_load_b128 v[179:182], off, off offset:528
	ds_load_b128 v[6:9], v1 offset:1328
	s_waitcnt vmcnt(9) lgkmcnt(1)
	v_mul_f64 v[50:51], v[2:3], v[12:13]
	v_mul_f64 v[12:13], v[4:5], v[12:13]
	s_waitcnt vmcnt(8) lgkmcnt(0)
	v_mul_f64 v[54:55], v[6:7], v[16:17]
	v_mul_f64 v[16:17], v[8:9], v[16:17]
	v_add_f64 v[44:45], v[44:45], 0
	v_add_f64 v[48:49], v[48:49], 0
	v_fma_f64 v[50:51], v[4:5], v[10:11], v[50:51]
	v_fma_f64 v[56:57], v[2:3], v[10:11], -v[12:13]
	ds_load_b128 v[2:5], v1 offset:1344
	scratch_load_b128 v[10:13], off, off offset:544
	v_add_f64 v[44:45], v[44:45], v[52:53]
	v_add_f64 v[46:47], v[48:49], v[46:47]
	v_fma_f64 v[52:53], v[8:9], v[14:15], v[54:55]
	v_fma_f64 v[54:55], v[6:7], v[14:15], -v[16:17]
	scratch_load_b128 v[14:17], off, off offset:560
	ds_load_b128 v[6:9], v1 offset:1360
	s_waitcnt vmcnt(9) lgkmcnt(1)
	v_mul_f64 v[48:49], v[2:3], v[20:21]
	v_mul_f64 v[20:21], v[4:5], v[20:21]
	v_add_f64 v[44:45], v[44:45], v[56:57]
	v_add_f64 v[46:47], v[46:47], v[50:51]
	s_waitcnt vmcnt(8) lgkmcnt(0)
	v_mul_f64 v[50:51], v[6:7], v[24:25]
	v_mul_f64 v[24:25], v[8:9], v[24:25]
	v_fma_f64 v[48:49], v[4:5], v[18:19], v[48:49]
	v_fma_f64 v[56:57], v[2:3], v[18:19], -v[20:21]
	ds_load_b128 v[2:5], v1 offset:1376
	scratch_load_b128 v[18:21], off, off offset:576
	v_add_f64 v[44:45], v[44:45], v[54:55]
	v_add_f64 v[46:47], v[46:47], v[52:53]
	v_fma_f64 v[50:51], v[8:9], v[22:23], v[50:51]
	v_fma_f64 v[54:55], v[6:7], v[22:23], -v[24:25]
	scratch_load_b128 v[22:25], off, off offset:592
	ds_load_b128 v[6:9], v1 offset:1392
	s_waitcnt vmcnt(9) lgkmcnt(1)
	v_mul_f64 v[52:53], v[2:3], v[28:29]
	v_mul_f64 v[28:29], v[4:5], v[28:29]
	v_add_f64 v[44:45], v[44:45], v[56:57]
	v_add_f64 v[46:47], v[46:47], v[48:49]
	s_waitcnt vmcnt(8) lgkmcnt(0)
	v_mul_f64 v[48:49], v[6:7], v[32:33]
	v_mul_f64 v[32:33], v[8:9], v[32:33]
	;; [unrolled: 18-line block ×3, first 2 shown]
	v_fma_f64 v[50:51], v[4:5], v[34:35], v[50:51]
	v_fma_f64 v[58:59], v[2:3], v[34:35], -v[36:37]
	ds_load_b128 v[2:5], v1 offset:1440
	scratch_load_b128 v[34:37], off, off offset:640
	v_add_f64 v[44:45], v[44:45], v[54:55]
	v_add_f64 v[46:47], v[46:47], v[48:49]
	v_fma_f64 v[52:53], v[8:9], v[183:184], v[52:53]
	v_fma_f64 v[54:55], v[6:7], v[183:184], -v[56:57]
	scratch_load_b128 v[183:186], off, off offset:656
	ds_load_b128 v[6:9], v1 offset:1456
	s_waitcnt vmcnt(9) lgkmcnt(1)
	v_mul_f64 v[48:49], v[2:3], v[40:41]
	v_mul_f64 v[40:41], v[4:5], v[40:41]
	s_waitcnt vmcnt(8) lgkmcnt(0)
	v_mul_f64 v[56:57], v[8:9], v[181:182]
	v_add_f64 v[44:45], v[44:45], v[58:59]
	v_add_f64 v[46:47], v[46:47], v[50:51]
	v_mul_f64 v[50:51], v[6:7], v[181:182]
	v_fma_f64 v[48:49], v[4:5], v[38:39], v[48:49]
	v_fma_f64 v[58:59], v[2:3], v[38:39], -v[40:41]
	ds_load_b128 v[2:5], v1 offset:1472
	scratch_load_b128 v[38:41], off, off offset:672
	v_add_f64 v[44:45], v[44:45], v[54:55]
	v_add_f64 v[46:47], v[46:47], v[52:53]
	v_fma_f64 v[50:51], v[8:9], v[179:180], v[50:51]
	v_fma_f64 v[54:55], v[6:7], v[179:180], -v[56:57]
	scratch_load_b128 v[179:182], off, off offset:688
	ds_load_b128 v[6:9], v1 offset:1488
	s_waitcnt vmcnt(9) lgkmcnt(1)
	v_mul_f64 v[52:53], v[2:3], v[12:13]
	v_mul_f64 v[12:13], v[4:5], v[12:13]
	v_add_f64 v[44:45], v[44:45], v[58:59]
	v_add_f64 v[46:47], v[46:47], v[48:49]
	s_waitcnt vmcnt(8) lgkmcnt(0)
	v_mul_f64 v[48:49], v[6:7], v[16:17]
	v_mul_f64 v[16:17], v[8:9], v[16:17]
	v_fma_f64 v[52:53], v[4:5], v[10:11], v[52:53]
	v_fma_f64 v[56:57], v[2:3], v[10:11], -v[12:13]
	ds_load_b128 v[2:5], v1 offset:1504
	scratch_load_b128 v[10:13], off, off offset:704
	v_add_f64 v[44:45], v[44:45], v[54:55]
	v_add_f64 v[46:47], v[46:47], v[50:51]
	v_fma_f64 v[48:49], v[8:9], v[14:15], v[48:49]
	v_fma_f64 v[54:55], v[6:7], v[14:15], -v[16:17]
	scratch_load_b128 v[14:17], off, off offset:720
	ds_load_b128 v[6:9], v1 offset:1520
	s_waitcnt vmcnt(9) lgkmcnt(1)
	v_mul_f64 v[50:51], v[2:3], v[20:21]
	v_mul_f64 v[20:21], v[4:5], v[20:21]
	v_add_f64 v[44:45], v[44:45], v[56:57]
	v_add_f64 v[46:47], v[46:47], v[52:53]
	s_waitcnt vmcnt(8) lgkmcnt(0)
	v_mul_f64 v[52:53], v[6:7], v[24:25]
	;; [unrolled: 18-line block ×4, first 2 shown]
	v_mul_f64 v[56:57], v[8:9], v[185:186]
	v_fma_f64 v[52:53], v[4:5], v[34:35], v[52:53]
	v_fma_f64 v[58:59], v[2:3], v[34:35], -v[36:37]
	ds_load_b128 v[2:5], v1 offset:1600
	scratch_load_b128 v[34:37], off, off offset:800
	v_add_f64 v[44:45], v[44:45], v[54:55]
	v_add_f64 v[46:47], v[46:47], v[50:51]
	v_fma_f64 v[48:49], v[8:9], v[183:184], v[48:49]
	v_fma_f64 v[54:55], v[6:7], v[183:184], -v[56:57]
	ds_load_b128 v[6:9], v1 offset:1616
	s_waitcnt vmcnt(8) lgkmcnt(1)
	v_mul_f64 v[50:51], v[2:3], v[40:41]
	v_mul_f64 v[40:41], v[4:5], v[40:41]
	scratch_load_b128 v[183:186], off, off offset:816
	s_waitcnt vmcnt(8) lgkmcnt(0)
	v_mul_f64 v[56:57], v[8:9], v[181:182]
	v_add_f64 v[44:45], v[44:45], v[58:59]
	v_add_f64 v[46:47], v[46:47], v[52:53]
	v_mul_f64 v[52:53], v[6:7], v[181:182]
	v_fma_f64 v[50:51], v[4:5], v[38:39], v[50:51]
	v_fma_f64 v[58:59], v[2:3], v[38:39], -v[40:41]
	ds_load_b128 v[2:5], v1 offset:1632
	scratch_load_b128 v[38:41], off, off offset:832
	v_add_f64 v[44:45], v[44:45], v[54:55]
	v_add_f64 v[46:47], v[46:47], v[48:49]
	v_fma_f64 v[52:53], v[8:9], v[179:180], v[52:53]
	v_fma_f64 v[54:55], v[6:7], v[179:180], -v[56:57]
	ds_load_b128 v[6:9], v1 offset:1648
	s_waitcnt vmcnt(8) lgkmcnt(1)
	v_mul_f64 v[48:49], v[2:3], v[12:13]
	v_mul_f64 v[12:13], v[4:5], v[12:13]
	scratch_load_b128 v[179:182], off, off offset:848
	v_add_f64 v[44:45], v[44:45], v[58:59]
	v_add_f64 v[46:47], v[46:47], v[50:51]
	s_waitcnt vmcnt(8) lgkmcnt(0)
	v_mul_f64 v[50:51], v[6:7], v[16:17]
	v_mul_f64 v[16:17], v[8:9], v[16:17]
	v_fma_f64 v[48:49], v[4:5], v[10:11], v[48:49]
	v_fma_f64 v[56:57], v[2:3], v[10:11], -v[12:13]
	scratch_load_b128 v[10:13], off, off offset:864
	ds_load_b128 v[2:5], v1 offset:1664
	v_add_f64 v[44:45], v[44:45], v[54:55]
	v_add_f64 v[46:47], v[46:47], v[52:53]
	v_fma_f64 v[50:51], v[8:9], v[14:15], v[50:51]
	v_fma_f64 v[54:55], v[6:7], v[14:15], -v[16:17]
	ds_load_b128 v[6:9], v1 offset:1680
	s_waitcnt vmcnt(8) lgkmcnt(1)
	v_mul_f64 v[52:53], v[2:3], v[20:21]
	v_mul_f64 v[20:21], v[4:5], v[20:21]
	scratch_load_b128 v[14:17], off, off offset:880
	v_add_f64 v[44:45], v[44:45], v[56:57]
	v_add_f64 v[46:47], v[46:47], v[48:49]
	s_waitcnt vmcnt(8) lgkmcnt(0)
	v_mul_f64 v[48:49], v[6:7], v[24:25]
	v_mul_f64 v[24:25], v[8:9], v[24:25]
	v_fma_f64 v[52:53], v[4:5], v[18:19], v[52:53]
	v_fma_f64 v[56:57], v[2:3], v[18:19], -v[20:21]
	scratch_load_b128 v[18:21], off, off offset:896
	ds_load_b128 v[2:5], v1 offset:1696
	v_add_f64 v[44:45], v[44:45], v[54:55]
	v_add_f64 v[46:47], v[46:47], v[50:51]
	v_fma_f64 v[48:49], v[8:9], v[22:23], v[48:49]
	v_fma_f64 v[54:55], v[6:7], v[22:23], -v[24:25]
	ds_load_b128 v[6:9], v1 offset:1712
	s_waitcnt vmcnt(8) lgkmcnt(1)
	v_mul_f64 v[50:51], v[2:3], v[28:29]
	v_mul_f64 v[28:29], v[4:5], v[28:29]
	scratch_load_b128 v[22:25], off, off offset:912
	v_add_f64 v[44:45], v[44:45], v[56:57]
	v_add_f64 v[46:47], v[46:47], v[52:53]
	s_waitcnt vmcnt(8) lgkmcnt(0)
	v_mul_f64 v[52:53], v[6:7], v[32:33]
	v_mul_f64 v[32:33], v[8:9], v[32:33]
	v_fma_f64 v[50:51], v[4:5], v[26:27], v[50:51]
	v_fma_f64 v[26:27], v[2:3], v[26:27], -v[28:29]
	ds_load_b128 v[2:5], v1 offset:1728
	v_add_f64 v[28:29], v[44:45], v[54:55]
	v_add_f64 v[44:45], v[46:47], v[48:49]
	v_fma_f64 v[48:49], v[8:9], v[30:31], v[52:53]
	v_fma_f64 v[30:31], v[6:7], v[30:31], -v[32:33]
	ds_load_b128 v[6:9], v1 offset:1744
	s_waitcnt vmcnt(7) lgkmcnt(1)
	v_mul_f64 v[46:47], v[2:3], v[36:37]
	v_mul_f64 v[36:37], v[4:5], v[36:37]
	v_add_f64 v[26:27], v[28:29], v[26:27]
	v_add_f64 v[28:29], v[44:45], v[50:51]
	s_delay_alu instid0(VALU_DEP_4) | instskip(NEXT) | instid1(VALU_DEP_4)
	v_fma_f64 v[46:47], v[4:5], v[34:35], v[46:47]
	v_fma_f64 v[34:35], v[2:3], v[34:35], -v[36:37]
	ds_load_b128 v[2:5], v1 offset:1760
	v_add_f64 v[30:31], v[26:27], v[30:31]
	v_add_f64 v[36:37], v[28:29], v[48:49]
	scratch_load_b128 v[26:29], off, off offset:336
	s_waitcnt vmcnt(7) lgkmcnt(1)
	v_mul_f64 v[32:33], v[6:7], v[185:186]
	v_mul_f64 v[44:45], v[8:9], v[185:186]
	v_add_f64 v[30:31], v[30:31], v[34:35]
	v_add_f64 v[34:35], v[36:37], v[46:47]
	s_delay_alu instid0(VALU_DEP_4) | instskip(NEXT) | instid1(VALU_DEP_4)
	v_fma_f64 v[32:33], v[8:9], v[183:184], v[32:33]
	v_fma_f64 v[44:45], v[6:7], v[183:184], -v[44:45]
	ds_load_b128 v[6:9], v1 offset:1776
	s_waitcnt vmcnt(6) lgkmcnt(1)
	v_mul_f64 v[48:49], v[2:3], v[40:41]
	v_mul_f64 v[40:41], v[4:5], v[40:41]
	s_waitcnt vmcnt(5) lgkmcnt(0)
	v_mul_f64 v[36:37], v[6:7], v[181:182]
	v_mul_f64 v[46:47], v[8:9], v[181:182]
	v_add_f64 v[32:33], v[34:35], v[32:33]
	v_add_f64 v[30:31], v[30:31], v[44:45]
	v_fma_f64 v[48:49], v[4:5], v[38:39], v[48:49]
	v_fma_f64 v[38:39], v[2:3], v[38:39], -v[40:41]
	ds_load_b128 v[2:5], v1 offset:1792
	v_fma_f64 v[36:37], v[8:9], v[179:180], v[36:37]
	v_fma_f64 v[40:41], v[6:7], v[179:180], -v[46:47]
	ds_load_b128 v[6:9], v1 offset:1808
	s_waitcnt vmcnt(4) lgkmcnt(1)
	v_mul_f64 v[34:35], v[2:3], v[12:13]
	v_mul_f64 v[12:13], v[4:5], v[12:13]
	v_add_f64 v[32:33], v[32:33], v[48:49]
	v_add_f64 v[30:31], v[30:31], v[38:39]
	s_waitcnt vmcnt(3) lgkmcnt(0)
	v_mul_f64 v[38:39], v[6:7], v[16:17]
	v_mul_f64 v[16:17], v[8:9], v[16:17]
	v_fma_f64 v[34:35], v[4:5], v[10:11], v[34:35]
	v_fma_f64 v[10:11], v[2:3], v[10:11], -v[12:13]
	ds_load_b128 v[2:5], v1 offset:1824
	v_add_f64 v[12:13], v[30:31], v[40:41]
	v_add_f64 v[30:31], v[32:33], v[36:37]
	v_fma_f64 v[36:37], v[8:9], v[14:15], v[38:39]
	v_fma_f64 v[14:15], v[6:7], v[14:15], -v[16:17]
	ds_load_b128 v[6:9], v1 offset:1840
	s_waitcnt vmcnt(2) lgkmcnt(1)
	v_mul_f64 v[32:33], v[2:3], v[20:21]
	v_mul_f64 v[20:21], v[4:5], v[20:21]
	s_waitcnt vmcnt(1) lgkmcnt(0)
	v_mul_f64 v[16:17], v[6:7], v[24:25]
	v_mul_f64 v[24:25], v[8:9], v[24:25]
	v_add_f64 v[10:11], v[12:13], v[10:11]
	v_add_f64 v[12:13], v[30:31], v[34:35]
	v_fma_f64 v[4:5], v[4:5], v[18:19], v[32:33]
	v_fma_f64 v[1:2], v[2:3], v[18:19], -v[20:21]
	v_fma_f64 v[8:9], v[8:9], v[22:23], v[16:17]
	v_fma_f64 v[6:7], v[6:7], v[22:23], -v[24:25]
	v_add_f64 v[10:11], v[10:11], v[14:15]
	v_add_f64 v[12:13], v[12:13], v[36:37]
	s_delay_alu instid0(VALU_DEP_2) | instskip(NEXT) | instid1(VALU_DEP_2)
	v_add_f64 v[1:2], v[10:11], v[1:2]
	v_add_f64 v[3:4], v[12:13], v[4:5]
	s_delay_alu instid0(VALU_DEP_2) | instskip(NEXT) | instid1(VALU_DEP_2)
	v_add_f64 v[1:2], v[1:2], v[6:7]
	v_add_f64 v[3:4], v[3:4], v[8:9]
	s_waitcnt vmcnt(0)
	s_delay_alu instid0(VALU_DEP_2) | instskip(NEXT) | instid1(VALU_DEP_2)
	v_add_f64 v[1:2], v[26:27], -v[1:2]
	v_add_f64 v[3:4], v[28:29], -v[3:4]
	scratch_store_b128 off, v[1:4], off offset:336
	v_cmpx_lt_u32_e32 20, v158
	s_cbranch_execz .LBB57_321
; %bb.320:
	scratch_load_b128 v[1:4], v196, off
	v_mov_b32_e32 v5, 0
	s_delay_alu instid0(VALU_DEP_1)
	v_mov_b32_e32 v6, v5
	v_mov_b32_e32 v7, v5
	;; [unrolled: 1-line block ×3, first 2 shown]
	scratch_store_b128 off, v[5:8], off offset:320
	s_waitcnt vmcnt(0)
	ds_store_b128 v216, v[1:4]
.LBB57_321:
	s_or_b32 exec_lo, exec_lo, s2
	s_waitcnt lgkmcnt(0)
	s_waitcnt_vscnt null, 0x0
	s_barrier
	buffer_gl0_inv
	s_clause 0x7
	scratch_load_b128 v[2:5], off, off offset:336
	scratch_load_b128 v[6:9], off, off offset:352
	;; [unrolled: 1-line block ×8, first 2 shown]
	v_mov_b32_e32 v1, 0
	s_clause 0x1
	scratch_load_b128 v[34:37], off, off offset:464
	scratch_load_b128 v[183:186], off, off offset:480
	s_mov_b32 s2, exec_lo
	ds_load_b128 v[38:41], v1 offset:1264
	ds_load_b128 v[179:182], v1 offset:1280
	s_waitcnt vmcnt(9) lgkmcnt(1)
	v_mul_f64 v[44:45], v[40:41], v[4:5]
	v_mul_f64 v[4:5], v[38:39], v[4:5]
	s_waitcnt vmcnt(8) lgkmcnt(0)
	v_mul_f64 v[46:47], v[179:180], v[8:9]
	v_mul_f64 v[8:9], v[181:182], v[8:9]
	s_delay_alu instid0(VALU_DEP_4) | instskip(NEXT) | instid1(VALU_DEP_4)
	v_fma_f64 v[44:45], v[38:39], v[2:3], -v[44:45]
	v_fma_f64 v[48:49], v[40:41], v[2:3], v[4:5]
	ds_load_b128 v[2:5], v1 offset:1296
	scratch_load_b128 v[38:41], off, off offset:496
	v_fma_f64 v[46:47], v[181:182], v[6:7], v[46:47]
	v_fma_f64 v[52:53], v[179:180], v[6:7], -v[8:9]
	scratch_load_b128 v[179:182], off, off offset:512
	ds_load_b128 v[6:9], v1 offset:1312
	s_waitcnt vmcnt(9) lgkmcnt(1)
	v_mul_f64 v[50:51], v[2:3], v[12:13]
	v_mul_f64 v[12:13], v[4:5], v[12:13]
	s_waitcnt vmcnt(8) lgkmcnt(0)
	v_mul_f64 v[54:55], v[6:7], v[16:17]
	v_mul_f64 v[16:17], v[8:9], v[16:17]
	v_add_f64 v[44:45], v[44:45], 0
	v_add_f64 v[48:49], v[48:49], 0
	v_fma_f64 v[50:51], v[4:5], v[10:11], v[50:51]
	v_fma_f64 v[56:57], v[2:3], v[10:11], -v[12:13]
	ds_load_b128 v[2:5], v1 offset:1328
	scratch_load_b128 v[10:13], off, off offset:528
	v_add_f64 v[44:45], v[44:45], v[52:53]
	v_add_f64 v[46:47], v[48:49], v[46:47]
	v_fma_f64 v[52:53], v[8:9], v[14:15], v[54:55]
	v_fma_f64 v[54:55], v[6:7], v[14:15], -v[16:17]
	scratch_load_b128 v[14:17], off, off offset:544
	ds_load_b128 v[6:9], v1 offset:1344
	s_waitcnt vmcnt(9) lgkmcnt(1)
	v_mul_f64 v[48:49], v[2:3], v[20:21]
	v_mul_f64 v[20:21], v[4:5], v[20:21]
	v_add_f64 v[44:45], v[44:45], v[56:57]
	v_add_f64 v[46:47], v[46:47], v[50:51]
	s_waitcnt vmcnt(8) lgkmcnt(0)
	v_mul_f64 v[50:51], v[6:7], v[24:25]
	v_mul_f64 v[24:25], v[8:9], v[24:25]
	v_fma_f64 v[48:49], v[4:5], v[18:19], v[48:49]
	v_fma_f64 v[56:57], v[2:3], v[18:19], -v[20:21]
	ds_load_b128 v[2:5], v1 offset:1360
	scratch_load_b128 v[18:21], off, off offset:560
	v_add_f64 v[44:45], v[44:45], v[54:55]
	v_add_f64 v[46:47], v[46:47], v[52:53]
	v_fma_f64 v[50:51], v[8:9], v[22:23], v[50:51]
	v_fma_f64 v[54:55], v[6:7], v[22:23], -v[24:25]
	scratch_load_b128 v[22:25], off, off offset:576
	ds_load_b128 v[6:9], v1 offset:1376
	s_waitcnt vmcnt(9) lgkmcnt(1)
	v_mul_f64 v[52:53], v[2:3], v[28:29]
	v_mul_f64 v[28:29], v[4:5], v[28:29]
	v_add_f64 v[44:45], v[44:45], v[56:57]
	v_add_f64 v[46:47], v[46:47], v[48:49]
	s_waitcnt vmcnt(8) lgkmcnt(0)
	v_mul_f64 v[48:49], v[6:7], v[32:33]
	v_mul_f64 v[32:33], v[8:9], v[32:33]
	;; [unrolled: 18-line block ×3, first 2 shown]
	v_fma_f64 v[50:51], v[4:5], v[34:35], v[50:51]
	v_fma_f64 v[58:59], v[2:3], v[34:35], -v[36:37]
	ds_load_b128 v[2:5], v1 offset:1424
	scratch_load_b128 v[34:37], off, off offset:624
	v_add_f64 v[44:45], v[44:45], v[54:55]
	v_add_f64 v[46:47], v[46:47], v[48:49]
	v_fma_f64 v[52:53], v[8:9], v[183:184], v[52:53]
	v_fma_f64 v[54:55], v[6:7], v[183:184], -v[56:57]
	scratch_load_b128 v[183:186], off, off offset:640
	ds_load_b128 v[6:9], v1 offset:1440
	s_waitcnt vmcnt(9) lgkmcnt(1)
	v_mul_f64 v[48:49], v[2:3], v[40:41]
	v_mul_f64 v[40:41], v[4:5], v[40:41]
	s_waitcnt vmcnt(8) lgkmcnt(0)
	v_mul_f64 v[56:57], v[8:9], v[181:182]
	v_add_f64 v[44:45], v[44:45], v[58:59]
	v_add_f64 v[46:47], v[46:47], v[50:51]
	v_mul_f64 v[50:51], v[6:7], v[181:182]
	v_fma_f64 v[48:49], v[4:5], v[38:39], v[48:49]
	v_fma_f64 v[58:59], v[2:3], v[38:39], -v[40:41]
	ds_load_b128 v[2:5], v1 offset:1456
	scratch_load_b128 v[38:41], off, off offset:656
	v_add_f64 v[44:45], v[44:45], v[54:55]
	v_add_f64 v[46:47], v[46:47], v[52:53]
	v_fma_f64 v[50:51], v[8:9], v[179:180], v[50:51]
	v_fma_f64 v[54:55], v[6:7], v[179:180], -v[56:57]
	scratch_load_b128 v[179:182], off, off offset:672
	ds_load_b128 v[6:9], v1 offset:1472
	s_waitcnt vmcnt(9) lgkmcnt(1)
	v_mul_f64 v[52:53], v[2:3], v[12:13]
	v_mul_f64 v[12:13], v[4:5], v[12:13]
	v_add_f64 v[44:45], v[44:45], v[58:59]
	v_add_f64 v[46:47], v[46:47], v[48:49]
	s_waitcnt vmcnt(8) lgkmcnt(0)
	v_mul_f64 v[48:49], v[6:7], v[16:17]
	v_mul_f64 v[16:17], v[8:9], v[16:17]
	v_fma_f64 v[52:53], v[4:5], v[10:11], v[52:53]
	v_fma_f64 v[56:57], v[2:3], v[10:11], -v[12:13]
	ds_load_b128 v[2:5], v1 offset:1488
	scratch_load_b128 v[10:13], off, off offset:688
	v_add_f64 v[44:45], v[44:45], v[54:55]
	v_add_f64 v[46:47], v[46:47], v[50:51]
	v_fma_f64 v[48:49], v[8:9], v[14:15], v[48:49]
	v_fma_f64 v[54:55], v[6:7], v[14:15], -v[16:17]
	scratch_load_b128 v[14:17], off, off offset:704
	ds_load_b128 v[6:9], v1 offset:1504
	s_waitcnt vmcnt(9) lgkmcnt(1)
	v_mul_f64 v[50:51], v[2:3], v[20:21]
	v_mul_f64 v[20:21], v[4:5], v[20:21]
	v_add_f64 v[44:45], v[44:45], v[56:57]
	v_add_f64 v[46:47], v[46:47], v[52:53]
	s_waitcnt vmcnt(8) lgkmcnt(0)
	v_mul_f64 v[52:53], v[6:7], v[24:25]
	;; [unrolled: 18-line block ×4, first 2 shown]
	v_mul_f64 v[56:57], v[8:9], v[185:186]
	v_fma_f64 v[52:53], v[4:5], v[34:35], v[52:53]
	v_fma_f64 v[58:59], v[2:3], v[34:35], -v[36:37]
	ds_load_b128 v[2:5], v1 offset:1584
	scratch_load_b128 v[34:37], off, off offset:784
	v_add_f64 v[44:45], v[44:45], v[54:55]
	v_add_f64 v[46:47], v[46:47], v[50:51]
	v_fma_f64 v[48:49], v[8:9], v[183:184], v[48:49]
	v_fma_f64 v[54:55], v[6:7], v[183:184], -v[56:57]
	ds_load_b128 v[6:9], v1 offset:1600
	s_waitcnt vmcnt(8) lgkmcnt(1)
	v_mul_f64 v[50:51], v[2:3], v[40:41]
	v_mul_f64 v[40:41], v[4:5], v[40:41]
	scratch_load_b128 v[183:186], off, off offset:800
	s_waitcnt vmcnt(8) lgkmcnt(0)
	v_mul_f64 v[56:57], v[8:9], v[181:182]
	v_add_f64 v[44:45], v[44:45], v[58:59]
	v_add_f64 v[46:47], v[46:47], v[52:53]
	v_mul_f64 v[52:53], v[6:7], v[181:182]
	v_fma_f64 v[50:51], v[4:5], v[38:39], v[50:51]
	v_fma_f64 v[58:59], v[2:3], v[38:39], -v[40:41]
	ds_load_b128 v[2:5], v1 offset:1616
	scratch_load_b128 v[38:41], off, off offset:816
	v_add_f64 v[44:45], v[44:45], v[54:55]
	v_add_f64 v[46:47], v[46:47], v[48:49]
	v_fma_f64 v[52:53], v[8:9], v[179:180], v[52:53]
	v_fma_f64 v[54:55], v[6:7], v[179:180], -v[56:57]
	ds_load_b128 v[6:9], v1 offset:1632
	s_waitcnt vmcnt(8) lgkmcnt(1)
	v_mul_f64 v[48:49], v[2:3], v[12:13]
	v_mul_f64 v[12:13], v[4:5], v[12:13]
	scratch_load_b128 v[179:182], off, off offset:832
	v_add_f64 v[44:45], v[44:45], v[58:59]
	v_add_f64 v[46:47], v[46:47], v[50:51]
	s_waitcnt vmcnt(8) lgkmcnt(0)
	v_mul_f64 v[50:51], v[6:7], v[16:17]
	v_mul_f64 v[16:17], v[8:9], v[16:17]
	v_fma_f64 v[48:49], v[4:5], v[10:11], v[48:49]
	v_fma_f64 v[56:57], v[2:3], v[10:11], -v[12:13]
	scratch_load_b128 v[10:13], off, off offset:848
	ds_load_b128 v[2:5], v1 offset:1648
	v_add_f64 v[44:45], v[44:45], v[54:55]
	v_add_f64 v[46:47], v[46:47], v[52:53]
	v_fma_f64 v[50:51], v[8:9], v[14:15], v[50:51]
	v_fma_f64 v[54:55], v[6:7], v[14:15], -v[16:17]
	ds_load_b128 v[6:9], v1 offset:1664
	s_waitcnt vmcnt(8) lgkmcnt(1)
	v_mul_f64 v[52:53], v[2:3], v[20:21]
	v_mul_f64 v[20:21], v[4:5], v[20:21]
	scratch_load_b128 v[14:17], off, off offset:864
	v_add_f64 v[44:45], v[44:45], v[56:57]
	v_add_f64 v[46:47], v[46:47], v[48:49]
	s_waitcnt vmcnt(8) lgkmcnt(0)
	v_mul_f64 v[48:49], v[6:7], v[24:25]
	v_mul_f64 v[24:25], v[8:9], v[24:25]
	v_fma_f64 v[52:53], v[4:5], v[18:19], v[52:53]
	v_fma_f64 v[56:57], v[2:3], v[18:19], -v[20:21]
	scratch_load_b128 v[18:21], off, off offset:880
	ds_load_b128 v[2:5], v1 offset:1680
	;; [unrolled: 18-line block ×3, first 2 shown]
	v_add_f64 v[44:45], v[44:45], v[54:55]
	v_add_f64 v[46:47], v[46:47], v[48:49]
	v_fma_f64 v[52:53], v[8:9], v[30:31], v[52:53]
	v_fma_f64 v[30:31], v[6:7], v[30:31], -v[32:33]
	ds_load_b128 v[6:9], v1 offset:1728
	s_waitcnt vmcnt(8) lgkmcnt(1)
	v_mul_f64 v[48:49], v[2:3], v[36:37]
	v_mul_f64 v[36:37], v[4:5], v[36:37]
	v_add_f64 v[32:33], v[44:45], v[56:57]
	v_add_f64 v[44:45], v[46:47], v[50:51]
	s_delay_alu instid0(VALU_DEP_4) | instskip(NEXT) | instid1(VALU_DEP_4)
	v_fma_f64 v[48:49], v[4:5], v[34:35], v[48:49]
	v_fma_f64 v[34:35], v[2:3], v[34:35], -v[36:37]
	ds_load_b128 v[2:5], v1 offset:1744
	v_add_f64 v[30:31], v[32:33], v[30:31]
	v_add_f64 v[32:33], v[44:45], v[52:53]
	s_delay_alu instid0(VALU_DEP_2) | instskip(NEXT) | instid1(VALU_DEP_2)
	v_add_f64 v[34:35], v[30:31], v[34:35]
	v_add_f64 v[48:49], v[32:33], v[48:49]
	scratch_load_b128 v[30:33], off, off offset:320
	s_waitcnt vmcnt(8) lgkmcnt(1)
	v_mul_f64 v[46:47], v[6:7], v[185:186]
	v_mul_f64 v[50:51], v[8:9], v[185:186]
	s_delay_alu instid0(VALU_DEP_2) | instskip(NEXT) | instid1(VALU_DEP_2)
	v_fma_f64 v[44:45], v[8:9], v[183:184], v[46:47]
	v_fma_f64 v[46:47], v[6:7], v[183:184], -v[50:51]
	ds_load_b128 v[6:9], v1 offset:1760
	s_waitcnt vmcnt(7) lgkmcnt(1)
	v_mul_f64 v[36:37], v[2:3], v[40:41]
	v_mul_f64 v[40:41], v[4:5], v[40:41]
	s_waitcnt vmcnt(6) lgkmcnt(0)
	v_mul_f64 v[50:51], v[6:7], v[181:182]
	v_mul_f64 v[52:53], v[8:9], v[181:182]
	v_add_f64 v[34:35], v[34:35], v[46:47]
	v_fma_f64 v[36:37], v[4:5], v[38:39], v[36:37]
	v_fma_f64 v[38:39], v[2:3], v[38:39], -v[40:41]
	v_add_f64 v[40:41], v[48:49], v[44:45]
	ds_load_b128 v[2:5], v1 offset:1776
	v_fma_f64 v[46:47], v[8:9], v[179:180], v[50:51]
	v_fma_f64 v[48:49], v[6:7], v[179:180], -v[52:53]
	ds_load_b128 v[6:9], v1 offset:1792
	s_waitcnt vmcnt(5) lgkmcnt(1)
	v_mul_f64 v[44:45], v[2:3], v[12:13]
	v_mul_f64 v[12:13], v[4:5], v[12:13]
	v_add_f64 v[34:35], v[34:35], v[38:39]
	v_add_f64 v[36:37], v[40:41], v[36:37]
	s_waitcnt vmcnt(4) lgkmcnt(0)
	v_mul_f64 v[38:39], v[6:7], v[16:17]
	v_mul_f64 v[16:17], v[8:9], v[16:17]
	v_fma_f64 v[40:41], v[4:5], v[10:11], v[44:45]
	v_fma_f64 v[10:11], v[2:3], v[10:11], -v[12:13]
	ds_load_b128 v[2:5], v1 offset:1808
	v_add_f64 v[12:13], v[34:35], v[48:49]
	v_add_f64 v[34:35], v[36:37], v[46:47]
	v_fma_f64 v[38:39], v[8:9], v[14:15], v[38:39]
	v_fma_f64 v[14:15], v[6:7], v[14:15], -v[16:17]
	ds_load_b128 v[6:9], v1 offset:1824
	s_waitcnt vmcnt(3) lgkmcnt(1)
	v_mul_f64 v[36:37], v[2:3], v[20:21]
	v_mul_f64 v[20:21], v[4:5], v[20:21]
	s_waitcnt vmcnt(2) lgkmcnt(0)
	v_mul_f64 v[16:17], v[6:7], v[24:25]
	v_mul_f64 v[24:25], v[8:9], v[24:25]
	v_add_f64 v[10:11], v[12:13], v[10:11]
	v_add_f64 v[12:13], v[34:35], v[40:41]
	v_fma_f64 v[34:35], v[4:5], v[18:19], v[36:37]
	v_fma_f64 v[18:19], v[2:3], v[18:19], -v[20:21]
	ds_load_b128 v[2:5], v1 offset:1840
	v_fma_f64 v[8:9], v[8:9], v[22:23], v[16:17]
	v_fma_f64 v[6:7], v[6:7], v[22:23], -v[24:25]
	s_waitcnt vmcnt(1) lgkmcnt(0)
	v_mul_f64 v[20:21], v[4:5], v[28:29]
	v_add_f64 v[10:11], v[10:11], v[14:15]
	v_add_f64 v[12:13], v[12:13], v[38:39]
	v_mul_f64 v[14:15], v[2:3], v[28:29]
	s_delay_alu instid0(VALU_DEP_4) | instskip(NEXT) | instid1(VALU_DEP_4)
	v_fma_f64 v[2:3], v[2:3], v[26:27], -v[20:21]
	v_add_f64 v[10:11], v[10:11], v[18:19]
	s_delay_alu instid0(VALU_DEP_4) | instskip(NEXT) | instid1(VALU_DEP_4)
	v_add_f64 v[12:13], v[12:13], v[34:35]
	v_fma_f64 v[4:5], v[4:5], v[26:27], v[14:15]
	s_delay_alu instid0(VALU_DEP_3) | instskip(NEXT) | instid1(VALU_DEP_3)
	v_add_f64 v[6:7], v[10:11], v[6:7]
	v_add_f64 v[8:9], v[12:13], v[8:9]
	s_delay_alu instid0(VALU_DEP_2) | instskip(NEXT) | instid1(VALU_DEP_2)
	v_add_f64 v[2:3], v[6:7], v[2:3]
	v_add_f64 v[4:5], v[8:9], v[4:5]
	s_waitcnt vmcnt(0)
	s_delay_alu instid0(VALU_DEP_2) | instskip(NEXT) | instid1(VALU_DEP_2)
	v_add_f64 v[2:3], v[30:31], -v[2:3]
	v_add_f64 v[4:5], v[32:33], -v[4:5]
	scratch_store_b128 off, v[2:5], off offset:320
	v_cmpx_lt_u32_e32 19, v158
	s_cbranch_execz .LBB57_323
; %bb.322:
	scratch_load_b128 v[5:8], v198, off
	v_mov_b32_e32 v2, v1
	v_mov_b32_e32 v3, v1
	;; [unrolled: 1-line block ×3, first 2 shown]
	scratch_store_b128 off, v[1:4], off offset:304
	s_waitcnt vmcnt(0)
	ds_store_b128 v216, v[5:8]
.LBB57_323:
	s_or_b32 exec_lo, exec_lo, s2
	s_waitcnt lgkmcnt(0)
	s_waitcnt_vscnt null, 0x0
	s_barrier
	buffer_gl0_inv
	s_clause 0x7
	scratch_load_b128 v[2:5], off, off offset:320
	scratch_load_b128 v[6:9], off, off offset:336
	;; [unrolled: 1-line block ×8, first 2 shown]
	ds_load_b128 v[38:41], v1 offset:1248
	ds_load_b128 v[179:182], v1 offset:1264
	s_clause 0x1
	scratch_load_b128 v[34:37], off, off offset:448
	scratch_load_b128 v[183:186], off, off offset:464
	s_mov_b32 s2, exec_lo
	s_waitcnt vmcnt(9) lgkmcnt(1)
	v_mul_f64 v[44:45], v[40:41], v[4:5]
	v_mul_f64 v[4:5], v[38:39], v[4:5]
	s_waitcnt vmcnt(8) lgkmcnt(0)
	v_mul_f64 v[46:47], v[179:180], v[8:9]
	v_mul_f64 v[8:9], v[181:182], v[8:9]
	s_delay_alu instid0(VALU_DEP_4) | instskip(NEXT) | instid1(VALU_DEP_4)
	v_fma_f64 v[44:45], v[38:39], v[2:3], -v[44:45]
	v_fma_f64 v[48:49], v[40:41], v[2:3], v[4:5]
	ds_load_b128 v[2:5], v1 offset:1280
	scratch_load_b128 v[38:41], off, off offset:480
	v_fma_f64 v[46:47], v[181:182], v[6:7], v[46:47]
	v_fma_f64 v[52:53], v[179:180], v[6:7], -v[8:9]
	scratch_load_b128 v[179:182], off, off offset:496
	ds_load_b128 v[6:9], v1 offset:1296
	s_waitcnt vmcnt(9) lgkmcnt(1)
	v_mul_f64 v[50:51], v[2:3], v[12:13]
	v_mul_f64 v[12:13], v[4:5], v[12:13]
	s_waitcnt vmcnt(8) lgkmcnt(0)
	v_mul_f64 v[54:55], v[6:7], v[16:17]
	v_mul_f64 v[16:17], v[8:9], v[16:17]
	v_add_f64 v[44:45], v[44:45], 0
	v_add_f64 v[48:49], v[48:49], 0
	v_fma_f64 v[50:51], v[4:5], v[10:11], v[50:51]
	v_fma_f64 v[56:57], v[2:3], v[10:11], -v[12:13]
	ds_load_b128 v[2:5], v1 offset:1312
	scratch_load_b128 v[10:13], off, off offset:512
	v_add_f64 v[44:45], v[44:45], v[52:53]
	v_add_f64 v[46:47], v[48:49], v[46:47]
	v_fma_f64 v[52:53], v[8:9], v[14:15], v[54:55]
	v_fma_f64 v[54:55], v[6:7], v[14:15], -v[16:17]
	scratch_load_b128 v[14:17], off, off offset:528
	ds_load_b128 v[6:9], v1 offset:1328
	s_waitcnt vmcnt(9) lgkmcnt(1)
	v_mul_f64 v[48:49], v[2:3], v[20:21]
	v_mul_f64 v[20:21], v[4:5], v[20:21]
	v_add_f64 v[44:45], v[44:45], v[56:57]
	v_add_f64 v[46:47], v[46:47], v[50:51]
	s_waitcnt vmcnt(8) lgkmcnt(0)
	v_mul_f64 v[50:51], v[6:7], v[24:25]
	v_mul_f64 v[24:25], v[8:9], v[24:25]
	v_fma_f64 v[48:49], v[4:5], v[18:19], v[48:49]
	v_fma_f64 v[56:57], v[2:3], v[18:19], -v[20:21]
	ds_load_b128 v[2:5], v1 offset:1344
	scratch_load_b128 v[18:21], off, off offset:544
	v_add_f64 v[44:45], v[44:45], v[54:55]
	v_add_f64 v[46:47], v[46:47], v[52:53]
	v_fma_f64 v[50:51], v[8:9], v[22:23], v[50:51]
	v_fma_f64 v[54:55], v[6:7], v[22:23], -v[24:25]
	scratch_load_b128 v[22:25], off, off offset:560
	ds_load_b128 v[6:9], v1 offset:1360
	s_waitcnt vmcnt(9) lgkmcnt(1)
	v_mul_f64 v[52:53], v[2:3], v[28:29]
	v_mul_f64 v[28:29], v[4:5], v[28:29]
	v_add_f64 v[44:45], v[44:45], v[56:57]
	v_add_f64 v[46:47], v[46:47], v[48:49]
	s_waitcnt vmcnt(8) lgkmcnt(0)
	v_mul_f64 v[48:49], v[6:7], v[32:33]
	v_mul_f64 v[32:33], v[8:9], v[32:33]
	;; [unrolled: 18-line block ×3, first 2 shown]
	v_fma_f64 v[50:51], v[4:5], v[34:35], v[50:51]
	v_fma_f64 v[58:59], v[2:3], v[34:35], -v[36:37]
	ds_load_b128 v[2:5], v1 offset:1408
	scratch_load_b128 v[34:37], off, off offset:608
	v_add_f64 v[44:45], v[44:45], v[54:55]
	v_add_f64 v[46:47], v[46:47], v[48:49]
	v_fma_f64 v[52:53], v[8:9], v[183:184], v[52:53]
	v_fma_f64 v[54:55], v[6:7], v[183:184], -v[56:57]
	scratch_load_b128 v[183:186], off, off offset:624
	ds_load_b128 v[6:9], v1 offset:1424
	s_waitcnt vmcnt(9) lgkmcnt(1)
	v_mul_f64 v[48:49], v[2:3], v[40:41]
	v_mul_f64 v[40:41], v[4:5], v[40:41]
	s_waitcnt vmcnt(8) lgkmcnt(0)
	v_mul_f64 v[56:57], v[8:9], v[181:182]
	v_add_f64 v[44:45], v[44:45], v[58:59]
	v_add_f64 v[46:47], v[46:47], v[50:51]
	v_mul_f64 v[50:51], v[6:7], v[181:182]
	v_fma_f64 v[48:49], v[4:5], v[38:39], v[48:49]
	v_fma_f64 v[58:59], v[2:3], v[38:39], -v[40:41]
	ds_load_b128 v[2:5], v1 offset:1440
	scratch_load_b128 v[38:41], off, off offset:640
	v_add_f64 v[44:45], v[44:45], v[54:55]
	v_add_f64 v[46:47], v[46:47], v[52:53]
	v_fma_f64 v[50:51], v[8:9], v[179:180], v[50:51]
	v_fma_f64 v[54:55], v[6:7], v[179:180], -v[56:57]
	scratch_load_b128 v[179:182], off, off offset:656
	ds_load_b128 v[6:9], v1 offset:1456
	s_waitcnt vmcnt(9) lgkmcnt(1)
	v_mul_f64 v[52:53], v[2:3], v[12:13]
	v_mul_f64 v[12:13], v[4:5], v[12:13]
	v_add_f64 v[44:45], v[44:45], v[58:59]
	v_add_f64 v[46:47], v[46:47], v[48:49]
	s_waitcnt vmcnt(8) lgkmcnt(0)
	v_mul_f64 v[48:49], v[6:7], v[16:17]
	v_mul_f64 v[16:17], v[8:9], v[16:17]
	v_fma_f64 v[52:53], v[4:5], v[10:11], v[52:53]
	v_fma_f64 v[56:57], v[2:3], v[10:11], -v[12:13]
	ds_load_b128 v[2:5], v1 offset:1472
	scratch_load_b128 v[10:13], off, off offset:672
	v_add_f64 v[44:45], v[44:45], v[54:55]
	v_add_f64 v[46:47], v[46:47], v[50:51]
	v_fma_f64 v[48:49], v[8:9], v[14:15], v[48:49]
	v_fma_f64 v[54:55], v[6:7], v[14:15], -v[16:17]
	scratch_load_b128 v[14:17], off, off offset:688
	ds_load_b128 v[6:9], v1 offset:1488
	s_waitcnt vmcnt(9) lgkmcnt(1)
	v_mul_f64 v[50:51], v[2:3], v[20:21]
	v_mul_f64 v[20:21], v[4:5], v[20:21]
	v_add_f64 v[44:45], v[44:45], v[56:57]
	v_add_f64 v[46:47], v[46:47], v[52:53]
	s_waitcnt vmcnt(8) lgkmcnt(0)
	v_mul_f64 v[52:53], v[6:7], v[24:25]
	v_mul_f64 v[24:25], v[8:9], v[24:25]
	v_fma_f64 v[50:51], v[4:5], v[18:19], v[50:51]
	v_fma_f64 v[56:57], v[2:3], v[18:19], -v[20:21]
	ds_load_b128 v[2:5], v1 offset:1504
	scratch_load_b128 v[18:21], off, off offset:704
	v_add_f64 v[44:45], v[44:45], v[54:55]
	v_add_f64 v[46:47], v[46:47], v[48:49]
	v_fma_f64 v[52:53], v[8:9], v[22:23], v[52:53]
	v_fma_f64 v[54:55], v[6:7], v[22:23], -v[24:25]
	scratch_load_b128 v[22:25], off, off offset:720
	ds_load_b128 v[6:9], v1 offset:1520
	s_waitcnt vmcnt(9) lgkmcnt(1)
	v_mul_f64 v[48:49], v[2:3], v[28:29]
	v_mul_f64 v[28:29], v[4:5], v[28:29]
	v_add_f64 v[44:45], v[44:45], v[56:57]
	v_add_f64 v[46:47], v[46:47], v[50:51]
	s_waitcnt vmcnt(8) lgkmcnt(0)
	v_mul_f64 v[50:51], v[6:7], v[32:33]
	v_mul_f64 v[32:33], v[8:9], v[32:33]
	v_fma_f64 v[48:49], v[4:5], v[26:27], v[48:49]
	v_fma_f64 v[56:57], v[2:3], v[26:27], -v[28:29]
	ds_load_b128 v[2:5], v1 offset:1536
	scratch_load_b128 v[26:29], off, off offset:736
	v_add_f64 v[44:45], v[44:45], v[54:55]
	v_add_f64 v[46:47], v[46:47], v[52:53]
	v_fma_f64 v[50:51], v[8:9], v[30:31], v[50:51]
	v_fma_f64 v[54:55], v[6:7], v[30:31], -v[32:33]
	scratch_load_b128 v[30:33], off, off offset:752
	ds_load_b128 v[6:9], v1 offset:1552
	s_waitcnt vmcnt(9) lgkmcnt(1)
	v_mul_f64 v[52:53], v[2:3], v[36:37]
	v_mul_f64 v[36:37], v[4:5], v[36:37]
	v_add_f64 v[44:45], v[44:45], v[56:57]
	v_add_f64 v[46:47], v[46:47], v[48:49]
	s_waitcnt vmcnt(8) lgkmcnt(0)
	v_mul_f64 v[48:49], v[6:7], v[185:186]
	v_mul_f64 v[56:57], v[8:9], v[185:186]
	v_fma_f64 v[52:53], v[4:5], v[34:35], v[52:53]
	v_fma_f64 v[58:59], v[2:3], v[34:35], -v[36:37]
	ds_load_b128 v[2:5], v1 offset:1568
	scratch_load_b128 v[34:37], off, off offset:768
	v_add_f64 v[44:45], v[44:45], v[54:55]
	v_add_f64 v[46:47], v[46:47], v[50:51]
	v_fma_f64 v[48:49], v[8:9], v[183:184], v[48:49]
	v_fma_f64 v[54:55], v[6:7], v[183:184], -v[56:57]
	scratch_load_b128 v[183:186], off, off offset:784
	ds_load_b128 v[6:9], v1 offset:1584
	s_waitcnt vmcnt(9) lgkmcnt(1)
	v_mul_f64 v[50:51], v[2:3], v[40:41]
	v_mul_f64 v[40:41], v[4:5], v[40:41]
	s_waitcnt vmcnt(8) lgkmcnt(0)
	v_mul_f64 v[56:57], v[8:9], v[181:182]
	v_add_f64 v[44:45], v[44:45], v[58:59]
	v_add_f64 v[46:47], v[46:47], v[52:53]
	v_mul_f64 v[52:53], v[6:7], v[181:182]
	v_fma_f64 v[50:51], v[4:5], v[38:39], v[50:51]
	v_fma_f64 v[58:59], v[2:3], v[38:39], -v[40:41]
	ds_load_b128 v[2:5], v1 offset:1600
	scratch_load_b128 v[38:41], off, off offset:800
	v_add_f64 v[44:45], v[44:45], v[54:55]
	v_add_f64 v[46:47], v[46:47], v[48:49]
	v_fma_f64 v[52:53], v[8:9], v[179:180], v[52:53]
	v_fma_f64 v[54:55], v[6:7], v[179:180], -v[56:57]
	ds_load_b128 v[6:9], v1 offset:1616
	s_waitcnt vmcnt(8) lgkmcnt(1)
	v_mul_f64 v[48:49], v[2:3], v[12:13]
	v_mul_f64 v[12:13], v[4:5], v[12:13]
	scratch_load_b128 v[179:182], off, off offset:816
	v_add_f64 v[44:45], v[44:45], v[58:59]
	v_add_f64 v[46:47], v[46:47], v[50:51]
	s_waitcnt vmcnt(8) lgkmcnt(0)
	v_mul_f64 v[50:51], v[6:7], v[16:17]
	v_mul_f64 v[16:17], v[8:9], v[16:17]
	v_fma_f64 v[48:49], v[4:5], v[10:11], v[48:49]
	v_fma_f64 v[56:57], v[2:3], v[10:11], -v[12:13]
	ds_load_b128 v[2:5], v1 offset:1632
	scratch_load_b128 v[10:13], off, off offset:832
	v_add_f64 v[44:45], v[44:45], v[54:55]
	v_add_f64 v[46:47], v[46:47], v[52:53]
	v_fma_f64 v[50:51], v[8:9], v[14:15], v[50:51]
	v_fma_f64 v[54:55], v[6:7], v[14:15], -v[16:17]
	ds_load_b128 v[6:9], v1 offset:1648
	s_waitcnt vmcnt(8) lgkmcnt(1)
	v_mul_f64 v[52:53], v[2:3], v[20:21]
	v_mul_f64 v[20:21], v[4:5], v[20:21]
	scratch_load_b128 v[14:17], off, off offset:848
	v_add_f64 v[44:45], v[44:45], v[56:57]
	v_add_f64 v[46:47], v[46:47], v[48:49]
	s_waitcnt vmcnt(8) lgkmcnt(0)
	v_mul_f64 v[48:49], v[6:7], v[24:25]
	v_mul_f64 v[24:25], v[8:9], v[24:25]
	v_fma_f64 v[52:53], v[4:5], v[18:19], v[52:53]
	v_fma_f64 v[56:57], v[2:3], v[18:19], -v[20:21]
	scratch_load_b128 v[18:21], off, off offset:864
	ds_load_b128 v[2:5], v1 offset:1664
	v_add_f64 v[44:45], v[44:45], v[54:55]
	v_add_f64 v[46:47], v[46:47], v[50:51]
	v_fma_f64 v[48:49], v[8:9], v[22:23], v[48:49]
	v_fma_f64 v[54:55], v[6:7], v[22:23], -v[24:25]
	ds_load_b128 v[6:9], v1 offset:1680
	s_waitcnt vmcnt(8) lgkmcnt(1)
	v_mul_f64 v[50:51], v[2:3], v[28:29]
	v_mul_f64 v[28:29], v[4:5], v[28:29]
	scratch_load_b128 v[22:25], off, off offset:880
	v_add_f64 v[44:45], v[44:45], v[56:57]
	v_add_f64 v[46:47], v[46:47], v[52:53]
	s_waitcnt vmcnt(8) lgkmcnt(0)
	v_mul_f64 v[52:53], v[6:7], v[32:33]
	v_mul_f64 v[32:33], v[8:9], v[32:33]
	v_fma_f64 v[50:51], v[4:5], v[26:27], v[50:51]
	v_fma_f64 v[56:57], v[2:3], v[26:27], -v[28:29]
	scratch_load_b128 v[26:29], off, off offset:896
	ds_load_b128 v[2:5], v1 offset:1696
	v_add_f64 v[44:45], v[44:45], v[54:55]
	v_add_f64 v[46:47], v[46:47], v[48:49]
	v_fma_f64 v[52:53], v[8:9], v[30:31], v[52:53]
	v_fma_f64 v[54:55], v[6:7], v[30:31], -v[32:33]
	ds_load_b128 v[6:9], v1 offset:1712
	s_waitcnt vmcnt(8) lgkmcnt(1)
	v_mul_f64 v[48:49], v[2:3], v[36:37]
	v_mul_f64 v[36:37], v[4:5], v[36:37]
	scratch_load_b128 v[30:33], off, off offset:912
	v_add_f64 v[44:45], v[44:45], v[56:57]
	v_add_f64 v[46:47], v[46:47], v[50:51]
	s_waitcnt vmcnt(8) lgkmcnt(0)
	v_mul_f64 v[50:51], v[6:7], v[185:186]
	v_mul_f64 v[56:57], v[8:9], v[185:186]
	v_fma_f64 v[48:49], v[4:5], v[34:35], v[48:49]
	v_fma_f64 v[34:35], v[2:3], v[34:35], -v[36:37]
	ds_load_b128 v[2:5], v1 offset:1728
	v_add_f64 v[36:37], v[44:45], v[54:55]
	v_add_f64 v[44:45], v[46:47], v[52:53]
	v_fma_f64 v[50:51], v[8:9], v[183:184], v[50:51]
	v_fma_f64 v[52:53], v[6:7], v[183:184], -v[56:57]
	ds_load_b128 v[6:9], v1 offset:1744
	s_waitcnt vmcnt(7) lgkmcnt(1)
	v_mul_f64 v[46:47], v[2:3], v[40:41]
	v_mul_f64 v[40:41], v[4:5], v[40:41]
	v_add_f64 v[34:35], v[36:37], v[34:35]
	v_add_f64 v[36:37], v[44:45], v[48:49]
	s_delay_alu instid0(VALU_DEP_4) | instskip(NEXT) | instid1(VALU_DEP_4)
	v_fma_f64 v[46:47], v[4:5], v[38:39], v[46:47]
	v_fma_f64 v[38:39], v[2:3], v[38:39], -v[40:41]
	ds_load_b128 v[2:5], v1 offset:1760
	v_add_f64 v[40:41], v[34:35], v[52:53]
	v_add_f64 v[50:51], v[36:37], v[50:51]
	scratch_load_b128 v[34:37], off, off offset:304
	s_waitcnt vmcnt(7) lgkmcnt(1)
	v_mul_f64 v[44:45], v[6:7], v[181:182]
	v_mul_f64 v[48:49], v[8:9], v[181:182]
	v_add_f64 v[38:39], v[40:41], v[38:39]
	v_add_f64 v[40:41], v[50:51], v[46:47]
	s_delay_alu instid0(VALU_DEP_4) | instskip(NEXT) | instid1(VALU_DEP_4)
	v_fma_f64 v[44:45], v[8:9], v[179:180], v[44:45]
	v_fma_f64 v[48:49], v[6:7], v[179:180], -v[48:49]
	ds_load_b128 v[6:9], v1 offset:1776
	s_waitcnt vmcnt(6) lgkmcnt(1)
	v_mul_f64 v[52:53], v[2:3], v[12:13]
	v_mul_f64 v[12:13], v[4:5], v[12:13]
	s_waitcnt vmcnt(5) lgkmcnt(0)
	v_mul_f64 v[46:47], v[6:7], v[16:17]
	v_mul_f64 v[16:17], v[8:9], v[16:17]
	s_delay_alu instid0(VALU_DEP_4) | instskip(NEXT) | instid1(VALU_DEP_4)
	v_fma_f64 v[50:51], v[4:5], v[10:11], v[52:53]
	v_fma_f64 v[10:11], v[2:3], v[10:11], -v[12:13]
	v_add_f64 v[12:13], v[38:39], v[48:49]
	v_add_f64 v[38:39], v[40:41], v[44:45]
	ds_load_b128 v[2:5], v1 offset:1792
	v_fma_f64 v[44:45], v[8:9], v[14:15], v[46:47]
	v_fma_f64 v[14:15], v[6:7], v[14:15], -v[16:17]
	ds_load_b128 v[6:9], v1 offset:1808
	s_waitcnt vmcnt(4) lgkmcnt(1)
	v_mul_f64 v[40:41], v[2:3], v[20:21]
	v_mul_f64 v[20:21], v[4:5], v[20:21]
	v_add_f64 v[10:11], v[12:13], v[10:11]
	v_add_f64 v[12:13], v[38:39], v[50:51]
	s_waitcnt vmcnt(3) lgkmcnt(0)
	v_mul_f64 v[16:17], v[6:7], v[24:25]
	v_mul_f64 v[24:25], v[8:9], v[24:25]
	v_fma_f64 v[38:39], v[4:5], v[18:19], v[40:41]
	v_fma_f64 v[18:19], v[2:3], v[18:19], -v[20:21]
	ds_load_b128 v[2:5], v1 offset:1824
	v_add_f64 v[10:11], v[10:11], v[14:15]
	v_add_f64 v[12:13], v[12:13], v[44:45]
	v_fma_f64 v[16:17], v[8:9], v[22:23], v[16:17]
	v_fma_f64 v[22:23], v[6:7], v[22:23], -v[24:25]
	ds_load_b128 v[6:9], v1 offset:1840
	s_waitcnt vmcnt(2) lgkmcnt(1)
	v_mul_f64 v[14:15], v[2:3], v[28:29]
	v_mul_f64 v[20:21], v[4:5], v[28:29]
	s_waitcnt vmcnt(1) lgkmcnt(0)
	v_mul_f64 v[24:25], v[8:9], v[32:33]
	v_add_f64 v[10:11], v[10:11], v[18:19]
	v_add_f64 v[12:13], v[12:13], v[38:39]
	v_mul_f64 v[18:19], v[6:7], v[32:33]
	v_fma_f64 v[4:5], v[4:5], v[26:27], v[14:15]
	v_fma_f64 v[1:2], v[2:3], v[26:27], -v[20:21]
	v_fma_f64 v[6:7], v[6:7], v[30:31], -v[24:25]
	v_add_f64 v[10:11], v[10:11], v[22:23]
	v_add_f64 v[12:13], v[12:13], v[16:17]
	v_fma_f64 v[8:9], v[8:9], v[30:31], v[18:19]
	s_delay_alu instid0(VALU_DEP_3) | instskip(NEXT) | instid1(VALU_DEP_3)
	v_add_f64 v[1:2], v[10:11], v[1:2]
	v_add_f64 v[3:4], v[12:13], v[4:5]
	s_delay_alu instid0(VALU_DEP_2) | instskip(NEXT) | instid1(VALU_DEP_2)
	v_add_f64 v[1:2], v[1:2], v[6:7]
	v_add_f64 v[3:4], v[3:4], v[8:9]
	s_waitcnt vmcnt(0)
	s_delay_alu instid0(VALU_DEP_2) | instskip(NEXT) | instid1(VALU_DEP_2)
	v_add_f64 v[1:2], v[34:35], -v[1:2]
	v_add_f64 v[3:4], v[36:37], -v[3:4]
	scratch_store_b128 off, v[1:4], off offset:304
	v_cmpx_lt_u32_e32 18, v158
	s_cbranch_execz .LBB57_325
; %bb.324:
	scratch_load_b128 v[1:4], v197, off
	v_mov_b32_e32 v5, 0
	s_delay_alu instid0(VALU_DEP_1)
	v_mov_b32_e32 v6, v5
	v_mov_b32_e32 v7, v5
	;; [unrolled: 1-line block ×3, first 2 shown]
	scratch_store_b128 off, v[5:8], off offset:288
	s_waitcnt vmcnt(0)
	ds_store_b128 v216, v[1:4]
.LBB57_325:
	s_or_b32 exec_lo, exec_lo, s2
	s_waitcnt lgkmcnt(0)
	s_waitcnt_vscnt null, 0x0
	s_barrier
	buffer_gl0_inv
	s_clause 0x7
	scratch_load_b128 v[2:5], off, off offset:304
	scratch_load_b128 v[6:9], off, off offset:320
	;; [unrolled: 1-line block ×8, first 2 shown]
	v_mov_b32_e32 v1, 0
	s_clause 0x1
	scratch_load_b128 v[34:37], off, off offset:432
	scratch_load_b128 v[183:186], off, off offset:448
	s_mov_b32 s2, exec_lo
	ds_load_b128 v[38:41], v1 offset:1232
	ds_load_b128 v[179:182], v1 offset:1248
	s_waitcnt vmcnt(9) lgkmcnt(1)
	v_mul_f64 v[44:45], v[40:41], v[4:5]
	v_mul_f64 v[4:5], v[38:39], v[4:5]
	s_waitcnt vmcnt(8) lgkmcnt(0)
	v_mul_f64 v[46:47], v[179:180], v[8:9]
	v_mul_f64 v[8:9], v[181:182], v[8:9]
	s_delay_alu instid0(VALU_DEP_4) | instskip(NEXT) | instid1(VALU_DEP_4)
	v_fma_f64 v[44:45], v[38:39], v[2:3], -v[44:45]
	v_fma_f64 v[48:49], v[40:41], v[2:3], v[4:5]
	ds_load_b128 v[2:5], v1 offset:1264
	scratch_load_b128 v[38:41], off, off offset:464
	v_fma_f64 v[46:47], v[181:182], v[6:7], v[46:47]
	v_fma_f64 v[52:53], v[179:180], v[6:7], -v[8:9]
	scratch_load_b128 v[179:182], off, off offset:480
	ds_load_b128 v[6:9], v1 offset:1280
	s_waitcnt vmcnt(9) lgkmcnt(1)
	v_mul_f64 v[50:51], v[2:3], v[12:13]
	v_mul_f64 v[12:13], v[4:5], v[12:13]
	s_waitcnt vmcnt(8) lgkmcnt(0)
	v_mul_f64 v[54:55], v[6:7], v[16:17]
	v_mul_f64 v[16:17], v[8:9], v[16:17]
	v_add_f64 v[44:45], v[44:45], 0
	v_add_f64 v[48:49], v[48:49], 0
	v_fma_f64 v[50:51], v[4:5], v[10:11], v[50:51]
	v_fma_f64 v[56:57], v[2:3], v[10:11], -v[12:13]
	ds_load_b128 v[2:5], v1 offset:1296
	scratch_load_b128 v[10:13], off, off offset:496
	v_add_f64 v[44:45], v[44:45], v[52:53]
	v_add_f64 v[46:47], v[48:49], v[46:47]
	v_fma_f64 v[52:53], v[8:9], v[14:15], v[54:55]
	v_fma_f64 v[54:55], v[6:7], v[14:15], -v[16:17]
	scratch_load_b128 v[14:17], off, off offset:512
	ds_load_b128 v[6:9], v1 offset:1312
	s_waitcnt vmcnt(9) lgkmcnt(1)
	v_mul_f64 v[48:49], v[2:3], v[20:21]
	v_mul_f64 v[20:21], v[4:5], v[20:21]
	v_add_f64 v[44:45], v[44:45], v[56:57]
	v_add_f64 v[46:47], v[46:47], v[50:51]
	s_waitcnt vmcnt(8) lgkmcnt(0)
	v_mul_f64 v[50:51], v[6:7], v[24:25]
	v_mul_f64 v[24:25], v[8:9], v[24:25]
	v_fma_f64 v[48:49], v[4:5], v[18:19], v[48:49]
	v_fma_f64 v[56:57], v[2:3], v[18:19], -v[20:21]
	ds_load_b128 v[2:5], v1 offset:1328
	scratch_load_b128 v[18:21], off, off offset:528
	v_add_f64 v[44:45], v[44:45], v[54:55]
	v_add_f64 v[46:47], v[46:47], v[52:53]
	v_fma_f64 v[50:51], v[8:9], v[22:23], v[50:51]
	v_fma_f64 v[54:55], v[6:7], v[22:23], -v[24:25]
	scratch_load_b128 v[22:25], off, off offset:544
	ds_load_b128 v[6:9], v1 offset:1344
	s_waitcnt vmcnt(9) lgkmcnt(1)
	v_mul_f64 v[52:53], v[2:3], v[28:29]
	v_mul_f64 v[28:29], v[4:5], v[28:29]
	v_add_f64 v[44:45], v[44:45], v[56:57]
	v_add_f64 v[46:47], v[46:47], v[48:49]
	s_waitcnt vmcnt(8) lgkmcnt(0)
	v_mul_f64 v[48:49], v[6:7], v[32:33]
	v_mul_f64 v[32:33], v[8:9], v[32:33]
	v_fma_f64 v[52:53], v[4:5], v[26:27], v[52:53]
	v_fma_f64 v[56:57], v[2:3], v[26:27], -v[28:29]
	ds_load_b128 v[2:5], v1 offset:1360
	scratch_load_b128 v[26:29], off, off offset:560
	v_add_f64 v[44:45], v[44:45], v[54:55]
	v_add_f64 v[46:47], v[46:47], v[50:51]
	v_fma_f64 v[48:49], v[8:9], v[30:31], v[48:49]
	v_fma_f64 v[54:55], v[6:7], v[30:31], -v[32:33]
	scratch_load_b128 v[30:33], off, off offset:576
	ds_load_b128 v[6:9], v1 offset:1376
	s_waitcnt vmcnt(9) lgkmcnt(1)
	v_mul_f64 v[50:51], v[2:3], v[36:37]
	v_mul_f64 v[36:37], v[4:5], v[36:37]
	v_add_f64 v[44:45], v[44:45], v[56:57]
	v_add_f64 v[46:47], v[46:47], v[52:53]
	s_waitcnt vmcnt(8) lgkmcnt(0)
	v_mul_f64 v[52:53], v[6:7], v[185:186]
	v_mul_f64 v[56:57], v[8:9], v[185:186]
	v_fma_f64 v[50:51], v[4:5], v[34:35], v[50:51]
	v_fma_f64 v[58:59], v[2:3], v[34:35], -v[36:37]
	ds_load_b128 v[2:5], v1 offset:1392
	scratch_load_b128 v[34:37], off, off offset:592
	v_add_f64 v[44:45], v[44:45], v[54:55]
	v_add_f64 v[46:47], v[46:47], v[48:49]
	v_fma_f64 v[52:53], v[8:9], v[183:184], v[52:53]
	v_fma_f64 v[54:55], v[6:7], v[183:184], -v[56:57]
	scratch_load_b128 v[183:186], off, off offset:608
	ds_load_b128 v[6:9], v1 offset:1408
	s_waitcnt vmcnt(9) lgkmcnt(1)
	v_mul_f64 v[48:49], v[2:3], v[40:41]
	v_mul_f64 v[40:41], v[4:5], v[40:41]
	s_waitcnt vmcnt(8) lgkmcnt(0)
	v_mul_f64 v[56:57], v[8:9], v[181:182]
	v_add_f64 v[44:45], v[44:45], v[58:59]
	v_add_f64 v[46:47], v[46:47], v[50:51]
	v_mul_f64 v[50:51], v[6:7], v[181:182]
	v_fma_f64 v[48:49], v[4:5], v[38:39], v[48:49]
	v_fma_f64 v[58:59], v[2:3], v[38:39], -v[40:41]
	ds_load_b128 v[2:5], v1 offset:1424
	scratch_load_b128 v[38:41], off, off offset:624
	v_add_f64 v[44:45], v[44:45], v[54:55]
	v_add_f64 v[46:47], v[46:47], v[52:53]
	v_fma_f64 v[50:51], v[8:9], v[179:180], v[50:51]
	v_fma_f64 v[54:55], v[6:7], v[179:180], -v[56:57]
	scratch_load_b128 v[179:182], off, off offset:640
	ds_load_b128 v[6:9], v1 offset:1440
	s_waitcnt vmcnt(9) lgkmcnt(1)
	v_mul_f64 v[52:53], v[2:3], v[12:13]
	v_mul_f64 v[12:13], v[4:5], v[12:13]
	v_add_f64 v[44:45], v[44:45], v[58:59]
	v_add_f64 v[46:47], v[46:47], v[48:49]
	s_waitcnt vmcnt(8) lgkmcnt(0)
	v_mul_f64 v[48:49], v[6:7], v[16:17]
	v_mul_f64 v[16:17], v[8:9], v[16:17]
	v_fma_f64 v[52:53], v[4:5], v[10:11], v[52:53]
	v_fma_f64 v[56:57], v[2:3], v[10:11], -v[12:13]
	ds_load_b128 v[2:5], v1 offset:1456
	scratch_load_b128 v[10:13], off, off offset:656
	v_add_f64 v[44:45], v[44:45], v[54:55]
	v_add_f64 v[46:47], v[46:47], v[50:51]
	v_fma_f64 v[48:49], v[8:9], v[14:15], v[48:49]
	v_fma_f64 v[54:55], v[6:7], v[14:15], -v[16:17]
	scratch_load_b128 v[14:17], off, off offset:672
	ds_load_b128 v[6:9], v1 offset:1472
	s_waitcnt vmcnt(9) lgkmcnt(1)
	v_mul_f64 v[50:51], v[2:3], v[20:21]
	v_mul_f64 v[20:21], v[4:5], v[20:21]
	v_add_f64 v[44:45], v[44:45], v[56:57]
	v_add_f64 v[46:47], v[46:47], v[52:53]
	s_waitcnt vmcnt(8) lgkmcnt(0)
	v_mul_f64 v[52:53], v[6:7], v[24:25]
	;; [unrolled: 18-line block ×4, first 2 shown]
	v_mul_f64 v[56:57], v[8:9], v[185:186]
	v_fma_f64 v[52:53], v[4:5], v[34:35], v[52:53]
	v_fma_f64 v[58:59], v[2:3], v[34:35], -v[36:37]
	ds_load_b128 v[2:5], v1 offset:1552
	scratch_load_b128 v[34:37], off, off offset:752
	v_add_f64 v[44:45], v[44:45], v[54:55]
	v_add_f64 v[46:47], v[46:47], v[50:51]
	v_fma_f64 v[48:49], v[8:9], v[183:184], v[48:49]
	v_fma_f64 v[54:55], v[6:7], v[183:184], -v[56:57]
	scratch_load_b128 v[183:186], off, off offset:768
	ds_load_b128 v[6:9], v1 offset:1568
	s_waitcnt vmcnt(9) lgkmcnt(1)
	v_mul_f64 v[50:51], v[2:3], v[40:41]
	v_mul_f64 v[40:41], v[4:5], v[40:41]
	s_waitcnt vmcnt(8) lgkmcnt(0)
	v_mul_f64 v[56:57], v[8:9], v[181:182]
	v_add_f64 v[44:45], v[44:45], v[58:59]
	v_add_f64 v[46:47], v[46:47], v[52:53]
	v_mul_f64 v[52:53], v[6:7], v[181:182]
	v_fma_f64 v[50:51], v[4:5], v[38:39], v[50:51]
	v_fma_f64 v[58:59], v[2:3], v[38:39], -v[40:41]
	ds_load_b128 v[2:5], v1 offset:1584
	scratch_load_b128 v[38:41], off, off offset:784
	v_add_f64 v[44:45], v[44:45], v[54:55]
	v_add_f64 v[46:47], v[46:47], v[48:49]
	v_fma_f64 v[52:53], v[8:9], v[179:180], v[52:53]
	v_fma_f64 v[54:55], v[6:7], v[179:180], -v[56:57]
	ds_load_b128 v[6:9], v1 offset:1600
	s_waitcnt vmcnt(8) lgkmcnt(1)
	v_mul_f64 v[48:49], v[2:3], v[12:13]
	v_mul_f64 v[12:13], v[4:5], v[12:13]
	scratch_load_b128 v[179:182], off, off offset:800
	v_add_f64 v[44:45], v[44:45], v[58:59]
	v_add_f64 v[46:47], v[46:47], v[50:51]
	s_waitcnt vmcnt(8) lgkmcnt(0)
	v_mul_f64 v[50:51], v[6:7], v[16:17]
	v_mul_f64 v[16:17], v[8:9], v[16:17]
	v_fma_f64 v[48:49], v[4:5], v[10:11], v[48:49]
	v_fma_f64 v[56:57], v[2:3], v[10:11], -v[12:13]
	ds_load_b128 v[2:5], v1 offset:1616
	scratch_load_b128 v[10:13], off, off offset:816
	v_add_f64 v[44:45], v[44:45], v[54:55]
	v_add_f64 v[46:47], v[46:47], v[52:53]
	v_fma_f64 v[50:51], v[8:9], v[14:15], v[50:51]
	v_fma_f64 v[54:55], v[6:7], v[14:15], -v[16:17]
	ds_load_b128 v[6:9], v1 offset:1632
	s_waitcnt vmcnt(8) lgkmcnt(1)
	v_mul_f64 v[52:53], v[2:3], v[20:21]
	v_mul_f64 v[20:21], v[4:5], v[20:21]
	scratch_load_b128 v[14:17], off, off offset:832
	v_add_f64 v[44:45], v[44:45], v[56:57]
	v_add_f64 v[46:47], v[46:47], v[48:49]
	s_waitcnt vmcnt(8) lgkmcnt(0)
	v_mul_f64 v[48:49], v[6:7], v[24:25]
	v_mul_f64 v[24:25], v[8:9], v[24:25]
	v_fma_f64 v[52:53], v[4:5], v[18:19], v[52:53]
	v_fma_f64 v[56:57], v[2:3], v[18:19], -v[20:21]
	scratch_load_b128 v[18:21], off, off offset:848
	ds_load_b128 v[2:5], v1 offset:1648
	v_add_f64 v[44:45], v[44:45], v[54:55]
	v_add_f64 v[46:47], v[46:47], v[50:51]
	v_fma_f64 v[48:49], v[8:9], v[22:23], v[48:49]
	v_fma_f64 v[54:55], v[6:7], v[22:23], -v[24:25]
	ds_load_b128 v[6:9], v1 offset:1664
	s_waitcnt vmcnt(8) lgkmcnt(1)
	v_mul_f64 v[50:51], v[2:3], v[28:29]
	v_mul_f64 v[28:29], v[4:5], v[28:29]
	scratch_load_b128 v[22:25], off, off offset:864
	v_add_f64 v[44:45], v[44:45], v[56:57]
	v_add_f64 v[46:47], v[46:47], v[52:53]
	s_waitcnt vmcnt(8) lgkmcnt(0)
	v_mul_f64 v[52:53], v[6:7], v[32:33]
	v_mul_f64 v[32:33], v[8:9], v[32:33]
	v_fma_f64 v[50:51], v[4:5], v[26:27], v[50:51]
	v_fma_f64 v[56:57], v[2:3], v[26:27], -v[28:29]
	scratch_load_b128 v[26:29], off, off offset:880
	ds_load_b128 v[2:5], v1 offset:1680
	;; [unrolled: 18-line block ×3, first 2 shown]
	v_add_f64 v[44:45], v[44:45], v[54:55]
	v_add_f64 v[46:47], v[46:47], v[52:53]
	v_fma_f64 v[50:51], v[8:9], v[183:184], v[50:51]
	v_fma_f64 v[54:55], v[6:7], v[183:184], -v[56:57]
	ds_load_b128 v[6:9], v1 offset:1728
	s_waitcnt vmcnt(8) lgkmcnt(1)
	v_mul_f64 v[52:53], v[2:3], v[40:41]
	v_mul_f64 v[40:41], v[4:5], v[40:41]
	v_add_f64 v[44:45], v[44:45], v[58:59]
	v_add_f64 v[46:47], v[46:47], v[48:49]
	s_delay_alu instid0(VALU_DEP_4) | instskip(NEXT) | instid1(VALU_DEP_4)
	v_fma_f64 v[52:53], v[4:5], v[38:39], v[52:53]
	v_fma_f64 v[38:39], v[2:3], v[38:39], -v[40:41]
	ds_load_b128 v[2:5], v1 offset:1744
	v_add_f64 v[40:41], v[44:45], v[54:55]
	v_add_f64 v[44:45], v[46:47], v[50:51]
	s_delay_alu instid0(VALU_DEP_2)
	v_add_f64 v[54:55], v[40:41], v[38:39]
	scratch_load_b128 v[38:41], off, off offset:288
	s_waitcnt vmcnt(8) lgkmcnt(1)
	v_mul_f64 v[48:49], v[6:7], v[181:182]
	v_mul_f64 v[56:57], v[8:9], v[181:182]
	v_add_f64 v[44:45], v[44:45], v[52:53]
	s_delay_alu instid0(VALU_DEP_3) | instskip(NEXT) | instid1(VALU_DEP_3)
	v_fma_f64 v[48:49], v[8:9], v[179:180], v[48:49]
	v_fma_f64 v[50:51], v[6:7], v[179:180], -v[56:57]
	ds_load_b128 v[6:9], v1 offset:1760
	s_waitcnt vmcnt(7) lgkmcnt(1)
	v_mul_f64 v[46:47], v[2:3], v[12:13]
	v_mul_f64 v[12:13], v[4:5], v[12:13]
	s_waitcnt vmcnt(6) lgkmcnt(0)
	v_mul_f64 v[52:53], v[6:7], v[16:17]
	v_mul_f64 v[16:17], v[8:9], v[16:17]
	v_add_f64 v[44:45], v[44:45], v[48:49]
	v_fma_f64 v[46:47], v[4:5], v[10:11], v[46:47]
	v_fma_f64 v[10:11], v[2:3], v[10:11], -v[12:13]
	v_add_f64 v[12:13], v[54:55], v[50:51]
	ds_load_b128 v[2:5], v1 offset:1776
	v_fma_f64 v[50:51], v[8:9], v[14:15], v[52:53]
	v_fma_f64 v[14:15], v[6:7], v[14:15], -v[16:17]
	ds_load_b128 v[6:9], v1 offset:1792
	s_waitcnt vmcnt(5) lgkmcnt(1)
	v_mul_f64 v[48:49], v[2:3], v[20:21]
	v_mul_f64 v[20:21], v[4:5], v[20:21]
	v_add_f64 v[10:11], v[12:13], v[10:11]
	v_add_f64 v[12:13], v[44:45], v[46:47]
	s_waitcnt vmcnt(4) lgkmcnt(0)
	v_mul_f64 v[16:17], v[6:7], v[24:25]
	v_mul_f64 v[24:25], v[8:9], v[24:25]
	v_fma_f64 v[44:45], v[4:5], v[18:19], v[48:49]
	v_fma_f64 v[18:19], v[2:3], v[18:19], -v[20:21]
	ds_load_b128 v[2:5], v1 offset:1808
	v_add_f64 v[10:11], v[10:11], v[14:15]
	v_add_f64 v[12:13], v[12:13], v[50:51]
	v_fma_f64 v[16:17], v[8:9], v[22:23], v[16:17]
	v_fma_f64 v[22:23], v[6:7], v[22:23], -v[24:25]
	ds_load_b128 v[6:9], v1 offset:1824
	s_waitcnt vmcnt(3) lgkmcnt(1)
	v_mul_f64 v[14:15], v[2:3], v[28:29]
	v_mul_f64 v[20:21], v[4:5], v[28:29]
	s_waitcnt vmcnt(2) lgkmcnt(0)
	v_mul_f64 v[24:25], v[8:9], v[32:33]
	v_add_f64 v[10:11], v[10:11], v[18:19]
	v_add_f64 v[12:13], v[12:13], v[44:45]
	v_mul_f64 v[18:19], v[6:7], v[32:33]
	v_fma_f64 v[14:15], v[4:5], v[26:27], v[14:15]
	v_fma_f64 v[20:21], v[2:3], v[26:27], -v[20:21]
	ds_load_b128 v[2:5], v1 offset:1840
	v_fma_f64 v[6:7], v[6:7], v[30:31], -v[24:25]
	v_add_f64 v[10:11], v[10:11], v[22:23]
	v_add_f64 v[12:13], v[12:13], v[16:17]
	s_waitcnt vmcnt(1) lgkmcnt(0)
	v_mul_f64 v[16:17], v[2:3], v[36:37]
	v_mul_f64 v[22:23], v[4:5], v[36:37]
	v_fma_f64 v[8:9], v[8:9], v[30:31], v[18:19]
	v_add_f64 v[10:11], v[10:11], v[20:21]
	v_add_f64 v[12:13], v[12:13], v[14:15]
	v_fma_f64 v[4:5], v[4:5], v[34:35], v[16:17]
	v_fma_f64 v[2:3], v[2:3], v[34:35], -v[22:23]
	s_delay_alu instid0(VALU_DEP_4) | instskip(NEXT) | instid1(VALU_DEP_4)
	v_add_f64 v[6:7], v[10:11], v[6:7]
	v_add_f64 v[8:9], v[12:13], v[8:9]
	s_delay_alu instid0(VALU_DEP_2) | instskip(NEXT) | instid1(VALU_DEP_2)
	v_add_f64 v[2:3], v[6:7], v[2:3]
	v_add_f64 v[4:5], v[8:9], v[4:5]
	s_waitcnt vmcnt(0)
	s_delay_alu instid0(VALU_DEP_2) | instskip(NEXT) | instid1(VALU_DEP_2)
	v_add_f64 v[2:3], v[38:39], -v[2:3]
	v_add_f64 v[4:5], v[40:41], -v[4:5]
	scratch_store_b128 off, v[2:5], off offset:288
	v_cmpx_lt_u32_e32 17, v158
	s_cbranch_execz .LBB57_327
; %bb.326:
	scratch_load_b128 v[5:8], v199, off
	v_mov_b32_e32 v2, v1
	v_mov_b32_e32 v3, v1
	;; [unrolled: 1-line block ×3, first 2 shown]
	scratch_store_b128 off, v[1:4], off offset:272
	s_waitcnt vmcnt(0)
	ds_store_b128 v216, v[5:8]
.LBB57_327:
	s_or_b32 exec_lo, exec_lo, s2
	s_waitcnt lgkmcnt(0)
	s_waitcnt_vscnt null, 0x0
	s_barrier
	buffer_gl0_inv
	s_clause 0x7
	scratch_load_b128 v[2:5], off, off offset:288
	scratch_load_b128 v[6:9], off, off offset:304
	;; [unrolled: 1-line block ×8, first 2 shown]
	ds_load_b128 v[38:41], v1 offset:1216
	ds_load_b128 v[179:182], v1 offset:1232
	s_clause 0x1
	scratch_load_b128 v[34:37], off, off offset:416
	scratch_load_b128 v[183:186], off, off offset:432
	s_mov_b32 s2, exec_lo
	s_waitcnt vmcnt(9) lgkmcnt(1)
	v_mul_f64 v[44:45], v[40:41], v[4:5]
	v_mul_f64 v[4:5], v[38:39], v[4:5]
	s_waitcnt vmcnt(8) lgkmcnt(0)
	v_mul_f64 v[46:47], v[179:180], v[8:9]
	v_mul_f64 v[8:9], v[181:182], v[8:9]
	s_delay_alu instid0(VALU_DEP_4) | instskip(NEXT) | instid1(VALU_DEP_4)
	v_fma_f64 v[44:45], v[38:39], v[2:3], -v[44:45]
	v_fma_f64 v[48:49], v[40:41], v[2:3], v[4:5]
	ds_load_b128 v[2:5], v1 offset:1248
	scratch_load_b128 v[38:41], off, off offset:448
	v_fma_f64 v[46:47], v[181:182], v[6:7], v[46:47]
	v_fma_f64 v[52:53], v[179:180], v[6:7], -v[8:9]
	scratch_load_b128 v[179:182], off, off offset:464
	ds_load_b128 v[6:9], v1 offset:1264
	s_waitcnt vmcnt(9) lgkmcnt(1)
	v_mul_f64 v[50:51], v[2:3], v[12:13]
	v_mul_f64 v[12:13], v[4:5], v[12:13]
	s_waitcnt vmcnt(8) lgkmcnt(0)
	v_mul_f64 v[54:55], v[6:7], v[16:17]
	v_mul_f64 v[16:17], v[8:9], v[16:17]
	v_add_f64 v[44:45], v[44:45], 0
	v_add_f64 v[48:49], v[48:49], 0
	v_fma_f64 v[50:51], v[4:5], v[10:11], v[50:51]
	v_fma_f64 v[56:57], v[2:3], v[10:11], -v[12:13]
	ds_load_b128 v[2:5], v1 offset:1280
	scratch_load_b128 v[10:13], off, off offset:480
	v_add_f64 v[44:45], v[44:45], v[52:53]
	v_add_f64 v[46:47], v[48:49], v[46:47]
	v_fma_f64 v[52:53], v[8:9], v[14:15], v[54:55]
	v_fma_f64 v[54:55], v[6:7], v[14:15], -v[16:17]
	scratch_load_b128 v[14:17], off, off offset:496
	ds_load_b128 v[6:9], v1 offset:1296
	s_waitcnt vmcnt(9) lgkmcnt(1)
	v_mul_f64 v[48:49], v[2:3], v[20:21]
	v_mul_f64 v[20:21], v[4:5], v[20:21]
	v_add_f64 v[44:45], v[44:45], v[56:57]
	v_add_f64 v[46:47], v[46:47], v[50:51]
	s_waitcnt vmcnt(8) lgkmcnt(0)
	v_mul_f64 v[50:51], v[6:7], v[24:25]
	v_mul_f64 v[24:25], v[8:9], v[24:25]
	v_fma_f64 v[48:49], v[4:5], v[18:19], v[48:49]
	v_fma_f64 v[56:57], v[2:3], v[18:19], -v[20:21]
	ds_load_b128 v[2:5], v1 offset:1312
	scratch_load_b128 v[18:21], off, off offset:512
	v_add_f64 v[44:45], v[44:45], v[54:55]
	v_add_f64 v[46:47], v[46:47], v[52:53]
	v_fma_f64 v[50:51], v[8:9], v[22:23], v[50:51]
	v_fma_f64 v[54:55], v[6:7], v[22:23], -v[24:25]
	scratch_load_b128 v[22:25], off, off offset:528
	ds_load_b128 v[6:9], v1 offset:1328
	s_waitcnt vmcnt(9) lgkmcnt(1)
	v_mul_f64 v[52:53], v[2:3], v[28:29]
	v_mul_f64 v[28:29], v[4:5], v[28:29]
	v_add_f64 v[44:45], v[44:45], v[56:57]
	v_add_f64 v[46:47], v[46:47], v[48:49]
	s_waitcnt vmcnt(8) lgkmcnt(0)
	v_mul_f64 v[48:49], v[6:7], v[32:33]
	v_mul_f64 v[32:33], v[8:9], v[32:33]
	;; [unrolled: 18-line block ×3, first 2 shown]
	v_fma_f64 v[50:51], v[4:5], v[34:35], v[50:51]
	v_fma_f64 v[58:59], v[2:3], v[34:35], -v[36:37]
	ds_load_b128 v[2:5], v1 offset:1376
	scratch_load_b128 v[34:37], off, off offset:576
	v_add_f64 v[44:45], v[44:45], v[54:55]
	v_add_f64 v[46:47], v[46:47], v[48:49]
	v_fma_f64 v[52:53], v[8:9], v[183:184], v[52:53]
	v_fma_f64 v[54:55], v[6:7], v[183:184], -v[56:57]
	scratch_load_b128 v[183:186], off, off offset:592
	ds_load_b128 v[6:9], v1 offset:1392
	s_waitcnt vmcnt(9) lgkmcnt(1)
	v_mul_f64 v[48:49], v[2:3], v[40:41]
	v_mul_f64 v[40:41], v[4:5], v[40:41]
	s_waitcnt vmcnt(8) lgkmcnt(0)
	v_mul_f64 v[56:57], v[8:9], v[181:182]
	v_add_f64 v[44:45], v[44:45], v[58:59]
	v_add_f64 v[46:47], v[46:47], v[50:51]
	v_mul_f64 v[50:51], v[6:7], v[181:182]
	v_fma_f64 v[48:49], v[4:5], v[38:39], v[48:49]
	v_fma_f64 v[58:59], v[2:3], v[38:39], -v[40:41]
	ds_load_b128 v[2:5], v1 offset:1408
	scratch_load_b128 v[38:41], off, off offset:608
	v_add_f64 v[44:45], v[44:45], v[54:55]
	v_add_f64 v[46:47], v[46:47], v[52:53]
	v_fma_f64 v[50:51], v[8:9], v[179:180], v[50:51]
	v_fma_f64 v[54:55], v[6:7], v[179:180], -v[56:57]
	scratch_load_b128 v[179:182], off, off offset:624
	ds_load_b128 v[6:9], v1 offset:1424
	s_waitcnt vmcnt(9) lgkmcnt(1)
	v_mul_f64 v[52:53], v[2:3], v[12:13]
	v_mul_f64 v[12:13], v[4:5], v[12:13]
	v_add_f64 v[44:45], v[44:45], v[58:59]
	v_add_f64 v[46:47], v[46:47], v[48:49]
	s_waitcnt vmcnt(8) lgkmcnt(0)
	v_mul_f64 v[48:49], v[6:7], v[16:17]
	v_mul_f64 v[16:17], v[8:9], v[16:17]
	v_fma_f64 v[52:53], v[4:5], v[10:11], v[52:53]
	v_fma_f64 v[56:57], v[2:3], v[10:11], -v[12:13]
	scratch_load_b128 v[10:13], off, off offset:640
	ds_load_b128 v[2:5], v1 offset:1440
	v_add_f64 v[44:45], v[44:45], v[54:55]
	v_add_f64 v[46:47], v[46:47], v[50:51]
	v_fma_f64 v[48:49], v[8:9], v[14:15], v[48:49]
	v_fma_f64 v[54:55], v[6:7], v[14:15], -v[16:17]
	ds_load_b128 v[6:9], v1 offset:1456
	s_waitcnt vmcnt(8) lgkmcnt(1)
	v_mul_f64 v[50:51], v[2:3], v[20:21]
	v_mul_f64 v[20:21], v[4:5], v[20:21]
	scratch_load_b128 v[14:17], off, off offset:656
	v_add_f64 v[44:45], v[44:45], v[56:57]
	v_add_f64 v[46:47], v[46:47], v[52:53]
	s_waitcnt vmcnt(8) lgkmcnt(0)
	v_mul_f64 v[52:53], v[6:7], v[24:25]
	v_mul_f64 v[24:25], v[8:9], v[24:25]
	v_fma_f64 v[50:51], v[4:5], v[18:19], v[50:51]
	v_fma_f64 v[56:57], v[2:3], v[18:19], -v[20:21]
	ds_load_b128 v[2:5], v1 offset:1472
	scratch_load_b128 v[18:21], off, off offset:672
	v_add_f64 v[44:45], v[44:45], v[54:55]
	v_add_f64 v[46:47], v[46:47], v[48:49]
	v_fma_f64 v[52:53], v[8:9], v[22:23], v[52:53]
	v_fma_f64 v[54:55], v[6:7], v[22:23], -v[24:25]
	scratch_load_b128 v[22:25], off, off offset:688
	ds_load_b128 v[6:9], v1 offset:1488
	s_waitcnt vmcnt(9) lgkmcnt(1)
	v_mul_f64 v[48:49], v[2:3], v[28:29]
	v_mul_f64 v[28:29], v[4:5], v[28:29]
	v_add_f64 v[44:45], v[44:45], v[56:57]
	v_add_f64 v[46:47], v[46:47], v[50:51]
	s_waitcnt vmcnt(8) lgkmcnt(0)
	v_mul_f64 v[50:51], v[6:7], v[32:33]
	v_mul_f64 v[32:33], v[8:9], v[32:33]
	v_fma_f64 v[48:49], v[4:5], v[26:27], v[48:49]
	v_fma_f64 v[56:57], v[2:3], v[26:27], -v[28:29]
	ds_load_b128 v[2:5], v1 offset:1504
	scratch_load_b128 v[26:29], off, off offset:704
	v_add_f64 v[44:45], v[44:45], v[54:55]
	v_add_f64 v[46:47], v[46:47], v[52:53]
	v_fma_f64 v[50:51], v[8:9], v[30:31], v[50:51]
	v_fma_f64 v[54:55], v[6:7], v[30:31], -v[32:33]
	scratch_load_b128 v[30:33], off, off offset:720
	ds_load_b128 v[6:9], v1 offset:1520
	s_waitcnt vmcnt(9) lgkmcnt(1)
	v_mul_f64 v[52:53], v[2:3], v[36:37]
	v_mul_f64 v[36:37], v[4:5], v[36:37]
	;; [unrolled: 18-line block ×3, first 2 shown]
	s_waitcnt vmcnt(8) lgkmcnt(0)
	v_mul_f64 v[56:57], v[8:9], v[181:182]
	v_add_f64 v[44:45], v[44:45], v[58:59]
	v_add_f64 v[46:47], v[46:47], v[52:53]
	v_mul_f64 v[52:53], v[6:7], v[181:182]
	v_fma_f64 v[50:51], v[4:5], v[38:39], v[50:51]
	v_fma_f64 v[58:59], v[2:3], v[38:39], -v[40:41]
	ds_load_b128 v[2:5], v1 offset:1568
	scratch_load_b128 v[38:41], off, off offset:768
	v_add_f64 v[44:45], v[44:45], v[54:55]
	v_add_f64 v[46:47], v[46:47], v[48:49]
	v_fma_f64 v[52:53], v[8:9], v[179:180], v[52:53]
	v_fma_f64 v[54:55], v[6:7], v[179:180], -v[56:57]
	ds_load_b128 v[6:9], v1 offset:1584
	s_waitcnt vmcnt(8) lgkmcnt(1)
	v_mul_f64 v[48:49], v[2:3], v[12:13]
	v_mul_f64 v[12:13], v[4:5], v[12:13]
	scratch_load_b128 v[179:182], off, off offset:784
	v_add_f64 v[44:45], v[44:45], v[58:59]
	v_add_f64 v[46:47], v[46:47], v[50:51]
	s_waitcnt vmcnt(8) lgkmcnt(0)
	v_mul_f64 v[50:51], v[6:7], v[16:17]
	v_mul_f64 v[16:17], v[8:9], v[16:17]
	v_fma_f64 v[48:49], v[4:5], v[10:11], v[48:49]
	v_fma_f64 v[56:57], v[2:3], v[10:11], -v[12:13]
	scratch_load_b128 v[10:13], off, off offset:800
	ds_load_b128 v[2:5], v1 offset:1600
	v_add_f64 v[44:45], v[44:45], v[54:55]
	v_add_f64 v[46:47], v[46:47], v[52:53]
	v_fma_f64 v[50:51], v[8:9], v[14:15], v[50:51]
	v_fma_f64 v[54:55], v[6:7], v[14:15], -v[16:17]
	ds_load_b128 v[6:9], v1 offset:1616
	s_waitcnt vmcnt(8) lgkmcnt(1)
	v_mul_f64 v[52:53], v[2:3], v[20:21]
	v_mul_f64 v[20:21], v[4:5], v[20:21]
	scratch_load_b128 v[14:17], off, off offset:816
	v_add_f64 v[44:45], v[44:45], v[56:57]
	v_add_f64 v[46:47], v[46:47], v[48:49]
	s_waitcnt vmcnt(8) lgkmcnt(0)
	v_mul_f64 v[48:49], v[6:7], v[24:25]
	v_mul_f64 v[24:25], v[8:9], v[24:25]
	v_fma_f64 v[52:53], v[4:5], v[18:19], v[52:53]
	v_fma_f64 v[56:57], v[2:3], v[18:19], -v[20:21]
	scratch_load_b128 v[18:21], off, off offset:832
	ds_load_b128 v[2:5], v1 offset:1632
	;; [unrolled: 18-line block ×4, first 2 shown]
	v_add_f64 v[44:45], v[44:45], v[54:55]
	v_add_f64 v[46:47], v[46:47], v[52:53]
	v_fma_f64 v[50:51], v[8:9], v[183:184], v[50:51]
	v_fma_f64 v[54:55], v[6:7], v[183:184], -v[56:57]
	ds_load_b128 v[6:9], v1 offset:1712
	s_waitcnt vmcnt(8) lgkmcnt(1)
	v_mul_f64 v[52:53], v[2:3], v[40:41]
	v_mul_f64 v[40:41], v[4:5], v[40:41]
	scratch_load_b128 v[183:186], off, off offset:912
	v_add_f64 v[44:45], v[44:45], v[58:59]
	v_add_f64 v[46:47], v[46:47], v[48:49]
	v_fma_f64 v[52:53], v[4:5], v[38:39], v[52:53]
	v_fma_f64 v[38:39], v[2:3], v[38:39], -v[40:41]
	ds_load_b128 v[2:5], v1 offset:1728
	v_add_f64 v[40:41], v[44:45], v[54:55]
	v_add_f64 v[44:45], v[46:47], v[50:51]
	s_waitcnt vmcnt(7) lgkmcnt(0)
	v_mul_f64 v[46:47], v[2:3], v[12:13]
	v_mul_f64 v[12:13], v[4:5], v[12:13]
	s_delay_alu instid0(VALU_DEP_4) | instskip(NEXT) | instid1(VALU_DEP_4)
	v_add_f64 v[38:39], v[40:41], v[38:39]
	v_add_f64 v[40:41], v[44:45], v[52:53]
	s_delay_alu instid0(VALU_DEP_4) | instskip(NEXT) | instid1(VALU_DEP_4)
	v_fma_f64 v[46:47], v[4:5], v[10:11], v[46:47]
	v_fma_f64 v[52:53], v[2:3], v[10:11], -v[12:13]
	scratch_load_b128 v[10:13], off, off offset:272
	v_mul_f64 v[48:49], v[6:7], v[181:182]
	v_mul_f64 v[56:57], v[8:9], v[181:182]
	ds_load_b128 v[2:5], v1 offset:1760
	v_fma_f64 v[48:49], v[8:9], v[179:180], v[48:49]
	v_fma_f64 v[50:51], v[6:7], v[179:180], -v[56:57]
	ds_load_b128 v[6:9], v1 offset:1744
	s_waitcnt vmcnt(7) lgkmcnt(0)
	v_mul_f64 v[44:45], v[6:7], v[16:17]
	v_mul_f64 v[16:17], v[8:9], v[16:17]
	v_add_f64 v[40:41], v[40:41], v[48:49]
	v_add_f64 v[38:39], v[38:39], v[50:51]
	s_waitcnt vmcnt(6)
	v_mul_f64 v[48:49], v[2:3], v[20:21]
	v_mul_f64 v[20:21], v[4:5], v[20:21]
	v_fma_f64 v[44:45], v[8:9], v[14:15], v[44:45]
	v_fma_f64 v[14:15], v[6:7], v[14:15], -v[16:17]
	ds_load_b128 v[6:9], v1 offset:1776
	v_add_f64 v[16:17], v[38:39], v[52:53]
	v_add_f64 v[38:39], v[40:41], v[46:47]
	v_fma_f64 v[46:47], v[4:5], v[18:19], v[48:49]
	v_fma_f64 v[18:19], v[2:3], v[18:19], -v[20:21]
	ds_load_b128 v[2:5], v1 offset:1792
	s_waitcnt vmcnt(5) lgkmcnt(1)
	v_mul_f64 v[40:41], v[6:7], v[24:25]
	v_mul_f64 v[24:25], v[8:9], v[24:25]
	s_waitcnt vmcnt(4) lgkmcnt(0)
	v_mul_f64 v[20:21], v[2:3], v[28:29]
	v_mul_f64 v[28:29], v[4:5], v[28:29]
	v_add_f64 v[14:15], v[16:17], v[14:15]
	v_add_f64 v[16:17], v[38:39], v[44:45]
	v_fma_f64 v[38:39], v[8:9], v[22:23], v[40:41]
	v_fma_f64 v[22:23], v[6:7], v[22:23], -v[24:25]
	ds_load_b128 v[6:9], v1 offset:1808
	v_fma_f64 v[20:21], v[4:5], v[26:27], v[20:21]
	v_fma_f64 v[26:27], v[2:3], v[26:27], -v[28:29]
	ds_load_b128 v[2:5], v1 offset:1824
	s_waitcnt vmcnt(3) lgkmcnt(1)
	v_mul_f64 v[24:25], v[8:9], v[32:33]
	v_add_f64 v[14:15], v[14:15], v[18:19]
	v_add_f64 v[16:17], v[16:17], v[46:47]
	v_mul_f64 v[18:19], v[6:7], v[32:33]
	s_waitcnt vmcnt(2) lgkmcnt(0)
	v_mul_f64 v[28:29], v[4:5], v[36:37]
	v_fma_f64 v[24:25], v[6:7], v[30:31], -v[24:25]
	v_add_f64 v[14:15], v[14:15], v[22:23]
	v_add_f64 v[16:17], v[16:17], v[38:39]
	v_mul_f64 v[22:23], v[2:3], v[36:37]
	v_fma_f64 v[18:19], v[8:9], v[30:31], v[18:19]
	ds_load_b128 v[6:9], v1 offset:1840
	v_fma_f64 v[1:2], v[2:3], v[34:35], -v[28:29]
	v_add_f64 v[14:15], v[14:15], v[26:27]
	v_add_f64 v[16:17], v[16:17], v[20:21]
	s_waitcnt vmcnt(1) lgkmcnt(0)
	v_mul_f64 v[20:21], v[6:7], v[185:186]
	v_mul_f64 v[26:27], v[8:9], v[185:186]
	v_fma_f64 v[4:5], v[4:5], v[34:35], v[22:23]
	v_add_f64 v[14:15], v[14:15], v[24:25]
	v_add_f64 v[16:17], v[16:17], v[18:19]
	v_fma_f64 v[8:9], v[8:9], v[183:184], v[20:21]
	v_fma_f64 v[6:7], v[6:7], v[183:184], -v[26:27]
	s_delay_alu instid0(VALU_DEP_4) | instskip(NEXT) | instid1(VALU_DEP_4)
	v_add_f64 v[1:2], v[14:15], v[1:2]
	v_add_f64 v[3:4], v[16:17], v[4:5]
	s_delay_alu instid0(VALU_DEP_2) | instskip(NEXT) | instid1(VALU_DEP_2)
	v_add_f64 v[1:2], v[1:2], v[6:7]
	v_add_f64 v[3:4], v[3:4], v[8:9]
	s_waitcnt vmcnt(0)
	s_delay_alu instid0(VALU_DEP_2) | instskip(NEXT) | instid1(VALU_DEP_2)
	v_add_f64 v[1:2], v[10:11], -v[1:2]
	v_add_f64 v[3:4], v[12:13], -v[3:4]
	scratch_store_b128 off, v[1:4], off offset:272
	v_cmpx_lt_u32_e32 16, v158
	s_cbranch_execz .LBB57_329
; %bb.328:
	scratch_load_b128 v[1:4], v200, off
	v_mov_b32_e32 v5, 0
	s_delay_alu instid0(VALU_DEP_1)
	v_mov_b32_e32 v6, v5
	v_mov_b32_e32 v7, v5
	;; [unrolled: 1-line block ×3, first 2 shown]
	scratch_store_b128 off, v[5:8], off offset:256
	s_waitcnt vmcnt(0)
	ds_store_b128 v216, v[1:4]
.LBB57_329:
	s_or_b32 exec_lo, exec_lo, s2
	s_waitcnt lgkmcnt(0)
	s_waitcnt_vscnt null, 0x0
	s_barrier
	buffer_gl0_inv
	s_clause 0x7
	scratch_load_b128 v[2:5], off, off offset:272
	scratch_load_b128 v[6:9], off, off offset:288
	;; [unrolled: 1-line block ×8, first 2 shown]
	v_mov_b32_e32 v1, 0
	s_clause 0x1
	scratch_load_b128 v[34:37], off, off offset:400
	scratch_load_b128 v[183:186], off, off offset:416
	s_mov_b32 s2, exec_lo
	ds_load_b128 v[38:41], v1 offset:1200
	ds_load_b128 v[179:182], v1 offset:1216
	s_waitcnt vmcnt(9) lgkmcnt(1)
	v_mul_f64 v[44:45], v[40:41], v[4:5]
	v_mul_f64 v[4:5], v[38:39], v[4:5]
	s_waitcnt vmcnt(8) lgkmcnt(0)
	v_mul_f64 v[46:47], v[179:180], v[8:9]
	v_mul_f64 v[8:9], v[181:182], v[8:9]
	s_delay_alu instid0(VALU_DEP_4) | instskip(NEXT) | instid1(VALU_DEP_4)
	v_fma_f64 v[44:45], v[38:39], v[2:3], -v[44:45]
	v_fma_f64 v[48:49], v[40:41], v[2:3], v[4:5]
	ds_load_b128 v[2:5], v1 offset:1232
	scratch_load_b128 v[38:41], off, off offset:432
	v_fma_f64 v[46:47], v[181:182], v[6:7], v[46:47]
	v_fma_f64 v[52:53], v[179:180], v[6:7], -v[8:9]
	scratch_load_b128 v[179:182], off, off offset:448
	ds_load_b128 v[6:9], v1 offset:1248
	s_waitcnt vmcnt(9) lgkmcnt(1)
	v_mul_f64 v[50:51], v[2:3], v[12:13]
	v_mul_f64 v[12:13], v[4:5], v[12:13]
	s_waitcnt vmcnt(8) lgkmcnt(0)
	v_mul_f64 v[54:55], v[6:7], v[16:17]
	v_mul_f64 v[16:17], v[8:9], v[16:17]
	v_add_f64 v[44:45], v[44:45], 0
	v_add_f64 v[48:49], v[48:49], 0
	v_fma_f64 v[50:51], v[4:5], v[10:11], v[50:51]
	v_fma_f64 v[56:57], v[2:3], v[10:11], -v[12:13]
	ds_load_b128 v[2:5], v1 offset:1264
	scratch_load_b128 v[10:13], off, off offset:464
	v_add_f64 v[44:45], v[44:45], v[52:53]
	v_add_f64 v[46:47], v[48:49], v[46:47]
	v_fma_f64 v[52:53], v[8:9], v[14:15], v[54:55]
	v_fma_f64 v[54:55], v[6:7], v[14:15], -v[16:17]
	scratch_load_b128 v[14:17], off, off offset:480
	ds_load_b128 v[6:9], v1 offset:1280
	s_waitcnt vmcnt(9) lgkmcnt(1)
	v_mul_f64 v[48:49], v[2:3], v[20:21]
	v_mul_f64 v[20:21], v[4:5], v[20:21]
	v_add_f64 v[44:45], v[44:45], v[56:57]
	v_add_f64 v[46:47], v[46:47], v[50:51]
	s_waitcnt vmcnt(8) lgkmcnt(0)
	v_mul_f64 v[50:51], v[6:7], v[24:25]
	v_mul_f64 v[24:25], v[8:9], v[24:25]
	v_fma_f64 v[48:49], v[4:5], v[18:19], v[48:49]
	v_fma_f64 v[56:57], v[2:3], v[18:19], -v[20:21]
	ds_load_b128 v[2:5], v1 offset:1296
	scratch_load_b128 v[18:21], off, off offset:496
	v_add_f64 v[44:45], v[44:45], v[54:55]
	v_add_f64 v[46:47], v[46:47], v[52:53]
	v_fma_f64 v[50:51], v[8:9], v[22:23], v[50:51]
	v_fma_f64 v[54:55], v[6:7], v[22:23], -v[24:25]
	scratch_load_b128 v[22:25], off, off offset:512
	ds_load_b128 v[6:9], v1 offset:1312
	s_waitcnt vmcnt(9) lgkmcnt(1)
	v_mul_f64 v[52:53], v[2:3], v[28:29]
	v_mul_f64 v[28:29], v[4:5], v[28:29]
	v_add_f64 v[44:45], v[44:45], v[56:57]
	v_add_f64 v[46:47], v[46:47], v[48:49]
	s_waitcnt vmcnt(8) lgkmcnt(0)
	v_mul_f64 v[48:49], v[6:7], v[32:33]
	v_mul_f64 v[32:33], v[8:9], v[32:33]
	;; [unrolled: 18-line block ×3, first 2 shown]
	v_fma_f64 v[50:51], v[4:5], v[34:35], v[50:51]
	v_fma_f64 v[58:59], v[2:3], v[34:35], -v[36:37]
	ds_load_b128 v[2:5], v1 offset:1360
	scratch_load_b128 v[34:37], off, off offset:560
	v_add_f64 v[44:45], v[44:45], v[54:55]
	v_add_f64 v[46:47], v[46:47], v[48:49]
	v_fma_f64 v[52:53], v[8:9], v[183:184], v[52:53]
	v_fma_f64 v[54:55], v[6:7], v[183:184], -v[56:57]
	scratch_load_b128 v[183:186], off, off offset:576
	ds_load_b128 v[6:9], v1 offset:1376
	s_waitcnt vmcnt(9) lgkmcnt(1)
	v_mul_f64 v[48:49], v[2:3], v[40:41]
	v_mul_f64 v[40:41], v[4:5], v[40:41]
	s_waitcnt vmcnt(8) lgkmcnt(0)
	v_mul_f64 v[56:57], v[8:9], v[181:182]
	v_add_f64 v[44:45], v[44:45], v[58:59]
	v_add_f64 v[46:47], v[46:47], v[50:51]
	v_mul_f64 v[50:51], v[6:7], v[181:182]
	v_fma_f64 v[48:49], v[4:5], v[38:39], v[48:49]
	v_fma_f64 v[58:59], v[2:3], v[38:39], -v[40:41]
	ds_load_b128 v[2:5], v1 offset:1392
	scratch_load_b128 v[38:41], off, off offset:592
	v_add_f64 v[44:45], v[44:45], v[54:55]
	v_add_f64 v[46:47], v[46:47], v[52:53]
	v_fma_f64 v[50:51], v[8:9], v[179:180], v[50:51]
	v_fma_f64 v[54:55], v[6:7], v[179:180], -v[56:57]
	scratch_load_b128 v[179:182], off, off offset:608
	ds_load_b128 v[6:9], v1 offset:1408
	s_waitcnt vmcnt(9) lgkmcnt(1)
	v_mul_f64 v[52:53], v[2:3], v[12:13]
	v_mul_f64 v[12:13], v[4:5], v[12:13]
	v_add_f64 v[44:45], v[44:45], v[58:59]
	v_add_f64 v[46:47], v[46:47], v[48:49]
	s_waitcnt vmcnt(8) lgkmcnt(0)
	v_mul_f64 v[48:49], v[6:7], v[16:17]
	v_mul_f64 v[16:17], v[8:9], v[16:17]
	v_fma_f64 v[52:53], v[4:5], v[10:11], v[52:53]
	v_fma_f64 v[56:57], v[2:3], v[10:11], -v[12:13]
	ds_load_b128 v[2:5], v1 offset:1424
	scratch_load_b128 v[10:13], off, off offset:624
	v_add_f64 v[44:45], v[44:45], v[54:55]
	v_add_f64 v[46:47], v[46:47], v[50:51]
	v_fma_f64 v[48:49], v[8:9], v[14:15], v[48:49]
	v_fma_f64 v[54:55], v[6:7], v[14:15], -v[16:17]
	scratch_load_b128 v[14:17], off, off offset:640
	ds_load_b128 v[6:9], v1 offset:1440
	s_waitcnt vmcnt(9) lgkmcnt(1)
	v_mul_f64 v[50:51], v[2:3], v[20:21]
	v_mul_f64 v[20:21], v[4:5], v[20:21]
	v_add_f64 v[44:45], v[44:45], v[56:57]
	v_add_f64 v[46:47], v[46:47], v[52:53]
	s_waitcnt vmcnt(8) lgkmcnt(0)
	v_mul_f64 v[52:53], v[6:7], v[24:25]
	;; [unrolled: 18-line block ×4, first 2 shown]
	v_mul_f64 v[56:57], v[8:9], v[185:186]
	v_fma_f64 v[52:53], v[4:5], v[34:35], v[52:53]
	v_fma_f64 v[58:59], v[2:3], v[34:35], -v[36:37]
	ds_load_b128 v[2:5], v1 offset:1520
	scratch_load_b128 v[34:37], off, off offset:720
	v_add_f64 v[44:45], v[44:45], v[54:55]
	v_add_f64 v[46:47], v[46:47], v[50:51]
	v_fma_f64 v[48:49], v[8:9], v[183:184], v[48:49]
	v_fma_f64 v[54:55], v[6:7], v[183:184], -v[56:57]
	scratch_load_b128 v[183:186], off, off offset:736
	ds_load_b128 v[6:9], v1 offset:1536
	s_waitcnt vmcnt(9) lgkmcnt(1)
	v_mul_f64 v[50:51], v[2:3], v[40:41]
	v_mul_f64 v[40:41], v[4:5], v[40:41]
	s_waitcnt vmcnt(8) lgkmcnt(0)
	v_mul_f64 v[56:57], v[8:9], v[181:182]
	v_add_f64 v[44:45], v[44:45], v[58:59]
	v_add_f64 v[46:47], v[46:47], v[52:53]
	v_mul_f64 v[52:53], v[6:7], v[181:182]
	v_fma_f64 v[50:51], v[4:5], v[38:39], v[50:51]
	v_fma_f64 v[58:59], v[2:3], v[38:39], -v[40:41]
	ds_load_b128 v[2:5], v1 offset:1552
	scratch_load_b128 v[38:41], off, off offset:752
	v_add_f64 v[44:45], v[44:45], v[54:55]
	v_add_f64 v[46:47], v[46:47], v[48:49]
	v_fma_f64 v[52:53], v[8:9], v[179:180], v[52:53]
	v_fma_f64 v[54:55], v[6:7], v[179:180], -v[56:57]
	scratch_load_b128 v[179:182], off, off offset:768
	ds_load_b128 v[6:9], v1 offset:1568
	s_waitcnt vmcnt(9) lgkmcnt(1)
	v_mul_f64 v[48:49], v[2:3], v[12:13]
	v_mul_f64 v[12:13], v[4:5], v[12:13]
	v_add_f64 v[44:45], v[44:45], v[58:59]
	v_add_f64 v[46:47], v[46:47], v[50:51]
	s_waitcnt vmcnt(8) lgkmcnt(0)
	v_mul_f64 v[50:51], v[6:7], v[16:17]
	v_mul_f64 v[16:17], v[8:9], v[16:17]
	v_fma_f64 v[48:49], v[4:5], v[10:11], v[48:49]
	v_fma_f64 v[56:57], v[2:3], v[10:11], -v[12:13]
	ds_load_b128 v[2:5], v1 offset:1584
	scratch_load_b128 v[10:13], off, off offset:784
	v_add_f64 v[44:45], v[44:45], v[54:55]
	v_add_f64 v[46:47], v[46:47], v[52:53]
	v_fma_f64 v[50:51], v[8:9], v[14:15], v[50:51]
	v_fma_f64 v[54:55], v[6:7], v[14:15], -v[16:17]
	scratch_load_b128 v[14:17], off, off offset:800
	ds_load_b128 v[6:9], v1 offset:1600
	s_waitcnt vmcnt(9) lgkmcnt(1)
	v_mul_f64 v[52:53], v[2:3], v[20:21]
	v_mul_f64 v[20:21], v[4:5], v[20:21]
	v_add_f64 v[44:45], v[44:45], v[56:57]
	v_add_f64 v[46:47], v[46:47], v[48:49]
	s_waitcnt vmcnt(8) lgkmcnt(0)
	v_mul_f64 v[48:49], v[6:7], v[24:25]
	v_mul_f64 v[24:25], v[8:9], v[24:25]
	v_fma_f64 v[52:53], v[4:5], v[18:19], v[52:53]
	v_fma_f64 v[56:57], v[2:3], v[18:19], -v[20:21]
	ds_load_b128 v[2:5], v1 offset:1616
	scratch_load_b128 v[18:21], off, off offset:816
	v_add_f64 v[44:45], v[44:45], v[54:55]
	v_add_f64 v[46:47], v[46:47], v[50:51]
	v_fma_f64 v[48:49], v[8:9], v[22:23], v[48:49]
	v_fma_f64 v[54:55], v[6:7], v[22:23], -v[24:25]
	ds_load_b128 v[6:9], v1 offset:1632
	s_waitcnt vmcnt(8) lgkmcnt(1)
	v_mul_f64 v[50:51], v[2:3], v[28:29]
	v_mul_f64 v[28:29], v[4:5], v[28:29]
	scratch_load_b128 v[22:25], off, off offset:832
	v_add_f64 v[44:45], v[44:45], v[56:57]
	v_add_f64 v[46:47], v[46:47], v[52:53]
	s_waitcnt vmcnt(8) lgkmcnt(0)
	v_mul_f64 v[52:53], v[6:7], v[32:33]
	v_mul_f64 v[32:33], v[8:9], v[32:33]
	v_fma_f64 v[50:51], v[4:5], v[26:27], v[50:51]
	v_fma_f64 v[56:57], v[2:3], v[26:27], -v[28:29]
	scratch_load_b128 v[26:29], off, off offset:848
	ds_load_b128 v[2:5], v1 offset:1648
	v_add_f64 v[44:45], v[44:45], v[54:55]
	v_add_f64 v[46:47], v[46:47], v[48:49]
	v_fma_f64 v[52:53], v[8:9], v[30:31], v[52:53]
	v_fma_f64 v[54:55], v[6:7], v[30:31], -v[32:33]
	ds_load_b128 v[6:9], v1 offset:1664
	s_waitcnt vmcnt(8) lgkmcnt(1)
	v_mul_f64 v[48:49], v[2:3], v[36:37]
	v_mul_f64 v[36:37], v[4:5], v[36:37]
	scratch_load_b128 v[30:33], off, off offset:864
	v_add_f64 v[44:45], v[44:45], v[56:57]
	v_add_f64 v[46:47], v[46:47], v[50:51]
	s_waitcnt vmcnt(8) lgkmcnt(0)
	v_mul_f64 v[50:51], v[6:7], v[185:186]
	v_mul_f64 v[56:57], v[8:9], v[185:186]
	v_fma_f64 v[48:49], v[4:5], v[34:35], v[48:49]
	v_fma_f64 v[58:59], v[2:3], v[34:35], -v[36:37]
	scratch_load_b128 v[34:37], off, off offset:880
	ds_load_b128 v[2:5], v1 offset:1680
	v_add_f64 v[44:45], v[44:45], v[54:55]
	v_add_f64 v[46:47], v[46:47], v[52:53]
	v_fma_f64 v[50:51], v[8:9], v[183:184], v[50:51]
	v_fma_f64 v[54:55], v[6:7], v[183:184], -v[56:57]
	ds_load_b128 v[6:9], v1 offset:1696
	s_waitcnt vmcnt(8) lgkmcnt(1)
	v_mul_f64 v[52:53], v[2:3], v[40:41]
	v_mul_f64 v[40:41], v[4:5], v[40:41]
	scratch_load_b128 v[183:186], off, off offset:896
	s_waitcnt vmcnt(8) lgkmcnt(0)
	v_mul_f64 v[56:57], v[8:9], v[181:182]
	v_add_f64 v[44:45], v[44:45], v[58:59]
	v_add_f64 v[46:47], v[46:47], v[48:49]
	v_mul_f64 v[48:49], v[6:7], v[181:182]
	v_fma_f64 v[52:53], v[4:5], v[38:39], v[52:53]
	v_fma_f64 v[58:59], v[2:3], v[38:39], -v[40:41]
	scratch_load_b128 v[38:41], off, off offset:912
	ds_load_b128 v[2:5], v1 offset:1712
	v_add_f64 v[44:45], v[44:45], v[54:55]
	v_add_f64 v[46:47], v[46:47], v[50:51]
	v_fma_f64 v[48:49], v[8:9], v[179:180], v[48:49]
	v_fma_f64 v[54:55], v[6:7], v[179:180], -v[56:57]
	ds_load_b128 v[6:9], v1 offset:1728
	s_waitcnt vmcnt(8) lgkmcnt(1)
	v_mul_f64 v[50:51], v[2:3], v[12:13]
	v_mul_f64 v[12:13], v[4:5], v[12:13]
	v_add_f64 v[44:45], v[44:45], v[58:59]
	v_add_f64 v[46:47], v[46:47], v[52:53]
	s_waitcnt vmcnt(7) lgkmcnt(0)
	v_mul_f64 v[52:53], v[6:7], v[16:17]
	v_mul_f64 v[16:17], v[8:9], v[16:17]
	v_fma_f64 v[50:51], v[4:5], v[10:11], v[50:51]
	v_fma_f64 v[10:11], v[2:3], v[10:11], -v[12:13]
	ds_load_b128 v[2:5], v1 offset:1744
	v_add_f64 v[12:13], v[44:45], v[54:55]
	v_add_f64 v[44:45], v[46:47], v[48:49]
	v_fma_f64 v[48:49], v[8:9], v[14:15], v[52:53]
	v_fma_f64 v[14:15], v[6:7], v[14:15], -v[16:17]
	ds_load_b128 v[6:9], v1 offset:1760
	v_add_f64 v[16:17], v[12:13], v[10:11]
	v_add_f64 v[44:45], v[44:45], v[50:51]
	scratch_load_b128 v[10:13], off, off offset:256
	s_waitcnt vmcnt(7) lgkmcnt(1)
	v_mul_f64 v[46:47], v[2:3], v[20:21]
	v_mul_f64 v[20:21], v[4:5], v[20:21]
	s_waitcnt vmcnt(6) lgkmcnt(0)
	v_mul_f64 v[50:51], v[6:7], v[24:25]
	v_mul_f64 v[24:25], v[8:9], v[24:25]
	v_add_f64 v[14:15], v[16:17], v[14:15]
	v_add_f64 v[16:17], v[44:45], v[48:49]
	v_fma_f64 v[46:47], v[4:5], v[18:19], v[46:47]
	v_fma_f64 v[18:19], v[2:3], v[18:19], -v[20:21]
	ds_load_b128 v[2:5], v1 offset:1776
	v_fma_f64 v[44:45], v[8:9], v[22:23], v[50:51]
	v_fma_f64 v[22:23], v[6:7], v[22:23], -v[24:25]
	ds_load_b128 v[6:9], v1 offset:1792
	s_waitcnt vmcnt(5) lgkmcnt(1)
	v_mul_f64 v[20:21], v[2:3], v[28:29]
	v_mul_f64 v[28:29], v[4:5], v[28:29]
	s_waitcnt vmcnt(4) lgkmcnt(0)
	v_mul_f64 v[24:25], v[8:9], v[32:33]
	v_add_f64 v[16:17], v[16:17], v[46:47]
	v_add_f64 v[14:15], v[14:15], v[18:19]
	v_mul_f64 v[18:19], v[6:7], v[32:33]
	v_fma_f64 v[20:21], v[4:5], v[26:27], v[20:21]
	v_fma_f64 v[26:27], v[2:3], v[26:27], -v[28:29]
	ds_load_b128 v[2:5], v1 offset:1808
	v_fma_f64 v[24:25], v[6:7], v[30:31], -v[24:25]
	v_add_f64 v[16:17], v[16:17], v[44:45]
	v_add_f64 v[14:15], v[14:15], v[22:23]
	v_fma_f64 v[18:19], v[8:9], v[30:31], v[18:19]
	ds_load_b128 v[6:9], v1 offset:1824
	s_waitcnt vmcnt(3) lgkmcnt(1)
	v_mul_f64 v[22:23], v[2:3], v[36:37]
	v_mul_f64 v[28:29], v[4:5], v[36:37]
	v_add_f64 v[16:17], v[16:17], v[20:21]
	v_add_f64 v[14:15], v[14:15], v[26:27]
	s_waitcnt vmcnt(2) lgkmcnt(0)
	v_mul_f64 v[20:21], v[6:7], v[185:186]
	v_mul_f64 v[26:27], v[8:9], v[185:186]
	v_fma_f64 v[22:23], v[4:5], v[34:35], v[22:23]
	v_fma_f64 v[28:29], v[2:3], v[34:35], -v[28:29]
	ds_load_b128 v[2:5], v1 offset:1840
	v_add_f64 v[16:17], v[16:17], v[18:19]
	v_add_f64 v[14:15], v[14:15], v[24:25]
	s_waitcnt vmcnt(1) lgkmcnt(0)
	v_mul_f64 v[18:19], v[2:3], v[40:41]
	v_mul_f64 v[24:25], v[4:5], v[40:41]
	v_fma_f64 v[8:9], v[8:9], v[183:184], v[20:21]
	v_fma_f64 v[6:7], v[6:7], v[183:184], -v[26:27]
	v_add_f64 v[16:17], v[16:17], v[22:23]
	v_add_f64 v[14:15], v[14:15], v[28:29]
	v_fma_f64 v[4:5], v[4:5], v[38:39], v[18:19]
	v_fma_f64 v[2:3], v[2:3], v[38:39], -v[24:25]
	s_delay_alu instid0(VALU_DEP_4) | instskip(NEXT) | instid1(VALU_DEP_4)
	v_add_f64 v[8:9], v[16:17], v[8:9]
	v_add_f64 v[6:7], v[14:15], v[6:7]
	s_delay_alu instid0(VALU_DEP_2) | instskip(NEXT) | instid1(VALU_DEP_2)
	v_add_f64 v[4:5], v[8:9], v[4:5]
	v_add_f64 v[2:3], v[6:7], v[2:3]
	s_waitcnt vmcnt(0)
	s_delay_alu instid0(VALU_DEP_2) | instskip(NEXT) | instid1(VALU_DEP_2)
	v_add_f64 v[4:5], v[12:13], -v[4:5]
	v_add_f64 v[2:3], v[10:11], -v[2:3]
	scratch_store_b128 off, v[2:5], off offset:256
	v_cmpx_lt_u32_e32 15, v158
	s_cbranch_execz .LBB57_331
; %bb.330:
	scratch_load_b128 v[5:8], v201, off
	v_mov_b32_e32 v2, v1
	v_mov_b32_e32 v3, v1
	;; [unrolled: 1-line block ×3, first 2 shown]
	scratch_store_b128 off, v[1:4], off offset:240
	s_waitcnt vmcnt(0)
	ds_store_b128 v216, v[5:8]
.LBB57_331:
	s_or_b32 exec_lo, exec_lo, s2
	s_waitcnt lgkmcnt(0)
	s_waitcnt_vscnt null, 0x0
	s_barrier
	buffer_gl0_inv
	s_clause 0x7
	scratch_load_b128 v[2:5], off, off offset:256
	scratch_load_b128 v[6:9], off, off offset:272
	scratch_load_b128 v[10:13], off, off offset:288
	scratch_load_b128 v[14:17], off, off offset:304
	scratch_load_b128 v[18:21], off, off offset:320
	scratch_load_b128 v[22:25], off, off offset:336
	scratch_load_b128 v[26:29], off, off offset:352
	scratch_load_b128 v[30:33], off, off offset:368
	ds_load_b128 v[38:41], v1 offset:1184
	ds_load_b128 v[179:182], v1 offset:1200
	s_clause 0x1
	scratch_load_b128 v[34:37], off, off offset:384
	scratch_load_b128 v[183:186], off, off offset:400
	s_mov_b32 s2, exec_lo
	s_waitcnt vmcnt(9) lgkmcnt(1)
	v_mul_f64 v[44:45], v[40:41], v[4:5]
	v_mul_f64 v[4:5], v[38:39], v[4:5]
	s_waitcnt vmcnt(8) lgkmcnt(0)
	v_mul_f64 v[46:47], v[179:180], v[8:9]
	v_mul_f64 v[8:9], v[181:182], v[8:9]
	s_delay_alu instid0(VALU_DEP_4) | instskip(NEXT) | instid1(VALU_DEP_4)
	v_fma_f64 v[44:45], v[38:39], v[2:3], -v[44:45]
	v_fma_f64 v[48:49], v[40:41], v[2:3], v[4:5]
	ds_load_b128 v[2:5], v1 offset:1216
	scratch_load_b128 v[38:41], off, off offset:416
	v_fma_f64 v[46:47], v[181:182], v[6:7], v[46:47]
	v_fma_f64 v[52:53], v[179:180], v[6:7], -v[8:9]
	scratch_load_b128 v[179:182], off, off offset:432
	ds_load_b128 v[6:9], v1 offset:1232
	s_waitcnt vmcnt(9) lgkmcnt(1)
	v_mul_f64 v[50:51], v[2:3], v[12:13]
	v_mul_f64 v[12:13], v[4:5], v[12:13]
	s_waitcnt vmcnt(8) lgkmcnt(0)
	v_mul_f64 v[54:55], v[6:7], v[16:17]
	v_mul_f64 v[16:17], v[8:9], v[16:17]
	v_add_f64 v[44:45], v[44:45], 0
	v_add_f64 v[48:49], v[48:49], 0
	v_fma_f64 v[50:51], v[4:5], v[10:11], v[50:51]
	v_fma_f64 v[56:57], v[2:3], v[10:11], -v[12:13]
	ds_load_b128 v[2:5], v1 offset:1248
	scratch_load_b128 v[10:13], off, off offset:448
	v_add_f64 v[44:45], v[44:45], v[52:53]
	v_add_f64 v[46:47], v[48:49], v[46:47]
	v_fma_f64 v[52:53], v[8:9], v[14:15], v[54:55]
	v_fma_f64 v[54:55], v[6:7], v[14:15], -v[16:17]
	scratch_load_b128 v[14:17], off, off offset:464
	ds_load_b128 v[6:9], v1 offset:1264
	s_waitcnt vmcnt(9) lgkmcnt(1)
	v_mul_f64 v[48:49], v[2:3], v[20:21]
	v_mul_f64 v[20:21], v[4:5], v[20:21]
	v_add_f64 v[44:45], v[44:45], v[56:57]
	v_add_f64 v[46:47], v[46:47], v[50:51]
	s_waitcnt vmcnt(8) lgkmcnt(0)
	v_mul_f64 v[50:51], v[6:7], v[24:25]
	v_mul_f64 v[24:25], v[8:9], v[24:25]
	v_fma_f64 v[48:49], v[4:5], v[18:19], v[48:49]
	v_fma_f64 v[56:57], v[2:3], v[18:19], -v[20:21]
	ds_load_b128 v[2:5], v1 offset:1280
	scratch_load_b128 v[18:21], off, off offset:480
	v_add_f64 v[44:45], v[44:45], v[54:55]
	v_add_f64 v[46:47], v[46:47], v[52:53]
	v_fma_f64 v[50:51], v[8:9], v[22:23], v[50:51]
	v_fma_f64 v[54:55], v[6:7], v[22:23], -v[24:25]
	scratch_load_b128 v[22:25], off, off offset:496
	ds_load_b128 v[6:9], v1 offset:1296
	s_waitcnt vmcnt(9) lgkmcnt(1)
	v_mul_f64 v[52:53], v[2:3], v[28:29]
	v_mul_f64 v[28:29], v[4:5], v[28:29]
	v_add_f64 v[44:45], v[44:45], v[56:57]
	v_add_f64 v[46:47], v[46:47], v[48:49]
	s_waitcnt vmcnt(8) lgkmcnt(0)
	v_mul_f64 v[48:49], v[6:7], v[32:33]
	v_mul_f64 v[32:33], v[8:9], v[32:33]
	;; [unrolled: 18-line block ×3, first 2 shown]
	v_fma_f64 v[50:51], v[4:5], v[34:35], v[50:51]
	v_fma_f64 v[58:59], v[2:3], v[34:35], -v[36:37]
	ds_load_b128 v[2:5], v1 offset:1344
	scratch_load_b128 v[34:37], off, off offset:544
	v_add_f64 v[44:45], v[44:45], v[54:55]
	v_add_f64 v[46:47], v[46:47], v[48:49]
	v_fma_f64 v[52:53], v[8:9], v[183:184], v[52:53]
	v_fma_f64 v[54:55], v[6:7], v[183:184], -v[56:57]
	scratch_load_b128 v[183:186], off, off offset:560
	ds_load_b128 v[6:9], v1 offset:1360
	s_waitcnt vmcnt(9) lgkmcnt(1)
	v_mul_f64 v[48:49], v[2:3], v[40:41]
	v_mul_f64 v[40:41], v[4:5], v[40:41]
	s_waitcnt vmcnt(8) lgkmcnt(0)
	v_mul_f64 v[56:57], v[8:9], v[181:182]
	v_add_f64 v[44:45], v[44:45], v[58:59]
	v_add_f64 v[46:47], v[46:47], v[50:51]
	v_mul_f64 v[50:51], v[6:7], v[181:182]
	v_fma_f64 v[48:49], v[4:5], v[38:39], v[48:49]
	v_fma_f64 v[58:59], v[2:3], v[38:39], -v[40:41]
	ds_load_b128 v[2:5], v1 offset:1376
	scratch_load_b128 v[38:41], off, off offset:576
	v_add_f64 v[44:45], v[44:45], v[54:55]
	v_add_f64 v[46:47], v[46:47], v[52:53]
	v_fma_f64 v[50:51], v[8:9], v[179:180], v[50:51]
	v_fma_f64 v[54:55], v[6:7], v[179:180], -v[56:57]
	scratch_load_b128 v[179:182], off, off offset:592
	ds_load_b128 v[6:9], v1 offset:1392
	s_waitcnt vmcnt(9) lgkmcnt(1)
	v_mul_f64 v[52:53], v[2:3], v[12:13]
	v_mul_f64 v[12:13], v[4:5], v[12:13]
	v_add_f64 v[44:45], v[44:45], v[58:59]
	v_add_f64 v[46:47], v[46:47], v[48:49]
	s_waitcnt vmcnt(8) lgkmcnt(0)
	v_mul_f64 v[48:49], v[6:7], v[16:17]
	v_mul_f64 v[16:17], v[8:9], v[16:17]
	v_fma_f64 v[52:53], v[4:5], v[10:11], v[52:53]
	v_fma_f64 v[56:57], v[2:3], v[10:11], -v[12:13]
	ds_load_b128 v[2:5], v1 offset:1408
	scratch_load_b128 v[10:13], off, off offset:608
	v_add_f64 v[44:45], v[44:45], v[54:55]
	v_add_f64 v[46:47], v[46:47], v[50:51]
	v_fma_f64 v[48:49], v[8:9], v[14:15], v[48:49]
	v_fma_f64 v[54:55], v[6:7], v[14:15], -v[16:17]
	scratch_load_b128 v[14:17], off, off offset:624
	ds_load_b128 v[6:9], v1 offset:1424
	s_waitcnt vmcnt(9) lgkmcnt(1)
	v_mul_f64 v[50:51], v[2:3], v[20:21]
	v_mul_f64 v[20:21], v[4:5], v[20:21]
	v_add_f64 v[44:45], v[44:45], v[56:57]
	v_add_f64 v[46:47], v[46:47], v[52:53]
	s_waitcnt vmcnt(8) lgkmcnt(0)
	v_mul_f64 v[52:53], v[6:7], v[24:25]
	;; [unrolled: 18-line block ×4, first 2 shown]
	v_mul_f64 v[56:57], v[8:9], v[185:186]
	v_fma_f64 v[52:53], v[4:5], v[34:35], v[52:53]
	v_fma_f64 v[58:59], v[2:3], v[34:35], -v[36:37]
	ds_load_b128 v[2:5], v1 offset:1504
	scratch_load_b128 v[34:37], off, off offset:704
	v_add_f64 v[44:45], v[44:45], v[54:55]
	v_add_f64 v[46:47], v[46:47], v[50:51]
	v_fma_f64 v[48:49], v[8:9], v[183:184], v[48:49]
	v_fma_f64 v[54:55], v[6:7], v[183:184], -v[56:57]
	scratch_load_b128 v[183:186], off, off offset:720
	ds_load_b128 v[6:9], v1 offset:1520
	s_waitcnt vmcnt(9) lgkmcnt(1)
	v_mul_f64 v[50:51], v[2:3], v[40:41]
	v_mul_f64 v[40:41], v[4:5], v[40:41]
	s_waitcnt vmcnt(8) lgkmcnt(0)
	v_mul_f64 v[56:57], v[8:9], v[181:182]
	v_add_f64 v[44:45], v[44:45], v[58:59]
	v_add_f64 v[46:47], v[46:47], v[52:53]
	v_mul_f64 v[52:53], v[6:7], v[181:182]
	v_fma_f64 v[50:51], v[4:5], v[38:39], v[50:51]
	v_fma_f64 v[58:59], v[2:3], v[38:39], -v[40:41]
	ds_load_b128 v[2:5], v1 offset:1536
	scratch_load_b128 v[38:41], off, off offset:736
	v_add_f64 v[44:45], v[44:45], v[54:55]
	v_add_f64 v[46:47], v[46:47], v[48:49]
	v_fma_f64 v[52:53], v[8:9], v[179:180], v[52:53]
	v_fma_f64 v[54:55], v[6:7], v[179:180], -v[56:57]
	scratch_load_b128 v[179:182], off, off offset:752
	ds_load_b128 v[6:9], v1 offset:1552
	s_waitcnt vmcnt(9) lgkmcnt(1)
	v_mul_f64 v[48:49], v[2:3], v[12:13]
	v_mul_f64 v[12:13], v[4:5], v[12:13]
	v_add_f64 v[44:45], v[44:45], v[58:59]
	v_add_f64 v[46:47], v[46:47], v[50:51]
	s_waitcnt vmcnt(8) lgkmcnt(0)
	v_mul_f64 v[50:51], v[6:7], v[16:17]
	v_mul_f64 v[16:17], v[8:9], v[16:17]
	v_fma_f64 v[48:49], v[4:5], v[10:11], v[48:49]
	v_fma_f64 v[56:57], v[2:3], v[10:11], -v[12:13]
	ds_load_b128 v[2:5], v1 offset:1568
	scratch_load_b128 v[10:13], off, off offset:768
	v_add_f64 v[44:45], v[44:45], v[54:55]
	v_add_f64 v[46:47], v[46:47], v[52:53]
	v_fma_f64 v[50:51], v[8:9], v[14:15], v[50:51]
	v_fma_f64 v[54:55], v[6:7], v[14:15], -v[16:17]
	scratch_load_b128 v[14:17], off, off offset:784
	ds_load_b128 v[6:9], v1 offset:1584
	s_waitcnt vmcnt(9) lgkmcnt(1)
	v_mul_f64 v[52:53], v[2:3], v[20:21]
	v_mul_f64 v[20:21], v[4:5], v[20:21]
	v_add_f64 v[44:45], v[44:45], v[56:57]
	v_add_f64 v[46:47], v[46:47], v[48:49]
	s_waitcnt vmcnt(8) lgkmcnt(0)
	v_mul_f64 v[48:49], v[6:7], v[24:25]
	v_mul_f64 v[24:25], v[8:9], v[24:25]
	v_fma_f64 v[52:53], v[4:5], v[18:19], v[52:53]
	v_fma_f64 v[56:57], v[2:3], v[18:19], -v[20:21]
	ds_load_b128 v[2:5], v1 offset:1600
	scratch_load_b128 v[18:21], off, off offset:800
	v_add_f64 v[44:45], v[44:45], v[54:55]
	v_add_f64 v[46:47], v[46:47], v[50:51]
	v_fma_f64 v[48:49], v[8:9], v[22:23], v[48:49]
	v_fma_f64 v[54:55], v[6:7], v[22:23], -v[24:25]
	ds_load_b128 v[6:9], v1 offset:1616
	s_waitcnt vmcnt(8) lgkmcnt(1)
	v_mul_f64 v[50:51], v[2:3], v[28:29]
	v_mul_f64 v[28:29], v[4:5], v[28:29]
	scratch_load_b128 v[22:25], off, off offset:816
	v_add_f64 v[44:45], v[44:45], v[56:57]
	v_add_f64 v[46:47], v[46:47], v[52:53]
	s_waitcnt vmcnt(8) lgkmcnt(0)
	v_mul_f64 v[52:53], v[6:7], v[32:33]
	v_mul_f64 v[32:33], v[8:9], v[32:33]
	v_fma_f64 v[50:51], v[4:5], v[26:27], v[50:51]
	v_fma_f64 v[56:57], v[2:3], v[26:27], -v[28:29]
	ds_load_b128 v[2:5], v1 offset:1632
	scratch_load_b128 v[26:29], off, off offset:832
	v_add_f64 v[44:45], v[44:45], v[54:55]
	v_add_f64 v[46:47], v[46:47], v[48:49]
	v_fma_f64 v[52:53], v[8:9], v[30:31], v[52:53]
	v_fma_f64 v[54:55], v[6:7], v[30:31], -v[32:33]
	ds_load_b128 v[6:9], v1 offset:1648
	s_waitcnt vmcnt(8) lgkmcnt(1)
	v_mul_f64 v[48:49], v[2:3], v[36:37]
	v_mul_f64 v[36:37], v[4:5], v[36:37]
	scratch_load_b128 v[30:33], off, off offset:848
	v_add_f64 v[44:45], v[44:45], v[56:57]
	v_add_f64 v[46:47], v[46:47], v[50:51]
	s_waitcnt vmcnt(8) lgkmcnt(0)
	v_mul_f64 v[50:51], v[6:7], v[185:186]
	v_mul_f64 v[56:57], v[8:9], v[185:186]
	v_fma_f64 v[48:49], v[4:5], v[34:35], v[48:49]
	v_fma_f64 v[58:59], v[2:3], v[34:35], -v[36:37]
	scratch_load_b128 v[34:37], off, off offset:864
	ds_load_b128 v[2:5], v1 offset:1664
	v_add_f64 v[44:45], v[44:45], v[54:55]
	v_add_f64 v[46:47], v[46:47], v[52:53]
	v_fma_f64 v[50:51], v[8:9], v[183:184], v[50:51]
	v_fma_f64 v[54:55], v[6:7], v[183:184], -v[56:57]
	ds_load_b128 v[6:9], v1 offset:1680
	s_waitcnt vmcnt(8) lgkmcnt(1)
	v_mul_f64 v[52:53], v[2:3], v[40:41]
	v_mul_f64 v[40:41], v[4:5], v[40:41]
	scratch_load_b128 v[183:186], off, off offset:880
	s_waitcnt vmcnt(8) lgkmcnt(0)
	v_mul_f64 v[56:57], v[8:9], v[181:182]
	v_add_f64 v[44:45], v[44:45], v[58:59]
	v_add_f64 v[46:47], v[46:47], v[48:49]
	v_mul_f64 v[48:49], v[6:7], v[181:182]
	v_fma_f64 v[52:53], v[4:5], v[38:39], v[52:53]
	v_fma_f64 v[58:59], v[2:3], v[38:39], -v[40:41]
	scratch_load_b128 v[38:41], off, off offset:896
	ds_load_b128 v[2:5], v1 offset:1696
	v_add_f64 v[44:45], v[44:45], v[54:55]
	v_add_f64 v[46:47], v[46:47], v[50:51]
	v_fma_f64 v[48:49], v[8:9], v[179:180], v[48:49]
	v_fma_f64 v[54:55], v[6:7], v[179:180], -v[56:57]
	ds_load_b128 v[6:9], v1 offset:1712
	s_waitcnt vmcnt(8) lgkmcnt(1)
	v_mul_f64 v[50:51], v[2:3], v[12:13]
	v_mul_f64 v[12:13], v[4:5], v[12:13]
	scratch_load_b128 v[179:182], off, off offset:912
	v_add_f64 v[44:45], v[44:45], v[58:59]
	v_add_f64 v[46:47], v[46:47], v[52:53]
	s_waitcnt vmcnt(8) lgkmcnt(0)
	v_mul_f64 v[52:53], v[6:7], v[16:17]
	v_mul_f64 v[16:17], v[8:9], v[16:17]
	v_fma_f64 v[50:51], v[4:5], v[10:11], v[50:51]
	v_fma_f64 v[10:11], v[2:3], v[10:11], -v[12:13]
	ds_load_b128 v[2:5], v1 offset:1728
	v_add_f64 v[12:13], v[44:45], v[54:55]
	v_add_f64 v[44:45], v[46:47], v[48:49]
	v_fma_f64 v[48:49], v[8:9], v[14:15], v[52:53]
	v_fma_f64 v[14:15], v[6:7], v[14:15], -v[16:17]
	ds_load_b128 v[6:9], v1 offset:1744
	s_waitcnt vmcnt(7) lgkmcnt(1)
	v_mul_f64 v[46:47], v[2:3], v[20:21]
	v_mul_f64 v[20:21], v[4:5], v[20:21]
	v_add_f64 v[10:11], v[12:13], v[10:11]
	v_add_f64 v[12:13], v[44:45], v[50:51]
	s_delay_alu instid0(VALU_DEP_4) | instskip(NEXT) | instid1(VALU_DEP_4)
	v_fma_f64 v[44:45], v[4:5], v[18:19], v[46:47]
	v_fma_f64 v[18:19], v[2:3], v[18:19], -v[20:21]
	ds_load_b128 v[2:5], v1 offset:1760
	v_add_f64 v[14:15], v[10:11], v[14:15]
	v_add_f64 v[20:21], v[12:13], v[48:49]
	scratch_load_b128 v[10:13], off, off offset:240
	s_waitcnt vmcnt(7) lgkmcnt(1)
	v_mul_f64 v[16:17], v[6:7], v[24:25]
	v_mul_f64 v[24:25], v[8:9], v[24:25]
	v_add_f64 v[14:15], v[14:15], v[18:19]
	v_add_f64 v[18:19], v[20:21], v[44:45]
	s_delay_alu instid0(VALU_DEP_4) | instskip(NEXT) | instid1(VALU_DEP_4)
	v_fma_f64 v[16:17], v[8:9], v[22:23], v[16:17]
	v_fma_f64 v[22:23], v[6:7], v[22:23], -v[24:25]
	ds_load_b128 v[6:9], v1 offset:1776
	s_waitcnt vmcnt(6) lgkmcnt(1)
	v_mul_f64 v[46:47], v[2:3], v[28:29]
	v_mul_f64 v[28:29], v[4:5], v[28:29]
	s_waitcnt vmcnt(5) lgkmcnt(0)
	v_mul_f64 v[20:21], v[6:7], v[32:33]
	v_mul_f64 v[24:25], v[8:9], v[32:33]
	v_add_f64 v[16:17], v[18:19], v[16:17]
	v_add_f64 v[14:15], v[14:15], v[22:23]
	v_fma_f64 v[32:33], v[4:5], v[26:27], v[46:47]
	v_fma_f64 v[26:27], v[2:3], v[26:27], -v[28:29]
	ds_load_b128 v[2:5], v1 offset:1792
	v_fma_f64 v[20:21], v[8:9], v[30:31], v[20:21]
	v_fma_f64 v[24:25], v[6:7], v[30:31], -v[24:25]
	ds_load_b128 v[6:9], v1 offset:1808
	s_waitcnt vmcnt(4) lgkmcnt(1)
	v_mul_f64 v[18:19], v[2:3], v[36:37]
	v_mul_f64 v[22:23], v[4:5], v[36:37]
	v_add_f64 v[16:17], v[16:17], v[32:33]
	v_add_f64 v[14:15], v[14:15], v[26:27]
	s_waitcnt vmcnt(3) lgkmcnt(0)
	v_mul_f64 v[26:27], v[6:7], v[185:186]
	v_mul_f64 v[28:29], v[8:9], v[185:186]
	v_fma_f64 v[18:19], v[4:5], v[34:35], v[18:19]
	v_fma_f64 v[22:23], v[2:3], v[34:35], -v[22:23]
	ds_load_b128 v[2:5], v1 offset:1824
	v_add_f64 v[16:17], v[16:17], v[20:21]
	v_add_f64 v[14:15], v[14:15], v[24:25]
	v_fma_f64 v[26:27], v[8:9], v[183:184], v[26:27]
	v_fma_f64 v[28:29], v[6:7], v[183:184], -v[28:29]
	ds_load_b128 v[6:9], v1 offset:1840
	s_waitcnt vmcnt(2) lgkmcnt(1)
	v_mul_f64 v[20:21], v[2:3], v[40:41]
	v_mul_f64 v[24:25], v[4:5], v[40:41]
	v_add_f64 v[16:17], v[16:17], v[18:19]
	v_add_f64 v[14:15], v[14:15], v[22:23]
	s_waitcnt vmcnt(1) lgkmcnt(0)
	v_mul_f64 v[18:19], v[6:7], v[181:182]
	v_mul_f64 v[22:23], v[8:9], v[181:182]
	v_fma_f64 v[4:5], v[4:5], v[38:39], v[20:21]
	v_fma_f64 v[1:2], v[2:3], v[38:39], -v[24:25]
	v_add_f64 v[16:17], v[16:17], v[26:27]
	v_add_f64 v[14:15], v[14:15], v[28:29]
	v_fma_f64 v[8:9], v[8:9], v[179:180], v[18:19]
	v_fma_f64 v[6:7], v[6:7], v[179:180], -v[22:23]
	s_delay_alu instid0(VALU_DEP_4) | instskip(NEXT) | instid1(VALU_DEP_4)
	v_add_f64 v[3:4], v[16:17], v[4:5]
	v_add_f64 v[1:2], v[14:15], v[1:2]
	s_delay_alu instid0(VALU_DEP_2) | instskip(NEXT) | instid1(VALU_DEP_2)
	v_add_f64 v[3:4], v[3:4], v[8:9]
	v_add_f64 v[1:2], v[1:2], v[6:7]
	s_waitcnt vmcnt(0)
	s_delay_alu instid0(VALU_DEP_2) | instskip(NEXT) | instid1(VALU_DEP_2)
	v_add_f64 v[3:4], v[12:13], -v[3:4]
	v_add_f64 v[1:2], v[10:11], -v[1:2]
	scratch_store_b128 off, v[1:4], off offset:240
	v_cmpx_lt_u32_e32 14, v158
	s_cbranch_execz .LBB57_333
; %bb.332:
	scratch_load_b128 v[1:4], v202, off
	v_mov_b32_e32 v5, 0
	s_delay_alu instid0(VALU_DEP_1)
	v_mov_b32_e32 v6, v5
	v_mov_b32_e32 v7, v5
	;; [unrolled: 1-line block ×3, first 2 shown]
	scratch_store_b128 off, v[5:8], off offset:224
	s_waitcnt vmcnt(0)
	ds_store_b128 v216, v[1:4]
.LBB57_333:
	s_or_b32 exec_lo, exec_lo, s2
	s_waitcnt lgkmcnt(0)
	s_waitcnt_vscnt null, 0x0
	s_barrier
	buffer_gl0_inv
	s_clause 0x7
	scratch_load_b128 v[2:5], off, off offset:240
	scratch_load_b128 v[6:9], off, off offset:256
	;; [unrolled: 1-line block ×8, first 2 shown]
	v_mov_b32_e32 v1, 0
	s_clause 0x1
	scratch_load_b128 v[34:37], off, off offset:368
	scratch_load_b128 v[183:186], off, off offset:384
	s_mov_b32 s2, exec_lo
	ds_load_b128 v[38:41], v1 offset:1168
	ds_load_b128 v[179:182], v1 offset:1184
	s_waitcnt vmcnt(9) lgkmcnt(1)
	v_mul_f64 v[44:45], v[40:41], v[4:5]
	v_mul_f64 v[4:5], v[38:39], v[4:5]
	s_waitcnt vmcnt(8) lgkmcnt(0)
	v_mul_f64 v[46:47], v[179:180], v[8:9]
	v_mul_f64 v[8:9], v[181:182], v[8:9]
	s_delay_alu instid0(VALU_DEP_4) | instskip(NEXT) | instid1(VALU_DEP_4)
	v_fma_f64 v[44:45], v[38:39], v[2:3], -v[44:45]
	v_fma_f64 v[48:49], v[40:41], v[2:3], v[4:5]
	ds_load_b128 v[2:5], v1 offset:1200
	scratch_load_b128 v[38:41], off, off offset:400
	v_fma_f64 v[46:47], v[181:182], v[6:7], v[46:47]
	v_fma_f64 v[52:53], v[179:180], v[6:7], -v[8:9]
	scratch_load_b128 v[179:182], off, off offset:416
	ds_load_b128 v[6:9], v1 offset:1216
	s_waitcnt vmcnt(9) lgkmcnt(1)
	v_mul_f64 v[50:51], v[2:3], v[12:13]
	v_mul_f64 v[12:13], v[4:5], v[12:13]
	s_waitcnt vmcnt(8) lgkmcnt(0)
	v_mul_f64 v[54:55], v[6:7], v[16:17]
	v_mul_f64 v[16:17], v[8:9], v[16:17]
	v_add_f64 v[44:45], v[44:45], 0
	v_add_f64 v[48:49], v[48:49], 0
	v_fma_f64 v[50:51], v[4:5], v[10:11], v[50:51]
	v_fma_f64 v[56:57], v[2:3], v[10:11], -v[12:13]
	ds_load_b128 v[2:5], v1 offset:1232
	scratch_load_b128 v[10:13], off, off offset:432
	v_add_f64 v[44:45], v[44:45], v[52:53]
	v_add_f64 v[46:47], v[48:49], v[46:47]
	v_fma_f64 v[52:53], v[8:9], v[14:15], v[54:55]
	v_fma_f64 v[54:55], v[6:7], v[14:15], -v[16:17]
	scratch_load_b128 v[14:17], off, off offset:448
	ds_load_b128 v[6:9], v1 offset:1248
	s_waitcnt vmcnt(9) lgkmcnt(1)
	v_mul_f64 v[48:49], v[2:3], v[20:21]
	v_mul_f64 v[20:21], v[4:5], v[20:21]
	v_add_f64 v[44:45], v[44:45], v[56:57]
	v_add_f64 v[46:47], v[46:47], v[50:51]
	s_waitcnt vmcnt(8) lgkmcnt(0)
	v_mul_f64 v[50:51], v[6:7], v[24:25]
	v_mul_f64 v[24:25], v[8:9], v[24:25]
	v_fma_f64 v[48:49], v[4:5], v[18:19], v[48:49]
	v_fma_f64 v[56:57], v[2:3], v[18:19], -v[20:21]
	ds_load_b128 v[2:5], v1 offset:1264
	scratch_load_b128 v[18:21], off, off offset:464
	v_add_f64 v[44:45], v[44:45], v[54:55]
	v_add_f64 v[46:47], v[46:47], v[52:53]
	v_fma_f64 v[50:51], v[8:9], v[22:23], v[50:51]
	v_fma_f64 v[54:55], v[6:7], v[22:23], -v[24:25]
	scratch_load_b128 v[22:25], off, off offset:480
	ds_load_b128 v[6:9], v1 offset:1280
	s_waitcnt vmcnt(9) lgkmcnt(1)
	v_mul_f64 v[52:53], v[2:3], v[28:29]
	v_mul_f64 v[28:29], v[4:5], v[28:29]
	v_add_f64 v[44:45], v[44:45], v[56:57]
	v_add_f64 v[46:47], v[46:47], v[48:49]
	s_waitcnt vmcnt(8) lgkmcnt(0)
	v_mul_f64 v[48:49], v[6:7], v[32:33]
	v_mul_f64 v[32:33], v[8:9], v[32:33]
	;; [unrolled: 18-line block ×3, first 2 shown]
	v_fma_f64 v[50:51], v[4:5], v[34:35], v[50:51]
	v_fma_f64 v[58:59], v[2:3], v[34:35], -v[36:37]
	ds_load_b128 v[2:5], v1 offset:1328
	scratch_load_b128 v[34:37], off, off offset:528
	v_add_f64 v[44:45], v[44:45], v[54:55]
	v_add_f64 v[46:47], v[46:47], v[48:49]
	v_fma_f64 v[52:53], v[8:9], v[183:184], v[52:53]
	v_fma_f64 v[54:55], v[6:7], v[183:184], -v[56:57]
	scratch_load_b128 v[183:186], off, off offset:544
	ds_load_b128 v[6:9], v1 offset:1344
	s_waitcnt vmcnt(9) lgkmcnt(1)
	v_mul_f64 v[48:49], v[2:3], v[40:41]
	v_mul_f64 v[40:41], v[4:5], v[40:41]
	s_waitcnt vmcnt(8) lgkmcnt(0)
	v_mul_f64 v[56:57], v[8:9], v[181:182]
	v_add_f64 v[44:45], v[44:45], v[58:59]
	v_add_f64 v[46:47], v[46:47], v[50:51]
	v_mul_f64 v[50:51], v[6:7], v[181:182]
	v_fma_f64 v[48:49], v[4:5], v[38:39], v[48:49]
	v_fma_f64 v[58:59], v[2:3], v[38:39], -v[40:41]
	ds_load_b128 v[2:5], v1 offset:1360
	scratch_load_b128 v[38:41], off, off offset:560
	v_add_f64 v[44:45], v[44:45], v[54:55]
	v_add_f64 v[46:47], v[46:47], v[52:53]
	v_fma_f64 v[50:51], v[8:9], v[179:180], v[50:51]
	v_fma_f64 v[54:55], v[6:7], v[179:180], -v[56:57]
	scratch_load_b128 v[179:182], off, off offset:576
	ds_load_b128 v[6:9], v1 offset:1376
	s_waitcnt vmcnt(9) lgkmcnt(1)
	v_mul_f64 v[52:53], v[2:3], v[12:13]
	v_mul_f64 v[12:13], v[4:5], v[12:13]
	v_add_f64 v[44:45], v[44:45], v[58:59]
	v_add_f64 v[46:47], v[46:47], v[48:49]
	s_waitcnt vmcnt(8) lgkmcnt(0)
	v_mul_f64 v[48:49], v[6:7], v[16:17]
	v_mul_f64 v[16:17], v[8:9], v[16:17]
	v_fma_f64 v[52:53], v[4:5], v[10:11], v[52:53]
	v_fma_f64 v[56:57], v[2:3], v[10:11], -v[12:13]
	ds_load_b128 v[2:5], v1 offset:1392
	scratch_load_b128 v[10:13], off, off offset:592
	v_add_f64 v[44:45], v[44:45], v[54:55]
	v_add_f64 v[46:47], v[46:47], v[50:51]
	v_fma_f64 v[48:49], v[8:9], v[14:15], v[48:49]
	v_fma_f64 v[54:55], v[6:7], v[14:15], -v[16:17]
	scratch_load_b128 v[14:17], off, off offset:608
	ds_load_b128 v[6:9], v1 offset:1408
	s_waitcnt vmcnt(9) lgkmcnt(1)
	v_mul_f64 v[50:51], v[2:3], v[20:21]
	v_mul_f64 v[20:21], v[4:5], v[20:21]
	v_add_f64 v[44:45], v[44:45], v[56:57]
	v_add_f64 v[46:47], v[46:47], v[52:53]
	s_waitcnt vmcnt(8) lgkmcnt(0)
	v_mul_f64 v[52:53], v[6:7], v[24:25]
	;; [unrolled: 18-line block ×4, first 2 shown]
	v_mul_f64 v[56:57], v[8:9], v[185:186]
	v_fma_f64 v[52:53], v[4:5], v[34:35], v[52:53]
	v_fma_f64 v[58:59], v[2:3], v[34:35], -v[36:37]
	ds_load_b128 v[2:5], v1 offset:1488
	scratch_load_b128 v[34:37], off, off offset:688
	v_add_f64 v[44:45], v[44:45], v[54:55]
	v_add_f64 v[46:47], v[46:47], v[50:51]
	v_fma_f64 v[48:49], v[8:9], v[183:184], v[48:49]
	v_fma_f64 v[54:55], v[6:7], v[183:184], -v[56:57]
	scratch_load_b128 v[183:186], off, off offset:704
	ds_load_b128 v[6:9], v1 offset:1504
	s_waitcnt vmcnt(9) lgkmcnt(1)
	v_mul_f64 v[50:51], v[2:3], v[40:41]
	v_mul_f64 v[40:41], v[4:5], v[40:41]
	s_waitcnt vmcnt(8) lgkmcnt(0)
	v_mul_f64 v[56:57], v[8:9], v[181:182]
	v_add_f64 v[44:45], v[44:45], v[58:59]
	v_add_f64 v[46:47], v[46:47], v[52:53]
	v_mul_f64 v[52:53], v[6:7], v[181:182]
	v_fma_f64 v[50:51], v[4:5], v[38:39], v[50:51]
	v_fma_f64 v[58:59], v[2:3], v[38:39], -v[40:41]
	ds_load_b128 v[2:5], v1 offset:1520
	scratch_load_b128 v[38:41], off, off offset:720
	v_add_f64 v[44:45], v[44:45], v[54:55]
	v_add_f64 v[46:47], v[46:47], v[48:49]
	v_fma_f64 v[52:53], v[8:9], v[179:180], v[52:53]
	v_fma_f64 v[54:55], v[6:7], v[179:180], -v[56:57]
	scratch_load_b128 v[179:182], off, off offset:736
	ds_load_b128 v[6:9], v1 offset:1536
	s_waitcnt vmcnt(9) lgkmcnt(1)
	v_mul_f64 v[48:49], v[2:3], v[12:13]
	v_mul_f64 v[12:13], v[4:5], v[12:13]
	v_add_f64 v[44:45], v[44:45], v[58:59]
	v_add_f64 v[46:47], v[46:47], v[50:51]
	s_waitcnt vmcnt(8) lgkmcnt(0)
	v_mul_f64 v[50:51], v[6:7], v[16:17]
	v_mul_f64 v[16:17], v[8:9], v[16:17]
	v_fma_f64 v[48:49], v[4:5], v[10:11], v[48:49]
	v_fma_f64 v[56:57], v[2:3], v[10:11], -v[12:13]
	ds_load_b128 v[2:5], v1 offset:1552
	scratch_load_b128 v[10:13], off, off offset:752
	v_add_f64 v[44:45], v[44:45], v[54:55]
	v_add_f64 v[46:47], v[46:47], v[52:53]
	v_fma_f64 v[50:51], v[8:9], v[14:15], v[50:51]
	v_fma_f64 v[54:55], v[6:7], v[14:15], -v[16:17]
	scratch_load_b128 v[14:17], off, off offset:768
	ds_load_b128 v[6:9], v1 offset:1568
	s_waitcnt vmcnt(9) lgkmcnt(1)
	v_mul_f64 v[52:53], v[2:3], v[20:21]
	v_mul_f64 v[20:21], v[4:5], v[20:21]
	v_add_f64 v[44:45], v[44:45], v[56:57]
	v_add_f64 v[46:47], v[46:47], v[48:49]
	s_waitcnt vmcnt(8) lgkmcnt(0)
	v_mul_f64 v[48:49], v[6:7], v[24:25]
	;; [unrolled: 18-line block ×3, first 2 shown]
	v_mul_f64 v[32:33], v[8:9], v[32:33]
	v_fma_f64 v[50:51], v[4:5], v[26:27], v[50:51]
	v_fma_f64 v[56:57], v[2:3], v[26:27], -v[28:29]
	ds_load_b128 v[2:5], v1 offset:1616
	scratch_load_b128 v[26:29], off, off offset:816
	v_add_f64 v[44:45], v[44:45], v[54:55]
	v_add_f64 v[46:47], v[46:47], v[48:49]
	v_fma_f64 v[52:53], v[8:9], v[30:31], v[52:53]
	v_fma_f64 v[54:55], v[6:7], v[30:31], -v[32:33]
	ds_load_b128 v[6:9], v1 offset:1632
	s_waitcnt vmcnt(8) lgkmcnt(1)
	v_mul_f64 v[48:49], v[2:3], v[36:37]
	v_mul_f64 v[36:37], v[4:5], v[36:37]
	scratch_load_b128 v[30:33], off, off offset:832
	v_add_f64 v[44:45], v[44:45], v[56:57]
	v_add_f64 v[46:47], v[46:47], v[50:51]
	s_waitcnt vmcnt(8) lgkmcnt(0)
	v_mul_f64 v[50:51], v[6:7], v[185:186]
	v_mul_f64 v[56:57], v[8:9], v[185:186]
	v_fma_f64 v[48:49], v[4:5], v[34:35], v[48:49]
	v_fma_f64 v[58:59], v[2:3], v[34:35], -v[36:37]
	scratch_load_b128 v[34:37], off, off offset:848
	ds_load_b128 v[2:5], v1 offset:1648
	v_add_f64 v[44:45], v[44:45], v[54:55]
	v_add_f64 v[46:47], v[46:47], v[52:53]
	v_fma_f64 v[50:51], v[8:9], v[183:184], v[50:51]
	v_fma_f64 v[54:55], v[6:7], v[183:184], -v[56:57]
	ds_load_b128 v[6:9], v1 offset:1664
	s_waitcnt vmcnt(8) lgkmcnt(1)
	v_mul_f64 v[52:53], v[2:3], v[40:41]
	v_mul_f64 v[40:41], v[4:5], v[40:41]
	scratch_load_b128 v[183:186], off, off offset:864
	s_waitcnt vmcnt(8) lgkmcnt(0)
	v_mul_f64 v[56:57], v[8:9], v[181:182]
	v_add_f64 v[44:45], v[44:45], v[58:59]
	v_add_f64 v[46:47], v[46:47], v[48:49]
	v_mul_f64 v[48:49], v[6:7], v[181:182]
	v_fma_f64 v[52:53], v[4:5], v[38:39], v[52:53]
	v_fma_f64 v[58:59], v[2:3], v[38:39], -v[40:41]
	scratch_load_b128 v[38:41], off, off offset:880
	ds_load_b128 v[2:5], v1 offset:1680
	v_add_f64 v[44:45], v[44:45], v[54:55]
	v_add_f64 v[46:47], v[46:47], v[50:51]
	v_fma_f64 v[48:49], v[8:9], v[179:180], v[48:49]
	v_fma_f64 v[54:55], v[6:7], v[179:180], -v[56:57]
	ds_load_b128 v[6:9], v1 offset:1696
	s_waitcnt vmcnt(8) lgkmcnt(1)
	v_mul_f64 v[50:51], v[2:3], v[12:13]
	v_mul_f64 v[12:13], v[4:5], v[12:13]
	scratch_load_b128 v[179:182], off, off offset:896
	v_add_f64 v[44:45], v[44:45], v[58:59]
	v_add_f64 v[46:47], v[46:47], v[52:53]
	s_waitcnt vmcnt(8) lgkmcnt(0)
	v_mul_f64 v[52:53], v[6:7], v[16:17]
	v_mul_f64 v[16:17], v[8:9], v[16:17]
	v_fma_f64 v[50:51], v[4:5], v[10:11], v[50:51]
	v_fma_f64 v[56:57], v[2:3], v[10:11], -v[12:13]
	scratch_load_b128 v[10:13], off, off offset:912
	ds_load_b128 v[2:5], v1 offset:1712
	v_add_f64 v[44:45], v[44:45], v[54:55]
	v_add_f64 v[46:47], v[46:47], v[48:49]
	v_fma_f64 v[52:53], v[8:9], v[14:15], v[52:53]
	v_fma_f64 v[14:15], v[6:7], v[14:15], -v[16:17]
	ds_load_b128 v[6:9], v1 offset:1728
	s_waitcnt vmcnt(8) lgkmcnt(1)
	v_mul_f64 v[48:49], v[2:3], v[20:21]
	v_mul_f64 v[20:21], v[4:5], v[20:21]
	v_add_f64 v[16:17], v[44:45], v[56:57]
	v_add_f64 v[44:45], v[46:47], v[50:51]
	s_waitcnt vmcnt(7) lgkmcnt(0)
	v_mul_f64 v[46:47], v[6:7], v[24:25]
	v_mul_f64 v[24:25], v[8:9], v[24:25]
	v_fma_f64 v[48:49], v[4:5], v[18:19], v[48:49]
	v_fma_f64 v[18:19], v[2:3], v[18:19], -v[20:21]
	ds_load_b128 v[2:5], v1 offset:1744
	v_add_f64 v[14:15], v[16:17], v[14:15]
	v_add_f64 v[16:17], v[44:45], v[52:53]
	v_fma_f64 v[44:45], v[8:9], v[22:23], v[46:47]
	v_fma_f64 v[22:23], v[6:7], v[22:23], -v[24:25]
	ds_load_b128 v[6:9], v1 offset:1760
	s_waitcnt vmcnt(5) lgkmcnt(0)
	v_mul_f64 v[46:47], v[6:7], v[32:33]
	v_mul_f64 v[32:33], v[8:9], v[32:33]
	v_add_f64 v[18:19], v[14:15], v[18:19]
	v_add_f64 v[24:25], v[16:17], v[48:49]
	scratch_load_b128 v[14:17], off, off offset:224
	v_mul_f64 v[20:21], v[2:3], v[28:29]
	v_mul_f64 v[28:29], v[4:5], v[28:29]
	v_add_f64 v[18:19], v[18:19], v[22:23]
	v_add_f64 v[22:23], v[24:25], v[44:45]
	s_delay_alu instid0(VALU_DEP_4) | instskip(NEXT) | instid1(VALU_DEP_4)
	v_fma_f64 v[20:21], v[4:5], v[26:27], v[20:21]
	v_fma_f64 v[26:27], v[2:3], v[26:27], -v[28:29]
	ds_load_b128 v[2:5], v1 offset:1776
	s_waitcnt vmcnt(5) lgkmcnt(0)
	v_mul_f64 v[24:25], v[2:3], v[36:37]
	v_mul_f64 v[28:29], v[4:5], v[36:37]
	v_fma_f64 v[36:37], v[8:9], v[30:31], v[46:47]
	v_fma_f64 v[30:31], v[6:7], v[30:31], -v[32:33]
	ds_load_b128 v[6:9], v1 offset:1792
	v_add_f64 v[20:21], v[22:23], v[20:21]
	v_add_f64 v[18:19], v[18:19], v[26:27]
	v_fma_f64 v[24:25], v[4:5], v[34:35], v[24:25]
	v_fma_f64 v[28:29], v[2:3], v[34:35], -v[28:29]
	ds_load_b128 v[2:5], v1 offset:1808
	s_waitcnt vmcnt(4) lgkmcnt(1)
	v_mul_f64 v[22:23], v[6:7], v[185:186]
	v_mul_f64 v[26:27], v[8:9], v[185:186]
	v_add_f64 v[20:21], v[20:21], v[36:37]
	v_add_f64 v[18:19], v[18:19], v[30:31]
	s_waitcnt vmcnt(3) lgkmcnt(0)
	v_mul_f64 v[30:31], v[2:3], v[40:41]
	v_mul_f64 v[32:33], v[4:5], v[40:41]
	v_fma_f64 v[22:23], v[8:9], v[183:184], v[22:23]
	v_fma_f64 v[26:27], v[6:7], v[183:184], -v[26:27]
	ds_load_b128 v[6:9], v1 offset:1824
	v_add_f64 v[20:21], v[20:21], v[24:25]
	v_add_f64 v[18:19], v[18:19], v[28:29]
	v_fma_f64 v[30:31], v[4:5], v[38:39], v[30:31]
	v_fma_f64 v[32:33], v[2:3], v[38:39], -v[32:33]
	ds_load_b128 v[2:5], v1 offset:1840
	s_waitcnt vmcnt(2) lgkmcnt(1)
	v_mul_f64 v[24:25], v[6:7], v[181:182]
	v_mul_f64 v[28:29], v[8:9], v[181:182]
	v_add_f64 v[20:21], v[20:21], v[22:23]
	v_add_f64 v[18:19], v[18:19], v[26:27]
	s_waitcnt vmcnt(1) lgkmcnt(0)
	v_mul_f64 v[22:23], v[2:3], v[12:13]
	v_mul_f64 v[12:13], v[4:5], v[12:13]
	v_fma_f64 v[8:9], v[8:9], v[179:180], v[24:25]
	v_fma_f64 v[6:7], v[6:7], v[179:180], -v[28:29]
	v_add_f64 v[20:21], v[20:21], v[30:31]
	v_add_f64 v[18:19], v[18:19], v[32:33]
	v_fma_f64 v[4:5], v[4:5], v[10:11], v[22:23]
	v_fma_f64 v[2:3], v[2:3], v[10:11], -v[12:13]
	s_delay_alu instid0(VALU_DEP_4) | instskip(NEXT) | instid1(VALU_DEP_4)
	v_add_f64 v[8:9], v[20:21], v[8:9]
	v_add_f64 v[6:7], v[18:19], v[6:7]
	s_delay_alu instid0(VALU_DEP_2) | instskip(NEXT) | instid1(VALU_DEP_2)
	v_add_f64 v[4:5], v[8:9], v[4:5]
	v_add_f64 v[2:3], v[6:7], v[2:3]
	s_waitcnt vmcnt(0)
	s_delay_alu instid0(VALU_DEP_2) | instskip(NEXT) | instid1(VALU_DEP_2)
	v_add_f64 v[4:5], v[16:17], -v[4:5]
	v_add_f64 v[2:3], v[14:15], -v[2:3]
	scratch_store_b128 off, v[2:5], off offset:224
	v_cmpx_lt_u32_e32 13, v158
	s_cbranch_execz .LBB57_335
; %bb.334:
	scratch_load_b128 v[5:8], v203, off
	v_mov_b32_e32 v2, v1
	v_mov_b32_e32 v3, v1
	;; [unrolled: 1-line block ×3, first 2 shown]
	scratch_store_b128 off, v[1:4], off offset:208
	s_waitcnt vmcnt(0)
	ds_store_b128 v216, v[5:8]
.LBB57_335:
	s_or_b32 exec_lo, exec_lo, s2
	s_waitcnt lgkmcnt(0)
	s_waitcnt_vscnt null, 0x0
	s_barrier
	buffer_gl0_inv
	s_clause 0x7
	scratch_load_b128 v[2:5], off, off offset:224
	scratch_load_b128 v[6:9], off, off offset:240
	;; [unrolled: 1-line block ×8, first 2 shown]
	ds_load_b128 v[38:41], v1 offset:1152
	ds_load_b128 v[179:182], v1 offset:1168
	s_clause 0x1
	scratch_load_b128 v[34:37], off, off offset:352
	scratch_load_b128 v[183:186], off, off offset:368
	s_mov_b32 s2, exec_lo
	s_waitcnt vmcnt(9) lgkmcnt(1)
	v_mul_f64 v[44:45], v[40:41], v[4:5]
	v_mul_f64 v[4:5], v[38:39], v[4:5]
	s_waitcnt vmcnt(8) lgkmcnt(0)
	v_mul_f64 v[46:47], v[179:180], v[8:9]
	v_mul_f64 v[8:9], v[181:182], v[8:9]
	s_delay_alu instid0(VALU_DEP_4) | instskip(NEXT) | instid1(VALU_DEP_4)
	v_fma_f64 v[44:45], v[38:39], v[2:3], -v[44:45]
	v_fma_f64 v[48:49], v[40:41], v[2:3], v[4:5]
	ds_load_b128 v[2:5], v1 offset:1184
	scratch_load_b128 v[38:41], off, off offset:384
	v_fma_f64 v[46:47], v[181:182], v[6:7], v[46:47]
	v_fma_f64 v[52:53], v[179:180], v[6:7], -v[8:9]
	scratch_load_b128 v[179:182], off, off offset:400
	ds_load_b128 v[6:9], v1 offset:1200
	s_waitcnt vmcnt(9) lgkmcnt(1)
	v_mul_f64 v[50:51], v[2:3], v[12:13]
	v_mul_f64 v[12:13], v[4:5], v[12:13]
	s_waitcnt vmcnt(8) lgkmcnt(0)
	v_mul_f64 v[54:55], v[6:7], v[16:17]
	v_mul_f64 v[16:17], v[8:9], v[16:17]
	v_add_f64 v[44:45], v[44:45], 0
	v_add_f64 v[48:49], v[48:49], 0
	v_fma_f64 v[50:51], v[4:5], v[10:11], v[50:51]
	v_fma_f64 v[56:57], v[2:3], v[10:11], -v[12:13]
	ds_load_b128 v[2:5], v1 offset:1216
	scratch_load_b128 v[10:13], off, off offset:416
	v_add_f64 v[44:45], v[44:45], v[52:53]
	v_add_f64 v[46:47], v[48:49], v[46:47]
	v_fma_f64 v[52:53], v[8:9], v[14:15], v[54:55]
	v_fma_f64 v[54:55], v[6:7], v[14:15], -v[16:17]
	scratch_load_b128 v[14:17], off, off offset:432
	ds_load_b128 v[6:9], v1 offset:1232
	s_waitcnt vmcnt(9) lgkmcnt(1)
	v_mul_f64 v[48:49], v[2:3], v[20:21]
	v_mul_f64 v[20:21], v[4:5], v[20:21]
	v_add_f64 v[44:45], v[44:45], v[56:57]
	v_add_f64 v[46:47], v[46:47], v[50:51]
	s_waitcnt vmcnt(8) lgkmcnt(0)
	v_mul_f64 v[50:51], v[6:7], v[24:25]
	v_mul_f64 v[24:25], v[8:9], v[24:25]
	v_fma_f64 v[48:49], v[4:5], v[18:19], v[48:49]
	v_fma_f64 v[56:57], v[2:3], v[18:19], -v[20:21]
	ds_load_b128 v[2:5], v1 offset:1248
	scratch_load_b128 v[18:21], off, off offset:448
	v_add_f64 v[44:45], v[44:45], v[54:55]
	v_add_f64 v[46:47], v[46:47], v[52:53]
	v_fma_f64 v[50:51], v[8:9], v[22:23], v[50:51]
	v_fma_f64 v[54:55], v[6:7], v[22:23], -v[24:25]
	scratch_load_b128 v[22:25], off, off offset:464
	ds_load_b128 v[6:9], v1 offset:1264
	s_waitcnt vmcnt(9) lgkmcnt(1)
	v_mul_f64 v[52:53], v[2:3], v[28:29]
	v_mul_f64 v[28:29], v[4:5], v[28:29]
	v_add_f64 v[44:45], v[44:45], v[56:57]
	v_add_f64 v[46:47], v[46:47], v[48:49]
	s_waitcnt vmcnt(8) lgkmcnt(0)
	v_mul_f64 v[48:49], v[6:7], v[32:33]
	v_mul_f64 v[32:33], v[8:9], v[32:33]
	;; [unrolled: 18-line block ×3, first 2 shown]
	v_fma_f64 v[50:51], v[4:5], v[34:35], v[50:51]
	v_fma_f64 v[58:59], v[2:3], v[34:35], -v[36:37]
	ds_load_b128 v[2:5], v1 offset:1312
	scratch_load_b128 v[34:37], off, off offset:512
	v_add_f64 v[44:45], v[44:45], v[54:55]
	v_add_f64 v[46:47], v[46:47], v[48:49]
	v_fma_f64 v[52:53], v[8:9], v[183:184], v[52:53]
	v_fma_f64 v[54:55], v[6:7], v[183:184], -v[56:57]
	scratch_load_b128 v[183:186], off, off offset:528
	ds_load_b128 v[6:9], v1 offset:1328
	s_waitcnt vmcnt(9) lgkmcnt(1)
	v_mul_f64 v[48:49], v[2:3], v[40:41]
	v_mul_f64 v[40:41], v[4:5], v[40:41]
	s_waitcnt vmcnt(8) lgkmcnt(0)
	v_mul_f64 v[56:57], v[8:9], v[181:182]
	v_add_f64 v[44:45], v[44:45], v[58:59]
	v_add_f64 v[46:47], v[46:47], v[50:51]
	v_mul_f64 v[50:51], v[6:7], v[181:182]
	v_fma_f64 v[48:49], v[4:5], v[38:39], v[48:49]
	v_fma_f64 v[58:59], v[2:3], v[38:39], -v[40:41]
	ds_load_b128 v[2:5], v1 offset:1344
	scratch_load_b128 v[38:41], off, off offset:544
	v_add_f64 v[44:45], v[44:45], v[54:55]
	v_add_f64 v[46:47], v[46:47], v[52:53]
	v_fma_f64 v[50:51], v[8:9], v[179:180], v[50:51]
	v_fma_f64 v[54:55], v[6:7], v[179:180], -v[56:57]
	scratch_load_b128 v[179:182], off, off offset:560
	ds_load_b128 v[6:9], v1 offset:1360
	s_waitcnt vmcnt(9) lgkmcnt(1)
	v_mul_f64 v[52:53], v[2:3], v[12:13]
	v_mul_f64 v[12:13], v[4:5], v[12:13]
	v_add_f64 v[44:45], v[44:45], v[58:59]
	v_add_f64 v[46:47], v[46:47], v[48:49]
	s_waitcnt vmcnt(8) lgkmcnt(0)
	v_mul_f64 v[48:49], v[6:7], v[16:17]
	v_mul_f64 v[16:17], v[8:9], v[16:17]
	v_fma_f64 v[52:53], v[4:5], v[10:11], v[52:53]
	v_fma_f64 v[56:57], v[2:3], v[10:11], -v[12:13]
	ds_load_b128 v[2:5], v1 offset:1376
	scratch_load_b128 v[10:13], off, off offset:576
	v_add_f64 v[44:45], v[44:45], v[54:55]
	v_add_f64 v[46:47], v[46:47], v[50:51]
	v_fma_f64 v[48:49], v[8:9], v[14:15], v[48:49]
	v_fma_f64 v[54:55], v[6:7], v[14:15], -v[16:17]
	scratch_load_b128 v[14:17], off, off offset:592
	ds_load_b128 v[6:9], v1 offset:1392
	s_waitcnt vmcnt(9) lgkmcnt(1)
	v_mul_f64 v[50:51], v[2:3], v[20:21]
	v_mul_f64 v[20:21], v[4:5], v[20:21]
	v_add_f64 v[44:45], v[44:45], v[56:57]
	v_add_f64 v[46:47], v[46:47], v[52:53]
	s_waitcnt vmcnt(8) lgkmcnt(0)
	v_mul_f64 v[52:53], v[6:7], v[24:25]
	;; [unrolled: 18-line block ×4, first 2 shown]
	v_mul_f64 v[56:57], v[8:9], v[185:186]
	v_fma_f64 v[52:53], v[4:5], v[34:35], v[52:53]
	v_fma_f64 v[58:59], v[2:3], v[34:35], -v[36:37]
	ds_load_b128 v[2:5], v1 offset:1472
	scratch_load_b128 v[34:37], off, off offset:672
	v_add_f64 v[44:45], v[44:45], v[54:55]
	v_add_f64 v[46:47], v[46:47], v[50:51]
	v_fma_f64 v[48:49], v[8:9], v[183:184], v[48:49]
	v_fma_f64 v[54:55], v[6:7], v[183:184], -v[56:57]
	scratch_load_b128 v[183:186], off, off offset:688
	ds_load_b128 v[6:9], v1 offset:1488
	s_waitcnt vmcnt(9) lgkmcnt(1)
	v_mul_f64 v[50:51], v[2:3], v[40:41]
	v_mul_f64 v[40:41], v[4:5], v[40:41]
	s_waitcnt vmcnt(8) lgkmcnt(0)
	v_mul_f64 v[56:57], v[8:9], v[181:182]
	v_add_f64 v[44:45], v[44:45], v[58:59]
	v_add_f64 v[46:47], v[46:47], v[52:53]
	v_mul_f64 v[52:53], v[6:7], v[181:182]
	v_fma_f64 v[50:51], v[4:5], v[38:39], v[50:51]
	v_fma_f64 v[58:59], v[2:3], v[38:39], -v[40:41]
	ds_load_b128 v[2:5], v1 offset:1504
	scratch_load_b128 v[38:41], off, off offset:704
	v_add_f64 v[44:45], v[44:45], v[54:55]
	v_add_f64 v[46:47], v[46:47], v[48:49]
	v_fma_f64 v[52:53], v[8:9], v[179:180], v[52:53]
	v_fma_f64 v[54:55], v[6:7], v[179:180], -v[56:57]
	scratch_load_b128 v[179:182], off, off offset:720
	ds_load_b128 v[6:9], v1 offset:1520
	s_waitcnt vmcnt(9) lgkmcnt(1)
	v_mul_f64 v[48:49], v[2:3], v[12:13]
	v_mul_f64 v[12:13], v[4:5], v[12:13]
	v_add_f64 v[44:45], v[44:45], v[58:59]
	v_add_f64 v[46:47], v[46:47], v[50:51]
	s_waitcnt vmcnt(8) lgkmcnt(0)
	v_mul_f64 v[50:51], v[6:7], v[16:17]
	v_mul_f64 v[16:17], v[8:9], v[16:17]
	v_fma_f64 v[48:49], v[4:5], v[10:11], v[48:49]
	v_fma_f64 v[56:57], v[2:3], v[10:11], -v[12:13]
	ds_load_b128 v[2:5], v1 offset:1536
	scratch_load_b128 v[10:13], off, off offset:736
	v_add_f64 v[44:45], v[44:45], v[54:55]
	v_add_f64 v[46:47], v[46:47], v[52:53]
	v_fma_f64 v[50:51], v[8:9], v[14:15], v[50:51]
	v_fma_f64 v[54:55], v[6:7], v[14:15], -v[16:17]
	scratch_load_b128 v[14:17], off, off offset:752
	ds_load_b128 v[6:9], v1 offset:1552
	s_waitcnt vmcnt(9) lgkmcnt(1)
	v_mul_f64 v[52:53], v[2:3], v[20:21]
	v_mul_f64 v[20:21], v[4:5], v[20:21]
	v_add_f64 v[44:45], v[44:45], v[56:57]
	v_add_f64 v[46:47], v[46:47], v[48:49]
	s_waitcnt vmcnt(8) lgkmcnt(0)
	v_mul_f64 v[48:49], v[6:7], v[24:25]
	v_mul_f64 v[24:25], v[8:9], v[24:25]
	v_fma_f64 v[52:53], v[4:5], v[18:19], v[52:53]
	v_fma_f64 v[56:57], v[2:3], v[18:19], -v[20:21]
	ds_load_b128 v[2:5], v1 offset:1568
	scratch_load_b128 v[18:21], off, off offset:768
	v_add_f64 v[44:45], v[44:45], v[54:55]
	v_add_f64 v[46:47], v[46:47], v[50:51]
	v_fma_f64 v[48:49], v[8:9], v[22:23], v[48:49]
	v_fma_f64 v[54:55], v[6:7], v[22:23], -v[24:25]
	scratch_load_b128 v[22:25], off, off offset:784
	ds_load_b128 v[6:9], v1 offset:1584
	s_waitcnt vmcnt(9) lgkmcnt(1)
	v_mul_f64 v[50:51], v[2:3], v[28:29]
	v_mul_f64 v[28:29], v[4:5], v[28:29]
	v_add_f64 v[44:45], v[44:45], v[56:57]
	v_add_f64 v[46:47], v[46:47], v[52:53]
	s_waitcnt vmcnt(8) lgkmcnt(0)
	v_mul_f64 v[52:53], v[6:7], v[32:33]
	v_mul_f64 v[32:33], v[8:9], v[32:33]
	v_fma_f64 v[50:51], v[4:5], v[26:27], v[50:51]
	v_fma_f64 v[56:57], v[2:3], v[26:27], -v[28:29]
	ds_load_b128 v[2:5], v1 offset:1600
	scratch_load_b128 v[26:29], off, off offset:800
	v_add_f64 v[44:45], v[44:45], v[54:55]
	v_add_f64 v[46:47], v[46:47], v[48:49]
	v_fma_f64 v[52:53], v[8:9], v[30:31], v[52:53]
	v_fma_f64 v[54:55], v[6:7], v[30:31], -v[32:33]
	ds_load_b128 v[6:9], v1 offset:1616
	s_waitcnt vmcnt(8) lgkmcnt(1)
	v_mul_f64 v[48:49], v[2:3], v[36:37]
	v_mul_f64 v[36:37], v[4:5], v[36:37]
	scratch_load_b128 v[30:33], off, off offset:816
	v_add_f64 v[44:45], v[44:45], v[56:57]
	v_add_f64 v[46:47], v[46:47], v[50:51]
	s_waitcnt vmcnt(8) lgkmcnt(0)
	v_mul_f64 v[50:51], v[6:7], v[185:186]
	v_mul_f64 v[56:57], v[8:9], v[185:186]
	v_fma_f64 v[48:49], v[4:5], v[34:35], v[48:49]
	v_fma_f64 v[58:59], v[2:3], v[34:35], -v[36:37]
	ds_load_b128 v[2:5], v1 offset:1632
	scratch_load_b128 v[34:37], off, off offset:832
	v_add_f64 v[44:45], v[44:45], v[54:55]
	v_add_f64 v[46:47], v[46:47], v[52:53]
	v_fma_f64 v[50:51], v[8:9], v[183:184], v[50:51]
	v_fma_f64 v[54:55], v[6:7], v[183:184], -v[56:57]
	ds_load_b128 v[6:9], v1 offset:1648
	s_waitcnt vmcnt(8) lgkmcnt(1)
	v_mul_f64 v[52:53], v[2:3], v[40:41]
	v_mul_f64 v[40:41], v[4:5], v[40:41]
	scratch_load_b128 v[183:186], off, off offset:848
	s_waitcnt vmcnt(8) lgkmcnt(0)
	v_mul_f64 v[56:57], v[8:9], v[181:182]
	v_add_f64 v[44:45], v[44:45], v[58:59]
	v_add_f64 v[46:47], v[46:47], v[48:49]
	v_mul_f64 v[48:49], v[6:7], v[181:182]
	v_fma_f64 v[52:53], v[4:5], v[38:39], v[52:53]
	v_fma_f64 v[58:59], v[2:3], v[38:39], -v[40:41]
	scratch_load_b128 v[38:41], off, off offset:864
	ds_load_b128 v[2:5], v1 offset:1664
	v_add_f64 v[44:45], v[44:45], v[54:55]
	v_add_f64 v[46:47], v[46:47], v[50:51]
	v_fma_f64 v[48:49], v[8:9], v[179:180], v[48:49]
	v_fma_f64 v[54:55], v[6:7], v[179:180], -v[56:57]
	ds_load_b128 v[6:9], v1 offset:1680
	s_waitcnt vmcnt(8) lgkmcnt(1)
	v_mul_f64 v[50:51], v[2:3], v[12:13]
	v_mul_f64 v[12:13], v[4:5], v[12:13]
	scratch_load_b128 v[179:182], off, off offset:880
	v_add_f64 v[44:45], v[44:45], v[58:59]
	v_add_f64 v[46:47], v[46:47], v[52:53]
	s_waitcnt vmcnt(8) lgkmcnt(0)
	v_mul_f64 v[52:53], v[6:7], v[16:17]
	v_mul_f64 v[16:17], v[8:9], v[16:17]
	v_fma_f64 v[50:51], v[4:5], v[10:11], v[50:51]
	v_fma_f64 v[56:57], v[2:3], v[10:11], -v[12:13]
	scratch_load_b128 v[10:13], off, off offset:896
	ds_load_b128 v[2:5], v1 offset:1696
	v_add_f64 v[44:45], v[44:45], v[54:55]
	v_add_f64 v[46:47], v[46:47], v[48:49]
	v_fma_f64 v[52:53], v[8:9], v[14:15], v[52:53]
	v_fma_f64 v[54:55], v[6:7], v[14:15], -v[16:17]
	ds_load_b128 v[6:9], v1 offset:1712
	s_waitcnt vmcnt(8) lgkmcnt(1)
	v_mul_f64 v[48:49], v[2:3], v[20:21]
	v_mul_f64 v[20:21], v[4:5], v[20:21]
	scratch_load_b128 v[14:17], off, off offset:912
	v_add_f64 v[44:45], v[44:45], v[56:57]
	v_add_f64 v[46:47], v[46:47], v[50:51]
	s_waitcnt vmcnt(8) lgkmcnt(0)
	v_mul_f64 v[50:51], v[6:7], v[24:25]
	v_mul_f64 v[24:25], v[8:9], v[24:25]
	v_fma_f64 v[48:49], v[4:5], v[18:19], v[48:49]
	v_fma_f64 v[18:19], v[2:3], v[18:19], -v[20:21]
	ds_load_b128 v[2:5], v1 offset:1728
	v_add_f64 v[20:21], v[44:45], v[54:55]
	v_add_f64 v[44:45], v[46:47], v[52:53]
	v_fma_f64 v[50:51], v[8:9], v[22:23], v[50:51]
	v_fma_f64 v[22:23], v[6:7], v[22:23], -v[24:25]
	ds_load_b128 v[6:9], v1 offset:1744
	s_waitcnt vmcnt(7) lgkmcnt(1)
	v_mul_f64 v[46:47], v[2:3], v[28:29]
	v_mul_f64 v[28:29], v[4:5], v[28:29]
	v_add_f64 v[18:19], v[20:21], v[18:19]
	v_add_f64 v[20:21], v[44:45], v[48:49]
	s_delay_alu instid0(VALU_DEP_4) | instskip(NEXT) | instid1(VALU_DEP_4)
	v_fma_f64 v[44:45], v[4:5], v[26:27], v[46:47]
	v_fma_f64 v[26:27], v[2:3], v[26:27], -v[28:29]
	ds_load_b128 v[2:5], v1 offset:1760
	v_add_f64 v[22:23], v[18:19], v[22:23]
	v_add_f64 v[28:29], v[20:21], v[50:51]
	scratch_load_b128 v[18:21], off, off offset:208
	s_waitcnt vmcnt(7) lgkmcnt(1)
	v_mul_f64 v[24:25], v[6:7], v[32:33]
	v_mul_f64 v[32:33], v[8:9], v[32:33]
	v_add_f64 v[22:23], v[22:23], v[26:27]
	v_add_f64 v[26:27], v[28:29], v[44:45]
	s_delay_alu instid0(VALU_DEP_4) | instskip(NEXT) | instid1(VALU_DEP_4)
	v_fma_f64 v[24:25], v[8:9], v[30:31], v[24:25]
	v_fma_f64 v[30:31], v[6:7], v[30:31], -v[32:33]
	ds_load_b128 v[6:9], v1 offset:1776
	s_waitcnt vmcnt(6) lgkmcnt(1)
	v_mul_f64 v[46:47], v[2:3], v[36:37]
	v_mul_f64 v[36:37], v[4:5], v[36:37]
	s_waitcnt vmcnt(5) lgkmcnt(0)
	v_mul_f64 v[28:29], v[6:7], v[185:186]
	v_mul_f64 v[32:33], v[8:9], v[185:186]
	v_add_f64 v[24:25], v[26:27], v[24:25]
	v_add_f64 v[22:23], v[22:23], v[30:31]
	v_fma_f64 v[44:45], v[4:5], v[34:35], v[46:47]
	v_fma_f64 v[34:35], v[2:3], v[34:35], -v[36:37]
	ds_load_b128 v[2:5], v1 offset:1792
	v_fma_f64 v[28:29], v[8:9], v[183:184], v[28:29]
	v_fma_f64 v[32:33], v[6:7], v[183:184], -v[32:33]
	ds_load_b128 v[6:9], v1 offset:1808
	s_waitcnt vmcnt(4) lgkmcnt(1)
	v_mul_f64 v[26:27], v[2:3], v[40:41]
	v_mul_f64 v[30:31], v[4:5], v[40:41]
	v_add_f64 v[24:25], v[24:25], v[44:45]
	v_add_f64 v[22:23], v[22:23], v[34:35]
	s_waitcnt vmcnt(3) lgkmcnt(0)
	v_mul_f64 v[34:35], v[6:7], v[181:182]
	v_mul_f64 v[36:37], v[8:9], v[181:182]
	v_fma_f64 v[26:27], v[4:5], v[38:39], v[26:27]
	v_fma_f64 v[30:31], v[2:3], v[38:39], -v[30:31]
	ds_load_b128 v[2:5], v1 offset:1824
	v_add_f64 v[24:25], v[24:25], v[28:29]
	v_add_f64 v[22:23], v[22:23], v[32:33]
	v_fma_f64 v[32:33], v[8:9], v[179:180], v[34:35]
	v_fma_f64 v[34:35], v[6:7], v[179:180], -v[36:37]
	ds_load_b128 v[6:9], v1 offset:1840
	s_waitcnt vmcnt(2) lgkmcnt(1)
	v_mul_f64 v[28:29], v[2:3], v[12:13]
	v_mul_f64 v[12:13], v[4:5], v[12:13]
	v_add_f64 v[24:25], v[24:25], v[26:27]
	v_add_f64 v[22:23], v[22:23], v[30:31]
	s_waitcnt vmcnt(1) lgkmcnt(0)
	v_mul_f64 v[26:27], v[6:7], v[16:17]
	v_mul_f64 v[16:17], v[8:9], v[16:17]
	v_fma_f64 v[4:5], v[4:5], v[10:11], v[28:29]
	v_fma_f64 v[1:2], v[2:3], v[10:11], -v[12:13]
	v_add_f64 v[12:13], v[24:25], v[32:33]
	v_add_f64 v[10:11], v[22:23], v[34:35]
	v_fma_f64 v[8:9], v[8:9], v[14:15], v[26:27]
	v_fma_f64 v[6:7], v[6:7], v[14:15], -v[16:17]
	s_delay_alu instid0(VALU_DEP_4) | instskip(NEXT) | instid1(VALU_DEP_4)
	v_add_f64 v[3:4], v[12:13], v[4:5]
	v_add_f64 v[1:2], v[10:11], v[1:2]
	s_delay_alu instid0(VALU_DEP_2) | instskip(NEXT) | instid1(VALU_DEP_2)
	v_add_f64 v[3:4], v[3:4], v[8:9]
	v_add_f64 v[1:2], v[1:2], v[6:7]
	s_waitcnt vmcnt(0)
	s_delay_alu instid0(VALU_DEP_2) | instskip(NEXT) | instid1(VALU_DEP_2)
	v_add_f64 v[3:4], v[20:21], -v[3:4]
	v_add_f64 v[1:2], v[18:19], -v[1:2]
	scratch_store_b128 off, v[1:4], off offset:208
	v_cmpx_lt_u32_e32 12, v158
	s_cbranch_execz .LBB57_337
; %bb.336:
	scratch_load_b128 v[1:4], v204, off
	v_mov_b32_e32 v5, 0
	s_delay_alu instid0(VALU_DEP_1)
	v_mov_b32_e32 v6, v5
	v_mov_b32_e32 v7, v5
	;; [unrolled: 1-line block ×3, first 2 shown]
	scratch_store_b128 off, v[5:8], off offset:192
	s_waitcnt vmcnt(0)
	ds_store_b128 v216, v[1:4]
.LBB57_337:
	s_or_b32 exec_lo, exec_lo, s2
	s_waitcnt lgkmcnt(0)
	s_waitcnt_vscnt null, 0x0
	s_barrier
	buffer_gl0_inv
	s_clause 0x7
	scratch_load_b128 v[2:5], off, off offset:208
	scratch_load_b128 v[6:9], off, off offset:224
	;; [unrolled: 1-line block ×8, first 2 shown]
	v_mov_b32_e32 v1, 0
	s_clause 0x1
	scratch_load_b128 v[34:37], off, off offset:336
	scratch_load_b128 v[183:186], off, off offset:352
	s_mov_b32 s2, exec_lo
	ds_load_b128 v[38:41], v1 offset:1136
	ds_load_b128 v[179:182], v1 offset:1152
	s_waitcnt vmcnt(9) lgkmcnt(1)
	v_mul_f64 v[44:45], v[40:41], v[4:5]
	v_mul_f64 v[4:5], v[38:39], v[4:5]
	s_waitcnt vmcnt(8) lgkmcnt(0)
	v_mul_f64 v[46:47], v[179:180], v[8:9]
	v_mul_f64 v[8:9], v[181:182], v[8:9]
	s_delay_alu instid0(VALU_DEP_4) | instskip(NEXT) | instid1(VALU_DEP_4)
	v_fma_f64 v[44:45], v[38:39], v[2:3], -v[44:45]
	v_fma_f64 v[48:49], v[40:41], v[2:3], v[4:5]
	ds_load_b128 v[2:5], v1 offset:1168
	scratch_load_b128 v[38:41], off, off offset:368
	v_fma_f64 v[46:47], v[181:182], v[6:7], v[46:47]
	v_fma_f64 v[52:53], v[179:180], v[6:7], -v[8:9]
	scratch_load_b128 v[179:182], off, off offset:384
	ds_load_b128 v[6:9], v1 offset:1184
	s_waitcnt vmcnt(9) lgkmcnt(1)
	v_mul_f64 v[50:51], v[2:3], v[12:13]
	v_mul_f64 v[12:13], v[4:5], v[12:13]
	s_waitcnt vmcnt(8) lgkmcnt(0)
	v_mul_f64 v[54:55], v[6:7], v[16:17]
	v_mul_f64 v[16:17], v[8:9], v[16:17]
	v_add_f64 v[44:45], v[44:45], 0
	v_add_f64 v[48:49], v[48:49], 0
	v_fma_f64 v[50:51], v[4:5], v[10:11], v[50:51]
	v_fma_f64 v[56:57], v[2:3], v[10:11], -v[12:13]
	ds_load_b128 v[2:5], v1 offset:1200
	scratch_load_b128 v[10:13], off, off offset:400
	v_add_f64 v[44:45], v[44:45], v[52:53]
	v_add_f64 v[46:47], v[48:49], v[46:47]
	v_fma_f64 v[52:53], v[8:9], v[14:15], v[54:55]
	v_fma_f64 v[54:55], v[6:7], v[14:15], -v[16:17]
	scratch_load_b128 v[14:17], off, off offset:416
	ds_load_b128 v[6:9], v1 offset:1216
	s_waitcnt vmcnt(9) lgkmcnt(1)
	v_mul_f64 v[48:49], v[2:3], v[20:21]
	v_mul_f64 v[20:21], v[4:5], v[20:21]
	v_add_f64 v[44:45], v[44:45], v[56:57]
	v_add_f64 v[46:47], v[46:47], v[50:51]
	s_waitcnt vmcnt(8) lgkmcnt(0)
	v_mul_f64 v[50:51], v[6:7], v[24:25]
	v_mul_f64 v[24:25], v[8:9], v[24:25]
	v_fma_f64 v[48:49], v[4:5], v[18:19], v[48:49]
	v_fma_f64 v[56:57], v[2:3], v[18:19], -v[20:21]
	ds_load_b128 v[2:5], v1 offset:1232
	scratch_load_b128 v[18:21], off, off offset:432
	v_add_f64 v[44:45], v[44:45], v[54:55]
	v_add_f64 v[46:47], v[46:47], v[52:53]
	v_fma_f64 v[50:51], v[8:9], v[22:23], v[50:51]
	v_fma_f64 v[54:55], v[6:7], v[22:23], -v[24:25]
	scratch_load_b128 v[22:25], off, off offset:448
	ds_load_b128 v[6:9], v1 offset:1248
	s_waitcnt vmcnt(9) lgkmcnt(1)
	v_mul_f64 v[52:53], v[2:3], v[28:29]
	v_mul_f64 v[28:29], v[4:5], v[28:29]
	v_add_f64 v[44:45], v[44:45], v[56:57]
	v_add_f64 v[46:47], v[46:47], v[48:49]
	s_waitcnt vmcnt(8) lgkmcnt(0)
	v_mul_f64 v[48:49], v[6:7], v[32:33]
	v_mul_f64 v[32:33], v[8:9], v[32:33]
	;; [unrolled: 18-line block ×3, first 2 shown]
	v_fma_f64 v[50:51], v[4:5], v[34:35], v[50:51]
	v_fma_f64 v[58:59], v[2:3], v[34:35], -v[36:37]
	ds_load_b128 v[2:5], v1 offset:1296
	scratch_load_b128 v[34:37], off, off offset:496
	v_add_f64 v[44:45], v[44:45], v[54:55]
	v_add_f64 v[46:47], v[46:47], v[48:49]
	v_fma_f64 v[52:53], v[8:9], v[183:184], v[52:53]
	v_fma_f64 v[54:55], v[6:7], v[183:184], -v[56:57]
	scratch_load_b128 v[183:186], off, off offset:512
	ds_load_b128 v[6:9], v1 offset:1312
	s_waitcnt vmcnt(9) lgkmcnt(1)
	v_mul_f64 v[48:49], v[2:3], v[40:41]
	v_mul_f64 v[40:41], v[4:5], v[40:41]
	s_waitcnt vmcnt(8) lgkmcnt(0)
	v_mul_f64 v[56:57], v[8:9], v[181:182]
	v_add_f64 v[44:45], v[44:45], v[58:59]
	v_add_f64 v[46:47], v[46:47], v[50:51]
	v_mul_f64 v[50:51], v[6:7], v[181:182]
	v_fma_f64 v[48:49], v[4:5], v[38:39], v[48:49]
	v_fma_f64 v[58:59], v[2:3], v[38:39], -v[40:41]
	ds_load_b128 v[2:5], v1 offset:1328
	scratch_load_b128 v[38:41], off, off offset:528
	v_add_f64 v[44:45], v[44:45], v[54:55]
	v_add_f64 v[46:47], v[46:47], v[52:53]
	v_fma_f64 v[50:51], v[8:9], v[179:180], v[50:51]
	v_fma_f64 v[54:55], v[6:7], v[179:180], -v[56:57]
	scratch_load_b128 v[179:182], off, off offset:544
	ds_load_b128 v[6:9], v1 offset:1344
	s_waitcnt vmcnt(9) lgkmcnt(1)
	v_mul_f64 v[52:53], v[2:3], v[12:13]
	v_mul_f64 v[12:13], v[4:5], v[12:13]
	v_add_f64 v[44:45], v[44:45], v[58:59]
	v_add_f64 v[46:47], v[46:47], v[48:49]
	s_waitcnt vmcnt(8) lgkmcnt(0)
	v_mul_f64 v[48:49], v[6:7], v[16:17]
	v_mul_f64 v[16:17], v[8:9], v[16:17]
	v_fma_f64 v[52:53], v[4:5], v[10:11], v[52:53]
	v_fma_f64 v[56:57], v[2:3], v[10:11], -v[12:13]
	ds_load_b128 v[2:5], v1 offset:1360
	scratch_load_b128 v[10:13], off, off offset:560
	v_add_f64 v[44:45], v[44:45], v[54:55]
	v_add_f64 v[46:47], v[46:47], v[50:51]
	v_fma_f64 v[48:49], v[8:9], v[14:15], v[48:49]
	v_fma_f64 v[54:55], v[6:7], v[14:15], -v[16:17]
	scratch_load_b128 v[14:17], off, off offset:576
	ds_load_b128 v[6:9], v1 offset:1376
	s_waitcnt vmcnt(9) lgkmcnt(1)
	v_mul_f64 v[50:51], v[2:3], v[20:21]
	v_mul_f64 v[20:21], v[4:5], v[20:21]
	v_add_f64 v[44:45], v[44:45], v[56:57]
	v_add_f64 v[46:47], v[46:47], v[52:53]
	s_waitcnt vmcnt(8) lgkmcnt(0)
	v_mul_f64 v[52:53], v[6:7], v[24:25]
	;; [unrolled: 18-line block ×4, first 2 shown]
	v_mul_f64 v[56:57], v[8:9], v[185:186]
	v_fma_f64 v[52:53], v[4:5], v[34:35], v[52:53]
	v_fma_f64 v[58:59], v[2:3], v[34:35], -v[36:37]
	ds_load_b128 v[2:5], v1 offset:1456
	scratch_load_b128 v[34:37], off, off offset:656
	v_add_f64 v[44:45], v[44:45], v[54:55]
	v_add_f64 v[46:47], v[46:47], v[50:51]
	v_fma_f64 v[48:49], v[8:9], v[183:184], v[48:49]
	v_fma_f64 v[54:55], v[6:7], v[183:184], -v[56:57]
	scratch_load_b128 v[183:186], off, off offset:672
	ds_load_b128 v[6:9], v1 offset:1472
	s_waitcnt vmcnt(9) lgkmcnt(1)
	v_mul_f64 v[50:51], v[2:3], v[40:41]
	v_mul_f64 v[40:41], v[4:5], v[40:41]
	s_waitcnt vmcnt(8) lgkmcnt(0)
	v_mul_f64 v[56:57], v[8:9], v[181:182]
	v_add_f64 v[44:45], v[44:45], v[58:59]
	v_add_f64 v[46:47], v[46:47], v[52:53]
	v_mul_f64 v[52:53], v[6:7], v[181:182]
	v_fma_f64 v[50:51], v[4:5], v[38:39], v[50:51]
	v_fma_f64 v[58:59], v[2:3], v[38:39], -v[40:41]
	ds_load_b128 v[2:5], v1 offset:1488
	scratch_load_b128 v[38:41], off, off offset:688
	v_add_f64 v[44:45], v[44:45], v[54:55]
	v_add_f64 v[46:47], v[46:47], v[48:49]
	v_fma_f64 v[52:53], v[8:9], v[179:180], v[52:53]
	v_fma_f64 v[54:55], v[6:7], v[179:180], -v[56:57]
	scratch_load_b128 v[179:182], off, off offset:704
	ds_load_b128 v[6:9], v1 offset:1504
	s_waitcnt vmcnt(9) lgkmcnt(1)
	v_mul_f64 v[48:49], v[2:3], v[12:13]
	v_mul_f64 v[12:13], v[4:5], v[12:13]
	v_add_f64 v[44:45], v[44:45], v[58:59]
	v_add_f64 v[46:47], v[46:47], v[50:51]
	s_waitcnt vmcnt(8) lgkmcnt(0)
	v_mul_f64 v[50:51], v[6:7], v[16:17]
	v_mul_f64 v[16:17], v[8:9], v[16:17]
	v_fma_f64 v[48:49], v[4:5], v[10:11], v[48:49]
	v_fma_f64 v[56:57], v[2:3], v[10:11], -v[12:13]
	ds_load_b128 v[2:5], v1 offset:1520
	scratch_load_b128 v[10:13], off, off offset:720
	v_add_f64 v[44:45], v[44:45], v[54:55]
	v_add_f64 v[46:47], v[46:47], v[52:53]
	v_fma_f64 v[50:51], v[8:9], v[14:15], v[50:51]
	v_fma_f64 v[54:55], v[6:7], v[14:15], -v[16:17]
	scratch_load_b128 v[14:17], off, off offset:736
	ds_load_b128 v[6:9], v1 offset:1536
	s_waitcnt vmcnt(9) lgkmcnt(1)
	v_mul_f64 v[52:53], v[2:3], v[20:21]
	v_mul_f64 v[20:21], v[4:5], v[20:21]
	v_add_f64 v[44:45], v[44:45], v[56:57]
	v_add_f64 v[46:47], v[46:47], v[48:49]
	s_waitcnt vmcnt(8) lgkmcnt(0)
	v_mul_f64 v[48:49], v[6:7], v[24:25]
	;; [unrolled: 18-line block ×4, first 2 shown]
	v_mul_f64 v[56:57], v[8:9], v[185:186]
	v_fma_f64 v[48:49], v[4:5], v[34:35], v[48:49]
	v_fma_f64 v[58:59], v[2:3], v[34:35], -v[36:37]
	ds_load_b128 v[2:5], v1 offset:1616
	scratch_load_b128 v[34:37], off, off offset:816
	v_add_f64 v[44:45], v[44:45], v[54:55]
	v_add_f64 v[46:47], v[46:47], v[52:53]
	v_fma_f64 v[50:51], v[8:9], v[183:184], v[50:51]
	v_fma_f64 v[54:55], v[6:7], v[183:184], -v[56:57]
	ds_load_b128 v[6:9], v1 offset:1632
	s_waitcnt vmcnt(8) lgkmcnt(1)
	v_mul_f64 v[52:53], v[2:3], v[40:41]
	v_mul_f64 v[40:41], v[4:5], v[40:41]
	scratch_load_b128 v[183:186], off, off offset:832
	s_waitcnt vmcnt(8) lgkmcnt(0)
	v_mul_f64 v[56:57], v[8:9], v[181:182]
	v_add_f64 v[44:45], v[44:45], v[58:59]
	v_add_f64 v[46:47], v[46:47], v[48:49]
	v_mul_f64 v[48:49], v[6:7], v[181:182]
	v_fma_f64 v[52:53], v[4:5], v[38:39], v[52:53]
	v_fma_f64 v[58:59], v[2:3], v[38:39], -v[40:41]
	scratch_load_b128 v[38:41], off, off offset:848
	ds_load_b128 v[2:5], v1 offset:1648
	v_add_f64 v[44:45], v[44:45], v[54:55]
	v_add_f64 v[46:47], v[46:47], v[50:51]
	v_fma_f64 v[48:49], v[8:9], v[179:180], v[48:49]
	v_fma_f64 v[54:55], v[6:7], v[179:180], -v[56:57]
	ds_load_b128 v[6:9], v1 offset:1664
	s_waitcnt vmcnt(8) lgkmcnt(1)
	v_mul_f64 v[50:51], v[2:3], v[12:13]
	v_mul_f64 v[12:13], v[4:5], v[12:13]
	scratch_load_b128 v[179:182], off, off offset:864
	v_add_f64 v[44:45], v[44:45], v[58:59]
	v_add_f64 v[46:47], v[46:47], v[52:53]
	s_waitcnt vmcnt(8) lgkmcnt(0)
	v_mul_f64 v[52:53], v[6:7], v[16:17]
	v_mul_f64 v[16:17], v[8:9], v[16:17]
	v_fma_f64 v[50:51], v[4:5], v[10:11], v[50:51]
	v_fma_f64 v[56:57], v[2:3], v[10:11], -v[12:13]
	scratch_load_b128 v[10:13], off, off offset:880
	ds_load_b128 v[2:5], v1 offset:1680
	v_add_f64 v[44:45], v[44:45], v[54:55]
	v_add_f64 v[46:47], v[46:47], v[48:49]
	v_fma_f64 v[52:53], v[8:9], v[14:15], v[52:53]
	v_fma_f64 v[54:55], v[6:7], v[14:15], -v[16:17]
	ds_load_b128 v[6:9], v1 offset:1696
	s_waitcnt vmcnt(8) lgkmcnt(1)
	v_mul_f64 v[48:49], v[2:3], v[20:21]
	v_mul_f64 v[20:21], v[4:5], v[20:21]
	scratch_load_b128 v[14:17], off, off offset:896
	v_add_f64 v[44:45], v[44:45], v[56:57]
	v_add_f64 v[46:47], v[46:47], v[50:51]
	s_waitcnt vmcnt(8) lgkmcnt(0)
	v_mul_f64 v[50:51], v[6:7], v[24:25]
	v_mul_f64 v[24:25], v[8:9], v[24:25]
	v_fma_f64 v[48:49], v[4:5], v[18:19], v[48:49]
	v_fma_f64 v[56:57], v[2:3], v[18:19], -v[20:21]
	scratch_load_b128 v[18:21], off, off offset:912
	ds_load_b128 v[2:5], v1 offset:1712
	v_add_f64 v[44:45], v[44:45], v[54:55]
	v_add_f64 v[46:47], v[46:47], v[52:53]
	v_fma_f64 v[50:51], v[8:9], v[22:23], v[50:51]
	v_fma_f64 v[22:23], v[6:7], v[22:23], -v[24:25]
	ds_load_b128 v[6:9], v1 offset:1728
	s_waitcnt vmcnt(8) lgkmcnt(1)
	v_mul_f64 v[52:53], v[2:3], v[28:29]
	v_mul_f64 v[28:29], v[4:5], v[28:29]
	v_add_f64 v[24:25], v[44:45], v[56:57]
	v_add_f64 v[44:45], v[46:47], v[48:49]
	s_waitcnt vmcnt(7) lgkmcnt(0)
	v_mul_f64 v[46:47], v[6:7], v[32:33]
	v_mul_f64 v[32:33], v[8:9], v[32:33]
	v_fma_f64 v[48:49], v[4:5], v[26:27], v[52:53]
	v_fma_f64 v[26:27], v[2:3], v[26:27], -v[28:29]
	ds_load_b128 v[2:5], v1 offset:1744
	v_add_f64 v[22:23], v[24:25], v[22:23]
	v_add_f64 v[24:25], v[44:45], v[50:51]
	v_fma_f64 v[44:45], v[8:9], v[30:31], v[46:47]
	v_fma_f64 v[30:31], v[6:7], v[30:31], -v[32:33]
	ds_load_b128 v[6:9], v1 offset:1760
	s_waitcnt vmcnt(5) lgkmcnt(0)
	v_mul_f64 v[46:47], v[6:7], v[185:186]
	v_add_f64 v[26:27], v[22:23], v[26:27]
	v_add_f64 v[32:33], v[24:25], v[48:49]
	scratch_load_b128 v[22:25], off, off offset:192
	v_mul_f64 v[28:29], v[2:3], v[36:37]
	v_mul_f64 v[36:37], v[4:5], v[36:37]
	;; [unrolled: 1-line block ×3, first 2 shown]
	v_add_f64 v[26:27], v[26:27], v[30:31]
	v_add_f64 v[30:31], v[32:33], v[44:45]
	v_fma_f64 v[28:29], v[4:5], v[34:35], v[28:29]
	v_fma_f64 v[34:35], v[2:3], v[34:35], -v[36:37]
	ds_load_b128 v[2:5], v1 offset:1776
	v_fma_f64 v[44:45], v[6:7], v[183:184], -v[48:49]
	s_waitcnt vmcnt(5) lgkmcnt(0)
	v_mul_f64 v[32:33], v[2:3], v[40:41]
	v_mul_f64 v[36:37], v[4:5], v[40:41]
	v_fma_f64 v[40:41], v[8:9], v[183:184], v[46:47]
	ds_load_b128 v[6:9], v1 offset:1792
	v_add_f64 v[28:29], v[30:31], v[28:29]
	v_add_f64 v[26:27], v[26:27], v[34:35]
	v_fma_f64 v[32:33], v[4:5], v[38:39], v[32:33]
	v_fma_f64 v[36:37], v[2:3], v[38:39], -v[36:37]
	ds_load_b128 v[2:5], v1 offset:1808
	s_waitcnt vmcnt(4) lgkmcnt(1)
	v_mul_f64 v[30:31], v[6:7], v[181:182]
	v_mul_f64 v[34:35], v[8:9], v[181:182]
	v_add_f64 v[28:29], v[28:29], v[40:41]
	v_add_f64 v[26:27], v[26:27], v[44:45]
	s_waitcnt vmcnt(3) lgkmcnt(0)
	v_mul_f64 v[38:39], v[2:3], v[12:13]
	v_mul_f64 v[12:13], v[4:5], v[12:13]
	v_fma_f64 v[30:31], v[8:9], v[179:180], v[30:31]
	v_fma_f64 v[34:35], v[6:7], v[179:180], -v[34:35]
	ds_load_b128 v[6:9], v1 offset:1824
	v_add_f64 v[28:29], v[28:29], v[32:33]
	v_add_f64 v[26:27], v[26:27], v[36:37]
	v_fma_f64 v[36:37], v[4:5], v[10:11], v[38:39]
	v_fma_f64 v[10:11], v[2:3], v[10:11], -v[12:13]
	ds_load_b128 v[2:5], v1 offset:1840
	s_waitcnt vmcnt(2) lgkmcnt(1)
	v_mul_f64 v[32:33], v[6:7], v[16:17]
	v_mul_f64 v[16:17], v[8:9], v[16:17]
	v_add_f64 v[12:13], v[26:27], v[34:35]
	v_add_f64 v[26:27], v[28:29], v[30:31]
	s_waitcnt vmcnt(1) lgkmcnt(0)
	v_mul_f64 v[28:29], v[2:3], v[20:21]
	v_mul_f64 v[20:21], v[4:5], v[20:21]
	v_fma_f64 v[8:9], v[8:9], v[14:15], v[32:33]
	v_fma_f64 v[6:7], v[6:7], v[14:15], -v[16:17]
	v_add_f64 v[10:11], v[12:13], v[10:11]
	v_add_f64 v[12:13], v[26:27], v[36:37]
	v_fma_f64 v[4:5], v[4:5], v[18:19], v[28:29]
	v_fma_f64 v[2:3], v[2:3], v[18:19], -v[20:21]
	s_delay_alu instid0(VALU_DEP_4) | instskip(NEXT) | instid1(VALU_DEP_4)
	v_add_f64 v[6:7], v[10:11], v[6:7]
	v_add_f64 v[8:9], v[12:13], v[8:9]
	s_delay_alu instid0(VALU_DEP_2) | instskip(NEXT) | instid1(VALU_DEP_2)
	v_add_f64 v[2:3], v[6:7], v[2:3]
	v_add_f64 v[4:5], v[8:9], v[4:5]
	s_waitcnt vmcnt(0)
	s_delay_alu instid0(VALU_DEP_2) | instskip(NEXT) | instid1(VALU_DEP_2)
	v_add_f64 v[2:3], v[22:23], -v[2:3]
	v_add_f64 v[4:5], v[24:25], -v[4:5]
	scratch_store_b128 off, v[2:5], off offset:192
	v_cmpx_lt_u32_e32 11, v158
	s_cbranch_execz .LBB57_339
; %bb.338:
	scratch_load_b128 v[5:8], v205, off
	v_mov_b32_e32 v2, v1
	v_mov_b32_e32 v3, v1
	;; [unrolled: 1-line block ×3, first 2 shown]
	scratch_store_b128 off, v[1:4], off offset:176
	s_waitcnt vmcnt(0)
	ds_store_b128 v216, v[5:8]
.LBB57_339:
	s_or_b32 exec_lo, exec_lo, s2
	s_waitcnt lgkmcnt(0)
	s_waitcnt_vscnt null, 0x0
	s_barrier
	buffer_gl0_inv
	s_clause 0x7
	scratch_load_b128 v[2:5], off, off offset:192
	scratch_load_b128 v[6:9], off, off offset:208
	;; [unrolled: 1-line block ×8, first 2 shown]
	ds_load_b128 v[38:41], v1 offset:1120
	ds_load_b128 v[179:182], v1 offset:1136
	s_clause 0x1
	scratch_load_b128 v[34:37], off, off offset:320
	scratch_load_b128 v[183:186], off, off offset:336
	s_mov_b32 s2, exec_lo
	s_waitcnt vmcnt(9) lgkmcnt(1)
	v_mul_f64 v[44:45], v[40:41], v[4:5]
	v_mul_f64 v[4:5], v[38:39], v[4:5]
	s_waitcnt vmcnt(8) lgkmcnt(0)
	v_mul_f64 v[46:47], v[179:180], v[8:9]
	v_mul_f64 v[8:9], v[181:182], v[8:9]
	s_delay_alu instid0(VALU_DEP_4) | instskip(NEXT) | instid1(VALU_DEP_4)
	v_fma_f64 v[44:45], v[38:39], v[2:3], -v[44:45]
	v_fma_f64 v[48:49], v[40:41], v[2:3], v[4:5]
	ds_load_b128 v[2:5], v1 offset:1152
	scratch_load_b128 v[38:41], off, off offset:352
	v_fma_f64 v[46:47], v[181:182], v[6:7], v[46:47]
	v_fma_f64 v[52:53], v[179:180], v[6:7], -v[8:9]
	scratch_load_b128 v[179:182], off, off offset:368
	ds_load_b128 v[6:9], v1 offset:1168
	s_waitcnt vmcnt(9) lgkmcnt(1)
	v_mul_f64 v[50:51], v[2:3], v[12:13]
	v_mul_f64 v[12:13], v[4:5], v[12:13]
	s_waitcnt vmcnt(8) lgkmcnt(0)
	v_mul_f64 v[54:55], v[6:7], v[16:17]
	v_mul_f64 v[16:17], v[8:9], v[16:17]
	v_add_f64 v[44:45], v[44:45], 0
	v_add_f64 v[48:49], v[48:49], 0
	v_fma_f64 v[50:51], v[4:5], v[10:11], v[50:51]
	v_fma_f64 v[56:57], v[2:3], v[10:11], -v[12:13]
	ds_load_b128 v[2:5], v1 offset:1184
	scratch_load_b128 v[10:13], off, off offset:384
	v_add_f64 v[44:45], v[44:45], v[52:53]
	v_add_f64 v[46:47], v[48:49], v[46:47]
	v_fma_f64 v[52:53], v[8:9], v[14:15], v[54:55]
	v_fma_f64 v[54:55], v[6:7], v[14:15], -v[16:17]
	scratch_load_b128 v[14:17], off, off offset:400
	ds_load_b128 v[6:9], v1 offset:1200
	s_waitcnt vmcnt(9) lgkmcnt(1)
	v_mul_f64 v[48:49], v[2:3], v[20:21]
	v_mul_f64 v[20:21], v[4:5], v[20:21]
	v_add_f64 v[44:45], v[44:45], v[56:57]
	v_add_f64 v[46:47], v[46:47], v[50:51]
	s_waitcnt vmcnt(8) lgkmcnt(0)
	v_mul_f64 v[50:51], v[6:7], v[24:25]
	v_mul_f64 v[24:25], v[8:9], v[24:25]
	v_fma_f64 v[48:49], v[4:5], v[18:19], v[48:49]
	v_fma_f64 v[56:57], v[2:3], v[18:19], -v[20:21]
	ds_load_b128 v[2:5], v1 offset:1216
	scratch_load_b128 v[18:21], off, off offset:416
	v_add_f64 v[44:45], v[44:45], v[54:55]
	v_add_f64 v[46:47], v[46:47], v[52:53]
	v_fma_f64 v[50:51], v[8:9], v[22:23], v[50:51]
	v_fma_f64 v[54:55], v[6:7], v[22:23], -v[24:25]
	scratch_load_b128 v[22:25], off, off offset:432
	ds_load_b128 v[6:9], v1 offset:1232
	s_waitcnt vmcnt(9) lgkmcnt(1)
	v_mul_f64 v[52:53], v[2:3], v[28:29]
	v_mul_f64 v[28:29], v[4:5], v[28:29]
	v_add_f64 v[44:45], v[44:45], v[56:57]
	v_add_f64 v[46:47], v[46:47], v[48:49]
	s_waitcnt vmcnt(8) lgkmcnt(0)
	v_mul_f64 v[48:49], v[6:7], v[32:33]
	v_mul_f64 v[32:33], v[8:9], v[32:33]
	;; [unrolled: 18-line block ×3, first 2 shown]
	v_fma_f64 v[50:51], v[4:5], v[34:35], v[50:51]
	v_fma_f64 v[58:59], v[2:3], v[34:35], -v[36:37]
	ds_load_b128 v[2:5], v1 offset:1280
	scratch_load_b128 v[34:37], off, off offset:480
	v_add_f64 v[44:45], v[44:45], v[54:55]
	v_add_f64 v[46:47], v[46:47], v[48:49]
	v_fma_f64 v[52:53], v[8:9], v[183:184], v[52:53]
	v_fma_f64 v[54:55], v[6:7], v[183:184], -v[56:57]
	scratch_load_b128 v[183:186], off, off offset:496
	ds_load_b128 v[6:9], v1 offset:1296
	s_waitcnt vmcnt(9) lgkmcnt(1)
	v_mul_f64 v[48:49], v[2:3], v[40:41]
	v_mul_f64 v[40:41], v[4:5], v[40:41]
	s_waitcnt vmcnt(8) lgkmcnt(0)
	v_mul_f64 v[56:57], v[8:9], v[181:182]
	v_add_f64 v[44:45], v[44:45], v[58:59]
	v_add_f64 v[46:47], v[46:47], v[50:51]
	v_mul_f64 v[50:51], v[6:7], v[181:182]
	v_fma_f64 v[48:49], v[4:5], v[38:39], v[48:49]
	v_fma_f64 v[58:59], v[2:3], v[38:39], -v[40:41]
	ds_load_b128 v[2:5], v1 offset:1312
	scratch_load_b128 v[38:41], off, off offset:512
	v_add_f64 v[44:45], v[44:45], v[54:55]
	v_add_f64 v[46:47], v[46:47], v[52:53]
	v_fma_f64 v[50:51], v[8:9], v[179:180], v[50:51]
	v_fma_f64 v[54:55], v[6:7], v[179:180], -v[56:57]
	scratch_load_b128 v[179:182], off, off offset:528
	ds_load_b128 v[6:9], v1 offset:1328
	s_waitcnt vmcnt(9) lgkmcnt(1)
	v_mul_f64 v[52:53], v[2:3], v[12:13]
	v_mul_f64 v[12:13], v[4:5], v[12:13]
	v_add_f64 v[44:45], v[44:45], v[58:59]
	v_add_f64 v[46:47], v[46:47], v[48:49]
	s_waitcnt vmcnt(8) lgkmcnt(0)
	v_mul_f64 v[48:49], v[6:7], v[16:17]
	v_mul_f64 v[16:17], v[8:9], v[16:17]
	v_fma_f64 v[52:53], v[4:5], v[10:11], v[52:53]
	v_fma_f64 v[56:57], v[2:3], v[10:11], -v[12:13]
	ds_load_b128 v[2:5], v1 offset:1344
	scratch_load_b128 v[10:13], off, off offset:544
	v_add_f64 v[44:45], v[44:45], v[54:55]
	v_add_f64 v[46:47], v[46:47], v[50:51]
	v_fma_f64 v[48:49], v[8:9], v[14:15], v[48:49]
	v_fma_f64 v[54:55], v[6:7], v[14:15], -v[16:17]
	scratch_load_b128 v[14:17], off, off offset:560
	ds_load_b128 v[6:9], v1 offset:1360
	s_waitcnt vmcnt(9) lgkmcnt(1)
	v_mul_f64 v[50:51], v[2:3], v[20:21]
	v_mul_f64 v[20:21], v[4:5], v[20:21]
	v_add_f64 v[44:45], v[44:45], v[56:57]
	v_add_f64 v[46:47], v[46:47], v[52:53]
	s_waitcnt vmcnt(8) lgkmcnt(0)
	v_mul_f64 v[52:53], v[6:7], v[24:25]
	;; [unrolled: 18-line block ×4, first 2 shown]
	v_mul_f64 v[56:57], v[8:9], v[185:186]
	v_fma_f64 v[52:53], v[4:5], v[34:35], v[52:53]
	v_fma_f64 v[58:59], v[2:3], v[34:35], -v[36:37]
	ds_load_b128 v[2:5], v1 offset:1440
	scratch_load_b128 v[34:37], off, off offset:640
	v_add_f64 v[44:45], v[44:45], v[54:55]
	v_add_f64 v[46:47], v[46:47], v[50:51]
	v_fma_f64 v[48:49], v[8:9], v[183:184], v[48:49]
	v_fma_f64 v[54:55], v[6:7], v[183:184], -v[56:57]
	scratch_load_b128 v[183:186], off, off offset:656
	ds_load_b128 v[6:9], v1 offset:1456
	s_waitcnt vmcnt(9) lgkmcnt(1)
	v_mul_f64 v[50:51], v[2:3], v[40:41]
	v_mul_f64 v[40:41], v[4:5], v[40:41]
	s_waitcnt vmcnt(8) lgkmcnt(0)
	v_mul_f64 v[56:57], v[8:9], v[181:182]
	v_add_f64 v[44:45], v[44:45], v[58:59]
	v_add_f64 v[46:47], v[46:47], v[52:53]
	v_mul_f64 v[52:53], v[6:7], v[181:182]
	v_fma_f64 v[50:51], v[4:5], v[38:39], v[50:51]
	v_fma_f64 v[58:59], v[2:3], v[38:39], -v[40:41]
	ds_load_b128 v[2:5], v1 offset:1472
	scratch_load_b128 v[38:41], off, off offset:672
	v_add_f64 v[44:45], v[44:45], v[54:55]
	v_add_f64 v[46:47], v[46:47], v[48:49]
	v_fma_f64 v[52:53], v[8:9], v[179:180], v[52:53]
	v_fma_f64 v[54:55], v[6:7], v[179:180], -v[56:57]
	scratch_load_b128 v[179:182], off, off offset:688
	ds_load_b128 v[6:9], v1 offset:1488
	s_waitcnt vmcnt(9) lgkmcnt(1)
	v_mul_f64 v[48:49], v[2:3], v[12:13]
	v_mul_f64 v[12:13], v[4:5], v[12:13]
	v_add_f64 v[44:45], v[44:45], v[58:59]
	v_add_f64 v[46:47], v[46:47], v[50:51]
	s_waitcnt vmcnt(8) lgkmcnt(0)
	v_mul_f64 v[50:51], v[6:7], v[16:17]
	v_mul_f64 v[16:17], v[8:9], v[16:17]
	v_fma_f64 v[48:49], v[4:5], v[10:11], v[48:49]
	v_fma_f64 v[56:57], v[2:3], v[10:11], -v[12:13]
	ds_load_b128 v[2:5], v1 offset:1504
	scratch_load_b128 v[10:13], off, off offset:704
	v_add_f64 v[44:45], v[44:45], v[54:55]
	v_add_f64 v[46:47], v[46:47], v[52:53]
	v_fma_f64 v[50:51], v[8:9], v[14:15], v[50:51]
	v_fma_f64 v[54:55], v[6:7], v[14:15], -v[16:17]
	scratch_load_b128 v[14:17], off, off offset:720
	ds_load_b128 v[6:9], v1 offset:1520
	s_waitcnt vmcnt(9) lgkmcnt(1)
	v_mul_f64 v[52:53], v[2:3], v[20:21]
	v_mul_f64 v[20:21], v[4:5], v[20:21]
	v_add_f64 v[44:45], v[44:45], v[56:57]
	v_add_f64 v[46:47], v[46:47], v[48:49]
	s_waitcnt vmcnt(8) lgkmcnt(0)
	v_mul_f64 v[48:49], v[6:7], v[24:25]
	;; [unrolled: 18-line block ×4, first 2 shown]
	v_mul_f64 v[56:57], v[8:9], v[185:186]
	v_fma_f64 v[48:49], v[4:5], v[34:35], v[48:49]
	v_fma_f64 v[58:59], v[2:3], v[34:35], -v[36:37]
	ds_load_b128 v[2:5], v1 offset:1600
	scratch_load_b128 v[34:37], off, off offset:800
	v_add_f64 v[44:45], v[44:45], v[54:55]
	v_add_f64 v[46:47], v[46:47], v[52:53]
	v_fma_f64 v[50:51], v[8:9], v[183:184], v[50:51]
	v_fma_f64 v[54:55], v[6:7], v[183:184], -v[56:57]
	ds_load_b128 v[6:9], v1 offset:1616
	s_waitcnt vmcnt(8) lgkmcnt(1)
	v_mul_f64 v[52:53], v[2:3], v[40:41]
	v_mul_f64 v[40:41], v[4:5], v[40:41]
	scratch_load_b128 v[183:186], off, off offset:816
	s_waitcnt vmcnt(8) lgkmcnt(0)
	v_mul_f64 v[56:57], v[8:9], v[181:182]
	v_add_f64 v[44:45], v[44:45], v[58:59]
	v_add_f64 v[46:47], v[46:47], v[48:49]
	v_mul_f64 v[48:49], v[6:7], v[181:182]
	v_fma_f64 v[52:53], v[4:5], v[38:39], v[52:53]
	v_fma_f64 v[58:59], v[2:3], v[38:39], -v[40:41]
	ds_load_b128 v[2:5], v1 offset:1632
	scratch_load_b128 v[38:41], off, off offset:832
	v_add_f64 v[44:45], v[44:45], v[54:55]
	v_add_f64 v[46:47], v[46:47], v[50:51]
	v_fma_f64 v[48:49], v[8:9], v[179:180], v[48:49]
	v_fma_f64 v[54:55], v[6:7], v[179:180], -v[56:57]
	ds_load_b128 v[6:9], v1 offset:1648
	s_waitcnt vmcnt(8) lgkmcnt(1)
	v_mul_f64 v[50:51], v[2:3], v[12:13]
	v_mul_f64 v[12:13], v[4:5], v[12:13]
	scratch_load_b128 v[179:182], off, off offset:848
	v_add_f64 v[44:45], v[44:45], v[58:59]
	v_add_f64 v[46:47], v[46:47], v[52:53]
	s_waitcnt vmcnt(8) lgkmcnt(0)
	v_mul_f64 v[52:53], v[6:7], v[16:17]
	v_mul_f64 v[16:17], v[8:9], v[16:17]
	v_fma_f64 v[50:51], v[4:5], v[10:11], v[50:51]
	v_fma_f64 v[56:57], v[2:3], v[10:11], -v[12:13]
	scratch_load_b128 v[10:13], off, off offset:864
	ds_load_b128 v[2:5], v1 offset:1664
	v_add_f64 v[44:45], v[44:45], v[54:55]
	v_add_f64 v[46:47], v[46:47], v[48:49]
	v_fma_f64 v[52:53], v[8:9], v[14:15], v[52:53]
	v_fma_f64 v[54:55], v[6:7], v[14:15], -v[16:17]
	ds_load_b128 v[6:9], v1 offset:1680
	s_waitcnt vmcnt(8) lgkmcnt(1)
	v_mul_f64 v[48:49], v[2:3], v[20:21]
	v_mul_f64 v[20:21], v[4:5], v[20:21]
	scratch_load_b128 v[14:17], off, off offset:880
	v_add_f64 v[44:45], v[44:45], v[56:57]
	v_add_f64 v[46:47], v[46:47], v[50:51]
	s_waitcnt vmcnt(8) lgkmcnt(0)
	v_mul_f64 v[50:51], v[6:7], v[24:25]
	v_mul_f64 v[24:25], v[8:9], v[24:25]
	v_fma_f64 v[48:49], v[4:5], v[18:19], v[48:49]
	v_fma_f64 v[56:57], v[2:3], v[18:19], -v[20:21]
	scratch_load_b128 v[18:21], off, off offset:896
	ds_load_b128 v[2:5], v1 offset:1696
	v_add_f64 v[44:45], v[44:45], v[54:55]
	v_add_f64 v[46:47], v[46:47], v[52:53]
	v_fma_f64 v[50:51], v[8:9], v[22:23], v[50:51]
	v_fma_f64 v[54:55], v[6:7], v[22:23], -v[24:25]
	ds_load_b128 v[6:9], v1 offset:1712
	s_waitcnt vmcnt(8) lgkmcnt(1)
	v_mul_f64 v[52:53], v[2:3], v[28:29]
	v_mul_f64 v[28:29], v[4:5], v[28:29]
	scratch_load_b128 v[22:25], off, off offset:912
	v_add_f64 v[44:45], v[44:45], v[56:57]
	v_add_f64 v[46:47], v[46:47], v[48:49]
	s_waitcnt vmcnt(8) lgkmcnt(0)
	v_mul_f64 v[48:49], v[6:7], v[32:33]
	v_mul_f64 v[32:33], v[8:9], v[32:33]
	v_fma_f64 v[52:53], v[4:5], v[26:27], v[52:53]
	v_fma_f64 v[26:27], v[2:3], v[26:27], -v[28:29]
	ds_load_b128 v[2:5], v1 offset:1728
	v_add_f64 v[28:29], v[44:45], v[54:55]
	v_add_f64 v[44:45], v[46:47], v[50:51]
	v_fma_f64 v[48:49], v[8:9], v[30:31], v[48:49]
	v_fma_f64 v[30:31], v[6:7], v[30:31], -v[32:33]
	ds_load_b128 v[6:9], v1 offset:1744
	s_waitcnt vmcnt(7) lgkmcnt(1)
	v_mul_f64 v[46:47], v[2:3], v[36:37]
	v_mul_f64 v[36:37], v[4:5], v[36:37]
	v_add_f64 v[26:27], v[28:29], v[26:27]
	v_add_f64 v[28:29], v[44:45], v[52:53]
	s_delay_alu instid0(VALU_DEP_4) | instskip(NEXT) | instid1(VALU_DEP_4)
	v_fma_f64 v[46:47], v[4:5], v[34:35], v[46:47]
	v_fma_f64 v[34:35], v[2:3], v[34:35], -v[36:37]
	ds_load_b128 v[2:5], v1 offset:1760
	v_add_f64 v[30:31], v[26:27], v[30:31]
	v_add_f64 v[36:37], v[28:29], v[48:49]
	scratch_load_b128 v[26:29], off, off offset:176
	s_waitcnt vmcnt(7) lgkmcnt(1)
	v_mul_f64 v[32:33], v[6:7], v[185:186]
	v_mul_f64 v[44:45], v[8:9], v[185:186]
	v_add_f64 v[30:31], v[30:31], v[34:35]
	v_add_f64 v[34:35], v[36:37], v[46:47]
	s_delay_alu instid0(VALU_DEP_4) | instskip(NEXT) | instid1(VALU_DEP_4)
	v_fma_f64 v[32:33], v[8:9], v[183:184], v[32:33]
	v_fma_f64 v[44:45], v[6:7], v[183:184], -v[44:45]
	ds_load_b128 v[6:9], v1 offset:1776
	s_waitcnt vmcnt(6) lgkmcnt(1)
	v_mul_f64 v[48:49], v[2:3], v[40:41]
	v_mul_f64 v[40:41], v[4:5], v[40:41]
	s_waitcnt vmcnt(5) lgkmcnt(0)
	v_mul_f64 v[36:37], v[6:7], v[181:182]
	v_mul_f64 v[46:47], v[8:9], v[181:182]
	v_add_f64 v[32:33], v[34:35], v[32:33]
	v_add_f64 v[30:31], v[30:31], v[44:45]
	v_fma_f64 v[48:49], v[4:5], v[38:39], v[48:49]
	v_fma_f64 v[38:39], v[2:3], v[38:39], -v[40:41]
	ds_load_b128 v[2:5], v1 offset:1792
	v_fma_f64 v[36:37], v[8:9], v[179:180], v[36:37]
	v_fma_f64 v[40:41], v[6:7], v[179:180], -v[46:47]
	ds_load_b128 v[6:9], v1 offset:1808
	s_waitcnt vmcnt(4) lgkmcnt(1)
	v_mul_f64 v[34:35], v[2:3], v[12:13]
	v_mul_f64 v[12:13], v[4:5], v[12:13]
	v_add_f64 v[32:33], v[32:33], v[48:49]
	v_add_f64 v[30:31], v[30:31], v[38:39]
	s_waitcnt vmcnt(3) lgkmcnt(0)
	v_mul_f64 v[38:39], v[6:7], v[16:17]
	v_mul_f64 v[16:17], v[8:9], v[16:17]
	v_fma_f64 v[34:35], v[4:5], v[10:11], v[34:35]
	v_fma_f64 v[10:11], v[2:3], v[10:11], -v[12:13]
	ds_load_b128 v[2:5], v1 offset:1824
	v_add_f64 v[12:13], v[30:31], v[40:41]
	v_add_f64 v[30:31], v[32:33], v[36:37]
	v_fma_f64 v[36:37], v[8:9], v[14:15], v[38:39]
	v_fma_f64 v[14:15], v[6:7], v[14:15], -v[16:17]
	ds_load_b128 v[6:9], v1 offset:1840
	s_waitcnt vmcnt(2) lgkmcnt(1)
	v_mul_f64 v[32:33], v[2:3], v[20:21]
	v_mul_f64 v[20:21], v[4:5], v[20:21]
	s_waitcnt vmcnt(1) lgkmcnt(0)
	v_mul_f64 v[16:17], v[6:7], v[24:25]
	v_mul_f64 v[24:25], v[8:9], v[24:25]
	v_add_f64 v[10:11], v[12:13], v[10:11]
	v_add_f64 v[12:13], v[30:31], v[34:35]
	v_fma_f64 v[4:5], v[4:5], v[18:19], v[32:33]
	v_fma_f64 v[1:2], v[2:3], v[18:19], -v[20:21]
	v_fma_f64 v[8:9], v[8:9], v[22:23], v[16:17]
	v_fma_f64 v[6:7], v[6:7], v[22:23], -v[24:25]
	v_add_f64 v[10:11], v[10:11], v[14:15]
	v_add_f64 v[12:13], v[12:13], v[36:37]
	s_delay_alu instid0(VALU_DEP_2) | instskip(NEXT) | instid1(VALU_DEP_2)
	v_add_f64 v[1:2], v[10:11], v[1:2]
	v_add_f64 v[3:4], v[12:13], v[4:5]
	s_delay_alu instid0(VALU_DEP_2) | instskip(NEXT) | instid1(VALU_DEP_2)
	v_add_f64 v[1:2], v[1:2], v[6:7]
	v_add_f64 v[3:4], v[3:4], v[8:9]
	s_waitcnt vmcnt(0)
	s_delay_alu instid0(VALU_DEP_2) | instskip(NEXT) | instid1(VALU_DEP_2)
	v_add_f64 v[1:2], v[26:27], -v[1:2]
	v_add_f64 v[3:4], v[28:29], -v[3:4]
	scratch_store_b128 off, v[1:4], off offset:176
	v_cmpx_lt_u32_e32 10, v158
	s_cbranch_execz .LBB57_341
; %bb.340:
	scratch_load_b128 v[1:4], v206, off
	v_mov_b32_e32 v5, 0
	s_delay_alu instid0(VALU_DEP_1)
	v_mov_b32_e32 v6, v5
	v_mov_b32_e32 v7, v5
	;; [unrolled: 1-line block ×3, first 2 shown]
	scratch_store_b128 off, v[5:8], off offset:160
	s_waitcnt vmcnt(0)
	ds_store_b128 v216, v[1:4]
.LBB57_341:
	s_or_b32 exec_lo, exec_lo, s2
	s_waitcnt lgkmcnt(0)
	s_waitcnt_vscnt null, 0x0
	s_barrier
	buffer_gl0_inv
	s_clause 0x7
	scratch_load_b128 v[2:5], off, off offset:176
	scratch_load_b128 v[6:9], off, off offset:192
	;; [unrolled: 1-line block ×8, first 2 shown]
	v_mov_b32_e32 v1, 0
	s_clause 0x1
	scratch_load_b128 v[34:37], off, off offset:304
	scratch_load_b128 v[183:186], off, off offset:320
	s_mov_b32 s2, exec_lo
	ds_load_b128 v[38:41], v1 offset:1104
	ds_load_b128 v[179:182], v1 offset:1120
	s_waitcnt vmcnt(9) lgkmcnt(1)
	v_mul_f64 v[44:45], v[40:41], v[4:5]
	v_mul_f64 v[4:5], v[38:39], v[4:5]
	s_waitcnt vmcnt(8) lgkmcnt(0)
	v_mul_f64 v[46:47], v[179:180], v[8:9]
	v_mul_f64 v[8:9], v[181:182], v[8:9]
	s_delay_alu instid0(VALU_DEP_4) | instskip(NEXT) | instid1(VALU_DEP_4)
	v_fma_f64 v[44:45], v[38:39], v[2:3], -v[44:45]
	v_fma_f64 v[48:49], v[40:41], v[2:3], v[4:5]
	ds_load_b128 v[2:5], v1 offset:1136
	scratch_load_b128 v[38:41], off, off offset:336
	v_fma_f64 v[46:47], v[181:182], v[6:7], v[46:47]
	v_fma_f64 v[52:53], v[179:180], v[6:7], -v[8:9]
	scratch_load_b128 v[179:182], off, off offset:352
	ds_load_b128 v[6:9], v1 offset:1152
	s_waitcnt vmcnt(9) lgkmcnt(1)
	v_mul_f64 v[50:51], v[2:3], v[12:13]
	v_mul_f64 v[12:13], v[4:5], v[12:13]
	s_waitcnt vmcnt(8) lgkmcnt(0)
	v_mul_f64 v[54:55], v[6:7], v[16:17]
	v_mul_f64 v[16:17], v[8:9], v[16:17]
	v_add_f64 v[44:45], v[44:45], 0
	v_add_f64 v[48:49], v[48:49], 0
	v_fma_f64 v[50:51], v[4:5], v[10:11], v[50:51]
	v_fma_f64 v[56:57], v[2:3], v[10:11], -v[12:13]
	ds_load_b128 v[2:5], v1 offset:1168
	scratch_load_b128 v[10:13], off, off offset:368
	v_add_f64 v[44:45], v[44:45], v[52:53]
	v_add_f64 v[46:47], v[48:49], v[46:47]
	v_fma_f64 v[52:53], v[8:9], v[14:15], v[54:55]
	v_fma_f64 v[54:55], v[6:7], v[14:15], -v[16:17]
	scratch_load_b128 v[14:17], off, off offset:384
	ds_load_b128 v[6:9], v1 offset:1184
	s_waitcnt vmcnt(9) lgkmcnt(1)
	v_mul_f64 v[48:49], v[2:3], v[20:21]
	v_mul_f64 v[20:21], v[4:5], v[20:21]
	v_add_f64 v[44:45], v[44:45], v[56:57]
	v_add_f64 v[46:47], v[46:47], v[50:51]
	s_waitcnt vmcnt(8) lgkmcnt(0)
	v_mul_f64 v[50:51], v[6:7], v[24:25]
	v_mul_f64 v[24:25], v[8:9], v[24:25]
	v_fma_f64 v[48:49], v[4:5], v[18:19], v[48:49]
	v_fma_f64 v[56:57], v[2:3], v[18:19], -v[20:21]
	ds_load_b128 v[2:5], v1 offset:1200
	scratch_load_b128 v[18:21], off, off offset:400
	v_add_f64 v[44:45], v[44:45], v[54:55]
	v_add_f64 v[46:47], v[46:47], v[52:53]
	v_fma_f64 v[50:51], v[8:9], v[22:23], v[50:51]
	v_fma_f64 v[54:55], v[6:7], v[22:23], -v[24:25]
	scratch_load_b128 v[22:25], off, off offset:416
	ds_load_b128 v[6:9], v1 offset:1216
	s_waitcnt vmcnt(9) lgkmcnt(1)
	v_mul_f64 v[52:53], v[2:3], v[28:29]
	v_mul_f64 v[28:29], v[4:5], v[28:29]
	v_add_f64 v[44:45], v[44:45], v[56:57]
	v_add_f64 v[46:47], v[46:47], v[48:49]
	s_waitcnt vmcnt(8) lgkmcnt(0)
	v_mul_f64 v[48:49], v[6:7], v[32:33]
	v_mul_f64 v[32:33], v[8:9], v[32:33]
	v_fma_f64 v[52:53], v[4:5], v[26:27], v[52:53]
	v_fma_f64 v[56:57], v[2:3], v[26:27], -v[28:29]
	ds_load_b128 v[2:5], v1 offset:1232
	scratch_load_b128 v[26:29], off, off offset:432
	v_add_f64 v[44:45], v[44:45], v[54:55]
	v_add_f64 v[46:47], v[46:47], v[50:51]
	v_fma_f64 v[48:49], v[8:9], v[30:31], v[48:49]
	v_fma_f64 v[54:55], v[6:7], v[30:31], -v[32:33]
	scratch_load_b128 v[30:33], off, off offset:448
	ds_load_b128 v[6:9], v1 offset:1248
	s_waitcnt vmcnt(9) lgkmcnt(1)
	v_mul_f64 v[50:51], v[2:3], v[36:37]
	v_mul_f64 v[36:37], v[4:5], v[36:37]
	v_add_f64 v[44:45], v[44:45], v[56:57]
	v_add_f64 v[46:47], v[46:47], v[52:53]
	s_waitcnt vmcnt(8) lgkmcnt(0)
	v_mul_f64 v[52:53], v[6:7], v[185:186]
	v_mul_f64 v[56:57], v[8:9], v[185:186]
	v_fma_f64 v[50:51], v[4:5], v[34:35], v[50:51]
	v_fma_f64 v[58:59], v[2:3], v[34:35], -v[36:37]
	ds_load_b128 v[2:5], v1 offset:1264
	scratch_load_b128 v[34:37], off, off offset:464
	v_add_f64 v[44:45], v[44:45], v[54:55]
	v_add_f64 v[46:47], v[46:47], v[48:49]
	v_fma_f64 v[52:53], v[8:9], v[183:184], v[52:53]
	v_fma_f64 v[54:55], v[6:7], v[183:184], -v[56:57]
	scratch_load_b128 v[183:186], off, off offset:480
	ds_load_b128 v[6:9], v1 offset:1280
	s_waitcnt vmcnt(9) lgkmcnt(1)
	v_mul_f64 v[48:49], v[2:3], v[40:41]
	v_mul_f64 v[40:41], v[4:5], v[40:41]
	s_waitcnt vmcnt(8) lgkmcnt(0)
	v_mul_f64 v[56:57], v[8:9], v[181:182]
	v_add_f64 v[44:45], v[44:45], v[58:59]
	v_add_f64 v[46:47], v[46:47], v[50:51]
	v_mul_f64 v[50:51], v[6:7], v[181:182]
	v_fma_f64 v[48:49], v[4:5], v[38:39], v[48:49]
	v_fma_f64 v[58:59], v[2:3], v[38:39], -v[40:41]
	ds_load_b128 v[2:5], v1 offset:1296
	scratch_load_b128 v[38:41], off, off offset:496
	v_add_f64 v[44:45], v[44:45], v[54:55]
	v_add_f64 v[46:47], v[46:47], v[52:53]
	v_fma_f64 v[50:51], v[8:9], v[179:180], v[50:51]
	v_fma_f64 v[54:55], v[6:7], v[179:180], -v[56:57]
	scratch_load_b128 v[179:182], off, off offset:512
	ds_load_b128 v[6:9], v1 offset:1312
	s_waitcnt vmcnt(9) lgkmcnt(1)
	v_mul_f64 v[52:53], v[2:3], v[12:13]
	v_mul_f64 v[12:13], v[4:5], v[12:13]
	v_add_f64 v[44:45], v[44:45], v[58:59]
	v_add_f64 v[46:47], v[46:47], v[48:49]
	s_waitcnt vmcnt(8) lgkmcnt(0)
	v_mul_f64 v[48:49], v[6:7], v[16:17]
	v_mul_f64 v[16:17], v[8:9], v[16:17]
	v_fma_f64 v[52:53], v[4:5], v[10:11], v[52:53]
	v_fma_f64 v[56:57], v[2:3], v[10:11], -v[12:13]
	ds_load_b128 v[2:5], v1 offset:1328
	scratch_load_b128 v[10:13], off, off offset:528
	v_add_f64 v[44:45], v[44:45], v[54:55]
	v_add_f64 v[46:47], v[46:47], v[50:51]
	v_fma_f64 v[48:49], v[8:9], v[14:15], v[48:49]
	v_fma_f64 v[54:55], v[6:7], v[14:15], -v[16:17]
	scratch_load_b128 v[14:17], off, off offset:544
	ds_load_b128 v[6:9], v1 offset:1344
	s_waitcnt vmcnt(9) lgkmcnt(1)
	v_mul_f64 v[50:51], v[2:3], v[20:21]
	v_mul_f64 v[20:21], v[4:5], v[20:21]
	v_add_f64 v[44:45], v[44:45], v[56:57]
	v_add_f64 v[46:47], v[46:47], v[52:53]
	s_waitcnt vmcnt(8) lgkmcnt(0)
	v_mul_f64 v[52:53], v[6:7], v[24:25]
	;; [unrolled: 18-line block ×4, first 2 shown]
	v_mul_f64 v[56:57], v[8:9], v[185:186]
	v_fma_f64 v[52:53], v[4:5], v[34:35], v[52:53]
	v_fma_f64 v[58:59], v[2:3], v[34:35], -v[36:37]
	ds_load_b128 v[2:5], v1 offset:1424
	scratch_load_b128 v[34:37], off, off offset:624
	v_add_f64 v[44:45], v[44:45], v[54:55]
	v_add_f64 v[46:47], v[46:47], v[50:51]
	v_fma_f64 v[48:49], v[8:9], v[183:184], v[48:49]
	v_fma_f64 v[54:55], v[6:7], v[183:184], -v[56:57]
	scratch_load_b128 v[183:186], off, off offset:640
	ds_load_b128 v[6:9], v1 offset:1440
	s_waitcnt vmcnt(9) lgkmcnt(1)
	v_mul_f64 v[50:51], v[2:3], v[40:41]
	v_mul_f64 v[40:41], v[4:5], v[40:41]
	s_waitcnt vmcnt(8) lgkmcnt(0)
	v_mul_f64 v[56:57], v[8:9], v[181:182]
	v_add_f64 v[44:45], v[44:45], v[58:59]
	v_add_f64 v[46:47], v[46:47], v[52:53]
	v_mul_f64 v[52:53], v[6:7], v[181:182]
	v_fma_f64 v[50:51], v[4:5], v[38:39], v[50:51]
	v_fma_f64 v[58:59], v[2:3], v[38:39], -v[40:41]
	ds_load_b128 v[2:5], v1 offset:1456
	scratch_load_b128 v[38:41], off, off offset:656
	v_add_f64 v[44:45], v[44:45], v[54:55]
	v_add_f64 v[46:47], v[46:47], v[48:49]
	v_fma_f64 v[52:53], v[8:9], v[179:180], v[52:53]
	v_fma_f64 v[54:55], v[6:7], v[179:180], -v[56:57]
	scratch_load_b128 v[179:182], off, off offset:672
	ds_load_b128 v[6:9], v1 offset:1472
	s_waitcnt vmcnt(9) lgkmcnt(1)
	v_mul_f64 v[48:49], v[2:3], v[12:13]
	v_mul_f64 v[12:13], v[4:5], v[12:13]
	v_add_f64 v[44:45], v[44:45], v[58:59]
	v_add_f64 v[46:47], v[46:47], v[50:51]
	s_waitcnt vmcnt(8) lgkmcnt(0)
	v_mul_f64 v[50:51], v[6:7], v[16:17]
	v_mul_f64 v[16:17], v[8:9], v[16:17]
	v_fma_f64 v[48:49], v[4:5], v[10:11], v[48:49]
	v_fma_f64 v[56:57], v[2:3], v[10:11], -v[12:13]
	ds_load_b128 v[2:5], v1 offset:1488
	scratch_load_b128 v[10:13], off, off offset:688
	v_add_f64 v[44:45], v[44:45], v[54:55]
	v_add_f64 v[46:47], v[46:47], v[52:53]
	v_fma_f64 v[50:51], v[8:9], v[14:15], v[50:51]
	v_fma_f64 v[54:55], v[6:7], v[14:15], -v[16:17]
	scratch_load_b128 v[14:17], off, off offset:704
	ds_load_b128 v[6:9], v1 offset:1504
	s_waitcnt vmcnt(9) lgkmcnt(1)
	v_mul_f64 v[52:53], v[2:3], v[20:21]
	v_mul_f64 v[20:21], v[4:5], v[20:21]
	v_add_f64 v[44:45], v[44:45], v[56:57]
	v_add_f64 v[46:47], v[46:47], v[48:49]
	s_waitcnt vmcnt(8) lgkmcnt(0)
	v_mul_f64 v[48:49], v[6:7], v[24:25]
	;; [unrolled: 18-line block ×4, first 2 shown]
	v_mul_f64 v[56:57], v[8:9], v[185:186]
	v_fma_f64 v[48:49], v[4:5], v[34:35], v[48:49]
	v_fma_f64 v[58:59], v[2:3], v[34:35], -v[36:37]
	ds_load_b128 v[2:5], v1 offset:1584
	scratch_load_b128 v[34:37], off, off offset:784
	v_add_f64 v[44:45], v[44:45], v[54:55]
	v_add_f64 v[46:47], v[46:47], v[52:53]
	v_fma_f64 v[50:51], v[8:9], v[183:184], v[50:51]
	v_fma_f64 v[54:55], v[6:7], v[183:184], -v[56:57]
	ds_load_b128 v[6:9], v1 offset:1600
	s_waitcnt vmcnt(8) lgkmcnt(1)
	v_mul_f64 v[52:53], v[2:3], v[40:41]
	v_mul_f64 v[40:41], v[4:5], v[40:41]
	scratch_load_b128 v[183:186], off, off offset:800
	s_waitcnt vmcnt(8) lgkmcnt(0)
	v_mul_f64 v[56:57], v[8:9], v[181:182]
	v_add_f64 v[44:45], v[44:45], v[58:59]
	v_add_f64 v[46:47], v[46:47], v[48:49]
	v_mul_f64 v[48:49], v[6:7], v[181:182]
	v_fma_f64 v[52:53], v[4:5], v[38:39], v[52:53]
	v_fma_f64 v[58:59], v[2:3], v[38:39], -v[40:41]
	ds_load_b128 v[2:5], v1 offset:1616
	scratch_load_b128 v[38:41], off, off offset:816
	v_add_f64 v[44:45], v[44:45], v[54:55]
	v_add_f64 v[46:47], v[46:47], v[50:51]
	v_fma_f64 v[48:49], v[8:9], v[179:180], v[48:49]
	v_fma_f64 v[54:55], v[6:7], v[179:180], -v[56:57]
	ds_load_b128 v[6:9], v1 offset:1632
	s_waitcnt vmcnt(8) lgkmcnt(1)
	v_mul_f64 v[50:51], v[2:3], v[12:13]
	v_mul_f64 v[12:13], v[4:5], v[12:13]
	scratch_load_b128 v[179:182], off, off offset:832
	v_add_f64 v[44:45], v[44:45], v[58:59]
	v_add_f64 v[46:47], v[46:47], v[52:53]
	s_waitcnt vmcnt(8) lgkmcnt(0)
	v_mul_f64 v[52:53], v[6:7], v[16:17]
	v_mul_f64 v[16:17], v[8:9], v[16:17]
	v_fma_f64 v[50:51], v[4:5], v[10:11], v[50:51]
	v_fma_f64 v[56:57], v[2:3], v[10:11], -v[12:13]
	scratch_load_b128 v[10:13], off, off offset:848
	ds_load_b128 v[2:5], v1 offset:1648
	v_add_f64 v[44:45], v[44:45], v[54:55]
	v_add_f64 v[46:47], v[46:47], v[48:49]
	v_fma_f64 v[52:53], v[8:9], v[14:15], v[52:53]
	v_fma_f64 v[54:55], v[6:7], v[14:15], -v[16:17]
	ds_load_b128 v[6:9], v1 offset:1664
	s_waitcnt vmcnt(8) lgkmcnt(1)
	v_mul_f64 v[48:49], v[2:3], v[20:21]
	v_mul_f64 v[20:21], v[4:5], v[20:21]
	scratch_load_b128 v[14:17], off, off offset:864
	v_add_f64 v[44:45], v[44:45], v[56:57]
	v_add_f64 v[46:47], v[46:47], v[50:51]
	s_waitcnt vmcnt(8) lgkmcnt(0)
	v_mul_f64 v[50:51], v[6:7], v[24:25]
	v_mul_f64 v[24:25], v[8:9], v[24:25]
	v_fma_f64 v[48:49], v[4:5], v[18:19], v[48:49]
	v_fma_f64 v[56:57], v[2:3], v[18:19], -v[20:21]
	scratch_load_b128 v[18:21], off, off offset:880
	ds_load_b128 v[2:5], v1 offset:1680
	;; [unrolled: 18-line block ×3, first 2 shown]
	v_add_f64 v[44:45], v[44:45], v[54:55]
	v_add_f64 v[46:47], v[46:47], v[50:51]
	v_fma_f64 v[48:49], v[8:9], v[30:31], v[48:49]
	v_fma_f64 v[30:31], v[6:7], v[30:31], -v[32:33]
	ds_load_b128 v[6:9], v1 offset:1728
	s_waitcnt vmcnt(8) lgkmcnt(1)
	v_mul_f64 v[50:51], v[2:3], v[36:37]
	v_mul_f64 v[36:37], v[4:5], v[36:37]
	v_add_f64 v[32:33], v[44:45], v[56:57]
	v_add_f64 v[44:45], v[46:47], v[52:53]
	s_delay_alu instid0(VALU_DEP_4) | instskip(NEXT) | instid1(VALU_DEP_4)
	v_fma_f64 v[50:51], v[4:5], v[34:35], v[50:51]
	v_fma_f64 v[34:35], v[2:3], v[34:35], -v[36:37]
	ds_load_b128 v[2:5], v1 offset:1744
	v_add_f64 v[30:31], v[32:33], v[30:31]
	v_add_f64 v[32:33], v[44:45], v[48:49]
	s_delay_alu instid0(VALU_DEP_2) | instskip(NEXT) | instid1(VALU_DEP_2)
	v_add_f64 v[34:35], v[30:31], v[34:35]
	v_add_f64 v[48:49], v[32:33], v[50:51]
	scratch_load_b128 v[30:33], off, off offset:160
	s_waitcnt vmcnt(8) lgkmcnt(1)
	v_mul_f64 v[46:47], v[6:7], v[185:186]
	v_mul_f64 v[52:53], v[8:9], v[185:186]
	s_delay_alu instid0(VALU_DEP_2) | instskip(NEXT) | instid1(VALU_DEP_2)
	v_fma_f64 v[44:45], v[8:9], v[183:184], v[46:47]
	v_fma_f64 v[46:47], v[6:7], v[183:184], -v[52:53]
	ds_load_b128 v[6:9], v1 offset:1760
	s_waitcnt vmcnt(7) lgkmcnt(1)
	v_mul_f64 v[36:37], v[2:3], v[40:41]
	v_mul_f64 v[40:41], v[4:5], v[40:41]
	s_waitcnt vmcnt(6) lgkmcnt(0)
	v_mul_f64 v[50:51], v[6:7], v[181:182]
	v_mul_f64 v[52:53], v[8:9], v[181:182]
	v_add_f64 v[34:35], v[34:35], v[46:47]
	v_fma_f64 v[36:37], v[4:5], v[38:39], v[36:37]
	v_fma_f64 v[38:39], v[2:3], v[38:39], -v[40:41]
	v_add_f64 v[40:41], v[48:49], v[44:45]
	ds_load_b128 v[2:5], v1 offset:1776
	v_fma_f64 v[46:47], v[8:9], v[179:180], v[50:51]
	v_fma_f64 v[48:49], v[6:7], v[179:180], -v[52:53]
	ds_load_b128 v[6:9], v1 offset:1792
	s_waitcnt vmcnt(5) lgkmcnt(1)
	v_mul_f64 v[44:45], v[2:3], v[12:13]
	v_mul_f64 v[12:13], v[4:5], v[12:13]
	v_add_f64 v[34:35], v[34:35], v[38:39]
	v_add_f64 v[36:37], v[40:41], v[36:37]
	s_waitcnt vmcnt(4) lgkmcnt(0)
	v_mul_f64 v[38:39], v[6:7], v[16:17]
	v_mul_f64 v[16:17], v[8:9], v[16:17]
	v_fma_f64 v[40:41], v[4:5], v[10:11], v[44:45]
	v_fma_f64 v[10:11], v[2:3], v[10:11], -v[12:13]
	ds_load_b128 v[2:5], v1 offset:1808
	v_add_f64 v[12:13], v[34:35], v[48:49]
	v_add_f64 v[34:35], v[36:37], v[46:47]
	v_fma_f64 v[38:39], v[8:9], v[14:15], v[38:39]
	v_fma_f64 v[14:15], v[6:7], v[14:15], -v[16:17]
	ds_load_b128 v[6:9], v1 offset:1824
	s_waitcnt vmcnt(3) lgkmcnt(1)
	v_mul_f64 v[36:37], v[2:3], v[20:21]
	v_mul_f64 v[20:21], v[4:5], v[20:21]
	s_waitcnt vmcnt(2) lgkmcnt(0)
	v_mul_f64 v[16:17], v[6:7], v[24:25]
	v_mul_f64 v[24:25], v[8:9], v[24:25]
	v_add_f64 v[10:11], v[12:13], v[10:11]
	v_add_f64 v[12:13], v[34:35], v[40:41]
	v_fma_f64 v[34:35], v[4:5], v[18:19], v[36:37]
	v_fma_f64 v[18:19], v[2:3], v[18:19], -v[20:21]
	ds_load_b128 v[2:5], v1 offset:1840
	v_fma_f64 v[8:9], v[8:9], v[22:23], v[16:17]
	v_fma_f64 v[6:7], v[6:7], v[22:23], -v[24:25]
	s_waitcnt vmcnt(1) lgkmcnt(0)
	v_mul_f64 v[20:21], v[4:5], v[28:29]
	v_add_f64 v[10:11], v[10:11], v[14:15]
	v_add_f64 v[12:13], v[12:13], v[38:39]
	v_mul_f64 v[14:15], v[2:3], v[28:29]
	s_delay_alu instid0(VALU_DEP_4) | instskip(NEXT) | instid1(VALU_DEP_4)
	v_fma_f64 v[2:3], v[2:3], v[26:27], -v[20:21]
	v_add_f64 v[10:11], v[10:11], v[18:19]
	s_delay_alu instid0(VALU_DEP_4) | instskip(NEXT) | instid1(VALU_DEP_4)
	v_add_f64 v[12:13], v[12:13], v[34:35]
	v_fma_f64 v[4:5], v[4:5], v[26:27], v[14:15]
	s_delay_alu instid0(VALU_DEP_3) | instskip(NEXT) | instid1(VALU_DEP_3)
	v_add_f64 v[6:7], v[10:11], v[6:7]
	v_add_f64 v[8:9], v[12:13], v[8:9]
	s_delay_alu instid0(VALU_DEP_2) | instskip(NEXT) | instid1(VALU_DEP_2)
	v_add_f64 v[2:3], v[6:7], v[2:3]
	v_add_f64 v[4:5], v[8:9], v[4:5]
	s_waitcnt vmcnt(0)
	s_delay_alu instid0(VALU_DEP_2) | instskip(NEXT) | instid1(VALU_DEP_2)
	v_add_f64 v[2:3], v[30:31], -v[2:3]
	v_add_f64 v[4:5], v[32:33], -v[4:5]
	scratch_store_b128 off, v[2:5], off offset:160
	v_cmpx_lt_u32_e32 9, v158
	s_cbranch_execz .LBB57_343
; %bb.342:
	scratch_load_b128 v[5:8], v207, off
	v_mov_b32_e32 v2, v1
	v_mov_b32_e32 v3, v1
	;; [unrolled: 1-line block ×3, first 2 shown]
	scratch_store_b128 off, v[1:4], off offset:144
	s_waitcnt vmcnt(0)
	ds_store_b128 v216, v[5:8]
.LBB57_343:
	s_or_b32 exec_lo, exec_lo, s2
	s_waitcnt lgkmcnt(0)
	s_waitcnt_vscnt null, 0x0
	s_barrier
	buffer_gl0_inv
	s_clause 0x7
	scratch_load_b128 v[2:5], off, off offset:160
	scratch_load_b128 v[6:9], off, off offset:176
	;; [unrolled: 1-line block ×8, first 2 shown]
	ds_load_b128 v[38:41], v1 offset:1088
	ds_load_b128 v[179:182], v1 offset:1104
	s_clause 0x1
	scratch_load_b128 v[34:37], off, off offset:288
	scratch_load_b128 v[183:186], off, off offset:304
	s_mov_b32 s2, exec_lo
	s_waitcnt vmcnt(9) lgkmcnt(1)
	v_mul_f64 v[44:45], v[40:41], v[4:5]
	v_mul_f64 v[4:5], v[38:39], v[4:5]
	s_waitcnt vmcnt(8) lgkmcnt(0)
	v_mul_f64 v[46:47], v[179:180], v[8:9]
	v_mul_f64 v[8:9], v[181:182], v[8:9]
	s_delay_alu instid0(VALU_DEP_4) | instskip(NEXT) | instid1(VALU_DEP_4)
	v_fma_f64 v[44:45], v[38:39], v[2:3], -v[44:45]
	v_fma_f64 v[48:49], v[40:41], v[2:3], v[4:5]
	ds_load_b128 v[2:5], v1 offset:1120
	scratch_load_b128 v[38:41], off, off offset:320
	v_fma_f64 v[46:47], v[181:182], v[6:7], v[46:47]
	v_fma_f64 v[52:53], v[179:180], v[6:7], -v[8:9]
	scratch_load_b128 v[179:182], off, off offset:336
	ds_load_b128 v[6:9], v1 offset:1136
	s_waitcnt vmcnt(9) lgkmcnt(1)
	v_mul_f64 v[50:51], v[2:3], v[12:13]
	v_mul_f64 v[12:13], v[4:5], v[12:13]
	s_waitcnt vmcnt(8) lgkmcnt(0)
	v_mul_f64 v[54:55], v[6:7], v[16:17]
	v_mul_f64 v[16:17], v[8:9], v[16:17]
	v_add_f64 v[44:45], v[44:45], 0
	v_add_f64 v[48:49], v[48:49], 0
	v_fma_f64 v[50:51], v[4:5], v[10:11], v[50:51]
	v_fma_f64 v[56:57], v[2:3], v[10:11], -v[12:13]
	ds_load_b128 v[2:5], v1 offset:1152
	scratch_load_b128 v[10:13], off, off offset:352
	v_add_f64 v[44:45], v[44:45], v[52:53]
	v_add_f64 v[46:47], v[48:49], v[46:47]
	v_fma_f64 v[52:53], v[8:9], v[14:15], v[54:55]
	v_fma_f64 v[54:55], v[6:7], v[14:15], -v[16:17]
	scratch_load_b128 v[14:17], off, off offset:368
	ds_load_b128 v[6:9], v1 offset:1168
	s_waitcnt vmcnt(9) lgkmcnt(1)
	v_mul_f64 v[48:49], v[2:3], v[20:21]
	v_mul_f64 v[20:21], v[4:5], v[20:21]
	v_add_f64 v[44:45], v[44:45], v[56:57]
	v_add_f64 v[46:47], v[46:47], v[50:51]
	s_waitcnt vmcnt(8) lgkmcnt(0)
	v_mul_f64 v[50:51], v[6:7], v[24:25]
	v_mul_f64 v[24:25], v[8:9], v[24:25]
	v_fma_f64 v[48:49], v[4:5], v[18:19], v[48:49]
	v_fma_f64 v[56:57], v[2:3], v[18:19], -v[20:21]
	ds_load_b128 v[2:5], v1 offset:1184
	scratch_load_b128 v[18:21], off, off offset:384
	v_add_f64 v[44:45], v[44:45], v[54:55]
	v_add_f64 v[46:47], v[46:47], v[52:53]
	v_fma_f64 v[50:51], v[8:9], v[22:23], v[50:51]
	v_fma_f64 v[54:55], v[6:7], v[22:23], -v[24:25]
	scratch_load_b128 v[22:25], off, off offset:400
	ds_load_b128 v[6:9], v1 offset:1200
	s_waitcnt vmcnt(9) lgkmcnt(1)
	v_mul_f64 v[52:53], v[2:3], v[28:29]
	v_mul_f64 v[28:29], v[4:5], v[28:29]
	v_add_f64 v[44:45], v[44:45], v[56:57]
	v_add_f64 v[46:47], v[46:47], v[48:49]
	s_waitcnt vmcnt(8) lgkmcnt(0)
	v_mul_f64 v[48:49], v[6:7], v[32:33]
	v_mul_f64 v[32:33], v[8:9], v[32:33]
	;; [unrolled: 18-line block ×3, first 2 shown]
	v_fma_f64 v[50:51], v[4:5], v[34:35], v[50:51]
	v_fma_f64 v[58:59], v[2:3], v[34:35], -v[36:37]
	ds_load_b128 v[2:5], v1 offset:1248
	scratch_load_b128 v[34:37], off, off offset:448
	v_add_f64 v[44:45], v[44:45], v[54:55]
	v_add_f64 v[46:47], v[46:47], v[48:49]
	v_fma_f64 v[52:53], v[8:9], v[183:184], v[52:53]
	v_fma_f64 v[54:55], v[6:7], v[183:184], -v[56:57]
	scratch_load_b128 v[183:186], off, off offset:464
	ds_load_b128 v[6:9], v1 offset:1264
	s_waitcnt vmcnt(9) lgkmcnt(1)
	v_mul_f64 v[48:49], v[2:3], v[40:41]
	v_mul_f64 v[40:41], v[4:5], v[40:41]
	s_waitcnt vmcnt(8) lgkmcnt(0)
	v_mul_f64 v[56:57], v[8:9], v[181:182]
	v_add_f64 v[44:45], v[44:45], v[58:59]
	v_add_f64 v[46:47], v[46:47], v[50:51]
	v_mul_f64 v[50:51], v[6:7], v[181:182]
	v_fma_f64 v[48:49], v[4:5], v[38:39], v[48:49]
	v_fma_f64 v[58:59], v[2:3], v[38:39], -v[40:41]
	ds_load_b128 v[2:5], v1 offset:1280
	scratch_load_b128 v[38:41], off, off offset:480
	v_add_f64 v[44:45], v[44:45], v[54:55]
	v_add_f64 v[46:47], v[46:47], v[52:53]
	v_fma_f64 v[50:51], v[8:9], v[179:180], v[50:51]
	v_fma_f64 v[54:55], v[6:7], v[179:180], -v[56:57]
	scratch_load_b128 v[179:182], off, off offset:496
	ds_load_b128 v[6:9], v1 offset:1296
	s_waitcnt vmcnt(9) lgkmcnt(1)
	v_mul_f64 v[52:53], v[2:3], v[12:13]
	v_mul_f64 v[12:13], v[4:5], v[12:13]
	v_add_f64 v[44:45], v[44:45], v[58:59]
	v_add_f64 v[46:47], v[46:47], v[48:49]
	s_waitcnt vmcnt(8) lgkmcnt(0)
	v_mul_f64 v[48:49], v[6:7], v[16:17]
	v_mul_f64 v[16:17], v[8:9], v[16:17]
	v_fma_f64 v[52:53], v[4:5], v[10:11], v[52:53]
	v_fma_f64 v[56:57], v[2:3], v[10:11], -v[12:13]
	ds_load_b128 v[2:5], v1 offset:1312
	scratch_load_b128 v[10:13], off, off offset:512
	v_add_f64 v[44:45], v[44:45], v[54:55]
	v_add_f64 v[46:47], v[46:47], v[50:51]
	v_fma_f64 v[48:49], v[8:9], v[14:15], v[48:49]
	v_fma_f64 v[54:55], v[6:7], v[14:15], -v[16:17]
	scratch_load_b128 v[14:17], off, off offset:528
	ds_load_b128 v[6:9], v1 offset:1328
	s_waitcnt vmcnt(9) lgkmcnt(1)
	v_mul_f64 v[50:51], v[2:3], v[20:21]
	v_mul_f64 v[20:21], v[4:5], v[20:21]
	v_add_f64 v[44:45], v[44:45], v[56:57]
	v_add_f64 v[46:47], v[46:47], v[52:53]
	s_waitcnt vmcnt(8) lgkmcnt(0)
	v_mul_f64 v[52:53], v[6:7], v[24:25]
	;; [unrolled: 18-line block ×4, first 2 shown]
	v_mul_f64 v[56:57], v[8:9], v[185:186]
	v_fma_f64 v[52:53], v[4:5], v[34:35], v[52:53]
	v_fma_f64 v[58:59], v[2:3], v[34:35], -v[36:37]
	ds_load_b128 v[2:5], v1 offset:1408
	scratch_load_b128 v[34:37], off, off offset:608
	v_add_f64 v[44:45], v[44:45], v[54:55]
	v_add_f64 v[46:47], v[46:47], v[50:51]
	v_fma_f64 v[48:49], v[8:9], v[183:184], v[48:49]
	v_fma_f64 v[54:55], v[6:7], v[183:184], -v[56:57]
	scratch_load_b128 v[183:186], off, off offset:624
	ds_load_b128 v[6:9], v1 offset:1424
	s_waitcnt vmcnt(9) lgkmcnt(1)
	v_mul_f64 v[50:51], v[2:3], v[40:41]
	v_mul_f64 v[40:41], v[4:5], v[40:41]
	s_waitcnt vmcnt(8) lgkmcnt(0)
	v_mul_f64 v[56:57], v[8:9], v[181:182]
	v_add_f64 v[44:45], v[44:45], v[58:59]
	v_add_f64 v[46:47], v[46:47], v[52:53]
	v_mul_f64 v[52:53], v[6:7], v[181:182]
	v_fma_f64 v[50:51], v[4:5], v[38:39], v[50:51]
	v_fma_f64 v[58:59], v[2:3], v[38:39], -v[40:41]
	ds_load_b128 v[2:5], v1 offset:1440
	scratch_load_b128 v[38:41], off, off offset:640
	v_add_f64 v[44:45], v[44:45], v[54:55]
	v_add_f64 v[46:47], v[46:47], v[48:49]
	v_fma_f64 v[52:53], v[8:9], v[179:180], v[52:53]
	v_fma_f64 v[54:55], v[6:7], v[179:180], -v[56:57]
	scratch_load_b128 v[179:182], off, off offset:656
	ds_load_b128 v[6:9], v1 offset:1456
	s_waitcnt vmcnt(9) lgkmcnt(1)
	v_mul_f64 v[48:49], v[2:3], v[12:13]
	v_mul_f64 v[12:13], v[4:5], v[12:13]
	v_add_f64 v[44:45], v[44:45], v[58:59]
	v_add_f64 v[46:47], v[46:47], v[50:51]
	s_waitcnt vmcnt(8) lgkmcnt(0)
	v_mul_f64 v[50:51], v[6:7], v[16:17]
	v_mul_f64 v[16:17], v[8:9], v[16:17]
	v_fma_f64 v[48:49], v[4:5], v[10:11], v[48:49]
	v_fma_f64 v[56:57], v[2:3], v[10:11], -v[12:13]
	ds_load_b128 v[2:5], v1 offset:1472
	scratch_load_b128 v[10:13], off, off offset:672
	v_add_f64 v[44:45], v[44:45], v[54:55]
	v_add_f64 v[46:47], v[46:47], v[52:53]
	v_fma_f64 v[50:51], v[8:9], v[14:15], v[50:51]
	v_fma_f64 v[54:55], v[6:7], v[14:15], -v[16:17]
	scratch_load_b128 v[14:17], off, off offset:688
	ds_load_b128 v[6:9], v1 offset:1488
	s_waitcnt vmcnt(9) lgkmcnt(1)
	v_mul_f64 v[52:53], v[2:3], v[20:21]
	v_mul_f64 v[20:21], v[4:5], v[20:21]
	v_add_f64 v[44:45], v[44:45], v[56:57]
	v_add_f64 v[46:47], v[46:47], v[48:49]
	s_waitcnt vmcnt(8) lgkmcnt(0)
	v_mul_f64 v[48:49], v[6:7], v[24:25]
	;; [unrolled: 18-line block ×4, first 2 shown]
	v_mul_f64 v[56:57], v[8:9], v[185:186]
	v_fma_f64 v[48:49], v[4:5], v[34:35], v[48:49]
	v_fma_f64 v[58:59], v[2:3], v[34:35], -v[36:37]
	ds_load_b128 v[2:5], v1 offset:1568
	scratch_load_b128 v[34:37], off, off offset:768
	v_add_f64 v[44:45], v[44:45], v[54:55]
	v_add_f64 v[46:47], v[46:47], v[52:53]
	v_fma_f64 v[50:51], v[8:9], v[183:184], v[50:51]
	v_fma_f64 v[54:55], v[6:7], v[183:184], -v[56:57]
	scratch_load_b128 v[183:186], off, off offset:784
	ds_load_b128 v[6:9], v1 offset:1584
	s_waitcnt vmcnt(9) lgkmcnt(1)
	v_mul_f64 v[52:53], v[2:3], v[40:41]
	v_mul_f64 v[40:41], v[4:5], v[40:41]
	s_waitcnt vmcnt(8) lgkmcnt(0)
	v_mul_f64 v[56:57], v[8:9], v[181:182]
	v_add_f64 v[44:45], v[44:45], v[58:59]
	v_add_f64 v[46:47], v[46:47], v[48:49]
	v_mul_f64 v[48:49], v[6:7], v[181:182]
	v_fma_f64 v[52:53], v[4:5], v[38:39], v[52:53]
	v_fma_f64 v[58:59], v[2:3], v[38:39], -v[40:41]
	ds_load_b128 v[2:5], v1 offset:1600
	scratch_load_b128 v[38:41], off, off offset:800
	v_add_f64 v[44:45], v[44:45], v[54:55]
	v_add_f64 v[46:47], v[46:47], v[50:51]
	v_fma_f64 v[48:49], v[8:9], v[179:180], v[48:49]
	v_fma_f64 v[54:55], v[6:7], v[179:180], -v[56:57]
	ds_load_b128 v[6:9], v1 offset:1616
	s_waitcnt vmcnt(8) lgkmcnt(1)
	v_mul_f64 v[50:51], v[2:3], v[12:13]
	v_mul_f64 v[12:13], v[4:5], v[12:13]
	scratch_load_b128 v[179:182], off, off offset:816
	v_add_f64 v[44:45], v[44:45], v[58:59]
	v_add_f64 v[46:47], v[46:47], v[52:53]
	s_waitcnt vmcnt(8) lgkmcnt(0)
	v_mul_f64 v[52:53], v[6:7], v[16:17]
	v_mul_f64 v[16:17], v[8:9], v[16:17]
	v_fma_f64 v[50:51], v[4:5], v[10:11], v[50:51]
	v_fma_f64 v[56:57], v[2:3], v[10:11], -v[12:13]
	ds_load_b128 v[2:5], v1 offset:1632
	scratch_load_b128 v[10:13], off, off offset:832
	v_add_f64 v[44:45], v[44:45], v[54:55]
	v_add_f64 v[46:47], v[46:47], v[48:49]
	v_fma_f64 v[52:53], v[8:9], v[14:15], v[52:53]
	v_fma_f64 v[54:55], v[6:7], v[14:15], -v[16:17]
	ds_load_b128 v[6:9], v1 offset:1648
	s_waitcnt vmcnt(8) lgkmcnt(1)
	v_mul_f64 v[48:49], v[2:3], v[20:21]
	v_mul_f64 v[20:21], v[4:5], v[20:21]
	scratch_load_b128 v[14:17], off, off offset:848
	v_add_f64 v[44:45], v[44:45], v[56:57]
	v_add_f64 v[46:47], v[46:47], v[50:51]
	s_waitcnt vmcnt(8) lgkmcnt(0)
	v_mul_f64 v[50:51], v[6:7], v[24:25]
	v_mul_f64 v[24:25], v[8:9], v[24:25]
	v_fma_f64 v[48:49], v[4:5], v[18:19], v[48:49]
	v_fma_f64 v[56:57], v[2:3], v[18:19], -v[20:21]
	scratch_load_b128 v[18:21], off, off offset:864
	ds_load_b128 v[2:5], v1 offset:1664
	v_add_f64 v[44:45], v[44:45], v[54:55]
	v_add_f64 v[46:47], v[46:47], v[52:53]
	v_fma_f64 v[50:51], v[8:9], v[22:23], v[50:51]
	v_fma_f64 v[54:55], v[6:7], v[22:23], -v[24:25]
	ds_load_b128 v[6:9], v1 offset:1680
	s_waitcnt vmcnt(8) lgkmcnt(1)
	v_mul_f64 v[52:53], v[2:3], v[28:29]
	v_mul_f64 v[28:29], v[4:5], v[28:29]
	scratch_load_b128 v[22:25], off, off offset:880
	v_add_f64 v[44:45], v[44:45], v[56:57]
	v_add_f64 v[46:47], v[46:47], v[48:49]
	s_waitcnt vmcnt(8) lgkmcnt(0)
	v_mul_f64 v[48:49], v[6:7], v[32:33]
	v_mul_f64 v[32:33], v[8:9], v[32:33]
	v_fma_f64 v[52:53], v[4:5], v[26:27], v[52:53]
	v_fma_f64 v[56:57], v[2:3], v[26:27], -v[28:29]
	scratch_load_b128 v[26:29], off, off offset:896
	ds_load_b128 v[2:5], v1 offset:1696
	v_add_f64 v[44:45], v[44:45], v[54:55]
	v_add_f64 v[46:47], v[46:47], v[50:51]
	v_fma_f64 v[48:49], v[8:9], v[30:31], v[48:49]
	v_fma_f64 v[54:55], v[6:7], v[30:31], -v[32:33]
	ds_load_b128 v[6:9], v1 offset:1712
	s_waitcnt vmcnt(8) lgkmcnt(1)
	v_mul_f64 v[50:51], v[2:3], v[36:37]
	v_mul_f64 v[36:37], v[4:5], v[36:37]
	scratch_load_b128 v[30:33], off, off offset:912
	v_add_f64 v[44:45], v[44:45], v[56:57]
	v_add_f64 v[46:47], v[46:47], v[52:53]
	s_waitcnt vmcnt(8) lgkmcnt(0)
	v_mul_f64 v[52:53], v[6:7], v[185:186]
	v_mul_f64 v[56:57], v[8:9], v[185:186]
	v_fma_f64 v[50:51], v[4:5], v[34:35], v[50:51]
	v_fma_f64 v[34:35], v[2:3], v[34:35], -v[36:37]
	ds_load_b128 v[2:5], v1 offset:1728
	v_add_f64 v[36:37], v[44:45], v[54:55]
	v_add_f64 v[44:45], v[46:47], v[48:49]
	v_fma_f64 v[48:49], v[8:9], v[183:184], v[52:53]
	v_fma_f64 v[52:53], v[6:7], v[183:184], -v[56:57]
	ds_load_b128 v[6:9], v1 offset:1744
	s_waitcnt vmcnt(7) lgkmcnt(1)
	v_mul_f64 v[46:47], v[2:3], v[40:41]
	v_mul_f64 v[40:41], v[4:5], v[40:41]
	v_add_f64 v[34:35], v[36:37], v[34:35]
	v_add_f64 v[36:37], v[44:45], v[50:51]
	s_delay_alu instid0(VALU_DEP_4) | instskip(NEXT) | instid1(VALU_DEP_4)
	v_fma_f64 v[46:47], v[4:5], v[38:39], v[46:47]
	v_fma_f64 v[38:39], v[2:3], v[38:39], -v[40:41]
	ds_load_b128 v[2:5], v1 offset:1760
	v_add_f64 v[40:41], v[34:35], v[52:53]
	v_add_f64 v[48:49], v[36:37], v[48:49]
	scratch_load_b128 v[34:37], off, off offset:144
	s_waitcnt vmcnt(7) lgkmcnt(1)
	v_mul_f64 v[44:45], v[6:7], v[181:182]
	v_mul_f64 v[50:51], v[8:9], v[181:182]
	v_add_f64 v[38:39], v[40:41], v[38:39]
	v_add_f64 v[40:41], v[48:49], v[46:47]
	s_delay_alu instid0(VALU_DEP_4) | instskip(NEXT) | instid1(VALU_DEP_4)
	v_fma_f64 v[44:45], v[8:9], v[179:180], v[44:45]
	v_fma_f64 v[50:51], v[6:7], v[179:180], -v[50:51]
	ds_load_b128 v[6:9], v1 offset:1776
	s_waitcnt vmcnt(6) lgkmcnt(1)
	v_mul_f64 v[52:53], v[2:3], v[12:13]
	v_mul_f64 v[12:13], v[4:5], v[12:13]
	s_waitcnt vmcnt(5) lgkmcnt(0)
	v_mul_f64 v[46:47], v[6:7], v[16:17]
	v_mul_f64 v[16:17], v[8:9], v[16:17]
	s_delay_alu instid0(VALU_DEP_4) | instskip(NEXT) | instid1(VALU_DEP_4)
	v_fma_f64 v[48:49], v[4:5], v[10:11], v[52:53]
	v_fma_f64 v[10:11], v[2:3], v[10:11], -v[12:13]
	v_add_f64 v[12:13], v[38:39], v[50:51]
	v_add_f64 v[38:39], v[40:41], v[44:45]
	ds_load_b128 v[2:5], v1 offset:1792
	v_fma_f64 v[44:45], v[8:9], v[14:15], v[46:47]
	v_fma_f64 v[14:15], v[6:7], v[14:15], -v[16:17]
	ds_load_b128 v[6:9], v1 offset:1808
	s_waitcnt vmcnt(4) lgkmcnt(1)
	v_mul_f64 v[40:41], v[2:3], v[20:21]
	v_mul_f64 v[20:21], v[4:5], v[20:21]
	v_add_f64 v[10:11], v[12:13], v[10:11]
	v_add_f64 v[12:13], v[38:39], v[48:49]
	s_waitcnt vmcnt(3) lgkmcnt(0)
	v_mul_f64 v[16:17], v[6:7], v[24:25]
	v_mul_f64 v[24:25], v[8:9], v[24:25]
	v_fma_f64 v[38:39], v[4:5], v[18:19], v[40:41]
	v_fma_f64 v[18:19], v[2:3], v[18:19], -v[20:21]
	ds_load_b128 v[2:5], v1 offset:1824
	v_add_f64 v[10:11], v[10:11], v[14:15]
	v_add_f64 v[12:13], v[12:13], v[44:45]
	v_fma_f64 v[16:17], v[8:9], v[22:23], v[16:17]
	v_fma_f64 v[22:23], v[6:7], v[22:23], -v[24:25]
	ds_load_b128 v[6:9], v1 offset:1840
	s_waitcnt vmcnt(2) lgkmcnt(1)
	v_mul_f64 v[14:15], v[2:3], v[28:29]
	v_mul_f64 v[20:21], v[4:5], v[28:29]
	s_waitcnt vmcnt(1) lgkmcnt(0)
	v_mul_f64 v[24:25], v[8:9], v[32:33]
	v_add_f64 v[10:11], v[10:11], v[18:19]
	v_add_f64 v[12:13], v[12:13], v[38:39]
	v_mul_f64 v[18:19], v[6:7], v[32:33]
	v_fma_f64 v[4:5], v[4:5], v[26:27], v[14:15]
	v_fma_f64 v[1:2], v[2:3], v[26:27], -v[20:21]
	v_fma_f64 v[6:7], v[6:7], v[30:31], -v[24:25]
	v_add_f64 v[10:11], v[10:11], v[22:23]
	v_add_f64 v[12:13], v[12:13], v[16:17]
	v_fma_f64 v[8:9], v[8:9], v[30:31], v[18:19]
	s_delay_alu instid0(VALU_DEP_3) | instskip(NEXT) | instid1(VALU_DEP_3)
	v_add_f64 v[1:2], v[10:11], v[1:2]
	v_add_f64 v[3:4], v[12:13], v[4:5]
	s_delay_alu instid0(VALU_DEP_2) | instskip(NEXT) | instid1(VALU_DEP_2)
	v_add_f64 v[1:2], v[1:2], v[6:7]
	v_add_f64 v[3:4], v[3:4], v[8:9]
	s_waitcnt vmcnt(0)
	s_delay_alu instid0(VALU_DEP_2) | instskip(NEXT) | instid1(VALU_DEP_2)
	v_add_f64 v[1:2], v[34:35], -v[1:2]
	v_add_f64 v[3:4], v[36:37], -v[3:4]
	scratch_store_b128 off, v[1:4], off offset:144
	v_cmpx_lt_u32_e32 8, v158
	s_cbranch_execz .LBB57_345
; %bb.344:
	scratch_load_b128 v[1:4], v208, off
	v_mov_b32_e32 v5, 0
	s_delay_alu instid0(VALU_DEP_1)
	v_mov_b32_e32 v6, v5
	v_mov_b32_e32 v7, v5
	;; [unrolled: 1-line block ×3, first 2 shown]
	scratch_store_b128 off, v[5:8], off offset:128
	s_waitcnt vmcnt(0)
	ds_store_b128 v216, v[1:4]
.LBB57_345:
	s_or_b32 exec_lo, exec_lo, s2
	s_waitcnt lgkmcnt(0)
	s_waitcnt_vscnt null, 0x0
	s_barrier
	buffer_gl0_inv
	s_clause 0x7
	scratch_load_b128 v[2:5], off, off offset:144
	scratch_load_b128 v[6:9], off, off offset:160
	;; [unrolled: 1-line block ×8, first 2 shown]
	v_mov_b32_e32 v1, 0
	s_clause 0x1
	scratch_load_b128 v[34:37], off, off offset:272
	scratch_load_b128 v[183:186], off, off offset:288
	s_mov_b32 s2, exec_lo
	ds_load_b128 v[38:41], v1 offset:1072
	ds_load_b128 v[179:182], v1 offset:1088
	s_waitcnt vmcnt(9) lgkmcnt(1)
	v_mul_f64 v[44:45], v[40:41], v[4:5]
	v_mul_f64 v[4:5], v[38:39], v[4:5]
	s_waitcnt vmcnt(8) lgkmcnt(0)
	v_mul_f64 v[46:47], v[179:180], v[8:9]
	v_mul_f64 v[8:9], v[181:182], v[8:9]
	s_delay_alu instid0(VALU_DEP_4) | instskip(NEXT) | instid1(VALU_DEP_4)
	v_fma_f64 v[44:45], v[38:39], v[2:3], -v[44:45]
	v_fma_f64 v[48:49], v[40:41], v[2:3], v[4:5]
	ds_load_b128 v[2:5], v1 offset:1104
	scratch_load_b128 v[38:41], off, off offset:304
	v_fma_f64 v[46:47], v[181:182], v[6:7], v[46:47]
	v_fma_f64 v[52:53], v[179:180], v[6:7], -v[8:9]
	scratch_load_b128 v[179:182], off, off offset:320
	ds_load_b128 v[6:9], v1 offset:1120
	s_waitcnt vmcnt(9) lgkmcnt(1)
	v_mul_f64 v[50:51], v[2:3], v[12:13]
	v_mul_f64 v[12:13], v[4:5], v[12:13]
	s_waitcnt vmcnt(8) lgkmcnt(0)
	v_mul_f64 v[54:55], v[6:7], v[16:17]
	v_mul_f64 v[16:17], v[8:9], v[16:17]
	v_add_f64 v[44:45], v[44:45], 0
	v_add_f64 v[48:49], v[48:49], 0
	v_fma_f64 v[50:51], v[4:5], v[10:11], v[50:51]
	v_fma_f64 v[56:57], v[2:3], v[10:11], -v[12:13]
	ds_load_b128 v[2:5], v1 offset:1136
	scratch_load_b128 v[10:13], off, off offset:336
	v_add_f64 v[44:45], v[44:45], v[52:53]
	v_add_f64 v[46:47], v[48:49], v[46:47]
	v_fma_f64 v[52:53], v[8:9], v[14:15], v[54:55]
	v_fma_f64 v[54:55], v[6:7], v[14:15], -v[16:17]
	scratch_load_b128 v[14:17], off, off offset:352
	ds_load_b128 v[6:9], v1 offset:1152
	s_waitcnt vmcnt(9) lgkmcnt(1)
	v_mul_f64 v[48:49], v[2:3], v[20:21]
	v_mul_f64 v[20:21], v[4:5], v[20:21]
	v_add_f64 v[44:45], v[44:45], v[56:57]
	v_add_f64 v[46:47], v[46:47], v[50:51]
	s_waitcnt vmcnt(8) lgkmcnt(0)
	v_mul_f64 v[50:51], v[6:7], v[24:25]
	v_mul_f64 v[24:25], v[8:9], v[24:25]
	v_fma_f64 v[48:49], v[4:5], v[18:19], v[48:49]
	v_fma_f64 v[56:57], v[2:3], v[18:19], -v[20:21]
	ds_load_b128 v[2:5], v1 offset:1168
	scratch_load_b128 v[18:21], off, off offset:368
	v_add_f64 v[44:45], v[44:45], v[54:55]
	v_add_f64 v[46:47], v[46:47], v[52:53]
	v_fma_f64 v[50:51], v[8:9], v[22:23], v[50:51]
	v_fma_f64 v[54:55], v[6:7], v[22:23], -v[24:25]
	scratch_load_b128 v[22:25], off, off offset:384
	ds_load_b128 v[6:9], v1 offset:1184
	s_waitcnt vmcnt(9) lgkmcnt(1)
	v_mul_f64 v[52:53], v[2:3], v[28:29]
	v_mul_f64 v[28:29], v[4:5], v[28:29]
	v_add_f64 v[44:45], v[44:45], v[56:57]
	v_add_f64 v[46:47], v[46:47], v[48:49]
	s_waitcnt vmcnt(8) lgkmcnt(0)
	v_mul_f64 v[48:49], v[6:7], v[32:33]
	v_mul_f64 v[32:33], v[8:9], v[32:33]
	;; [unrolled: 18-line block ×3, first 2 shown]
	v_fma_f64 v[50:51], v[4:5], v[34:35], v[50:51]
	v_fma_f64 v[58:59], v[2:3], v[34:35], -v[36:37]
	ds_load_b128 v[2:5], v1 offset:1232
	scratch_load_b128 v[34:37], off, off offset:432
	v_add_f64 v[44:45], v[44:45], v[54:55]
	v_add_f64 v[46:47], v[46:47], v[48:49]
	v_fma_f64 v[52:53], v[8:9], v[183:184], v[52:53]
	v_fma_f64 v[54:55], v[6:7], v[183:184], -v[56:57]
	scratch_load_b128 v[183:186], off, off offset:448
	ds_load_b128 v[6:9], v1 offset:1248
	s_waitcnt vmcnt(9) lgkmcnt(1)
	v_mul_f64 v[48:49], v[2:3], v[40:41]
	v_mul_f64 v[40:41], v[4:5], v[40:41]
	s_waitcnt vmcnt(8) lgkmcnt(0)
	v_mul_f64 v[56:57], v[8:9], v[181:182]
	v_add_f64 v[44:45], v[44:45], v[58:59]
	v_add_f64 v[46:47], v[46:47], v[50:51]
	v_mul_f64 v[50:51], v[6:7], v[181:182]
	v_fma_f64 v[48:49], v[4:5], v[38:39], v[48:49]
	v_fma_f64 v[58:59], v[2:3], v[38:39], -v[40:41]
	ds_load_b128 v[2:5], v1 offset:1264
	scratch_load_b128 v[38:41], off, off offset:464
	v_add_f64 v[44:45], v[44:45], v[54:55]
	v_add_f64 v[46:47], v[46:47], v[52:53]
	v_fma_f64 v[50:51], v[8:9], v[179:180], v[50:51]
	v_fma_f64 v[54:55], v[6:7], v[179:180], -v[56:57]
	scratch_load_b128 v[179:182], off, off offset:480
	ds_load_b128 v[6:9], v1 offset:1280
	s_waitcnt vmcnt(9) lgkmcnt(1)
	v_mul_f64 v[52:53], v[2:3], v[12:13]
	v_mul_f64 v[12:13], v[4:5], v[12:13]
	v_add_f64 v[44:45], v[44:45], v[58:59]
	v_add_f64 v[46:47], v[46:47], v[48:49]
	s_waitcnt vmcnt(8) lgkmcnt(0)
	v_mul_f64 v[48:49], v[6:7], v[16:17]
	v_mul_f64 v[16:17], v[8:9], v[16:17]
	v_fma_f64 v[52:53], v[4:5], v[10:11], v[52:53]
	v_fma_f64 v[56:57], v[2:3], v[10:11], -v[12:13]
	ds_load_b128 v[2:5], v1 offset:1296
	scratch_load_b128 v[10:13], off, off offset:496
	v_add_f64 v[44:45], v[44:45], v[54:55]
	v_add_f64 v[46:47], v[46:47], v[50:51]
	v_fma_f64 v[48:49], v[8:9], v[14:15], v[48:49]
	v_fma_f64 v[54:55], v[6:7], v[14:15], -v[16:17]
	scratch_load_b128 v[14:17], off, off offset:512
	ds_load_b128 v[6:9], v1 offset:1312
	s_waitcnt vmcnt(9) lgkmcnt(1)
	v_mul_f64 v[50:51], v[2:3], v[20:21]
	v_mul_f64 v[20:21], v[4:5], v[20:21]
	v_add_f64 v[44:45], v[44:45], v[56:57]
	v_add_f64 v[46:47], v[46:47], v[52:53]
	s_waitcnt vmcnt(8) lgkmcnt(0)
	v_mul_f64 v[52:53], v[6:7], v[24:25]
	;; [unrolled: 18-line block ×4, first 2 shown]
	v_mul_f64 v[56:57], v[8:9], v[185:186]
	v_fma_f64 v[52:53], v[4:5], v[34:35], v[52:53]
	v_fma_f64 v[58:59], v[2:3], v[34:35], -v[36:37]
	ds_load_b128 v[2:5], v1 offset:1392
	scratch_load_b128 v[34:37], off, off offset:592
	v_add_f64 v[44:45], v[44:45], v[54:55]
	v_add_f64 v[46:47], v[46:47], v[50:51]
	v_fma_f64 v[48:49], v[8:9], v[183:184], v[48:49]
	v_fma_f64 v[54:55], v[6:7], v[183:184], -v[56:57]
	scratch_load_b128 v[183:186], off, off offset:608
	ds_load_b128 v[6:9], v1 offset:1408
	s_waitcnt vmcnt(9) lgkmcnt(1)
	v_mul_f64 v[50:51], v[2:3], v[40:41]
	v_mul_f64 v[40:41], v[4:5], v[40:41]
	s_waitcnt vmcnt(8) lgkmcnt(0)
	v_mul_f64 v[56:57], v[8:9], v[181:182]
	v_add_f64 v[44:45], v[44:45], v[58:59]
	v_add_f64 v[46:47], v[46:47], v[52:53]
	v_mul_f64 v[52:53], v[6:7], v[181:182]
	v_fma_f64 v[50:51], v[4:5], v[38:39], v[50:51]
	v_fma_f64 v[58:59], v[2:3], v[38:39], -v[40:41]
	ds_load_b128 v[2:5], v1 offset:1424
	scratch_load_b128 v[38:41], off, off offset:624
	v_add_f64 v[44:45], v[44:45], v[54:55]
	v_add_f64 v[46:47], v[46:47], v[48:49]
	v_fma_f64 v[52:53], v[8:9], v[179:180], v[52:53]
	v_fma_f64 v[54:55], v[6:7], v[179:180], -v[56:57]
	scratch_load_b128 v[179:182], off, off offset:640
	ds_load_b128 v[6:9], v1 offset:1440
	s_waitcnt vmcnt(9) lgkmcnt(1)
	v_mul_f64 v[48:49], v[2:3], v[12:13]
	v_mul_f64 v[12:13], v[4:5], v[12:13]
	v_add_f64 v[44:45], v[44:45], v[58:59]
	v_add_f64 v[46:47], v[46:47], v[50:51]
	s_waitcnt vmcnt(8) lgkmcnt(0)
	v_mul_f64 v[50:51], v[6:7], v[16:17]
	v_mul_f64 v[16:17], v[8:9], v[16:17]
	v_fma_f64 v[48:49], v[4:5], v[10:11], v[48:49]
	v_fma_f64 v[56:57], v[2:3], v[10:11], -v[12:13]
	ds_load_b128 v[2:5], v1 offset:1456
	scratch_load_b128 v[10:13], off, off offset:656
	v_add_f64 v[44:45], v[44:45], v[54:55]
	v_add_f64 v[46:47], v[46:47], v[52:53]
	v_fma_f64 v[50:51], v[8:9], v[14:15], v[50:51]
	v_fma_f64 v[54:55], v[6:7], v[14:15], -v[16:17]
	scratch_load_b128 v[14:17], off, off offset:672
	ds_load_b128 v[6:9], v1 offset:1472
	s_waitcnt vmcnt(9) lgkmcnt(1)
	v_mul_f64 v[52:53], v[2:3], v[20:21]
	v_mul_f64 v[20:21], v[4:5], v[20:21]
	v_add_f64 v[44:45], v[44:45], v[56:57]
	v_add_f64 v[46:47], v[46:47], v[48:49]
	s_waitcnt vmcnt(8) lgkmcnt(0)
	v_mul_f64 v[48:49], v[6:7], v[24:25]
	;; [unrolled: 18-line block ×4, first 2 shown]
	v_mul_f64 v[56:57], v[8:9], v[185:186]
	v_fma_f64 v[48:49], v[4:5], v[34:35], v[48:49]
	v_fma_f64 v[58:59], v[2:3], v[34:35], -v[36:37]
	ds_load_b128 v[2:5], v1 offset:1552
	scratch_load_b128 v[34:37], off, off offset:752
	v_add_f64 v[44:45], v[44:45], v[54:55]
	v_add_f64 v[46:47], v[46:47], v[52:53]
	v_fma_f64 v[50:51], v[8:9], v[183:184], v[50:51]
	v_fma_f64 v[54:55], v[6:7], v[183:184], -v[56:57]
	scratch_load_b128 v[183:186], off, off offset:768
	ds_load_b128 v[6:9], v1 offset:1568
	s_waitcnt vmcnt(9) lgkmcnt(1)
	v_mul_f64 v[52:53], v[2:3], v[40:41]
	v_mul_f64 v[40:41], v[4:5], v[40:41]
	s_waitcnt vmcnt(8) lgkmcnt(0)
	v_mul_f64 v[56:57], v[8:9], v[181:182]
	v_add_f64 v[44:45], v[44:45], v[58:59]
	v_add_f64 v[46:47], v[46:47], v[48:49]
	v_mul_f64 v[48:49], v[6:7], v[181:182]
	v_fma_f64 v[52:53], v[4:5], v[38:39], v[52:53]
	v_fma_f64 v[58:59], v[2:3], v[38:39], -v[40:41]
	ds_load_b128 v[2:5], v1 offset:1584
	scratch_load_b128 v[38:41], off, off offset:784
	v_add_f64 v[44:45], v[44:45], v[54:55]
	v_add_f64 v[46:47], v[46:47], v[50:51]
	v_fma_f64 v[48:49], v[8:9], v[179:180], v[48:49]
	v_fma_f64 v[54:55], v[6:7], v[179:180], -v[56:57]
	ds_load_b128 v[6:9], v1 offset:1600
	s_waitcnt vmcnt(8) lgkmcnt(1)
	v_mul_f64 v[50:51], v[2:3], v[12:13]
	v_mul_f64 v[12:13], v[4:5], v[12:13]
	scratch_load_b128 v[179:182], off, off offset:800
	v_add_f64 v[44:45], v[44:45], v[58:59]
	v_add_f64 v[46:47], v[46:47], v[52:53]
	s_waitcnt vmcnt(8) lgkmcnt(0)
	v_mul_f64 v[52:53], v[6:7], v[16:17]
	v_mul_f64 v[16:17], v[8:9], v[16:17]
	v_fma_f64 v[50:51], v[4:5], v[10:11], v[50:51]
	v_fma_f64 v[56:57], v[2:3], v[10:11], -v[12:13]
	ds_load_b128 v[2:5], v1 offset:1616
	scratch_load_b128 v[10:13], off, off offset:816
	v_add_f64 v[44:45], v[44:45], v[54:55]
	v_add_f64 v[46:47], v[46:47], v[48:49]
	v_fma_f64 v[52:53], v[8:9], v[14:15], v[52:53]
	v_fma_f64 v[54:55], v[6:7], v[14:15], -v[16:17]
	ds_load_b128 v[6:9], v1 offset:1632
	s_waitcnt vmcnt(8) lgkmcnt(1)
	v_mul_f64 v[48:49], v[2:3], v[20:21]
	v_mul_f64 v[20:21], v[4:5], v[20:21]
	scratch_load_b128 v[14:17], off, off offset:832
	v_add_f64 v[44:45], v[44:45], v[56:57]
	v_add_f64 v[46:47], v[46:47], v[50:51]
	s_waitcnt vmcnt(8) lgkmcnt(0)
	v_mul_f64 v[50:51], v[6:7], v[24:25]
	v_mul_f64 v[24:25], v[8:9], v[24:25]
	v_fma_f64 v[48:49], v[4:5], v[18:19], v[48:49]
	v_fma_f64 v[56:57], v[2:3], v[18:19], -v[20:21]
	scratch_load_b128 v[18:21], off, off offset:848
	ds_load_b128 v[2:5], v1 offset:1648
	v_add_f64 v[44:45], v[44:45], v[54:55]
	v_add_f64 v[46:47], v[46:47], v[52:53]
	v_fma_f64 v[50:51], v[8:9], v[22:23], v[50:51]
	v_fma_f64 v[54:55], v[6:7], v[22:23], -v[24:25]
	ds_load_b128 v[6:9], v1 offset:1664
	s_waitcnt vmcnt(8) lgkmcnt(1)
	v_mul_f64 v[52:53], v[2:3], v[28:29]
	v_mul_f64 v[28:29], v[4:5], v[28:29]
	scratch_load_b128 v[22:25], off, off offset:864
	v_add_f64 v[44:45], v[44:45], v[56:57]
	v_add_f64 v[46:47], v[46:47], v[48:49]
	s_waitcnt vmcnt(8) lgkmcnt(0)
	v_mul_f64 v[48:49], v[6:7], v[32:33]
	v_mul_f64 v[32:33], v[8:9], v[32:33]
	v_fma_f64 v[52:53], v[4:5], v[26:27], v[52:53]
	v_fma_f64 v[56:57], v[2:3], v[26:27], -v[28:29]
	scratch_load_b128 v[26:29], off, off offset:880
	ds_load_b128 v[2:5], v1 offset:1680
	;; [unrolled: 18-line block ×3, first 2 shown]
	v_add_f64 v[44:45], v[44:45], v[54:55]
	v_add_f64 v[46:47], v[46:47], v[48:49]
	v_fma_f64 v[52:53], v[8:9], v[183:184], v[52:53]
	v_fma_f64 v[54:55], v[6:7], v[183:184], -v[56:57]
	ds_load_b128 v[6:9], v1 offset:1728
	s_waitcnt vmcnt(8) lgkmcnt(1)
	v_mul_f64 v[48:49], v[2:3], v[40:41]
	v_mul_f64 v[40:41], v[4:5], v[40:41]
	v_add_f64 v[44:45], v[44:45], v[58:59]
	v_add_f64 v[46:47], v[46:47], v[50:51]
	s_delay_alu instid0(VALU_DEP_4) | instskip(NEXT) | instid1(VALU_DEP_4)
	v_fma_f64 v[48:49], v[4:5], v[38:39], v[48:49]
	v_fma_f64 v[38:39], v[2:3], v[38:39], -v[40:41]
	ds_load_b128 v[2:5], v1 offset:1744
	v_add_f64 v[40:41], v[44:45], v[54:55]
	v_add_f64 v[44:45], v[46:47], v[52:53]
	s_delay_alu instid0(VALU_DEP_2)
	v_add_f64 v[54:55], v[40:41], v[38:39]
	scratch_load_b128 v[38:41], off, off offset:128
	s_waitcnt vmcnt(8) lgkmcnt(1)
	v_mul_f64 v[50:51], v[6:7], v[181:182]
	v_mul_f64 v[56:57], v[8:9], v[181:182]
	v_add_f64 v[44:45], v[44:45], v[48:49]
	s_delay_alu instid0(VALU_DEP_3) | instskip(NEXT) | instid1(VALU_DEP_3)
	v_fma_f64 v[50:51], v[8:9], v[179:180], v[50:51]
	v_fma_f64 v[52:53], v[6:7], v[179:180], -v[56:57]
	ds_load_b128 v[6:9], v1 offset:1760
	s_waitcnt vmcnt(7) lgkmcnt(1)
	v_mul_f64 v[46:47], v[2:3], v[12:13]
	v_mul_f64 v[12:13], v[4:5], v[12:13]
	s_waitcnt vmcnt(6) lgkmcnt(0)
	v_mul_f64 v[48:49], v[6:7], v[16:17]
	v_mul_f64 v[16:17], v[8:9], v[16:17]
	v_add_f64 v[44:45], v[44:45], v[50:51]
	v_fma_f64 v[46:47], v[4:5], v[10:11], v[46:47]
	v_fma_f64 v[10:11], v[2:3], v[10:11], -v[12:13]
	v_add_f64 v[12:13], v[54:55], v[52:53]
	ds_load_b128 v[2:5], v1 offset:1776
	v_fma_f64 v[48:49], v[8:9], v[14:15], v[48:49]
	v_fma_f64 v[14:15], v[6:7], v[14:15], -v[16:17]
	ds_load_b128 v[6:9], v1 offset:1792
	s_waitcnt vmcnt(5) lgkmcnt(1)
	v_mul_f64 v[50:51], v[2:3], v[20:21]
	v_mul_f64 v[20:21], v[4:5], v[20:21]
	v_add_f64 v[10:11], v[12:13], v[10:11]
	v_add_f64 v[12:13], v[44:45], v[46:47]
	s_waitcnt vmcnt(4) lgkmcnt(0)
	v_mul_f64 v[16:17], v[6:7], v[24:25]
	v_mul_f64 v[24:25], v[8:9], v[24:25]
	v_fma_f64 v[44:45], v[4:5], v[18:19], v[50:51]
	v_fma_f64 v[18:19], v[2:3], v[18:19], -v[20:21]
	ds_load_b128 v[2:5], v1 offset:1808
	v_add_f64 v[10:11], v[10:11], v[14:15]
	v_add_f64 v[12:13], v[12:13], v[48:49]
	v_fma_f64 v[16:17], v[8:9], v[22:23], v[16:17]
	v_fma_f64 v[22:23], v[6:7], v[22:23], -v[24:25]
	ds_load_b128 v[6:9], v1 offset:1824
	s_waitcnt vmcnt(3) lgkmcnt(1)
	v_mul_f64 v[14:15], v[2:3], v[28:29]
	v_mul_f64 v[20:21], v[4:5], v[28:29]
	s_waitcnt vmcnt(2) lgkmcnt(0)
	v_mul_f64 v[24:25], v[8:9], v[32:33]
	v_add_f64 v[10:11], v[10:11], v[18:19]
	v_add_f64 v[12:13], v[12:13], v[44:45]
	v_mul_f64 v[18:19], v[6:7], v[32:33]
	v_fma_f64 v[14:15], v[4:5], v[26:27], v[14:15]
	v_fma_f64 v[20:21], v[2:3], v[26:27], -v[20:21]
	ds_load_b128 v[2:5], v1 offset:1840
	v_fma_f64 v[6:7], v[6:7], v[30:31], -v[24:25]
	v_add_f64 v[10:11], v[10:11], v[22:23]
	v_add_f64 v[12:13], v[12:13], v[16:17]
	s_waitcnt vmcnt(1) lgkmcnt(0)
	v_mul_f64 v[16:17], v[2:3], v[36:37]
	v_mul_f64 v[22:23], v[4:5], v[36:37]
	v_fma_f64 v[8:9], v[8:9], v[30:31], v[18:19]
	v_add_f64 v[10:11], v[10:11], v[20:21]
	v_add_f64 v[12:13], v[12:13], v[14:15]
	v_fma_f64 v[4:5], v[4:5], v[34:35], v[16:17]
	v_fma_f64 v[2:3], v[2:3], v[34:35], -v[22:23]
	s_delay_alu instid0(VALU_DEP_4) | instskip(NEXT) | instid1(VALU_DEP_4)
	v_add_f64 v[6:7], v[10:11], v[6:7]
	v_add_f64 v[8:9], v[12:13], v[8:9]
	s_delay_alu instid0(VALU_DEP_2) | instskip(NEXT) | instid1(VALU_DEP_2)
	v_add_f64 v[2:3], v[6:7], v[2:3]
	v_add_f64 v[4:5], v[8:9], v[4:5]
	s_waitcnt vmcnt(0)
	s_delay_alu instid0(VALU_DEP_2) | instskip(NEXT) | instid1(VALU_DEP_2)
	v_add_f64 v[2:3], v[38:39], -v[2:3]
	v_add_f64 v[4:5], v[40:41], -v[4:5]
	scratch_store_b128 off, v[2:5], off offset:128
	v_cmpx_lt_u32_e32 7, v158
	s_cbranch_execz .LBB57_347
; %bb.346:
	scratch_load_b128 v[5:8], v209, off
	v_mov_b32_e32 v2, v1
	v_mov_b32_e32 v3, v1
	;; [unrolled: 1-line block ×3, first 2 shown]
	scratch_store_b128 off, v[1:4], off offset:112
	s_waitcnt vmcnt(0)
	ds_store_b128 v216, v[5:8]
.LBB57_347:
	s_or_b32 exec_lo, exec_lo, s2
	s_waitcnt lgkmcnt(0)
	s_waitcnt_vscnt null, 0x0
	s_barrier
	buffer_gl0_inv
	s_clause 0x7
	scratch_load_b128 v[2:5], off, off offset:128
	scratch_load_b128 v[6:9], off, off offset:144
	;; [unrolled: 1-line block ×8, first 2 shown]
	ds_load_b128 v[38:41], v1 offset:1056
	ds_load_b128 v[179:182], v1 offset:1072
	s_clause 0x1
	scratch_load_b128 v[34:37], off, off offset:256
	scratch_load_b128 v[183:186], off, off offset:272
	s_mov_b32 s2, exec_lo
	s_waitcnt vmcnt(9) lgkmcnt(1)
	v_mul_f64 v[44:45], v[40:41], v[4:5]
	v_mul_f64 v[4:5], v[38:39], v[4:5]
	s_waitcnt vmcnt(8) lgkmcnt(0)
	v_mul_f64 v[46:47], v[179:180], v[8:9]
	v_mul_f64 v[8:9], v[181:182], v[8:9]
	s_delay_alu instid0(VALU_DEP_4) | instskip(NEXT) | instid1(VALU_DEP_4)
	v_fma_f64 v[44:45], v[38:39], v[2:3], -v[44:45]
	v_fma_f64 v[48:49], v[40:41], v[2:3], v[4:5]
	ds_load_b128 v[2:5], v1 offset:1088
	scratch_load_b128 v[38:41], off, off offset:288
	v_fma_f64 v[46:47], v[181:182], v[6:7], v[46:47]
	v_fma_f64 v[52:53], v[179:180], v[6:7], -v[8:9]
	scratch_load_b128 v[179:182], off, off offset:304
	ds_load_b128 v[6:9], v1 offset:1104
	s_waitcnt vmcnt(9) lgkmcnt(1)
	v_mul_f64 v[50:51], v[2:3], v[12:13]
	v_mul_f64 v[12:13], v[4:5], v[12:13]
	s_waitcnt vmcnt(8) lgkmcnt(0)
	v_mul_f64 v[54:55], v[6:7], v[16:17]
	v_mul_f64 v[16:17], v[8:9], v[16:17]
	v_add_f64 v[44:45], v[44:45], 0
	v_add_f64 v[48:49], v[48:49], 0
	v_fma_f64 v[50:51], v[4:5], v[10:11], v[50:51]
	v_fma_f64 v[56:57], v[2:3], v[10:11], -v[12:13]
	ds_load_b128 v[2:5], v1 offset:1120
	scratch_load_b128 v[10:13], off, off offset:320
	v_add_f64 v[44:45], v[44:45], v[52:53]
	v_add_f64 v[46:47], v[48:49], v[46:47]
	v_fma_f64 v[52:53], v[8:9], v[14:15], v[54:55]
	v_fma_f64 v[54:55], v[6:7], v[14:15], -v[16:17]
	scratch_load_b128 v[14:17], off, off offset:336
	ds_load_b128 v[6:9], v1 offset:1136
	s_waitcnt vmcnt(9) lgkmcnt(1)
	v_mul_f64 v[48:49], v[2:3], v[20:21]
	v_mul_f64 v[20:21], v[4:5], v[20:21]
	v_add_f64 v[44:45], v[44:45], v[56:57]
	v_add_f64 v[46:47], v[46:47], v[50:51]
	s_waitcnt vmcnt(8) lgkmcnt(0)
	v_mul_f64 v[50:51], v[6:7], v[24:25]
	v_mul_f64 v[24:25], v[8:9], v[24:25]
	v_fma_f64 v[48:49], v[4:5], v[18:19], v[48:49]
	v_fma_f64 v[56:57], v[2:3], v[18:19], -v[20:21]
	ds_load_b128 v[2:5], v1 offset:1152
	scratch_load_b128 v[18:21], off, off offset:352
	v_add_f64 v[44:45], v[44:45], v[54:55]
	v_add_f64 v[46:47], v[46:47], v[52:53]
	v_fma_f64 v[50:51], v[8:9], v[22:23], v[50:51]
	v_fma_f64 v[54:55], v[6:7], v[22:23], -v[24:25]
	scratch_load_b128 v[22:25], off, off offset:368
	ds_load_b128 v[6:9], v1 offset:1168
	s_waitcnt vmcnt(9) lgkmcnt(1)
	v_mul_f64 v[52:53], v[2:3], v[28:29]
	v_mul_f64 v[28:29], v[4:5], v[28:29]
	v_add_f64 v[44:45], v[44:45], v[56:57]
	v_add_f64 v[46:47], v[46:47], v[48:49]
	s_waitcnt vmcnt(8) lgkmcnt(0)
	v_mul_f64 v[48:49], v[6:7], v[32:33]
	v_mul_f64 v[32:33], v[8:9], v[32:33]
	;; [unrolled: 18-line block ×3, first 2 shown]
	v_fma_f64 v[50:51], v[4:5], v[34:35], v[50:51]
	v_fma_f64 v[58:59], v[2:3], v[34:35], -v[36:37]
	ds_load_b128 v[2:5], v1 offset:1216
	scratch_load_b128 v[34:37], off, off offset:416
	v_add_f64 v[44:45], v[44:45], v[54:55]
	v_add_f64 v[46:47], v[46:47], v[48:49]
	v_fma_f64 v[52:53], v[8:9], v[183:184], v[52:53]
	v_fma_f64 v[54:55], v[6:7], v[183:184], -v[56:57]
	scratch_load_b128 v[183:186], off, off offset:432
	ds_load_b128 v[6:9], v1 offset:1232
	s_waitcnt vmcnt(9) lgkmcnt(1)
	v_mul_f64 v[48:49], v[2:3], v[40:41]
	v_mul_f64 v[40:41], v[4:5], v[40:41]
	s_waitcnt vmcnt(8) lgkmcnt(0)
	v_mul_f64 v[56:57], v[8:9], v[181:182]
	v_add_f64 v[44:45], v[44:45], v[58:59]
	v_add_f64 v[46:47], v[46:47], v[50:51]
	v_mul_f64 v[50:51], v[6:7], v[181:182]
	v_fma_f64 v[48:49], v[4:5], v[38:39], v[48:49]
	v_fma_f64 v[58:59], v[2:3], v[38:39], -v[40:41]
	ds_load_b128 v[2:5], v1 offset:1248
	scratch_load_b128 v[38:41], off, off offset:448
	v_add_f64 v[44:45], v[44:45], v[54:55]
	v_add_f64 v[46:47], v[46:47], v[52:53]
	v_fma_f64 v[50:51], v[8:9], v[179:180], v[50:51]
	v_fma_f64 v[54:55], v[6:7], v[179:180], -v[56:57]
	scratch_load_b128 v[179:182], off, off offset:464
	ds_load_b128 v[6:9], v1 offset:1264
	s_waitcnt vmcnt(9) lgkmcnt(1)
	v_mul_f64 v[52:53], v[2:3], v[12:13]
	v_mul_f64 v[12:13], v[4:5], v[12:13]
	v_add_f64 v[44:45], v[44:45], v[58:59]
	v_add_f64 v[46:47], v[46:47], v[48:49]
	s_waitcnt vmcnt(8) lgkmcnt(0)
	v_mul_f64 v[48:49], v[6:7], v[16:17]
	v_mul_f64 v[16:17], v[8:9], v[16:17]
	v_fma_f64 v[52:53], v[4:5], v[10:11], v[52:53]
	v_fma_f64 v[56:57], v[2:3], v[10:11], -v[12:13]
	ds_load_b128 v[2:5], v1 offset:1280
	scratch_load_b128 v[10:13], off, off offset:480
	v_add_f64 v[44:45], v[44:45], v[54:55]
	v_add_f64 v[46:47], v[46:47], v[50:51]
	v_fma_f64 v[48:49], v[8:9], v[14:15], v[48:49]
	v_fma_f64 v[54:55], v[6:7], v[14:15], -v[16:17]
	scratch_load_b128 v[14:17], off, off offset:496
	ds_load_b128 v[6:9], v1 offset:1296
	s_waitcnt vmcnt(9) lgkmcnt(1)
	v_mul_f64 v[50:51], v[2:3], v[20:21]
	v_mul_f64 v[20:21], v[4:5], v[20:21]
	v_add_f64 v[44:45], v[44:45], v[56:57]
	v_add_f64 v[46:47], v[46:47], v[52:53]
	s_waitcnt vmcnt(8) lgkmcnt(0)
	v_mul_f64 v[52:53], v[6:7], v[24:25]
	;; [unrolled: 18-line block ×4, first 2 shown]
	v_mul_f64 v[56:57], v[8:9], v[185:186]
	v_fma_f64 v[52:53], v[4:5], v[34:35], v[52:53]
	v_fma_f64 v[58:59], v[2:3], v[34:35], -v[36:37]
	ds_load_b128 v[2:5], v1 offset:1376
	scratch_load_b128 v[34:37], off, off offset:576
	v_add_f64 v[44:45], v[44:45], v[54:55]
	v_add_f64 v[46:47], v[46:47], v[50:51]
	v_fma_f64 v[48:49], v[8:9], v[183:184], v[48:49]
	v_fma_f64 v[54:55], v[6:7], v[183:184], -v[56:57]
	scratch_load_b128 v[183:186], off, off offset:592
	ds_load_b128 v[6:9], v1 offset:1392
	s_waitcnt vmcnt(9) lgkmcnt(1)
	v_mul_f64 v[50:51], v[2:3], v[40:41]
	v_mul_f64 v[40:41], v[4:5], v[40:41]
	s_waitcnt vmcnt(8) lgkmcnt(0)
	v_mul_f64 v[56:57], v[8:9], v[181:182]
	v_add_f64 v[44:45], v[44:45], v[58:59]
	v_add_f64 v[46:47], v[46:47], v[52:53]
	v_mul_f64 v[52:53], v[6:7], v[181:182]
	v_fma_f64 v[50:51], v[4:5], v[38:39], v[50:51]
	v_fma_f64 v[58:59], v[2:3], v[38:39], -v[40:41]
	ds_load_b128 v[2:5], v1 offset:1408
	scratch_load_b128 v[38:41], off, off offset:608
	v_add_f64 v[44:45], v[44:45], v[54:55]
	v_add_f64 v[46:47], v[46:47], v[48:49]
	v_fma_f64 v[52:53], v[8:9], v[179:180], v[52:53]
	v_fma_f64 v[54:55], v[6:7], v[179:180], -v[56:57]
	scratch_load_b128 v[179:182], off, off offset:624
	ds_load_b128 v[6:9], v1 offset:1424
	s_waitcnt vmcnt(9) lgkmcnt(1)
	v_mul_f64 v[48:49], v[2:3], v[12:13]
	v_mul_f64 v[12:13], v[4:5], v[12:13]
	v_add_f64 v[44:45], v[44:45], v[58:59]
	v_add_f64 v[46:47], v[46:47], v[50:51]
	s_waitcnt vmcnt(8) lgkmcnt(0)
	v_mul_f64 v[50:51], v[6:7], v[16:17]
	v_mul_f64 v[16:17], v[8:9], v[16:17]
	v_fma_f64 v[48:49], v[4:5], v[10:11], v[48:49]
	v_fma_f64 v[56:57], v[2:3], v[10:11], -v[12:13]
	scratch_load_b128 v[10:13], off, off offset:640
	ds_load_b128 v[2:5], v1 offset:1440
	v_add_f64 v[44:45], v[44:45], v[54:55]
	v_add_f64 v[46:47], v[46:47], v[52:53]
	v_fma_f64 v[50:51], v[8:9], v[14:15], v[50:51]
	v_fma_f64 v[54:55], v[6:7], v[14:15], -v[16:17]
	ds_load_b128 v[6:9], v1 offset:1456
	s_waitcnt vmcnt(8) lgkmcnt(1)
	v_mul_f64 v[52:53], v[2:3], v[20:21]
	v_mul_f64 v[20:21], v[4:5], v[20:21]
	scratch_load_b128 v[14:17], off, off offset:656
	v_add_f64 v[44:45], v[44:45], v[56:57]
	v_add_f64 v[46:47], v[46:47], v[48:49]
	s_waitcnt vmcnt(8) lgkmcnt(0)
	v_mul_f64 v[48:49], v[6:7], v[24:25]
	v_mul_f64 v[24:25], v[8:9], v[24:25]
	v_fma_f64 v[52:53], v[4:5], v[18:19], v[52:53]
	v_fma_f64 v[56:57], v[2:3], v[18:19], -v[20:21]
	ds_load_b128 v[2:5], v1 offset:1472
	scratch_load_b128 v[18:21], off, off offset:672
	v_add_f64 v[44:45], v[44:45], v[54:55]
	v_add_f64 v[46:47], v[46:47], v[50:51]
	v_fma_f64 v[48:49], v[8:9], v[22:23], v[48:49]
	v_fma_f64 v[54:55], v[6:7], v[22:23], -v[24:25]
	scratch_load_b128 v[22:25], off, off offset:688
	ds_load_b128 v[6:9], v1 offset:1488
	s_waitcnt vmcnt(9) lgkmcnt(1)
	v_mul_f64 v[50:51], v[2:3], v[28:29]
	v_mul_f64 v[28:29], v[4:5], v[28:29]
	v_add_f64 v[44:45], v[44:45], v[56:57]
	v_add_f64 v[46:47], v[46:47], v[52:53]
	s_waitcnt vmcnt(8) lgkmcnt(0)
	v_mul_f64 v[52:53], v[6:7], v[32:33]
	v_mul_f64 v[32:33], v[8:9], v[32:33]
	v_fma_f64 v[50:51], v[4:5], v[26:27], v[50:51]
	v_fma_f64 v[56:57], v[2:3], v[26:27], -v[28:29]
	ds_load_b128 v[2:5], v1 offset:1504
	scratch_load_b128 v[26:29], off, off offset:704
	v_add_f64 v[44:45], v[44:45], v[54:55]
	v_add_f64 v[46:47], v[46:47], v[48:49]
	v_fma_f64 v[52:53], v[8:9], v[30:31], v[52:53]
	v_fma_f64 v[54:55], v[6:7], v[30:31], -v[32:33]
	scratch_load_b128 v[30:33], off, off offset:720
	ds_load_b128 v[6:9], v1 offset:1520
	s_waitcnt vmcnt(9) lgkmcnt(1)
	v_mul_f64 v[48:49], v[2:3], v[36:37]
	v_mul_f64 v[36:37], v[4:5], v[36:37]
	;; [unrolled: 18-line block ×3, first 2 shown]
	s_waitcnt vmcnt(8) lgkmcnt(0)
	v_mul_f64 v[56:57], v[8:9], v[181:182]
	v_add_f64 v[44:45], v[44:45], v[58:59]
	v_add_f64 v[46:47], v[46:47], v[48:49]
	v_mul_f64 v[48:49], v[6:7], v[181:182]
	v_fma_f64 v[52:53], v[4:5], v[38:39], v[52:53]
	v_fma_f64 v[58:59], v[2:3], v[38:39], -v[40:41]
	ds_load_b128 v[2:5], v1 offset:1568
	scratch_load_b128 v[38:41], off, off offset:768
	v_add_f64 v[44:45], v[44:45], v[54:55]
	v_add_f64 v[46:47], v[46:47], v[50:51]
	v_fma_f64 v[48:49], v[8:9], v[179:180], v[48:49]
	v_fma_f64 v[54:55], v[6:7], v[179:180], -v[56:57]
	ds_load_b128 v[6:9], v1 offset:1584
	s_waitcnt vmcnt(8) lgkmcnt(1)
	v_mul_f64 v[50:51], v[2:3], v[12:13]
	v_mul_f64 v[12:13], v[4:5], v[12:13]
	scratch_load_b128 v[179:182], off, off offset:784
	v_add_f64 v[44:45], v[44:45], v[58:59]
	v_add_f64 v[46:47], v[46:47], v[52:53]
	s_waitcnt vmcnt(8) lgkmcnt(0)
	v_mul_f64 v[52:53], v[6:7], v[16:17]
	v_mul_f64 v[16:17], v[8:9], v[16:17]
	v_fma_f64 v[50:51], v[4:5], v[10:11], v[50:51]
	v_fma_f64 v[56:57], v[2:3], v[10:11], -v[12:13]
	scratch_load_b128 v[10:13], off, off offset:800
	ds_load_b128 v[2:5], v1 offset:1600
	v_add_f64 v[44:45], v[44:45], v[54:55]
	v_add_f64 v[46:47], v[46:47], v[48:49]
	v_fma_f64 v[52:53], v[8:9], v[14:15], v[52:53]
	v_fma_f64 v[54:55], v[6:7], v[14:15], -v[16:17]
	ds_load_b128 v[6:9], v1 offset:1616
	s_waitcnt vmcnt(8) lgkmcnt(1)
	v_mul_f64 v[48:49], v[2:3], v[20:21]
	v_mul_f64 v[20:21], v[4:5], v[20:21]
	scratch_load_b128 v[14:17], off, off offset:816
	v_add_f64 v[44:45], v[44:45], v[56:57]
	v_add_f64 v[46:47], v[46:47], v[50:51]
	s_waitcnt vmcnt(8) lgkmcnt(0)
	v_mul_f64 v[50:51], v[6:7], v[24:25]
	v_mul_f64 v[24:25], v[8:9], v[24:25]
	v_fma_f64 v[48:49], v[4:5], v[18:19], v[48:49]
	v_fma_f64 v[56:57], v[2:3], v[18:19], -v[20:21]
	scratch_load_b128 v[18:21], off, off offset:832
	ds_load_b128 v[2:5], v1 offset:1632
	v_add_f64 v[44:45], v[44:45], v[54:55]
	v_add_f64 v[46:47], v[46:47], v[52:53]
	v_fma_f64 v[50:51], v[8:9], v[22:23], v[50:51]
	v_fma_f64 v[54:55], v[6:7], v[22:23], -v[24:25]
	ds_load_b128 v[6:9], v1 offset:1648
	s_waitcnt vmcnt(8) lgkmcnt(1)
	v_mul_f64 v[52:53], v[2:3], v[28:29]
	v_mul_f64 v[28:29], v[4:5], v[28:29]
	scratch_load_b128 v[22:25], off, off offset:848
	v_add_f64 v[44:45], v[44:45], v[56:57]
	v_add_f64 v[46:47], v[46:47], v[48:49]
	s_waitcnt vmcnt(8) lgkmcnt(0)
	v_mul_f64 v[48:49], v[6:7], v[32:33]
	v_mul_f64 v[32:33], v[8:9], v[32:33]
	v_fma_f64 v[52:53], v[4:5], v[26:27], v[52:53]
	v_fma_f64 v[56:57], v[2:3], v[26:27], -v[28:29]
	scratch_load_b128 v[26:29], off, off offset:864
	ds_load_b128 v[2:5], v1 offset:1664
	v_add_f64 v[44:45], v[44:45], v[54:55]
	v_add_f64 v[46:47], v[46:47], v[50:51]
	v_fma_f64 v[48:49], v[8:9], v[30:31], v[48:49]
	v_fma_f64 v[54:55], v[6:7], v[30:31], -v[32:33]
	ds_load_b128 v[6:9], v1 offset:1680
	s_waitcnt vmcnt(8) lgkmcnt(1)
	v_mul_f64 v[50:51], v[2:3], v[36:37]
	v_mul_f64 v[36:37], v[4:5], v[36:37]
	scratch_load_b128 v[30:33], off, off offset:880
	v_add_f64 v[44:45], v[44:45], v[56:57]
	v_add_f64 v[46:47], v[46:47], v[52:53]
	s_waitcnt vmcnt(8) lgkmcnt(0)
	v_mul_f64 v[52:53], v[6:7], v[185:186]
	v_mul_f64 v[56:57], v[8:9], v[185:186]
	v_fma_f64 v[50:51], v[4:5], v[34:35], v[50:51]
	v_fma_f64 v[58:59], v[2:3], v[34:35], -v[36:37]
	scratch_load_b128 v[34:37], off, off offset:896
	ds_load_b128 v[2:5], v1 offset:1696
	v_add_f64 v[44:45], v[44:45], v[54:55]
	v_add_f64 v[46:47], v[46:47], v[48:49]
	v_fma_f64 v[52:53], v[8:9], v[183:184], v[52:53]
	v_fma_f64 v[54:55], v[6:7], v[183:184], -v[56:57]
	ds_load_b128 v[6:9], v1 offset:1712
	s_waitcnt vmcnt(8) lgkmcnt(1)
	v_mul_f64 v[48:49], v[2:3], v[40:41]
	v_mul_f64 v[40:41], v[4:5], v[40:41]
	scratch_load_b128 v[183:186], off, off offset:912
	v_add_f64 v[44:45], v[44:45], v[58:59]
	v_add_f64 v[46:47], v[46:47], v[50:51]
	v_fma_f64 v[48:49], v[4:5], v[38:39], v[48:49]
	v_fma_f64 v[38:39], v[2:3], v[38:39], -v[40:41]
	ds_load_b128 v[2:5], v1 offset:1728
	v_add_f64 v[40:41], v[44:45], v[54:55]
	v_add_f64 v[44:45], v[46:47], v[52:53]
	s_waitcnt vmcnt(7) lgkmcnt(0)
	v_mul_f64 v[46:47], v[2:3], v[12:13]
	v_mul_f64 v[12:13], v[4:5], v[12:13]
	s_delay_alu instid0(VALU_DEP_4) | instskip(NEXT) | instid1(VALU_DEP_4)
	v_add_f64 v[38:39], v[40:41], v[38:39]
	v_add_f64 v[40:41], v[44:45], v[48:49]
	s_delay_alu instid0(VALU_DEP_4) | instskip(NEXT) | instid1(VALU_DEP_4)
	v_fma_f64 v[46:47], v[4:5], v[10:11], v[46:47]
	v_fma_f64 v[48:49], v[2:3], v[10:11], -v[12:13]
	scratch_load_b128 v[10:13], off, off offset:112
	v_mul_f64 v[50:51], v[6:7], v[181:182]
	v_mul_f64 v[56:57], v[8:9], v[181:182]
	ds_load_b128 v[2:5], v1 offset:1760
	v_fma_f64 v[50:51], v[8:9], v[179:180], v[50:51]
	v_fma_f64 v[52:53], v[6:7], v[179:180], -v[56:57]
	ds_load_b128 v[6:9], v1 offset:1744
	s_waitcnt vmcnt(7) lgkmcnt(0)
	v_mul_f64 v[44:45], v[6:7], v[16:17]
	v_mul_f64 v[16:17], v[8:9], v[16:17]
	v_add_f64 v[40:41], v[40:41], v[50:51]
	v_add_f64 v[38:39], v[38:39], v[52:53]
	s_waitcnt vmcnt(6)
	v_mul_f64 v[50:51], v[2:3], v[20:21]
	v_mul_f64 v[20:21], v[4:5], v[20:21]
	v_fma_f64 v[44:45], v[8:9], v[14:15], v[44:45]
	v_fma_f64 v[14:15], v[6:7], v[14:15], -v[16:17]
	ds_load_b128 v[6:9], v1 offset:1776
	v_add_f64 v[16:17], v[38:39], v[48:49]
	v_add_f64 v[38:39], v[40:41], v[46:47]
	v_fma_f64 v[46:47], v[4:5], v[18:19], v[50:51]
	v_fma_f64 v[18:19], v[2:3], v[18:19], -v[20:21]
	ds_load_b128 v[2:5], v1 offset:1792
	s_waitcnt vmcnt(5) lgkmcnt(1)
	v_mul_f64 v[40:41], v[6:7], v[24:25]
	v_mul_f64 v[24:25], v[8:9], v[24:25]
	s_waitcnt vmcnt(4) lgkmcnt(0)
	v_mul_f64 v[20:21], v[2:3], v[28:29]
	v_mul_f64 v[28:29], v[4:5], v[28:29]
	v_add_f64 v[14:15], v[16:17], v[14:15]
	v_add_f64 v[16:17], v[38:39], v[44:45]
	v_fma_f64 v[38:39], v[8:9], v[22:23], v[40:41]
	v_fma_f64 v[22:23], v[6:7], v[22:23], -v[24:25]
	ds_load_b128 v[6:9], v1 offset:1808
	v_fma_f64 v[20:21], v[4:5], v[26:27], v[20:21]
	v_fma_f64 v[26:27], v[2:3], v[26:27], -v[28:29]
	ds_load_b128 v[2:5], v1 offset:1824
	s_waitcnt vmcnt(3) lgkmcnt(1)
	v_mul_f64 v[24:25], v[8:9], v[32:33]
	v_add_f64 v[14:15], v[14:15], v[18:19]
	v_add_f64 v[16:17], v[16:17], v[46:47]
	v_mul_f64 v[18:19], v[6:7], v[32:33]
	s_waitcnt vmcnt(2) lgkmcnt(0)
	v_mul_f64 v[28:29], v[4:5], v[36:37]
	v_fma_f64 v[24:25], v[6:7], v[30:31], -v[24:25]
	v_add_f64 v[14:15], v[14:15], v[22:23]
	v_add_f64 v[16:17], v[16:17], v[38:39]
	v_mul_f64 v[22:23], v[2:3], v[36:37]
	v_fma_f64 v[18:19], v[8:9], v[30:31], v[18:19]
	ds_load_b128 v[6:9], v1 offset:1840
	v_fma_f64 v[1:2], v[2:3], v[34:35], -v[28:29]
	v_add_f64 v[14:15], v[14:15], v[26:27]
	v_add_f64 v[16:17], v[16:17], v[20:21]
	s_waitcnt vmcnt(1) lgkmcnt(0)
	v_mul_f64 v[20:21], v[6:7], v[185:186]
	v_mul_f64 v[26:27], v[8:9], v[185:186]
	v_fma_f64 v[4:5], v[4:5], v[34:35], v[22:23]
	v_add_f64 v[14:15], v[14:15], v[24:25]
	v_add_f64 v[16:17], v[16:17], v[18:19]
	v_fma_f64 v[8:9], v[8:9], v[183:184], v[20:21]
	v_fma_f64 v[6:7], v[6:7], v[183:184], -v[26:27]
	s_delay_alu instid0(VALU_DEP_4) | instskip(NEXT) | instid1(VALU_DEP_4)
	v_add_f64 v[1:2], v[14:15], v[1:2]
	v_add_f64 v[3:4], v[16:17], v[4:5]
	s_delay_alu instid0(VALU_DEP_2) | instskip(NEXT) | instid1(VALU_DEP_2)
	v_add_f64 v[1:2], v[1:2], v[6:7]
	v_add_f64 v[3:4], v[3:4], v[8:9]
	s_waitcnt vmcnt(0)
	s_delay_alu instid0(VALU_DEP_2) | instskip(NEXT) | instid1(VALU_DEP_2)
	v_add_f64 v[1:2], v[10:11], -v[1:2]
	v_add_f64 v[3:4], v[12:13], -v[3:4]
	scratch_store_b128 off, v[1:4], off offset:112
	v_cmpx_lt_u32_e32 6, v158
	s_cbranch_execz .LBB57_349
; %bb.348:
	scratch_load_b128 v[1:4], v210, off
	v_mov_b32_e32 v5, 0
	s_delay_alu instid0(VALU_DEP_1)
	v_mov_b32_e32 v6, v5
	v_mov_b32_e32 v7, v5
	;; [unrolled: 1-line block ×3, first 2 shown]
	scratch_store_b128 off, v[5:8], off offset:96
	s_waitcnt vmcnt(0)
	ds_store_b128 v216, v[1:4]
.LBB57_349:
	s_or_b32 exec_lo, exec_lo, s2
	s_waitcnt lgkmcnt(0)
	s_waitcnt_vscnt null, 0x0
	s_barrier
	buffer_gl0_inv
	s_clause 0x7
	scratch_load_b128 v[2:5], off, off offset:112
	scratch_load_b128 v[6:9], off, off offset:128
	;; [unrolled: 1-line block ×8, first 2 shown]
	v_mov_b32_e32 v1, 0
	s_clause 0x1
	scratch_load_b128 v[34:37], off, off offset:240
	scratch_load_b128 v[183:186], off, off offset:256
	s_mov_b32 s2, exec_lo
	ds_load_b128 v[38:41], v1 offset:1040
	ds_load_b128 v[179:182], v1 offset:1056
	s_waitcnt vmcnt(9) lgkmcnt(1)
	v_mul_f64 v[44:45], v[40:41], v[4:5]
	v_mul_f64 v[4:5], v[38:39], v[4:5]
	s_waitcnt vmcnt(8) lgkmcnt(0)
	v_mul_f64 v[46:47], v[179:180], v[8:9]
	v_mul_f64 v[8:9], v[181:182], v[8:9]
	s_delay_alu instid0(VALU_DEP_4) | instskip(NEXT) | instid1(VALU_DEP_4)
	v_fma_f64 v[44:45], v[38:39], v[2:3], -v[44:45]
	v_fma_f64 v[48:49], v[40:41], v[2:3], v[4:5]
	ds_load_b128 v[2:5], v1 offset:1072
	scratch_load_b128 v[38:41], off, off offset:272
	v_fma_f64 v[46:47], v[181:182], v[6:7], v[46:47]
	v_fma_f64 v[52:53], v[179:180], v[6:7], -v[8:9]
	scratch_load_b128 v[179:182], off, off offset:288
	ds_load_b128 v[6:9], v1 offset:1088
	s_waitcnt vmcnt(9) lgkmcnt(1)
	v_mul_f64 v[50:51], v[2:3], v[12:13]
	v_mul_f64 v[12:13], v[4:5], v[12:13]
	s_waitcnt vmcnt(8) lgkmcnt(0)
	v_mul_f64 v[54:55], v[6:7], v[16:17]
	v_mul_f64 v[16:17], v[8:9], v[16:17]
	v_add_f64 v[44:45], v[44:45], 0
	v_add_f64 v[48:49], v[48:49], 0
	v_fma_f64 v[50:51], v[4:5], v[10:11], v[50:51]
	v_fma_f64 v[56:57], v[2:3], v[10:11], -v[12:13]
	ds_load_b128 v[2:5], v1 offset:1104
	scratch_load_b128 v[10:13], off, off offset:304
	v_add_f64 v[44:45], v[44:45], v[52:53]
	v_add_f64 v[46:47], v[48:49], v[46:47]
	v_fma_f64 v[52:53], v[8:9], v[14:15], v[54:55]
	v_fma_f64 v[54:55], v[6:7], v[14:15], -v[16:17]
	scratch_load_b128 v[14:17], off, off offset:320
	ds_load_b128 v[6:9], v1 offset:1120
	s_waitcnt vmcnt(9) lgkmcnt(1)
	v_mul_f64 v[48:49], v[2:3], v[20:21]
	v_mul_f64 v[20:21], v[4:5], v[20:21]
	v_add_f64 v[44:45], v[44:45], v[56:57]
	v_add_f64 v[46:47], v[46:47], v[50:51]
	s_waitcnt vmcnt(8) lgkmcnt(0)
	v_mul_f64 v[50:51], v[6:7], v[24:25]
	v_mul_f64 v[24:25], v[8:9], v[24:25]
	v_fma_f64 v[48:49], v[4:5], v[18:19], v[48:49]
	v_fma_f64 v[56:57], v[2:3], v[18:19], -v[20:21]
	ds_load_b128 v[2:5], v1 offset:1136
	scratch_load_b128 v[18:21], off, off offset:336
	v_add_f64 v[44:45], v[44:45], v[54:55]
	v_add_f64 v[46:47], v[46:47], v[52:53]
	v_fma_f64 v[50:51], v[8:9], v[22:23], v[50:51]
	v_fma_f64 v[54:55], v[6:7], v[22:23], -v[24:25]
	scratch_load_b128 v[22:25], off, off offset:352
	ds_load_b128 v[6:9], v1 offset:1152
	s_waitcnt vmcnt(9) lgkmcnt(1)
	v_mul_f64 v[52:53], v[2:3], v[28:29]
	v_mul_f64 v[28:29], v[4:5], v[28:29]
	v_add_f64 v[44:45], v[44:45], v[56:57]
	v_add_f64 v[46:47], v[46:47], v[48:49]
	s_waitcnt vmcnt(8) lgkmcnt(0)
	v_mul_f64 v[48:49], v[6:7], v[32:33]
	v_mul_f64 v[32:33], v[8:9], v[32:33]
	;; [unrolled: 18-line block ×3, first 2 shown]
	v_fma_f64 v[50:51], v[4:5], v[34:35], v[50:51]
	v_fma_f64 v[58:59], v[2:3], v[34:35], -v[36:37]
	ds_load_b128 v[2:5], v1 offset:1200
	scratch_load_b128 v[34:37], off, off offset:400
	v_add_f64 v[44:45], v[44:45], v[54:55]
	v_add_f64 v[46:47], v[46:47], v[48:49]
	v_fma_f64 v[52:53], v[8:9], v[183:184], v[52:53]
	v_fma_f64 v[54:55], v[6:7], v[183:184], -v[56:57]
	scratch_load_b128 v[183:186], off, off offset:416
	ds_load_b128 v[6:9], v1 offset:1216
	s_waitcnt vmcnt(9) lgkmcnt(1)
	v_mul_f64 v[48:49], v[2:3], v[40:41]
	v_mul_f64 v[40:41], v[4:5], v[40:41]
	s_waitcnt vmcnt(8) lgkmcnt(0)
	v_mul_f64 v[56:57], v[8:9], v[181:182]
	v_add_f64 v[44:45], v[44:45], v[58:59]
	v_add_f64 v[46:47], v[46:47], v[50:51]
	v_mul_f64 v[50:51], v[6:7], v[181:182]
	v_fma_f64 v[48:49], v[4:5], v[38:39], v[48:49]
	v_fma_f64 v[58:59], v[2:3], v[38:39], -v[40:41]
	ds_load_b128 v[2:5], v1 offset:1232
	scratch_load_b128 v[38:41], off, off offset:432
	v_add_f64 v[44:45], v[44:45], v[54:55]
	v_add_f64 v[46:47], v[46:47], v[52:53]
	v_fma_f64 v[50:51], v[8:9], v[179:180], v[50:51]
	v_fma_f64 v[54:55], v[6:7], v[179:180], -v[56:57]
	scratch_load_b128 v[179:182], off, off offset:448
	ds_load_b128 v[6:9], v1 offset:1248
	s_waitcnt vmcnt(9) lgkmcnt(1)
	v_mul_f64 v[52:53], v[2:3], v[12:13]
	v_mul_f64 v[12:13], v[4:5], v[12:13]
	v_add_f64 v[44:45], v[44:45], v[58:59]
	v_add_f64 v[46:47], v[46:47], v[48:49]
	s_waitcnt vmcnt(8) lgkmcnt(0)
	v_mul_f64 v[48:49], v[6:7], v[16:17]
	v_mul_f64 v[16:17], v[8:9], v[16:17]
	v_fma_f64 v[52:53], v[4:5], v[10:11], v[52:53]
	v_fma_f64 v[56:57], v[2:3], v[10:11], -v[12:13]
	ds_load_b128 v[2:5], v1 offset:1264
	scratch_load_b128 v[10:13], off, off offset:464
	v_add_f64 v[44:45], v[44:45], v[54:55]
	v_add_f64 v[46:47], v[46:47], v[50:51]
	v_fma_f64 v[48:49], v[8:9], v[14:15], v[48:49]
	v_fma_f64 v[54:55], v[6:7], v[14:15], -v[16:17]
	scratch_load_b128 v[14:17], off, off offset:480
	ds_load_b128 v[6:9], v1 offset:1280
	s_waitcnt vmcnt(9) lgkmcnt(1)
	v_mul_f64 v[50:51], v[2:3], v[20:21]
	v_mul_f64 v[20:21], v[4:5], v[20:21]
	v_add_f64 v[44:45], v[44:45], v[56:57]
	v_add_f64 v[46:47], v[46:47], v[52:53]
	s_waitcnt vmcnt(8) lgkmcnt(0)
	v_mul_f64 v[52:53], v[6:7], v[24:25]
	;; [unrolled: 18-line block ×4, first 2 shown]
	v_mul_f64 v[56:57], v[8:9], v[185:186]
	v_fma_f64 v[52:53], v[4:5], v[34:35], v[52:53]
	v_fma_f64 v[58:59], v[2:3], v[34:35], -v[36:37]
	ds_load_b128 v[2:5], v1 offset:1360
	scratch_load_b128 v[34:37], off, off offset:560
	v_add_f64 v[44:45], v[44:45], v[54:55]
	v_add_f64 v[46:47], v[46:47], v[50:51]
	v_fma_f64 v[48:49], v[8:9], v[183:184], v[48:49]
	v_fma_f64 v[54:55], v[6:7], v[183:184], -v[56:57]
	scratch_load_b128 v[183:186], off, off offset:576
	ds_load_b128 v[6:9], v1 offset:1376
	s_waitcnt vmcnt(9) lgkmcnt(1)
	v_mul_f64 v[50:51], v[2:3], v[40:41]
	v_mul_f64 v[40:41], v[4:5], v[40:41]
	s_waitcnt vmcnt(8) lgkmcnt(0)
	v_mul_f64 v[56:57], v[8:9], v[181:182]
	v_add_f64 v[44:45], v[44:45], v[58:59]
	v_add_f64 v[46:47], v[46:47], v[52:53]
	v_mul_f64 v[52:53], v[6:7], v[181:182]
	v_fma_f64 v[50:51], v[4:5], v[38:39], v[50:51]
	v_fma_f64 v[58:59], v[2:3], v[38:39], -v[40:41]
	ds_load_b128 v[2:5], v1 offset:1392
	scratch_load_b128 v[38:41], off, off offset:592
	v_add_f64 v[44:45], v[44:45], v[54:55]
	v_add_f64 v[46:47], v[46:47], v[48:49]
	v_fma_f64 v[52:53], v[8:9], v[179:180], v[52:53]
	v_fma_f64 v[54:55], v[6:7], v[179:180], -v[56:57]
	scratch_load_b128 v[179:182], off, off offset:608
	ds_load_b128 v[6:9], v1 offset:1408
	s_waitcnt vmcnt(9) lgkmcnt(1)
	v_mul_f64 v[48:49], v[2:3], v[12:13]
	v_mul_f64 v[12:13], v[4:5], v[12:13]
	v_add_f64 v[44:45], v[44:45], v[58:59]
	v_add_f64 v[46:47], v[46:47], v[50:51]
	s_waitcnt vmcnt(8) lgkmcnt(0)
	v_mul_f64 v[50:51], v[6:7], v[16:17]
	v_mul_f64 v[16:17], v[8:9], v[16:17]
	v_fma_f64 v[48:49], v[4:5], v[10:11], v[48:49]
	v_fma_f64 v[56:57], v[2:3], v[10:11], -v[12:13]
	ds_load_b128 v[2:5], v1 offset:1424
	scratch_load_b128 v[10:13], off, off offset:624
	v_add_f64 v[44:45], v[44:45], v[54:55]
	v_add_f64 v[46:47], v[46:47], v[52:53]
	v_fma_f64 v[50:51], v[8:9], v[14:15], v[50:51]
	v_fma_f64 v[54:55], v[6:7], v[14:15], -v[16:17]
	scratch_load_b128 v[14:17], off, off offset:640
	ds_load_b128 v[6:9], v1 offset:1440
	s_waitcnt vmcnt(9) lgkmcnt(1)
	v_mul_f64 v[52:53], v[2:3], v[20:21]
	v_mul_f64 v[20:21], v[4:5], v[20:21]
	v_add_f64 v[44:45], v[44:45], v[56:57]
	v_add_f64 v[46:47], v[46:47], v[48:49]
	s_waitcnt vmcnt(8) lgkmcnt(0)
	v_mul_f64 v[48:49], v[6:7], v[24:25]
	;; [unrolled: 18-line block ×4, first 2 shown]
	v_mul_f64 v[56:57], v[8:9], v[185:186]
	v_fma_f64 v[48:49], v[4:5], v[34:35], v[48:49]
	v_fma_f64 v[58:59], v[2:3], v[34:35], -v[36:37]
	ds_load_b128 v[2:5], v1 offset:1520
	scratch_load_b128 v[34:37], off, off offset:720
	v_add_f64 v[44:45], v[44:45], v[54:55]
	v_add_f64 v[46:47], v[46:47], v[52:53]
	v_fma_f64 v[50:51], v[8:9], v[183:184], v[50:51]
	v_fma_f64 v[54:55], v[6:7], v[183:184], -v[56:57]
	scratch_load_b128 v[183:186], off, off offset:736
	ds_load_b128 v[6:9], v1 offset:1536
	s_waitcnt vmcnt(9) lgkmcnt(1)
	v_mul_f64 v[52:53], v[2:3], v[40:41]
	v_mul_f64 v[40:41], v[4:5], v[40:41]
	s_waitcnt vmcnt(8) lgkmcnt(0)
	v_mul_f64 v[56:57], v[8:9], v[181:182]
	v_add_f64 v[44:45], v[44:45], v[58:59]
	v_add_f64 v[46:47], v[46:47], v[48:49]
	v_mul_f64 v[48:49], v[6:7], v[181:182]
	v_fma_f64 v[52:53], v[4:5], v[38:39], v[52:53]
	v_fma_f64 v[58:59], v[2:3], v[38:39], -v[40:41]
	ds_load_b128 v[2:5], v1 offset:1552
	scratch_load_b128 v[38:41], off, off offset:752
	v_add_f64 v[44:45], v[44:45], v[54:55]
	v_add_f64 v[46:47], v[46:47], v[50:51]
	v_fma_f64 v[48:49], v[8:9], v[179:180], v[48:49]
	v_fma_f64 v[54:55], v[6:7], v[179:180], -v[56:57]
	scratch_load_b128 v[179:182], off, off offset:768
	ds_load_b128 v[6:9], v1 offset:1568
	s_waitcnt vmcnt(9) lgkmcnt(1)
	v_mul_f64 v[50:51], v[2:3], v[12:13]
	v_mul_f64 v[12:13], v[4:5], v[12:13]
	v_add_f64 v[44:45], v[44:45], v[58:59]
	v_add_f64 v[46:47], v[46:47], v[52:53]
	s_waitcnt vmcnt(8) lgkmcnt(0)
	v_mul_f64 v[52:53], v[6:7], v[16:17]
	v_mul_f64 v[16:17], v[8:9], v[16:17]
	v_fma_f64 v[50:51], v[4:5], v[10:11], v[50:51]
	v_fma_f64 v[56:57], v[2:3], v[10:11], -v[12:13]
	ds_load_b128 v[2:5], v1 offset:1584
	scratch_load_b128 v[10:13], off, off offset:784
	v_add_f64 v[44:45], v[44:45], v[54:55]
	v_add_f64 v[46:47], v[46:47], v[48:49]
	v_fma_f64 v[52:53], v[8:9], v[14:15], v[52:53]
	v_fma_f64 v[54:55], v[6:7], v[14:15], -v[16:17]
	scratch_load_b128 v[14:17], off, off offset:800
	ds_load_b128 v[6:9], v1 offset:1600
	s_waitcnt vmcnt(9) lgkmcnt(1)
	v_mul_f64 v[48:49], v[2:3], v[20:21]
	v_mul_f64 v[20:21], v[4:5], v[20:21]
	v_add_f64 v[44:45], v[44:45], v[56:57]
	v_add_f64 v[46:47], v[46:47], v[50:51]
	s_waitcnt vmcnt(8) lgkmcnt(0)
	v_mul_f64 v[50:51], v[6:7], v[24:25]
	v_mul_f64 v[24:25], v[8:9], v[24:25]
	v_fma_f64 v[48:49], v[4:5], v[18:19], v[48:49]
	v_fma_f64 v[56:57], v[2:3], v[18:19], -v[20:21]
	ds_load_b128 v[2:5], v1 offset:1616
	scratch_load_b128 v[18:21], off, off offset:816
	v_add_f64 v[44:45], v[44:45], v[54:55]
	v_add_f64 v[46:47], v[46:47], v[52:53]
	v_fma_f64 v[50:51], v[8:9], v[22:23], v[50:51]
	v_fma_f64 v[54:55], v[6:7], v[22:23], -v[24:25]
	ds_load_b128 v[6:9], v1 offset:1632
	s_waitcnt vmcnt(8) lgkmcnt(1)
	v_mul_f64 v[52:53], v[2:3], v[28:29]
	v_mul_f64 v[28:29], v[4:5], v[28:29]
	scratch_load_b128 v[22:25], off, off offset:832
	v_add_f64 v[44:45], v[44:45], v[56:57]
	v_add_f64 v[46:47], v[46:47], v[48:49]
	s_waitcnt vmcnt(8) lgkmcnt(0)
	v_mul_f64 v[48:49], v[6:7], v[32:33]
	v_mul_f64 v[32:33], v[8:9], v[32:33]
	v_fma_f64 v[52:53], v[4:5], v[26:27], v[52:53]
	v_fma_f64 v[56:57], v[2:3], v[26:27], -v[28:29]
	scratch_load_b128 v[26:29], off, off offset:848
	ds_load_b128 v[2:5], v1 offset:1648
	v_add_f64 v[44:45], v[44:45], v[54:55]
	v_add_f64 v[46:47], v[46:47], v[50:51]
	v_fma_f64 v[48:49], v[8:9], v[30:31], v[48:49]
	v_fma_f64 v[54:55], v[6:7], v[30:31], -v[32:33]
	ds_load_b128 v[6:9], v1 offset:1664
	s_waitcnt vmcnt(8) lgkmcnt(1)
	v_mul_f64 v[50:51], v[2:3], v[36:37]
	v_mul_f64 v[36:37], v[4:5], v[36:37]
	scratch_load_b128 v[30:33], off, off offset:864
	v_add_f64 v[44:45], v[44:45], v[56:57]
	v_add_f64 v[46:47], v[46:47], v[52:53]
	s_waitcnt vmcnt(8) lgkmcnt(0)
	v_mul_f64 v[52:53], v[6:7], v[185:186]
	v_mul_f64 v[56:57], v[8:9], v[185:186]
	v_fma_f64 v[50:51], v[4:5], v[34:35], v[50:51]
	v_fma_f64 v[58:59], v[2:3], v[34:35], -v[36:37]
	scratch_load_b128 v[34:37], off, off offset:880
	ds_load_b128 v[2:5], v1 offset:1680
	v_add_f64 v[44:45], v[44:45], v[54:55]
	v_add_f64 v[46:47], v[46:47], v[48:49]
	v_fma_f64 v[52:53], v[8:9], v[183:184], v[52:53]
	v_fma_f64 v[54:55], v[6:7], v[183:184], -v[56:57]
	ds_load_b128 v[6:9], v1 offset:1696
	s_waitcnt vmcnt(8) lgkmcnt(1)
	v_mul_f64 v[48:49], v[2:3], v[40:41]
	v_mul_f64 v[40:41], v[4:5], v[40:41]
	scratch_load_b128 v[183:186], off, off offset:896
	s_waitcnt vmcnt(8) lgkmcnt(0)
	v_mul_f64 v[56:57], v[8:9], v[181:182]
	v_add_f64 v[44:45], v[44:45], v[58:59]
	v_add_f64 v[46:47], v[46:47], v[50:51]
	v_mul_f64 v[50:51], v[6:7], v[181:182]
	v_fma_f64 v[48:49], v[4:5], v[38:39], v[48:49]
	v_fma_f64 v[58:59], v[2:3], v[38:39], -v[40:41]
	scratch_load_b128 v[38:41], off, off offset:912
	ds_load_b128 v[2:5], v1 offset:1712
	v_add_f64 v[44:45], v[44:45], v[54:55]
	v_add_f64 v[46:47], v[46:47], v[52:53]
	v_fma_f64 v[50:51], v[8:9], v[179:180], v[50:51]
	v_fma_f64 v[54:55], v[6:7], v[179:180], -v[56:57]
	ds_load_b128 v[6:9], v1 offset:1728
	s_waitcnt vmcnt(8) lgkmcnt(1)
	v_mul_f64 v[52:53], v[2:3], v[12:13]
	v_mul_f64 v[12:13], v[4:5], v[12:13]
	v_add_f64 v[44:45], v[44:45], v[58:59]
	v_add_f64 v[46:47], v[46:47], v[48:49]
	s_waitcnt vmcnt(7) lgkmcnt(0)
	v_mul_f64 v[48:49], v[6:7], v[16:17]
	v_mul_f64 v[16:17], v[8:9], v[16:17]
	v_fma_f64 v[52:53], v[4:5], v[10:11], v[52:53]
	v_fma_f64 v[10:11], v[2:3], v[10:11], -v[12:13]
	ds_load_b128 v[2:5], v1 offset:1744
	v_add_f64 v[12:13], v[44:45], v[54:55]
	v_add_f64 v[44:45], v[46:47], v[50:51]
	v_fma_f64 v[48:49], v[8:9], v[14:15], v[48:49]
	v_fma_f64 v[14:15], v[6:7], v[14:15], -v[16:17]
	ds_load_b128 v[6:9], v1 offset:1760
	s_waitcnt vmcnt(5) lgkmcnt(0)
	v_mul_f64 v[50:51], v[6:7], v[24:25]
	v_mul_f64 v[24:25], v[8:9], v[24:25]
	v_add_f64 v[16:17], v[12:13], v[10:11]
	v_add_f64 v[44:45], v[44:45], v[52:53]
	scratch_load_b128 v[10:13], off, off offset:96
	v_mul_f64 v[46:47], v[2:3], v[20:21]
	v_mul_f64 v[20:21], v[4:5], v[20:21]
	v_add_f64 v[14:15], v[16:17], v[14:15]
	v_add_f64 v[16:17], v[44:45], v[48:49]
	v_fma_f64 v[44:45], v[8:9], v[22:23], v[50:51]
	v_fma_f64 v[46:47], v[4:5], v[18:19], v[46:47]
	v_fma_f64 v[18:19], v[2:3], v[18:19], -v[20:21]
	ds_load_b128 v[2:5], v1 offset:1776
	v_fma_f64 v[22:23], v[6:7], v[22:23], -v[24:25]
	ds_load_b128 v[6:9], v1 offset:1792
	s_waitcnt vmcnt(5) lgkmcnt(1)
	v_mul_f64 v[20:21], v[2:3], v[28:29]
	v_mul_f64 v[28:29], v[4:5], v[28:29]
	s_waitcnt vmcnt(4) lgkmcnt(0)
	v_mul_f64 v[24:25], v[8:9], v[32:33]
	v_add_f64 v[16:17], v[16:17], v[46:47]
	v_add_f64 v[14:15], v[14:15], v[18:19]
	v_mul_f64 v[18:19], v[6:7], v[32:33]
	v_fma_f64 v[20:21], v[4:5], v[26:27], v[20:21]
	v_fma_f64 v[26:27], v[2:3], v[26:27], -v[28:29]
	ds_load_b128 v[2:5], v1 offset:1808
	v_fma_f64 v[24:25], v[6:7], v[30:31], -v[24:25]
	v_add_f64 v[16:17], v[16:17], v[44:45]
	v_add_f64 v[14:15], v[14:15], v[22:23]
	v_fma_f64 v[18:19], v[8:9], v[30:31], v[18:19]
	ds_load_b128 v[6:9], v1 offset:1824
	s_waitcnt vmcnt(3) lgkmcnt(1)
	v_mul_f64 v[22:23], v[2:3], v[36:37]
	v_mul_f64 v[28:29], v[4:5], v[36:37]
	v_add_f64 v[16:17], v[16:17], v[20:21]
	v_add_f64 v[14:15], v[14:15], v[26:27]
	s_waitcnt vmcnt(2) lgkmcnt(0)
	v_mul_f64 v[20:21], v[6:7], v[185:186]
	v_mul_f64 v[26:27], v[8:9], v[185:186]
	v_fma_f64 v[22:23], v[4:5], v[34:35], v[22:23]
	v_fma_f64 v[28:29], v[2:3], v[34:35], -v[28:29]
	ds_load_b128 v[2:5], v1 offset:1840
	v_add_f64 v[16:17], v[16:17], v[18:19]
	v_add_f64 v[14:15], v[14:15], v[24:25]
	s_waitcnt vmcnt(1) lgkmcnt(0)
	v_mul_f64 v[18:19], v[2:3], v[40:41]
	v_mul_f64 v[24:25], v[4:5], v[40:41]
	v_fma_f64 v[8:9], v[8:9], v[183:184], v[20:21]
	v_fma_f64 v[6:7], v[6:7], v[183:184], -v[26:27]
	v_add_f64 v[16:17], v[16:17], v[22:23]
	v_add_f64 v[14:15], v[14:15], v[28:29]
	v_fma_f64 v[4:5], v[4:5], v[38:39], v[18:19]
	v_fma_f64 v[2:3], v[2:3], v[38:39], -v[24:25]
	s_delay_alu instid0(VALU_DEP_4) | instskip(NEXT) | instid1(VALU_DEP_4)
	v_add_f64 v[8:9], v[16:17], v[8:9]
	v_add_f64 v[6:7], v[14:15], v[6:7]
	s_delay_alu instid0(VALU_DEP_2) | instskip(NEXT) | instid1(VALU_DEP_2)
	v_add_f64 v[4:5], v[8:9], v[4:5]
	v_add_f64 v[2:3], v[6:7], v[2:3]
	s_waitcnt vmcnt(0)
	s_delay_alu instid0(VALU_DEP_2) | instskip(NEXT) | instid1(VALU_DEP_2)
	v_add_f64 v[4:5], v[12:13], -v[4:5]
	v_add_f64 v[2:3], v[10:11], -v[2:3]
	scratch_store_b128 off, v[2:5], off offset:96
	v_cmpx_lt_u32_e32 5, v158
	s_cbranch_execz .LBB57_351
; %bb.350:
	scratch_load_b128 v[5:8], v211, off
	v_mov_b32_e32 v2, v1
	v_mov_b32_e32 v3, v1
	;; [unrolled: 1-line block ×3, first 2 shown]
	scratch_store_b128 off, v[1:4], off offset:80
	s_waitcnt vmcnt(0)
	ds_store_b128 v216, v[5:8]
.LBB57_351:
	s_or_b32 exec_lo, exec_lo, s2
	s_waitcnt lgkmcnt(0)
	s_waitcnt_vscnt null, 0x0
	s_barrier
	buffer_gl0_inv
	s_clause 0x7
	scratch_load_b128 v[2:5], off, off offset:96
	scratch_load_b128 v[6:9], off, off offset:112
	;; [unrolled: 1-line block ×8, first 2 shown]
	ds_load_b128 v[38:41], v1 offset:1024
	ds_load_b128 v[179:182], v1 offset:1040
	s_clause 0x1
	scratch_load_b128 v[34:37], off, off offset:224
	scratch_load_b128 v[183:186], off, off offset:240
	s_mov_b32 s2, exec_lo
	s_waitcnt vmcnt(9) lgkmcnt(1)
	v_mul_f64 v[44:45], v[40:41], v[4:5]
	v_mul_f64 v[4:5], v[38:39], v[4:5]
	s_waitcnt vmcnt(8) lgkmcnt(0)
	v_mul_f64 v[46:47], v[179:180], v[8:9]
	v_mul_f64 v[8:9], v[181:182], v[8:9]
	s_delay_alu instid0(VALU_DEP_4) | instskip(NEXT) | instid1(VALU_DEP_4)
	v_fma_f64 v[44:45], v[38:39], v[2:3], -v[44:45]
	v_fma_f64 v[48:49], v[40:41], v[2:3], v[4:5]
	ds_load_b128 v[2:5], v1 offset:1056
	scratch_load_b128 v[38:41], off, off offset:256
	v_fma_f64 v[46:47], v[181:182], v[6:7], v[46:47]
	v_fma_f64 v[52:53], v[179:180], v[6:7], -v[8:9]
	scratch_load_b128 v[179:182], off, off offset:272
	ds_load_b128 v[6:9], v1 offset:1072
	s_waitcnt vmcnt(9) lgkmcnt(1)
	v_mul_f64 v[50:51], v[2:3], v[12:13]
	v_mul_f64 v[12:13], v[4:5], v[12:13]
	s_waitcnt vmcnt(8) lgkmcnt(0)
	v_mul_f64 v[54:55], v[6:7], v[16:17]
	v_mul_f64 v[16:17], v[8:9], v[16:17]
	v_add_f64 v[44:45], v[44:45], 0
	v_add_f64 v[48:49], v[48:49], 0
	v_fma_f64 v[50:51], v[4:5], v[10:11], v[50:51]
	v_fma_f64 v[56:57], v[2:3], v[10:11], -v[12:13]
	ds_load_b128 v[2:5], v1 offset:1088
	scratch_load_b128 v[10:13], off, off offset:288
	v_add_f64 v[44:45], v[44:45], v[52:53]
	v_add_f64 v[46:47], v[48:49], v[46:47]
	v_fma_f64 v[52:53], v[8:9], v[14:15], v[54:55]
	v_fma_f64 v[54:55], v[6:7], v[14:15], -v[16:17]
	scratch_load_b128 v[14:17], off, off offset:304
	ds_load_b128 v[6:9], v1 offset:1104
	s_waitcnt vmcnt(9) lgkmcnt(1)
	v_mul_f64 v[48:49], v[2:3], v[20:21]
	v_mul_f64 v[20:21], v[4:5], v[20:21]
	v_add_f64 v[44:45], v[44:45], v[56:57]
	v_add_f64 v[46:47], v[46:47], v[50:51]
	s_waitcnt vmcnt(8) lgkmcnt(0)
	v_mul_f64 v[50:51], v[6:7], v[24:25]
	v_mul_f64 v[24:25], v[8:9], v[24:25]
	v_fma_f64 v[48:49], v[4:5], v[18:19], v[48:49]
	v_fma_f64 v[56:57], v[2:3], v[18:19], -v[20:21]
	ds_load_b128 v[2:5], v1 offset:1120
	scratch_load_b128 v[18:21], off, off offset:320
	v_add_f64 v[44:45], v[44:45], v[54:55]
	v_add_f64 v[46:47], v[46:47], v[52:53]
	v_fma_f64 v[50:51], v[8:9], v[22:23], v[50:51]
	v_fma_f64 v[54:55], v[6:7], v[22:23], -v[24:25]
	scratch_load_b128 v[22:25], off, off offset:336
	ds_load_b128 v[6:9], v1 offset:1136
	s_waitcnt vmcnt(9) lgkmcnt(1)
	v_mul_f64 v[52:53], v[2:3], v[28:29]
	v_mul_f64 v[28:29], v[4:5], v[28:29]
	v_add_f64 v[44:45], v[44:45], v[56:57]
	v_add_f64 v[46:47], v[46:47], v[48:49]
	s_waitcnt vmcnt(8) lgkmcnt(0)
	v_mul_f64 v[48:49], v[6:7], v[32:33]
	v_mul_f64 v[32:33], v[8:9], v[32:33]
	;; [unrolled: 18-line block ×3, first 2 shown]
	v_fma_f64 v[50:51], v[4:5], v[34:35], v[50:51]
	v_fma_f64 v[58:59], v[2:3], v[34:35], -v[36:37]
	ds_load_b128 v[2:5], v1 offset:1184
	scratch_load_b128 v[34:37], off, off offset:384
	v_add_f64 v[44:45], v[44:45], v[54:55]
	v_add_f64 v[46:47], v[46:47], v[48:49]
	v_fma_f64 v[52:53], v[8:9], v[183:184], v[52:53]
	v_fma_f64 v[54:55], v[6:7], v[183:184], -v[56:57]
	scratch_load_b128 v[183:186], off, off offset:400
	ds_load_b128 v[6:9], v1 offset:1200
	s_waitcnt vmcnt(9) lgkmcnt(1)
	v_mul_f64 v[48:49], v[2:3], v[40:41]
	v_mul_f64 v[40:41], v[4:5], v[40:41]
	s_waitcnt vmcnt(8) lgkmcnt(0)
	v_mul_f64 v[56:57], v[8:9], v[181:182]
	v_add_f64 v[44:45], v[44:45], v[58:59]
	v_add_f64 v[46:47], v[46:47], v[50:51]
	v_mul_f64 v[50:51], v[6:7], v[181:182]
	v_fma_f64 v[48:49], v[4:5], v[38:39], v[48:49]
	v_fma_f64 v[58:59], v[2:3], v[38:39], -v[40:41]
	ds_load_b128 v[2:5], v1 offset:1216
	scratch_load_b128 v[38:41], off, off offset:416
	v_add_f64 v[44:45], v[44:45], v[54:55]
	v_add_f64 v[46:47], v[46:47], v[52:53]
	v_fma_f64 v[50:51], v[8:9], v[179:180], v[50:51]
	v_fma_f64 v[54:55], v[6:7], v[179:180], -v[56:57]
	scratch_load_b128 v[179:182], off, off offset:432
	ds_load_b128 v[6:9], v1 offset:1232
	s_waitcnt vmcnt(9) lgkmcnt(1)
	v_mul_f64 v[52:53], v[2:3], v[12:13]
	v_mul_f64 v[12:13], v[4:5], v[12:13]
	v_add_f64 v[44:45], v[44:45], v[58:59]
	v_add_f64 v[46:47], v[46:47], v[48:49]
	s_waitcnt vmcnt(8) lgkmcnt(0)
	v_mul_f64 v[48:49], v[6:7], v[16:17]
	v_mul_f64 v[16:17], v[8:9], v[16:17]
	v_fma_f64 v[52:53], v[4:5], v[10:11], v[52:53]
	v_fma_f64 v[56:57], v[2:3], v[10:11], -v[12:13]
	ds_load_b128 v[2:5], v1 offset:1248
	scratch_load_b128 v[10:13], off, off offset:448
	v_add_f64 v[44:45], v[44:45], v[54:55]
	v_add_f64 v[46:47], v[46:47], v[50:51]
	v_fma_f64 v[48:49], v[8:9], v[14:15], v[48:49]
	v_fma_f64 v[54:55], v[6:7], v[14:15], -v[16:17]
	scratch_load_b128 v[14:17], off, off offset:464
	ds_load_b128 v[6:9], v1 offset:1264
	s_waitcnt vmcnt(9) lgkmcnt(1)
	v_mul_f64 v[50:51], v[2:3], v[20:21]
	v_mul_f64 v[20:21], v[4:5], v[20:21]
	v_add_f64 v[44:45], v[44:45], v[56:57]
	v_add_f64 v[46:47], v[46:47], v[52:53]
	s_waitcnt vmcnt(8) lgkmcnt(0)
	v_mul_f64 v[52:53], v[6:7], v[24:25]
	;; [unrolled: 18-line block ×4, first 2 shown]
	v_mul_f64 v[56:57], v[8:9], v[185:186]
	v_fma_f64 v[52:53], v[4:5], v[34:35], v[52:53]
	v_fma_f64 v[58:59], v[2:3], v[34:35], -v[36:37]
	ds_load_b128 v[2:5], v1 offset:1344
	scratch_load_b128 v[34:37], off, off offset:544
	v_add_f64 v[44:45], v[44:45], v[54:55]
	v_add_f64 v[46:47], v[46:47], v[50:51]
	v_fma_f64 v[48:49], v[8:9], v[183:184], v[48:49]
	v_fma_f64 v[54:55], v[6:7], v[183:184], -v[56:57]
	scratch_load_b128 v[183:186], off, off offset:560
	ds_load_b128 v[6:9], v1 offset:1360
	s_waitcnt vmcnt(9) lgkmcnt(1)
	v_mul_f64 v[50:51], v[2:3], v[40:41]
	v_mul_f64 v[40:41], v[4:5], v[40:41]
	s_waitcnt vmcnt(8) lgkmcnt(0)
	v_mul_f64 v[56:57], v[8:9], v[181:182]
	v_add_f64 v[44:45], v[44:45], v[58:59]
	v_add_f64 v[46:47], v[46:47], v[52:53]
	v_mul_f64 v[52:53], v[6:7], v[181:182]
	v_fma_f64 v[50:51], v[4:5], v[38:39], v[50:51]
	v_fma_f64 v[58:59], v[2:3], v[38:39], -v[40:41]
	ds_load_b128 v[2:5], v1 offset:1376
	scratch_load_b128 v[38:41], off, off offset:576
	v_add_f64 v[44:45], v[44:45], v[54:55]
	v_add_f64 v[46:47], v[46:47], v[48:49]
	v_fma_f64 v[52:53], v[8:9], v[179:180], v[52:53]
	v_fma_f64 v[54:55], v[6:7], v[179:180], -v[56:57]
	scratch_load_b128 v[179:182], off, off offset:592
	ds_load_b128 v[6:9], v1 offset:1392
	s_waitcnt vmcnt(9) lgkmcnt(1)
	v_mul_f64 v[48:49], v[2:3], v[12:13]
	v_mul_f64 v[12:13], v[4:5], v[12:13]
	v_add_f64 v[44:45], v[44:45], v[58:59]
	v_add_f64 v[46:47], v[46:47], v[50:51]
	s_waitcnt vmcnt(8) lgkmcnt(0)
	v_mul_f64 v[50:51], v[6:7], v[16:17]
	v_mul_f64 v[16:17], v[8:9], v[16:17]
	v_fma_f64 v[48:49], v[4:5], v[10:11], v[48:49]
	v_fma_f64 v[56:57], v[2:3], v[10:11], -v[12:13]
	ds_load_b128 v[2:5], v1 offset:1408
	scratch_load_b128 v[10:13], off, off offset:608
	v_add_f64 v[44:45], v[44:45], v[54:55]
	v_add_f64 v[46:47], v[46:47], v[52:53]
	v_fma_f64 v[50:51], v[8:9], v[14:15], v[50:51]
	v_fma_f64 v[54:55], v[6:7], v[14:15], -v[16:17]
	scratch_load_b128 v[14:17], off, off offset:624
	ds_load_b128 v[6:9], v1 offset:1424
	s_waitcnt vmcnt(9) lgkmcnt(1)
	v_mul_f64 v[52:53], v[2:3], v[20:21]
	v_mul_f64 v[20:21], v[4:5], v[20:21]
	v_add_f64 v[44:45], v[44:45], v[56:57]
	v_add_f64 v[46:47], v[46:47], v[48:49]
	s_waitcnt vmcnt(8) lgkmcnt(0)
	v_mul_f64 v[48:49], v[6:7], v[24:25]
	;; [unrolled: 18-line block ×4, first 2 shown]
	v_mul_f64 v[56:57], v[8:9], v[185:186]
	v_fma_f64 v[48:49], v[4:5], v[34:35], v[48:49]
	v_fma_f64 v[58:59], v[2:3], v[34:35], -v[36:37]
	ds_load_b128 v[2:5], v1 offset:1504
	scratch_load_b128 v[34:37], off, off offset:704
	v_add_f64 v[44:45], v[44:45], v[54:55]
	v_add_f64 v[46:47], v[46:47], v[52:53]
	v_fma_f64 v[50:51], v[8:9], v[183:184], v[50:51]
	v_fma_f64 v[54:55], v[6:7], v[183:184], -v[56:57]
	scratch_load_b128 v[183:186], off, off offset:720
	ds_load_b128 v[6:9], v1 offset:1520
	s_waitcnt vmcnt(9) lgkmcnt(1)
	v_mul_f64 v[52:53], v[2:3], v[40:41]
	v_mul_f64 v[40:41], v[4:5], v[40:41]
	s_waitcnt vmcnt(8) lgkmcnt(0)
	v_mul_f64 v[56:57], v[8:9], v[181:182]
	v_add_f64 v[44:45], v[44:45], v[58:59]
	v_add_f64 v[46:47], v[46:47], v[48:49]
	v_mul_f64 v[48:49], v[6:7], v[181:182]
	v_fma_f64 v[52:53], v[4:5], v[38:39], v[52:53]
	v_fma_f64 v[58:59], v[2:3], v[38:39], -v[40:41]
	ds_load_b128 v[2:5], v1 offset:1536
	scratch_load_b128 v[38:41], off, off offset:736
	v_add_f64 v[44:45], v[44:45], v[54:55]
	v_add_f64 v[46:47], v[46:47], v[50:51]
	v_fma_f64 v[48:49], v[8:9], v[179:180], v[48:49]
	v_fma_f64 v[54:55], v[6:7], v[179:180], -v[56:57]
	scratch_load_b128 v[179:182], off, off offset:752
	ds_load_b128 v[6:9], v1 offset:1552
	s_waitcnt vmcnt(9) lgkmcnt(1)
	v_mul_f64 v[50:51], v[2:3], v[12:13]
	v_mul_f64 v[12:13], v[4:5], v[12:13]
	v_add_f64 v[44:45], v[44:45], v[58:59]
	v_add_f64 v[46:47], v[46:47], v[52:53]
	s_waitcnt vmcnt(8) lgkmcnt(0)
	v_mul_f64 v[52:53], v[6:7], v[16:17]
	v_mul_f64 v[16:17], v[8:9], v[16:17]
	v_fma_f64 v[50:51], v[4:5], v[10:11], v[50:51]
	v_fma_f64 v[56:57], v[2:3], v[10:11], -v[12:13]
	ds_load_b128 v[2:5], v1 offset:1568
	scratch_load_b128 v[10:13], off, off offset:768
	v_add_f64 v[44:45], v[44:45], v[54:55]
	v_add_f64 v[46:47], v[46:47], v[48:49]
	v_fma_f64 v[52:53], v[8:9], v[14:15], v[52:53]
	v_fma_f64 v[54:55], v[6:7], v[14:15], -v[16:17]
	scratch_load_b128 v[14:17], off, off offset:784
	ds_load_b128 v[6:9], v1 offset:1584
	s_waitcnt vmcnt(9) lgkmcnt(1)
	v_mul_f64 v[48:49], v[2:3], v[20:21]
	v_mul_f64 v[20:21], v[4:5], v[20:21]
	v_add_f64 v[44:45], v[44:45], v[56:57]
	v_add_f64 v[46:47], v[46:47], v[50:51]
	s_waitcnt vmcnt(8) lgkmcnt(0)
	v_mul_f64 v[50:51], v[6:7], v[24:25]
	v_mul_f64 v[24:25], v[8:9], v[24:25]
	v_fma_f64 v[48:49], v[4:5], v[18:19], v[48:49]
	v_fma_f64 v[56:57], v[2:3], v[18:19], -v[20:21]
	ds_load_b128 v[2:5], v1 offset:1600
	scratch_load_b128 v[18:21], off, off offset:800
	v_add_f64 v[44:45], v[44:45], v[54:55]
	v_add_f64 v[46:47], v[46:47], v[52:53]
	v_fma_f64 v[50:51], v[8:9], v[22:23], v[50:51]
	v_fma_f64 v[54:55], v[6:7], v[22:23], -v[24:25]
	ds_load_b128 v[6:9], v1 offset:1616
	s_waitcnt vmcnt(8) lgkmcnt(1)
	v_mul_f64 v[52:53], v[2:3], v[28:29]
	v_mul_f64 v[28:29], v[4:5], v[28:29]
	scratch_load_b128 v[22:25], off, off offset:816
	v_add_f64 v[44:45], v[44:45], v[56:57]
	v_add_f64 v[46:47], v[46:47], v[48:49]
	s_waitcnt vmcnt(8) lgkmcnt(0)
	v_mul_f64 v[48:49], v[6:7], v[32:33]
	v_mul_f64 v[32:33], v[8:9], v[32:33]
	v_fma_f64 v[52:53], v[4:5], v[26:27], v[52:53]
	v_fma_f64 v[56:57], v[2:3], v[26:27], -v[28:29]
	ds_load_b128 v[2:5], v1 offset:1632
	scratch_load_b128 v[26:29], off, off offset:832
	v_add_f64 v[44:45], v[44:45], v[54:55]
	v_add_f64 v[46:47], v[46:47], v[50:51]
	v_fma_f64 v[48:49], v[8:9], v[30:31], v[48:49]
	v_fma_f64 v[54:55], v[6:7], v[30:31], -v[32:33]
	ds_load_b128 v[6:9], v1 offset:1648
	s_waitcnt vmcnt(8) lgkmcnt(1)
	v_mul_f64 v[50:51], v[2:3], v[36:37]
	v_mul_f64 v[36:37], v[4:5], v[36:37]
	scratch_load_b128 v[30:33], off, off offset:848
	v_add_f64 v[44:45], v[44:45], v[56:57]
	v_add_f64 v[46:47], v[46:47], v[52:53]
	s_waitcnt vmcnt(8) lgkmcnt(0)
	v_mul_f64 v[52:53], v[6:7], v[185:186]
	v_mul_f64 v[56:57], v[8:9], v[185:186]
	v_fma_f64 v[50:51], v[4:5], v[34:35], v[50:51]
	v_fma_f64 v[58:59], v[2:3], v[34:35], -v[36:37]
	scratch_load_b128 v[34:37], off, off offset:864
	ds_load_b128 v[2:5], v1 offset:1664
	v_add_f64 v[44:45], v[44:45], v[54:55]
	v_add_f64 v[46:47], v[46:47], v[48:49]
	v_fma_f64 v[52:53], v[8:9], v[183:184], v[52:53]
	v_fma_f64 v[54:55], v[6:7], v[183:184], -v[56:57]
	ds_load_b128 v[6:9], v1 offset:1680
	s_waitcnt vmcnt(8) lgkmcnt(1)
	v_mul_f64 v[48:49], v[2:3], v[40:41]
	v_mul_f64 v[40:41], v[4:5], v[40:41]
	scratch_load_b128 v[183:186], off, off offset:880
	s_waitcnt vmcnt(8) lgkmcnt(0)
	v_mul_f64 v[56:57], v[8:9], v[181:182]
	v_add_f64 v[44:45], v[44:45], v[58:59]
	v_add_f64 v[46:47], v[46:47], v[50:51]
	v_mul_f64 v[50:51], v[6:7], v[181:182]
	v_fma_f64 v[48:49], v[4:5], v[38:39], v[48:49]
	v_fma_f64 v[58:59], v[2:3], v[38:39], -v[40:41]
	scratch_load_b128 v[38:41], off, off offset:896
	ds_load_b128 v[2:5], v1 offset:1696
	v_add_f64 v[44:45], v[44:45], v[54:55]
	v_add_f64 v[46:47], v[46:47], v[52:53]
	v_fma_f64 v[50:51], v[8:9], v[179:180], v[50:51]
	v_fma_f64 v[54:55], v[6:7], v[179:180], -v[56:57]
	ds_load_b128 v[6:9], v1 offset:1712
	s_waitcnt vmcnt(8) lgkmcnt(1)
	v_mul_f64 v[52:53], v[2:3], v[12:13]
	v_mul_f64 v[12:13], v[4:5], v[12:13]
	scratch_load_b128 v[179:182], off, off offset:912
	v_add_f64 v[44:45], v[44:45], v[58:59]
	v_add_f64 v[46:47], v[46:47], v[48:49]
	s_waitcnt vmcnt(8) lgkmcnt(0)
	v_mul_f64 v[48:49], v[6:7], v[16:17]
	v_mul_f64 v[16:17], v[8:9], v[16:17]
	v_fma_f64 v[52:53], v[4:5], v[10:11], v[52:53]
	v_fma_f64 v[10:11], v[2:3], v[10:11], -v[12:13]
	ds_load_b128 v[2:5], v1 offset:1728
	v_add_f64 v[12:13], v[44:45], v[54:55]
	v_add_f64 v[44:45], v[46:47], v[50:51]
	v_fma_f64 v[48:49], v[8:9], v[14:15], v[48:49]
	v_fma_f64 v[14:15], v[6:7], v[14:15], -v[16:17]
	ds_load_b128 v[6:9], v1 offset:1744
	s_waitcnt vmcnt(7) lgkmcnt(1)
	v_mul_f64 v[46:47], v[2:3], v[20:21]
	v_mul_f64 v[20:21], v[4:5], v[20:21]
	v_add_f64 v[10:11], v[12:13], v[10:11]
	v_add_f64 v[12:13], v[44:45], v[52:53]
	s_delay_alu instid0(VALU_DEP_4) | instskip(NEXT) | instid1(VALU_DEP_4)
	v_fma_f64 v[44:45], v[4:5], v[18:19], v[46:47]
	v_fma_f64 v[18:19], v[2:3], v[18:19], -v[20:21]
	ds_load_b128 v[2:5], v1 offset:1760
	v_add_f64 v[14:15], v[10:11], v[14:15]
	v_add_f64 v[20:21], v[12:13], v[48:49]
	scratch_load_b128 v[10:13], off, off offset:80
	s_waitcnt vmcnt(7) lgkmcnt(1)
	v_mul_f64 v[16:17], v[6:7], v[24:25]
	v_mul_f64 v[24:25], v[8:9], v[24:25]
	v_add_f64 v[14:15], v[14:15], v[18:19]
	v_add_f64 v[18:19], v[20:21], v[44:45]
	s_delay_alu instid0(VALU_DEP_4) | instskip(NEXT) | instid1(VALU_DEP_4)
	v_fma_f64 v[16:17], v[8:9], v[22:23], v[16:17]
	v_fma_f64 v[22:23], v[6:7], v[22:23], -v[24:25]
	ds_load_b128 v[6:9], v1 offset:1776
	s_waitcnt vmcnt(6) lgkmcnt(1)
	v_mul_f64 v[46:47], v[2:3], v[28:29]
	v_mul_f64 v[28:29], v[4:5], v[28:29]
	s_waitcnt vmcnt(5) lgkmcnt(0)
	v_mul_f64 v[20:21], v[6:7], v[32:33]
	v_mul_f64 v[24:25], v[8:9], v[32:33]
	v_add_f64 v[16:17], v[18:19], v[16:17]
	v_add_f64 v[14:15], v[14:15], v[22:23]
	v_fma_f64 v[32:33], v[4:5], v[26:27], v[46:47]
	v_fma_f64 v[26:27], v[2:3], v[26:27], -v[28:29]
	ds_load_b128 v[2:5], v1 offset:1792
	v_fma_f64 v[20:21], v[8:9], v[30:31], v[20:21]
	v_fma_f64 v[24:25], v[6:7], v[30:31], -v[24:25]
	ds_load_b128 v[6:9], v1 offset:1808
	s_waitcnt vmcnt(4) lgkmcnt(1)
	v_mul_f64 v[18:19], v[2:3], v[36:37]
	v_mul_f64 v[22:23], v[4:5], v[36:37]
	v_add_f64 v[16:17], v[16:17], v[32:33]
	v_add_f64 v[14:15], v[14:15], v[26:27]
	s_waitcnt vmcnt(3) lgkmcnt(0)
	v_mul_f64 v[26:27], v[6:7], v[185:186]
	v_mul_f64 v[28:29], v[8:9], v[185:186]
	v_fma_f64 v[18:19], v[4:5], v[34:35], v[18:19]
	v_fma_f64 v[22:23], v[2:3], v[34:35], -v[22:23]
	ds_load_b128 v[2:5], v1 offset:1824
	v_add_f64 v[16:17], v[16:17], v[20:21]
	v_add_f64 v[14:15], v[14:15], v[24:25]
	v_fma_f64 v[26:27], v[8:9], v[183:184], v[26:27]
	v_fma_f64 v[28:29], v[6:7], v[183:184], -v[28:29]
	ds_load_b128 v[6:9], v1 offset:1840
	s_waitcnt vmcnt(2) lgkmcnt(1)
	v_mul_f64 v[20:21], v[2:3], v[40:41]
	v_mul_f64 v[24:25], v[4:5], v[40:41]
	v_add_f64 v[16:17], v[16:17], v[18:19]
	v_add_f64 v[14:15], v[14:15], v[22:23]
	s_waitcnt vmcnt(1) lgkmcnt(0)
	v_mul_f64 v[18:19], v[6:7], v[181:182]
	v_mul_f64 v[22:23], v[8:9], v[181:182]
	v_fma_f64 v[4:5], v[4:5], v[38:39], v[20:21]
	v_fma_f64 v[1:2], v[2:3], v[38:39], -v[24:25]
	v_add_f64 v[16:17], v[16:17], v[26:27]
	v_add_f64 v[14:15], v[14:15], v[28:29]
	v_fma_f64 v[8:9], v[8:9], v[179:180], v[18:19]
	v_fma_f64 v[6:7], v[6:7], v[179:180], -v[22:23]
	s_delay_alu instid0(VALU_DEP_4) | instskip(NEXT) | instid1(VALU_DEP_4)
	v_add_f64 v[3:4], v[16:17], v[4:5]
	v_add_f64 v[1:2], v[14:15], v[1:2]
	s_delay_alu instid0(VALU_DEP_2) | instskip(NEXT) | instid1(VALU_DEP_2)
	v_add_f64 v[3:4], v[3:4], v[8:9]
	v_add_f64 v[1:2], v[1:2], v[6:7]
	s_waitcnt vmcnt(0)
	s_delay_alu instid0(VALU_DEP_2) | instskip(NEXT) | instid1(VALU_DEP_2)
	v_add_f64 v[3:4], v[12:13], -v[3:4]
	v_add_f64 v[1:2], v[10:11], -v[1:2]
	scratch_store_b128 off, v[1:4], off offset:80
	v_cmpx_lt_u32_e32 4, v158
	s_cbranch_execz .LBB57_353
; %bb.352:
	scratch_load_b128 v[1:4], v212, off
	v_mov_b32_e32 v5, 0
	s_delay_alu instid0(VALU_DEP_1)
	v_mov_b32_e32 v6, v5
	v_mov_b32_e32 v7, v5
	;; [unrolled: 1-line block ×3, first 2 shown]
	scratch_store_b128 off, v[5:8], off offset:64
	s_waitcnt vmcnt(0)
	ds_store_b128 v216, v[1:4]
.LBB57_353:
	s_or_b32 exec_lo, exec_lo, s2
	s_waitcnt lgkmcnt(0)
	s_waitcnt_vscnt null, 0x0
	s_barrier
	buffer_gl0_inv
	s_clause 0x7
	scratch_load_b128 v[2:5], off, off offset:80
	scratch_load_b128 v[6:9], off, off offset:96
	;; [unrolled: 1-line block ×8, first 2 shown]
	v_mov_b32_e32 v1, 0
	s_clause 0x1
	scratch_load_b128 v[34:37], off, off offset:208
	scratch_load_b128 v[183:186], off, off offset:224
	s_mov_b32 s2, exec_lo
	ds_load_b128 v[38:41], v1 offset:1008
	ds_load_b128 v[179:182], v1 offset:1024
	s_waitcnt vmcnt(9) lgkmcnt(1)
	v_mul_f64 v[44:45], v[40:41], v[4:5]
	v_mul_f64 v[4:5], v[38:39], v[4:5]
	s_waitcnt vmcnt(8) lgkmcnt(0)
	v_mul_f64 v[46:47], v[179:180], v[8:9]
	v_mul_f64 v[8:9], v[181:182], v[8:9]
	s_delay_alu instid0(VALU_DEP_4) | instskip(NEXT) | instid1(VALU_DEP_4)
	v_fma_f64 v[44:45], v[38:39], v[2:3], -v[44:45]
	v_fma_f64 v[48:49], v[40:41], v[2:3], v[4:5]
	ds_load_b128 v[2:5], v1 offset:1040
	scratch_load_b128 v[38:41], off, off offset:240
	v_fma_f64 v[46:47], v[181:182], v[6:7], v[46:47]
	v_fma_f64 v[52:53], v[179:180], v[6:7], -v[8:9]
	scratch_load_b128 v[179:182], off, off offset:256
	ds_load_b128 v[6:9], v1 offset:1056
	s_waitcnt vmcnt(9) lgkmcnt(1)
	v_mul_f64 v[50:51], v[2:3], v[12:13]
	v_mul_f64 v[12:13], v[4:5], v[12:13]
	s_waitcnt vmcnt(8) lgkmcnt(0)
	v_mul_f64 v[54:55], v[6:7], v[16:17]
	v_mul_f64 v[16:17], v[8:9], v[16:17]
	v_add_f64 v[44:45], v[44:45], 0
	v_add_f64 v[48:49], v[48:49], 0
	v_fma_f64 v[50:51], v[4:5], v[10:11], v[50:51]
	v_fma_f64 v[56:57], v[2:3], v[10:11], -v[12:13]
	ds_load_b128 v[2:5], v1 offset:1072
	scratch_load_b128 v[10:13], off, off offset:272
	v_add_f64 v[44:45], v[44:45], v[52:53]
	v_add_f64 v[46:47], v[48:49], v[46:47]
	v_fma_f64 v[52:53], v[8:9], v[14:15], v[54:55]
	v_fma_f64 v[54:55], v[6:7], v[14:15], -v[16:17]
	scratch_load_b128 v[14:17], off, off offset:288
	ds_load_b128 v[6:9], v1 offset:1088
	s_waitcnt vmcnt(9) lgkmcnt(1)
	v_mul_f64 v[48:49], v[2:3], v[20:21]
	v_mul_f64 v[20:21], v[4:5], v[20:21]
	v_add_f64 v[44:45], v[44:45], v[56:57]
	v_add_f64 v[46:47], v[46:47], v[50:51]
	s_waitcnt vmcnt(8) lgkmcnt(0)
	v_mul_f64 v[50:51], v[6:7], v[24:25]
	v_mul_f64 v[24:25], v[8:9], v[24:25]
	v_fma_f64 v[48:49], v[4:5], v[18:19], v[48:49]
	v_fma_f64 v[56:57], v[2:3], v[18:19], -v[20:21]
	ds_load_b128 v[2:5], v1 offset:1104
	scratch_load_b128 v[18:21], off, off offset:304
	v_add_f64 v[44:45], v[44:45], v[54:55]
	v_add_f64 v[46:47], v[46:47], v[52:53]
	v_fma_f64 v[50:51], v[8:9], v[22:23], v[50:51]
	v_fma_f64 v[54:55], v[6:7], v[22:23], -v[24:25]
	scratch_load_b128 v[22:25], off, off offset:320
	ds_load_b128 v[6:9], v1 offset:1120
	s_waitcnt vmcnt(9) lgkmcnt(1)
	v_mul_f64 v[52:53], v[2:3], v[28:29]
	v_mul_f64 v[28:29], v[4:5], v[28:29]
	v_add_f64 v[44:45], v[44:45], v[56:57]
	v_add_f64 v[46:47], v[46:47], v[48:49]
	s_waitcnt vmcnt(8) lgkmcnt(0)
	v_mul_f64 v[48:49], v[6:7], v[32:33]
	v_mul_f64 v[32:33], v[8:9], v[32:33]
	v_fma_f64 v[52:53], v[4:5], v[26:27], v[52:53]
	v_fma_f64 v[56:57], v[2:3], v[26:27], -v[28:29]
	ds_load_b128 v[2:5], v1 offset:1136
	scratch_load_b128 v[26:29], off, off offset:336
	v_add_f64 v[44:45], v[44:45], v[54:55]
	v_add_f64 v[46:47], v[46:47], v[50:51]
	v_fma_f64 v[48:49], v[8:9], v[30:31], v[48:49]
	v_fma_f64 v[54:55], v[6:7], v[30:31], -v[32:33]
	scratch_load_b128 v[30:33], off, off offset:352
	ds_load_b128 v[6:9], v1 offset:1152
	s_waitcnt vmcnt(9) lgkmcnt(1)
	v_mul_f64 v[50:51], v[2:3], v[36:37]
	v_mul_f64 v[36:37], v[4:5], v[36:37]
	v_add_f64 v[44:45], v[44:45], v[56:57]
	v_add_f64 v[46:47], v[46:47], v[52:53]
	s_waitcnt vmcnt(8) lgkmcnt(0)
	v_mul_f64 v[52:53], v[6:7], v[185:186]
	v_mul_f64 v[56:57], v[8:9], v[185:186]
	v_fma_f64 v[50:51], v[4:5], v[34:35], v[50:51]
	v_fma_f64 v[58:59], v[2:3], v[34:35], -v[36:37]
	ds_load_b128 v[2:5], v1 offset:1168
	scratch_load_b128 v[34:37], off, off offset:368
	v_add_f64 v[44:45], v[44:45], v[54:55]
	v_add_f64 v[46:47], v[46:47], v[48:49]
	v_fma_f64 v[52:53], v[8:9], v[183:184], v[52:53]
	v_fma_f64 v[54:55], v[6:7], v[183:184], -v[56:57]
	scratch_load_b128 v[183:186], off, off offset:384
	ds_load_b128 v[6:9], v1 offset:1184
	s_waitcnt vmcnt(9) lgkmcnt(1)
	v_mul_f64 v[48:49], v[2:3], v[40:41]
	v_mul_f64 v[40:41], v[4:5], v[40:41]
	s_waitcnt vmcnt(8) lgkmcnt(0)
	v_mul_f64 v[56:57], v[8:9], v[181:182]
	v_add_f64 v[44:45], v[44:45], v[58:59]
	v_add_f64 v[46:47], v[46:47], v[50:51]
	v_mul_f64 v[50:51], v[6:7], v[181:182]
	v_fma_f64 v[48:49], v[4:5], v[38:39], v[48:49]
	v_fma_f64 v[58:59], v[2:3], v[38:39], -v[40:41]
	ds_load_b128 v[2:5], v1 offset:1200
	scratch_load_b128 v[38:41], off, off offset:400
	v_add_f64 v[44:45], v[44:45], v[54:55]
	v_add_f64 v[46:47], v[46:47], v[52:53]
	v_fma_f64 v[50:51], v[8:9], v[179:180], v[50:51]
	v_fma_f64 v[54:55], v[6:7], v[179:180], -v[56:57]
	scratch_load_b128 v[179:182], off, off offset:416
	ds_load_b128 v[6:9], v1 offset:1216
	s_waitcnt vmcnt(9) lgkmcnt(1)
	v_mul_f64 v[52:53], v[2:3], v[12:13]
	v_mul_f64 v[12:13], v[4:5], v[12:13]
	v_add_f64 v[44:45], v[44:45], v[58:59]
	v_add_f64 v[46:47], v[46:47], v[48:49]
	s_waitcnt vmcnt(8) lgkmcnt(0)
	v_mul_f64 v[48:49], v[6:7], v[16:17]
	v_mul_f64 v[16:17], v[8:9], v[16:17]
	v_fma_f64 v[52:53], v[4:5], v[10:11], v[52:53]
	v_fma_f64 v[56:57], v[2:3], v[10:11], -v[12:13]
	ds_load_b128 v[2:5], v1 offset:1232
	scratch_load_b128 v[10:13], off, off offset:432
	v_add_f64 v[44:45], v[44:45], v[54:55]
	v_add_f64 v[46:47], v[46:47], v[50:51]
	v_fma_f64 v[48:49], v[8:9], v[14:15], v[48:49]
	v_fma_f64 v[54:55], v[6:7], v[14:15], -v[16:17]
	scratch_load_b128 v[14:17], off, off offset:448
	ds_load_b128 v[6:9], v1 offset:1248
	s_waitcnt vmcnt(9) lgkmcnt(1)
	v_mul_f64 v[50:51], v[2:3], v[20:21]
	v_mul_f64 v[20:21], v[4:5], v[20:21]
	v_add_f64 v[44:45], v[44:45], v[56:57]
	v_add_f64 v[46:47], v[46:47], v[52:53]
	s_waitcnt vmcnt(8) lgkmcnt(0)
	v_mul_f64 v[52:53], v[6:7], v[24:25]
	;; [unrolled: 18-line block ×4, first 2 shown]
	v_mul_f64 v[56:57], v[8:9], v[185:186]
	v_fma_f64 v[52:53], v[4:5], v[34:35], v[52:53]
	v_fma_f64 v[58:59], v[2:3], v[34:35], -v[36:37]
	ds_load_b128 v[2:5], v1 offset:1328
	scratch_load_b128 v[34:37], off, off offset:528
	v_add_f64 v[44:45], v[44:45], v[54:55]
	v_add_f64 v[46:47], v[46:47], v[50:51]
	v_fma_f64 v[48:49], v[8:9], v[183:184], v[48:49]
	v_fma_f64 v[54:55], v[6:7], v[183:184], -v[56:57]
	scratch_load_b128 v[183:186], off, off offset:544
	ds_load_b128 v[6:9], v1 offset:1344
	s_waitcnt vmcnt(9) lgkmcnt(1)
	v_mul_f64 v[50:51], v[2:3], v[40:41]
	v_mul_f64 v[40:41], v[4:5], v[40:41]
	s_waitcnt vmcnt(8) lgkmcnt(0)
	v_mul_f64 v[56:57], v[8:9], v[181:182]
	v_add_f64 v[44:45], v[44:45], v[58:59]
	v_add_f64 v[46:47], v[46:47], v[52:53]
	v_mul_f64 v[52:53], v[6:7], v[181:182]
	v_fma_f64 v[50:51], v[4:5], v[38:39], v[50:51]
	v_fma_f64 v[58:59], v[2:3], v[38:39], -v[40:41]
	ds_load_b128 v[2:5], v1 offset:1360
	scratch_load_b128 v[38:41], off, off offset:560
	v_add_f64 v[44:45], v[44:45], v[54:55]
	v_add_f64 v[46:47], v[46:47], v[48:49]
	v_fma_f64 v[52:53], v[8:9], v[179:180], v[52:53]
	v_fma_f64 v[54:55], v[6:7], v[179:180], -v[56:57]
	scratch_load_b128 v[179:182], off, off offset:576
	ds_load_b128 v[6:9], v1 offset:1376
	s_waitcnt vmcnt(9) lgkmcnt(1)
	v_mul_f64 v[48:49], v[2:3], v[12:13]
	v_mul_f64 v[12:13], v[4:5], v[12:13]
	v_add_f64 v[44:45], v[44:45], v[58:59]
	v_add_f64 v[46:47], v[46:47], v[50:51]
	s_waitcnt vmcnt(8) lgkmcnt(0)
	v_mul_f64 v[50:51], v[6:7], v[16:17]
	v_mul_f64 v[16:17], v[8:9], v[16:17]
	v_fma_f64 v[48:49], v[4:5], v[10:11], v[48:49]
	v_fma_f64 v[56:57], v[2:3], v[10:11], -v[12:13]
	ds_load_b128 v[2:5], v1 offset:1392
	scratch_load_b128 v[10:13], off, off offset:592
	v_add_f64 v[44:45], v[44:45], v[54:55]
	v_add_f64 v[46:47], v[46:47], v[52:53]
	v_fma_f64 v[50:51], v[8:9], v[14:15], v[50:51]
	v_fma_f64 v[54:55], v[6:7], v[14:15], -v[16:17]
	scratch_load_b128 v[14:17], off, off offset:608
	ds_load_b128 v[6:9], v1 offset:1408
	s_waitcnt vmcnt(9) lgkmcnt(1)
	v_mul_f64 v[52:53], v[2:3], v[20:21]
	v_mul_f64 v[20:21], v[4:5], v[20:21]
	v_add_f64 v[44:45], v[44:45], v[56:57]
	v_add_f64 v[46:47], v[46:47], v[48:49]
	s_waitcnt vmcnt(8) lgkmcnt(0)
	v_mul_f64 v[48:49], v[6:7], v[24:25]
	;; [unrolled: 18-line block ×4, first 2 shown]
	v_mul_f64 v[56:57], v[8:9], v[185:186]
	v_fma_f64 v[48:49], v[4:5], v[34:35], v[48:49]
	v_fma_f64 v[58:59], v[2:3], v[34:35], -v[36:37]
	ds_load_b128 v[2:5], v1 offset:1488
	scratch_load_b128 v[34:37], off, off offset:688
	v_add_f64 v[44:45], v[44:45], v[54:55]
	v_add_f64 v[46:47], v[46:47], v[52:53]
	v_fma_f64 v[50:51], v[8:9], v[183:184], v[50:51]
	v_fma_f64 v[54:55], v[6:7], v[183:184], -v[56:57]
	scratch_load_b128 v[183:186], off, off offset:704
	ds_load_b128 v[6:9], v1 offset:1504
	s_waitcnt vmcnt(9) lgkmcnt(1)
	v_mul_f64 v[52:53], v[2:3], v[40:41]
	v_mul_f64 v[40:41], v[4:5], v[40:41]
	s_waitcnt vmcnt(8) lgkmcnt(0)
	v_mul_f64 v[56:57], v[8:9], v[181:182]
	v_add_f64 v[44:45], v[44:45], v[58:59]
	v_add_f64 v[46:47], v[46:47], v[48:49]
	v_mul_f64 v[48:49], v[6:7], v[181:182]
	v_fma_f64 v[52:53], v[4:5], v[38:39], v[52:53]
	v_fma_f64 v[58:59], v[2:3], v[38:39], -v[40:41]
	ds_load_b128 v[2:5], v1 offset:1520
	scratch_load_b128 v[38:41], off, off offset:720
	v_add_f64 v[44:45], v[44:45], v[54:55]
	v_add_f64 v[46:47], v[46:47], v[50:51]
	v_fma_f64 v[48:49], v[8:9], v[179:180], v[48:49]
	v_fma_f64 v[54:55], v[6:7], v[179:180], -v[56:57]
	scratch_load_b128 v[179:182], off, off offset:736
	ds_load_b128 v[6:9], v1 offset:1536
	s_waitcnt vmcnt(9) lgkmcnt(1)
	v_mul_f64 v[50:51], v[2:3], v[12:13]
	v_mul_f64 v[12:13], v[4:5], v[12:13]
	v_add_f64 v[44:45], v[44:45], v[58:59]
	v_add_f64 v[46:47], v[46:47], v[52:53]
	s_waitcnt vmcnt(8) lgkmcnt(0)
	v_mul_f64 v[52:53], v[6:7], v[16:17]
	v_mul_f64 v[16:17], v[8:9], v[16:17]
	v_fma_f64 v[50:51], v[4:5], v[10:11], v[50:51]
	v_fma_f64 v[56:57], v[2:3], v[10:11], -v[12:13]
	ds_load_b128 v[2:5], v1 offset:1552
	scratch_load_b128 v[10:13], off, off offset:752
	v_add_f64 v[44:45], v[44:45], v[54:55]
	v_add_f64 v[46:47], v[46:47], v[48:49]
	v_fma_f64 v[52:53], v[8:9], v[14:15], v[52:53]
	v_fma_f64 v[54:55], v[6:7], v[14:15], -v[16:17]
	scratch_load_b128 v[14:17], off, off offset:768
	ds_load_b128 v[6:9], v1 offset:1568
	s_waitcnt vmcnt(9) lgkmcnt(1)
	v_mul_f64 v[48:49], v[2:3], v[20:21]
	v_mul_f64 v[20:21], v[4:5], v[20:21]
	v_add_f64 v[44:45], v[44:45], v[56:57]
	v_add_f64 v[46:47], v[46:47], v[50:51]
	s_waitcnt vmcnt(8) lgkmcnt(0)
	v_mul_f64 v[50:51], v[6:7], v[24:25]
	;; [unrolled: 18-line block ×3, first 2 shown]
	v_mul_f64 v[32:33], v[8:9], v[32:33]
	v_fma_f64 v[52:53], v[4:5], v[26:27], v[52:53]
	v_fma_f64 v[56:57], v[2:3], v[26:27], -v[28:29]
	ds_load_b128 v[2:5], v1 offset:1616
	scratch_load_b128 v[26:29], off, off offset:816
	v_add_f64 v[44:45], v[44:45], v[54:55]
	v_add_f64 v[46:47], v[46:47], v[50:51]
	v_fma_f64 v[48:49], v[8:9], v[30:31], v[48:49]
	v_fma_f64 v[54:55], v[6:7], v[30:31], -v[32:33]
	ds_load_b128 v[6:9], v1 offset:1632
	s_waitcnt vmcnt(8) lgkmcnt(1)
	v_mul_f64 v[50:51], v[2:3], v[36:37]
	v_mul_f64 v[36:37], v[4:5], v[36:37]
	scratch_load_b128 v[30:33], off, off offset:832
	v_add_f64 v[44:45], v[44:45], v[56:57]
	v_add_f64 v[46:47], v[46:47], v[52:53]
	s_waitcnt vmcnt(8) lgkmcnt(0)
	v_mul_f64 v[52:53], v[6:7], v[185:186]
	v_mul_f64 v[56:57], v[8:9], v[185:186]
	v_fma_f64 v[50:51], v[4:5], v[34:35], v[50:51]
	v_fma_f64 v[58:59], v[2:3], v[34:35], -v[36:37]
	scratch_load_b128 v[34:37], off, off offset:848
	ds_load_b128 v[2:5], v1 offset:1648
	v_add_f64 v[44:45], v[44:45], v[54:55]
	v_add_f64 v[46:47], v[46:47], v[48:49]
	v_fma_f64 v[52:53], v[8:9], v[183:184], v[52:53]
	v_fma_f64 v[54:55], v[6:7], v[183:184], -v[56:57]
	ds_load_b128 v[6:9], v1 offset:1664
	s_waitcnt vmcnt(8) lgkmcnt(1)
	v_mul_f64 v[48:49], v[2:3], v[40:41]
	v_mul_f64 v[40:41], v[4:5], v[40:41]
	scratch_load_b128 v[183:186], off, off offset:864
	s_waitcnt vmcnt(8) lgkmcnt(0)
	v_mul_f64 v[56:57], v[8:9], v[181:182]
	v_add_f64 v[44:45], v[44:45], v[58:59]
	v_add_f64 v[46:47], v[46:47], v[50:51]
	v_mul_f64 v[50:51], v[6:7], v[181:182]
	v_fma_f64 v[48:49], v[4:5], v[38:39], v[48:49]
	v_fma_f64 v[58:59], v[2:3], v[38:39], -v[40:41]
	scratch_load_b128 v[38:41], off, off offset:880
	ds_load_b128 v[2:5], v1 offset:1680
	v_add_f64 v[44:45], v[44:45], v[54:55]
	v_add_f64 v[46:47], v[46:47], v[52:53]
	v_fma_f64 v[50:51], v[8:9], v[179:180], v[50:51]
	v_fma_f64 v[54:55], v[6:7], v[179:180], -v[56:57]
	ds_load_b128 v[6:9], v1 offset:1696
	s_waitcnt vmcnt(8) lgkmcnt(1)
	v_mul_f64 v[52:53], v[2:3], v[12:13]
	v_mul_f64 v[12:13], v[4:5], v[12:13]
	scratch_load_b128 v[179:182], off, off offset:896
	v_add_f64 v[44:45], v[44:45], v[58:59]
	v_add_f64 v[46:47], v[46:47], v[48:49]
	s_waitcnt vmcnt(8) lgkmcnt(0)
	v_mul_f64 v[48:49], v[6:7], v[16:17]
	v_mul_f64 v[16:17], v[8:9], v[16:17]
	v_fma_f64 v[52:53], v[4:5], v[10:11], v[52:53]
	v_fma_f64 v[56:57], v[2:3], v[10:11], -v[12:13]
	scratch_load_b128 v[10:13], off, off offset:912
	ds_load_b128 v[2:5], v1 offset:1712
	v_add_f64 v[44:45], v[44:45], v[54:55]
	v_add_f64 v[46:47], v[46:47], v[50:51]
	v_fma_f64 v[48:49], v[8:9], v[14:15], v[48:49]
	v_fma_f64 v[14:15], v[6:7], v[14:15], -v[16:17]
	ds_load_b128 v[6:9], v1 offset:1728
	s_waitcnt vmcnt(8) lgkmcnt(1)
	v_mul_f64 v[50:51], v[2:3], v[20:21]
	v_mul_f64 v[20:21], v[4:5], v[20:21]
	v_add_f64 v[16:17], v[44:45], v[56:57]
	v_add_f64 v[44:45], v[46:47], v[52:53]
	s_waitcnt vmcnt(7) lgkmcnt(0)
	v_mul_f64 v[46:47], v[6:7], v[24:25]
	v_mul_f64 v[24:25], v[8:9], v[24:25]
	v_fma_f64 v[50:51], v[4:5], v[18:19], v[50:51]
	v_fma_f64 v[18:19], v[2:3], v[18:19], -v[20:21]
	ds_load_b128 v[2:5], v1 offset:1744
	v_add_f64 v[14:15], v[16:17], v[14:15]
	v_add_f64 v[16:17], v[44:45], v[48:49]
	v_fma_f64 v[44:45], v[8:9], v[22:23], v[46:47]
	v_fma_f64 v[22:23], v[6:7], v[22:23], -v[24:25]
	ds_load_b128 v[6:9], v1 offset:1760
	s_waitcnt vmcnt(5) lgkmcnt(0)
	v_mul_f64 v[46:47], v[6:7], v[32:33]
	v_mul_f64 v[32:33], v[8:9], v[32:33]
	v_add_f64 v[18:19], v[14:15], v[18:19]
	v_add_f64 v[24:25], v[16:17], v[50:51]
	scratch_load_b128 v[14:17], off, off offset:64
	v_mul_f64 v[20:21], v[2:3], v[28:29]
	v_mul_f64 v[28:29], v[4:5], v[28:29]
	v_add_f64 v[18:19], v[18:19], v[22:23]
	v_add_f64 v[22:23], v[24:25], v[44:45]
	s_delay_alu instid0(VALU_DEP_4) | instskip(NEXT) | instid1(VALU_DEP_4)
	v_fma_f64 v[20:21], v[4:5], v[26:27], v[20:21]
	v_fma_f64 v[26:27], v[2:3], v[26:27], -v[28:29]
	ds_load_b128 v[2:5], v1 offset:1776
	s_waitcnt vmcnt(5) lgkmcnt(0)
	v_mul_f64 v[24:25], v[2:3], v[36:37]
	v_mul_f64 v[28:29], v[4:5], v[36:37]
	v_fma_f64 v[36:37], v[8:9], v[30:31], v[46:47]
	v_fma_f64 v[30:31], v[6:7], v[30:31], -v[32:33]
	ds_load_b128 v[6:9], v1 offset:1792
	v_add_f64 v[20:21], v[22:23], v[20:21]
	v_add_f64 v[18:19], v[18:19], v[26:27]
	v_fma_f64 v[24:25], v[4:5], v[34:35], v[24:25]
	v_fma_f64 v[28:29], v[2:3], v[34:35], -v[28:29]
	ds_load_b128 v[2:5], v1 offset:1808
	s_waitcnt vmcnt(4) lgkmcnt(1)
	v_mul_f64 v[22:23], v[6:7], v[185:186]
	v_mul_f64 v[26:27], v[8:9], v[185:186]
	v_add_f64 v[20:21], v[20:21], v[36:37]
	v_add_f64 v[18:19], v[18:19], v[30:31]
	s_waitcnt vmcnt(3) lgkmcnt(0)
	v_mul_f64 v[30:31], v[2:3], v[40:41]
	v_mul_f64 v[32:33], v[4:5], v[40:41]
	v_fma_f64 v[22:23], v[8:9], v[183:184], v[22:23]
	v_fma_f64 v[26:27], v[6:7], v[183:184], -v[26:27]
	ds_load_b128 v[6:9], v1 offset:1824
	v_add_f64 v[20:21], v[20:21], v[24:25]
	v_add_f64 v[18:19], v[18:19], v[28:29]
	v_fma_f64 v[30:31], v[4:5], v[38:39], v[30:31]
	v_fma_f64 v[32:33], v[2:3], v[38:39], -v[32:33]
	ds_load_b128 v[2:5], v1 offset:1840
	s_waitcnt vmcnt(2) lgkmcnt(1)
	v_mul_f64 v[24:25], v[6:7], v[181:182]
	v_mul_f64 v[28:29], v[8:9], v[181:182]
	v_add_f64 v[20:21], v[20:21], v[22:23]
	v_add_f64 v[18:19], v[18:19], v[26:27]
	s_waitcnt vmcnt(1) lgkmcnt(0)
	v_mul_f64 v[22:23], v[2:3], v[12:13]
	v_mul_f64 v[12:13], v[4:5], v[12:13]
	v_fma_f64 v[8:9], v[8:9], v[179:180], v[24:25]
	v_fma_f64 v[6:7], v[6:7], v[179:180], -v[28:29]
	v_add_f64 v[20:21], v[20:21], v[30:31]
	v_add_f64 v[18:19], v[18:19], v[32:33]
	v_fma_f64 v[4:5], v[4:5], v[10:11], v[22:23]
	v_fma_f64 v[2:3], v[2:3], v[10:11], -v[12:13]
	s_delay_alu instid0(VALU_DEP_4) | instskip(NEXT) | instid1(VALU_DEP_4)
	v_add_f64 v[8:9], v[20:21], v[8:9]
	v_add_f64 v[6:7], v[18:19], v[6:7]
	s_delay_alu instid0(VALU_DEP_2) | instskip(NEXT) | instid1(VALU_DEP_2)
	v_add_f64 v[4:5], v[8:9], v[4:5]
	v_add_f64 v[2:3], v[6:7], v[2:3]
	s_waitcnt vmcnt(0)
	s_delay_alu instid0(VALU_DEP_2) | instskip(NEXT) | instid1(VALU_DEP_2)
	v_add_f64 v[4:5], v[16:17], -v[4:5]
	v_add_f64 v[2:3], v[14:15], -v[2:3]
	scratch_store_b128 off, v[2:5], off offset:64
	v_cmpx_lt_u32_e32 3, v158
	s_cbranch_execz .LBB57_355
; %bb.354:
	scratch_load_b128 v[5:8], v213, off
	v_mov_b32_e32 v2, v1
	v_mov_b32_e32 v3, v1
	;; [unrolled: 1-line block ×3, first 2 shown]
	scratch_store_b128 off, v[1:4], off offset:48
	s_waitcnt vmcnt(0)
	ds_store_b128 v216, v[5:8]
.LBB57_355:
	s_or_b32 exec_lo, exec_lo, s2
	s_waitcnt lgkmcnt(0)
	s_waitcnt_vscnt null, 0x0
	s_barrier
	buffer_gl0_inv
	s_clause 0x7
	scratch_load_b128 v[2:5], off, off offset:64
	scratch_load_b128 v[6:9], off, off offset:80
	;; [unrolled: 1-line block ×8, first 2 shown]
	ds_load_b128 v[38:41], v1 offset:992
	ds_load_b128 v[179:182], v1 offset:1008
	s_clause 0x1
	scratch_load_b128 v[34:37], off, off offset:192
	scratch_load_b128 v[183:186], off, off offset:208
	s_mov_b32 s2, exec_lo
	s_waitcnt vmcnt(9) lgkmcnt(1)
	v_mul_f64 v[44:45], v[40:41], v[4:5]
	v_mul_f64 v[4:5], v[38:39], v[4:5]
	s_waitcnt vmcnt(8) lgkmcnt(0)
	v_mul_f64 v[46:47], v[179:180], v[8:9]
	v_mul_f64 v[8:9], v[181:182], v[8:9]
	s_delay_alu instid0(VALU_DEP_4) | instskip(NEXT) | instid1(VALU_DEP_4)
	v_fma_f64 v[44:45], v[38:39], v[2:3], -v[44:45]
	v_fma_f64 v[48:49], v[40:41], v[2:3], v[4:5]
	ds_load_b128 v[2:5], v1 offset:1024
	scratch_load_b128 v[38:41], off, off offset:224
	v_fma_f64 v[46:47], v[181:182], v[6:7], v[46:47]
	v_fma_f64 v[52:53], v[179:180], v[6:7], -v[8:9]
	scratch_load_b128 v[179:182], off, off offset:240
	ds_load_b128 v[6:9], v1 offset:1040
	s_waitcnt vmcnt(9) lgkmcnt(1)
	v_mul_f64 v[50:51], v[2:3], v[12:13]
	v_mul_f64 v[12:13], v[4:5], v[12:13]
	s_waitcnt vmcnt(8) lgkmcnt(0)
	v_mul_f64 v[54:55], v[6:7], v[16:17]
	v_mul_f64 v[16:17], v[8:9], v[16:17]
	v_add_f64 v[44:45], v[44:45], 0
	v_add_f64 v[48:49], v[48:49], 0
	v_fma_f64 v[50:51], v[4:5], v[10:11], v[50:51]
	v_fma_f64 v[56:57], v[2:3], v[10:11], -v[12:13]
	ds_load_b128 v[2:5], v1 offset:1056
	scratch_load_b128 v[10:13], off, off offset:256
	v_add_f64 v[44:45], v[44:45], v[52:53]
	v_add_f64 v[46:47], v[48:49], v[46:47]
	v_fma_f64 v[52:53], v[8:9], v[14:15], v[54:55]
	v_fma_f64 v[54:55], v[6:7], v[14:15], -v[16:17]
	scratch_load_b128 v[14:17], off, off offset:272
	ds_load_b128 v[6:9], v1 offset:1072
	s_waitcnt vmcnt(9) lgkmcnt(1)
	v_mul_f64 v[48:49], v[2:3], v[20:21]
	v_mul_f64 v[20:21], v[4:5], v[20:21]
	v_add_f64 v[44:45], v[44:45], v[56:57]
	v_add_f64 v[46:47], v[46:47], v[50:51]
	s_waitcnt vmcnt(8) lgkmcnt(0)
	v_mul_f64 v[50:51], v[6:7], v[24:25]
	v_mul_f64 v[24:25], v[8:9], v[24:25]
	v_fma_f64 v[48:49], v[4:5], v[18:19], v[48:49]
	v_fma_f64 v[56:57], v[2:3], v[18:19], -v[20:21]
	ds_load_b128 v[2:5], v1 offset:1088
	scratch_load_b128 v[18:21], off, off offset:288
	v_add_f64 v[44:45], v[44:45], v[54:55]
	v_add_f64 v[46:47], v[46:47], v[52:53]
	v_fma_f64 v[50:51], v[8:9], v[22:23], v[50:51]
	v_fma_f64 v[54:55], v[6:7], v[22:23], -v[24:25]
	scratch_load_b128 v[22:25], off, off offset:304
	ds_load_b128 v[6:9], v1 offset:1104
	s_waitcnt vmcnt(9) lgkmcnt(1)
	v_mul_f64 v[52:53], v[2:3], v[28:29]
	v_mul_f64 v[28:29], v[4:5], v[28:29]
	v_add_f64 v[44:45], v[44:45], v[56:57]
	v_add_f64 v[46:47], v[46:47], v[48:49]
	s_waitcnt vmcnt(8) lgkmcnt(0)
	v_mul_f64 v[48:49], v[6:7], v[32:33]
	v_mul_f64 v[32:33], v[8:9], v[32:33]
	;; [unrolled: 18-line block ×3, first 2 shown]
	v_fma_f64 v[50:51], v[4:5], v[34:35], v[50:51]
	v_fma_f64 v[58:59], v[2:3], v[34:35], -v[36:37]
	ds_load_b128 v[2:5], v1 offset:1152
	scratch_load_b128 v[34:37], off, off offset:352
	v_add_f64 v[44:45], v[44:45], v[54:55]
	v_add_f64 v[46:47], v[46:47], v[48:49]
	v_fma_f64 v[52:53], v[8:9], v[183:184], v[52:53]
	v_fma_f64 v[54:55], v[6:7], v[183:184], -v[56:57]
	scratch_load_b128 v[183:186], off, off offset:368
	ds_load_b128 v[6:9], v1 offset:1168
	s_waitcnt vmcnt(9) lgkmcnt(1)
	v_mul_f64 v[48:49], v[2:3], v[40:41]
	v_mul_f64 v[40:41], v[4:5], v[40:41]
	s_waitcnt vmcnt(8) lgkmcnt(0)
	v_mul_f64 v[56:57], v[8:9], v[181:182]
	v_add_f64 v[44:45], v[44:45], v[58:59]
	v_add_f64 v[46:47], v[46:47], v[50:51]
	v_mul_f64 v[50:51], v[6:7], v[181:182]
	v_fma_f64 v[48:49], v[4:5], v[38:39], v[48:49]
	v_fma_f64 v[58:59], v[2:3], v[38:39], -v[40:41]
	ds_load_b128 v[2:5], v1 offset:1184
	scratch_load_b128 v[38:41], off, off offset:384
	v_add_f64 v[44:45], v[44:45], v[54:55]
	v_add_f64 v[46:47], v[46:47], v[52:53]
	v_fma_f64 v[50:51], v[8:9], v[179:180], v[50:51]
	v_fma_f64 v[54:55], v[6:7], v[179:180], -v[56:57]
	scratch_load_b128 v[179:182], off, off offset:400
	ds_load_b128 v[6:9], v1 offset:1200
	s_waitcnt vmcnt(9) lgkmcnt(1)
	v_mul_f64 v[52:53], v[2:3], v[12:13]
	v_mul_f64 v[12:13], v[4:5], v[12:13]
	v_add_f64 v[44:45], v[44:45], v[58:59]
	v_add_f64 v[46:47], v[46:47], v[48:49]
	s_waitcnt vmcnt(8) lgkmcnt(0)
	v_mul_f64 v[48:49], v[6:7], v[16:17]
	v_mul_f64 v[16:17], v[8:9], v[16:17]
	v_fma_f64 v[52:53], v[4:5], v[10:11], v[52:53]
	v_fma_f64 v[56:57], v[2:3], v[10:11], -v[12:13]
	ds_load_b128 v[2:5], v1 offset:1216
	scratch_load_b128 v[10:13], off, off offset:416
	v_add_f64 v[44:45], v[44:45], v[54:55]
	v_add_f64 v[46:47], v[46:47], v[50:51]
	v_fma_f64 v[48:49], v[8:9], v[14:15], v[48:49]
	v_fma_f64 v[54:55], v[6:7], v[14:15], -v[16:17]
	scratch_load_b128 v[14:17], off, off offset:432
	ds_load_b128 v[6:9], v1 offset:1232
	s_waitcnt vmcnt(9) lgkmcnt(1)
	v_mul_f64 v[50:51], v[2:3], v[20:21]
	v_mul_f64 v[20:21], v[4:5], v[20:21]
	v_add_f64 v[44:45], v[44:45], v[56:57]
	v_add_f64 v[46:47], v[46:47], v[52:53]
	s_waitcnt vmcnt(8) lgkmcnt(0)
	v_mul_f64 v[52:53], v[6:7], v[24:25]
	;; [unrolled: 18-line block ×4, first 2 shown]
	v_mul_f64 v[56:57], v[8:9], v[185:186]
	v_fma_f64 v[52:53], v[4:5], v[34:35], v[52:53]
	v_fma_f64 v[58:59], v[2:3], v[34:35], -v[36:37]
	ds_load_b128 v[2:5], v1 offset:1312
	scratch_load_b128 v[34:37], off, off offset:512
	v_add_f64 v[44:45], v[44:45], v[54:55]
	v_add_f64 v[46:47], v[46:47], v[50:51]
	v_fma_f64 v[48:49], v[8:9], v[183:184], v[48:49]
	v_fma_f64 v[54:55], v[6:7], v[183:184], -v[56:57]
	scratch_load_b128 v[183:186], off, off offset:528
	ds_load_b128 v[6:9], v1 offset:1328
	s_waitcnt vmcnt(9) lgkmcnt(1)
	v_mul_f64 v[50:51], v[2:3], v[40:41]
	v_mul_f64 v[40:41], v[4:5], v[40:41]
	s_waitcnt vmcnt(8) lgkmcnt(0)
	v_mul_f64 v[56:57], v[8:9], v[181:182]
	v_add_f64 v[44:45], v[44:45], v[58:59]
	v_add_f64 v[46:47], v[46:47], v[52:53]
	v_mul_f64 v[52:53], v[6:7], v[181:182]
	v_fma_f64 v[50:51], v[4:5], v[38:39], v[50:51]
	v_fma_f64 v[58:59], v[2:3], v[38:39], -v[40:41]
	ds_load_b128 v[2:5], v1 offset:1344
	scratch_load_b128 v[38:41], off, off offset:544
	v_add_f64 v[44:45], v[44:45], v[54:55]
	v_add_f64 v[46:47], v[46:47], v[48:49]
	v_fma_f64 v[52:53], v[8:9], v[179:180], v[52:53]
	v_fma_f64 v[54:55], v[6:7], v[179:180], -v[56:57]
	scratch_load_b128 v[179:182], off, off offset:560
	ds_load_b128 v[6:9], v1 offset:1360
	s_waitcnt vmcnt(9) lgkmcnt(1)
	v_mul_f64 v[48:49], v[2:3], v[12:13]
	v_mul_f64 v[12:13], v[4:5], v[12:13]
	v_add_f64 v[44:45], v[44:45], v[58:59]
	v_add_f64 v[46:47], v[46:47], v[50:51]
	s_waitcnt vmcnt(8) lgkmcnt(0)
	v_mul_f64 v[50:51], v[6:7], v[16:17]
	v_mul_f64 v[16:17], v[8:9], v[16:17]
	v_fma_f64 v[48:49], v[4:5], v[10:11], v[48:49]
	v_fma_f64 v[56:57], v[2:3], v[10:11], -v[12:13]
	ds_load_b128 v[2:5], v1 offset:1376
	scratch_load_b128 v[10:13], off, off offset:576
	v_add_f64 v[44:45], v[44:45], v[54:55]
	v_add_f64 v[46:47], v[46:47], v[52:53]
	v_fma_f64 v[50:51], v[8:9], v[14:15], v[50:51]
	v_fma_f64 v[54:55], v[6:7], v[14:15], -v[16:17]
	scratch_load_b128 v[14:17], off, off offset:592
	ds_load_b128 v[6:9], v1 offset:1392
	s_waitcnt vmcnt(9) lgkmcnt(1)
	v_mul_f64 v[52:53], v[2:3], v[20:21]
	v_mul_f64 v[20:21], v[4:5], v[20:21]
	v_add_f64 v[44:45], v[44:45], v[56:57]
	v_add_f64 v[46:47], v[46:47], v[48:49]
	s_waitcnt vmcnt(8) lgkmcnt(0)
	v_mul_f64 v[48:49], v[6:7], v[24:25]
	;; [unrolled: 18-line block ×4, first 2 shown]
	v_mul_f64 v[56:57], v[8:9], v[185:186]
	v_fma_f64 v[48:49], v[4:5], v[34:35], v[48:49]
	v_fma_f64 v[58:59], v[2:3], v[34:35], -v[36:37]
	ds_load_b128 v[2:5], v1 offset:1472
	scratch_load_b128 v[34:37], off, off offset:672
	v_add_f64 v[44:45], v[44:45], v[54:55]
	v_add_f64 v[46:47], v[46:47], v[52:53]
	v_fma_f64 v[50:51], v[8:9], v[183:184], v[50:51]
	v_fma_f64 v[54:55], v[6:7], v[183:184], -v[56:57]
	scratch_load_b128 v[183:186], off, off offset:688
	ds_load_b128 v[6:9], v1 offset:1488
	s_waitcnt vmcnt(9) lgkmcnt(1)
	v_mul_f64 v[52:53], v[2:3], v[40:41]
	v_mul_f64 v[40:41], v[4:5], v[40:41]
	s_waitcnt vmcnt(8) lgkmcnt(0)
	v_mul_f64 v[56:57], v[8:9], v[181:182]
	v_add_f64 v[44:45], v[44:45], v[58:59]
	v_add_f64 v[46:47], v[46:47], v[48:49]
	v_mul_f64 v[48:49], v[6:7], v[181:182]
	v_fma_f64 v[52:53], v[4:5], v[38:39], v[52:53]
	v_fma_f64 v[58:59], v[2:3], v[38:39], -v[40:41]
	ds_load_b128 v[2:5], v1 offset:1504
	scratch_load_b128 v[38:41], off, off offset:704
	v_add_f64 v[44:45], v[44:45], v[54:55]
	v_add_f64 v[46:47], v[46:47], v[50:51]
	v_fma_f64 v[48:49], v[8:9], v[179:180], v[48:49]
	v_fma_f64 v[54:55], v[6:7], v[179:180], -v[56:57]
	scratch_load_b128 v[179:182], off, off offset:720
	ds_load_b128 v[6:9], v1 offset:1520
	s_waitcnt vmcnt(9) lgkmcnt(1)
	v_mul_f64 v[50:51], v[2:3], v[12:13]
	v_mul_f64 v[12:13], v[4:5], v[12:13]
	v_add_f64 v[44:45], v[44:45], v[58:59]
	v_add_f64 v[46:47], v[46:47], v[52:53]
	s_waitcnt vmcnt(8) lgkmcnt(0)
	v_mul_f64 v[52:53], v[6:7], v[16:17]
	v_mul_f64 v[16:17], v[8:9], v[16:17]
	v_fma_f64 v[50:51], v[4:5], v[10:11], v[50:51]
	v_fma_f64 v[56:57], v[2:3], v[10:11], -v[12:13]
	ds_load_b128 v[2:5], v1 offset:1536
	scratch_load_b128 v[10:13], off, off offset:736
	v_add_f64 v[44:45], v[44:45], v[54:55]
	v_add_f64 v[46:47], v[46:47], v[48:49]
	v_fma_f64 v[52:53], v[8:9], v[14:15], v[52:53]
	v_fma_f64 v[54:55], v[6:7], v[14:15], -v[16:17]
	scratch_load_b128 v[14:17], off, off offset:752
	ds_load_b128 v[6:9], v1 offset:1552
	s_waitcnt vmcnt(9) lgkmcnt(1)
	v_mul_f64 v[48:49], v[2:3], v[20:21]
	v_mul_f64 v[20:21], v[4:5], v[20:21]
	v_add_f64 v[44:45], v[44:45], v[56:57]
	v_add_f64 v[46:47], v[46:47], v[50:51]
	s_waitcnt vmcnt(8) lgkmcnt(0)
	v_mul_f64 v[50:51], v[6:7], v[24:25]
	;; [unrolled: 18-line block ×3, first 2 shown]
	v_mul_f64 v[32:33], v[8:9], v[32:33]
	v_fma_f64 v[52:53], v[4:5], v[26:27], v[52:53]
	v_fma_f64 v[56:57], v[2:3], v[26:27], -v[28:29]
	ds_load_b128 v[2:5], v1 offset:1600
	scratch_load_b128 v[26:29], off, off offset:800
	v_add_f64 v[44:45], v[44:45], v[54:55]
	v_add_f64 v[46:47], v[46:47], v[50:51]
	v_fma_f64 v[48:49], v[8:9], v[30:31], v[48:49]
	v_fma_f64 v[54:55], v[6:7], v[30:31], -v[32:33]
	ds_load_b128 v[6:9], v1 offset:1616
	s_waitcnt vmcnt(8) lgkmcnt(1)
	v_mul_f64 v[50:51], v[2:3], v[36:37]
	v_mul_f64 v[36:37], v[4:5], v[36:37]
	scratch_load_b128 v[30:33], off, off offset:816
	v_add_f64 v[44:45], v[44:45], v[56:57]
	v_add_f64 v[46:47], v[46:47], v[52:53]
	s_waitcnt vmcnt(8) lgkmcnt(0)
	v_mul_f64 v[52:53], v[6:7], v[185:186]
	v_mul_f64 v[56:57], v[8:9], v[185:186]
	v_fma_f64 v[50:51], v[4:5], v[34:35], v[50:51]
	v_fma_f64 v[58:59], v[2:3], v[34:35], -v[36:37]
	ds_load_b128 v[2:5], v1 offset:1632
	scratch_load_b128 v[34:37], off, off offset:832
	v_add_f64 v[44:45], v[44:45], v[54:55]
	v_add_f64 v[46:47], v[46:47], v[48:49]
	v_fma_f64 v[52:53], v[8:9], v[183:184], v[52:53]
	v_fma_f64 v[54:55], v[6:7], v[183:184], -v[56:57]
	ds_load_b128 v[6:9], v1 offset:1648
	s_waitcnt vmcnt(8) lgkmcnt(1)
	v_mul_f64 v[48:49], v[2:3], v[40:41]
	v_mul_f64 v[40:41], v[4:5], v[40:41]
	scratch_load_b128 v[183:186], off, off offset:848
	s_waitcnt vmcnt(8) lgkmcnt(0)
	v_mul_f64 v[56:57], v[8:9], v[181:182]
	v_add_f64 v[44:45], v[44:45], v[58:59]
	v_add_f64 v[46:47], v[46:47], v[50:51]
	v_mul_f64 v[50:51], v[6:7], v[181:182]
	v_fma_f64 v[48:49], v[4:5], v[38:39], v[48:49]
	v_fma_f64 v[58:59], v[2:3], v[38:39], -v[40:41]
	scratch_load_b128 v[38:41], off, off offset:864
	ds_load_b128 v[2:5], v1 offset:1664
	v_add_f64 v[44:45], v[44:45], v[54:55]
	v_add_f64 v[46:47], v[46:47], v[52:53]
	v_fma_f64 v[50:51], v[8:9], v[179:180], v[50:51]
	v_fma_f64 v[54:55], v[6:7], v[179:180], -v[56:57]
	ds_load_b128 v[6:9], v1 offset:1680
	s_waitcnt vmcnt(8) lgkmcnt(1)
	v_mul_f64 v[52:53], v[2:3], v[12:13]
	v_mul_f64 v[12:13], v[4:5], v[12:13]
	scratch_load_b128 v[179:182], off, off offset:880
	v_add_f64 v[44:45], v[44:45], v[58:59]
	v_add_f64 v[46:47], v[46:47], v[48:49]
	s_waitcnt vmcnt(8) lgkmcnt(0)
	v_mul_f64 v[48:49], v[6:7], v[16:17]
	v_mul_f64 v[16:17], v[8:9], v[16:17]
	v_fma_f64 v[52:53], v[4:5], v[10:11], v[52:53]
	v_fma_f64 v[56:57], v[2:3], v[10:11], -v[12:13]
	scratch_load_b128 v[10:13], off, off offset:896
	ds_load_b128 v[2:5], v1 offset:1696
	v_add_f64 v[44:45], v[44:45], v[54:55]
	v_add_f64 v[46:47], v[46:47], v[50:51]
	v_fma_f64 v[48:49], v[8:9], v[14:15], v[48:49]
	v_fma_f64 v[54:55], v[6:7], v[14:15], -v[16:17]
	ds_load_b128 v[6:9], v1 offset:1712
	s_waitcnt vmcnt(8) lgkmcnt(1)
	v_mul_f64 v[50:51], v[2:3], v[20:21]
	v_mul_f64 v[20:21], v[4:5], v[20:21]
	scratch_load_b128 v[14:17], off, off offset:912
	v_add_f64 v[44:45], v[44:45], v[56:57]
	v_add_f64 v[46:47], v[46:47], v[52:53]
	s_waitcnt vmcnt(8) lgkmcnt(0)
	v_mul_f64 v[52:53], v[6:7], v[24:25]
	v_mul_f64 v[24:25], v[8:9], v[24:25]
	v_fma_f64 v[50:51], v[4:5], v[18:19], v[50:51]
	v_fma_f64 v[18:19], v[2:3], v[18:19], -v[20:21]
	ds_load_b128 v[2:5], v1 offset:1728
	v_add_f64 v[20:21], v[44:45], v[54:55]
	v_add_f64 v[44:45], v[46:47], v[48:49]
	v_fma_f64 v[48:49], v[8:9], v[22:23], v[52:53]
	v_fma_f64 v[22:23], v[6:7], v[22:23], -v[24:25]
	ds_load_b128 v[6:9], v1 offset:1744
	s_waitcnt vmcnt(7) lgkmcnt(1)
	v_mul_f64 v[46:47], v[2:3], v[28:29]
	v_mul_f64 v[28:29], v[4:5], v[28:29]
	v_add_f64 v[18:19], v[20:21], v[18:19]
	v_add_f64 v[20:21], v[44:45], v[50:51]
	s_delay_alu instid0(VALU_DEP_4) | instskip(NEXT) | instid1(VALU_DEP_4)
	v_fma_f64 v[44:45], v[4:5], v[26:27], v[46:47]
	v_fma_f64 v[26:27], v[2:3], v[26:27], -v[28:29]
	ds_load_b128 v[2:5], v1 offset:1760
	v_add_f64 v[22:23], v[18:19], v[22:23]
	v_add_f64 v[28:29], v[20:21], v[48:49]
	scratch_load_b128 v[18:21], off, off offset:48
	s_waitcnt vmcnt(7) lgkmcnt(1)
	v_mul_f64 v[24:25], v[6:7], v[32:33]
	v_mul_f64 v[32:33], v[8:9], v[32:33]
	v_add_f64 v[22:23], v[22:23], v[26:27]
	v_add_f64 v[26:27], v[28:29], v[44:45]
	s_delay_alu instid0(VALU_DEP_4) | instskip(NEXT) | instid1(VALU_DEP_4)
	v_fma_f64 v[24:25], v[8:9], v[30:31], v[24:25]
	v_fma_f64 v[30:31], v[6:7], v[30:31], -v[32:33]
	ds_load_b128 v[6:9], v1 offset:1776
	s_waitcnt vmcnt(6) lgkmcnt(1)
	v_mul_f64 v[46:47], v[2:3], v[36:37]
	v_mul_f64 v[36:37], v[4:5], v[36:37]
	s_waitcnt vmcnt(5) lgkmcnt(0)
	v_mul_f64 v[28:29], v[6:7], v[185:186]
	v_mul_f64 v[32:33], v[8:9], v[185:186]
	v_add_f64 v[24:25], v[26:27], v[24:25]
	v_add_f64 v[22:23], v[22:23], v[30:31]
	v_fma_f64 v[44:45], v[4:5], v[34:35], v[46:47]
	v_fma_f64 v[34:35], v[2:3], v[34:35], -v[36:37]
	ds_load_b128 v[2:5], v1 offset:1792
	v_fma_f64 v[28:29], v[8:9], v[183:184], v[28:29]
	v_fma_f64 v[32:33], v[6:7], v[183:184], -v[32:33]
	ds_load_b128 v[6:9], v1 offset:1808
	s_waitcnt vmcnt(4) lgkmcnt(1)
	v_mul_f64 v[26:27], v[2:3], v[40:41]
	v_mul_f64 v[30:31], v[4:5], v[40:41]
	v_add_f64 v[24:25], v[24:25], v[44:45]
	v_add_f64 v[22:23], v[22:23], v[34:35]
	s_waitcnt vmcnt(3) lgkmcnt(0)
	v_mul_f64 v[34:35], v[6:7], v[181:182]
	v_mul_f64 v[36:37], v[8:9], v[181:182]
	v_fma_f64 v[26:27], v[4:5], v[38:39], v[26:27]
	v_fma_f64 v[30:31], v[2:3], v[38:39], -v[30:31]
	ds_load_b128 v[2:5], v1 offset:1824
	v_add_f64 v[24:25], v[24:25], v[28:29]
	v_add_f64 v[22:23], v[22:23], v[32:33]
	v_fma_f64 v[32:33], v[8:9], v[179:180], v[34:35]
	v_fma_f64 v[34:35], v[6:7], v[179:180], -v[36:37]
	ds_load_b128 v[6:9], v1 offset:1840
	s_waitcnt vmcnt(2) lgkmcnt(1)
	v_mul_f64 v[28:29], v[2:3], v[12:13]
	v_mul_f64 v[12:13], v[4:5], v[12:13]
	v_add_f64 v[24:25], v[24:25], v[26:27]
	v_add_f64 v[22:23], v[22:23], v[30:31]
	s_waitcnt vmcnt(1) lgkmcnt(0)
	v_mul_f64 v[26:27], v[6:7], v[16:17]
	v_mul_f64 v[16:17], v[8:9], v[16:17]
	v_fma_f64 v[4:5], v[4:5], v[10:11], v[28:29]
	v_fma_f64 v[1:2], v[2:3], v[10:11], -v[12:13]
	v_add_f64 v[12:13], v[24:25], v[32:33]
	v_add_f64 v[10:11], v[22:23], v[34:35]
	v_fma_f64 v[8:9], v[8:9], v[14:15], v[26:27]
	v_fma_f64 v[6:7], v[6:7], v[14:15], -v[16:17]
	s_delay_alu instid0(VALU_DEP_4) | instskip(NEXT) | instid1(VALU_DEP_4)
	v_add_f64 v[3:4], v[12:13], v[4:5]
	v_add_f64 v[1:2], v[10:11], v[1:2]
	s_delay_alu instid0(VALU_DEP_2) | instskip(NEXT) | instid1(VALU_DEP_2)
	v_add_f64 v[3:4], v[3:4], v[8:9]
	v_add_f64 v[1:2], v[1:2], v[6:7]
	s_waitcnt vmcnt(0)
	s_delay_alu instid0(VALU_DEP_2) | instskip(NEXT) | instid1(VALU_DEP_2)
	v_add_f64 v[3:4], v[20:21], -v[3:4]
	v_add_f64 v[1:2], v[18:19], -v[1:2]
	scratch_store_b128 off, v[1:4], off offset:48
	v_cmpx_lt_u32_e32 2, v158
	s_cbranch_execz .LBB57_357
; %bb.356:
	scratch_load_b128 v[1:4], v214, off
	v_mov_b32_e32 v5, 0
	s_delay_alu instid0(VALU_DEP_1)
	v_mov_b32_e32 v6, v5
	v_mov_b32_e32 v7, v5
	;; [unrolled: 1-line block ×3, first 2 shown]
	scratch_store_b128 off, v[5:8], off offset:32
	s_waitcnt vmcnt(0)
	ds_store_b128 v216, v[1:4]
.LBB57_357:
	s_or_b32 exec_lo, exec_lo, s2
	s_waitcnt lgkmcnt(0)
	s_waitcnt_vscnt null, 0x0
	s_barrier
	buffer_gl0_inv
	s_clause 0x7
	scratch_load_b128 v[2:5], off, off offset:48
	scratch_load_b128 v[6:9], off, off offset:64
	scratch_load_b128 v[10:13], off, off offset:80
	scratch_load_b128 v[14:17], off, off offset:96
	scratch_load_b128 v[18:21], off, off offset:112
	scratch_load_b128 v[22:25], off, off offset:128
	scratch_load_b128 v[26:29], off, off offset:144
	scratch_load_b128 v[30:33], off, off offset:160
	v_mov_b32_e32 v1, 0
	s_clause 0x1
	scratch_load_b128 v[34:37], off, off offset:176
	scratch_load_b128 v[183:186], off, off offset:192
	s_mov_b32 s2, exec_lo
	ds_load_b128 v[38:41], v1 offset:976
	ds_load_b128 v[179:182], v1 offset:992
	s_waitcnt vmcnt(9) lgkmcnt(1)
	v_mul_f64 v[44:45], v[40:41], v[4:5]
	v_mul_f64 v[4:5], v[38:39], v[4:5]
	s_waitcnt vmcnt(8) lgkmcnt(0)
	v_mul_f64 v[46:47], v[179:180], v[8:9]
	v_mul_f64 v[8:9], v[181:182], v[8:9]
	s_delay_alu instid0(VALU_DEP_4) | instskip(NEXT) | instid1(VALU_DEP_4)
	v_fma_f64 v[44:45], v[38:39], v[2:3], -v[44:45]
	v_fma_f64 v[48:49], v[40:41], v[2:3], v[4:5]
	ds_load_b128 v[2:5], v1 offset:1008
	scratch_load_b128 v[38:41], off, off offset:208
	v_fma_f64 v[46:47], v[181:182], v[6:7], v[46:47]
	v_fma_f64 v[52:53], v[179:180], v[6:7], -v[8:9]
	scratch_load_b128 v[179:182], off, off offset:224
	ds_load_b128 v[6:9], v1 offset:1024
	s_waitcnt vmcnt(9) lgkmcnt(1)
	v_mul_f64 v[50:51], v[2:3], v[12:13]
	v_mul_f64 v[12:13], v[4:5], v[12:13]
	s_waitcnt vmcnt(8) lgkmcnt(0)
	v_mul_f64 v[54:55], v[6:7], v[16:17]
	v_mul_f64 v[16:17], v[8:9], v[16:17]
	v_add_f64 v[44:45], v[44:45], 0
	v_add_f64 v[48:49], v[48:49], 0
	v_fma_f64 v[50:51], v[4:5], v[10:11], v[50:51]
	v_fma_f64 v[56:57], v[2:3], v[10:11], -v[12:13]
	ds_load_b128 v[2:5], v1 offset:1040
	scratch_load_b128 v[10:13], off, off offset:240
	v_add_f64 v[44:45], v[44:45], v[52:53]
	v_add_f64 v[46:47], v[48:49], v[46:47]
	v_fma_f64 v[52:53], v[8:9], v[14:15], v[54:55]
	v_fma_f64 v[54:55], v[6:7], v[14:15], -v[16:17]
	scratch_load_b128 v[14:17], off, off offset:256
	ds_load_b128 v[6:9], v1 offset:1056
	s_waitcnt vmcnt(9) lgkmcnt(1)
	v_mul_f64 v[48:49], v[2:3], v[20:21]
	v_mul_f64 v[20:21], v[4:5], v[20:21]
	v_add_f64 v[44:45], v[44:45], v[56:57]
	v_add_f64 v[46:47], v[46:47], v[50:51]
	s_waitcnt vmcnt(8) lgkmcnt(0)
	v_mul_f64 v[50:51], v[6:7], v[24:25]
	v_mul_f64 v[24:25], v[8:9], v[24:25]
	v_fma_f64 v[48:49], v[4:5], v[18:19], v[48:49]
	v_fma_f64 v[56:57], v[2:3], v[18:19], -v[20:21]
	ds_load_b128 v[2:5], v1 offset:1072
	scratch_load_b128 v[18:21], off, off offset:272
	v_add_f64 v[44:45], v[44:45], v[54:55]
	v_add_f64 v[46:47], v[46:47], v[52:53]
	v_fma_f64 v[50:51], v[8:9], v[22:23], v[50:51]
	v_fma_f64 v[54:55], v[6:7], v[22:23], -v[24:25]
	scratch_load_b128 v[22:25], off, off offset:288
	ds_load_b128 v[6:9], v1 offset:1088
	s_waitcnt vmcnt(9) lgkmcnt(1)
	v_mul_f64 v[52:53], v[2:3], v[28:29]
	v_mul_f64 v[28:29], v[4:5], v[28:29]
	v_add_f64 v[44:45], v[44:45], v[56:57]
	v_add_f64 v[46:47], v[46:47], v[48:49]
	s_waitcnt vmcnt(8) lgkmcnt(0)
	v_mul_f64 v[48:49], v[6:7], v[32:33]
	v_mul_f64 v[32:33], v[8:9], v[32:33]
	;; [unrolled: 18-line block ×3, first 2 shown]
	v_fma_f64 v[50:51], v[4:5], v[34:35], v[50:51]
	v_fma_f64 v[58:59], v[2:3], v[34:35], -v[36:37]
	ds_load_b128 v[2:5], v1 offset:1136
	scratch_load_b128 v[34:37], off, off offset:336
	v_add_f64 v[44:45], v[44:45], v[54:55]
	v_add_f64 v[46:47], v[46:47], v[48:49]
	v_fma_f64 v[52:53], v[8:9], v[183:184], v[52:53]
	v_fma_f64 v[54:55], v[6:7], v[183:184], -v[56:57]
	scratch_load_b128 v[183:186], off, off offset:352
	ds_load_b128 v[6:9], v1 offset:1152
	s_waitcnt vmcnt(9) lgkmcnt(1)
	v_mul_f64 v[48:49], v[2:3], v[40:41]
	v_mul_f64 v[40:41], v[4:5], v[40:41]
	s_waitcnt vmcnt(8) lgkmcnt(0)
	v_mul_f64 v[56:57], v[8:9], v[181:182]
	v_add_f64 v[44:45], v[44:45], v[58:59]
	v_add_f64 v[46:47], v[46:47], v[50:51]
	v_mul_f64 v[50:51], v[6:7], v[181:182]
	v_fma_f64 v[48:49], v[4:5], v[38:39], v[48:49]
	v_fma_f64 v[58:59], v[2:3], v[38:39], -v[40:41]
	ds_load_b128 v[2:5], v1 offset:1168
	scratch_load_b128 v[38:41], off, off offset:368
	v_add_f64 v[44:45], v[44:45], v[54:55]
	v_add_f64 v[46:47], v[46:47], v[52:53]
	v_fma_f64 v[50:51], v[8:9], v[179:180], v[50:51]
	v_fma_f64 v[54:55], v[6:7], v[179:180], -v[56:57]
	scratch_load_b128 v[179:182], off, off offset:384
	ds_load_b128 v[6:9], v1 offset:1184
	s_waitcnt vmcnt(9) lgkmcnt(1)
	v_mul_f64 v[52:53], v[2:3], v[12:13]
	v_mul_f64 v[12:13], v[4:5], v[12:13]
	v_add_f64 v[44:45], v[44:45], v[58:59]
	v_add_f64 v[46:47], v[46:47], v[48:49]
	s_waitcnt vmcnt(8) lgkmcnt(0)
	v_mul_f64 v[48:49], v[6:7], v[16:17]
	v_mul_f64 v[16:17], v[8:9], v[16:17]
	v_fma_f64 v[52:53], v[4:5], v[10:11], v[52:53]
	v_fma_f64 v[56:57], v[2:3], v[10:11], -v[12:13]
	ds_load_b128 v[2:5], v1 offset:1200
	scratch_load_b128 v[10:13], off, off offset:400
	v_add_f64 v[44:45], v[44:45], v[54:55]
	v_add_f64 v[46:47], v[46:47], v[50:51]
	v_fma_f64 v[48:49], v[8:9], v[14:15], v[48:49]
	v_fma_f64 v[54:55], v[6:7], v[14:15], -v[16:17]
	scratch_load_b128 v[14:17], off, off offset:416
	ds_load_b128 v[6:9], v1 offset:1216
	s_waitcnt vmcnt(9) lgkmcnt(1)
	v_mul_f64 v[50:51], v[2:3], v[20:21]
	v_mul_f64 v[20:21], v[4:5], v[20:21]
	v_add_f64 v[44:45], v[44:45], v[56:57]
	v_add_f64 v[46:47], v[46:47], v[52:53]
	s_waitcnt vmcnt(8) lgkmcnt(0)
	v_mul_f64 v[52:53], v[6:7], v[24:25]
	;; [unrolled: 18-line block ×4, first 2 shown]
	v_mul_f64 v[56:57], v[8:9], v[185:186]
	v_fma_f64 v[52:53], v[4:5], v[34:35], v[52:53]
	v_fma_f64 v[58:59], v[2:3], v[34:35], -v[36:37]
	ds_load_b128 v[2:5], v1 offset:1296
	scratch_load_b128 v[34:37], off, off offset:496
	v_add_f64 v[44:45], v[44:45], v[54:55]
	v_add_f64 v[46:47], v[46:47], v[50:51]
	v_fma_f64 v[48:49], v[8:9], v[183:184], v[48:49]
	v_fma_f64 v[54:55], v[6:7], v[183:184], -v[56:57]
	scratch_load_b128 v[183:186], off, off offset:512
	ds_load_b128 v[6:9], v1 offset:1312
	s_waitcnt vmcnt(9) lgkmcnt(1)
	v_mul_f64 v[50:51], v[2:3], v[40:41]
	v_mul_f64 v[40:41], v[4:5], v[40:41]
	s_waitcnt vmcnt(8) lgkmcnt(0)
	v_mul_f64 v[56:57], v[8:9], v[181:182]
	v_add_f64 v[44:45], v[44:45], v[58:59]
	v_add_f64 v[46:47], v[46:47], v[52:53]
	v_mul_f64 v[52:53], v[6:7], v[181:182]
	v_fma_f64 v[50:51], v[4:5], v[38:39], v[50:51]
	v_fma_f64 v[58:59], v[2:3], v[38:39], -v[40:41]
	ds_load_b128 v[2:5], v1 offset:1328
	scratch_load_b128 v[38:41], off, off offset:528
	v_add_f64 v[44:45], v[44:45], v[54:55]
	v_add_f64 v[46:47], v[46:47], v[48:49]
	v_fma_f64 v[52:53], v[8:9], v[179:180], v[52:53]
	v_fma_f64 v[54:55], v[6:7], v[179:180], -v[56:57]
	scratch_load_b128 v[179:182], off, off offset:544
	ds_load_b128 v[6:9], v1 offset:1344
	s_waitcnt vmcnt(9) lgkmcnt(1)
	v_mul_f64 v[48:49], v[2:3], v[12:13]
	v_mul_f64 v[12:13], v[4:5], v[12:13]
	v_add_f64 v[44:45], v[44:45], v[58:59]
	v_add_f64 v[46:47], v[46:47], v[50:51]
	s_waitcnt vmcnt(8) lgkmcnt(0)
	v_mul_f64 v[50:51], v[6:7], v[16:17]
	v_mul_f64 v[16:17], v[8:9], v[16:17]
	v_fma_f64 v[48:49], v[4:5], v[10:11], v[48:49]
	v_fma_f64 v[56:57], v[2:3], v[10:11], -v[12:13]
	ds_load_b128 v[2:5], v1 offset:1360
	scratch_load_b128 v[10:13], off, off offset:560
	v_add_f64 v[44:45], v[44:45], v[54:55]
	v_add_f64 v[46:47], v[46:47], v[52:53]
	v_fma_f64 v[50:51], v[8:9], v[14:15], v[50:51]
	v_fma_f64 v[54:55], v[6:7], v[14:15], -v[16:17]
	scratch_load_b128 v[14:17], off, off offset:576
	ds_load_b128 v[6:9], v1 offset:1376
	s_waitcnt vmcnt(9) lgkmcnt(1)
	v_mul_f64 v[52:53], v[2:3], v[20:21]
	v_mul_f64 v[20:21], v[4:5], v[20:21]
	v_add_f64 v[44:45], v[44:45], v[56:57]
	v_add_f64 v[46:47], v[46:47], v[48:49]
	s_waitcnt vmcnt(8) lgkmcnt(0)
	v_mul_f64 v[48:49], v[6:7], v[24:25]
	;; [unrolled: 18-line block ×4, first 2 shown]
	v_mul_f64 v[56:57], v[8:9], v[185:186]
	v_fma_f64 v[48:49], v[4:5], v[34:35], v[48:49]
	v_fma_f64 v[58:59], v[2:3], v[34:35], -v[36:37]
	ds_load_b128 v[2:5], v1 offset:1456
	scratch_load_b128 v[34:37], off, off offset:656
	v_add_f64 v[44:45], v[44:45], v[54:55]
	v_add_f64 v[46:47], v[46:47], v[52:53]
	v_fma_f64 v[50:51], v[8:9], v[183:184], v[50:51]
	v_fma_f64 v[54:55], v[6:7], v[183:184], -v[56:57]
	scratch_load_b128 v[183:186], off, off offset:672
	ds_load_b128 v[6:9], v1 offset:1472
	s_waitcnt vmcnt(9) lgkmcnt(1)
	v_mul_f64 v[52:53], v[2:3], v[40:41]
	v_mul_f64 v[40:41], v[4:5], v[40:41]
	s_waitcnt vmcnt(8) lgkmcnt(0)
	v_mul_f64 v[56:57], v[8:9], v[181:182]
	v_add_f64 v[44:45], v[44:45], v[58:59]
	v_add_f64 v[46:47], v[46:47], v[48:49]
	v_mul_f64 v[48:49], v[6:7], v[181:182]
	v_fma_f64 v[52:53], v[4:5], v[38:39], v[52:53]
	v_fma_f64 v[58:59], v[2:3], v[38:39], -v[40:41]
	ds_load_b128 v[2:5], v1 offset:1488
	scratch_load_b128 v[38:41], off, off offset:688
	v_add_f64 v[44:45], v[44:45], v[54:55]
	v_add_f64 v[46:47], v[46:47], v[50:51]
	v_fma_f64 v[48:49], v[8:9], v[179:180], v[48:49]
	v_fma_f64 v[54:55], v[6:7], v[179:180], -v[56:57]
	scratch_load_b128 v[179:182], off, off offset:704
	ds_load_b128 v[6:9], v1 offset:1504
	s_waitcnt vmcnt(9) lgkmcnt(1)
	v_mul_f64 v[50:51], v[2:3], v[12:13]
	v_mul_f64 v[12:13], v[4:5], v[12:13]
	v_add_f64 v[44:45], v[44:45], v[58:59]
	v_add_f64 v[46:47], v[46:47], v[52:53]
	s_waitcnt vmcnt(8) lgkmcnt(0)
	v_mul_f64 v[52:53], v[6:7], v[16:17]
	v_mul_f64 v[16:17], v[8:9], v[16:17]
	v_fma_f64 v[50:51], v[4:5], v[10:11], v[50:51]
	v_fma_f64 v[56:57], v[2:3], v[10:11], -v[12:13]
	ds_load_b128 v[2:5], v1 offset:1520
	scratch_load_b128 v[10:13], off, off offset:720
	v_add_f64 v[44:45], v[44:45], v[54:55]
	v_add_f64 v[46:47], v[46:47], v[48:49]
	v_fma_f64 v[52:53], v[8:9], v[14:15], v[52:53]
	v_fma_f64 v[54:55], v[6:7], v[14:15], -v[16:17]
	scratch_load_b128 v[14:17], off, off offset:736
	ds_load_b128 v[6:9], v1 offset:1536
	s_waitcnt vmcnt(9) lgkmcnt(1)
	v_mul_f64 v[48:49], v[2:3], v[20:21]
	v_mul_f64 v[20:21], v[4:5], v[20:21]
	v_add_f64 v[44:45], v[44:45], v[56:57]
	v_add_f64 v[46:47], v[46:47], v[50:51]
	s_waitcnt vmcnt(8) lgkmcnt(0)
	v_mul_f64 v[50:51], v[6:7], v[24:25]
	;; [unrolled: 18-line block ×4, first 2 shown]
	v_mul_f64 v[56:57], v[8:9], v[185:186]
	v_fma_f64 v[50:51], v[4:5], v[34:35], v[50:51]
	v_fma_f64 v[58:59], v[2:3], v[34:35], -v[36:37]
	ds_load_b128 v[2:5], v1 offset:1616
	scratch_load_b128 v[34:37], off, off offset:816
	v_add_f64 v[44:45], v[44:45], v[54:55]
	v_add_f64 v[46:47], v[46:47], v[48:49]
	v_fma_f64 v[52:53], v[8:9], v[183:184], v[52:53]
	v_fma_f64 v[54:55], v[6:7], v[183:184], -v[56:57]
	ds_load_b128 v[6:9], v1 offset:1632
	s_waitcnt vmcnt(8) lgkmcnt(1)
	v_mul_f64 v[48:49], v[2:3], v[40:41]
	v_mul_f64 v[40:41], v[4:5], v[40:41]
	scratch_load_b128 v[183:186], off, off offset:832
	s_waitcnt vmcnt(8) lgkmcnt(0)
	v_mul_f64 v[56:57], v[8:9], v[181:182]
	v_add_f64 v[44:45], v[44:45], v[58:59]
	v_add_f64 v[46:47], v[46:47], v[50:51]
	v_mul_f64 v[50:51], v[6:7], v[181:182]
	v_fma_f64 v[48:49], v[4:5], v[38:39], v[48:49]
	v_fma_f64 v[58:59], v[2:3], v[38:39], -v[40:41]
	scratch_load_b128 v[38:41], off, off offset:848
	ds_load_b128 v[2:5], v1 offset:1648
	v_add_f64 v[44:45], v[44:45], v[54:55]
	v_add_f64 v[46:47], v[46:47], v[52:53]
	v_fma_f64 v[50:51], v[8:9], v[179:180], v[50:51]
	v_fma_f64 v[54:55], v[6:7], v[179:180], -v[56:57]
	ds_load_b128 v[6:9], v1 offset:1664
	s_waitcnt vmcnt(8) lgkmcnt(1)
	v_mul_f64 v[52:53], v[2:3], v[12:13]
	v_mul_f64 v[12:13], v[4:5], v[12:13]
	scratch_load_b128 v[179:182], off, off offset:864
	v_add_f64 v[44:45], v[44:45], v[58:59]
	v_add_f64 v[46:47], v[46:47], v[48:49]
	s_waitcnt vmcnt(8) lgkmcnt(0)
	v_mul_f64 v[48:49], v[6:7], v[16:17]
	v_mul_f64 v[16:17], v[8:9], v[16:17]
	v_fma_f64 v[52:53], v[4:5], v[10:11], v[52:53]
	v_fma_f64 v[56:57], v[2:3], v[10:11], -v[12:13]
	scratch_load_b128 v[10:13], off, off offset:880
	ds_load_b128 v[2:5], v1 offset:1680
	v_add_f64 v[44:45], v[44:45], v[54:55]
	v_add_f64 v[46:47], v[46:47], v[50:51]
	v_fma_f64 v[48:49], v[8:9], v[14:15], v[48:49]
	v_fma_f64 v[54:55], v[6:7], v[14:15], -v[16:17]
	ds_load_b128 v[6:9], v1 offset:1696
	s_waitcnt vmcnt(8) lgkmcnt(1)
	v_mul_f64 v[50:51], v[2:3], v[20:21]
	v_mul_f64 v[20:21], v[4:5], v[20:21]
	scratch_load_b128 v[14:17], off, off offset:896
	v_add_f64 v[44:45], v[44:45], v[56:57]
	v_add_f64 v[46:47], v[46:47], v[52:53]
	s_waitcnt vmcnt(8) lgkmcnt(0)
	v_mul_f64 v[52:53], v[6:7], v[24:25]
	v_mul_f64 v[24:25], v[8:9], v[24:25]
	v_fma_f64 v[50:51], v[4:5], v[18:19], v[50:51]
	v_fma_f64 v[56:57], v[2:3], v[18:19], -v[20:21]
	scratch_load_b128 v[18:21], off, off offset:912
	ds_load_b128 v[2:5], v1 offset:1712
	v_add_f64 v[44:45], v[44:45], v[54:55]
	v_add_f64 v[46:47], v[46:47], v[48:49]
	v_fma_f64 v[52:53], v[8:9], v[22:23], v[52:53]
	v_fma_f64 v[22:23], v[6:7], v[22:23], -v[24:25]
	ds_load_b128 v[6:9], v1 offset:1728
	s_waitcnt vmcnt(8) lgkmcnt(1)
	v_mul_f64 v[48:49], v[2:3], v[28:29]
	v_mul_f64 v[28:29], v[4:5], v[28:29]
	v_add_f64 v[24:25], v[44:45], v[56:57]
	v_add_f64 v[44:45], v[46:47], v[50:51]
	s_waitcnt vmcnt(7) lgkmcnt(0)
	v_mul_f64 v[46:47], v[6:7], v[32:33]
	v_mul_f64 v[32:33], v[8:9], v[32:33]
	v_fma_f64 v[48:49], v[4:5], v[26:27], v[48:49]
	v_fma_f64 v[26:27], v[2:3], v[26:27], -v[28:29]
	ds_load_b128 v[2:5], v1 offset:1744
	v_add_f64 v[22:23], v[24:25], v[22:23]
	v_add_f64 v[24:25], v[44:45], v[52:53]
	v_fma_f64 v[44:45], v[8:9], v[30:31], v[46:47]
	v_fma_f64 v[30:31], v[6:7], v[30:31], -v[32:33]
	ds_load_b128 v[6:9], v1 offset:1760
	s_waitcnt vmcnt(5) lgkmcnt(0)
	v_mul_f64 v[46:47], v[6:7], v[185:186]
	v_add_f64 v[26:27], v[22:23], v[26:27]
	v_add_f64 v[32:33], v[24:25], v[48:49]
	scratch_load_b128 v[22:25], off, off offset:32
	v_mul_f64 v[28:29], v[2:3], v[36:37]
	v_mul_f64 v[36:37], v[4:5], v[36:37]
	;; [unrolled: 1-line block ×3, first 2 shown]
	v_add_f64 v[26:27], v[26:27], v[30:31]
	v_add_f64 v[30:31], v[32:33], v[44:45]
	v_fma_f64 v[28:29], v[4:5], v[34:35], v[28:29]
	v_fma_f64 v[34:35], v[2:3], v[34:35], -v[36:37]
	ds_load_b128 v[2:5], v1 offset:1776
	v_fma_f64 v[44:45], v[6:7], v[183:184], -v[48:49]
	s_waitcnt vmcnt(5) lgkmcnt(0)
	v_mul_f64 v[32:33], v[2:3], v[40:41]
	v_mul_f64 v[36:37], v[4:5], v[40:41]
	v_fma_f64 v[40:41], v[8:9], v[183:184], v[46:47]
	ds_load_b128 v[6:9], v1 offset:1792
	v_add_f64 v[28:29], v[30:31], v[28:29]
	v_add_f64 v[26:27], v[26:27], v[34:35]
	v_fma_f64 v[32:33], v[4:5], v[38:39], v[32:33]
	v_fma_f64 v[36:37], v[2:3], v[38:39], -v[36:37]
	ds_load_b128 v[2:5], v1 offset:1808
	s_waitcnt vmcnt(4) lgkmcnt(1)
	v_mul_f64 v[30:31], v[6:7], v[181:182]
	v_mul_f64 v[34:35], v[8:9], v[181:182]
	v_add_f64 v[28:29], v[28:29], v[40:41]
	v_add_f64 v[26:27], v[26:27], v[44:45]
	s_waitcnt vmcnt(3) lgkmcnt(0)
	v_mul_f64 v[38:39], v[2:3], v[12:13]
	v_mul_f64 v[12:13], v[4:5], v[12:13]
	v_fma_f64 v[30:31], v[8:9], v[179:180], v[30:31]
	v_fma_f64 v[34:35], v[6:7], v[179:180], -v[34:35]
	ds_load_b128 v[6:9], v1 offset:1824
	v_add_f64 v[28:29], v[28:29], v[32:33]
	v_add_f64 v[26:27], v[26:27], v[36:37]
	v_fma_f64 v[36:37], v[4:5], v[10:11], v[38:39]
	v_fma_f64 v[10:11], v[2:3], v[10:11], -v[12:13]
	ds_load_b128 v[2:5], v1 offset:1840
	s_waitcnt vmcnt(2) lgkmcnt(1)
	v_mul_f64 v[32:33], v[6:7], v[16:17]
	v_mul_f64 v[16:17], v[8:9], v[16:17]
	v_add_f64 v[12:13], v[26:27], v[34:35]
	v_add_f64 v[26:27], v[28:29], v[30:31]
	s_waitcnt vmcnt(1) lgkmcnt(0)
	v_mul_f64 v[28:29], v[2:3], v[20:21]
	v_mul_f64 v[20:21], v[4:5], v[20:21]
	v_fma_f64 v[8:9], v[8:9], v[14:15], v[32:33]
	v_fma_f64 v[6:7], v[6:7], v[14:15], -v[16:17]
	v_add_f64 v[10:11], v[12:13], v[10:11]
	v_add_f64 v[12:13], v[26:27], v[36:37]
	v_fma_f64 v[4:5], v[4:5], v[18:19], v[28:29]
	v_fma_f64 v[2:3], v[2:3], v[18:19], -v[20:21]
	s_delay_alu instid0(VALU_DEP_4) | instskip(NEXT) | instid1(VALU_DEP_4)
	v_add_f64 v[6:7], v[10:11], v[6:7]
	v_add_f64 v[8:9], v[12:13], v[8:9]
	s_delay_alu instid0(VALU_DEP_2) | instskip(NEXT) | instid1(VALU_DEP_2)
	v_add_f64 v[2:3], v[6:7], v[2:3]
	v_add_f64 v[4:5], v[8:9], v[4:5]
	s_waitcnt vmcnt(0)
	s_delay_alu instid0(VALU_DEP_2) | instskip(NEXT) | instid1(VALU_DEP_2)
	v_add_f64 v[2:3], v[22:23], -v[2:3]
	v_add_f64 v[4:5], v[24:25], -v[4:5]
	scratch_store_b128 off, v[2:5], off offset:32
	v_cmpx_lt_u32_e32 1, v158
	s_cbranch_execz .LBB57_359
; %bb.358:
	scratch_load_b128 v[5:8], v215, off
	v_mov_b32_e32 v2, v1
	v_mov_b32_e32 v3, v1
	v_mov_b32_e32 v4, v1
	scratch_store_b128 off, v[1:4], off offset:16
	s_waitcnt vmcnt(0)
	ds_store_b128 v216, v[5:8]
.LBB57_359:
	s_or_b32 exec_lo, exec_lo, s2
	s_waitcnt lgkmcnt(0)
	s_waitcnt_vscnt null, 0x0
	s_barrier
	buffer_gl0_inv
	s_clause 0x7
	scratch_load_b128 v[2:5], off, off offset:32
	scratch_load_b128 v[6:9], off, off offset:48
	;; [unrolled: 1-line block ×8, first 2 shown]
	ds_load_b128 v[38:41], v1 offset:960
	ds_load_b128 v[179:182], v1 offset:976
	s_clause 0x1
	scratch_load_b128 v[34:37], off, off offset:160
	scratch_load_b128 v[183:186], off, off offset:176
	s_mov_b32 s2, exec_lo
	s_waitcnt vmcnt(9) lgkmcnt(1)
	v_mul_f64 v[44:45], v[40:41], v[4:5]
	v_mul_f64 v[4:5], v[38:39], v[4:5]
	s_waitcnt vmcnt(8) lgkmcnt(0)
	v_mul_f64 v[46:47], v[179:180], v[8:9]
	v_mul_f64 v[8:9], v[181:182], v[8:9]
	s_delay_alu instid0(VALU_DEP_4) | instskip(NEXT) | instid1(VALU_DEP_4)
	v_fma_f64 v[44:45], v[38:39], v[2:3], -v[44:45]
	v_fma_f64 v[48:49], v[40:41], v[2:3], v[4:5]
	ds_load_b128 v[2:5], v1 offset:992
	scratch_load_b128 v[38:41], off, off offset:192
	v_fma_f64 v[46:47], v[181:182], v[6:7], v[46:47]
	v_fma_f64 v[52:53], v[179:180], v[6:7], -v[8:9]
	scratch_load_b128 v[179:182], off, off offset:208
	ds_load_b128 v[6:9], v1 offset:1008
	s_waitcnt vmcnt(9) lgkmcnt(1)
	v_mul_f64 v[50:51], v[2:3], v[12:13]
	v_mul_f64 v[12:13], v[4:5], v[12:13]
	s_waitcnt vmcnt(8) lgkmcnt(0)
	v_mul_f64 v[54:55], v[6:7], v[16:17]
	v_mul_f64 v[16:17], v[8:9], v[16:17]
	v_add_f64 v[44:45], v[44:45], 0
	v_add_f64 v[48:49], v[48:49], 0
	v_fma_f64 v[50:51], v[4:5], v[10:11], v[50:51]
	v_fma_f64 v[56:57], v[2:3], v[10:11], -v[12:13]
	ds_load_b128 v[2:5], v1 offset:1024
	scratch_load_b128 v[10:13], off, off offset:224
	v_add_f64 v[44:45], v[44:45], v[52:53]
	v_add_f64 v[46:47], v[48:49], v[46:47]
	v_fma_f64 v[52:53], v[8:9], v[14:15], v[54:55]
	v_fma_f64 v[54:55], v[6:7], v[14:15], -v[16:17]
	scratch_load_b128 v[14:17], off, off offset:240
	ds_load_b128 v[6:9], v1 offset:1040
	s_waitcnt vmcnt(9) lgkmcnt(1)
	v_mul_f64 v[48:49], v[2:3], v[20:21]
	v_mul_f64 v[20:21], v[4:5], v[20:21]
	v_add_f64 v[44:45], v[44:45], v[56:57]
	v_add_f64 v[46:47], v[46:47], v[50:51]
	s_waitcnt vmcnt(8) lgkmcnt(0)
	v_mul_f64 v[50:51], v[6:7], v[24:25]
	v_mul_f64 v[24:25], v[8:9], v[24:25]
	v_fma_f64 v[48:49], v[4:5], v[18:19], v[48:49]
	v_fma_f64 v[56:57], v[2:3], v[18:19], -v[20:21]
	ds_load_b128 v[2:5], v1 offset:1056
	scratch_load_b128 v[18:21], off, off offset:256
	v_add_f64 v[44:45], v[44:45], v[54:55]
	v_add_f64 v[46:47], v[46:47], v[52:53]
	v_fma_f64 v[50:51], v[8:9], v[22:23], v[50:51]
	v_fma_f64 v[54:55], v[6:7], v[22:23], -v[24:25]
	scratch_load_b128 v[22:25], off, off offset:272
	ds_load_b128 v[6:9], v1 offset:1072
	s_waitcnt vmcnt(9) lgkmcnt(1)
	v_mul_f64 v[52:53], v[2:3], v[28:29]
	v_mul_f64 v[28:29], v[4:5], v[28:29]
	v_add_f64 v[44:45], v[44:45], v[56:57]
	v_add_f64 v[46:47], v[46:47], v[48:49]
	s_waitcnt vmcnt(8) lgkmcnt(0)
	v_mul_f64 v[48:49], v[6:7], v[32:33]
	v_mul_f64 v[32:33], v[8:9], v[32:33]
	v_fma_f64 v[52:53], v[4:5], v[26:27], v[52:53]
	v_fma_f64 v[56:57], v[2:3], v[26:27], -v[28:29]
	ds_load_b128 v[2:5], v1 offset:1088
	scratch_load_b128 v[26:29], off, off offset:288
	v_add_f64 v[44:45], v[44:45], v[54:55]
	v_add_f64 v[46:47], v[46:47], v[50:51]
	v_fma_f64 v[48:49], v[8:9], v[30:31], v[48:49]
	v_fma_f64 v[54:55], v[6:7], v[30:31], -v[32:33]
	scratch_load_b128 v[30:33], off, off offset:304
	ds_load_b128 v[6:9], v1 offset:1104
	s_waitcnt vmcnt(9) lgkmcnt(1)
	v_mul_f64 v[50:51], v[2:3], v[36:37]
	v_mul_f64 v[36:37], v[4:5], v[36:37]
	v_add_f64 v[44:45], v[44:45], v[56:57]
	v_add_f64 v[46:47], v[46:47], v[52:53]
	s_waitcnt vmcnt(8) lgkmcnt(0)
	v_mul_f64 v[52:53], v[6:7], v[185:186]
	v_mul_f64 v[56:57], v[8:9], v[185:186]
	v_fma_f64 v[50:51], v[4:5], v[34:35], v[50:51]
	v_fma_f64 v[58:59], v[2:3], v[34:35], -v[36:37]
	ds_load_b128 v[2:5], v1 offset:1120
	scratch_load_b128 v[34:37], off, off offset:320
	v_add_f64 v[44:45], v[44:45], v[54:55]
	v_add_f64 v[46:47], v[46:47], v[48:49]
	v_fma_f64 v[52:53], v[8:9], v[183:184], v[52:53]
	v_fma_f64 v[54:55], v[6:7], v[183:184], -v[56:57]
	scratch_load_b128 v[183:186], off, off offset:336
	ds_load_b128 v[6:9], v1 offset:1136
	s_waitcnt vmcnt(9) lgkmcnt(1)
	v_mul_f64 v[48:49], v[2:3], v[40:41]
	v_mul_f64 v[40:41], v[4:5], v[40:41]
	s_waitcnt vmcnt(8) lgkmcnt(0)
	v_mul_f64 v[56:57], v[8:9], v[181:182]
	v_add_f64 v[44:45], v[44:45], v[58:59]
	v_add_f64 v[46:47], v[46:47], v[50:51]
	v_mul_f64 v[50:51], v[6:7], v[181:182]
	v_fma_f64 v[48:49], v[4:5], v[38:39], v[48:49]
	v_fma_f64 v[58:59], v[2:3], v[38:39], -v[40:41]
	ds_load_b128 v[2:5], v1 offset:1152
	scratch_load_b128 v[38:41], off, off offset:352
	v_add_f64 v[44:45], v[44:45], v[54:55]
	v_add_f64 v[46:47], v[46:47], v[52:53]
	v_fma_f64 v[50:51], v[8:9], v[179:180], v[50:51]
	v_fma_f64 v[54:55], v[6:7], v[179:180], -v[56:57]
	scratch_load_b128 v[179:182], off, off offset:368
	ds_load_b128 v[6:9], v1 offset:1168
	s_waitcnt vmcnt(9) lgkmcnt(1)
	v_mul_f64 v[52:53], v[2:3], v[12:13]
	v_mul_f64 v[12:13], v[4:5], v[12:13]
	v_add_f64 v[44:45], v[44:45], v[58:59]
	v_add_f64 v[46:47], v[46:47], v[48:49]
	s_waitcnt vmcnt(8) lgkmcnt(0)
	v_mul_f64 v[48:49], v[6:7], v[16:17]
	v_mul_f64 v[16:17], v[8:9], v[16:17]
	v_fma_f64 v[52:53], v[4:5], v[10:11], v[52:53]
	v_fma_f64 v[56:57], v[2:3], v[10:11], -v[12:13]
	ds_load_b128 v[2:5], v1 offset:1184
	scratch_load_b128 v[10:13], off, off offset:384
	v_add_f64 v[44:45], v[44:45], v[54:55]
	v_add_f64 v[46:47], v[46:47], v[50:51]
	v_fma_f64 v[48:49], v[8:9], v[14:15], v[48:49]
	v_fma_f64 v[54:55], v[6:7], v[14:15], -v[16:17]
	scratch_load_b128 v[14:17], off, off offset:400
	ds_load_b128 v[6:9], v1 offset:1200
	s_waitcnt vmcnt(9) lgkmcnt(1)
	v_mul_f64 v[50:51], v[2:3], v[20:21]
	v_mul_f64 v[20:21], v[4:5], v[20:21]
	v_add_f64 v[44:45], v[44:45], v[56:57]
	v_add_f64 v[46:47], v[46:47], v[52:53]
	s_waitcnt vmcnt(8) lgkmcnt(0)
	v_mul_f64 v[52:53], v[6:7], v[24:25]
	;; [unrolled: 18-line block ×4, first 2 shown]
	v_mul_f64 v[56:57], v[8:9], v[185:186]
	v_fma_f64 v[52:53], v[4:5], v[34:35], v[52:53]
	v_fma_f64 v[58:59], v[2:3], v[34:35], -v[36:37]
	ds_load_b128 v[2:5], v1 offset:1280
	scratch_load_b128 v[34:37], off, off offset:480
	v_add_f64 v[44:45], v[44:45], v[54:55]
	v_add_f64 v[46:47], v[46:47], v[50:51]
	v_fma_f64 v[48:49], v[8:9], v[183:184], v[48:49]
	v_fma_f64 v[54:55], v[6:7], v[183:184], -v[56:57]
	scratch_load_b128 v[183:186], off, off offset:496
	ds_load_b128 v[6:9], v1 offset:1296
	s_waitcnt vmcnt(9) lgkmcnt(1)
	v_mul_f64 v[50:51], v[2:3], v[40:41]
	v_mul_f64 v[40:41], v[4:5], v[40:41]
	s_waitcnt vmcnt(8) lgkmcnt(0)
	v_mul_f64 v[56:57], v[8:9], v[181:182]
	v_add_f64 v[44:45], v[44:45], v[58:59]
	v_add_f64 v[46:47], v[46:47], v[52:53]
	v_mul_f64 v[52:53], v[6:7], v[181:182]
	v_fma_f64 v[50:51], v[4:5], v[38:39], v[50:51]
	v_fma_f64 v[58:59], v[2:3], v[38:39], -v[40:41]
	ds_load_b128 v[2:5], v1 offset:1312
	scratch_load_b128 v[38:41], off, off offset:512
	v_add_f64 v[44:45], v[44:45], v[54:55]
	v_add_f64 v[46:47], v[46:47], v[48:49]
	v_fma_f64 v[52:53], v[8:9], v[179:180], v[52:53]
	v_fma_f64 v[54:55], v[6:7], v[179:180], -v[56:57]
	scratch_load_b128 v[179:182], off, off offset:528
	ds_load_b128 v[6:9], v1 offset:1328
	s_waitcnt vmcnt(9) lgkmcnt(1)
	v_mul_f64 v[48:49], v[2:3], v[12:13]
	v_mul_f64 v[12:13], v[4:5], v[12:13]
	v_add_f64 v[44:45], v[44:45], v[58:59]
	v_add_f64 v[46:47], v[46:47], v[50:51]
	s_waitcnt vmcnt(8) lgkmcnt(0)
	v_mul_f64 v[50:51], v[6:7], v[16:17]
	v_mul_f64 v[16:17], v[8:9], v[16:17]
	v_fma_f64 v[48:49], v[4:5], v[10:11], v[48:49]
	v_fma_f64 v[56:57], v[2:3], v[10:11], -v[12:13]
	ds_load_b128 v[2:5], v1 offset:1344
	scratch_load_b128 v[10:13], off, off offset:544
	v_add_f64 v[44:45], v[44:45], v[54:55]
	v_add_f64 v[46:47], v[46:47], v[52:53]
	v_fma_f64 v[50:51], v[8:9], v[14:15], v[50:51]
	v_fma_f64 v[54:55], v[6:7], v[14:15], -v[16:17]
	scratch_load_b128 v[14:17], off, off offset:560
	ds_load_b128 v[6:9], v1 offset:1360
	s_waitcnt vmcnt(9) lgkmcnt(1)
	v_mul_f64 v[52:53], v[2:3], v[20:21]
	v_mul_f64 v[20:21], v[4:5], v[20:21]
	v_add_f64 v[44:45], v[44:45], v[56:57]
	v_add_f64 v[46:47], v[46:47], v[48:49]
	s_waitcnt vmcnt(8) lgkmcnt(0)
	v_mul_f64 v[48:49], v[6:7], v[24:25]
	;; [unrolled: 18-line block ×4, first 2 shown]
	v_mul_f64 v[56:57], v[8:9], v[185:186]
	v_fma_f64 v[48:49], v[4:5], v[34:35], v[48:49]
	v_fma_f64 v[58:59], v[2:3], v[34:35], -v[36:37]
	ds_load_b128 v[2:5], v1 offset:1440
	scratch_load_b128 v[34:37], off, off offset:640
	v_add_f64 v[44:45], v[44:45], v[54:55]
	v_add_f64 v[46:47], v[46:47], v[52:53]
	v_fma_f64 v[50:51], v[8:9], v[183:184], v[50:51]
	v_fma_f64 v[54:55], v[6:7], v[183:184], -v[56:57]
	scratch_load_b128 v[183:186], off, off offset:656
	ds_load_b128 v[6:9], v1 offset:1456
	s_waitcnt vmcnt(9) lgkmcnt(1)
	v_mul_f64 v[52:53], v[2:3], v[40:41]
	v_mul_f64 v[40:41], v[4:5], v[40:41]
	s_waitcnt vmcnt(8) lgkmcnt(0)
	v_mul_f64 v[56:57], v[8:9], v[181:182]
	v_add_f64 v[44:45], v[44:45], v[58:59]
	v_add_f64 v[46:47], v[46:47], v[48:49]
	v_mul_f64 v[48:49], v[6:7], v[181:182]
	v_fma_f64 v[52:53], v[4:5], v[38:39], v[52:53]
	v_fma_f64 v[58:59], v[2:3], v[38:39], -v[40:41]
	ds_load_b128 v[2:5], v1 offset:1472
	scratch_load_b128 v[38:41], off, off offset:672
	v_add_f64 v[44:45], v[44:45], v[54:55]
	v_add_f64 v[46:47], v[46:47], v[50:51]
	v_fma_f64 v[48:49], v[8:9], v[179:180], v[48:49]
	v_fma_f64 v[54:55], v[6:7], v[179:180], -v[56:57]
	scratch_load_b128 v[179:182], off, off offset:688
	ds_load_b128 v[6:9], v1 offset:1488
	s_waitcnt vmcnt(9) lgkmcnt(1)
	v_mul_f64 v[50:51], v[2:3], v[12:13]
	v_mul_f64 v[12:13], v[4:5], v[12:13]
	v_add_f64 v[44:45], v[44:45], v[58:59]
	v_add_f64 v[46:47], v[46:47], v[52:53]
	s_waitcnt vmcnt(8) lgkmcnt(0)
	v_mul_f64 v[52:53], v[6:7], v[16:17]
	v_mul_f64 v[16:17], v[8:9], v[16:17]
	v_fma_f64 v[50:51], v[4:5], v[10:11], v[50:51]
	v_fma_f64 v[56:57], v[2:3], v[10:11], -v[12:13]
	ds_load_b128 v[2:5], v1 offset:1504
	scratch_load_b128 v[10:13], off, off offset:704
	v_add_f64 v[44:45], v[44:45], v[54:55]
	v_add_f64 v[46:47], v[46:47], v[48:49]
	v_fma_f64 v[52:53], v[8:9], v[14:15], v[52:53]
	v_fma_f64 v[54:55], v[6:7], v[14:15], -v[16:17]
	scratch_load_b128 v[14:17], off, off offset:720
	ds_load_b128 v[6:9], v1 offset:1520
	s_waitcnt vmcnt(9) lgkmcnt(1)
	v_mul_f64 v[48:49], v[2:3], v[20:21]
	v_mul_f64 v[20:21], v[4:5], v[20:21]
	v_add_f64 v[44:45], v[44:45], v[56:57]
	v_add_f64 v[46:47], v[46:47], v[50:51]
	s_waitcnt vmcnt(8) lgkmcnt(0)
	v_mul_f64 v[50:51], v[6:7], v[24:25]
	;; [unrolled: 18-line block ×4, first 2 shown]
	v_mul_f64 v[56:57], v[8:9], v[185:186]
	v_fma_f64 v[50:51], v[4:5], v[34:35], v[50:51]
	v_fma_f64 v[58:59], v[2:3], v[34:35], -v[36:37]
	ds_load_b128 v[2:5], v1 offset:1600
	scratch_load_b128 v[34:37], off, off offset:800
	v_add_f64 v[44:45], v[44:45], v[54:55]
	v_add_f64 v[46:47], v[46:47], v[48:49]
	v_fma_f64 v[52:53], v[8:9], v[183:184], v[52:53]
	v_fma_f64 v[54:55], v[6:7], v[183:184], -v[56:57]
	ds_load_b128 v[6:9], v1 offset:1616
	s_waitcnt vmcnt(8) lgkmcnt(1)
	v_mul_f64 v[48:49], v[2:3], v[40:41]
	v_mul_f64 v[40:41], v[4:5], v[40:41]
	scratch_load_b128 v[183:186], off, off offset:816
	s_waitcnt vmcnt(8) lgkmcnt(0)
	v_mul_f64 v[56:57], v[8:9], v[181:182]
	v_add_f64 v[44:45], v[44:45], v[58:59]
	v_add_f64 v[46:47], v[46:47], v[50:51]
	v_mul_f64 v[50:51], v[6:7], v[181:182]
	v_fma_f64 v[48:49], v[4:5], v[38:39], v[48:49]
	v_fma_f64 v[58:59], v[2:3], v[38:39], -v[40:41]
	ds_load_b128 v[2:5], v1 offset:1632
	scratch_load_b128 v[38:41], off, off offset:832
	v_add_f64 v[44:45], v[44:45], v[54:55]
	v_add_f64 v[46:47], v[46:47], v[52:53]
	v_fma_f64 v[50:51], v[8:9], v[179:180], v[50:51]
	v_fma_f64 v[54:55], v[6:7], v[179:180], -v[56:57]
	ds_load_b128 v[6:9], v1 offset:1648
	s_waitcnt vmcnt(8) lgkmcnt(1)
	v_mul_f64 v[52:53], v[2:3], v[12:13]
	v_mul_f64 v[12:13], v[4:5], v[12:13]
	scratch_load_b128 v[179:182], off, off offset:848
	v_add_f64 v[44:45], v[44:45], v[58:59]
	v_add_f64 v[46:47], v[46:47], v[48:49]
	s_waitcnt vmcnt(8) lgkmcnt(0)
	v_mul_f64 v[48:49], v[6:7], v[16:17]
	v_mul_f64 v[16:17], v[8:9], v[16:17]
	v_fma_f64 v[52:53], v[4:5], v[10:11], v[52:53]
	v_fma_f64 v[56:57], v[2:3], v[10:11], -v[12:13]
	scratch_load_b128 v[10:13], off, off offset:864
	ds_load_b128 v[2:5], v1 offset:1664
	v_add_f64 v[44:45], v[44:45], v[54:55]
	v_add_f64 v[46:47], v[46:47], v[50:51]
	v_fma_f64 v[48:49], v[8:9], v[14:15], v[48:49]
	v_fma_f64 v[54:55], v[6:7], v[14:15], -v[16:17]
	ds_load_b128 v[6:9], v1 offset:1680
	s_waitcnt vmcnt(8) lgkmcnt(1)
	v_mul_f64 v[50:51], v[2:3], v[20:21]
	v_mul_f64 v[20:21], v[4:5], v[20:21]
	scratch_load_b128 v[14:17], off, off offset:880
	v_add_f64 v[44:45], v[44:45], v[56:57]
	v_add_f64 v[46:47], v[46:47], v[52:53]
	s_waitcnt vmcnt(8) lgkmcnt(0)
	v_mul_f64 v[52:53], v[6:7], v[24:25]
	v_mul_f64 v[24:25], v[8:9], v[24:25]
	v_fma_f64 v[50:51], v[4:5], v[18:19], v[50:51]
	v_fma_f64 v[56:57], v[2:3], v[18:19], -v[20:21]
	scratch_load_b128 v[18:21], off, off offset:896
	ds_load_b128 v[2:5], v1 offset:1696
	v_add_f64 v[44:45], v[44:45], v[54:55]
	v_add_f64 v[46:47], v[46:47], v[48:49]
	v_fma_f64 v[52:53], v[8:9], v[22:23], v[52:53]
	v_fma_f64 v[54:55], v[6:7], v[22:23], -v[24:25]
	ds_load_b128 v[6:9], v1 offset:1712
	s_waitcnt vmcnt(8) lgkmcnt(1)
	v_mul_f64 v[48:49], v[2:3], v[28:29]
	v_mul_f64 v[28:29], v[4:5], v[28:29]
	scratch_load_b128 v[22:25], off, off offset:912
	v_add_f64 v[44:45], v[44:45], v[56:57]
	v_add_f64 v[46:47], v[46:47], v[50:51]
	s_waitcnt vmcnt(8) lgkmcnt(0)
	v_mul_f64 v[50:51], v[6:7], v[32:33]
	v_mul_f64 v[32:33], v[8:9], v[32:33]
	v_fma_f64 v[48:49], v[4:5], v[26:27], v[48:49]
	v_fma_f64 v[26:27], v[2:3], v[26:27], -v[28:29]
	ds_load_b128 v[2:5], v1 offset:1728
	v_add_f64 v[28:29], v[44:45], v[54:55]
	v_add_f64 v[44:45], v[46:47], v[52:53]
	v_fma_f64 v[50:51], v[8:9], v[30:31], v[50:51]
	v_fma_f64 v[30:31], v[6:7], v[30:31], -v[32:33]
	ds_load_b128 v[6:9], v1 offset:1744
	s_waitcnt vmcnt(7) lgkmcnt(1)
	v_mul_f64 v[46:47], v[2:3], v[36:37]
	v_mul_f64 v[36:37], v[4:5], v[36:37]
	v_add_f64 v[26:27], v[28:29], v[26:27]
	v_add_f64 v[28:29], v[44:45], v[48:49]
	s_delay_alu instid0(VALU_DEP_4) | instskip(NEXT) | instid1(VALU_DEP_4)
	v_fma_f64 v[46:47], v[4:5], v[34:35], v[46:47]
	v_fma_f64 v[34:35], v[2:3], v[34:35], -v[36:37]
	ds_load_b128 v[2:5], v1 offset:1760
	v_add_f64 v[30:31], v[26:27], v[30:31]
	v_add_f64 v[36:37], v[28:29], v[50:51]
	scratch_load_b128 v[26:29], off, off offset:16
	s_waitcnt vmcnt(7) lgkmcnt(1)
	v_mul_f64 v[32:33], v[6:7], v[185:186]
	v_mul_f64 v[44:45], v[8:9], v[185:186]
	v_add_f64 v[30:31], v[30:31], v[34:35]
	v_add_f64 v[34:35], v[36:37], v[46:47]
	s_delay_alu instid0(VALU_DEP_4) | instskip(NEXT) | instid1(VALU_DEP_4)
	v_fma_f64 v[32:33], v[8:9], v[183:184], v[32:33]
	v_fma_f64 v[44:45], v[6:7], v[183:184], -v[44:45]
	ds_load_b128 v[6:9], v1 offset:1776
	s_waitcnt vmcnt(6) lgkmcnt(1)
	v_mul_f64 v[48:49], v[2:3], v[40:41]
	v_mul_f64 v[40:41], v[4:5], v[40:41]
	s_waitcnt vmcnt(5) lgkmcnt(0)
	v_mul_f64 v[36:37], v[6:7], v[181:182]
	v_mul_f64 v[46:47], v[8:9], v[181:182]
	v_add_f64 v[32:33], v[34:35], v[32:33]
	v_add_f64 v[30:31], v[30:31], v[44:45]
	v_fma_f64 v[48:49], v[4:5], v[38:39], v[48:49]
	v_fma_f64 v[38:39], v[2:3], v[38:39], -v[40:41]
	ds_load_b128 v[2:5], v1 offset:1792
	v_fma_f64 v[36:37], v[8:9], v[179:180], v[36:37]
	v_fma_f64 v[40:41], v[6:7], v[179:180], -v[46:47]
	ds_load_b128 v[6:9], v1 offset:1808
	s_waitcnt vmcnt(4) lgkmcnt(1)
	v_mul_f64 v[34:35], v[2:3], v[12:13]
	v_mul_f64 v[12:13], v[4:5], v[12:13]
	v_add_f64 v[32:33], v[32:33], v[48:49]
	v_add_f64 v[30:31], v[30:31], v[38:39]
	s_waitcnt vmcnt(3) lgkmcnt(0)
	v_mul_f64 v[38:39], v[6:7], v[16:17]
	v_mul_f64 v[16:17], v[8:9], v[16:17]
	v_fma_f64 v[34:35], v[4:5], v[10:11], v[34:35]
	v_fma_f64 v[10:11], v[2:3], v[10:11], -v[12:13]
	ds_load_b128 v[2:5], v1 offset:1824
	v_add_f64 v[12:13], v[30:31], v[40:41]
	v_add_f64 v[30:31], v[32:33], v[36:37]
	v_fma_f64 v[36:37], v[8:9], v[14:15], v[38:39]
	v_fma_f64 v[14:15], v[6:7], v[14:15], -v[16:17]
	ds_load_b128 v[6:9], v1 offset:1840
	s_waitcnt vmcnt(2) lgkmcnt(1)
	v_mul_f64 v[32:33], v[2:3], v[20:21]
	v_mul_f64 v[20:21], v[4:5], v[20:21]
	s_waitcnt vmcnt(1) lgkmcnt(0)
	v_mul_f64 v[16:17], v[6:7], v[24:25]
	v_mul_f64 v[24:25], v[8:9], v[24:25]
	v_add_f64 v[10:11], v[12:13], v[10:11]
	v_add_f64 v[12:13], v[30:31], v[34:35]
	v_fma_f64 v[4:5], v[4:5], v[18:19], v[32:33]
	v_fma_f64 v[1:2], v[2:3], v[18:19], -v[20:21]
	v_fma_f64 v[8:9], v[8:9], v[22:23], v[16:17]
	v_fma_f64 v[6:7], v[6:7], v[22:23], -v[24:25]
	v_add_f64 v[10:11], v[10:11], v[14:15]
	v_add_f64 v[12:13], v[12:13], v[36:37]
	s_delay_alu instid0(VALU_DEP_2) | instskip(NEXT) | instid1(VALU_DEP_2)
	v_add_f64 v[1:2], v[10:11], v[1:2]
	v_add_f64 v[3:4], v[12:13], v[4:5]
	s_delay_alu instid0(VALU_DEP_2) | instskip(NEXT) | instid1(VALU_DEP_2)
	v_add_f64 v[1:2], v[1:2], v[6:7]
	v_add_f64 v[3:4], v[3:4], v[8:9]
	s_waitcnt vmcnt(0)
	s_delay_alu instid0(VALU_DEP_2) | instskip(NEXT) | instid1(VALU_DEP_2)
	v_add_f64 v[1:2], v[26:27], -v[1:2]
	v_add_f64 v[3:4], v[28:29], -v[3:4]
	scratch_store_b128 off, v[1:4], off offset:16
	v_cmpx_ne_u32_e32 0, v158
	s_cbranch_execz .LBB57_361
; %bb.360:
	scratch_load_b128 v[1:4], off, off
	v_mov_b32_e32 v5, 0
	s_delay_alu instid0(VALU_DEP_1)
	v_mov_b32_e32 v6, v5
	v_mov_b32_e32 v7, v5
	;; [unrolled: 1-line block ×3, first 2 shown]
	scratch_store_b128 off, v[5:8], off
	s_waitcnt vmcnt(0)
	ds_store_b128 v216, v[1:4]
.LBB57_361:
	s_or_b32 exec_lo, exec_lo, s2
	s_waitcnt lgkmcnt(0)
	s_waitcnt_vscnt null, 0x0
	s_barrier
	buffer_gl0_inv
	s_clause 0x7
	scratch_load_b128 v[1:4], off, off offset:16
	scratch_load_b128 v[5:8], off, off offset:32
	;; [unrolled: 1-line block ×8, first 2 shown]
	v_mov_b32_e32 v41, 0
	s_clause 0x1
	scratch_load_b128 v[33:36], off, off offset:144
	scratch_load_b128 v[183:186], off, off offset:160
	s_and_b32 vcc_lo, exec_lo, s20
	ds_load_b128 v[37:40], v41 offset:944
	ds_load_b128 v[179:182], v41 offset:960
	s_waitcnt vmcnt(9) lgkmcnt(1)
	v_mul_f64 v[44:45], v[39:40], v[3:4]
	v_mul_f64 v[3:4], v[37:38], v[3:4]
	s_waitcnt vmcnt(8) lgkmcnt(0)
	v_mul_f64 v[46:47], v[179:180], v[7:8]
	v_mul_f64 v[7:8], v[181:182], v[7:8]
	s_delay_alu instid0(VALU_DEP_4) | instskip(NEXT) | instid1(VALU_DEP_4)
	v_fma_f64 v[44:45], v[37:38], v[1:2], -v[44:45]
	v_fma_f64 v[48:49], v[39:40], v[1:2], v[3:4]
	ds_load_b128 v[1:4], v41 offset:976
	scratch_load_b128 v[37:40], off, off offset:176
	v_fma_f64 v[46:47], v[181:182], v[5:6], v[46:47]
	v_fma_f64 v[52:53], v[179:180], v[5:6], -v[7:8]
	scratch_load_b128 v[179:182], off, off offset:192
	ds_load_b128 v[5:8], v41 offset:992
	s_waitcnt vmcnt(9) lgkmcnt(1)
	v_mul_f64 v[50:51], v[1:2], v[11:12]
	v_mul_f64 v[11:12], v[3:4], v[11:12]
	s_waitcnt vmcnt(8) lgkmcnt(0)
	v_mul_f64 v[54:55], v[5:6], v[15:16]
	v_mul_f64 v[15:16], v[7:8], v[15:16]
	v_add_f64 v[44:45], v[44:45], 0
	v_add_f64 v[48:49], v[48:49], 0
	v_fma_f64 v[50:51], v[3:4], v[9:10], v[50:51]
	v_fma_f64 v[56:57], v[1:2], v[9:10], -v[11:12]
	ds_load_b128 v[1:4], v41 offset:1008
	scratch_load_b128 v[9:12], off, off offset:208
	v_add_f64 v[44:45], v[44:45], v[52:53]
	v_add_f64 v[46:47], v[48:49], v[46:47]
	v_fma_f64 v[52:53], v[7:8], v[13:14], v[54:55]
	v_fma_f64 v[54:55], v[5:6], v[13:14], -v[15:16]
	scratch_load_b128 v[13:16], off, off offset:224
	ds_load_b128 v[5:8], v41 offset:1024
	s_waitcnt vmcnt(9) lgkmcnt(1)
	v_mul_f64 v[48:49], v[1:2], v[19:20]
	v_mul_f64 v[19:20], v[3:4], v[19:20]
	v_add_f64 v[44:45], v[44:45], v[56:57]
	v_add_f64 v[46:47], v[46:47], v[50:51]
	s_waitcnt vmcnt(8) lgkmcnt(0)
	v_mul_f64 v[50:51], v[5:6], v[23:24]
	v_mul_f64 v[23:24], v[7:8], v[23:24]
	v_fma_f64 v[48:49], v[3:4], v[17:18], v[48:49]
	v_fma_f64 v[56:57], v[1:2], v[17:18], -v[19:20]
	ds_load_b128 v[1:4], v41 offset:1040
	scratch_load_b128 v[17:20], off, off offset:240
	v_add_f64 v[44:45], v[44:45], v[54:55]
	v_add_f64 v[46:47], v[46:47], v[52:53]
	v_fma_f64 v[50:51], v[7:8], v[21:22], v[50:51]
	v_fma_f64 v[54:55], v[5:6], v[21:22], -v[23:24]
	scratch_load_b128 v[21:24], off, off offset:256
	ds_load_b128 v[5:8], v41 offset:1056
	s_waitcnt vmcnt(9) lgkmcnt(1)
	v_mul_f64 v[52:53], v[1:2], v[27:28]
	v_mul_f64 v[27:28], v[3:4], v[27:28]
	v_add_f64 v[44:45], v[44:45], v[56:57]
	v_add_f64 v[46:47], v[46:47], v[48:49]
	s_waitcnt vmcnt(8) lgkmcnt(0)
	v_mul_f64 v[48:49], v[5:6], v[31:32]
	v_mul_f64 v[31:32], v[7:8], v[31:32]
	;; [unrolled: 18-line block ×3, first 2 shown]
	v_fma_f64 v[50:51], v[3:4], v[33:34], v[50:51]
	v_fma_f64 v[58:59], v[1:2], v[33:34], -v[35:36]
	ds_load_b128 v[1:4], v41 offset:1104
	scratch_load_b128 v[33:36], off, off offset:304
	v_add_f64 v[44:45], v[44:45], v[54:55]
	v_add_f64 v[46:47], v[46:47], v[48:49]
	v_fma_f64 v[52:53], v[7:8], v[183:184], v[52:53]
	v_fma_f64 v[54:55], v[5:6], v[183:184], -v[56:57]
	scratch_load_b128 v[183:186], off, off offset:320
	ds_load_b128 v[5:8], v41 offset:1120
	s_waitcnt vmcnt(9) lgkmcnt(1)
	v_mul_f64 v[48:49], v[1:2], v[39:40]
	v_mul_f64 v[39:40], v[3:4], v[39:40]
	s_waitcnt vmcnt(8) lgkmcnt(0)
	v_mul_f64 v[56:57], v[7:8], v[181:182]
	v_add_f64 v[44:45], v[44:45], v[58:59]
	v_add_f64 v[46:47], v[46:47], v[50:51]
	v_mul_f64 v[50:51], v[5:6], v[181:182]
	v_fma_f64 v[48:49], v[3:4], v[37:38], v[48:49]
	v_fma_f64 v[58:59], v[1:2], v[37:38], -v[39:40]
	ds_load_b128 v[1:4], v41 offset:1136
	scratch_load_b128 v[37:40], off, off offset:336
	v_add_f64 v[44:45], v[44:45], v[54:55]
	v_add_f64 v[46:47], v[46:47], v[52:53]
	v_fma_f64 v[50:51], v[7:8], v[179:180], v[50:51]
	v_fma_f64 v[54:55], v[5:6], v[179:180], -v[56:57]
	scratch_load_b128 v[179:182], off, off offset:352
	ds_load_b128 v[5:8], v41 offset:1152
	s_waitcnt vmcnt(9) lgkmcnt(1)
	v_mul_f64 v[52:53], v[1:2], v[11:12]
	v_mul_f64 v[11:12], v[3:4], v[11:12]
	v_add_f64 v[44:45], v[44:45], v[58:59]
	v_add_f64 v[46:47], v[46:47], v[48:49]
	s_waitcnt vmcnt(8) lgkmcnt(0)
	v_mul_f64 v[48:49], v[5:6], v[15:16]
	v_mul_f64 v[15:16], v[7:8], v[15:16]
	v_fma_f64 v[52:53], v[3:4], v[9:10], v[52:53]
	v_fma_f64 v[56:57], v[1:2], v[9:10], -v[11:12]
	ds_load_b128 v[1:4], v41 offset:1168
	scratch_load_b128 v[9:12], off, off offset:368
	v_add_f64 v[44:45], v[44:45], v[54:55]
	v_add_f64 v[46:47], v[46:47], v[50:51]
	v_fma_f64 v[48:49], v[7:8], v[13:14], v[48:49]
	v_fma_f64 v[54:55], v[5:6], v[13:14], -v[15:16]
	scratch_load_b128 v[13:16], off, off offset:384
	ds_load_b128 v[5:8], v41 offset:1184
	s_waitcnt vmcnt(9) lgkmcnt(1)
	v_mul_f64 v[50:51], v[1:2], v[19:20]
	v_mul_f64 v[19:20], v[3:4], v[19:20]
	v_add_f64 v[44:45], v[44:45], v[56:57]
	v_add_f64 v[46:47], v[46:47], v[52:53]
	s_waitcnt vmcnt(8) lgkmcnt(0)
	v_mul_f64 v[52:53], v[5:6], v[23:24]
	;; [unrolled: 18-line block ×4, first 2 shown]
	v_mul_f64 v[56:57], v[7:8], v[185:186]
	v_fma_f64 v[52:53], v[3:4], v[33:34], v[52:53]
	v_fma_f64 v[58:59], v[1:2], v[33:34], -v[35:36]
	ds_load_b128 v[1:4], v41 offset:1264
	scratch_load_b128 v[33:36], off, off offset:464
	v_add_f64 v[44:45], v[44:45], v[54:55]
	v_add_f64 v[46:47], v[46:47], v[50:51]
	v_fma_f64 v[48:49], v[7:8], v[183:184], v[48:49]
	v_fma_f64 v[54:55], v[5:6], v[183:184], -v[56:57]
	scratch_load_b128 v[183:186], off, off offset:480
	ds_load_b128 v[5:8], v41 offset:1280
	s_waitcnt vmcnt(9) lgkmcnt(1)
	v_mul_f64 v[50:51], v[1:2], v[39:40]
	v_mul_f64 v[39:40], v[3:4], v[39:40]
	s_waitcnt vmcnt(8) lgkmcnt(0)
	v_mul_f64 v[56:57], v[7:8], v[181:182]
	v_add_f64 v[44:45], v[44:45], v[58:59]
	v_add_f64 v[46:47], v[46:47], v[52:53]
	v_mul_f64 v[52:53], v[5:6], v[181:182]
	v_fma_f64 v[50:51], v[3:4], v[37:38], v[50:51]
	v_fma_f64 v[58:59], v[1:2], v[37:38], -v[39:40]
	ds_load_b128 v[1:4], v41 offset:1296
	scratch_load_b128 v[37:40], off, off offset:496
	v_add_f64 v[44:45], v[44:45], v[54:55]
	v_add_f64 v[46:47], v[46:47], v[48:49]
	v_fma_f64 v[52:53], v[7:8], v[179:180], v[52:53]
	v_fma_f64 v[54:55], v[5:6], v[179:180], -v[56:57]
	scratch_load_b128 v[179:182], off, off offset:512
	ds_load_b128 v[5:8], v41 offset:1312
	s_waitcnt vmcnt(9) lgkmcnt(1)
	v_mul_f64 v[48:49], v[1:2], v[11:12]
	v_mul_f64 v[11:12], v[3:4], v[11:12]
	v_add_f64 v[44:45], v[44:45], v[58:59]
	v_add_f64 v[46:47], v[46:47], v[50:51]
	s_waitcnt vmcnt(8) lgkmcnt(0)
	v_mul_f64 v[50:51], v[5:6], v[15:16]
	v_mul_f64 v[15:16], v[7:8], v[15:16]
	v_fma_f64 v[48:49], v[3:4], v[9:10], v[48:49]
	v_fma_f64 v[56:57], v[1:2], v[9:10], -v[11:12]
	ds_load_b128 v[1:4], v41 offset:1328
	scratch_load_b128 v[9:12], off, off offset:528
	v_add_f64 v[44:45], v[44:45], v[54:55]
	v_add_f64 v[46:47], v[46:47], v[52:53]
	v_fma_f64 v[50:51], v[7:8], v[13:14], v[50:51]
	v_fma_f64 v[54:55], v[5:6], v[13:14], -v[15:16]
	scratch_load_b128 v[13:16], off, off offset:544
	ds_load_b128 v[5:8], v41 offset:1344
	s_waitcnt vmcnt(9) lgkmcnt(1)
	v_mul_f64 v[52:53], v[1:2], v[19:20]
	v_mul_f64 v[19:20], v[3:4], v[19:20]
	v_add_f64 v[44:45], v[44:45], v[56:57]
	v_add_f64 v[46:47], v[46:47], v[48:49]
	s_waitcnt vmcnt(8) lgkmcnt(0)
	v_mul_f64 v[48:49], v[5:6], v[23:24]
	;; [unrolled: 18-line block ×4, first 2 shown]
	v_mul_f64 v[56:57], v[7:8], v[185:186]
	v_fma_f64 v[48:49], v[3:4], v[33:34], v[48:49]
	v_fma_f64 v[58:59], v[1:2], v[33:34], -v[35:36]
	ds_load_b128 v[1:4], v41 offset:1424
	scratch_load_b128 v[33:36], off, off offset:624
	v_add_f64 v[44:45], v[44:45], v[54:55]
	v_add_f64 v[46:47], v[46:47], v[52:53]
	v_fma_f64 v[50:51], v[7:8], v[183:184], v[50:51]
	v_fma_f64 v[54:55], v[5:6], v[183:184], -v[56:57]
	scratch_load_b128 v[183:186], off, off offset:640
	ds_load_b128 v[5:8], v41 offset:1440
	s_waitcnt vmcnt(9) lgkmcnt(1)
	v_mul_f64 v[52:53], v[1:2], v[39:40]
	v_mul_f64 v[39:40], v[3:4], v[39:40]
	s_waitcnt vmcnt(8) lgkmcnt(0)
	v_mul_f64 v[56:57], v[7:8], v[181:182]
	v_add_f64 v[44:45], v[44:45], v[58:59]
	v_add_f64 v[46:47], v[46:47], v[48:49]
	v_mul_f64 v[48:49], v[5:6], v[181:182]
	v_fma_f64 v[52:53], v[3:4], v[37:38], v[52:53]
	v_fma_f64 v[58:59], v[1:2], v[37:38], -v[39:40]
	ds_load_b128 v[1:4], v41 offset:1456
	scratch_load_b128 v[37:40], off, off offset:656
	v_add_f64 v[44:45], v[44:45], v[54:55]
	v_add_f64 v[46:47], v[46:47], v[50:51]
	v_fma_f64 v[48:49], v[7:8], v[179:180], v[48:49]
	v_fma_f64 v[54:55], v[5:6], v[179:180], -v[56:57]
	scratch_load_b128 v[179:182], off, off offset:672
	ds_load_b128 v[5:8], v41 offset:1472
	s_waitcnt vmcnt(9) lgkmcnt(1)
	v_mul_f64 v[50:51], v[1:2], v[11:12]
	v_mul_f64 v[11:12], v[3:4], v[11:12]
	v_add_f64 v[44:45], v[44:45], v[58:59]
	v_add_f64 v[46:47], v[46:47], v[52:53]
	s_waitcnt vmcnt(8) lgkmcnt(0)
	v_mul_f64 v[52:53], v[5:6], v[15:16]
	v_mul_f64 v[15:16], v[7:8], v[15:16]
	v_fma_f64 v[50:51], v[3:4], v[9:10], v[50:51]
	v_fma_f64 v[56:57], v[1:2], v[9:10], -v[11:12]
	ds_load_b128 v[1:4], v41 offset:1488
	scratch_load_b128 v[9:12], off, off offset:688
	v_add_f64 v[44:45], v[44:45], v[54:55]
	v_add_f64 v[46:47], v[46:47], v[48:49]
	v_fma_f64 v[52:53], v[7:8], v[13:14], v[52:53]
	v_fma_f64 v[54:55], v[5:6], v[13:14], -v[15:16]
	scratch_load_b128 v[13:16], off, off offset:704
	ds_load_b128 v[5:8], v41 offset:1504
	s_waitcnt vmcnt(9) lgkmcnt(1)
	v_mul_f64 v[48:49], v[1:2], v[19:20]
	v_mul_f64 v[19:20], v[3:4], v[19:20]
	v_add_f64 v[44:45], v[44:45], v[56:57]
	v_add_f64 v[46:47], v[46:47], v[50:51]
	s_waitcnt vmcnt(8) lgkmcnt(0)
	v_mul_f64 v[50:51], v[5:6], v[23:24]
	;; [unrolled: 18-line block ×4, first 2 shown]
	v_mul_f64 v[56:57], v[7:8], v[185:186]
	v_fma_f64 v[50:51], v[3:4], v[33:34], v[50:51]
	v_fma_f64 v[58:59], v[1:2], v[33:34], -v[35:36]
	ds_load_b128 v[1:4], v41 offset:1584
	scratch_load_b128 v[33:36], off, off offset:784
	v_add_f64 v[44:45], v[44:45], v[54:55]
	v_add_f64 v[46:47], v[46:47], v[48:49]
	v_fma_f64 v[52:53], v[7:8], v[183:184], v[52:53]
	v_fma_f64 v[54:55], v[5:6], v[183:184], -v[56:57]
	scratch_load_b128 v[183:186], off, off offset:800
	ds_load_b128 v[5:8], v41 offset:1600
	s_waitcnt vmcnt(9) lgkmcnt(1)
	v_mul_f64 v[48:49], v[1:2], v[39:40]
	v_mul_f64 v[39:40], v[3:4], v[39:40]
	s_waitcnt vmcnt(8) lgkmcnt(0)
	v_mul_f64 v[56:57], v[7:8], v[181:182]
	v_add_f64 v[44:45], v[44:45], v[58:59]
	v_add_f64 v[46:47], v[46:47], v[50:51]
	v_mul_f64 v[50:51], v[5:6], v[181:182]
	v_fma_f64 v[48:49], v[3:4], v[37:38], v[48:49]
	v_fma_f64 v[58:59], v[1:2], v[37:38], -v[39:40]
	ds_load_b128 v[1:4], v41 offset:1616
	scratch_load_b128 v[37:40], off, off offset:816
	v_add_f64 v[44:45], v[44:45], v[54:55]
	v_add_f64 v[46:47], v[46:47], v[52:53]
	v_fma_f64 v[50:51], v[7:8], v[179:180], v[50:51]
	v_fma_f64 v[54:55], v[5:6], v[179:180], -v[56:57]
	ds_load_b128 v[5:8], v41 offset:1632
	s_waitcnt vmcnt(8) lgkmcnt(1)
	v_mul_f64 v[52:53], v[1:2], v[11:12]
	v_mul_f64 v[11:12], v[3:4], v[11:12]
	scratch_load_b128 v[179:182], off, off offset:832
	v_add_f64 v[44:45], v[44:45], v[58:59]
	v_add_f64 v[46:47], v[46:47], v[48:49]
	s_waitcnt vmcnt(8) lgkmcnt(0)
	v_mul_f64 v[48:49], v[5:6], v[15:16]
	v_mul_f64 v[15:16], v[7:8], v[15:16]
	v_fma_f64 v[52:53], v[3:4], v[9:10], v[52:53]
	v_fma_f64 v[56:57], v[1:2], v[9:10], -v[11:12]
	scratch_load_b128 v[9:12], off, off offset:848
	ds_load_b128 v[1:4], v41 offset:1648
	v_add_f64 v[44:45], v[44:45], v[54:55]
	v_add_f64 v[46:47], v[46:47], v[50:51]
	v_fma_f64 v[48:49], v[7:8], v[13:14], v[48:49]
	v_fma_f64 v[54:55], v[5:6], v[13:14], -v[15:16]
	ds_load_b128 v[5:8], v41 offset:1664
	s_waitcnt vmcnt(8) lgkmcnt(1)
	v_mul_f64 v[50:51], v[1:2], v[19:20]
	v_mul_f64 v[19:20], v[3:4], v[19:20]
	scratch_load_b128 v[13:16], off, off offset:864
	v_add_f64 v[44:45], v[44:45], v[56:57]
	v_add_f64 v[46:47], v[46:47], v[52:53]
	s_waitcnt vmcnt(8) lgkmcnt(0)
	v_mul_f64 v[52:53], v[5:6], v[23:24]
	v_mul_f64 v[23:24], v[7:8], v[23:24]
	v_fma_f64 v[50:51], v[3:4], v[17:18], v[50:51]
	v_fma_f64 v[56:57], v[1:2], v[17:18], -v[19:20]
	scratch_load_b128 v[17:20], off, off offset:880
	ds_load_b128 v[1:4], v41 offset:1680
	;; [unrolled: 18-line block ×3, first 2 shown]
	v_add_f64 v[44:45], v[44:45], v[54:55]
	v_add_f64 v[46:47], v[46:47], v[52:53]
	v_fma_f64 v[50:51], v[7:8], v[29:30], v[50:51]
	v_fma_f64 v[29:30], v[5:6], v[29:30], -v[31:32]
	ds_load_b128 v[5:8], v41 offset:1728
	s_waitcnt vmcnt(8) lgkmcnt(1)
	v_mul_f64 v[52:53], v[1:2], v[35:36]
	v_mul_f64 v[35:36], v[3:4], v[35:36]
	v_add_f64 v[31:32], v[44:45], v[56:57]
	v_add_f64 v[44:45], v[46:47], v[48:49]
	s_waitcnt vmcnt(7) lgkmcnt(0)
	v_mul_f64 v[46:47], v[5:6], v[185:186]
	v_mul_f64 v[48:49], v[7:8], v[185:186]
	v_fma_f64 v[52:53], v[3:4], v[33:34], v[52:53]
	v_fma_f64 v[33:34], v[1:2], v[33:34], -v[35:36]
	ds_load_b128 v[1:4], v41 offset:1744
	v_add_f64 v[29:30], v[31:32], v[29:30]
	v_add_f64 v[31:32], v[44:45], v[50:51]
	v_fma_f64 v[44:45], v[7:8], v[183:184], v[46:47]
	v_fma_f64 v[46:47], v[5:6], v[183:184], -v[48:49]
	ds_load_b128 v[5:8], v41 offset:1760
	s_waitcnt vmcnt(5) lgkmcnt(0)
	v_mul_f64 v[50:51], v[5:6], v[181:182]
	v_add_f64 v[33:34], v[29:30], v[33:34]
	v_add_f64 v[48:49], v[31:32], v[52:53]
	scratch_load_b128 v[29:32], off, off
	v_mul_f64 v[35:36], v[1:2], v[39:40]
	v_mul_f64 v[39:40], v[3:4], v[39:40]
	;; [unrolled: 1-line block ×3, first 2 shown]
	v_add_f64 v[33:34], v[33:34], v[46:47]
	v_fma_f64 v[46:47], v[7:8], v[179:180], v[50:51]
	v_fma_f64 v[35:36], v[3:4], v[37:38], v[35:36]
	v_fma_f64 v[37:38], v[1:2], v[37:38], -v[39:40]
	v_add_f64 v[39:40], v[48:49], v[44:45]
	ds_load_b128 v[1:4], v41 offset:1776
	v_fma_f64 v[48:49], v[5:6], v[179:180], -v[52:53]
	ds_load_b128 v[5:8], v41 offset:1792
	s_waitcnt vmcnt(5) lgkmcnt(1)
	v_mul_f64 v[44:45], v[1:2], v[11:12]
	v_mul_f64 v[11:12], v[3:4], v[11:12]
	v_add_f64 v[33:34], v[33:34], v[37:38]
	v_add_f64 v[35:36], v[39:40], v[35:36]
	s_waitcnt vmcnt(4) lgkmcnt(0)
	v_mul_f64 v[37:38], v[5:6], v[15:16]
	v_mul_f64 v[15:16], v[7:8], v[15:16]
	v_fma_f64 v[39:40], v[3:4], v[9:10], v[44:45]
	v_fma_f64 v[9:10], v[1:2], v[9:10], -v[11:12]
	ds_load_b128 v[1:4], v41 offset:1808
	v_add_f64 v[11:12], v[33:34], v[48:49]
	v_add_f64 v[33:34], v[35:36], v[46:47]
	v_fma_f64 v[37:38], v[7:8], v[13:14], v[37:38]
	v_fma_f64 v[13:14], v[5:6], v[13:14], -v[15:16]
	ds_load_b128 v[5:8], v41 offset:1824
	s_waitcnt vmcnt(3) lgkmcnt(1)
	v_mul_f64 v[35:36], v[1:2], v[19:20]
	v_mul_f64 v[19:20], v[3:4], v[19:20]
	s_waitcnt vmcnt(2) lgkmcnt(0)
	v_mul_f64 v[15:16], v[5:6], v[23:24]
	v_mul_f64 v[23:24], v[7:8], v[23:24]
	v_add_f64 v[9:10], v[11:12], v[9:10]
	v_add_f64 v[11:12], v[33:34], v[39:40]
	v_fma_f64 v[33:34], v[3:4], v[17:18], v[35:36]
	v_fma_f64 v[17:18], v[1:2], v[17:18], -v[19:20]
	ds_load_b128 v[1:4], v41 offset:1840
	v_fma_f64 v[7:8], v[7:8], v[21:22], v[15:16]
	v_fma_f64 v[5:6], v[5:6], v[21:22], -v[23:24]
	s_waitcnt vmcnt(1) lgkmcnt(0)
	v_mul_f64 v[19:20], v[3:4], v[27:28]
	v_add_f64 v[9:10], v[9:10], v[13:14]
	v_add_f64 v[11:12], v[11:12], v[37:38]
	v_mul_f64 v[13:14], v[1:2], v[27:28]
	s_delay_alu instid0(VALU_DEP_4) | instskip(NEXT) | instid1(VALU_DEP_4)
	v_fma_f64 v[1:2], v[1:2], v[25:26], -v[19:20]
	v_add_f64 v[9:10], v[9:10], v[17:18]
	s_delay_alu instid0(VALU_DEP_4) | instskip(NEXT) | instid1(VALU_DEP_4)
	v_add_f64 v[11:12], v[11:12], v[33:34]
	v_fma_f64 v[3:4], v[3:4], v[25:26], v[13:14]
	s_delay_alu instid0(VALU_DEP_3) | instskip(NEXT) | instid1(VALU_DEP_3)
	v_add_f64 v[5:6], v[9:10], v[5:6]
	v_add_f64 v[7:8], v[11:12], v[7:8]
	s_delay_alu instid0(VALU_DEP_2) | instskip(NEXT) | instid1(VALU_DEP_2)
	v_add_f64 v[1:2], v[5:6], v[1:2]
	v_add_f64 v[3:4], v[7:8], v[3:4]
	s_waitcnt vmcnt(0)
	s_delay_alu instid0(VALU_DEP_2) | instskip(NEXT) | instid1(VALU_DEP_2)
	v_add_f64 v[1:2], v[29:30], -v[1:2]
	v_add_f64 v[3:4], v[31:32], -v[3:4]
	scratch_store_b128 off, v[1:4], off
	s_cbranch_vccz .LBB57_477
; %bb.362:
	v_dual_mov_b32 v1, s16 :: v_dual_mov_b32 v2, s17
	s_load_b64 s[0:1], s[0:1], 0x4
	flat_load_b32 v1, v[1:2] offset:224
	v_bfe_u32 v2, v0, 10, 10
	v_bfe_u32 v0, v0, 20, 10
	s_waitcnt lgkmcnt(0)
	s_lshr_b32 s0, s0, 16
	s_delay_alu instid0(VALU_DEP_2) | instskip(SKIP_1) | instid1(SALU_CYCLE_1)
	v_mul_u32_u24_e32 v2, s1, v2
	s_mul_i32 s0, s0, s1
	v_mul_u32_u24_e32 v3, s0, v158
	s_mov_b32 s0, exec_lo
	s_delay_alu instid0(VALU_DEP_1) | instskip(NEXT) | instid1(VALU_DEP_1)
	v_add3_u32 v0, v3, v2, v0
	v_lshl_add_u32 v0, v0, 4, 0x748
	s_waitcnt vmcnt(0)
	v_cmpx_ne_u32_e32 57, v1
	s_cbranch_execz .LBB57_364
; %bb.363:
	v_lshl_add_u32 v9, v1, 4, 0
	s_clause 0x1
	scratch_load_b128 v[1:4], v160, off
	scratch_load_b128 v[5:8], v9, off offset:-16
	s_waitcnt vmcnt(1)
	ds_store_2addr_b64 v0, v[1:2], v[3:4] offset1:1
	s_waitcnt vmcnt(0)
	s_clause 0x1
	scratch_store_b128 v160, v[5:8], off
	scratch_store_b128 v9, v[1:4], off offset:-16
.LBB57_364:
	s_or_b32 exec_lo, exec_lo, s0
	v_dual_mov_b32 v1, s16 :: v_dual_mov_b32 v2, s17
	s_mov_b32 s0, exec_lo
	flat_load_b32 v1, v[1:2] offset:220
	s_waitcnt vmcnt(0) lgkmcnt(0)
	v_cmpx_ne_u32_e32 56, v1
	s_cbranch_execz .LBB57_366
; %bb.365:
	v_lshl_add_u32 v9, v1, 4, 0
	s_clause 0x1
	scratch_load_b128 v[1:4], v161, off
	scratch_load_b128 v[5:8], v9, off offset:-16
	s_waitcnt vmcnt(1)
	ds_store_2addr_b64 v0, v[1:2], v[3:4] offset1:1
	s_waitcnt vmcnt(0)
	s_clause 0x1
	scratch_store_b128 v161, v[5:8], off
	scratch_store_b128 v9, v[1:4], off offset:-16
.LBB57_366:
	s_or_b32 exec_lo, exec_lo, s0
	v_dual_mov_b32 v1, s16 :: v_dual_mov_b32 v2, s17
	s_mov_b32 s0, exec_lo
	flat_load_b32 v1, v[1:2] offset:216
	s_waitcnt vmcnt(0) lgkmcnt(0)
	;; [unrolled: 19-line block ×18, first 2 shown]
	v_cmpx_ne_u32_e32 39, v1
	s_cbranch_execz .LBB57_400
; %bb.399:
	scratch_load_b32 v10, off, off offset:928 ; 4-byte Folded Reload
	v_lshl_add_u32 v9, v1, 4, 0
	s_waitcnt vmcnt(0)
	s_clause 0x1
	scratch_load_b128 v[1:4], v10, off
	scratch_load_b128 v[5:8], v9, off offset:-16
	s_waitcnt vmcnt(1)
	ds_store_2addr_b64 v0, v[1:2], v[3:4] offset1:1
	s_waitcnt vmcnt(0)
	s_clause 0x1
	scratch_store_b128 v10, v[5:8], off
	scratch_store_b128 v9, v[1:4], off offset:-16
.LBB57_400:
	s_or_b32 exec_lo, exec_lo, s0
	v_dual_mov_b32 v1, s16 :: v_dual_mov_b32 v2, s17
	s_mov_b32 s0, exec_lo
	flat_load_b32 v1, v[1:2] offset:148
	s_waitcnt vmcnt(0) lgkmcnt(0)
	v_cmpx_ne_u32_e32 38, v1
	s_cbranch_execz .LBB57_402
; %bb.401:
	scratch_load_b32 v10, off, off offset:932 ; 4-byte Folded Reload
	v_lshl_add_u32 v9, v1, 4, 0
	s_waitcnt vmcnt(0)
	s_clause 0x1
	scratch_load_b128 v[1:4], v10, off
	scratch_load_b128 v[5:8], v9, off offset:-16
	s_waitcnt vmcnt(1)
	ds_store_2addr_b64 v0, v[1:2], v[3:4] offset1:1
	s_waitcnt vmcnt(0)
	s_clause 0x1
	scratch_store_b128 v10, v[5:8], off
	scratch_store_b128 v9, v[1:4], off offset:-16
.LBB57_402:
	s_or_b32 exec_lo, exec_lo, s0
	v_dual_mov_b32 v1, s16 :: v_dual_mov_b32 v2, s17
	s_mov_b32 s0, exec_lo
	flat_load_b32 v1, v[1:2] offset:144
	s_waitcnt vmcnt(0) lgkmcnt(0)
	;; [unrolled: 21-line block ×17, first 2 shown]
	v_cmpx_ne_u32_e32 22, v1
	s_cbranch_execz .LBB57_434
; %bb.433:
	v_lshl_add_u32 v9, v1, 4, 0
	s_clause 0x1
	scratch_load_b128 v[1:4], v195, off
	scratch_load_b128 v[5:8], v9, off offset:-16
	s_waitcnt vmcnt(1)
	ds_store_2addr_b64 v0, v[1:2], v[3:4] offset1:1
	s_waitcnt vmcnt(0)
	s_clause 0x1
	scratch_store_b128 v195, v[5:8], off
	scratch_store_b128 v9, v[1:4], off offset:-16
.LBB57_434:
	s_or_b32 exec_lo, exec_lo, s0
	v_dual_mov_b32 v1, s16 :: v_dual_mov_b32 v2, s17
	s_mov_b32 s0, exec_lo
	flat_load_b32 v1, v[1:2] offset:80
	s_waitcnt vmcnt(0) lgkmcnt(0)
	v_cmpx_ne_u32_e32 21, v1
	s_cbranch_execz .LBB57_436
; %bb.435:
	v_lshl_add_u32 v9, v1, 4, 0
	s_clause 0x1
	scratch_load_b128 v[1:4], v196, off
	scratch_load_b128 v[5:8], v9, off offset:-16
	s_waitcnt vmcnt(1)
	ds_store_2addr_b64 v0, v[1:2], v[3:4] offset1:1
	s_waitcnt vmcnt(0)
	s_clause 0x1
	scratch_store_b128 v196, v[5:8], off
	scratch_store_b128 v9, v[1:4], off offset:-16
.LBB57_436:
	s_or_b32 exec_lo, exec_lo, s0
	v_dual_mov_b32 v1, s16 :: v_dual_mov_b32 v2, s17
	s_mov_b32 s0, exec_lo
	flat_load_b32 v1, v[1:2] offset:76
	s_waitcnt vmcnt(0) lgkmcnt(0)
	;; [unrolled: 19-line block ×20, first 2 shown]
	v_cmpx_ne_u32_e32 2, v1
	s_cbranch_execz .LBB57_474
; %bb.473:
	v_lshl_add_u32 v9, v1, 4, 0
	s_clause 0x1
	scratch_load_b128 v[1:4], v215, off
	scratch_load_b128 v[5:8], v9, off offset:-16
	s_waitcnt vmcnt(1)
	ds_store_2addr_b64 v0, v[1:2], v[3:4] offset1:1
	s_waitcnt vmcnt(0)
	s_clause 0x1
	scratch_store_b128 v215, v[5:8], off
	scratch_store_b128 v9, v[1:4], off offset:-16
.LBB57_474:
	s_or_b32 exec_lo, exec_lo, s0
	v_dual_mov_b32 v1, s16 :: v_dual_mov_b32 v2, s17
	s_mov_b32 s0, exec_lo
	flat_load_b32 v1, v[1:2]
	s_waitcnt vmcnt(0) lgkmcnt(0)
	v_cmpx_ne_u32_e32 1, v1
	s_cbranch_execz .LBB57_476
; %bb.475:
	v_lshl_add_u32 v9, v1, 4, 0
	scratch_load_b128 v[1:4], off, off
	scratch_load_b128 v[5:8], v9, off offset:-16
	s_waitcnt vmcnt(1)
	ds_store_2addr_b64 v0, v[1:2], v[3:4] offset1:1
	s_waitcnt vmcnt(0)
	scratch_store_b128 off, v[5:8], off
	scratch_store_b128 v9, v[1:4], off offset:-16
.LBB57_476:
	s_or_b32 exec_lo, exec_lo, s0
.LBB57_477:
	scratch_load_b128 v[0:3], off, off
	s_clause 0x12
	scratch_load_b128 v[4:7], v215, off
	scratch_load_b128 v[8:11], v214, off
	;; [unrolled: 1-line block ×19, first 2 shown]
	s_waitcnt vmcnt(19)
	global_store_b128 v[42:43], v[0:3], off
	s_clause 0x1
	scratch_load_b128 v[0:3], v196, off
	scratch_load_b128 v[40:43], v195, off
	scratch_load_b64 v[44:45], off, off offset:1004 ; 8-byte Folded Reload
	s_waitcnt vmcnt(0)
	global_store_b128 v[44:45], v[4:7], off
	scratch_load_b32 v4, off, off offset:988 ; 4-byte Folded Reload
	s_waitcnt vmcnt(0)
	scratch_load_b128 v[4:7], v4, off
	scratch_load_b32 v44, off, off offset:992 ; 4-byte Folded Reload
	s_waitcnt vmcnt(0)
	scratch_load_b128 v[227:230], v44, off
	scratch_load_b64 v[44:45], off, off offset:996 ; 8-byte Folded Reload
	s_waitcnt vmcnt(0)
	global_store_b128 v[44:45], v[8:11], off
	scratch_load_b32 v8, off, off offset:984 ; 4-byte Folded Reload
	s_waitcnt vmcnt(0)
	scratch_load_b128 v[8:11], v8, off
	scratch_load_b32 v44, off, off offset:980 ; 4-byte Folded Reload
	s_waitcnt vmcnt(0)
	;; [unrolled: 9-line block ×7, first 2 shown]
	scratch_load_b128 v[239:242], v56, off
	scratch_load_b64 v[56:57], off, off offset:1044 ; 8-byte Folded Reload
	s_waitcnt vmcnt(0)
	global_store_b128 v[56:57], v[32:35], off
	scratch_load_b32 v32, off, off offset:936 ; 4-byte Folded Reload
	s_waitcnt vmcnt(0)
	scratch_load_b128 v[32:35], v32, off
	scratch_load_b32 v56, off, off offset:932 ; 4-byte Folded Reload
	global_store_b128 v[62:63], v[36:39], off
	scratch_load_b32 v36, off, off offset:928 ; 4-byte Folded Reload
	s_waitcnt vmcnt(1)
	scratch_load_b128 v[56:59], v56, off
	s_waitcnt vmcnt(1)
	s_clause 0x1
	scratch_load_b128 v[36:39], v36, off
	scratch_load_b128 v[243:246], v222, off
	global_store_b128 v[60:61], v[179:182], off
	s_clause 0x1
	scratch_load_b128 v[60:63], v221, off
	scratch_load_b128 v[179:182], v220, off
	global_store_b128 v[66:67], v[183:186], off
	;; [unrolled: 4-line block ×9, first 2 shown]
	s_clause 0x1
	scratch_load_b128 v[76:79], v160, off
	scratch_load_b128 v[158:161], v159, off
	s_clause 0x11
	global_store_b128 v[80:81], v[197:200], off
	global_store_b128 v[82:83], v[0:3], off
	;; [unrolled: 1-line block ×18, first 2 shown]
	s_waitcnt vmcnt(20)
	global_store_b128 v[118:119], v[56:59], off
	s_waitcnt vmcnt(19)
	global_store_b128 v[120:121], v[36:39], off
	;; [unrolled: 2-line block ×21, first 2 shown]
	s_endpgm
	.section	.rodata,"a",@progbits
	.p2align	6, 0x0
	.amdhsa_kernel _ZN9rocsolver6v33100L18getri_kernel_smallILi58E19rocblas_complex_numIdEPS3_EEvT1_iilPiilS6_bb
		.amdhsa_group_segment_fixed_size 2888
		.amdhsa_private_segment_fixed_size 1072
		.amdhsa_kernarg_size 60
		.amdhsa_user_sgpr_count 15
		.amdhsa_user_sgpr_dispatch_ptr 1
		.amdhsa_user_sgpr_queue_ptr 0
		.amdhsa_user_sgpr_kernarg_segment_ptr 1
		.amdhsa_user_sgpr_dispatch_id 0
		.amdhsa_user_sgpr_private_segment_size 0
		.amdhsa_wavefront_size32 1
		.amdhsa_uses_dynamic_stack 0
		.amdhsa_enable_private_segment 1
		.amdhsa_system_sgpr_workgroup_id_x 1
		.amdhsa_system_sgpr_workgroup_id_y 0
		.amdhsa_system_sgpr_workgroup_id_z 0
		.amdhsa_system_sgpr_workgroup_info 0
		.amdhsa_system_vgpr_workitem_id 2
		.amdhsa_next_free_vgpr 256
		.amdhsa_next_free_sgpr 64
		.amdhsa_reserve_vcc 1
		.amdhsa_float_round_mode_32 0
		.amdhsa_float_round_mode_16_64 0
		.amdhsa_float_denorm_mode_32 3
		.amdhsa_float_denorm_mode_16_64 3
		.amdhsa_dx10_clamp 1
		.amdhsa_ieee_mode 1
		.amdhsa_fp16_overflow 0
		.amdhsa_workgroup_processor_mode 1
		.amdhsa_memory_ordered 1
		.amdhsa_forward_progress 0
		.amdhsa_shared_vgpr_count 0
		.amdhsa_exception_fp_ieee_invalid_op 0
		.amdhsa_exception_fp_denorm_src 0
		.amdhsa_exception_fp_ieee_div_zero 0
		.amdhsa_exception_fp_ieee_overflow 0
		.amdhsa_exception_fp_ieee_underflow 0
		.amdhsa_exception_fp_ieee_inexact 0
		.amdhsa_exception_int_div_zero 0
	.end_amdhsa_kernel
	.section	.text._ZN9rocsolver6v33100L18getri_kernel_smallILi58E19rocblas_complex_numIdEPS3_EEvT1_iilPiilS6_bb,"axG",@progbits,_ZN9rocsolver6v33100L18getri_kernel_smallILi58E19rocblas_complex_numIdEPS3_EEvT1_iilPiilS6_bb,comdat
.Lfunc_end57:
	.size	_ZN9rocsolver6v33100L18getri_kernel_smallILi58E19rocblas_complex_numIdEPS3_EEvT1_iilPiilS6_bb, .Lfunc_end57-_ZN9rocsolver6v33100L18getri_kernel_smallILi58E19rocblas_complex_numIdEPS3_EEvT1_iilPiilS6_bb
                                        ; -- End function
	.section	.AMDGPU.csdata,"",@progbits
; Kernel info:
; codeLenInByte = 149444
; NumSgprs: 66
; NumVgprs: 256
; ScratchSize: 1072
; MemoryBound: 0
; FloatMode: 240
; IeeeMode: 1
; LDSByteSize: 2888 bytes/workgroup (compile time only)
; SGPRBlocks: 8
; VGPRBlocks: 31
; NumSGPRsForWavesPerEU: 66
; NumVGPRsForWavesPerEU: 256
; Occupancy: 5
; WaveLimiterHint : 1
; COMPUTE_PGM_RSRC2:SCRATCH_EN: 1
; COMPUTE_PGM_RSRC2:USER_SGPR: 15
; COMPUTE_PGM_RSRC2:TRAP_HANDLER: 0
; COMPUTE_PGM_RSRC2:TGID_X_EN: 1
; COMPUTE_PGM_RSRC2:TGID_Y_EN: 0
; COMPUTE_PGM_RSRC2:TGID_Z_EN: 0
; COMPUTE_PGM_RSRC2:TIDIG_COMP_CNT: 2
	.section	.text._ZN9rocsolver6v33100L18getri_kernel_smallILi59E19rocblas_complex_numIdEPS3_EEvT1_iilPiilS6_bb,"axG",@progbits,_ZN9rocsolver6v33100L18getri_kernel_smallILi59E19rocblas_complex_numIdEPS3_EEvT1_iilPiilS6_bb,comdat
	.globl	_ZN9rocsolver6v33100L18getri_kernel_smallILi59E19rocblas_complex_numIdEPS3_EEvT1_iilPiilS6_bb ; -- Begin function _ZN9rocsolver6v33100L18getri_kernel_smallILi59E19rocblas_complex_numIdEPS3_EEvT1_iilPiilS6_bb
	.p2align	8
	.type	_ZN9rocsolver6v33100L18getri_kernel_smallILi59E19rocblas_complex_numIdEPS3_EEvT1_iilPiilS6_bb,@function
_ZN9rocsolver6v33100L18getri_kernel_smallILi59E19rocblas_complex_numIdEPS3_EEvT1_iilPiilS6_bb: ; @_ZN9rocsolver6v33100L18getri_kernel_smallILi59E19rocblas_complex_numIdEPS3_EEvT1_iilPiilS6_bb
; %bb.0:
	v_and_b32_e32 v164, 0x3ff, v0
	s_mov_b32 s4, exec_lo
	s_delay_alu instid0(VALU_DEP_1)
	v_cmpx_gt_u32_e32 59, v164
	s_cbranch_execz .LBB58_250
; %bb.1:
	s_mov_b32 s18, s15
	s_clause 0x2
	s_load_b32 s21, s[2:3], 0x38
	s_load_b128 s[12:15], s[2:3], 0x10
	s_load_b128 s[4:7], s[2:3], 0x28
                                        ; implicit-def: $sgpr16_sgpr17
	s_waitcnt lgkmcnt(0)
	s_bitcmp1_b32 s21, 8
	s_cselect_b32 s20, -1, 0
	s_bfe_u32 s8, s21, 0x10008
	s_ashr_i32 s19, s18, 31
	s_cmp_eq_u32 s8, 0
	s_cbranch_scc1 .LBB58_3
; %bb.2:
	s_load_b32 s8, s[2:3], 0x20
	s_mul_i32 s5, s18, s5
	s_mul_hi_u32 s9, s18, s4
	s_mul_i32 s10, s19, s4
	s_add_i32 s5, s9, s5
	s_mul_i32 s4, s18, s4
	s_add_i32 s5, s5, s10
	s_delay_alu instid0(SALU_CYCLE_1)
	s_lshl_b64 s[4:5], s[4:5], 2
	s_waitcnt lgkmcnt(0)
	s_ashr_i32 s9, s8, 31
	s_add_u32 s10, s14, s4
	s_addc_u32 s11, s15, s5
	s_lshl_b64 s[4:5], s[8:9], 2
	s_delay_alu instid0(SALU_CYCLE_1)
	s_add_u32 s16, s10, s4
	s_addc_u32 s17, s11, s5
.LBB58_3:
	s_load_b128 s[8:11], s[2:3], 0x0
	s_mul_i32 s2, s18, s13
	s_mul_hi_u32 s3, s18, s12
	s_mul_i32 s4, s19, s12
	s_add_i32 s3, s3, s2
	s_mul_i32 s2, s18, s12
	s_add_i32 s3, s3, s4
	v_lshlrev_b32_e32 v45, 4, v164
	s_lshl_b64 s[2:3], s[2:3], 4
	s_movk_i32 s15, 0x100
	s_movk_i32 s22, 0x110
	;; [unrolled: 1-line block ×11, first 2 shown]
	s_waitcnt lgkmcnt(0)
	v_add3_u32 v5, s11, s11, v164
	s_ashr_i32 s5, s10, 31
	s_mov_b32 s4, s10
	s_add_u32 s8, s8, s2
	s_addc_u32 s9, s9, s3
	s_lshl_b64 s[2:3], s[4:5], 4
	v_add_nc_u32_e32 v7, s11, v5
	s_add_u32 s2, s8, s2
	s_addc_u32 s3, s9, s3
	v_add_co_u32 v46, s8, s2, v45
	s_mov_b32 s4, s11
	s_ashr_i32 s5, s11, 31
	v_ashrrev_i32_e32 v6, 31, v5
	v_add_co_ci_u32_e64 v47, null, s3, 0, s8
	v_add_nc_u32_e32 v9, s11, v7
	s_lshl_b64 s[4:5], s[4:5], 4
	v_ashrrev_i32_e32 v8, 31, v7
	v_add_co_u32 v16, vcc_lo, v46, s4
	v_lshlrev_b64 v[11:12], 4, v[5:6]
	v_add_co_ci_u32_e32 v17, vcc_lo, s5, v47, vcc_lo
	v_add_nc_u32_e32 v15, s11, v9
	v_lshlrev_b64 v[13:14], 4, v[7:8]
	v_ashrrev_i32_e32 v10, 31, v9
	s_clause 0x1
	global_load_b128 v[1:4], v45, s[2:3]
	global_load_b128 v[5:8], v[16:17], off
	scratch_store_b64 off, v[16:17], off offset:1008 ; 8-byte Folded Spill
	v_add_co_u32 v17, vcc_lo, s2, v11
	v_ashrrev_i32_e32 v16, 31, v15
	v_add_nc_u32_e32 v11, s11, v15
	v_add_co_ci_u32_e32 v18, vcc_lo, s3, v12, vcc_lo
	v_lshlrev_b64 v[9:10], 4, v[9:10]
	v_add_co_u32 v19, vcc_lo, s2, v13
	v_add_co_ci_u32_e32 v20, vcc_lo, s3, v14, vcc_lo
	v_lshlrev_b64 v[13:14], 4, v[15:16]
	v_ashrrev_i32_e32 v12, 31, v11
	v_add_nc_u32_e32 v15, s11, v11
	v_add_co_u32 v21, vcc_lo, s2, v9
	v_add_co_ci_u32_e32 v22, vcc_lo, s3, v10, vcc_lo
	s_delay_alu instid0(VALU_DEP_4) | instskip(NEXT) | instid1(VALU_DEP_4)
	v_lshlrev_b64 v[9:10], 4, v[11:12]
	v_ashrrev_i32_e32 v16, 31, v15
	v_add_nc_u32_e32 v11, s11, v15
	v_add_co_u32 v23, vcc_lo, s2, v13
	v_add_co_ci_u32_e32 v24, vcc_lo, s3, v14, vcc_lo
	s_delay_alu instid0(VALU_DEP_4) | instskip(NEXT) | instid1(VALU_DEP_4)
	;; [unrolled: 6-line block ×10, first 2 shown]
	v_lshlrev_b64 v[13:14], 4, v[15:16]
	v_ashrrev_i32_e32 v12, 31, v11
	v_add_nc_u32_e32 v15, s11, v11
	s_clause 0x1
	global_load_b128 v[134:137], v[17:18], off
	global_load_b128 v[138:141], v[19:20], off
	v_add_co_u32 v74, vcc_lo, s2, v9
	v_add_co_ci_u32_e32 v75, vcc_lo, s3, v10, vcc_lo
	v_lshlrev_b64 v[9:10], 4, v[11:12]
	v_ashrrev_i32_e32 v16, 31, v15
	v_add_nc_u32_e32 v11, s11, v15
	s_clause 0x3
	scratch_store_b64 off, v[17:18], off offset:1016
	scratch_store_b64 off, v[19:20], off offset:1024
	;; [unrolled: 1-line block ×4, first 2 shown]
	s_clause 0x1
	global_load_b128 v[142:145], v[21:22], off
	global_load_b128 v[146:149], v[23:24], off
	v_add_co_u32 v17, vcc_lo, s2, v13
	v_add_co_ci_u32_e32 v18, vcc_lo, s3, v14, vcc_lo
	v_lshlrev_b64 v[13:14], 4, v[15:16]
	v_ashrrev_i32_e32 v12, 31, v11
	v_add_nc_u32_e32 v15, s11, v11
	v_add_co_u32 v78, vcc_lo, s2, v9
	s_clause 0x1
	global_load_b128 v[150:153], v[25:26], off
	global_load_b128 v[154:157], v[253:254], off
	v_add_co_ci_u32_e32 v79, vcc_lo, s3, v10, vcc_lo
	v_lshlrev_b64 v[9:10], 4, v[11:12]
	v_add_nc_u32_e32 v11, s11, v15
	v_ashrrev_i32_e32 v16, 31, v15
	v_add_co_u32 v19, vcc_lo, s2, v13
	v_add_co_ci_u32_e32 v20, vcc_lo, s3, v14, vcc_lo
	s_delay_alu instid0(VALU_DEP_4) | instskip(NEXT) | instid1(VALU_DEP_4)
	v_ashrrev_i32_e32 v12, 31, v11
	v_lshlrev_b64 v[13:14], 4, v[15:16]
	v_add_nc_u32_e32 v15, s11, v11
	v_add_co_u32 v82, vcc_lo, s2, v9
	v_add_co_ci_u32_e32 v83, vcc_lo, s3, v10, vcc_lo
	v_lshlrev_b64 v[9:10], 4, v[11:12]
	s_delay_alu instid0(VALU_DEP_4) | instskip(SKIP_2) | instid1(VALU_DEP_4)
	v_ashrrev_i32_e32 v16, 31, v15
	v_add_co_u32 v84, vcc_lo, s2, v13
	v_add_co_ci_u32_e32 v85, vcc_lo, s3, v14, vcc_lo
	v_add_co_u32 v86, vcc_lo, s2, v9
	v_add_nc_u32_e32 v9, s11, v15
	s_clause 0x1
	scratch_store_b64 off, v[25:26], off offset:1048
	scratch_store_b64 off, v[27:28], off offset:1056
	s_clause 0x1
	global_load_b128 v[158:161], v[27:28], off
	global_load_b128 v[165:168], v[64:65], off
	v_lshlrev_b64 v[11:12], 4, v[15:16]
	v_add_co_ci_u32_e32 v87, vcc_lo, s3, v10, vcc_lo
	v_ashrrev_i32_e32 v10, 31, v9
	s_clause 0x2
	global_load_b128 v[169:172], v[66:67], off
	global_load_b128 v[173:176], v[68:69], off
	;; [unrolled: 1-line block ×3, first 2 shown]
	v_add_co_u32 v88, vcc_lo, s2, v11
	v_add_nc_u32_e32 v11, s11, v9
	v_lshlrev_b64 v[9:10], 4, v[9:10]
	v_add_co_ci_u32_e32 v89, vcc_lo, s3, v12, vcc_lo
	s_clause 0x1
	global_load_b128 v[181:184], v[72:73], off
	global_load_b128 v[189:192], v[17:18], off
	v_ashrrev_i32_e32 v12, 31, v11
	v_add_co_u32 v90, vcc_lo, s2, v9
	v_add_co_ci_u32_e32 v91, vcc_lo, s3, v10, vcc_lo
	s_delay_alu instid0(VALU_DEP_3)
	v_lshlrev_b64 v[9:10], 4, v[11:12]
	v_add_nc_u32_e32 v11, s11, v11
	s_clause 0x1
	global_load_b128 v[185:188], v[74:75], off
	global_load_b128 v[193:196], v[78:79], off
	s_clause 0x1
	scratch_store_b64 off, v[17:18], off offset:1064
	scratch_store_b64 off, v[19:20], off offset:1072
	v_add_co_u32 v92, vcc_lo, s2, v9
	v_add_nc_u32_e32 v9, s11, v11
	v_ashrrev_i32_e32 v12, 31, v11
	v_add_co_ci_u32_e32 v93, vcc_lo, s3, v10, vcc_lo
	s_clause 0x4
	global_load_b128 v[197:200], v[19:20], off
	global_load_b128 v[201:204], v[82:83], off
	;; [unrolled: 1-line block ×5, first 2 shown]
	v_ashrrev_i32_e32 v10, 31, v9
	v_lshlrev_b64 v[11:12], 4, v[11:12]
	s_clause 0x1
	global_load_b128 v[217:220], v[90:91], off
	global_load_b128 v[221:224], v[92:93], off
	s_movk_i32 s34, 0x1c0
	v_lshlrev_b64 v[13:14], 4, v[9:10]
	v_add_nc_u32_e32 v9, s11, v9
	v_add_co_u32 v94, vcc_lo, s2, v11
	v_add_co_ci_u32_e32 v95, vcc_lo, s3, v12, vcc_lo
	s_delay_alu instid0(VALU_DEP_4)
	v_add_co_u32 v96, vcc_lo, s2, v13
	v_add_co_ci_u32_e32 v97, vcc_lo, s3, v14, vcc_lo
	s_clause 0x1
	global_load_b128 v[225:228], v[94:95], off
	global_load_b128 v[229:232], v[96:97], off
	v_add_nc_u32_e32 v11, s11, v9
	v_ashrrev_i32_e32 v10, 31, v9
	s_movk_i32 s35, 0x1d0
	s_movk_i32 s36, 0x1e0
	;; [unrolled: 1-line block ×3, first 2 shown]
	v_add_nc_u32_e32 v13, s11, v11
	v_ashrrev_i32_e32 v12, 31, v11
	v_lshlrev_b64 v[9:10], 4, v[9:10]
	s_movk_i32 s38, 0x200
	s_movk_i32 s4, 0x70
	v_add_nc_u32_e32 v15, s11, v13
	v_ashrrev_i32_e32 v14, 31, v13
	v_lshlrev_b64 v[11:12], 4, v[11:12]
	v_add_co_u32 v98, vcc_lo, s2, v9
	s_delay_alu instid0(VALU_DEP_4) | instskip(SKIP_3) | instid1(VALU_DEP_4)
	v_add_nc_u32_e32 v17, s11, v15
	v_ashrrev_i32_e32 v16, 31, v15
	v_lshlrev_b64 v[13:14], 4, v[13:14]
	v_add_co_ci_u32_e32 v99, vcc_lo, s3, v10, vcc_lo
	v_add_nc_u32_e32 v21, s11, v17
	v_ashrrev_i32_e32 v18, 31, v17
	v_add_co_u32 v100, vcc_lo, s2, v11
	v_lshlrev_b64 v[15:16], 4, v[15:16]
	s_delay_alu instid0(VALU_DEP_4) | instskip(SKIP_3) | instid1(VALU_DEP_4)
	v_add_nc_u32_e32 v25, s11, v21
	v_ashrrev_i32_e32 v22, 31, v21
	v_add_co_ci_u32_e32 v101, vcc_lo, s3, v12, vcc_lo
	v_add_co_u32 v102, vcc_lo, s2, v13
	v_add_nc_u32_e32 v29, s11, v25
	v_lshlrev_b64 v[23:24], 4, v[17:18]
	v_ashrrev_i32_e32 v26, 31, v25
	v_add_co_ci_u32_e32 v103, vcc_lo, s3, v14, vcc_lo
	s_delay_alu instid0(VALU_DEP_4) | instskip(SKIP_3) | instid1(VALU_DEP_4)
	v_add_nc_u32_e32 v33, s11, v29
	v_add_co_u32 v104, vcc_lo, s2, v15
	v_lshlrev_b64 v[21:22], 4, v[21:22]
	v_ashrrev_i32_e32 v30, 31, v29
	v_add_nc_u32_e32 v37, s11, v33
	v_add_co_ci_u32_e32 v105, vcc_lo, s3, v16, vcc_lo
	v_add_co_u32 v106, vcc_lo, s2, v23
	v_lshlrev_b64 v[31:32], 4, v[25:26]
	s_delay_alu instid0(VALU_DEP_4)
	v_add_nc_u32_e32 v41, s11, v37
	v_ashrrev_i32_e32 v34, 31, v33
	v_add_co_ci_u32_e32 v107, vcc_lo, s3, v24, vcc_lo
	v_add_co_u32 v108, vcc_lo, s2, v21
	v_lshlrev_b64 v[29:30], 4, v[29:30]
	v_ashrrev_i32_e32 v38, 31, v37
	v_add_co_ci_u32_e32 v109, vcc_lo, s3, v22, vcc_lo
	v_add_nc_u32_e32 v48, s11, v41
	v_add_co_u32 v110, vcc_lo, s2, v31
	v_lshlrev_b64 v[39:40], 4, v[33:34]
	v_ashrrev_i32_e32 v42, 31, v41
	v_add_co_ci_u32_e32 v111, vcc_lo, s3, v32, vcc_lo
	v_add_co_u32 v112, vcc_lo, s2, v29
	v_lshlrev_b64 v[37:38], 4, v[37:38]
	v_add_nc_u32_e32 v52, s11, v48
	v_add_co_ci_u32_e32 v113, vcc_lo, s3, v30, vcc_lo
	v_add_co_u32 v114, vcc_lo, s2, v39
	v_lshlrev_b64 v[50:51], 4, v[41:42]
	v_ashrrev_i32_e32 v49, 31, v48
	v_add_co_ci_u32_e32 v115, vcc_lo, s3, v40, vcc_lo
	v_add_co_u32 v116, vcc_lo, s2, v37
	v_ashrrev_i32_e32 v53, 31, v52
	v_add_nc_u32_e32 v54, s11, v52
	v_add_co_ci_u32_e32 v117, vcc_lo, s3, v38, vcc_lo
	v_lshlrev_b64 v[48:49], 4, v[48:49]
	v_add_co_u32 v118, vcc_lo, s2, v50
	v_add_co_ci_u32_e32 v119, vcc_lo, s3, v51, vcc_lo
	v_lshlrev_b64 v[50:51], 4, v[52:53]
	v_add_nc_u32_e32 v52, s11, v54
	v_ashrrev_i32_e32 v55, 31, v54
	v_add_co_u32 v120, vcc_lo, s2, v48
	v_add_co_ci_u32_e32 v121, vcc_lo, s3, v49, vcc_lo
	s_delay_alu instid0(VALU_DEP_4) | instskip(NEXT) | instid1(VALU_DEP_4)
	v_ashrrev_i32_e32 v53, 31, v52
	v_lshlrev_b64 v[48:49], 4, v[54:55]
	v_add_nc_u32_e32 v54, s11, v52
	v_add_co_u32 v122, vcc_lo, s2, v50
	v_add_co_ci_u32_e32 v123, vcc_lo, s3, v51, vcc_lo
	v_lshlrev_b64 v[50:51], 4, v[52:53]
	s_delay_alu instid0(VALU_DEP_4) | instskip(SKIP_3) | instid1(VALU_DEP_4)
	v_ashrrev_i32_e32 v55, 31, v54
	v_add_nc_u32_e32 v52, s11, v54
	v_add_co_u32 v124, vcc_lo, s2, v48
	v_add_co_ci_u32_e32 v125, vcc_lo, s3, v49, vcc_lo
	v_lshlrev_b64 v[48:49], 4, v[54:55]
	s_delay_alu instid0(VALU_DEP_4) | instskip(SKIP_3) | instid1(VALU_DEP_4)
	v_ashrrev_i32_e32 v53, 31, v52
	;; [unrolled: 6-line block ×3, first 2 shown]
	v_add_nc_u32_e32 v52, s11, v54
	v_add_co_u32 v128, vcc_lo, s2, v48
	v_add_co_ci_u32_e32 v129, vcc_lo, s3, v49, vcc_lo
	v_lshlrev_b64 v[48:49], 4, v[54:55]
	s_delay_alu instid0(VALU_DEP_4)
	v_add_nc_u32_e32 v54, s11, v52
	global_load_b128 v[9:12], v[98:99], off
	v_ashrrev_i32_e32 v53, 31, v52
	s_clause 0x3
	global_load_b128 v[17:20], v[100:101], off
	global_load_b128 v[13:16], v[102:103], off
	;; [unrolled: 1-line block ×4, first 2 shown]
	v_add_nc_u32_e32 v56, s11, v54
	v_ashrrev_i32_e32 v55, 31, v54
	v_add_co_u32 v130, vcc_lo, s2, v50
	v_lshlrev_b64 v[52:53], 4, v[52:53]
	s_delay_alu instid0(VALU_DEP_4) | instskip(SKIP_3) | instid1(VALU_DEP_4)
	v_add_nc_u32_e32 v60, s11, v56
	v_ashrrev_i32_e32 v57, 31, v56
	v_add_co_ci_u32_e32 v131, vcc_lo, s3, v51, vcc_lo
	v_add_co_u32 v132, vcc_lo, s2, v48
	v_add_nc_u32_e32 v76, s11, v60
	v_lshlrev_b64 v[54:55], 4, v[54:55]
	v_ashrrev_i32_e32 v61, 31, v60
	s_clause 0x7
	global_load_b128 v[33:36], v[108:109], off
	global_load_b128 v[29:32], v[110:111], off
	;; [unrolled: 1-line block ×8, first 2 shown]
	s_waitcnt vmcnt(38)
	scratch_store_b128 off, v[1:4], off
	v_add_co_ci_u32_e32 v133, vcc_lo, s3, v49, vcc_lo
	v_add_nc_u32_e32 v80, s11, v76
	s_clause 0x1
	global_load_b128 v[1:4], v[124:125], off
	global_load_b128 v[249:252], v[126:127], off
	s_waitcnt vmcnt(39)
	scratch_store_b128 off, v[5:8], off offset:16
	s_waitcnt vmcnt(38)
	scratch_store_b128 off, v[134:137], off offset:32
	;; [unrolled: 2-line block ×3, first 2 shown]
	v_add_co_u32 v134, vcc_lo, s2, v52
	v_lshlrev_b64 v[62:63], 4, v[56:57]
	v_ashrrev_i32_e32 v77, 31, v76
	v_add_co_ci_u32_e32 v135, vcc_lo, s3, v53, vcc_lo
	v_add_co_u32 v136, vcc_lo, s2, v54
	v_lshlrev_b64 v[60:61], 4, v[60:61]
	v_ashrrev_i32_e32 v81, 31, v80
	s_clause 0x1
	global_load_b128 v[5:8], v[128:129], off
	global_load_b128 v[48:51], v[130:131], off
	v_add_co_ci_u32_e32 v137, vcc_lo, s3, v55, vcc_lo
	s_waitcnt vmcnt(38)
	scratch_store_b128 off, v[142:145], off offset:64
	v_add_nc_u32_e32 v144, s11, v80
	v_add_co_u32 v138, vcc_lo, s2, v62
	v_lshlrev_b64 v[76:77], 4, v[76:77]
	v_add_co_ci_u32_e32 v139, vcc_lo, s3, v63, vcc_lo
	v_add_co_u32 v140, vcc_lo, s2, v60
	v_lshlrev_b64 v[80:81], 4, v[80:81]
	s_waitcnt vmcnt(37)
	scratch_store_b128 off, v[146:149], off offset:80
	s_waitcnt vmcnt(36)
	scratch_store_b128 off, v[150:153], off offset:96
	v_ashrrev_i32_e32 v145, 31, v144
	v_add_nc_u32_e32 v146, s11, v144
	v_add_co_ci_u32_e32 v141, vcc_lo, s3, v61, vcc_lo
	v_add_co_u32 v142, vcc_lo, s2, v76
	v_add_co_ci_u32_e32 v143, vcc_lo, s3, v77, vcc_lo
	v_lshlrev_b64 v[76:77], 4, v[144:145]
	v_add_co_u32 v144, vcc_lo, s2, v80
	v_add_nc_u32_e32 v80, s11, v146
	v_ashrrev_i32_e32 v147, 31, v146
	v_add_co_ci_u32_e32 v145, vcc_lo, s3, v81, vcc_lo
	s_clause 0x1
	global_load_b128 v[52:55], v[132:133], off
	global_load_b128 v[56:59], v[134:135], off
	v_ashrrev_i32_e32 v81, 31, v80
	v_add_nc_u32_e32 v150, s11, v80
	v_lshlrev_b64 v[148:149], 4, v[146:147]
	v_add_co_u32 v146, vcc_lo, s2, v76
	v_add_co_ci_u32_e32 v147, vcc_lo, s3, v77, vcc_lo
	v_lshlrev_b64 v[76:77], 4, v[80:81]
	v_add_nc_u32_e32 v80, s11, v150
	v_ashrrev_i32_e32 v151, 31, v150
	s_waitcnt vmcnt(37)
	scratch_store_b128 off, v[154:157], off offset:112
	s_waitcnt vmcnt(36)
	scratch_store_b128 off, v[158:161], off offset:128
	;; [unrolled: 2-line block ×3, first 2 shown]
	v_add_co_u32 v148, vcc_lo, s2, v148
	v_ashrrev_i32_e32 v81, 31, v80
	v_add_nc_u32_e32 v158, s11, v80
	v_add_co_ci_u32_e32 v149, vcc_lo, s3, v149, vcc_lo
	v_lshlrev_b64 v[152:153], 4, v[150:151]
	v_add_co_u32 v150, vcc_lo, s2, v76
	v_add_co_ci_u32_e32 v151, vcc_lo, s3, v77, vcc_lo
	v_lshlrev_b64 v[76:77], 4, v[80:81]
	v_ashrrev_i32_e32 v159, 31, v158
	v_add_co_u32 v152, vcc_lo, s2, v152
	v_add_co_ci_u32_e32 v153, vcc_lo, s3, v153, vcc_lo
	s_delay_alu instid0(VALU_DEP_3) | instskip(SKIP_3) | instid1(VALU_DEP_4)
	v_lshlrev_b64 v[80:81], 4, v[158:159]
	v_add_co_u32 v154, vcc_lo, s2, v76
	v_add_nc_u32_e32 v76, s11, v158
	v_add_co_ci_u32_e32 v155, vcc_lo, s3, v77, vcc_lo
	v_add_co_u32 v156, vcc_lo, s2, v80
	s_delay_alu instid0(VALU_DEP_3)
	v_add_nc_u32_e32 v80, s11, v76
	v_ashrrev_i32_e32 v77, 31, v76
	v_add_co_ci_u32_e32 v157, vcc_lo, s3, v81, vcc_lo
	s_clause 0x1
	global_load_b128 v[165:168], v[136:137], off
	global_load_b128 v[60:63], v[138:139], off
	v_add_nc_u32_e32 v160, s11, v80
	v_ashrrev_i32_e32 v81, 31, v80
	v_lshlrev_b64 v[76:77], 4, v[76:77]
	s_waitcnt vmcnt(36)
	scratch_store_b128 off, v[169:172], off offset:160
	s_waitcnt vmcnt(35)
	scratch_store_b128 off, v[173:176], off offset:176
	s_waitcnt vmcnt(34)
	scratch_store_b128 off, v[177:180], off offset:192
	v_ashrrev_i32_e32 v161, 31, v160
	v_lshlrev_b64 v[80:81], 4, v[80:81]
	s_clause 0x1
	global_load_b128 v[169:172], v[140:141], off
	global_load_b128 v[173:176], v[142:143], off
	v_add_co_u32 v158, vcc_lo, s2, v76
	v_add_co_ci_u32_e32 v159, vcc_lo, s3, v77, vcc_lo
	v_lshlrev_b64 v[76:77], 4, v[160:161]
	v_add_co_u32 v160, vcc_lo, s2, v80
	v_add_co_ci_u32_e32 v161, vcc_lo, s3, v81, vcc_lo
	s_waitcnt vmcnt(35)
	scratch_store_b128 off, v[181:184], off offset:208
	s_waitcnt vmcnt(33)
	s_clause 0x1
	scratch_store_b128 off, v[185:188], off offset:224
	scratch_store_b128 off, v[189:192], off offset:240
	v_add_co_u32 v162, vcc_lo, s2, v76
	s_clause 0x1
	global_load_b128 v[177:180], v[144:145], off
	global_load_b128 v[181:184], v[146:147], off
	s_waitcnt vmcnt(34)
	scratch_store_b128 off, v[193:196], off offset:256
	s_waitcnt vmcnt(33)
	scratch_store_b128 off, v[197:200], off offset:272
	;; [unrolled: 2-line block ×6, first 2 shown]
	s_clause 0x4
	global_load_b128 v[185:188], v[148:149], off
	global_load_b128 v[189:192], v[150:151], off
	;; [unrolled: 1-line block ×5, first 2 shown]
	v_add_co_ci_u32_e32 v163, vcc_lo, s3, v77, vcc_lo
	global_load_b128 v[205:208], v[158:159], off
	s_waitcnt vmcnt(32)
	scratch_store_b128 off, v[225:228], off offset:384
	s_waitcnt vmcnt(31)
	scratch_store_b128 off, v[229:232], off offset:400
	global_load_b128 v[227:230], v[162:163], off
	s_clause 0x1
	scratch_store_b128 off, v[217:220], off offset:352
	scratch_store_b128 off, v[221:224], off offset:368
	global_load_b128 v[223:226], v[160:161], off
	s_movk_i32 s2, 0x50
	s_movk_i32 s3, 0x60
	s_movk_i32 s5, 0x80
	s_movk_i32 s8, 0x90
	s_movk_i32 s9, 0xa0
	s_movk_i32 s10, 0xb0
	s_movk_i32 s11, 0xc0
	s_movk_i32 s12, 0xd0
	s_movk_i32 s13, 0xe0
	s_movk_i32 s14, 0xf0
	s_movk_i32 s24, 0x130
	s_movk_i32 s39, 0x210
	s_movk_i32 s40, 0x220
	s_movk_i32 s41, 0x230
	s_movk_i32 s42, 0x240
	s_movk_i32 s43, 0x250
	s_movk_i32 s44, 0x260
	s_movk_i32 s45, 0x270
	s_movk_i32 s46, 0x280
	s_movk_i32 s47, 0x290
	s_movk_i32 s48, 0x2a0
	s_movk_i32 s49, 0x2b0
	s_movk_i32 s50, 0x2c0
	s_movk_i32 s51, 0x2d0
	s_movk_i32 s52, 0x2e0
	s_movk_i32 s53, 0x2f0
	s_movk_i32 s54, 0x300
	s_movk_i32 s55, 0x310
	s_movk_i32 s56, 0x320
	s_movk_i32 s57, 0x330
	s_movk_i32 s58, 0x340
	s_movk_i32 s59, 0x350
	s_movk_i32 s60, 0x360
	s_movk_i32 s61, 0x370
	s_movk_i32 s62, 0x380
	s_movk_i32 s63, 0x390
	s_movk_i32 s64, 0x3a0
	v_add_nc_u32_e64 v222, 0, 16
	v_add_nc_u32_e64 v221, 0, 32
	;; [unrolled: 1-line block ×17, first 2 shown]
	s_bitcmp0_b32 s21, 0
	s_mov_b32 s3, -1
	s_waitcnt vmcnt(32)
	scratch_store_b128 off, v[9:12], off offset:416
	s_waitcnt vmcnt(31)
	scratch_store_b128 off, v[17:20], off offset:432
	v_add_nc_u32_e64 v9, s15, 0
	s_waitcnt vmcnt(30)
	scratch_store_b128 off, v[13:16], off offset:448
	s_waitcnt vmcnt(29)
	s_clause 0x1
	scratch_store_b128 off, v[25:28], off offset:464
	scratch_store_b32 off, v9, off offset:1004
	s_waitcnt vmcnt(28)
	scratch_store_b128 off, v[21:24], off offset:480
	v_add_nc_u32_e64 v9, s22, 0
	scratch_store_b32 off, v9, off offset:1000 ; 4-byte Folded Spill
	v_add_nc_u32_e64 v9, s23, 0
	scratch_store_b32 off, v9, off offset:996 ; 4-byte Folded Spill
	v_add_nc_u32_e64 v9, s25, 0
	scratch_store_b32 off, v9, off offset:992 ; 4-byte Folded Spill
	s_waitcnt vmcnt(27)
	scratch_store_b128 off, v[33:36], off offset:496
	v_add_nc_u32_e64 v9, s26, 0
	scratch_store_b32 off, v9, off offset:988 ; 4-byte Folded Spill
	v_add_nc_u32_e64 v9, s27, 0
	scratch_store_b32 off, v9, off offset:984 ; 4-byte Folded Spill
	v_add_nc_u32_e64 v9, s28, 0
	scratch_store_b32 off, v9, off offset:980 ; 4-byte Folded Spill
	v_add_nc_u32_e64 v9, s29, 0
	scratch_store_b32 off, v9, off offset:976 ; 4-byte Folded Spill
	s_waitcnt vmcnt(26)
	scratch_store_b128 off, v[29:32], off offset:512
	v_add_nc_u32_e64 v9, s30, 0
	scratch_store_b32 off, v9, off offset:972 ; 4-byte Folded Spill
	;; [unrolled: 10-line block ×3, first 2 shown]
	v_add_nc_u32_e64 v9, s36, 0
	scratch_store_b32 off, v9, off offset:952 ; 4-byte Folded Spill
	v_add_nc_u32_e64 v9, s37, 0
	scratch_store_b32 off, v9, off offset:948 ; 4-byte Folded Spill
	;; [unrolled: 2-line block ×3, first 2 shown]
	s_waitcnt vmcnt(24)
	scratch_store_b128 off, v[37:40], off offset:544
	s_waitcnt vmcnt(23)
	scratch_store_b128 off, v[233:236], off offset:560
	;; [unrolled: 2-line block ×22, first 2 shown]
	v_add_nc_u32_e64 v178, s39, 0
	v_add_nc_u32_e64 v49, s40, 0
	;; [unrolled: 1-line block ×25, first 2 shown]
	s_waitcnt vmcnt(2)
	scratch_store_b128 off, v[205:208], off offset:896
	s_waitcnt vmcnt(0)
	s_clause 0x1
	scratch_store_b128 off, v[223:226], off offset:912
	scratch_store_b128 off, v[227:230], off offset:928
	s_cbranch_scc1 .LBB58_248
; %bb.4:
	v_cmp_eq_u32_e64 s2, 0, v164
	s_delay_alu instid0(VALU_DEP_1)
	s_and_saveexec_b32 s3, s2
	s_cbranch_execz .LBB58_6
; %bb.5:
	v_mov_b32_e32 v1, 0
	ds_store_b32 v1, v1 offset:1888
.LBB58_6:
	s_or_b32 exec_lo, exec_lo, s3
	s_waitcnt lgkmcnt(0)
	s_waitcnt_vscnt null, 0x0
	s_barrier
	buffer_gl0_inv
	scratch_load_b128 v[1:4], v45, off
	s_waitcnt vmcnt(0)
	v_cmp_eq_f64_e32 vcc_lo, 0, v[1:2]
	v_cmp_eq_f64_e64 s3, 0, v[3:4]
	s_delay_alu instid0(VALU_DEP_1) | instskip(NEXT) | instid1(SALU_CYCLE_1)
	s_and_b32 s3, vcc_lo, s3
	s_and_saveexec_b32 s4, s3
	s_cbranch_execz .LBB58_10
; %bb.7:
	v_mov_b32_e32 v1, 0
	s_mov_b32 s5, 0
	ds_load_b32 v2, v1 offset:1888
	s_waitcnt lgkmcnt(0)
	v_readfirstlane_b32 s3, v2
	v_add_nc_u32_e32 v2, 1, v164
	s_delay_alu instid0(VALU_DEP_2) | instskip(NEXT) | instid1(VALU_DEP_1)
	s_cmp_eq_u32 s3, 0
	v_cmp_gt_i32_e32 vcc_lo, s3, v2
	s_cselect_b32 s8, -1, 0
	s_delay_alu instid0(SALU_CYCLE_1) | instskip(NEXT) | instid1(SALU_CYCLE_1)
	s_or_b32 s8, s8, vcc_lo
	s_and_b32 exec_lo, exec_lo, s8
	s_cbranch_execz .LBB58_10
; %bb.8:
	v_mov_b32_e32 v3, s3
.LBB58_9:                               ; =>This Inner Loop Header: Depth=1
	ds_cmpstore_rtn_b32 v3, v1, v2, v3 offset:1888
	s_waitcnt lgkmcnt(0)
	v_cmp_ne_u32_e32 vcc_lo, 0, v3
	v_cmp_le_i32_e64 s3, v3, v2
	s_delay_alu instid0(VALU_DEP_1) | instskip(NEXT) | instid1(SALU_CYCLE_1)
	s_and_b32 s3, vcc_lo, s3
	s_and_b32 s3, exec_lo, s3
	s_delay_alu instid0(SALU_CYCLE_1) | instskip(NEXT) | instid1(SALU_CYCLE_1)
	s_or_b32 s5, s3, s5
	s_and_not1_b32 exec_lo, exec_lo, s5
	s_cbranch_execnz .LBB58_9
.LBB58_10:
	s_or_b32 exec_lo, exec_lo, s4
	v_mov_b32_e32 v1, 0
	s_barrier
	buffer_gl0_inv
	ds_load_b32 v2, v1 offset:1888
	s_and_saveexec_b32 s3, s2
	s_cbranch_execz .LBB58_12
; %bb.11:
	s_lshl_b64 s[4:5], s[18:19], 2
	s_delay_alu instid0(SALU_CYCLE_1)
	s_add_u32 s4, s6, s4
	s_addc_u32 s5, s7, s5
	s_waitcnt lgkmcnt(0)
	global_store_b32 v1, v2, s[4:5]
.LBB58_12:
	s_or_b32 exec_lo, exec_lo, s3
	s_waitcnt lgkmcnt(0)
	v_cmp_ne_u32_e32 vcc_lo, 0, v2
	s_mov_b32 s3, 0
	s_cbranch_vccnz .LBB58_248
; %bb.13:
	v_add_nc_u32_e32 v13, 0, v45
                                        ; implicit-def: $vgpr9_vgpr10
	scratch_load_b128 v[1:4], v13, off
	s_waitcnt vmcnt(0)
	v_cmp_gt_f64_e32 vcc_lo, 0, v[1:2]
	v_xor_b32_e32 v6, 0x80000000, v2
	v_xor_b32_e32 v7, 0x80000000, v4
	s_delay_alu instid0(VALU_DEP_2) | instskip(SKIP_1) | instid1(VALU_DEP_3)
	v_cndmask_b32_e32 v6, v2, v6, vcc_lo
	v_cmp_gt_f64_e32 vcc_lo, 0, v[3:4]
	v_dual_mov_b32 v5, v1 :: v_dual_cndmask_b32 v8, v4, v7
	v_mov_b32_e32 v7, v3
	s_delay_alu instid0(VALU_DEP_1) | instskip(SKIP_1) | instid1(SALU_CYCLE_1)
	v_cmp_ngt_f64_e32 vcc_lo, v[5:6], v[7:8]
                                        ; implicit-def: $vgpr5_vgpr6
	s_and_saveexec_b32 s3, vcc_lo
	s_xor_b32 s3, exec_lo, s3
	s_cbranch_execz .LBB58_15
; %bb.14:
	v_div_scale_f64 v[5:6], null, v[3:4], v[3:4], v[1:2]
	v_div_scale_f64 v[11:12], vcc_lo, v[1:2], v[3:4], v[1:2]
	s_delay_alu instid0(VALU_DEP_2) | instskip(SKIP_2) | instid1(VALU_DEP_1)
	v_rcp_f64_e32 v[7:8], v[5:6]
	s_waitcnt_depctr 0xfff
	v_fma_f64 v[9:10], -v[5:6], v[7:8], 1.0
	v_fma_f64 v[7:8], v[7:8], v[9:10], v[7:8]
	s_delay_alu instid0(VALU_DEP_1) | instskip(NEXT) | instid1(VALU_DEP_1)
	v_fma_f64 v[9:10], -v[5:6], v[7:8], 1.0
	v_fma_f64 v[7:8], v[7:8], v[9:10], v[7:8]
	s_delay_alu instid0(VALU_DEP_1) | instskip(NEXT) | instid1(VALU_DEP_1)
	v_mul_f64 v[9:10], v[11:12], v[7:8]
	v_fma_f64 v[5:6], -v[5:6], v[9:10], v[11:12]
	s_delay_alu instid0(VALU_DEP_1) | instskip(NEXT) | instid1(VALU_DEP_1)
	v_div_fmas_f64 v[5:6], v[5:6], v[7:8], v[9:10]
	v_div_fixup_f64 v[5:6], v[5:6], v[3:4], v[1:2]
	s_delay_alu instid0(VALU_DEP_1) | instskip(NEXT) | instid1(VALU_DEP_1)
	v_fma_f64 v[1:2], v[1:2], v[5:6], v[3:4]
	v_div_scale_f64 v[3:4], null, v[1:2], v[1:2], 1.0
	v_div_scale_f64 v[11:12], vcc_lo, 1.0, v[1:2], 1.0
	s_delay_alu instid0(VALU_DEP_2) | instskip(SKIP_2) | instid1(VALU_DEP_1)
	v_rcp_f64_e32 v[7:8], v[3:4]
	s_waitcnt_depctr 0xfff
	v_fma_f64 v[9:10], -v[3:4], v[7:8], 1.0
	v_fma_f64 v[7:8], v[7:8], v[9:10], v[7:8]
	s_delay_alu instid0(VALU_DEP_1) | instskip(NEXT) | instid1(VALU_DEP_1)
	v_fma_f64 v[9:10], -v[3:4], v[7:8], 1.0
	v_fma_f64 v[7:8], v[7:8], v[9:10], v[7:8]
	s_delay_alu instid0(VALU_DEP_1) | instskip(NEXT) | instid1(VALU_DEP_1)
	v_mul_f64 v[9:10], v[11:12], v[7:8]
	v_fma_f64 v[3:4], -v[3:4], v[9:10], v[11:12]
	s_delay_alu instid0(VALU_DEP_1) | instskip(NEXT) | instid1(VALU_DEP_1)
	v_div_fmas_f64 v[3:4], v[3:4], v[7:8], v[9:10]
	v_div_fixup_f64 v[7:8], v[3:4], v[1:2], 1.0
                                        ; implicit-def: $vgpr1_vgpr2
	s_delay_alu instid0(VALU_DEP_1) | instskip(SKIP_1) | instid1(VALU_DEP_2)
	v_mul_f64 v[5:6], v[5:6], v[7:8]
	v_xor_b32_e32 v8, 0x80000000, v8
	v_xor_b32_e32 v10, 0x80000000, v6
	s_delay_alu instid0(VALU_DEP_3)
	v_mov_b32_e32 v9, v5
.LBB58_15:
	s_and_not1_saveexec_b32 s3, s3
	s_cbranch_execz .LBB58_17
; %bb.16:
	v_div_scale_f64 v[5:6], null, v[1:2], v[1:2], v[3:4]
	v_div_scale_f64 v[11:12], vcc_lo, v[3:4], v[1:2], v[3:4]
	s_delay_alu instid0(VALU_DEP_2) | instskip(SKIP_2) | instid1(VALU_DEP_1)
	v_rcp_f64_e32 v[7:8], v[5:6]
	s_waitcnt_depctr 0xfff
	v_fma_f64 v[9:10], -v[5:6], v[7:8], 1.0
	v_fma_f64 v[7:8], v[7:8], v[9:10], v[7:8]
	s_delay_alu instid0(VALU_DEP_1) | instskip(NEXT) | instid1(VALU_DEP_1)
	v_fma_f64 v[9:10], -v[5:6], v[7:8], 1.0
	v_fma_f64 v[7:8], v[7:8], v[9:10], v[7:8]
	s_delay_alu instid0(VALU_DEP_1) | instskip(NEXT) | instid1(VALU_DEP_1)
	v_mul_f64 v[9:10], v[11:12], v[7:8]
	v_fma_f64 v[5:6], -v[5:6], v[9:10], v[11:12]
	s_delay_alu instid0(VALU_DEP_1) | instskip(NEXT) | instid1(VALU_DEP_1)
	v_div_fmas_f64 v[5:6], v[5:6], v[7:8], v[9:10]
	v_div_fixup_f64 v[7:8], v[5:6], v[1:2], v[3:4]
	s_delay_alu instid0(VALU_DEP_1) | instskip(NEXT) | instid1(VALU_DEP_1)
	v_fma_f64 v[1:2], v[3:4], v[7:8], v[1:2]
	v_div_scale_f64 v[3:4], null, v[1:2], v[1:2], 1.0
	s_delay_alu instid0(VALU_DEP_1) | instskip(SKIP_2) | instid1(VALU_DEP_1)
	v_rcp_f64_e32 v[5:6], v[3:4]
	s_waitcnt_depctr 0xfff
	v_fma_f64 v[9:10], -v[3:4], v[5:6], 1.0
	v_fma_f64 v[5:6], v[5:6], v[9:10], v[5:6]
	s_delay_alu instid0(VALU_DEP_1) | instskip(NEXT) | instid1(VALU_DEP_1)
	v_fma_f64 v[9:10], -v[3:4], v[5:6], 1.0
	v_fma_f64 v[5:6], v[5:6], v[9:10], v[5:6]
	v_div_scale_f64 v[9:10], vcc_lo, 1.0, v[1:2], 1.0
	s_delay_alu instid0(VALU_DEP_1) | instskip(NEXT) | instid1(VALU_DEP_1)
	v_mul_f64 v[11:12], v[9:10], v[5:6]
	v_fma_f64 v[3:4], -v[3:4], v[11:12], v[9:10]
	s_delay_alu instid0(VALU_DEP_1) | instskip(NEXT) | instid1(VALU_DEP_1)
	v_div_fmas_f64 v[3:4], v[3:4], v[5:6], v[11:12]
	v_div_fixup_f64 v[5:6], v[3:4], v[1:2], 1.0
	s_delay_alu instid0(VALU_DEP_1)
	v_mul_f64 v[7:8], v[7:8], -v[5:6]
	v_xor_b32_e32 v10, 0x80000000, v6
	v_mov_b32_e32 v9, v5
.LBB58_17:
	s_or_b32 exec_lo, exec_lo, s3
	scratch_store_b128 v13, v[5:8], off
	scratch_load_b128 v[1:4], v222, off
	v_xor_b32_e32 v12, 0x80000000, v8
	v_mov_b32_e32 v11, v7
	v_add_nc_u32_e32 v5, 0x3b0, v45
	ds_store_b128 v45, v[9:12]
	s_waitcnt vmcnt(0)
	ds_store_b128 v45, v[1:4] offset:944
	s_waitcnt lgkmcnt(0)
	s_waitcnt_vscnt null, 0x0
	s_barrier
	buffer_gl0_inv
	s_and_saveexec_b32 s3, s2
	s_cbranch_execz .LBB58_19
; %bb.18:
	scratch_load_b128 v[1:4], v13, off
	ds_load_b128 v[6:9], v5
	v_mov_b32_e32 v10, 0
	ds_load_b128 v[14:17], v10 offset:16
	s_waitcnt vmcnt(0) lgkmcnt(1)
	v_mul_f64 v[10:11], v[6:7], v[3:4]
	v_mul_f64 v[3:4], v[8:9], v[3:4]
	s_delay_alu instid0(VALU_DEP_2) | instskip(NEXT) | instid1(VALU_DEP_2)
	v_fma_f64 v[8:9], v[8:9], v[1:2], v[10:11]
	v_fma_f64 v[1:2], v[6:7], v[1:2], -v[3:4]
	s_delay_alu instid0(VALU_DEP_2) | instskip(NEXT) | instid1(VALU_DEP_2)
	v_add_f64 v[3:4], v[8:9], 0
	v_add_f64 v[1:2], v[1:2], 0
	s_waitcnt lgkmcnt(0)
	s_delay_alu instid0(VALU_DEP_2) | instskip(NEXT) | instid1(VALU_DEP_2)
	v_mul_f64 v[6:7], v[3:4], v[16:17]
	v_mul_f64 v[8:9], v[1:2], v[16:17]
	s_delay_alu instid0(VALU_DEP_2) | instskip(NEXT) | instid1(VALU_DEP_2)
	v_fma_f64 v[1:2], v[1:2], v[14:15], -v[6:7]
	v_fma_f64 v[3:4], v[3:4], v[14:15], v[8:9]
	scratch_store_b128 off, v[1:4], off offset:16
.LBB58_19:
	s_or_b32 exec_lo, exec_lo, s3
	s_waitcnt_vscnt null, 0x0
	s_barrier
	buffer_gl0_inv
	scratch_load_b128 v[1:4], v221, off
	s_mov_b32 s3, exec_lo
	s_waitcnt vmcnt(0)
	ds_store_b128 v5, v[1:4]
	s_waitcnt lgkmcnt(0)
	s_barrier
	buffer_gl0_inv
	v_cmpx_gt_u32_e32 2, v164
	s_cbranch_execz .LBB58_23
; %bb.20:
	scratch_load_b128 v[1:4], v13, off
	ds_load_b128 v[6:9], v5
	s_waitcnt vmcnt(0) lgkmcnt(0)
	v_mul_f64 v[10:11], v[8:9], v[3:4]
	v_mul_f64 v[3:4], v[6:7], v[3:4]
	s_delay_alu instid0(VALU_DEP_2) | instskip(NEXT) | instid1(VALU_DEP_2)
	v_fma_f64 v[6:7], v[6:7], v[1:2], -v[10:11]
	v_fma_f64 v[3:4], v[8:9], v[1:2], v[3:4]
	s_delay_alu instid0(VALU_DEP_2) | instskip(NEXT) | instid1(VALU_DEP_2)
	v_add_f64 v[1:2], v[6:7], 0
	v_add_f64 v[3:4], v[3:4], 0
	s_and_saveexec_b32 s4, s2
	s_cbranch_execz .LBB58_22
; %bb.21:
	scratch_load_b128 v[6:9], off, off offset:16
	v_mov_b32_e32 v10, 0
	ds_load_b128 v[14:17], v10 offset:960
	s_waitcnt vmcnt(0) lgkmcnt(0)
	v_mul_f64 v[10:11], v[14:15], v[8:9]
	v_mul_f64 v[8:9], v[16:17], v[8:9]
	s_delay_alu instid0(VALU_DEP_2) | instskip(NEXT) | instid1(VALU_DEP_2)
	v_fma_f64 v[10:11], v[16:17], v[6:7], v[10:11]
	v_fma_f64 v[6:7], v[14:15], v[6:7], -v[8:9]
	s_delay_alu instid0(VALU_DEP_2) | instskip(NEXT) | instid1(VALU_DEP_2)
	v_add_f64 v[3:4], v[3:4], v[10:11]
	v_add_f64 v[1:2], v[1:2], v[6:7]
.LBB58_22:
	s_or_b32 exec_lo, exec_lo, s4
	v_mov_b32_e32 v6, 0
	ds_load_b128 v[6:9], v6 offset:32
	s_waitcnt lgkmcnt(0)
	v_mul_f64 v[10:11], v[3:4], v[8:9]
	v_mul_f64 v[8:9], v[1:2], v[8:9]
	s_delay_alu instid0(VALU_DEP_2) | instskip(NEXT) | instid1(VALU_DEP_2)
	v_fma_f64 v[1:2], v[1:2], v[6:7], -v[10:11]
	v_fma_f64 v[3:4], v[3:4], v[6:7], v[8:9]
	scratch_store_b128 off, v[1:4], off offset:32
.LBB58_23:
	s_or_b32 exec_lo, exec_lo, s3
	s_waitcnt_vscnt null, 0x0
	s_barrier
	buffer_gl0_inv
	scratch_load_b128 v[1:4], v220, off
	v_add_nc_u32_e32 v6, -1, v164
	s_mov_b32 s2, exec_lo
	s_waitcnt vmcnt(0)
	ds_store_b128 v5, v[1:4]
	s_waitcnt lgkmcnt(0)
	s_barrier
	buffer_gl0_inv
	v_cmpx_gt_u32_e32 3, v164
	s_cbranch_execz .LBB58_27
; %bb.24:
	v_dual_mov_b32 v1, 0 :: v_dual_add_nc_u32 v8, 0x3b0, v45
	v_dual_mov_b32 v2, 0 :: v_dual_add_nc_u32 v7, -1, v164
	v_or_b32_e32 v9, 8, v13
	s_mov_b32 s3, 0
	s_delay_alu instid0(VALU_DEP_2)
	v_dual_mov_b32 v4, v2 :: v_dual_mov_b32 v3, v1
	.p2align	6
.LBB58_25:                              ; =>This Inner Loop Header: Depth=1
	scratch_load_b128 v[14:17], v9, off offset:-8
	ds_load_b128 v[18:21], v8
	v_add_nc_u32_e32 v7, 1, v7
	v_add_nc_u32_e32 v8, 16, v8
	v_add_nc_u32_e32 v9, 16, v9
	s_delay_alu instid0(VALU_DEP_3) | instskip(SKIP_4) | instid1(VALU_DEP_2)
	v_cmp_lt_u32_e32 vcc_lo, 1, v7
	s_or_b32 s3, vcc_lo, s3
	s_waitcnt vmcnt(0) lgkmcnt(0)
	v_mul_f64 v[10:11], v[20:21], v[16:17]
	v_mul_f64 v[16:17], v[18:19], v[16:17]
	v_fma_f64 v[10:11], v[18:19], v[14:15], -v[10:11]
	s_delay_alu instid0(VALU_DEP_2) | instskip(NEXT) | instid1(VALU_DEP_2)
	v_fma_f64 v[14:15], v[20:21], v[14:15], v[16:17]
	v_add_f64 v[3:4], v[3:4], v[10:11]
	s_delay_alu instid0(VALU_DEP_2)
	v_add_f64 v[1:2], v[1:2], v[14:15]
	s_and_not1_b32 exec_lo, exec_lo, s3
	s_cbranch_execnz .LBB58_25
; %bb.26:
	s_or_b32 exec_lo, exec_lo, s3
	v_mov_b32_e32 v7, 0
	ds_load_b128 v[7:10], v7 offset:48
	s_waitcnt lgkmcnt(0)
	v_mul_f64 v[11:12], v[1:2], v[9:10]
	v_mul_f64 v[14:15], v[3:4], v[9:10]
	s_delay_alu instid0(VALU_DEP_2) | instskip(NEXT) | instid1(VALU_DEP_2)
	v_fma_f64 v[9:10], v[3:4], v[7:8], -v[11:12]
	v_fma_f64 v[11:12], v[1:2], v[7:8], v[14:15]
	scratch_store_b128 off, v[9:12], off offset:48
.LBB58_27:
	s_or_b32 exec_lo, exec_lo, s2
	s_waitcnt_vscnt null, 0x0
	s_barrier
	buffer_gl0_inv
	scratch_load_b128 v[1:4], v219, off
	s_mov_b32 s2, exec_lo
	s_waitcnt vmcnt(0)
	ds_store_b128 v5, v[1:4]
	s_waitcnt lgkmcnt(0)
	s_barrier
	buffer_gl0_inv
	v_cmpx_gt_u32_e32 4, v164
	s_cbranch_execz .LBB58_31
; %bb.28:
	v_dual_mov_b32 v1, 0 :: v_dual_add_nc_u32 v8, 0x3b0, v45
	v_dual_mov_b32 v2, 0 :: v_dual_add_nc_u32 v7, -1, v164
	v_or_b32_e32 v9, 8, v13
	s_mov_b32 s3, 0
	s_delay_alu instid0(VALU_DEP_2)
	v_dual_mov_b32 v4, v2 :: v_dual_mov_b32 v3, v1
	.p2align	6
.LBB58_29:                              ; =>This Inner Loop Header: Depth=1
	scratch_load_b128 v[14:17], v9, off offset:-8
	ds_load_b128 v[18:21], v8
	v_add_nc_u32_e32 v7, 1, v7
	v_add_nc_u32_e32 v8, 16, v8
	;; [unrolled: 1-line block ×3, first 2 shown]
	s_delay_alu instid0(VALU_DEP_3) | instskip(SKIP_4) | instid1(VALU_DEP_2)
	v_cmp_lt_u32_e32 vcc_lo, 2, v7
	s_or_b32 s3, vcc_lo, s3
	s_waitcnt vmcnt(0) lgkmcnt(0)
	v_mul_f64 v[10:11], v[20:21], v[16:17]
	v_mul_f64 v[16:17], v[18:19], v[16:17]
	v_fma_f64 v[10:11], v[18:19], v[14:15], -v[10:11]
	s_delay_alu instid0(VALU_DEP_2) | instskip(NEXT) | instid1(VALU_DEP_2)
	v_fma_f64 v[14:15], v[20:21], v[14:15], v[16:17]
	v_add_f64 v[3:4], v[3:4], v[10:11]
	s_delay_alu instid0(VALU_DEP_2)
	v_add_f64 v[1:2], v[1:2], v[14:15]
	s_and_not1_b32 exec_lo, exec_lo, s3
	s_cbranch_execnz .LBB58_29
; %bb.30:
	s_or_b32 exec_lo, exec_lo, s3
	v_mov_b32_e32 v7, 0
	ds_load_b128 v[7:10], v7 offset:64
	s_waitcnt lgkmcnt(0)
	v_mul_f64 v[11:12], v[1:2], v[9:10]
	v_mul_f64 v[14:15], v[3:4], v[9:10]
	s_delay_alu instid0(VALU_DEP_2) | instskip(NEXT) | instid1(VALU_DEP_2)
	v_fma_f64 v[9:10], v[3:4], v[7:8], -v[11:12]
	v_fma_f64 v[11:12], v[1:2], v[7:8], v[14:15]
	scratch_store_b128 off, v[9:12], off offset:64
.LBB58_31:
	s_or_b32 exec_lo, exec_lo, s2
	s_waitcnt_vscnt null, 0x0
	s_barrier
	buffer_gl0_inv
	scratch_load_b128 v[1:4], v218, off
	s_mov_b32 s2, exec_lo
	s_waitcnt vmcnt(0)
	ds_store_b128 v5, v[1:4]
	s_waitcnt lgkmcnt(0)
	s_barrier
	buffer_gl0_inv
	v_cmpx_gt_u32_e32 5, v164
	s_cbranch_execz .LBB58_35
; %bb.32:
	v_dual_mov_b32 v1, 0 :: v_dual_add_nc_u32 v8, 0x3b0, v45
	v_dual_mov_b32 v2, 0 :: v_dual_add_nc_u32 v7, -1, v164
	v_or_b32_e32 v9, 8, v13
	s_mov_b32 s3, 0
	s_delay_alu instid0(VALU_DEP_2)
	v_dual_mov_b32 v4, v2 :: v_dual_mov_b32 v3, v1
	.p2align	6
.LBB58_33:                              ; =>This Inner Loop Header: Depth=1
	scratch_load_b128 v[14:17], v9, off offset:-8
	ds_load_b128 v[18:21], v8
	v_add_nc_u32_e32 v7, 1, v7
	v_add_nc_u32_e32 v8, 16, v8
	;; [unrolled: 1-line block ×3, first 2 shown]
	s_delay_alu instid0(VALU_DEP_3) | instskip(SKIP_4) | instid1(VALU_DEP_2)
	v_cmp_lt_u32_e32 vcc_lo, 3, v7
	s_or_b32 s3, vcc_lo, s3
	s_waitcnt vmcnt(0) lgkmcnt(0)
	v_mul_f64 v[10:11], v[20:21], v[16:17]
	v_mul_f64 v[16:17], v[18:19], v[16:17]
	v_fma_f64 v[10:11], v[18:19], v[14:15], -v[10:11]
	s_delay_alu instid0(VALU_DEP_2) | instskip(NEXT) | instid1(VALU_DEP_2)
	v_fma_f64 v[14:15], v[20:21], v[14:15], v[16:17]
	v_add_f64 v[3:4], v[3:4], v[10:11]
	s_delay_alu instid0(VALU_DEP_2)
	v_add_f64 v[1:2], v[1:2], v[14:15]
	s_and_not1_b32 exec_lo, exec_lo, s3
	s_cbranch_execnz .LBB58_33
; %bb.34:
	s_or_b32 exec_lo, exec_lo, s3
	v_mov_b32_e32 v7, 0
	ds_load_b128 v[7:10], v7 offset:80
	s_waitcnt lgkmcnt(0)
	v_mul_f64 v[11:12], v[1:2], v[9:10]
	v_mul_f64 v[14:15], v[3:4], v[9:10]
	s_delay_alu instid0(VALU_DEP_2) | instskip(NEXT) | instid1(VALU_DEP_2)
	v_fma_f64 v[9:10], v[3:4], v[7:8], -v[11:12]
	v_fma_f64 v[11:12], v[1:2], v[7:8], v[14:15]
	scratch_store_b128 off, v[9:12], off offset:80
.LBB58_35:
	s_or_b32 exec_lo, exec_lo, s2
	s_waitcnt_vscnt null, 0x0
	s_barrier
	buffer_gl0_inv
	scratch_load_b128 v[1:4], v217, off
	s_mov_b32 s2, exec_lo
	s_waitcnt vmcnt(0)
	ds_store_b128 v5, v[1:4]
	s_waitcnt lgkmcnt(0)
	s_barrier
	buffer_gl0_inv
	v_cmpx_gt_u32_e32 6, v164
	s_cbranch_execz .LBB58_39
; %bb.36:
	v_dual_mov_b32 v1, 0 :: v_dual_add_nc_u32 v8, 0x3b0, v45
	v_dual_mov_b32 v2, 0 :: v_dual_add_nc_u32 v7, -1, v164
	v_or_b32_e32 v9, 8, v13
	s_mov_b32 s3, 0
	s_delay_alu instid0(VALU_DEP_2)
	v_dual_mov_b32 v4, v2 :: v_dual_mov_b32 v3, v1
	.p2align	6
.LBB58_37:                              ; =>This Inner Loop Header: Depth=1
	scratch_load_b128 v[14:17], v9, off offset:-8
	ds_load_b128 v[18:21], v8
	v_add_nc_u32_e32 v7, 1, v7
	v_add_nc_u32_e32 v8, 16, v8
	;; [unrolled: 1-line block ×3, first 2 shown]
	s_delay_alu instid0(VALU_DEP_3) | instskip(SKIP_4) | instid1(VALU_DEP_2)
	v_cmp_lt_u32_e32 vcc_lo, 4, v7
	s_or_b32 s3, vcc_lo, s3
	s_waitcnt vmcnt(0) lgkmcnt(0)
	v_mul_f64 v[10:11], v[20:21], v[16:17]
	v_mul_f64 v[16:17], v[18:19], v[16:17]
	v_fma_f64 v[10:11], v[18:19], v[14:15], -v[10:11]
	s_delay_alu instid0(VALU_DEP_2) | instskip(NEXT) | instid1(VALU_DEP_2)
	v_fma_f64 v[14:15], v[20:21], v[14:15], v[16:17]
	v_add_f64 v[3:4], v[3:4], v[10:11]
	s_delay_alu instid0(VALU_DEP_2)
	v_add_f64 v[1:2], v[1:2], v[14:15]
	s_and_not1_b32 exec_lo, exec_lo, s3
	s_cbranch_execnz .LBB58_37
; %bb.38:
	s_or_b32 exec_lo, exec_lo, s3
	v_mov_b32_e32 v7, 0
	ds_load_b128 v[7:10], v7 offset:96
	s_waitcnt lgkmcnt(0)
	v_mul_f64 v[11:12], v[1:2], v[9:10]
	v_mul_f64 v[14:15], v[3:4], v[9:10]
	s_delay_alu instid0(VALU_DEP_2) | instskip(NEXT) | instid1(VALU_DEP_2)
	v_fma_f64 v[9:10], v[3:4], v[7:8], -v[11:12]
	v_fma_f64 v[11:12], v[1:2], v[7:8], v[14:15]
	scratch_store_b128 off, v[9:12], off offset:96
.LBB58_39:
	s_or_b32 exec_lo, exec_lo, s2
	s_waitcnt_vscnt null, 0x0
	s_barrier
	buffer_gl0_inv
	scratch_load_b128 v[1:4], v216, off
	s_mov_b32 s2, exec_lo
	s_waitcnt vmcnt(0)
	ds_store_b128 v5, v[1:4]
	s_waitcnt lgkmcnt(0)
	s_barrier
	buffer_gl0_inv
	v_cmpx_gt_u32_e32 7, v164
	s_cbranch_execz .LBB58_43
; %bb.40:
	v_dual_mov_b32 v1, 0 :: v_dual_add_nc_u32 v8, 0x3b0, v45
	v_dual_mov_b32 v2, 0 :: v_dual_add_nc_u32 v7, -1, v164
	v_or_b32_e32 v9, 8, v13
	s_mov_b32 s3, 0
	s_delay_alu instid0(VALU_DEP_2)
	v_dual_mov_b32 v4, v2 :: v_dual_mov_b32 v3, v1
	.p2align	6
.LBB58_41:                              ; =>This Inner Loop Header: Depth=1
	scratch_load_b128 v[14:17], v9, off offset:-8
	ds_load_b128 v[18:21], v8
	v_add_nc_u32_e32 v7, 1, v7
	v_add_nc_u32_e32 v8, 16, v8
	;; [unrolled: 1-line block ×3, first 2 shown]
	s_delay_alu instid0(VALU_DEP_3) | instskip(SKIP_4) | instid1(VALU_DEP_2)
	v_cmp_lt_u32_e32 vcc_lo, 5, v7
	s_or_b32 s3, vcc_lo, s3
	s_waitcnt vmcnt(0) lgkmcnt(0)
	v_mul_f64 v[10:11], v[20:21], v[16:17]
	v_mul_f64 v[16:17], v[18:19], v[16:17]
	v_fma_f64 v[10:11], v[18:19], v[14:15], -v[10:11]
	s_delay_alu instid0(VALU_DEP_2) | instskip(NEXT) | instid1(VALU_DEP_2)
	v_fma_f64 v[14:15], v[20:21], v[14:15], v[16:17]
	v_add_f64 v[3:4], v[3:4], v[10:11]
	s_delay_alu instid0(VALU_DEP_2)
	v_add_f64 v[1:2], v[1:2], v[14:15]
	s_and_not1_b32 exec_lo, exec_lo, s3
	s_cbranch_execnz .LBB58_41
; %bb.42:
	s_or_b32 exec_lo, exec_lo, s3
	v_mov_b32_e32 v7, 0
	ds_load_b128 v[7:10], v7 offset:112
	s_waitcnt lgkmcnt(0)
	v_mul_f64 v[11:12], v[1:2], v[9:10]
	v_mul_f64 v[14:15], v[3:4], v[9:10]
	s_delay_alu instid0(VALU_DEP_2) | instskip(NEXT) | instid1(VALU_DEP_2)
	v_fma_f64 v[9:10], v[3:4], v[7:8], -v[11:12]
	v_fma_f64 v[11:12], v[1:2], v[7:8], v[14:15]
	scratch_store_b128 off, v[9:12], off offset:112
.LBB58_43:
	s_or_b32 exec_lo, exec_lo, s2
	s_waitcnt_vscnt null, 0x0
	s_barrier
	buffer_gl0_inv
	scratch_load_b128 v[1:4], v215, off
	s_mov_b32 s2, exec_lo
	s_waitcnt vmcnt(0)
	ds_store_b128 v5, v[1:4]
	s_waitcnt lgkmcnt(0)
	s_barrier
	buffer_gl0_inv
	v_cmpx_gt_u32_e32 8, v164
	s_cbranch_execz .LBB58_47
; %bb.44:
	v_dual_mov_b32 v1, 0 :: v_dual_add_nc_u32 v8, 0x3b0, v45
	v_dual_mov_b32 v2, 0 :: v_dual_add_nc_u32 v7, -1, v164
	v_or_b32_e32 v9, 8, v13
	s_mov_b32 s3, 0
	s_delay_alu instid0(VALU_DEP_2)
	v_dual_mov_b32 v4, v2 :: v_dual_mov_b32 v3, v1
	.p2align	6
.LBB58_45:                              ; =>This Inner Loop Header: Depth=1
	scratch_load_b128 v[14:17], v9, off offset:-8
	ds_load_b128 v[18:21], v8
	v_add_nc_u32_e32 v7, 1, v7
	v_add_nc_u32_e32 v8, 16, v8
	;; [unrolled: 1-line block ×3, first 2 shown]
	s_delay_alu instid0(VALU_DEP_3) | instskip(SKIP_4) | instid1(VALU_DEP_2)
	v_cmp_lt_u32_e32 vcc_lo, 6, v7
	s_or_b32 s3, vcc_lo, s3
	s_waitcnt vmcnt(0) lgkmcnt(0)
	v_mul_f64 v[10:11], v[20:21], v[16:17]
	v_mul_f64 v[16:17], v[18:19], v[16:17]
	v_fma_f64 v[10:11], v[18:19], v[14:15], -v[10:11]
	s_delay_alu instid0(VALU_DEP_2) | instskip(NEXT) | instid1(VALU_DEP_2)
	v_fma_f64 v[14:15], v[20:21], v[14:15], v[16:17]
	v_add_f64 v[3:4], v[3:4], v[10:11]
	s_delay_alu instid0(VALU_DEP_2)
	v_add_f64 v[1:2], v[1:2], v[14:15]
	s_and_not1_b32 exec_lo, exec_lo, s3
	s_cbranch_execnz .LBB58_45
; %bb.46:
	s_or_b32 exec_lo, exec_lo, s3
	v_mov_b32_e32 v7, 0
	ds_load_b128 v[7:10], v7 offset:128
	s_waitcnt lgkmcnt(0)
	v_mul_f64 v[11:12], v[1:2], v[9:10]
	v_mul_f64 v[14:15], v[3:4], v[9:10]
	s_delay_alu instid0(VALU_DEP_2) | instskip(NEXT) | instid1(VALU_DEP_2)
	v_fma_f64 v[9:10], v[3:4], v[7:8], -v[11:12]
	v_fma_f64 v[11:12], v[1:2], v[7:8], v[14:15]
	scratch_store_b128 off, v[9:12], off offset:128
.LBB58_47:
	s_or_b32 exec_lo, exec_lo, s2
	s_waitcnt_vscnt null, 0x0
	s_barrier
	buffer_gl0_inv
	scratch_load_b128 v[1:4], v214, off
	s_mov_b32 s2, exec_lo
	s_waitcnt vmcnt(0)
	ds_store_b128 v5, v[1:4]
	s_waitcnt lgkmcnt(0)
	s_barrier
	buffer_gl0_inv
	v_cmpx_gt_u32_e32 9, v164
	s_cbranch_execz .LBB58_51
; %bb.48:
	v_dual_mov_b32 v1, 0 :: v_dual_add_nc_u32 v8, 0x3b0, v45
	v_dual_mov_b32 v2, 0 :: v_dual_add_nc_u32 v7, -1, v164
	v_or_b32_e32 v9, 8, v13
	s_mov_b32 s3, 0
	s_delay_alu instid0(VALU_DEP_2)
	v_dual_mov_b32 v4, v2 :: v_dual_mov_b32 v3, v1
	.p2align	6
.LBB58_49:                              ; =>This Inner Loop Header: Depth=1
	scratch_load_b128 v[14:17], v9, off offset:-8
	ds_load_b128 v[18:21], v8
	v_add_nc_u32_e32 v7, 1, v7
	v_add_nc_u32_e32 v8, 16, v8
	;; [unrolled: 1-line block ×3, first 2 shown]
	s_delay_alu instid0(VALU_DEP_3) | instskip(SKIP_4) | instid1(VALU_DEP_2)
	v_cmp_lt_u32_e32 vcc_lo, 7, v7
	s_or_b32 s3, vcc_lo, s3
	s_waitcnt vmcnt(0) lgkmcnt(0)
	v_mul_f64 v[10:11], v[20:21], v[16:17]
	v_mul_f64 v[16:17], v[18:19], v[16:17]
	v_fma_f64 v[10:11], v[18:19], v[14:15], -v[10:11]
	s_delay_alu instid0(VALU_DEP_2) | instskip(NEXT) | instid1(VALU_DEP_2)
	v_fma_f64 v[14:15], v[20:21], v[14:15], v[16:17]
	v_add_f64 v[3:4], v[3:4], v[10:11]
	s_delay_alu instid0(VALU_DEP_2)
	v_add_f64 v[1:2], v[1:2], v[14:15]
	s_and_not1_b32 exec_lo, exec_lo, s3
	s_cbranch_execnz .LBB58_49
; %bb.50:
	s_or_b32 exec_lo, exec_lo, s3
	v_mov_b32_e32 v7, 0
	ds_load_b128 v[7:10], v7 offset:144
	s_waitcnt lgkmcnt(0)
	v_mul_f64 v[11:12], v[1:2], v[9:10]
	v_mul_f64 v[14:15], v[3:4], v[9:10]
	s_delay_alu instid0(VALU_DEP_2) | instskip(NEXT) | instid1(VALU_DEP_2)
	v_fma_f64 v[9:10], v[3:4], v[7:8], -v[11:12]
	v_fma_f64 v[11:12], v[1:2], v[7:8], v[14:15]
	scratch_store_b128 off, v[9:12], off offset:144
.LBB58_51:
	s_or_b32 exec_lo, exec_lo, s2
	s_waitcnt_vscnt null, 0x0
	s_barrier
	buffer_gl0_inv
	scratch_load_b128 v[1:4], v213, off
	s_mov_b32 s2, exec_lo
	s_waitcnt vmcnt(0)
	ds_store_b128 v5, v[1:4]
	s_waitcnt lgkmcnt(0)
	s_barrier
	buffer_gl0_inv
	v_cmpx_gt_u32_e32 10, v164
	s_cbranch_execz .LBB58_55
; %bb.52:
	v_dual_mov_b32 v1, 0 :: v_dual_add_nc_u32 v8, 0x3b0, v45
	v_dual_mov_b32 v2, 0 :: v_dual_add_nc_u32 v7, -1, v164
	v_or_b32_e32 v9, 8, v13
	s_mov_b32 s3, 0
	s_delay_alu instid0(VALU_DEP_2)
	v_dual_mov_b32 v4, v2 :: v_dual_mov_b32 v3, v1
	.p2align	6
.LBB58_53:                              ; =>This Inner Loop Header: Depth=1
	scratch_load_b128 v[14:17], v9, off offset:-8
	ds_load_b128 v[18:21], v8
	v_add_nc_u32_e32 v7, 1, v7
	v_add_nc_u32_e32 v8, 16, v8
	v_add_nc_u32_e32 v9, 16, v9
	s_delay_alu instid0(VALU_DEP_3) | instskip(SKIP_4) | instid1(VALU_DEP_2)
	v_cmp_lt_u32_e32 vcc_lo, 8, v7
	s_or_b32 s3, vcc_lo, s3
	s_waitcnt vmcnt(0) lgkmcnt(0)
	v_mul_f64 v[10:11], v[20:21], v[16:17]
	v_mul_f64 v[16:17], v[18:19], v[16:17]
	v_fma_f64 v[10:11], v[18:19], v[14:15], -v[10:11]
	s_delay_alu instid0(VALU_DEP_2) | instskip(NEXT) | instid1(VALU_DEP_2)
	v_fma_f64 v[14:15], v[20:21], v[14:15], v[16:17]
	v_add_f64 v[3:4], v[3:4], v[10:11]
	s_delay_alu instid0(VALU_DEP_2)
	v_add_f64 v[1:2], v[1:2], v[14:15]
	s_and_not1_b32 exec_lo, exec_lo, s3
	s_cbranch_execnz .LBB58_53
; %bb.54:
	s_or_b32 exec_lo, exec_lo, s3
	v_mov_b32_e32 v7, 0
	ds_load_b128 v[7:10], v7 offset:160
	s_waitcnt lgkmcnt(0)
	v_mul_f64 v[11:12], v[1:2], v[9:10]
	v_mul_f64 v[14:15], v[3:4], v[9:10]
	s_delay_alu instid0(VALU_DEP_2) | instskip(NEXT) | instid1(VALU_DEP_2)
	v_fma_f64 v[9:10], v[3:4], v[7:8], -v[11:12]
	v_fma_f64 v[11:12], v[1:2], v[7:8], v[14:15]
	scratch_store_b128 off, v[9:12], off offset:160
.LBB58_55:
	s_or_b32 exec_lo, exec_lo, s2
	s_waitcnt_vscnt null, 0x0
	s_barrier
	buffer_gl0_inv
	scratch_load_b128 v[1:4], v212, off
	s_mov_b32 s2, exec_lo
	s_waitcnt vmcnt(0)
	ds_store_b128 v5, v[1:4]
	s_waitcnt lgkmcnt(0)
	s_barrier
	buffer_gl0_inv
	v_cmpx_gt_u32_e32 11, v164
	s_cbranch_execz .LBB58_59
; %bb.56:
	v_dual_mov_b32 v1, 0 :: v_dual_add_nc_u32 v8, 0x3b0, v45
	v_dual_mov_b32 v2, 0 :: v_dual_add_nc_u32 v7, -1, v164
	v_or_b32_e32 v9, 8, v13
	s_mov_b32 s3, 0
	s_delay_alu instid0(VALU_DEP_2)
	v_dual_mov_b32 v4, v2 :: v_dual_mov_b32 v3, v1
	.p2align	6
.LBB58_57:                              ; =>This Inner Loop Header: Depth=1
	scratch_load_b128 v[14:17], v9, off offset:-8
	ds_load_b128 v[18:21], v8
	v_add_nc_u32_e32 v7, 1, v7
	v_add_nc_u32_e32 v8, 16, v8
	;; [unrolled: 1-line block ×3, first 2 shown]
	s_delay_alu instid0(VALU_DEP_3) | instskip(SKIP_4) | instid1(VALU_DEP_2)
	v_cmp_lt_u32_e32 vcc_lo, 9, v7
	s_or_b32 s3, vcc_lo, s3
	s_waitcnt vmcnt(0) lgkmcnt(0)
	v_mul_f64 v[10:11], v[20:21], v[16:17]
	v_mul_f64 v[16:17], v[18:19], v[16:17]
	v_fma_f64 v[10:11], v[18:19], v[14:15], -v[10:11]
	s_delay_alu instid0(VALU_DEP_2) | instskip(NEXT) | instid1(VALU_DEP_2)
	v_fma_f64 v[14:15], v[20:21], v[14:15], v[16:17]
	v_add_f64 v[3:4], v[3:4], v[10:11]
	s_delay_alu instid0(VALU_DEP_2)
	v_add_f64 v[1:2], v[1:2], v[14:15]
	s_and_not1_b32 exec_lo, exec_lo, s3
	s_cbranch_execnz .LBB58_57
; %bb.58:
	s_or_b32 exec_lo, exec_lo, s3
	v_mov_b32_e32 v7, 0
	ds_load_b128 v[7:10], v7 offset:176
	s_waitcnt lgkmcnt(0)
	v_mul_f64 v[11:12], v[1:2], v[9:10]
	v_mul_f64 v[14:15], v[3:4], v[9:10]
	s_delay_alu instid0(VALU_DEP_2) | instskip(NEXT) | instid1(VALU_DEP_2)
	v_fma_f64 v[9:10], v[3:4], v[7:8], -v[11:12]
	v_fma_f64 v[11:12], v[1:2], v[7:8], v[14:15]
	scratch_store_b128 off, v[9:12], off offset:176
.LBB58_59:
	s_or_b32 exec_lo, exec_lo, s2
	s_waitcnt_vscnt null, 0x0
	s_barrier
	buffer_gl0_inv
	scratch_load_b128 v[1:4], v210, off
	s_mov_b32 s2, exec_lo
	s_waitcnt vmcnt(0)
	ds_store_b128 v5, v[1:4]
	s_waitcnt lgkmcnt(0)
	s_barrier
	buffer_gl0_inv
	v_cmpx_gt_u32_e32 12, v164
	s_cbranch_execz .LBB58_63
; %bb.60:
	v_dual_mov_b32 v1, 0 :: v_dual_add_nc_u32 v8, 0x3b0, v45
	v_dual_mov_b32 v2, 0 :: v_dual_add_nc_u32 v7, -1, v164
	v_or_b32_e32 v9, 8, v13
	s_mov_b32 s3, 0
	s_delay_alu instid0(VALU_DEP_2)
	v_dual_mov_b32 v4, v2 :: v_dual_mov_b32 v3, v1
	.p2align	6
.LBB58_61:                              ; =>This Inner Loop Header: Depth=1
	scratch_load_b128 v[14:17], v9, off offset:-8
	ds_load_b128 v[18:21], v8
	v_add_nc_u32_e32 v7, 1, v7
	v_add_nc_u32_e32 v8, 16, v8
	;; [unrolled: 1-line block ×3, first 2 shown]
	s_delay_alu instid0(VALU_DEP_3) | instskip(SKIP_4) | instid1(VALU_DEP_2)
	v_cmp_lt_u32_e32 vcc_lo, 10, v7
	s_or_b32 s3, vcc_lo, s3
	s_waitcnt vmcnt(0) lgkmcnt(0)
	v_mul_f64 v[10:11], v[20:21], v[16:17]
	v_mul_f64 v[16:17], v[18:19], v[16:17]
	v_fma_f64 v[10:11], v[18:19], v[14:15], -v[10:11]
	s_delay_alu instid0(VALU_DEP_2) | instskip(NEXT) | instid1(VALU_DEP_2)
	v_fma_f64 v[14:15], v[20:21], v[14:15], v[16:17]
	v_add_f64 v[3:4], v[3:4], v[10:11]
	s_delay_alu instid0(VALU_DEP_2)
	v_add_f64 v[1:2], v[1:2], v[14:15]
	s_and_not1_b32 exec_lo, exec_lo, s3
	s_cbranch_execnz .LBB58_61
; %bb.62:
	s_or_b32 exec_lo, exec_lo, s3
	v_mov_b32_e32 v7, 0
	ds_load_b128 v[7:10], v7 offset:192
	s_waitcnt lgkmcnt(0)
	v_mul_f64 v[11:12], v[1:2], v[9:10]
	v_mul_f64 v[14:15], v[3:4], v[9:10]
	s_delay_alu instid0(VALU_DEP_2) | instskip(NEXT) | instid1(VALU_DEP_2)
	v_fma_f64 v[9:10], v[3:4], v[7:8], -v[11:12]
	v_fma_f64 v[11:12], v[1:2], v[7:8], v[14:15]
	scratch_store_b128 off, v[9:12], off offset:192
.LBB58_63:
	s_or_b32 exec_lo, exec_lo, s2
	s_waitcnt_vscnt null, 0x0
	s_barrier
	buffer_gl0_inv
	scratch_load_b128 v[1:4], v209, off
	s_mov_b32 s2, exec_lo
	s_waitcnt vmcnt(0)
	ds_store_b128 v5, v[1:4]
	s_waitcnt lgkmcnt(0)
	s_barrier
	buffer_gl0_inv
	v_cmpx_gt_u32_e32 13, v164
	s_cbranch_execz .LBB58_67
; %bb.64:
	v_dual_mov_b32 v1, 0 :: v_dual_add_nc_u32 v8, 0x3b0, v45
	v_dual_mov_b32 v2, 0 :: v_dual_add_nc_u32 v7, -1, v164
	v_or_b32_e32 v9, 8, v13
	s_mov_b32 s3, 0
	s_delay_alu instid0(VALU_DEP_2)
	v_dual_mov_b32 v4, v2 :: v_dual_mov_b32 v3, v1
	.p2align	6
.LBB58_65:                              ; =>This Inner Loop Header: Depth=1
	scratch_load_b128 v[14:17], v9, off offset:-8
	ds_load_b128 v[18:21], v8
	v_add_nc_u32_e32 v7, 1, v7
	v_add_nc_u32_e32 v8, 16, v8
	v_add_nc_u32_e32 v9, 16, v9
	s_delay_alu instid0(VALU_DEP_3) | instskip(SKIP_4) | instid1(VALU_DEP_2)
	v_cmp_lt_u32_e32 vcc_lo, 11, v7
	s_or_b32 s3, vcc_lo, s3
	s_waitcnt vmcnt(0) lgkmcnt(0)
	v_mul_f64 v[10:11], v[20:21], v[16:17]
	v_mul_f64 v[16:17], v[18:19], v[16:17]
	v_fma_f64 v[10:11], v[18:19], v[14:15], -v[10:11]
	s_delay_alu instid0(VALU_DEP_2) | instskip(NEXT) | instid1(VALU_DEP_2)
	v_fma_f64 v[14:15], v[20:21], v[14:15], v[16:17]
	v_add_f64 v[3:4], v[3:4], v[10:11]
	s_delay_alu instid0(VALU_DEP_2)
	v_add_f64 v[1:2], v[1:2], v[14:15]
	s_and_not1_b32 exec_lo, exec_lo, s3
	s_cbranch_execnz .LBB58_65
; %bb.66:
	s_or_b32 exec_lo, exec_lo, s3
	v_mov_b32_e32 v7, 0
	ds_load_b128 v[7:10], v7 offset:208
	s_waitcnt lgkmcnt(0)
	v_mul_f64 v[11:12], v[1:2], v[9:10]
	v_mul_f64 v[14:15], v[3:4], v[9:10]
	s_delay_alu instid0(VALU_DEP_2) | instskip(NEXT) | instid1(VALU_DEP_2)
	v_fma_f64 v[9:10], v[3:4], v[7:8], -v[11:12]
	v_fma_f64 v[11:12], v[1:2], v[7:8], v[14:15]
	scratch_store_b128 off, v[9:12], off offset:208
.LBB58_67:
	s_or_b32 exec_lo, exec_lo, s2
	s_waitcnt_vscnt null, 0x0
	s_barrier
	buffer_gl0_inv
	scratch_load_b128 v[1:4], v232, off
	s_mov_b32 s2, exec_lo
	s_waitcnt vmcnt(0)
	ds_store_b128 v5, v[1:4]
	s_waitcnt lgkmcnt(0)
	s_barrier
	buffer_gl0_inv
	v_cmpx_gt_u32_e32 14, v164
	s_cbranch_execz .LBB58_71
; %bb.68:
	v_dual_mov_b32 v1, 0 :: v_dual_add_nc_u32 v8, 0x3b0, v45
	v_dual_mov_b32 v2, 0 :: v_dual_add_nc_u32 v7, -1, v164
	v_or_b32_e32 v9, 8, v13
	s_mov_b32 s3, 0
	s_delay_alu instid0(VALU_DEP_2)
	v_dual_mov_b32 v4, v2 :: v_dual_mov_b32 v3, v1
	.p2align	6
.LBB58_69:                              ; =>This Inner Loop Header: Depth=1
	scratch_load_b128 v[14:17], v9, off offset:-8
	ds_load_b128 v[18:21], v8
	v_add_nc_u32_e32 v7, 1, v7
	v_add_nc_u32_e32 v8, 16, v8
	;; [unrolled: 1-line block ×3, first 2 shown]
	s_delay_alu instid0(VALU_DEP_3) | instskip(SKIP_4) | instid1(VALU_DEP_2)
	v_cmp_lt_u32_e32 vcc_lo, 12, v7
	s_or_b32 s3, vcc_lo, s3
	s_waitcnt vmcnt(0) lgkmcnt(0)
	v_mul_f64 v[10:11], v[20:21], v[16:17]
	v_mul_f64 v[16:17], v[18:19], v[16:17]
	v_fma_f64 v[10:11], v[18:19], v[14:15], -v[10:11]
	s_delay_alu instid0(VALU_DEP_2) | instskip(NEXT) | instid1(VALU_DEP_2)
	v_fma_f64 v[14:15], v[20:21], v[14:15], v[16:17]
	v_add_f64 v[3:4], v[3:4], v[10:11]
	s_delay_alu instid0(VALU_DEP_2)
	v_add_f64 v[1:2], v[1:2], v[14:15]
	s_and_not1_b32 exec_lo, exec_lo, s3
	s_cbranch_execnz .LBB58_69
; %bb.70:
	s_or_b32 exec_lo, exec_lo, s3
	v_mov_b32_e32 v7, 0
	ds_load_b128 v[7:10], v7 offset:224
	s_waitcnt lgkmcnt(0)
	v_mul_f64 v[11:12], v[1:2], v[9:10]
	v_mul_f64 v[14:15], v[3:4], v[9:10]
	s_delay_alu instid0(VALU_DEP_2) | instskip(NEXT) | instid1(VALU_DEP_2)
	v_fma_f64 v[9:10], v[3:4], v[7:8], -v[11:12]
	v_fma_f64 v[11:12], v[1:2], v[7:8], v[14:15]
	scratch_store_b128 off, v[9:12], off offset:224
.LBB58_71:
	s_or_b32 exec_lo, exec_lo, s2
	s_waitcnt_vscnt null, 0x0
	s_barrier
	buffer_gl0_inv
	scratch_load_b128 v[1:4], v231, off
	s_mov_b32 s2, exec_lo
	s_waitcnt vmcnt(0)
	ds_store_b128 v5, v[1:4]
	s_waitcnt lgkmcnt(0)
	s_barrier
	buffer_gl0_inv
	v_cmpx_gt_u32_e32 15, v164
	s_cbranch_execz .LBB58_75
; %bb.72:
	v_dual_mov_b32 v1, 0 :: v_dual_add_nc_u32 v8, 0x3b0, v45
	v_dual_mov_b32 v2, 0 :: v_dual_add_nc_u32 v7, -1, v164
	v_or_b32_e32 v9, 8, v13
	s_mov_b32 s3, 0
	s_delay_alu instid0(VALU_DEP_2)
	v_dual_mov_b32 v4, v2 :: v_dual_mov_b32 v3, v1
	.p2align	6
.LBB58_73:                              ; =>This Inner Loop Header: Depth=1
	scratch_load_b128 v[14:17], v9, off offset:-8
	ds_load_b128 v[18:21], v8
	v_add_nc_u32_e32 v7, 1, v7
	v_add_nc_u32_e32 v8, 16, v8
	;; [unrolled: 1-line block ×3, first 2 shown]
	s_delay_alu instid0(VALU_DEP_3) | instskip(SKIP_4) | instid1(VALU_DEP_2)
	v_cmp_lt_u32_e32 vcc_lo, 13, v7
	s_or_b32 s3, vcc_lo, s3
	s_waitcnt vmcnt(0) lgkmcnt(0)
	v_mul_f64 v[10:11], v[20:21], v[16:17]
	v_mul_f64 v[16:17], v[18:19], v[16:17]
	v_fma_f64 v[10:11], v[18:19], v[14:15], -v[10:11]
	s_delay_alu instid0(VALU_DEP_2) | instskip(NEXT) | instid1(VALU_DEP_2)
	v_fma_f64 v[14:15], v[20:21], v[14:15], v[16:17]
	v_add_f64 v[3:4], v[3:4], v[10:11]
	s_delay_alu instid0(VALU_DEP_2)
	v_add_f64 v[1:2], v[1:2], v[14:15]
	s_and_not1_b32 exec_lo, exec_lo, s3
	s_cbranch_execnz .LBB58_73
; %bb.74:
	s_or_b32 exec_lo, exec_lo, s3
	v_mov_b32_e32 v7, 0
	ds_load_b128 v[7:10], v7 offset:240
	s_waitcnt lgkmcnt(0)
	v_mul_f64 v[11:12], v[1:2], v[9:10]
	v_mul_f64 v[14:15], v[3:4], v[9:10]
	s_delay_alu instid0(VALU_DEP_2) | instskip(NEXT) | instid1(VALU_DEP_2)
	v_fma_f64 v[9:10], v[3:4], v[7:8], -v[11:12]
	v_fma_f64 v[11:12], v[1:2], v[7:8], v[14:15]
	scratch_store_b128 off, v[9:12], off offset:240
.LBB58_75:
	s_or_b32 exec_lo, exec_lo, s2
	s_waitcnt_vscnt null, 0x0
	s_barrier
	buffer_gl0_inv
	scratch_load_b32 v1, off, off offset:1004 ; 4-byte Folded Reload
	s_mov_b32 s2, exec_lo
	s_waitcnt vmcnt(0)
	scratch_load_b128 v[1:4], v1, off
	s_waitcnt vmcnt(0)
	ds_store_b128 v5, v[1:4]
	s_waitcnt lgkmcnt(0)
	s_barrier
	buffer_gl0_inv
	v_cmpx_gt_u32_e32 16, v164
	s_cbranch_execz .LBB58_79
; %bb.76:
	v_dual_mov_b32 v1, 0 :: v_dual_add_nc_u32 v8, 0x3b0, v45
	v_dual_mov_b32 v2, 0 :: v_dual_add_nc_u32 v7, -1, v164
	v_or_b32_e32 v9, 8, v13
	s_mov_b32 s3, 0
	s_delay_alu instid0(VALU_DEP_2)
	v_dual_mov_b32 v4, v2 :: v_dual_mov_b32 v3, v1
	.p2align	6
.LBB58_77:                              ; =>This Inner Loop Header: Depth=1
	scratch_load_b128 v[14:17], v9, off offset:-8
	ds_load_b128 v[18:21], v8
	v_add_nc_u32_e32 v7, 1, v7
	v_add_nc_u32_e32 v8, 16, v8
	;; [unrolled: 1-line block ×3, first 2 shown]
	s_delay_alu instid0(VALU_DEP_3) | instskip(SKIP_4) | instid1(VALU_DEP_2)
	v_cmp_lt_u32_e32 vcc_lo, 14, v7
	s_or_b32 s3, vcc_lo, s3
	s_waitcnt vmcnt(0) lgkmcnt(0)
	v_mul_f64 v[10:11], v[20:21], v[16:17]
	v_mul_f64 v[16:17], v[18:19], v[16:17]
	v_fma_f64 v[10:11], v[18:19], v[14:15], -v[10:11]
	s_delay_alu instid0(VALU_DEP_2) | instskip(NEXT) | instid1(VALU_DEP_2)
	v_fma_f64 v[14:15], v[20:21], v[14:15], v[16:17]
	v_add_f64 v[3:4], v[3:4], v[10:11]
	s_delay_alu instid0(VALU_DEP_2)
	v_add_f64 v[1:2], v[1:2], v[14:15]
	s_and_not1_b32 exec_lo, exec_lo, s3
	s_cbranch_execnz .LBB58_77
; %bb.78:
	s_or_b32 exec_lo, exec_lo, s3
	v_mov_b32_e32 v7, 0
	ds_load_b128 v[7:10], v7 offset:256
	s_waitcnt lgkmcnt(0)
	v_mul_f64 v[11:12], v[1:2], v[9:10]
	v_mul_f64 v[14:15], v[3:4], v[9:10]
	s_delay_alu instid0(VALU_DEP_2) | instskip(NEXT) | instid1(VALU_DEP_2)
	v_fma_f64 v[9:10], v[3:4], v[7:8], -v[11:12]
	v_fma_f64 v[11:12], v[1:2], v[7:8], v[14:15]
	scratch_store_b128 off, v[9:12], off offset:256
.LBB58_79:
	s_or_b32 exec_lo, exec_lo, s2
	s_waitcnt_vscnt null, 0x0
	s_barrier
	buffer_gl0_inv
	scratch_load_b32 v1, off, off offset:1000 ; 4-byte Folded Reload
	s_mov_b32 s2, exec_lo
	s_waitcnt vmcnt(0)
	scratch_load_b128 v[1:4], v1, off
	s_waitcnt vmcnt(0)
	ds_store_b128 v5, v[1:4]
	s_waitcnt lgkmcnt(0)
	s_barrier
	buffer_gl0_inv
	v_cmpx_gt_u32_e32 17, v164
	s_cbranch_execz .LBB58_83
; %bb.80:
	v_dual_mov_b32 v1, 0 :: v_dual_add_nc_u32 v8, 0x3b0, v45
	v_dual_mov_b32 v2, 0 :: v_dual_add_nc_u32 v7, -1, v164
	v_or_b32_e32 v9, 8, v13
	s_mov_b32 s3, 0
	s_delay_alu instid0(VALU_DEP_2)
	v_dual_mov_b32 v4, v2 :: v_dual_mov_b32 v3, v1
	.p2align	6
.LBB58_81:                              ; =>This Inner Loop Header: Depth=1
	scratch_load_b128 v[14:17], v9, off offset:-8
	ds_load_b128 v[18:21], v8
	v_add_nc_u32_e32 v7, 1, v7
	v_add_nc_u32_e32 v8, 16, v8
	;; [unrolled: 1-line block ×3, first 2 shown]
	s_delay_alu instid0(VALU_DEP_3) | instskip(SKIP_4) | instid1(VALU_DEP_2)
	v_cmp_lt_u32_e32 vcc_lo, 15, v7
	s_or_b32 s3, vcc_lo, s3
	s_waitcnt vmcnt(0) lgkmcnt(0)
	v_mul_f64 v[10:11], v[20:21], v[16:17]
	v_mul_f64 v[16:17], v[18:19], v[16:17]
	v_fma_f64 v[10:11], v[18:19], v[14:15], -v[10:11]
	s_delay_alu instid0(VALU_DEP_2) | instskip(NEXT) | instid1(VALU_DEP_2)
	v_fma_f64 v[14:15], v[20:21], v[14:15], v[16:17]
	v_add_f64 v[3:4], v[3:4], v[10:11]
	s_delay_alu instid0(VALU_DEP_2)
	v_add_f64 v[1:2], v[1:2], v[14:15]
	s_and_not1_b32 exec_lo, exec_lo, s3
	s_cbranch_execnz .LBB58_81
; %bb.82:
	s_or_b32 exec_lo, exec_lo, s3
	v_mov_b32_e32 v7, 0
	ds_load_b128 v[7:10], v7 offset:272
	s_waitcnt lgkmcnt(0)
	v_mul_f64 v[11:12], v[1:2], v[9:10]
	v_mul_f64 v[14:15], v[3:4], v[9:10]
	s_delay_alu instid0(VALU_DEP_2) | instskip(NEXT) | instid1(VALU_DEP_2)
	v_fma_f64 v[9:10], v[3:4], v[7:8], -v[11:12]
	v_fma_f64 v[11:12], v[1:2], v[7:8], v[14:15]
	scratch_store_b128 off, v[9:12], off offset:272
.LBB58_83:
	s_or_b32 exec_lo, exec_lo, s2
	s_waitcnt_vscnt null, 0x0
	s_barrier
	buffer_gl0_inv
	scratch_load_b32 v1, off, off offset:996 ; 4-byte Folded Reload
	s_mov_b32 s2, exec_lo
	s_waitcnt vmcnt(0)
	scratch_load_b128 v[1:4], v1, off
	s_waitcnt vmcnt(0)
	ds_store_b128 v5, v[1:4]
	s_waitcnt lgkmcnt(0)
	s_barrier
	buffer_gl0_inv
	v_cmpx_gt_u32_e32 18, v164
	s_cbranch_execz .LBB58_87
; %bb.84:
	v_dual_mov_b32 v1, 0 :: v_dual_add_nc_u32 v8, 0x3b0, v45
	v_dual_mov_b32 v2, 0 :: v_dual_add_nc_u32 v7, -1, v164
	v_or_b32_e32 v9, 8, v13
	s_mov_b32 s3, 0
	s_delay_alu instid0(VALU_DEP_2)
	v_dual_mov_b32 v4, v2 :: v_dual_mov_b32 v3, v1
	.p2align	6
.LBB58_85:                              ; =>This Inner Loop Header: Depth=1
	scratch_load_b128 v[14:17], v9, off offset:-8
	ds_load_b128 v[18:21], v8
	v_add_nc_u32_e32 v7, 1, v7
	v_add_nc_u32_e32 v8, 16, v8
	;; [unrolled: 1-line block ×3, first 2 shown]
	s_delay_alu instid0(VALU_DEP_3) | instskip(SKIP_4) | instid1(VALU_DEP_2)
	v_cmp_lt_u32_e32 vcc_lo, 16, v7
	s_or_b32 s3, vcc_lo, s3
	s_waitcnt vmcnt(0) lgkmcnt(0)
	v_mul_f64 v[10:11], v[20:21], v[16:17]
	v_mul_f64 v[16:17], v[18:19], v[16:17]
	v_fma_f64 v[10:11], v[18:19], v[14:15], -v[10:11]
	s_delay_alu instid0(VALU_DEP_2) | instskip(NEXT) | instid1(VALU_DEP_2)
	v_fma_f64 v[14:15], v[20:21], v[14:15], v[16:17]
	v_add_f64 v[3:4], v[3:4], v[10:11]
	s_delay_alu instid0(VALU_DEP_2)
	v_add_f64 v[1:2], v[1:2], v[14:15]
	s_and_not1_b32 exec_lo, exec_lo, s3
	s_cbranch_execnz .LBB58_85
; %bb.86:
	s_or_b32 exec_lo, exec_lo, s3
	v_mov_b32_e32 v7, 0
	ds_load_b128 v[7:10], v7 offset:288
	s_waitcnt lgkmcnt(0)
	v_mul_f64 v[11:12], v[1:2], v[9:10]
	v_mul_f64 v[14:15], v[3:4], v[9:10]
	s_delay_alu instid0(VALU_DEP_2) | instskip(NEXT) | instid1(VALU_DEP_2)
	v_fma_f64 v[9:10], v[3:4], v[7:8], -v[11:12]
	v_fma_f64 v[11:12], v[1:2], v[7:8], v[14:15]
	scratch_store_b128 off, v[9:12], off offset:288
.LBB58_87:
	s_or_b32 exec_lo, exec_lo, s2
	s_waitcnt_vscnt null, 0x0
	s_barrier
	buffer_gl0_inv
	scratch_load_b128 v[1:4], v255, off
	s_mov_b32 s2, exec_lo
	s_waitcnt vmcnt(0)
	ds_store_b128 v5, v[1:4]
	s_waitcnt lgkmcnt(0)
	s_barrier
	buffer_gl0_inv
	v_cmpx_gt_u32_e32 19, v164
	s_cbranch_execz .LBB58_91
; %bb.88:
	v_dual_mov_b32 v1, 0 :: v_dual_add_nc_u32 v8, 0x3b0, v45
	v_dual_mov_b32 v2, 0 :: v_dual_add_nc_u32 v7, -1, v164
	v_or_b32_e32 v9, 8, v13
	s_mov_b32 s3, 0
	s_delay_alu instid0(VALU_DEP_2)
	v_dual_mov_b32 v4, v2 :: v_dual_mov_b32 v3, v1
	.p2align	6
.LBB58_89:                              ; =>This Inner Loop Header: Depth=1
	scratch_load_b128 v[14:17], v9, off offset:-8
	ds_load_b128 v[18:21], v8
	v_add_nc_u32_e32 v7, 1, v7
	v_add_nc_u32_e32 v8, 16, v8
	;; [unrolled: 1-line block ×3, first 2 shown]
	s_delay_alu instid0(VALU_DEP_3) | instskip(SKIP_4) | instid1(VALU_DEP_2)
	v_cmp_lt_u32_e32 vcc_lo, 17, v7
	s_or_b32 s3, vcc_lo, s3
	s_waitcnt vmcnt(0) lgkmcnt(0)
	v_mul_f64 v[10:11], v[20:21], v[16:17]
	v_mul_f64 v[16:17], v[18:19], v[16:17]
	v_fma_f64 v[10:11], v[18:19], v[14:15], -v[10:11]
	s_delay_alu instid0(VALU_DEP_2) | instskip(NEXT) | instid1(VALU_DEP_2)
	v_fma_f64 v[14:15], v[20:21], v[14:15], v[16:17]
	v_add_f64 v[3:4], v[3:4], v[10:11]
	s_delay_alu instid0(VALU_DEP_2)
	v_add_f64 v[1:2], v[1:2], v[14:15]
	s_and_not1_b32 exec_lo, exec_lo, s3
	s_cbranch_execnz .LBB58_89
; %bb.90:
	s_or_b32 exec_lo, exec_lo, s3
	v_mov_b32_e32 v7, 0
	ds_load_b128 v[7:10], v7 offset:304
	s_waitcnt lgkmcnt(0)
	v_mul_f64 v[11:12], v[1:2], v[9:10]
	v_mul_f64 v[14:15], v[3:4], v[9:10]
	s_delay_alu instid0(VALU_DEP_2) | instskip(NEXT) | instid1(VALU_DEP_2)
	v_fma_f64 v[9:10], v[3:4], v[7:8], -v[11:12]
	v_fma_f64 v[11:12], v[1:2], v[7:8], v[14:15]
	scratch_store_b128 off, v[9:12], off offset:304
.LBB58_91:
	s_or_b32 exec_lo, exec_lo, s2
	s_waitcnt_vscnt null, 0x0
	s_barrier
	buffer_gl0_inv
	scratch_load_b32 v1, off, off offset:992 ; 4-byte Folded Reload
	s_mov_b32 s2, exec_lo
	s_waitcnt vmcnt(0)
	scratch_load_b128 v[1:4], v1, off
	s_waitcnt vmcnt(0)
	ds_store_b128 v5, v[1:4]
	s_waitcnt lgkmcnt(0)
	s_barrier
	buffer_gl0_inv
	v_cmpx_gt_u32_e32 20, v164
	s_cbranch_execz .LBB58_95
; %bb.92:
	v_dual_mov_b32 v1, 0 :: v_dual_add_nc_u32 v8, 0x3b0, v45
	v_dual_mov_b32 v2, 0 :: v_dual_add_nc_u32 v7, -1, v164
	v_or_b32_e32 v9, 8, v13
	s_mov_b32 s3, 0
	s_delay_alu instid0(VALU_DEP_2)
	v_dual_mov_b32 v4, v2 :: v_dual_mov_b32 v3, v1
	.p2align	6
.LBB58_93:                              ; =>This Inner Loop Header: Depth=1
	scratch_load_b128 v[14:17], v9, off offset:-8
	ds_load_b128 v[18:21], v8
	v_add_nc_u32_e32 v7, 1, v7
	v_add_nc_u32_e32 v8, 16, v8
	;; [unrolled: 1-line block ×3, first 2 shown]
	s_delay_alu instid0(VALU_DEP_3) | instskip(SKIP_4) | instid1(VALU_DEP_2)
	v_cmp_lt_u32_e32 vcc_lo, 18, v7
	s_or_b32 s3, vcc_lo, s3
	s_waitcnt vmcnt(0) lgkmcnt(0)
	v_mul_f64 v[10:11], v[20:21], v[16:17]
	v_mul_f64 v[16:17], v[18:19], v[16:17]
	v_fma_f64 v[10:11], v[18:19], v[14:15], -v[10:11]
	s_delay_alu instid0(VALU_DEP_2) | instskip(NEXT) | instid1(VALU_DEP_2)
	v_fma_f64 v[14:15], v[20:21], v[14:15], v[16:17]
	v_add_f64 v[3:4], v[3:4], v[10:11]
	s_delay_alu instid0(VALU_DEP_2)
	v_add_f64 v[1:2], v[1:2], v[14:15]
	s_and_not1_b32 exec_lo, exec_lo, s3
	s_cbranch_execnz .LBB58_93
; %bb.94:
	s_or_b32 exec_lo, exec_lo, s3
	v_mov_b32_e32 v7, 0
	ds_load_b128 v[7:10], v7 offset:320
	s_waitcnt lgkmcnt(0)
	v_mul_f64 v[11:12], v[1:2], v[9:10]
	v_mul_f64 v[14:15], v[3:4], v[9:10]
	s_delay_alu instid0(VALU_DEP_2) | instskip(NEXT) | instid1(VALU_DEP_2)
	v_fma_f64 v[9:10], v[3:4], v[7:8], -v[11:12]
	v_fma_f64 v[11:12], v[1:2], v[7:8], v[14:15]
	scratch_store_b128 off, v[9:12], off offset:320
.LBB58_95:
	s_or_b32 exec_lo, exec_lo, s2
	s_waitcnt_vscnt null, 0x0
	s_barrier
	buffer_gl0_inv
	scratch_load_b32 v1, off, off offset:988 ; 4-byte Folded Reload
	s_mov_b32 s2, exec_lo
	s_waitcnt vmcnt(0)
	scratch_load_b128 v[1:4], v1, off
	s_waitcnt vmcnt(0)
	ds_store_b128 v5, v[1:4]
	s_waitcnt lgkmcnt(0)
	s_barrier
	buffer_gl0_inv
	v_cmpx_gt_u32_e32 21, v164
	s_cbranch_execz .LBB58_99
; %bb.96:
	v_dual_mov_b32 v1, 0 :: v_dual_add_nc_u32 v8, 0x3b0, v45
	v_dual_mov_b32 v2, 0 :: v_dual_add_nc_u32 v7, -1, v164
	v_or_b32_e32 v9, 8, v13
	s_mov_b32 s3, 0
	s_delay_alu instid0(VALU_DEP_2)
	v_dual_mov_b32 v4, v2 :: v_dual_mov_b32 v3, v1
	.p2align	6
.LBB58_97:                              ; =>This Inner Loop Header: Depth=1
	scratch_load_b128 v[14:17], v9, off offset:-8
	ds_load_b128 v[18:21], v8
	v_add_nc_u32_e32 v7, 1, v7
	v_add_nc_u32_e32 v8, 16, v8
	;; [unrolled: 1-line block ×3, first 2 shown]
	s_delay_alu instid0(VALU_DEP_3) | instskip(SKIP_4) | instid1(VALU_DEP_2)
	v_cmp_lt_u32_e32 vcc_lo, 19, v7
	s_or_b32 s3, vcc_lo, s3
	s_waitcnt vmcnt(0) lgkmcnt(0)
	v_mul_f64 v[10:11], v[20:21], v[16:17]
	v_mul_f64 v[16:17], v[18:19], v[16:17]
	v_fma_f64 v[10:11], v[18:19], v[14:15], -v[10:11]
	s_delay_alu instid0(VALU_DEP_2) | instskip(NEXT) | instid1(VALU_DEP_2)
	v_fma_f64 v[14:15], v[20:21], v[14:15], v[16:17]
	v_add_f64 v[3:4], v[3:4], v[10:11]
	s_delay_alu instid0(VALU_DEP_2)
	v_add_f64 v[1:2], v[1:2], v[14:15]
	s_and_not1_b32 exec_lo, exec_lo, s3
	s_cbranch_execnz .LBB58_97
; %bb.98:
	s_or_b32 exec_lo, exec_lo, s3
	v_mov_b32_e32 v7, 0
	ds_load_b128 v[7:10], v7 offset:336
	s_waitcnt lgkmcnt(0)
	v_mul_f64 v[11:12], v[1:2], v[9:10]
	v_mul_f64 v[14:15], v[3:4], v[9:10]
	s_delay_alu instid0(VALU_DEP_2) | instskip(NEXT) | instid1(VALU_DEP_2)
	v_fma_f64 v[9:10], v[3:4], v[7:8], -v[11:12]
	v_fma_f64 v[11:12], v[1:2], v[7:8], v[14:15]
	scratch_store_b128 off, v[9:12], off offset:336
.LBB58_99:
	s_or_b32 exec_lo, exec_lo, s2
	s_waitcnt_vscnt null, 0x0
	s_barrier
	buffer_gl0_inv
	scratch_load_b32 v1, off, off offset:984 ; 4-byte Folded Reload
	s_mov_b32 s2, exec_lo
	s_waitcnt vmcnt(0)
	scratch_load_b128 v[1:4], v1, off
	s_waitcnt vmcnt(0)
	ds_store_b128 v5, v[1:4]
	s_waitcnt lgkmcnt(0)
	s_barrier
	buffer_gl0_inv
	v_cmpx_gt_u32_e32 22, v164
	s_cbranch_execz .LBB58_103
; %bb.100:
	v_dual_mov_b32 v1, 0 :: v_dual_add_nc_u32 v8, 0x3b0, v45
	v_dual_mov_b32 v2, 0 :: v_dual_add_nc_u32 v7, -1, v164
	v_or_b32_e32 v9, 8, v13
	s_mov_b32 s3, 0
	s_delay_alu instid0(VALU_DEP_2)
	v_dual_mov_b32 v4, v2 :: v_dual_mov_b32 v3, v1
	.p2align	6
.LBB58_101:                             ; =>This Inner Loop Header: Depth=1
	scratch_load_b128 v[14:17], v9, off offset:-8
	ds_load_b128 v[18:21], v8
	v_add_nc_u32_e32 v7, 1, v7
	v_add_nc_u32_e32 v8, 16, v8
	;; [unrolled: 1-line block ×3, first 2 shown]
	s_delay_alu instid0(VALU_DEP_3) | instskip(SKIP_4) | instid1(VALU_DEP_2)
	v_cmp_lt_u32_e32 vcc_lo, 20, v7
	s_or_b32 s3, vcc_lo, s3
	s_waitcnt vmcnt(0) lgkmcnt(0)
	v_mul_f64 v[10:11], v[20:21], v[16:17]
	v_mul_f64 v[16:17], v[18:19], v[16:17]
	v_fma_f64 v[10:11], v[18:19], v[14:15], -v[10:11]
	s_delay_alu instid0(VALU_DEP_2) | instskip(NEXT) | instid1(VALU_DEP_2)
	v_fma_f64 v[14:15], v[20:21], v[14:15], v[16:17]
	v_add_f64 v[3:4], v[3:4], v[10:11]
	s_delay_alu instid0(VALU_DEP_2)
	v_add_f64 v[1:2], v[1:2], v[14:15]
	s_and_not1_b32 exec_lo, exec_lo, s3
	s_cbranch_execnz .LBB58_101
; %bb.102:
	s_or_b32 exec_lo, exec_lo, s3
	v_mov_b32_e32 v7, 0
	ds_load_b128 v[7:10], v7 offset:352
	s_waitcnt lgkmcnt(0)
	v_mul_f64 v[11:12], v[1:2], v[9:10]
	v_mul_f64 v[14:15], v[3:4], v[9:10]
	s_delay_alu instid0(VALU_DEP_2) | instskip(NEXT) | instid1(VALU_DEP_2)
	v_fma_f64 v[9:10], v[3:4], v[7:8], -v[11:12]
	v_fma_f64 v[11:12], v[1:2], v[7:8], v[14:15]
	scratch_store_b128 off, v[9:12], off offset:352
.LBB58_103:
	s_or_b32 exec_lo, exec_lo, s2
	s_waitcnt_vscnt null, 0x0
	s_barrier
	buffer_gl0_inv
	scratch_load_b32 v1, off, off offset:980 ; 4-byte Folded Reload
	s_mov_b32 s2, exec_lo
	s_waitcnt vmcnt(0)
	scratch_load_b128 v[1:4], v1, off
	s_waitcnt vmcnt(0)
	ds_store_b128 v5, v[1:4]
	s_waitcnt lgkmcnt(0)
	s_barrier
	buffer_gl0_inv
	v_cmpx_gt_u32_e32 23, v164
	s_cbranch_execz .LBB58_107
; %bb.104:
	v_dual_mov_b32 v1, 0 :: v_dual_add_nc_u32 v8, 0x3b0, v45
	v_dual_mov_b32 v2, 0 :: v_dual_add_nc_u32 v7, -1, v164
	v_or_b32_e32 v9, 8, v13
	s_mov_b32 s3, 0
	s_delay_alu instid0(VALU_DEP_2)
	v_dual_mov_b32 v4, v2 :: v_dual_mov_b32 v3, v1
	.p2align	6
.LBB58_105:                             ; =>This Inner Loop Header: Depth=1
	scratch_load_b128 v[14:17], v9, off offset:-8
	ds_load_b128 v[18:21], v8
	v_add_nc_u32_e32 v7, 1, v7
	v_add_nc_u32_e32 v8, 16, v8
	;; [unrolled: 1-line block ×3, first 2 shown]
	s_delay_alu instid0(VALU_DEP_3) | instskip(SKIP_4) | instid1(VALU_DEP_2)
	v_cmp_lt_u32_e32 vcc_lo, 21, v7
	s_or_b32 s3, vcc_lo, s3
	s_waitcnt vmcnt(0) lgkmcnt(0)
	v_mul_f64 v[10:11], v[20:21], v[16:17]
	v_mul_f64 v[16:17], v[18:19], v[16:17]
	v_fma_f64 v[10:11], v[18:19], v[14:15], -v[10:11]
	s_delay_alu instid0(VALU_DEP_2) | instskip(NEXT) | instid1(VALU_DEP_2)
	v_fma_f64 v[14:15], v[20:21], v[14:15], v[16:17]
	v_add_f64 v[3:4], v[3:4], v[10:11]
	s_delay_alu instid0(VALU_DEP_2)
	v_add_f64 v[1:2], v[1:2], v[14:15]
	s_and_not1_b32 exec_lo, exec_lo, s3
	s_cbranch_execnz .LBB58_105
; %bb.106:
	s_or_b32 exec_lo, exec_lo, s3
	v_mov_b32_e32 v7, 0
	ds_load_b128 v[7:10], v7 offset:368
	s_waitcnt lgkmcnt(0)
	v_mul_f64 v[11:12], v[1:2], v[9:10]
	v_mul_f64 v[14:15], v[3:4], v[9:10]
	s_delay_alu instid0(VALU_DEP_2) | instskip(NEXT) | instid1(VALU_DEP_2)
	v_fma_f64 v[9:10], v[3:4], v[7:8], -v[11:12]
	v_fma_f64 v[11:12], v[1:2], v[7:8], v[14:15]
	scratch_store_b128 off, v[9:12], off offset:368
.LBB58_107:
	s_or_b32 exec_lo, exec_lo, s2
	s_waitcnt_vscnt null, 0x0
	s_barrier
	buffer_gl0_inv
	scratch_load_b32 v1, off, off offset:976 ; 4-byte Folded Reload
	s_mov_b32 s2, exec_lo
	s_waitcnt vmcnt(0)
	scratch_load_b128 v[1:4], v1, off
	s_waitcnt vmcnt(0)
	ds_store_b128 v5, v[1:4]
	s_waitcnt lgkmcnt(0)
	s_barrier
	buffer_gl0_inv
	v_cmpx_gt_u32_e32 24, v164
	s_cbranch_execz .LBB58_111
; %bb.108:
	v_dual_mov_b32 v1, 0 :: v_dual_add_nc_u32 v8, 0x3b0, v45
	v_dual_mov_b32 v2, 0 :: v_dual_add_nc_u32 v7, -1, v164
	v_or_b32_e32 v9, 8, v13
	s_mov_b32 s3, 0
	s_delay_alu instid0(VALU_DEP_2)
	v_dual_mov_b32 v4, v2 :: v_dual_mov_b32 v3, v1
	.p2align	6
.LBB58_109:                             ; =>This Inner Loop Header: Depth=1
	scratch_load_b128 v[14:17], v9, off offset:-8
	ds_load_b128 v[18:21], v8
	v_add_nc_u32_e32 v7, 1, v7
	v_add_nc_u32_e32 v8, 16, v8
	;; [unrolled: 1-line block ×3, first 2 shown]
	s_delay_alu instid0(VALU_DEP_3) | instskip(SKIP_4) | instid1(VALU_DEP_2)
	v_cmp_lt_u32_e32 vcc_lo, 22, v7
	s_or_b32 s3, vcc_lo, s3
	s_waitcnt vmcnt(0) lgkmcnt(0)
	v_mul_f64 v[10:11], v[20:21], v[16:17]
	v_mul_f64 v[16:17], v[18:19], v[16:17]
	v_fma_f64 v[10:11], v[18:19], v[14:15], -v[10:11]
	s_delay_alu instid0(VALU_DEP_2) | instskip(NEXT) | instid1(VALU_DEP_2)
	v_fma_f64 v[14:15], v[20:21], v[14:15], v[16:17]
	v_add_f64 v[3:4], v[3:4], v[10:11]
	s_delay_alu instid0(VALU_DEP_2)
	v_add_f64 v[1:2], v[1:2], v[14:15]
	s_and_not1_b32 exec_lo, exec_lo, s3
	s_cbranch_execnz .LBB58_109
; %bb.110:
	s_or_b32 exec_lo, exec_lo, s3
	v_mov_b32_e32 v7, 0
	ds_load_b128 v[7:10], v7 offset:384
	s_waitcnt lgkmcnt(0)
	v_mul_f64 v[11:12], v[1:2], v[9:10]
	v_mul_f64 v[14:15], v[3:4], v[9:10]
	s_delay_alu instid0(VALU_DEP_2) | instskip(NEXT) | instid1(VALU_DEP_2)
	v_fma_f64 v[9:10], v[3:4], v[7:8], -v[11:12]
	v_fma_f64 v[11:12], v[1:2], v[7:8], v[14:15]
	scratch_store_b128 off, v[9:12], off offset:384
.LBB58_111:
	s_or_b32 exec_lo, exec_lo, s2
	s_waitcnt_vscnt null, 0x0
	s_barrier
	buffer_gl0_inv
	scratch_load_b32 v1, off, off offset:972 ; 4-byte Folded Reload
	s_mov_b32 s2, exec_lo
	s_waitcnt vmcnt(0)
	scratch_load_b128 v[1:4], v1, off
	s_waitcnt vmcnt(0)
	ds_store_b128 v5, v[1:4]
	s_waitcnt lgkmcnt(0)
	s_barrier
	buffer_gl0_inv
	v_cmpx_gt_u32_e32 25, v164
	s_cbranch_execz .LBB58_115
; %bb.112:
	v_dual_mov_b32 v1, 0 :: v_dual_add_nc_u32 v8, 0x3b0, v45
	v_dual_mov_b32 v2, 0 :: v_dual_add_nc_u32 v7, -1, v164
	v_or_b32_e32 v9, 8, v13
	s_mov_b32 s3, 0
	s_delay_alu instid0(VALU_DEP_2)
	v_dual_mov_b32 v4, v2 :: v_dual_mov_b32 v3, v1
	.p2align	6
.LBB58_113:                             ; =>This Inner Loop Header: Depth=1
	scratch_load_b128 v[14:17], v9, off offset:-8
	ds_load_b128 v[18:21], v8
	v_add_nc_u32_e32 v7, 1, v7
	v_add_nc_u32_e32 v8, 16, v8
	;; [unrolled: 1-line block ×3, first 2 shown]
	s_delay_alu instid0(VALU_DEP_3) | instskip(SKIP_4) | instid1(VALU_DEP_2)
	v_cmp_lt_u32_e32 vcc_lo, 23, v7
	s_or_b32 s3, vcc_lo, s3
	s_waitcnt vmcnt(0) lgkmcnt(0)
	v_mul_f64 v[10:11], v[20:21], v[16:17]
	v_mul_f64 v[16:17], v[18:19], v[16:17]
	v_fma_f64 v[10:11], v[18:19], v[14:15], -v[10:11]
	s_delay_alu instid0(VALU_DEP_2) | instskip(NEXT) | instid1(VALU_DEP_2)
	v_fma_f64 v[14:15], v[20:21], v[14:15], v[16:17]
	v_add_f64 v[3:4], v[3:4], v[10:11]
	s_delay_alu instid0(VALU_DEP_2)
	v_add_f64 v[1:2], v[1:2], v[14:15]
	s_and_not1_b32 exec_lo, exec_lo, s3
	s_cbranch_execnz .LBB58_113
; %bb.114:
	s_or_b32 exec_lo, exec_lo, s3
	v_mov_b32_e32 v7, 0
	ds_load_b128 v[7:10], v7 offset:400
	s_waitcnt lgkmcnt(0)
	v_mul_f64 v[11:12], v[1:2], v[9:10]
	v_mul_f64 v[14:15], v[3:4], v[9:10]
	s_delay_alu instid0(VALU_DEP_2) | instskip(NEXT) | instid1(VALU_DEP_2)
	v_fma_f64 v[9:10], v[3:4], v[7:8], -v[11:12]
	v_fma_f64 v[11:12], v[1:2], v[7:8], v[14:15]
	scratch_store_b128 off, v[9:12], off offset:400
.LBB58_115:
	s_or_b32 exec_lo, exec_lo, s2
	s_waitcnt_vscnt null, 0x0
	s_barrier
	buffer_gl0_inv
	scratch_load_b32 v1, off, off offset:968 ; 4-byte Folded Reload
	s_mov_b32 s2, exec_lo
	s_waitcnt vmcnt(0)
	scratch_load_b128 v[1:4], v1, off
	s_waitcnt vmcnt(0)
	ds_store_b128 v5, v[1:4]
	s_waitcnt lgkmcnt(0)
	s_barrier
	buffer_gl0_inv
	v_cmpx_gt_u32_e32 26, v164
	s_cbranch_execz .LBB58_119
; %bb.116:
	v_dual_mov_b32 v1, 0 :: v_dual_add_nc_u32 v8, 0x3b0, v45
	v_dual_mov_b32 v2, 0 :: v_dual_add_nc_u32 v7, -1, v164
	v_or_b32_e32 v9, 8, v13
	s_mov_b32 s3, 0
	s_delay_alu instid0(VALU_DEP_2)
	v_dual_mov_b32 v4, v2 :: v_dual_mov_b32 v3, v1
	.p2align	6
.LBB58_117:                             ; =>This Inner Loop Header: Depth=1
	scratch_load_b128 v[14:17], v9, off offset:-8
	ds_load_b128 v[18:21], v8
	v_add_nc_u32_e32 v7, 1, v7
	v_add_nc_u32_e32 v8, 16, v8
	;; [unrolled: 1-line block ×3, first 2 shown]
	s_delay_alu instid0(VALU_DEP_3) | instskip(SKIP_4) | instid1(VALU_DEP_2)
	v_cmp_lt_u32_e32 vcc_lo, 24, v7
	s_or_b32 s3, vcc_lo, s3
	s_waitcnt vmcnt(0) lgkmcnt(0)
	v_mul_f64 v[10:11], v[20:21], v[16:17]
	v_mul_f64 v[16:17], v[18:19], v[16:17]
	v_fma_f64 v[10:11], v[18:19], v[14:15], -v[10:11]
	s_delay_alu instid0(VALU_DEP_2) | instskip(NEXT) | instid1(VALU_DEP_2)
	v_fma_f64 v[14:15], v[20:21], v[14:15], v[16:17]
	v_add_f64 v[3:4], v[3:4], v[10:11]
	s_delay_alu instid0(VALU_DEP_2)
	v_add_f64 v[1:2], v[1:2], v[14:15]
	s_and_not1_b32 exec_lo, exec_lo, s3
	s_cbranch_execnz .LBB58_117
; %bb.118:
	s_or_b32 exec_lo, exec_lo, s3
	v_mov_b32_e32 v7, 0
	ds_load_b128 v[7:10], v7 offset:416
	s_waitcnt lgkmcnt(0)
	v_mul_f64 v[11:12], v[1:2], v[9:10]
	v_mul_f64 v[14:15], v[3:4], v[9:10]
	s_delay_alu instid0(VALU_DEP_2) | instskip(NEXT) | instid1(VALU_DEP_2)
	v_fma_f64 v[9:10], v[3:4], v[7:8], -v[11:12]
	v_fma_f64 v[11:12], v[1:2], v[7:8], v[14:15]
	scratch_store_b128 off, v[9:12], off offset:416
.LBB58_119:
	s_or_b32 exec_lo, exec_lo, s2
	s_waitcnt_vscnt null, 0x0
	s_barrier
	buffer_gl0_inv
	scratch_load_b32 v1, off, off offset:964 ; 4-byte Folded Reload
	s_mov_b32 s2, exec_lo
	s_waitcnt vmcnt(0)
	scratch_load_b128 v[1:4], v1, off
	s_waitcnt vmcnt(0)
	ds_store_b128 v5, v[1:4]
	s_waitcnt lgkmcnt(0)
	s_barrier
	buffer_gl0_inv
	v_cmpx_gt_u32_e32 27, v164
	s_cbranch_execz .LBB58_123
; %bb.120:
	v_dual_mov_b32 v1, 0 :: v_dual_add_nc_u32 v8, 0x3b0, v45
	v_dual_mov_b32 v2, 0 :: v_dual_add_nc_u32 v7, -1, v164
	v_or_b32_e32 v9, 8, v13
	s_mov_b32 s3, 0
	s_delay_alu instid0(VALU_DEP_2)
	v_dual_mov_b32 v4, v2 :: v_dual_mov_b32 v3, v1
	.p2align	6
.LBB58_121:                             ; =>This Inner Loop Header: Depth=1
	scratch_load_b128 v[14:17], v9, off offset:-8
	ds_load_b128 v[18:21], v8
	v_add_nc_u32_e32 v7, 1, v7
	v_add_nc_u32_e32 v8, 16, v8
	;; [unrolled: 1-line block ×3, first 2 shown]
	s_delay_alu instid0(VALU_DEP_3) | instskip(SKIP_4) | instid1(VALU_DEP_2)
	v_cmp_lt_u32_e32 vcc_lo, 25, v7
	s_or_b32 s3, vcc_lo, s3
	s_waitcnt vmcnt(0) lgkmcnt(0)
	v_mul_f64 v[10:11], v[20:21], v[16:17]
	v_mul_f64 v[16:17], v[18:19], v[16:17]
	v_fma_f64 v[10:11], v[18:19], v[14:15], -v[10:11]
	s_delay_alu instid0(VALU_DEP_2) | instskip(NEXT) | instid1(VALU_DEP_2)
	v_fma_f64 v[14:15], v[20:21], v[14:15], v[16:17]
	v_add_f64 v[3:4], v[3:4], v[10:11]
	s_delay_alu instid0(VALU_DEP_2)
	v_add_f64 v[1:2], v[1:2], v[14:15]
	s_and_not1_b32 exec_lo, exec_lo, s3
	s_cbranch_execnz .LBB58_121
; %bb.122:
	s_or_b32 exec_lo, exec_lo, s3
	v_mov_b32_e32 v7, 0
	ds_load_b128 v[7:10], v7 offset:432
	s_waitcnt lgkmcnt(0)
	v_mul_f64 v[11:12], v[1:2], v[9:10]
	v_mul_f64 v[14:15], v[3:4], v[9:10]
	s_delay_alu instid0(VALU_DEP_2) | instskip(NEXT) | instid1(VALU_DEP_2)
	v_fma_f64 v[9:10], v[3:4], v[7:8], -v[11:12]
	v_fma_f64 v[11:12], v[1:2], v[7:8], v[14:15]
	scratch_store_b128 off, v[9:12], off offset:432
.LBB58_123:
	s_or_b32 exec_lo, exec_lo, s2
	s_waitcnt_vscnt null, 0x0
	s_barrier
	buffer_gl0_inv
	scratch_load_b32 v1, off, off offset:960 ; 4-byte Folded Reload
	s_mov_b32 s2, exec_lo
	s_waitcnt vmcnt(0)
	scratch_load_b128 v[1:4], v1, off
	s_waitcnt vmcnt(0)
	ds_store_b128 v5, v[1:4]
	s_waitcnt lgkmcnt(0)
	s_barrier
	buffer_gl0_inv
	v_cmpx_gt_u32_e32 28, v164
	s_cbranch_execz .LBB58_127
; %bb.124:
	v_dual_mov_b32 v1, 0 :: v_dual_add_nc_u32 v8, 0x3b0, v45
	v_dual_mov_b32 v2, 0 :: v_dual_add_nc_u32 v7, -1, v164
	v_or_b32_e32 v9, 8, v13
	s_mov_b32 s3, 0
	s_delay_alu instid0(VALU_DEP_2)
	v_dual_mov_b32 v4, v2 :: v_dual_mov_b32 v3, v1
	.p2align	6
.LBB58_125:                             ; =>This Inner Loop Header: Depth=1
	scratch_load_b128 v[14:17], v9, off offset:-8
	ds_load_b128 v[18:21], v8
	v_add_nc_u32_e32 v7, 1, v7
	v_add_nc_u32_e32 v8, 16, v8
	;; [unrolled: 1-line block ×3, first 2 shown]
	s_delay_alu instid0(VALU_DEP_3) | instskip(SKIP_4) | instid1(VALU_DEP_2)
	v_cmp_lt_u32_e32 vcc_lo, 26, v7
	s_or_b32 s3, vcc_lo, s3
	s_waitcnt vmcnt(0) lgkmcnt(0)
	v_mul_f64 v[10:11], v[20:21], v[16:17]
	v_mul_f64 v[16:17], v[18:19], v[16:17]
	v_fma_f64 v[10:11], v[18:19], v[14:15], -v[10:11]
	s_delay_alu instid0(VALU_DEP_2) | instskip(NEXT) | instid1(VALU_DEP_2)
	v_fma_f64 v[14:15], v[20:21], v[14:15], v[16:17]
	v_add_f64 v[3:4], v[3:4], v[10:11]
	s_delay_alu instid0(VALU_DEP_2)
	v_add_f64 v[1:2], v[1:2], v[14:15]
	s_and_not1_b32 exec_lo, exec_lo, s3
	s_cbranch_execnz .LBB58_125
; %bb.126:
	s_or_b32 exec_lo, exec_lo, s3
	v_mov_b32_e32 v7, 0
	ds_load_b128 v[7:10], v7 offset:448
	s_waitcnt lgkmcnt(0)
	v_mul_f64 v[11:12], v[1:2], v[9:10]
	v_mul_f64 v[14:15], v[3:4], v[9:10]
	s_delay_alu instid0(VALU_DEP_2) | instskip(NEXT) | instid1(VALU_DEP_2)
	v_fma_f64 v[9:10], v[3:4], v[7:8], -v[11:12]
	v_fma_f64 v[11:12], v[1:2], v[7:8], v[14:15]
	scratch_store_b128 off, v[9:12], off offset:448
.LBB58_127:
	s_or_b32 exec_lo, exec_lo, s2
	s_waitcnt_vscnt null, 0x0
	s_barrier
	buffer_gl0_inv
	scratch_load_b32 v1, off, off offset:956 ; 4-byte Folded Reload
	s_mov_b32 s2, exec_lo
	s_waitcnt vmcnt(0)
	scratch_load_b128 v[1:4], v1, off
	s_waitcnt vmcnt(0)
	ds_store_b128 v5, v[1:4]
	s_waitcnt lgkmcnt(0)
	s_barrier
	buffer_gl0_inv
	v_cmpx_gt_u32_e32 29, v164
	s_cbranch_execz .LBB58_131
; %bb.128:
	v_dual_mov_b32 v1, 0 :: v_dual_add_nc_u32 v8, 0x3b0, v45
	v_dual_mov_b32 v2, 0 :: v_dual_add_nc_u32 v7, -1, v164
	v_or_b32_e32 v9, 8, v13
	s_mov_b32 s3, 0
	s_delay_alu instid0(VALU_DEP_2)
	v_dual_mov_b32 v4, v2 :: v_dual_mov_b32 v3, v1
	.p2align	6
.LBB58_129:                             ; =>This Inner Loop Header: Depth=1
	scratch_load_b128 v[14:17], v9, off offset:-8
	ds_load_b128 v[18:21], v8
	v_add_nc_u32_e32 v7, 1, v7
	v_add_nc_u32_e32 v8, 16, v8
	;; [unrolled: 1-line block ×3, first 2 shown]
	s_delay_alu instid0(VALU_DEP_3) | instskip(SKIP_4) | instid1(VALU_DEP_2)
	v_cmp_lt_u32_e32 vcc_lo, 27, v7
	s_or_b32 s3, vcc_lo, s3
	s_waitcnt vmcnt(0) lgkmcnt(0)
	v_mul_f64 v[10:11], v[20:21], v[16:17]
	v_mul_f64 v[16:17], v[18:19], v[16:17]
	v_fma_f64 v[10:11], v[18:19], v[14:15], -v[10:11]
	s_delay_alu instid0(VALU_DEP_2) | instskip(NEXT) | instid1(VALU_DEP_2)
	v_fma_f64 v[14:15], v[20:21], v[14:15], v[16:17]
	v_add_f64 v[3:4], v[3:4], v[10:11]
	s_delay_alu instid0(VALU_DEP_2)
	v_add_f64 v[1:2], v[1:2], v[14:15]
	s_and_not1_b32 exec_lo, exec_lo, s3
	s_cbranch_execnz .LBB58_129
; %bb.130:
	s_or_b32 exec_lo, exec_lo, s3
	v_mov_b32_e32 v7, 0
	ds_load_b128 v[7:10], v7 offset:464
	s_waitcnt lgkmcnt(0)
	v_mul_f64 v[11:12], v[1:2], v[9:10]
	v_mul_f64 v[14:15], v[3:4], v[9:10]
	s_delay_alu instid0(VALU_DEP_2) | instskip(NEXT) | instid1(VALU_DEP_2)
	v_fma_f64 v[9:10], v[3:4], v[7:8], -v[11:12]
	v_fma_f64 v[11:12], v[1:2], v[7:8], v[14:15]
	scratch_store_b128 off, v[9:12], off offset:464
.LBB58_131:
	s_or_b32 exec_lo, exec_lo, s2
	s_waitcnt_vscnt null, 0x0
	s_barrier
	buffer_gl0_inv
	scratch_load_b32 v1, off, off offset:952 ; 4-byte Folded Reload
	s_mov_b32 s2, exec_lo
	s_waitcnt vmcnt(0)
	scratch_load_b128 v[1:4], v1, off
	s_waitcnt vmcnt(0)
	ds_store_b128 v5, v[1:4]
	s_waitcnt lgkmcnt(0)
	s_barrier
	buffer_gl0_inv
	v_cmpx_gt_u32_e32 30, v164
	s_cbranch_execz .LBB58_135
; %bb.132:
	v_dual_mov_b32 v1, 0 :: v_dual_add_nc_u32 v8, 0x3b0, v45
	v_dual_mov_b32 v2, 0 :: v_dual_add_nc_u32 v7, -1, v164
	v_or_b32_e32 v9, 8, v13
	s_mov_b32 s3, 0
	s_delay_alu instid0(VALU_DEP_2)
	v_dual_mov_b32 v4, v2 :: v_dual_mov_b32 v3, v1
	.p2align	6
.LBB58_133:                             ; =>This Inner Loop Header: Depth=1
	scratch_load_b128 v[14:17], v9, off offset:-8
	ds_load_b128 v[18:21], v8
	v_add_nc_u32_e32 v7, 1, v7
	v_add_nc_u32_e32 v8, 16, v8
	;; [unrolled: 1-line block ×3, first 2 shown]
	s_delay_alu instid0(VALU_DEP_3) | instskip(SKIP_4) | instid1(VALU_DEP_2)
	v_cmp_lt_u32_e32 vcc_lo, 28, v7
	s_or_b32 s3, vcc_lo, s3
	s_waitcnt vmcnt(0) lgkmcnt(0)
	v_mul_f64 v[10:11], v[20:21], v[16:17]
	v_mul_f64 v[16:17], v[18:19], v[16:17]
	v_fma_f64 v[10:11], v[18:19], v[14:15], -v[10:11]
	s_delay_alu instid0(VALU_DEP_2) | instskip(NEXT) | instid1(VALU_DEP_2)
	v_fma_f64 v[14:15], v[20:21], v[14:15], v[16:17]
	v_add_f64 v[3:4], v[3:4], v[10:11]
	s_delay_alu instid0(VALU_DEP_2)
	v_add_f64 v[1:2], v[1:2], v[14:15]
	s_and_not1_b32 exec_lo, exec_lo, s3
	s_cbranch_execnz .LBB58_133
; %bb.134:
	s_or_b32 exec_lo, exec_lo, s3
	v_mov_b32_e32 v7, 0
	ds_load_b128 v[7:10], v7 offset:480
	s_waitcnt lgkmcnt(0)
	v_mul_f64 v[11:12], v[1:2], v[9:10]
	v_mul_f64 v[14:15], v[3:4], v[9:10]
	s_delay_alu instid0(VALU_DEP_2) | instskip(NEXT) | instid1(VALU_DEP_2)
	v_fma_f64 v[9:10], v[3:4], v[7:8], -v[11:12]
	v_fma_f64 v[11:12], v[1:2], v[7:8], v[14:15]
	scratch_store_b128 off, v[9:12], off offset:480
.LBB58_135:
	s_or_b32 exec_lo, exec_lo, s2
	s_waitcnt_vscnt null, 0x0
	s_barrier
	buffer_gl0_inv
	scratch_load_b32 v1, off, off offset:948 ; 4-byte Folded Reload
	s_mov_b32 s2, exec_lo
	s_waitcnt vmcnt(0)
	scratch_load_b128 v[1:4], v1, off
	s_waitcnt vmcnt(0)
	ds_store_b128 v5, v[1:4]
	s_waitcnt lgkmcnt(0)
	s_barrier
	buffer_gl0_inv
	v_cmpx_gt_u32_e32 31, v164
	s_cbranch_execz .LBB58_139
; %bb.136:
	v_dual_mov_b32 v1, 0 :: v_dual_add_nc_u32 v8, 0x3b0, v45
	v_dual_mov_b32 v2, 0 :: v_dual_add_nc_u32 v7, -1, v164
	v_or_b32_e32 v9, 8, v13
	s_mov_b32 s3, 0
	s_delay_alu instid0(VALU_DEP_2)
	v_dual_mov_b32 v4, v2 :: v_dual_mov_b32 v3, v1
	.p2align	6
.LBB58_137:                             ; =>This Inner Loop Header: Depth=1
	scratch_load_b128 v[14:17], v9, off offset:-8
	ds_load_b128 v[18:21], v8
	v_add_nc_u32_e32 v7, 1, v7
	v_add_nc_u32_e32 v8, 16, v8
	;; [unrolled: 1-line block ×3, first 2 shown]
	s_delay_alu instid0(VALU_DEP_3) | instskip(SKIP_4) | instid1(VALU_DEP_2)
	v_cmp_lt_u32_e32 vcc_lo, 29, v7
	s_or_b32 s3, vcc_lo, s3
	s_waitcnt vmcnt(0) lgkmcnt(0)
	v_mul_f64 v[10:11], v[20:21], v[16:17]
	v_mul_f64 v[16:17], v[18:19], v[16:17]
	v_fma_f64 v[10:11], v[18:19], v[14:15], -v[10:11]
	s_delay_alu instid0(VALU_DEP_2) | instskip(NEXT) | instid1(VALU_DEP_2)
	v_fma_f64 v[14:15], v[20:21], v[14:15], v[16:17]
	v_add_f64 v[3:4], v[3:4], v[10:11]
	s_delay_alu instid0(VALU_DEP_2)
	v_add_f64 v[1:2], v[1:2], v[14:15]
	s_and_not1_b32 exec_lo, exec_lo, s3
	s_cbranch_execnz .LBB58_137
; %bb.138:
	s_or_b32 exec_lo, exec_lo, s3
	v_mov_b32_e32 v7, 0
	ds_load_b128 v[7:10], v7 offset:496
	s_waitcnt lgkmcnt(0)
	v_mul_f64 v[11:12], v[1:2], v[9:10]
	v_mul_f64 v[14:15], v[3:4], v[9:10]
	s_delay_alu instid0(VALU_DEP_2) | instskip(NEXT) | instid1(VALU_DEP_2)
	v_fma_f64 v[9:10], v[3:4], v[7:8], -v[11:12]
	v_fma_f64 v[11:12], v[1:2], v[7:8], v[14:15]
	scratch_store_b128 off, v[9:12], off offset:496
.LBB58_139:
	s_or_b32 exec_lo, exec_lo, s2
	s_waitcnt_vscnt null, 0x0
	s_barrier
	buffer_gl0_inv
	scratch_load_b32 v1, off, off offset:944 ; 4-byte Folded Reload
	s_mov_b32 s2, exec_lo
	s_waitcnt vmcnt(0)
	scratch_load_b128 v[1:4], v1, off
	s_waitcnt vmcnt(0)
	ds_store_b128 v5, v[1:4]
	s_waitcnt lgkmcnt(0)
	s_barrier
	buffer_gl0_inv
	v_cmpx_gt_u32_e32 32, v164
	s_cbranch_execz .LBB58_143
; %bb.140:
	v_dual_mov_b32 v1, 0 :: v_dual_add_nc_u32 v8, 0x3b0, v45
	v_dual_mov_b32 v2, 0 :: v_dual_add_nc_u32 v7, -1, v164
	v_or_b32_e32 v9, 8, v13
	s_mov_b32 s3, 0
	s_delay_alu instid0(VALU_DEP_2)
	v_dual_mov_b32 v4, v2 :: v_dual_mov_b32 v3, v1
	.p2align	6
.LBB58_141:                             ; =>This Inner Loop Header: Depth=1
	scratch_load_b128 v[14:17], v9, off offset:-8
	ds_load_b128 v[18:21], v8
	v_add_nc_u32_e32 v7, 1, v7
	v_add_nc_u32_e32 v8, 16, v8
	;; [unrolled: 1-line block ×3, first 2 shown]
	s_delay_alu instid0(VALU_DEP_3) | instskip(SKIP_4) | instid1(VALU_DEP_2)
	v_cmp_lt_u32_e32 vcc_lo, 30, v7
	s_or_b32 s3, vcc_lo, s3
	s_waitcnt vmcnt(0) lgkmcnt(0)
	v_mul_f64 v[10:11], v[20:21], v[16:17]
	v_mul_f64 v[16:17], v[18:19], v[16:17]
	v_fma_f64 v[10:11], v[18:19], v[14:15], -v[10:11]
	s_delay_alu instid0(VALU_DEP_2) | instskip(NEXT) | instid1(VALU_DEP_2)
	v_fma_f64 v[14:15], v[20:21], v[14:15], v[16:17]
	v_add_f64 v[3:4], v[3:4], v[10:11]
	s_delay_alu instid0(VALU_DEP_2)
	v_add_f64 v[1:2], v[1:2], v[14:15]
	s_and_not1_b32 exec_lo, exec_lo, s3
	s_cbranch_execnz .LBB58_141
; %bb.142:
	s_or_b32 exec_lo, exec_lo, s3
	v_mov_b32_e32 v7, 0
	ds_load_b128 v[7:10], v7 offset:512
	s_waitcnt lgkmcnt(0)
	v_mul_f64 v[11:12], v[1:2], v[9:10]
	v_mul_f64 v[14:15], v[3:4], v[9:10]
	s_delay_alu instid0(VALU_DEP_2) | instskip(NEXT) | instid1(VALU_DEP_2)
	v_fma_f64 v[9:10], v[3:4], v[7:8], -v[11:12]
	v_fma_f64 v[11:12], v[1:2], v[7:8], v[14:15]
	scratch_store_b128 off, v[9:12], off offset:512
.LBB58_143:
	s_or_b32 exec_lo, exec_lo, s2
	s_waitcnt_vscnt null, 0x0
	s_barrier
	buffer_gl0_inv
	scratch_load_b128 v[1:4], v178, off
	s_mov_b32 s2, exec_lo
	s_waitcnt vmcnt(0)
	ds_store_b128 v5, v[1:4]
	s_waitcnt lgkmcnt(0)
	s_barrier
	buffer_gl0_inv
	v_cmpx_gt_u32_e32 33, v164
	s_cbranch_execz .LBB58_147
; %bb.144:
	v_dual_mov_b32 v1, 0 :: v_dual_add_nc_u32 v8, 0x3b0, v45
	v_dual_mov_b32 v2, 0 :: v_dual_add_nc_u32 v7, -1, v164
	v_or_b32_e32 v9, 8, v13
	s_mov_b32 s3, 0
	s_delay_alu instid0(VALU_DEP_2)
	v_dual_mov_b32 v4, v2 :: v_dual_mov_b32 v3, v1
	.p2align	6
.LBB58_145:                             ; =>This Inner Loop Header: Depth=1
	scratch_load_b128 v[14:17], v9, off offset:-8
	ds_load_b128 v[18:21], v8
	v_add_nc_u32_e32 v7, 1, v7
	v_add_nc_u32_e32 v8, 16, v8
	;; [unrolled: 1-line block ×3, first 2 shown]
	s_delay_alu instid0(VALU_DEP_3) | instskip(SKIP_4) | instid1(VALU_DEP_2)
	v_cmp_lt_u32_e32 vcc_lo, 31, v7
	s_or_b32 s3, vcc_lo, s3
	s_waitcnt vmcnt(0) lgkmcnt(0)
	v_mul_f64 v[10:11], v[20:21], v[16:17]
	v_mul_f64 v[16:17], v[18:19], v[16:17]
	v_fma_f64 v[10:11], v[18:19], v[14:15], -v[10:11]
	s_delay_alu instid0(VALU_DEP_2) | instskip(NEXT) | instid1(VALU_DEP_2)
	v_fma_f64 v[14:15], v[20:21], v[14:15], v[16:17]
	v_add_f64 v[3:4], v[3:4], v[10:11]
	s_delay_alu instid0(VALU_DEP_2)
	v_add_f64 v[1:2], v[1:2], v[14:15]
	s_and_not1_b32 exec_lo, exec_lo, s3
	s_cbranch_execnz .LBB58_145
; %bb.146:
	s_or_b32 exec_lo, exec_lo, s3
	v_mov_b32_e32 v7, 0
	ds_load_b128 v[7:10], v7 offset:528
	s_waitcnt lgkmcnt(0)
	v_mul_f64 v[11:12], v[1:2], v[9:10]
	v_mul_f64 v[14:15], v[3:4], v[9:10]
	s_delay_alu instid0(VALU_DEP_2) | instskip(NEXT) | instid1(VALU_DEP_2)
	v_fma_f64 v[9:10], v[3:4], v[7:8], -v[11:12]
	v_fma_f64 v[11:12], v[1:2], v[7:8], v[14:15]
	scratch_store_b128 off, v[9:12], off offset:528
.LBB58_147:
	s_or_b32 exec_lo, exec_lo, s2
	s_waitcnt_vscnt null, 0x0
	s_barrier
	buffer_gl0_inv
	scratch_load_b128 v[1:4], v49, off
	s_mov_b32 s2, exec_lo
	s_waitcnt vmcnt(0)
	ds_store_b128 v5, v[1:4]
	s_waitcnt lgkmcnt(0)
	s_barrier
	buffer_gl0_inv
	v_cmpx_gt_u32_e32 34, v164
	s_cbranch_execz .LBB58_151
; %bb.148:
	v_dual_mov_b32 v1, 0 :: v_dual_add_nc_u32 v8, 0x3b0, v45
	v_dual_mov_b32 v2, 0 :: v_dual_add_nc_u32 v7, -1, v164
	v_or_b32_e32 v9, 8, v13
	s_mov_b32 s3, 0
	s_delay_alu instid0(VALU_DEP_2)
	v_dual_mov_b32 v4, v2 :: v_dual_mov_b32 v3, v1
	.p2align	6
.LBB58_149:                             ; =>This Inner Loop Header: Depth=1
	scratch_load_b128 v[14:17], v9, off offset:-8
	ds_load_b128 v[18:21], v8
	v_add_nc_u32_e32 v7, 1, v7
	v_add_nc_u32_e32 v8, 16, v8
	;; [unrolled: 1-line block ×3, first 2 shown]
	s_delay_alu instid0(VALU_DEP_3) | instskip(SKIP_4) | instid1(VALU_DEP_2)
	v_cmp_lt_u32_e32 vcc_lo, 32, v7
	s_or_b32 s3, vcc_lo, s3
	s_waitcnt vmcnt(0) lgkmcnt(0)
	v_mul_f64 v[10:11], v[20:21], v[16:17]
	v_mul_f64 v[16:17], v[18:19], v[16:17]
	v_fma_f64 v[10:11], v[18:19], v[14:15], -v[10:11]
	s_delay_alu instid0(VALU_DEP_2) | instskip(NEXT) | instid1(VALU_DEP_2)
	v_fma_f64 v[14:15], v[20:21], v[14:15], v[16:17]
	v_add_f64 v[3:4], v[3:4], v[10:11]
	s_delay_alu instid0(VALU_DEP_2)
	v_add_f64 v[1:2], v[1:2], v[14:15]
	s_and_not1_b32 exec_lo, exec_lo, s3
	s_cbranch_execnz .LBB58_149
; %bb.150:
	s_or_b32 exec_lo, exec_lo, s3
	v_mov_b32_e32 v7, 0
	ds_load_b128 v[7:10], v7 offset:544
	s_waitcnt lgkmcnt(0)
	v_mul_f64 v[11:12], v[1:2], v[9:10]
	v_mul_f64 v[14:15], v[3:4], v[9:10]
	s_delay_alu instid0(VALU_DEP_2) | instskip(NEXT) | instid1(VALU_DEP_2)
	v_fma_f64 v[9:10], v[3:4], v[7:8], -v[11:12]
	v_fma_f64 v[11:12], v[1:2], v[7:8], v[14:15]
	scratch_store_b128 off, v[9:12], off offset:544
.LBB58_151:
	s_or_b32 exec_lo, exec_lo, s2
	s_waitcnt_vscnt null, 0x0
	s_barrier
	buffer_gl0_inv
	scratch_load_b128 v[1:4], v48, off
	s_mov_b32 s2, exec_lo
	s_waitcnt vmcnt(0)
	ds_store_b128 v5, v[1:4]
	s_waitcnt lgkmcnt(0)
	s_barrier
	buffer_gl0_inv
	v_cmpx_gt_u32_e32 35, v164
	s_cbranch_execz .LBB58_155
; %bb.152:
	v_dual_mov_b32 v1, 0 :: v_dual_add_nc_u32 v8, 0x3b0, v45
	v_dual_mov_b32 v2, 0 :: v_dual_add_nc_u32 v7, -1, v164
	v_or_b32_e32 v9, 8, v13
	s_mov_b32 s3, 0
	s_delay_alu instid0(VALU_DEP_2)
	v_dual_mov_b32 v4, v2 :: v_dual_mov_b32 v3, v1
	.p2align	6
.LBB58_153:                             ; =>This Inner Loop Header: Depth=1
	scratch_load_b128 v[14:17], v9, off offset:-8
	ds_load_b128 v[18:21], v8
	v_add_nc_u32_e32 v7, 1, v7
	v_add_nc_u32_e32 v8, 16, v8
	;; [unrolled: 1-line block ×3, first 2 shown]
	s_delay_alu instid0(VALU_DEP_3) | instskip(SKIP_4) | instid1(VALU_DEP_2)
	v_cmp_lt_u32_e32 vcc_lo, 33, v7
	s_or_b32 s3, vcc_lo, s3
	s_waitcnt vmcnt(0) lgkmcnt(0)
	v_mul_f64 v[10:11], v[20:21], v[16:17]
	v_mul_f64 v[16:17], v[18:19], v[16:17]
	v_fma_f64 v[10:11], v[18:19], v[14:15], -v[10:11]
	s_delay_alu instid0(VALU_DEP_2) | instskip(NEXT) | instid1(VALU_DEP_2)
	v_fma_f64 v[14:15], v[20:21], v[14:15], v[16:17]
	v_add_f64 v[3:4], v[3:4], v[10:11]
	s_delay_alu instid0(VALU_DEP_2)
	v_add_f64 v[1:2], v[1:2], v[14:15]
	s_and_not1_b32 exec_lo, exec_lo, s3
	s_cbranch_execnz .LBB58_153
; %bb.154:
	s_or_b32 exec_lo, exec_lo, s3
	v_mov_b32_e32 v7, 0
	ds_load_b128 v[7:10], v7 offset:560
	s_waitcnt lgkmcnt(0)
	v_mul_f64 v[11:12], v[1:2], v[9:10]
	v_mul_f64 v[14:15], v[3:4], v[9:10]
	s_delay_alu instid0(VALU_DEP_2) | instskip(NEXT) | instid1(VALU_DEP_2)
	v_fma_f64 v[9:10], v[3:4], v[7:8], -v[11:12]
	v_fma_f64 v[11:12], v[1:2], v[7:8], v[14:15]
	scratch_store_b128 off, v[9:12], off offset:560
.LBB58_155:
	s_or_b32 exec_lo, exec_lo, s2
	s_waitcnt_vscnt null, 0x0
	s_barrier
	buffer_gl0_inv
	scratch_load_b128 v[1:4], v202, off
	s_mov_b32 s2, exec_lo
	s_waitcnt vmcnt(0)
	ds_store_b128 v5, v[1:4]
	s_waitcnt lgkmcnt(0)
	s_barrier
	buffer_gl0_inv
	v_cmpx_gt_u32_e32 36, v164
	s_cbranch_execz .LBB58_159
; %bb.156:
	v_dual_mov_b32 v1, 0 :: v_dual_add_nc_u32 v8, 0x3b0, v45
	v_dual_mov_b32 v2, 0 :: v_dual_add_nc_u32 v7, -1, v164
	v_or_b32_e32 v9, 8, v13
	s_mov_b32 s3, 0
	s_delay_alu instid0(VALU_DEP_2)
	v_dual_mov_b32 v4, v2 :: v_dual_mov_b32 v3, v1
	.p2align	6
.LBB58_157:                             ; =>This Inner Loop Header: Depth=1
	scratch_load_b128 v[14:17], v9, off offset:-8
	ds_load_b128 v[18:21], v8
	v_add_nc_u32_e32 v7, 1, v7
	v_add_nc_u32_e32 v8, 16, v8
	;; [unrolled: 1-line block ×3, first 2 shown]
	s_delay_alu instid0(VALU_DEP_3) | instskip(SKIP_4) | instid1(VALU_DEP_2)
	v_cmp_lt_u32_e32 vcc_lo, 34, v7
	s_or_b32 s3, vcc_lo, s3
	s_waitcnt vmcnt(0) lgkmcnt(0)
	v_mul_f64 v[10:11], v[20:21], v[16:17]
	v_mul_f64 v[16:17], v[18:19], v[16:17]
	v_fma_f64 v[10:11], v[18:19], v[14:15], -v[10:11]
	s_delay_alu instid0(VALU_DEP_2) | instskip(NEXT) | instid1(VALU_DEP_2)
	v_fma_f64 v[14:15], v[20:21], v[14:15], v[16:17]
	v_add_f64 v[3:4], v[3:4], v[10:11]
	s_delay_alu instid0(VALU_DEP_2)
	v_add_f64 v[1:2], v[1:2], v[14:15]
	s_and_not1_b32 exec_lo, exec_lo, s3
	s_cbranch_execnz .LBB58_157
; %bb.158:
	s_or_b32 exec_lo, exec_lo, s3
	v_mov_b32_e32 v7, 0
	ds_load_b128 v[7:10], v7 offset:576
	s_waitcnt lgkmcnt(0)
	v_mul_f64 v[11:12], v[1:2], v[9:10]
	v_mul_f64 v[14:15], v[3:4], v[9:10]
	s_delay_alu instid0(VALU_DEP_2) | instskip(NEXT) | instid1(VALU_DEP_2)
	v_fma_f64 v[9:10], v[3:4], v[7:8], -v[11:12]
	v_fma_f64 v[11:12], v[1:2], v[7:8], v[14:15]
	scratch_store_b128 off, v[9:12], off offset:576
.LBB58_159:
	s_or_b32 exec_lo, exec_lo, s2
	s_waitcnt_vscnt null, 0x0
	s_barrier
	buffer_gl0_inv
	scratch_load_b128 v[1:4], v199, off
	s_mov_b32 s2, exec_lo
	s_waitcnt vmcnt(0)
	ds_store_b128 v5, v[1:4]
	s_waitcnt lgkmcnt(0)
	s_barrier
	buffer_gl0_inv
	v_cmpx_gt_u32_e32 37, v164
	s_cbranch_execz .LBB58_163
; %bb.160:
	v_dual_mov_b32 v1, 0 :: v_dual_add_nc_u32 v8, 0x3b0, v45
	v_dual_mov_b32 v2, 0 :: v_dual_add_nc_u32 v7, -1, v164
	v_or_b32_e32 v9, 8, v13
	s_mov_b32 s3, 0
	s_delay_alu instid0(VALU_DEP_2)
	v_dual_mov_b32 v4, v2 :: v_dual_mov_b32 v3, v1
	.p2align	6
.LBB58_161:                             ; =>This Inner Loop Header: Depth=1
	scratch_load_b128 v[14:17], v9, off offset:-8
	ds_load_b128 v[18:21], v8
	v_add_nc_u32_e32 v7, 1, v7
	v_add_nc_u32_e32 v8, 16, v8
	;; [unrolled: 1-line block ×3, first 2 shown]
	s_delay_alu instid0(VALU_DEP_3) | instskip(SKIP_4) | instid1(VALU_DEP_2)
	v_cmp_lt_u32_e32 vcc_lo, 35, v7
	s_or_b32 s3, vcc_lo, s3
	s_waitcnt vmcnt(0) lgkmcnt(0)
	v_mul_f64 v[10:11], v[20:21], v[16:17]
	v_mul_f64 v[16:17], v[18:19], v[16:17]
	v_fma_f64 v[10:11], v[18:19], v[14:15], -v[10:11]
	s_delay_alu instid0(VALU_DEP_2) | instskip(NEXT) | instid1(VALU_DEP_2)
	v_fma_f64 v[14:15], v[20:21], v[14:15], v[16:17]
	v_add_f64 v[3:4], v[3:4], v[10:11]
	s_delay_alu instid0(VALU_DEP_2)
	v_add_f64 v[1:2], v[1:2], v[14:15]
	s_and_not1_b32 exec_lo, exec_lo, s3
	s_cbranch_execnz .LBB58_161
; %bb.162:
	s_or_b32 exec_lo, exec_lo, s3
	v_mov_b32_e32 v7, 0
	ds_load_b128 v[7:10], v7 offset:592
	s_waitcnt lgkmcnt(0)
	v_mul_f64 v[11:12], v[1:2], v[9:10]
	v_mul_f64 v[14:15], v[3:4], v[9:10]
	s_delay_alu instid0(VALU_DEP_2) | instskip(NEXT) | instid1(VALU_DEP_2)
	v_fma_f64 v[9:10], v[3:4], v[7:8], -v[11:12]
	v_fma_f64 v[11:12], v[1:2], v[7:8], v[14:15]
	scratch_store_b128 off, v[9:12], off offset:592
.LBB58_163:
	s_or_b32 exec_lo, exec_lo, s2
	s_waitcnt_vscnt null, 0x0
	s_barrier
	buffer_gl0_inv
	scratch_load_b128 v[1:4], v196, off
	s_mov_b32 s2, exec_lo
	s_waitcnt vmcnt(0)
	ds_store_b128 v5, v[1:4]
	s_waitcnt lgkmcnt(0)
	s_barrier
	buffer_gl0_inv
	v_cmpx_gt_u32_e32 38, v164
	s_cbranch_execz .LBB58_167
; %bb.164:
	v_dual_mov_b32 v1, 0 :: v_dual_add_nc_u32 v8, 0x3b0, v45
	v_dual_mov_b32 v2, 0 :: v_dual_add_nc_u32 v7, -1, v164
	v_or_b32_e32 v9, 8, v13
	s_mov_b32 s3, 0
	s_delay_alu instid0(VALU_DEP_2)
	v_dual_mov_b32 v4, v2 :: v_dual_mov_b32 v3, v1
	.p2align	6
.LBB58_165:                             ; =>This Inner Loop Header: Depth=1
	scratch_load_b128 v[14:17], v9, off offset:-8
	ds_load_b128 v[18:21], v8
	v_add_nc_u32_e32 v7, 1, v7
	v_add_nc_u32_e32 v8, 16, v8
	v_add_nc_u32_e32 v9, 16, v9
	s_delay_alu instid0(VALU_DEP_3) | instskip(SKIP_4) | instid1(VALU_DEP_2)
	v_cmp_lt_u32_e32 vcc_lo, 36, v7
	s_or_b32 s3, vcc_lo, s3
	s_waitcnt vmcnt(0) lgkmcnt(0)
	v_mul_f64 v[10:11], v[20:21], v[16:17]
	v_mul_f64 v[16:17], v[18:19], v[16:17]
	v_fma_f64 v[10:11], v[18:19], v[14:15], -v[10:11]
	s_delay_alu instid0(VALU_DEP_2) | instskip(NEXT) | instid1(VALU_DEP_2)
	v_fma_f64 v[14:15], v[20:21], v[14:15], v[16:17]
	v_add_f64 v[3:4], v[3:4], v[10:11]
	s_delay_alu instid0(VALU_DEP_2)
	v_add_f64 v[1:2], v[1:2], v[14:15]
	s_and_not1_b32 exec_lo, exec_lo, s3
	s_cbranch_execnz .LBB58_165
; %bb.166:
	s_or_b32 exec_lo, exec_lo, s3
	v_mov_b32_e32 v7, 0
	ds_load_b128 v[7:10], v7 offset:608
	s_waitcnt lgkmcnt(0)
	v_mul_f64 v[11:12], v[1:2], v[9:10]
	v_mul_f64 v[14:15], v[3:4], v[9:10]
	s_delay_alu instid0(VALU_DEP_2) | instskip(NEXT) | instid1(VALU_DEP_2)
	v_fma_f64 v[9:10], v[3:4], v[7:8], -v[11:12]
	v_fma_f64 v[11:12], v[1:2], v[7:8], v[14:15]
	scratch_store_b128 off, v[9:12], off offset:608
.LBB58_167:
	s_or_b32 exec_lo, exec_lo, s2
	s_waitcnt_vscnt null, 0x0
	s_barrier
	buffer_gl0_inv
	scratch_load_b128 v[1:4], v193, off
	s_mov_b32 s2, exec_lo
	s_waitcnt vmcnt(0)
	ds_store_b128 v5, v[1:4]
	s_waitcnt lgkmcnt(0)
	s_barrier
	buffer_gl0_inv
	v_cmpx_gt_u32_e32 39, v164
	s_cbranch_execz .LBB58_171
; %bb.168:
	v_dual_mov_b32 v1, 0 :: v_dual_add_nc_u32 v8, 0x3b0, v45
	v_dual_mov_b32 v2, 0 :: v_dual_add_nc_u32 v7, -1, v164
	v_or_b32_e32 v9, 8, v13
	s_mov_b32 s3, 0
	s_delay_alu instid0(VALU_DEP_2)
	v_dual_mov_b32 v4, v2 :: v_dual_mov_b32 v3, v1
	.p2align	6
.LBB58_169:                             ; =>This Inner Loop Header: Depth=1
	scratch_load_b128 v[14:17], v9, off offset:-8
	ds_load_b128 v[18:21], v8
	v_add_nc_u32_e32 v7, 1, v7
	v_add_nc_u32_e32 v8, 16, v8
	;; [unrolled: 1-line block ×3, first 2 shown]
	s_delay_alu instid0(VALU_DEP_3) | instskip(SKIP_4) | instid1(VALU_DEP_2)
	v_cmp_lt_u32_e32 vcc_lo, 37, v7
	s_or_b32 s3, vcc_lo, s3
	s_waitcnt vmcnt(0) lgkmcnt(0)
	v_mul_f64 v[10:11], v[20:21], v[16:17]
	v_mul_f64 v[16:17], v[18:19], v[16:17]
	v_fma_f64 v[10:11], v[18:19], v[14:15], -v[10:11]
	s_delay_alu instid0(VALU_DEP_2) | instskip(NEXT) | instid1(VALU_DEP_2)
	v_fma_f64 v[14:15], v[20:21], v[14:15], v[16:17]
	v_add_f64 v[3:4], v[3:4], v[10:11]
	s_delay_alu instid0(VALU_DEP_2)
	v_add_f64 v[1:2], v[1:2], v[14:15]
	s_and_not1_b32 exec_lo, exec_lo, s3
	s_cbranch_execnz .LBB58_169
; %bb.170:
	s_or_b32 exec_lo, exec_lo, s3
	v_mov_b32_e32 v7, 0
	ds_load_b128 v[7:10], v7 offset:624
	s_waitcnt lgkmcnt(0)
	v_mul_f64 v[11:12], v[1:2], v[9:10]
	v_mul_f64 v[14:15], v[3:4], v[9:10]
	s_delay_alu instid0(VALU_DEP_2) | instskip(NEXT) | instid1(VALU_DEP_2)
	v_fma_f64 v[9:10], v[3:4], v[7:8], -v[11:12]
	v_fma_f64 v[11:12], v[1:2], v[7:8], v[14:15]
	scratch_store_b128 off, v[9:12], off offset:624
.LBB58_171:
	s_or_b32 exec_lo, exec_lo, s2
	s_waitcnt_vscnt null, 0x0
	s_barrier
	buffer_gl0_inv
	scratch_load_b128 v[1:4], v252, off
	s_mov_b32 s2, exec_lo
	s_waitcnt vmcnt(0)
	ds_store_b128 v5, v[1:4]
	s_waitcnt lgkmcnt(0)
	s_barrier
	buffer_gl0_inv
	v_cmpx_gt_u32_e32 40, v164
	s_cbranch_execz .LBB58_175
; %bb.172:
	v_dual_mov_b32 v1, 0 :: v_dual_add_nc_u32 v8, 0x3b0, v45
	v_dual_mov_b32 v2, 0 :: v_dual_add_nc_u32 v7, -1, v164
	v_or_b32_e32 v9, 8, v13
	s_mov_b32 s3, 0
	s_delay_alu instid0(VALU_DEP_2)
	v_dual_mov_b32 v4, v2 :: v_dual_mov_b32 v3, v1
	.p2align	6
.LBB58_173:                             ; =>This Inner Loop Header: Depth=1
	scratch_load_b128 v[14:17], v9, off offset:-8
	ds_load_b128 v[18:21], v8
	v_add_nc_u32_e32 v7, 1, v7
	v_add_nc_u32_e32 v8, 16, v8
	;; [unrolled: 1-line block ×3, first 2 shown]
	s_delay_alu instid0(VALU_DEP_3) | instskip(SKIP_4) | instid1(VALU_DEP_2)
	v_cmp_lt_u32_e32 vcc_lo, 38, v7
	s_or_b32 s3, vcc_lo, s3
	s_waitcnt vmcnt(0) lgkmcnt(0)
	v_mul_f64 v[10:11], v[20:21], v[16:17]
	v_mul_f64 v[16:17], v[18:19], v[16:17]
	v_fma_f64 v[10:11], v[18:19], v[14:15], -v[10:11]
	s_delay_alu instid0(VALU_DEP_2) | instskip(NEXT) | instid1(VALU_DEP_2)
	v_fma_f64 v[14:15], v[20:21], v[14:15], v[16:17]
	v_add_f64 v[3:4], v[3:4], v[10:11]
	s_delay_alu instid0(VALU_DEP_2)
	v_add_f64 v[1:2], v[1:2], v[14:15]
	s_and_not1_b32 exec_lo, exec_lo, s3
	s_cbranch_execnz .LBB58_173
; %bb.174:
	s_or_b32 exec_lo, exec_lo, s3
	v_mov_b32_e32 v7, 0
	ds_load_b128 v[7:10], v7 offset:640
	s_waitcnt lgkmcnt(0)
	v_mul_f64 v[11:12], v[1:2], v[9:10]
	v_mul_f64 v[14:15], v[3:4], v[9:10]
	s_delay_alu instid0(VALU_DEP_2) | instskip(NEXT) | instid1(VALU_DEP_2)
	v_fma_f64 v[9:10], v[3:4], v[7:8], -v[11:12]
	v_fma_f64 v[11:12], v[1:2], v[7:8], v[14:15]
	scratch_store_b128 off, v[9:12], off offset:640
.LBB58_175:
	s_or_b32 exec_lo, exec_lo, s2
	s_waitcnt_vscnt null, 0x0
	s_barrier
	buffer_gl0_inv
	scratch_load_b128 v[1:4], v188, off
	s_mov_b32 s2, exec_lo
	s_waitcnt vmcnt(0)
	ds_store_b128 v5, v[1:4]
	s_waitcnt lgkmcnt(0)
	s_barrier
	buffer_gl0_inv
	v_cmpx_gt_u32_e32 41, v164
	s_cbranch_execz .LBB58_179
; %bb.176:
	v_dual_mov_b32 v1, 0 :: v_dual_add_nc_u32 v8, 0x3b0, v45
	v_dual_mov_b32 v2, 0 :: v_dual_add_nc_u32 v7, -1, v164
	v_or_b32_e32 v9, 8, v13
	s_mov_b32 s3, 0
	s_delay_alu instid0(VALU_DEP_2)
	v_dual_mov_b32 v4, v2 :: v_dual_mov_b32 v3, v1
	.p2align	6
.LBB58_177:                             ; =>This Inner Loop Header: Depth=1
	scratch_load_b128 v[14:17], v9, off offset:-8
	ds_load_b128 v[18:21], v8
	v_add_nc_u32_e32 v7, 1, v7
	v_add_nc_u32_e32 v8, 16, v8
	;; [unrolled: 1-line block ×3, first 2 shown]
	s_delay_alu instid0(VALU_DEP_3) | instskip(SKIP_4) | instid1(VALU_DEP_2)
	v_cmp_lt_u32_e32 vcc_lo, 39, v7
	s_or_b32 s3, vcc_lo, s3
	s_waitcnt vmcnt(0) lgkmcnt(0)
	v_mul_f64 v[10:11], v[20:21], v[16:17]
	v_mul_f64 v[16:17], v[18:19], v[16:17]
	v_fma_f64 v[10:11], v[18:19], v[14:15], -v[10:11]
	s_delay_alu instid0(VALU_DEP_2) | instskip(NEXT) | instid1(VALU_DEP_2)
	v_fma_f64 v[14:15], v[20:21], v[14:15], v[16:17]
	v_add_f64 v[3:4], v[3:4], v[10:11]
	s_delay_alu instid0(VALU_DEP_2)
	v_add_f64 v[1:2], v[1:2], v[14:15]
	s_and_not1_b32 exec_lo, exec_lo, s3
	s_cbranch_execnz .LBB58_177
; %bb.178:
	s_or_b32 exec_lo, exec_lo, s3
	v_mov_b32_e32 v7, 0
	ds_load_b128 v[7:10], v7 offset:656
	s_waitcnt lgkmcnt(0)
	v_mul_f64 v[11:12], v[1:2], v[9:10]
	v_mul_f64 v[14:15], v[3:4], v[9:10]
	s_delay_alu instid0(VALU_DEP_2) | instskip(NEXT) | instid1(VALU_DEP_2)
	v_fma_f64 v[9:10], v[3:4], v[7:8], -v[11:12]
	v_fma_f64 v[11:12], v[1:2], v[7:8], v[14:15]
	scratch_store_b128 off, v[9:12], off offset:656
.LBB58_179:
	s_or_b32 exec_lo, exec_lo, s2
	s_waitcnt_vscnt null, 0x0
	s_barrier
	buffer_gl0_inv
	scratch_load_b128 v[1:4], v187, off
	s_mov_b32 s2, exec_lo
	s_waitcnt vmcnt(0)
	ds_store_b128 v5, v[1:4]
	s_waitcnt lgkmcnt(0)
	s_barrier
	buffer_gl0_inv
	v_cmpx_gt_u32_e32 42, v164
	s_cbranch_execz .LBB58_183
; %bb.180:
	v_dual_mov_b32 v1, 0 :: v_dual_add_nc_u32 v8, 0x3b0, v45
	v_dual_mov_b32 v2, 0 :: v_dual_add_nc_u32 v7, -1, v164
	v_or_b32_e32 v9, 8, v13
	s_mov_b32 s3, 0
	s_delay_alu instid0(VALU_DEP_2)
	v_dual_mov_b32 v4, v2 :: v_dual_mov_b32 v3, v1
	.p2align	6
.LBB58_181:                             ; =>This Inner Loop Header: Depth=1
	scratch_load_b128 v[14:17], v9, off offset:-8
	ds_load_b128 v[18:21], v8
	v_add_nc_u32_e32 v7, 1, v7
	v_add_nc_u32_e32 v8, 16, v8
	;; [unrolled: 1-line block ×3, first 2 shown]
	s_delay_alu instid0(VALU_DEP_3) | instskip(SKIP_4) | instid1(VALU_DEP_2)
	v_cmp_lt_u32_e32 vcc_lo, 40, v7
	s_or_b32 s3, vcc_lo, s3
	s_waitcnt vmcnt(0) lgkmcnt(0)
	v_mul_f64 v[10:11], v[20:21], v[16:17]
	v_mul_f64 v[16:17], v[18:19], v[16:17]
	v_fma_f64 v[10:11], v[18:19], v[14:15], -v[10:11]
	s_delay_alu instid0(VALU_DEP_2) | instskip(NEXT) | instid1(VALU_DEP_2)
	v_fma_f64 v[14:15], v[20:21], v[14:15], v[16:17]
	v_add_f64 v[3:4], v[3:4], v[10:11]
	s_delay_alu instid0(VALU_DEP_2)
	v_add_f64 v[1:2], v[1:2], v[14:15]
	s_and_not1_b32 exec_lo, exec_lo, s3
	s_cbranch_execnz .LBB58_181
; %bb.182:
	s_or_b32 exec_lo, exec_lo, s3
	v_mov_b32_e32 v7, 0
	ds_load_b128 v[7:10], v7 offset:672
	s_waitcnt lgkmcnt(0)
	v_mul_f64 v[11:12], v[1:2], v[9:10]
	v_mul_f64 v[14:15], v[3:4], v[9:10]
	s_delay_alu instid0(VALU_DEP_2) | instskip(NEXT) | instid1(VALU_DEP_2)
	v_fma_f64 v[9:10], v[3:4], v[7:8], -v[11:12]
	v_fma_f64 v[11:12], v[1:2], v[7:8], v[14:15]
	scratch_store_b128 off, v[9:12], off offset:672
.LBB58_183:
	s_or_b32 exec_lo, exec_lo, s2
	s_waitcnt_vscnt null, 0x0
	s_barrier
	buffer_gl0_inv
	scratch_load_b128 v[1:4], v181, off
	s_mov_b32 s2, exec_lo
	s_waitcnt vmcnt(0)
	ds_store_b128 v5, v[1:4]
	s_waitcnt lgkmcnt(0)
	s_barrier
	buffer_gl0_inv
	v_cmpx_gt_u32_e32 43, v164
	s_cbranch_execz .LBB58_187
; %bb.184:
	v_dual_mov_b32 v1, 0 :: v_dual_add_nc_u32 v8, 0x3b0, v45
	v_dual_mov_b32 v2, 0 :: v_dual_add_nc_u32 v7, -1, v164
	v_or_b32_e32 v9, 8, v13
	s_mov_b32 s3, 0
	s_delay_alu instid0(VALU_DEP_2)
	v_dual_mov_b32 v4, v2 :: v_dual_mov_b32 v3, v1
	.p2align	6
.LBB58_185:                             ; =>This Inner Loop Header: Depth=1
	scratch_load_b128 v[14:17], v9, off offset:-8
	ds_load_b128 v[18:21], v8
	v_add_nc_u32_e32 v7, 1, v7
	v_add_nc_u32_e32 v8, 16, v8
	;; [unrolled: 1-line block ×3, first 2 shown]
	s_delay_alu instid0(VALU_DEP_3) | instskip(SKIP_4) | instid1(VALU_DEP_2)
	v_cmp_lt_u32_e32 vcc_lo, 41, v7
	s_or_b32 s3, vcc_lo, s3
	s_waitcnt vmcnt(0) lgkmcnt(0)
	v_mul_f64 v[10:11], v[20:21], v[16:17]
	v_mul_f64 v[16:17], v[18:19], v[16:17]
	v_fma_f64 v[10:11], v[18:19], v[14:15], -v[10:11]
	s_delay_alu instid0(VALU_DEP_2) | instskip(NEXT) | instid1(VALU_DEP_2)
	v_fma_f64 v[14:15], v[20:21], v[14:15], v[16:17]
	v_add_f64 v[3:4], v[3:4], v[10:11]
	s_delay_alu instid0(VALU_DEP_2)
	v_add_f64 v[1:2], v[1:2], v[14:15]
	s_and_not1_b32 exec_lo, exec_lo, s3
	s_cbranch_execnz .LBB58_185
; %bb.186:
	s_or_b32 exec_lo, exec_lo, s3
	v_mov_b32_e32 v7, 0
	ds_load_b128 v[7:10], v7 offset:688
	s_waitcnt lgkmcnt(0)
	v_mul_f64 v[11:12], v[1:2], v[9:10]
	v_mul_f64 v[14:15], v[3:4], v[9:10]
	s_delay_alu instid0(VALU_DEP_2) | instskip(NEXT) | instid1(VALU_DEP_2)
	v_fma_f64 v[9:10], v[3:4], v[7:8], -v[11:12]
	v_fma_f64 v[11:12], v[1:2], v[7:8], v[14:15]
	scratch_store_b128 off, v[9:12], off offset:688
.LBB58_187:
	s_or_b32 exec_lo, exec_lo, s2
	s_waitcnt_vscnt null, 0x0
	s_barrier
	buffer_gl0_inv
	scratch_load_b128 v[1:4], v182, off
	s_mov_b32 s2, exec_lo
	s_waitcnt vmcnt(0)
	ds_store_b128 v5, v[1:4]
	s_waitcnt lgkmcnt(0)
	s_barrier
	buffer_gl0_inv
	v_cmpx_gt_u32_e32 44, v164
	s_cbranch_execz .LBB58_191
; %bb.188:
	v_dual_mov_b32 v1, 0 :: v_dual_add_nc_u32 v8, 0x3b0, v45
	v_dual_mov_b32 v2, 0 :: v_dual_add_nc_u32 v7, -1, v164
	v_or_b32_e32 v9, 8, v13
	s_mov_b32 s3, 0
	s_delay_alu instid0(VALU_DEP_2)
	v_dual_mov_b32 v4, v2 :: v_dual_mov_b32 v3, v1
	.p2align	6
.LBB58_189:                             ; =>This Inner Loop Header: Depth=1
	scratch_load_b128 v[14:17], v9, off offset:-8
	ds_load_b128 v[18:21], v8
	v_add_nc_u32_e32 v7, 1, v7
	v_add_nc_u32_e32 v8, 16, v8
	;; [unrolled: 1-line block ×3, first 2 shown]
	s_delay_alu instid0(VALU_DEP_3) | instskip(SKIP_4) | instid1(VALU_DEP_2)
	v_cmp_lt_u32_e32 vcc_lo, 42, v7
	s_or_b32 s3, vcc_lo, s3
	s_waitcnt vmcnt(0) lgkmcnt(0)
	v_mul_f64 v[10:11], v[20:21], v[16:17]
	v_mul_f64 v[16:17], v[18:19], v[16:17]
	v_fma_f64 v[10:11], v[18:19], v[14:15], -v[10:11]
	s_delay_alu instid0(VALU_DEP_2) | instskip(NEXT) | instid1(VALU_DEP_2)
	v_fma_f64 v[14:15], v[20:21], v[14:15], v[16:17]
	v_add_f64 v[3:4], v[3:4], v[10:11]
	s_delay_alu instid0(VALU_DEP_2)
	v_add_f64 v[1:2], v[1:2], v[14:15]
	s_and_not1_b32 exec_lo, exec_lo, s3
	s_cbranch_execnz .LBB58_189
; %bb.190:
	s_or_b32 exec_lo, exec_lo, s3
	v_mov_b32_e32 v7, 0
	ds_load_b128 v[7:10], v7 offset:704
	s_waitcnt lgkmcnt(0)
	v_mul_f64 v[11:12], v[1:2], v[9:10]
	v_mul_f64 v[14:15], v[3:4], v[9:10]
	s_delay_alu instid0(VALU_DEP_2) | instskip(NEXT) | instid1(VALU_DEP_2)
	v_fma_f64 v[9:10], v[3:4], v[7:8], -v[11:12]
	v_fma_f64 v[11:12], v[1:2], v[7:8], v[14:15]
	scratch_store_b128 off, v[9:12], off offset:704
.LBB58_191:
	s_or_b32 exec_lo, exec_lo, s2
	s_waitcnt_vscnt null, 0x0
	s_barrier
	buffer_gl0_inv
	scratch_load_b128 v[1:4], v180, off
	s_mov_b32 s2, exec_lo
	s_waitcnt vmcnt(0)
	ds_store_b128 v5, v[1:4]
	s_waitcnt lgkmcnt(0)
	s_barrier
	buffer_gl0_inv
	v_cmpx_gt_u32_e32 45, v164
	s_cbranch_execz .LBB58_195
; %bb.192:
	v_dual_mov_b32 v1, 0 :: v_dual_add_nc_u32 v8, 0x3b0, v45
	v_dual_mov_b32 v2, 0 :: v_dual_add_nc_u32 v7, -1, v164
	v_or_b32_e32 v9, 8, v13
	s_mov_b32 s3, 0
	s_delay_alu instid0(VALU_DEP_2)
	v_dual_mov_b32 v4, v2 :: v_dual_mov_b32 v3, v1
	.p2align	6
.LBB58_193:                             ; =>This Inner Loop Header: Depth=1
	scratch_load_b128 v[14:17], v9, off offset:-8
	ds_load_b128 v[18:21], v8
	v_add_nc_u32_e32 v7, 1, v7
	v_add_nc_u32_e32 v8, 16, v8
	;; [unrolled: 1-line block ×3, first 2 shown]
	s_delay_alu instid0(VALU_DEP_3) | instskip(SKIP_4) | instid1(VALU_DEP_2)
	v_cmp_lt_u32_e32 vcc_lo, 43, v7
	s_or_b32 s3, vcc_lo, s3
	s_waitcnt vmcnt(0) lgkmcnt(0)
	v_mul_f64 v[10:11], v[20:21], v[16:17]
	v_mul_f64 v[16:17], v[18:19], v[16:17]
	v_fma_f64 v[10:11], v[18:19], v[14:15], -v[10:11]
	s_delay_alu instid0(VALU_DEP_2) | instskip(NEXT) | instid1(VALU_DEP_2)
	v_fma_f64 v[14:15], v[20:21], v[14:15], v[16:17]
	v_add_f64 v[3:4], v[3:4], v[10:11]
	s_delay_alu instid0(VALU_DEP_2)
	v_add_f64 v[1:2], v[1:2], v[14:15]
	s_and_not1_b32 exec_lo, exec_lo, s3
	s_cbranch_execnz .LBB58_193
; %bb.194:
	s_or_b32 exec_lo, exec_lo, s3
	v_mov_b32_e32 v7, 0
	ds_load_b128 v[7:10], v7 offset:720
	s_waitcnt lgkmcnt(0)
	v_mul_f64 v[11:12], v[1:2], v[9:10]
	v_mul_f64 v[14:15], v[3:4], v[9:10]
	s_delay_alu instid0(VALU_DEP_2) | instskip(NEXT) | instid1(VALU_DEP_2)
	v_fma_f64 v[9:10], v[3:4], v[7:8], -v[11:12]
	v_fma_f64 v[11:12], v[1:2], v[7:8], v[14:15]
	scratch_store_b128 off, v[9:12], off offset:720
.LBB58_195:
	s_or_b32 exec_lo, exec_lo, s2
	s_waitcnt_vscnt null, 0x0
	s_barrier
	buffer_gl0_inv
	scratch_load_b128 v[1:4], v183, off
	s_mov_b32 s2, exec_lo
	s_waitcnt vmcnt(0)
	ds_store_b128 v5, v[1:4]
	s_waitcnt lgkmcnt(0)
	s_barrier
	buffer_gl0_inv
	v_cmpx_gt_u32_e32 46, v164
	s_cbranch_execz .LBB58_199
; %bb.196:
	v_dual_mov_b32 v1, 0 :: v_dual_add_nc_u32 v8, 0x3b0, v45
	v_dual_mov_b32 v2, 0 :: v_dual_add_nc_u32 v7, -1, v164
	v_or_b32_e32 v9, 8, v13
	s_mov_b32 s3, 0
	s_delay_alu instid0(VALU_DEP_2)
	v_dual_mov_b32 v4, v2 :: v_dual_mov_b32 v3, v1
	.p2align	6
.LBB58_197:                             ; =>This Inner Loop Header: Depth=1
	scratch_load_b128 v[14:17], v9, off offset:-8
	ds_load_b128 v[18:21], v8
	v_add_nc_u32_e32 v7, 1, v7
	v_add_nc_u32_e32 v8, 16, v8
	;; [unrolled: 1-line block ×3, first 2 shown]
	s_delay_alu instid0(VALU_DEP_3) | instskip(SKIP_4) | instid1(VALU_DEP_2)
	v_cmp_lt_u32_e32 vcc_lo, 44, v7
	s_or_b32 s3, vcc_lo, s3
	s_waitcnt vmcnt(0) lgkmcnt(0)
	v_mul_f64 v[10:11], v[20:21], v[16:17]
	v_mul_f64 v[16:17], v[18:19], v[16:17]
	v_fma_f64 v[10:11], v[18:19], v[14:15], -v[10:11]
	s_delay_alu instid0(VALU_DEP_2) | instskip(NEXT) | instid1(VALU_DEP_2)
	v_fma_f64 v[14:15], v[20:21], v[14:15], v[16:17]
	v_add_f64 v[3:4], v[3:4], v[10:11]
	s_delay_alu instid0(VALU_DEP_2)
	v_add_f64 v[1:2], v[1:2], v[14:15]
	s_and_not1_b32 exec_lo, exec_lo, s3
	s_cbranch_execnz .LBB58_197
; %bb.198:
	s_or_b32 exec_lo, exec_lo, s3
	v_mov_b32_e32 v7, 0
	ds_load_b128 v[7:10], v7 offset:736
	s_waitcnt lgkmcnt(0)
	v_mul_f64 v[11:12], v[1:2], v[9:10]
	v_mul_f64 v[14:15], v[3:4], v[9:10]
	s_delay_alu instid0(VALU_DEP_2) | instskip(NEXT) | instid1(VALU_DEP_2)
	v_fma_f64 v[9:10], v[3:4], v[7:8], -v[11:12]
	v_fma_f64 v[11:12], v[1:2], v[7:8], v[14:15]
	scratch_store_b128 off, v[9:12], off offset:736
.LBB58_199:
	s_or_b32 exec_lo, exec_lo, s2
	s_waitcnt_vscnt null, 0x0
	s_barrier
	buffer_gl0_inv
	scratch_load_b128 v[1:4], v191, off
	s_mov_b32 s2, exec_lo
	s_waitcnt vmcnt(0)
	ds_store_b128 v5, v[1:4]
	s_waitcnt lgkmcnt(0)
	s_barrier
	buffer_gl0_inv
	v_cmpx_gt_u32_e32 47, v164
	s_cbranch_execz .LBB58_203
; %bb.200:
	v_dual_mov_b32 v1, 0 :: v_dual_add_nc_u32 v8, 0x3b0, v45
	v_dual_mov_b32 v2, 0 :: v_dual_add_nc_u32 v7, -1, v164
	v_or_b32_e32 v9, 8, v13
	s_mov_b32 s3, 0
	s_delay_alu instid0(VALU_DEP_2)
	v_dual_mov_b32 v4, v2 :: v_dual_mov_b32 v3, v1
	.p2align	6
.LBB58_201:                             ; =>This Inner Loop Header: Depth=1
	scratch_load_b128 v[14:17], v9, off offset:-8
	ds_load_b128 v[18:21], v8
	v_add_nc_u32_e32 v7, 1, v7
	v_add_nc_u32_e32 v8, 16, v8
	;; [unrolled: 1-line block ×3, first 2 shown]
	s_delay_alu instid0(VALU_DEP_3) | instskip(SKIP_4) | instid1(VALU_DEP_2)
	v_cmp_lt_u32_e32 vcc_lo, 45, v7
	s_or_b32 s3, vcc_lo, s3
	s_waitcnt vmcnt(0) lgkmcnt(0)
	v_mul_f64 v[10:11], v[20:21], v[16:17]
	v_mul_f64 v[16:17], v[18:19], v[16:17]
	v_fma_f64 v[10:11], v[18:19], v[14:15], -v[10:11]
	s_delay_alu instid0(VALU_DEP_2) | instskip(NEXT) | instid1(VALU_DEP_2)
	v_fma_f64 v[14:15], v[20:21], v[14:15], v[16:17]
	v_add_f64 v[3:4], v[3:4], v[10:11]
	s_delay_alu instid0(VALU_DEP_2)
	v_add_f64 v[1:2], v[1:2], v[14:15]
	s_and_not1_b32 exec_lo, exec_lo, s3
	s_cbranch_execnz .LBB58_201
; %bb.202:
	s_or_b32 exec_lo, exec_lo, s3
	v_mov_b32_e32 v7, 0
	ds_load_b128 v[7:10], v7 offset:752
	s_waitcnt lgkmcnt(0)
	v_mul_f64 v[11:12], v[1:2], v[9:10]
	v_mul_f64 v[14:15], v[3:4], v[9:10]
	s_delay_alu instid0(VALU_DEP_2) | instskip(NEXT) | instid1(VALU_DEP_2)
	v_fma_f64 v[9:10], v[3:4], v[7:8], -v[11:12]
	v_fma_f64 v[11:12], v[1:2], v[7:8], v[14:15]
	scratch_store_b128 off, v[9:12], off offset:752
.LBB58_203:
	s_or_b32 exec_lo, exec_lo, s2
	s_waitcnt_vscnt null, 0x0
	s_barrier
	buffer_gl0_inv
	scratch_load_b128 v[1:4], v189, off
	s_mov_b32 s2, exec_lo
	s_waitcnt vmcnt(0)
	ds_store_b128 v5, v[1:4]
	s_waitcnt lgkmcnt(0)
	s_barrier
	buffer_gl0_inv
	v_cmpx_gt_u32_e32 48, v164
	s_cbranch_execz .LBB58_207
; %bb.204:
	v_dual_mov_b32 v1, 0 :: v_dual_add_nc_u32 v8, 0x3b0, v45
	v_dual_mov_b32 v2, 0 :: v_dual_add_nc_u32 v7, -1, v164
	v_or_b32_e32 v9, 8, v13
	s_mov_b32 s3, 0
	s_delay_alu instid0(VALU_DEP_2)
	v_dual_mov_b32 v4, v2 :: v_dual_mov_b32 v3, v1
	.p2align	6
.LBB58_205:                             ; =>This Inner Loop Header: Depth=1
	scratch_load_b128 v[14:17], v9, off offset:-8
	ds_load_b128 v[18:21], v8
	v_add_nc_u32_e32 v7, 1, v7
	v_add_nc_u32_e32 v8, 16, v8
	;; [unrolled: 1-line block ×3, first 2 shown]
	s_delay_alu instid0(VALU_DEP_3) | instskip(SKIP_4) | instid1(VALU_DEP_2)
	v_cmp_lt_u32_e32 vcc_lo, 46, v7
	s_or_b32 s3, vcc_lo, s3
	s_waitcnt vmcnt(0) lgkmcnt(0)
	v_mul_f64 v[10:11], v[20:21], v[16:17]
	v_mul_f64 v[16:17], v[18:19], v[16:17]
	v_fma_f64 v[10:11], v[18:19], v[14:15], -v[10:11]
	s_delay_alu instid0(VALU_DEP_2) | instskip(NEXT) | instid1(VALU_DEP_2)
	v_fma_f64 v[14:15], v[20:21], v[14:15], v[16:17]
	v_add_f64 v[3:4], v[3:4], v[10:11]
	s_delay_alu instid0(VALU_DEP_2)
	v_add_f64 v[1:2], v[1:2], v[14:15]
	s_and_not1_b32 exec_lo, exec_lo, s3
	s_cbranch_execnz .LBB58_205
; %bb.206:
	s_or_b32 exec_lo, exec_lo, s3
	v_mov_b32_e32 v7, 0
	ds_load_b128 v[7:10], v7 offset:768
	s_waitcnt lgkmcnt(0)
	v_mul_f64 v[11:12], v[1:2], v[9:10]
	v_mul_f64 v[14:15], v[3:4], v[9:10]
	s_delay_alu instid0(VALU_DEP_2) | instskip(NEXT) | instid1(VALU_DEP_2)
	v_fma_f64 v[9:10], v[3:4], v[7:8], -v[11:12]
	v_fma_f64 v[11:12], v[1:2], v[7:8], v[14:15]
	scratch_store_b128 off, v[9:12], off offset:768
.LBB58_207:
	s_or_b32 exec_lo, exec_lo, s2
	s_waitcnt_vscnt null, 0x0
	s_barrier
	buffer_gl0_inv
	scratch_load_b128 v[1:4], v194, off
	s_mov_b32 s2, exec_lo
	s_waitcnt vmcnt(0)
	ds_store_b128 v5, v[1:4]
	s_waitcnt lgkmcnt(0)
	s_barrier
	buffer_gl0_inv
	v_cmpx_gt_u32_e32 49, v164
	s_cbranch_execz .LBB58_211
; %bb.208:
	v_dual_mov_b32 v1, 0 :: v_dual_add_nc_u32 v8, 0x3b0, v45
	v_dual_mov_b32 v2, 0 :: v_dual_add_nc_u32 v7, -1, v164
	v_or_b32_e32 v9, 8, v13
	s_mov_b32 s3, 0
	s_delay_alu instid0(VALU_DEP_2)
	v_dual_mov_b32 v4, v2 :: v_dual_mov_b32 v3, v1
	.p2align	6
.LBB58_209:                             ; =>This Inner Loop Header: Depth=1
	scratch_load_b128 v[14:17], v9, off offset:-8
	ds_load_b128 v[18:21], v8
	v_add_nc_u32_e32 v7, 1, v7
	v_add_nc_u32_e32 v8, 16, v8
	;; [unrolled: 1-line block ×3, first 2 shown]
	s_delay_alu instid0(VALU_DEP_3) | instskip(SKIP_4) | instid1(VALU_DEP_2)
	v_cmp_lt_u32_e32 vcc_lo, 47, v7
	s_or_b32 s3, vcc_lo, s3
	s_waitcnt vmcnt(0) lgkmcnt(0)
	v_mul_f64 v[10:11], v[20:21], v[16:17]
	v_mul_f64 v[16:17], v[18:19], v[16:17]
	v_fma_f64 v[10:11], v[18:19], v[14:15], -v[10:11]
	s_delay_alu instid0(VALU_DEP_2) | instskip(NEXT) | instid1(VALU_DEP_2)
	v_fma_f64 v[14:15], v[20:21], v[14:15], v[16:17]
	v_add_f64 v[3:4], v[3:4], v[10:11]
	s_delay_alu instid0(VALU_DEP_2)
	v_add_f64 v[1:2], v[1:2], v[14:15]
	s_and_not1_b32 exec_lo, exec_lo, s3
	s_cbranch_execnz .LBB58_209
; %bb.210:
	s_or_b32 exec_lo, exec_lo, s3
	v_mov_b32_e32 v7, 0
	ds_load_b128 v[7:10], v7 offset:784
	s_waitcnt lgkmcnt(0)
	v_mul_f64 v[11:12], v[1:2], v[9:10]
	v_mul_f64 v[14:15], v[3:4], v[9:10]
	s_delay_alu instid0(VALU_DEP_2) | instskip(NEXT) | instid1(VALU_DEP_2)
	v_fma_f64 v[9:10], v[3:4], v[7:8], -v[11:12]
	v_fma_f64 v[11:12], v[1:2], v[7:8], v[14:15]
	scratch_store_b128 off, v[9:12], off offset:784
.LBB58_211:
	s_or_b32 exec_lo, exec_lo, s2
	s_waitcnt_vscnt null, 0x0
	s_barrier
	buffer_gl0_inv
	scratch_load_b128 v[1:4], v192, off
	s_mov_b32 s2, exec_lo
	s_waitcnt vmcnt(0)
	ds_store_b128 v5, v[1:4]
	s_waitcnt lgkmcnt(0)
	s_barrier
	buffer_gl0_inv
	v_cmpx_gt_u32_e32 50, v164
	s_cbranch_execz .LBB58_215
; %bb.212:
	v_dual_mov_b32 v1, 0 :: v_dual_add_nc_u32 v8, 0x3b0, v45
	v_dual_mov_b32 v2, 0 :: v_dual_add_nc_u32 v7, -1, v164
	v_or_b32_e32 v9, 8, v13
	s_mov_b32 s3, 0
	s_delay_alu instid0(VALU_DEP_2)
	v_dual_mov_b32 v4, v2 :: v_dual_mov_b32 v3, v1
	.p2align	6
.LBB58_213:                             ; =>This Inner Loop Header: Depth=1
	scratch_load_b128 v[14:17], v9, off offset:-8
	ds_load_b128 v[18:21], v8
	v_add_nc_u32_e32 v7, 1, v7
	v_add_nc_u32_e32 v8, 16, v8
	;; [unrolled: 1-line block ×3, first 2 shown]
	s_delay_alu instid0(VALU_DEP_3) | instskip(SKIP_4) | instid1(VALU_DEP_2)
	v_cmp_lt_u32_e32 vcc_lo, 48, v7
	s_or_b32 s3, vcc_lo, s3
	s_waitcnt vmcnt(0) lgkmcnt(0)
	v_mul_f64 v[10:11], v[20:21], v[16:17]
	v_mul_f64 v[16:17], v[18:19], v[16:17]
	v_fma_f64 v[10:11], v[18:19], v[14:15], -v[10:11]
	s_delay_alu instid0(VALU_DEP_2) | instskip(NEXT) | instid1(VALU_DEP_2)
	v_fma_f64 v[14:15], v[20:21], v[14:15], v[16:17]
	v_add_f64 v[3:4], v[3:4], v[10:11]
	s_delay_alu instid0(VALU_DEP_2)
	v_add_f64 v[1:2], v[1:2], v[14:15]
	s_and_not1_b32 exec_lo, exec_lo, s3
	s_cbranch_execnz .LBB58_213
; %bb.214:
	s_or_b32 exec_lo, exec_lo, s3
	v_mov_b32_e32 v7, 0
	ds_load_b128 v[7:10], v7 offset:800
	s_waitcnt lgkmcnt(0)
	v_mul_f64 v[11:12], v[1:2], v[9:10]
	v_mul_f64 v[14:15], v[3:4], v[9:10]
	s_delay_alu instid0(VALU_DEP_2) | instskip(NEXT) | instid1(VALU_DEP_2)
	v_fma_f64 v[9:10], v[3:4], v[7:8], -v[11:12]
	v_fma_f64 v[11:12], v[1:2], v[7:8], v[14:15]
	scratch_store_b128 off, v[9:12], off offset:800
.LBB58_215:
	s_or_b32 exec_lo, exec_lo, s2
	s_waitcnt_vscnt null, 0x0
	s_barrier
	buffer_gl0_inv
	scratch_load_b128 v[1:4], v184, off
	s_mov_b32 s2, exec_lo
	s_waitcnt vmcnt(0)
	ds_store_b128 v5, v[1:4]
	s_waitcnt lgkmcnt(0)
	s_barrier
	buffer_gl0_inv
	v_cmpx_gt_u32_e32 51, v164
	s_cbranch_execz .LBB58_219
; %bb.216:
	v_dual_mov_b32 v1, 0 :: v_dual_add_nc_u32 v8, 0x3b0, v45
	v_dual_mov_b32 v2, 0 :: v_dual_add_nc_u32 v7, -1, v164
	v_or_b32_e32 v9, 8, v13
	s_mov_b32 s3, 0
	s_delay_alu instid0(VALU_DEP_2)
	v_dual_mov_b32 v4, v2 :: v_dual_mov_b32 v3, v1
	.p2align	6
.LBB58_217:                             ; =>This Inner Loop Header: Depth=1
	scratch_load_b128 v[14:17], v9, off offset:-8
	ds_load_b128 v[18:21], v8
	v_add_nc_u32_e32 v7, 1, v7
	v_add_nc_u32_e32 v8, 16, v8
	;; [unrolled: 1-line block ×3, first 2 shown]
	s_delay_alu instid0(VALU_DEP_3) | instskip(SKIP_4) | instid1(VALU_DEP_2)
	v_cmp_lt_u32_e32 vcc_lo, 49, v7
	s_or_b32 s3, vcc_lo, s3
	s_waitcnt vmcnt(0) lgkmcnt(0)
	v_mul_f64 v[10:11], v[20:21], v[16:17]
	v_mul_f64 v[16:17], v[18:19], v[16:17]
	v_fma_f64 v[10:11], v[18:19], v[14:15], -v[10:11]
	s_delay_alu instid0(VALU_DEP_2) | instskip(NEXT) | instid1(VALU_DEP_2)
	v_fma_f64 v[14:15], v[20:21], v[14:15], v[16:17]
	v_add_f64 v[3:4], v[3:4], v[10:11]
	s_delay_alu instid0(VALU_DEP_2)
	v_add_f64 v[1:2], v[1:2], v[14:15]
	s_and_not1_b32 exec_lo, exec_lo, s3
	s_cbranch_execnz .LBB58_217
; %bb.218:
	s_or_b32 exec_lo, exec_lo, s3
	v_mov_b32_e32 v7, 0
	ds_load_b128 v[7:10], v7 offset:816
	s_waitcnt lgkmcnt(0)
	v_mul_f64 v[11:12], v[1:2], v[9:10]
	v_mul_f64 v[14:15], v[3:4], v[9:10]
	s_delay_alu instid0(VALU_DEP_2) | instskip(NEXT) | instid1(VALU_DEP_2)
	v_fma_f64 v[9:10], v[3:4], v[7:8], -v[11:12]
	v_fma_f64 v[11:12], v[1:2], v[7:8], v[14:15]
	scratch_store_b128 off, v[9:12], off offset:816
.LBB58_219:
	s_or_b32 exec_lo, exec_lo, s2
	s_waitcnt_vscnt null, 0x0
	s_barrier
	buffer_gl0_inv
	scratch_load_b128 v[1:4], v201, off
	s_mov_b32 s2, exec_lo
	s_waitcnt vmcnt(0)
	ds_store_b128 v5, v[1:4]
	s_waitcnt lgkmcnt(0)
	s_barrier
	buffer_gl0_inv
	v_cmpx_gt_u32_e32 52, v164
	s_cbranch_execz .LBB58_223
; %bb.220:
	v_dual_mov_b32 v1, 0 :: v_dual_add_nc_u32 v8, 0x3b0, v45
	v_dual_mov_b32 v2, 0 :: v_dual_add_nc_u32 v7, -1, v164
	v_or_b32_e32 v9, 8, v13
	s_mov_b32 s3, 0
	s_delay_alu instid0(VALU_DEP_2)
	v_dual_mov_b32 v4, v2 :: v_dual_mov_b32 v3, v1
	.p2align	6
.LBB58_221:                             ; =>This Inner Loop Header: Depth=1
	scratch_load_b128 v[14:17], v9, off offset:-8
	ds_load_b128 v[18:21], v8
	v_add_nc_u32_e32 v7, 1, v7
	v_add_nc_u32_e32 v8, 16, v8
	;; [unrolled: 1-line block ×3, first 2 shown]
	s_delay_alu instid0(VALU_DEP_3) | instskip(SKIP_4) | instid1(VALU_DEP_2)
	v_cmp_lt_u32_e32 vcc_lo, 50, v7
	s_or_b32 s3, vcc_lo, s3
	s_waitcnt vmcnt(0) lgkmcnt(0)
	v_mul_f64 v[10:11], v[20:21], v[16:17]
	v_mul_f64 v[16:17], v[18:19], v[16:17]
	v_fma_f64 v[10:11], v[18:19], v[14:15], -v[10:11]
	s_delay_alu instid0(VALU_DEP_2) | instskip(NEXT) | instid1(VALU_DEP_2)
	v_fma_f64 v[14:15], v[20:21], v[14:15], v[16:17]
	v_add_f64 v[3:4], v[3:4], v[10:11]
	s_delay_alu instid0(VALU_DEP_2)
	v_add_f64 v[1:2], v[1:2], v[14:15]
	s_and_not1_b32 exec_lo, exec_lo, s3
	s_cbranch_execnz .LBB58_221
; %bb.222:
	s_or_b32 exec_lo, exec_lo, s3
	v_mov_b32_e32 v7, 0
	ds_load_b128 v[7:10], v7 offset:832
	s_waitcnt lgkmcnt(0)
	v_mul_f64 v[11:12], v[1:2], v[9:10]
	v_mul_f64 v[14:15], v[3:4], v[9:10]
	s_delay_alu instid0(VALU_DEP_2) | instskip(NEXT) | instid1(VALU_DEP_2)
	v_fma_f64 v[9:10], v[3:4], v[7:8], -v[11:12]
	v_fma_f64 v[11:12], v[1:2], v[7:8], v[14:15]
	scratch_store_b128 off, v[9:12], off offset:832
.LBB58_223:
	s_or_b32 exec_lo, exec_lo, s2
	s_waitcnt_vscnt null, 0x0
	s_barrier
	buffer_gl0_inv
	scratch_load_b128 v[1:4], v200, off
	s_mov_b32 s2, exec_lo
	s_waitcnt vmcnt(0)
	ds_store_b128 v5, v[1:4]
	s_waitcnt lgkmcnt(0)
	s_barrier
	buffer_gl0_inv
	v_cmpx_gt_u32_e32 53, v164
	s_cbranch_execz .LBB58_227
; %bb.224:
	v_dual_mov_b32 v1, 0 :: v_dual_add_nc_u32 v8, 0x3b0, v45
	v_dual_mov_b32 v2, 0 :: v_dual_add_nc_u32 v7, -1, v164
	v_or_b32_e32 v9, 8, v13
	s_mov_b32 s3, 0
	s_delay_alu instid0(VALU_DEP_2)
	v_dual_mov_b32 v4, v2 :: v_dual_mov_b32 v3, v1
	.p2align	6
.LBB58_225:                             ; =>This Inner Loop Header: Depth=1
	scratch_load_b128 v[14:17], v9, off offset:-8
	ds_load_b128 v[18:21], v8
	v_add_nc_u32_e32 v7, 1, v7
	v_add_nc_u32_e32 v8, 16, v8
	;; [unrolled: 1-line block ×3, first 2 shown]
	s_delay_alu instid0(VALU_DEP_3) | instskip(SKIP_4) | instid1(VALU_DEP_2)
	v_cmp_lt_u32_e32 vcc_lo, 51, v7
	s_or_b32 s3, vcc_lo, s3
	s_waitcnt vmcnt(0) lgkmcnt(0)
	v_mul_f64 v[10:11], v[20:21], v[16:17]
	v_mul_f64 v[16:17], v[18:19], v[16:17]
	v_fma_f64 v[10:11], v[18:19], v[14:15], -v[10:11]
	s_delay_alu instid0(VALU_DEP_2) | instskip(NEXT) | instid1(VALU_DEP_2)
	v_fma_f64 v[14:15], v[20:21], v[14:15], v[16:17]
	v_add_f64 v[3:4], v[3:4], v[10:11]
	s_delay_alu instid0(VALU_DEP_2)
	v_add_f64 v[1:2], v[1:2], v[14:15]
	s_and_not1_b32 exec_lo, exec_lo, s3
	s_cbranch_execnz .LBB58_225
; %bb.226:
	s_or_b32 exec_lo, exec_lo, s3
	v_mov_b32_e32 v7, 0
	ds_load_b128 v[7:10], v7 offset:848
	s_waitcnt lgkmcnt(0)
	v_mul_f64 v[11:12], v[1:2], v[9:10]
	v_mul_f64 v[14:15], v[3:4], v[9:10]
	s_delay_alu instid0(VALU_DEP_2) | instskip(NEXT) | instid1(VALU_DEP_2)
	v_fma_f64 v[9:10], v[3:4], v[7:8], -v[11:12]
	v_fma_f64 v[11:12], v[1:2], v[7:8], v[14:15]
	scratch_store_b128 off, v[9:12], off offset:848
.LBB58_227:
	s_or_b32 exec_lo, exec_lo, s2
	s_waitcnt_vscnt null, 0x0
	s_barrier
	buffer_gl0_inv
	scratch_load_b128 v[1:4], v211, off
	s_mov_b32 s2, exec_lo
	s_waitcnt vmcnt(0)
	ds_store_b128 v5, v[1:4]
	s_waitcnt lgkmcnt(0)
	s_barrier
	buffer_gl0_inv
	v_cmpx_gt_u32_e32 54, v164
	s_cbranch_execz .LBB58_231
; %bb.228:
	v_dual_mov_b32 v1, 0 :: v_dual_add_nc_u32 v8, 0x3b0, v45
	v_dual_mov_b32 v2, 0 :: v_dual_add_nc_u32 v7, -1, v164
	v_or_b32_e32 v9, 8, v13
	s_mov_b32 s3, 0
	s_delay_alu instid0(VALU_DEP_2)
	v_dual_mov_b32 v4, v2 :: v_dual_mov_b32 v3, v1
	.p2align	6
.LBB58_229:                             ; =>This Inner Loop Header: Depth=1
	scratch_load_b128 v[14:17], v9, off offset:-8
	ds_load_b128 v[18:21], v8
	v_add_nc_u32_e32 v7, 1, v7
	v_add_nc_u32_e32 v8, 16, v8
	;; [unrolled: 1-line block ×3, first 2 shown]
	s_delay_alu instid0(VALU_DEP_3) | instskip(SKIP_4) | instid1(VALU_DEP_2)
	v_cmp_lt_u32_e32 vcc_lo, 52, v7
	s_or_b32 s3, vcc_lo, s3
	s_waitcnt vmcnt(0) lgkmcnt(0)
	v_mul_f64 v[10:11], v[20:21], v[16:17]
	v_mul_f64 v[16:17], v[18:19], v[16:17]
	v_fma_f64 v[10:11], v[18:19], v[14:15], -v[10:11]
	s_delay_alu instid0(VALU_DEP_2) | instskip(NEXT) | instid1(VALU_DEP_2)
	v_fma_f64 v[14:15], v[20:21], v[14:15], v[16:17]
	v_add_f64 v[3:4], v[3:4], v[10:11]
	s_delay_alu instid0(VALU_DEP_2)
	v_add_f64 v[1:2], v[1:2], v[14:15]
	s_and_not1_b32 exec_lo, exec_lo, s3
	s_cbranch_execnz .LBB58_229
; %bb.230:
	s_or_b32 exec_lo, exec_lo, s3
	v_mov_b32_e32 v7, 0
	ds_load_b128 v[7:10], v7 offset:864
	s_waitcnt lgkmcnt(0)
	v_mul_f64 v[11:12], v[1:2], v[9:10]
	v_mul_f64 v[14:15], v[3:4], v[9:10]
	s_delay_alu instid0(VALU_DEP_2) | instskip(NEXT) | instid1(VALU_DEP_2)
	v_fma_f64 v[9:10], v[3:4], v[7:8], -v[11:12]
	v_fma_f64 v[11:12], v[1:2], v[7:8], v[14:15]
	scratch_store_b128 off, v[9:12], off offset:864
.LBB58_231:
	s_or_b32 exec_lo, exec_lo, s2
	s_waitcnt_vscnt null, 0x0
	s_barrier
	buffer_gl0_inv
	scratch_load_b128 v[1:4], v176, off
	s_mov_b32 s2, exec_lo
	s_waitcnt vmcnt(0)
	ds_store_b128 v5, v[1:4]
	s_waitcnt lgkmcnt(0)
	s_barrier
	buffer_gl0_inv
	v_cmpx_gt_u32_e32 55, v164
	s_cbranch_execz .LBB58_235
; %bb.232:
	v_dual_mov_b32 v1, 0 :: v_dual_add_nc_u32 v8, 0x3b0, v45
	v_dual_mov_b32 v2, 0 :: v_dual_add_nc_u32 v7, -1, v164
	v_or_b32_e32 v9, 8, v13
	s_mov_b32 s3, 0
	s_delay_alu instid0(VALU_DEP_2)
	v_dual_mov_b32 v4, v2 :: v_dual_mov_b32 v3, v1
	.p2align	6
.LBB58_233:                             ; =>This Inner Loop Header: Depth=1
	scratch_load_b128 v[14:17], v9, off offset:-8
	ds_load_b128 v[18:21], v8
	v_add_nc_u32_e32 v7, 1, v7
	v_add_nc_u32_e32 v8, 16, v8
	;; [unrolled: 1-line block ×3, first 2 shown]
	s_delay_alu instid0(VALU_DEP_3) | instskip(SKIP_4) | instid1(VALU_DEP_2)
	v_cmp_lt_u32_e32 vcc_lo, 53, v7
	s_or_b32 s3, vcc_lo, s3
	s_waitcnt vmcnt(0) lgkmcnt(0)
	v_mul_f64 v[10:11], v[20:21], v[16:17]
	v_mul_f64 v[16:17], v[18:19], v[16:17]
	v_fma_f64 v[10:11], v[18:19], v[14:15], -v[10:11]
	s_delay_alu instid0(VALU_DEP_2) | instskip(NEXT) | instid1(VALU_DEP_2)
	v_fma_f64 v[14:15], v[20:21], v[14:15], v[16:17]
	v_add_f64 v[3:4], v[3:4], v[10:11]
	s_delay_alu instid0(VALU_DEP_2)
	v_add_f64 v[1:2], v[1:2], v[14:15]
	s_and_not1_b32 exec_lo, exec_lo, s3
	s_cbranch_execnz .LBB58_233
; %bb.234:
	s_or_b32 exec_lo, exec_lo, s3
	v_mov_b32_e32 v7, 0
	ds_load_b128 v[7:10], v7 offset:880
	s_waitcnt lgkmcnt(0)
	v_mul_f64 v[11:12], v[1:2], v[9:10]
	v_mul_f64 v[14:15], v[3:4], v[9:10]
	s_delay_alu instid0(VALU_DEP_2) | instskip(NEXT) | instid1(VALU_DEP_2)
	v_fma_f64 v[9:10], v[3:4], v[7:8], -v[11:12]
	v_fma_f64 v[11:12], v[1:2], v[7:8], v[14:15]
	scratch_store_b128 off, v[9:12], off offset:880
.LBB58_235:
	s_or_b32 exec_lo, exec_lo, s2
	s_waitcnt_vscnt null, 0x0
	s_barrier
	buffer_gl0_inv
	scratch_load_b128 v[1:4], v195, off
	s_mov_b32 s2, exec_lo
	s_waitcnt vmcnt(0)
	ds_store_b128 v5, v[1:4]
	s_waitcnt lgkmcnt(0)
	s_barrier
	buffer_gl0_inv
	v_cmpx_gt_u32_e32 56, v164
	s_cbranch_execz .LBB58_239
; %bb.236:
	v_dual_mov_b32 v1, 0 :: v_dual_add_nc_u32 v8, 0x3b0, v45
	v_dual_mov_b32 v2, 0 :: v_dual_add_nc_u32 v7, -1, v164
	v_or_b32_e32 v9, 8, v13
	s_mov_b32 s3, 0
	s_delay_alu instid0(VALU_DEP_2)
	v_dual_mov_b32 v4, v2 :: v_dual_mov_b32 v3, v1
	.p2align	6
.LBB58_237:                             ; =>This Inner Loop Header: Depth=1
	scratch_load_b128 v[14:17], v9, off offset:-8
	ds_load_b128 v[18:21], v8
	v_add_nc_u32_e32 v7, 1, v7
	v_add_nc_u32_e32 v8, 16, v8
	;; [unrolled: 1-line block ×3, first 2 shown]
	s_delay_alu instid0(VALU_DEP_3) | instskip(SKIP_4) | instid1(VALU_DEP_2)
	v_cmp_lt_u32_e32 vcc_lo, 54, v7
	s_or_b32 s3, vcc_lo, s3
	s_waitcnt vmcnt(0) lgkmcnt(0)
	v_mul_f64 v[10:11], v[20:21], v[16:17]
	v_mul_f64 v[16:17], v[18:19], v[16:17]
	v_fma_f64 v[10:11], v[18:19], v[14:15], -v[10:11]
	s_delay_alu instid0(VALU_DEP_2) | instskip(NEXT) | instid1(VALU_DEP_2)
	v_fma_f64 v[14:15], v[20:21], v[14:15], v[16:17]
	v_add_f64 v[3:4], v[3:4], v[10:11]
	s_delay_alu instid0(VALU_DEP_2)
	v_add_f64 v[1:2], v[1:2], v[14:15]
	s_and_not1_b32 exec_lo, exec_lo, s3
	s_cbranch_execnz .LBB58_237
; %bb.238:
	s_or_b32 exec_lo, exec_lo, s3
	v_mov_b32_e32 v7, 0
	ds_load_b128 v[7:10], v7 offset:896
	s_waitcnt lgkmcnt(0)
	v_mul_f64 v[11:12], v[1:2], v[9:10]
	v_mul_f64 v[14:15], v[3:4], v[9:10]
	s_delay_alu instid0(VALU_DEP_2) | instskip(NEXT) | instid1(VALU_DEP_2)
	v_fma_f64 v[9:10], v[3:4], v[7:8], -v[11:12]
	v_fma_f64 v[11:12], v[1:2], v[7:8], v[14:15]
	scratch_store_b128 off, v[9:12], off offset:896
.LBB58_239:
	s_or_b32 exec_lo, exec_lo, s2
	s_waitcnt_vscnt null, 0x0
	s_barrier
	buffer_gl0_inv
	scratch_load_b128 v[1:4], v174, off
	s_mov_b32 s2, exec_lo
	s_waitcnt vmcnt(0)
	ds_store_b128 v5, v[1:4]
	s_waitcnt lgkmcnt(0)
	s_barrier
	buffer_gl0_inv
	v_cmpx_gt_u32_e32 57, v164
	s_cbranch_execz .LBB58_243
; %bb.240:
	v_dual_mov_b32 v1, 0 :: v_dual_add_nc_u32 v8, 0x3b0, v45
	v_dual_mov_b32 v2, 0 :: v_dual_add_nc_u32 v7, -1, v164
	v_or_b32_e32 v9, 8, v13
	s_mov_b32 s3, 0
	s_delay_alu instid0(VALU_DEP_2)
	v_dual_mov_b32 v4, v2 :: v_dual_mov_b32 v3, v1
	.p2align	6
.LBB58_241:                             ; =>This Inner Loop Header: Depth=1
	scratch_load_b128 v[14:17], v9, off offset:-8
	ds_load_b128 v[18:21], v8
	v_add_nc_u32_e32 v7, 1, v7
	v_add_nc_u32_e32 v8, 16, v8
	v_add_nc_u32_e32 v9, 16, v9
	s_delay_alu instid0(VALU_DEP_3) | instskip(SKIP_4) | instid1(VALU_DEP_2)
	v_cmp_lt_u32_e32 vcc_lo, 55, v7
	s_or_b32 s3, vcc_lo, s3
	s_waitcnt vmcnt(0) lgkmcnt(0)
	v_mul_f64 v[10:11], v[20:21], v[16:17]
	v_mul_f64 v[16:17], v[18:19], v[16:17]
	v_fma_f64 v[10:11], v[18:19], v[14:15], -v[10:11]
	s_delay_alu instid0(VALU_DEP_2) | instskip(NEXT) | instid1(VALU_DEP_2)
	v_fma_f64 v[14:15], v[20:21], v[14:15], v[16:17]
	v_add_f64 v[3:4], v[3:4], v[10:11]
	s_delay_alu instid0(VALU_DEP_2)
	v_add_f64 v[1:2], v[1:2], v[14:15]
	s_and_not1_b32 exec_lo, exec_lo, s3
	s_cbranch_execnz .LBB58_241
; %bb.242:
	s_or_b32 exec_lo, exec_lo, s3
	v_mov_b32_e32 v7, 0
	ds_load_b128 v[7:10], v7 offset:912
	s_waitcnt lgkmcnt(0)
	v_mul_f64 v[11:12], v[1:2], v[9:10]
	v_mul_f64 v[14:15], v[3:4], v[9:10]
	s_delay_alu instid0(VALU_DEP_2) | instskip(NEXT) | instid1(VALU_DEP_2)
	v_fma_f64 v[9:10], v[3:4], v[7:8], -v[11:12]
	v_fma_f64 v[11:12], v[1:2], v[7:8], v[14:15]
	scratch_store_b128 off, v[9:12], off offset:912
.LBB58_243:
	s_or_b32 exec_lo, exec_lo, s2
	s_waitcnt_vscnt null, 0x0
	s_barrier
	buffer_gl0_inv
	scratch_load_b128 v[1:4], v173, off
	s_mov_b32 s2, exec_lo
	s_waitcnt vmcnt(0)
	ds_store_b128 v5, v[1:4]
	s_waitcnt lgkmcnt(0)
	s_barrier
	buffer_gl0_inv
	v_cmpx_ne_u32_e32 58, v164
	s_cbranch_execz .LBB58_247
; %bb.244:
	v_mov_b32_e32 v1, 0
	v_mov_b32_e32 v2, 0
	v_or_b32_e32 v7, 8, v13
	s_mov_b32 s3, 0
	s_delay_alu instid0(VALU_DEP_2)
	v_dual_mov_b32 v4, v2 :: v_dual_mov_b32 v3, v1
	.p2align	6
.LBB58_245:                             ; =>This Inner Loop Header: Depth=1
	scratch_load_b128 v[8:11], v7, off offset:-8
	ds_load_b128 v[12:15], v5
	v_add_nc_u32_e32 v6, 1, v6
	v_add_nc_u32_e32 v5, 16, v5
	;; [unrolled: 1-line block ×3, first 2 shown]
	s_delay_alu instid0(VALU_DEP_3) | instskip(SKIP_4) | instid1(VALU_DEP_2)
	v_cmp_lt_u32_e32 vcc_lo, 56, v6
	s_or_b32 s3, vcc_lo, s3
	s_waitcnt vmcnt(0) lgkmcnt(0)
	v_mul_f64 v[16:17], v[14:15], v[10:11]
	v_mul_f64 v[10:11], v[12:13], v[10:11]
	v_fma_f64 v[12:13], v[12:13], v[8:9], -v[16:17]
	s_delay_alu instid0(VALU_DEP_2) | instskip(NEXT) | instid1(VALU_DEP_2)
	v_fma_f64 v[8:9], v[14:15], v[8:9], v[10:11]
	v_add_f64 v[3:4], v[3:4], v[12:13]
	s_delay_alu instid0(VALU_DEP_2)
	v_add_f64 v[1:2], v[1:2], v[8:9]
	s_and_not1_b32 exec_lo, exec_lo, s3
	s_cbranch_execnz .LBB58_245
; %bb.246:
	s_or_b32 exec_lo, exec_lo, s3
	v_mov_b32_e32 v5, 0
	ds_load_b128 v[5:8], v5 offset:928
	s_waitcnt lgkmcnt(0)
	v_mul_f64 v[9:10], v[1:2], v[7:8]
	v_mul_f64 v[7:8], v[3:4], v[7:8]
	s_delay_alu instid0(VALU_DEP_2) | instskip(NEXT) | instid1(VALU_DEP_2)
	v_fma_f64 v[3:4], v[3:4], v[5:6], -v[9:10]
	v_fma_f64 v[5:6], v[1:2], v[5:6], v[7:8]
	scratch_store_b128 off, v[3:6], off offset:928
.LBB58_247:
	s_or_b32 exec_lo, exec_lo, s2
	s_mov_b32 s3, -1
	s_waitcnt_vscnt null, 0x0
	s_barrier
	buffer_gl0_inv
.LBB58_248:
	s_and_b32 vcc_lo, exec_lo, s3
	s_cbranch_vccz .LBB58_250
; %bb.249:
	s_lshl_b64 s[2:3], s[18:19], 2
	v_mov_b32_e32 v1, 0
	s_add_u32 s2, s6, s2
	s_addc_u32 s3, s7, s3
	global_load_b32 v1, v1, s[2:3]
	s_waitcnt vmcnt(0)
	v_cmp_ne_u32_e32 vcc_lo, 0, v1
	s_cbranch_vccz .LBB58_251
.LBB58_250:
	s_endpgm
.LBB58_251:
	v_lshl_add_u32 v223, v164, 4, 0x3b0
	s_mov_b32 s2, exec_lo
	v_cmpx_eq_u32_e32 58, v164
	s_cbranch_execz .LBB58_253
; %bb.252:
	scratch_load_b128 v[1:4], v174, off
	v_mov_b32_e32 v5, 0
	s_delay_alu instid0(VALU_DEP_1)
	v_mov_b32_e32 v6, v5
	v_mov_b32_e32 v7, v5
	;; [unrolled: 1-line block ×3, first 2 shown]
	scratch_store_b128 off, v[5:8], off offset:912
	s_waitcnt vmcnt(0)
	ds_store_b128 v223, v[1:4]
.LBB58_253:
	s_or_b32 exec_lo, exec_lo, s2
	s_waitcnt lgkmcnt(0)
	s_waitcnt_vscnt null, 0x0
	s_barrier
	buffer_gl0_inv
	s_clause 0x1
	scratch_load_b128 v[2:5], off, off offset:928
	scratch_load_b128 v[6:9], off, off offset:912
	v_mov_b32_e32 v1, 0
	s_mov_b32 s2, exec_lo
	ds_load_b128 v[10:13], v1 offset:1872
	s_waitcnt vmcnt(1) lgkmcnt(0)
	v_mul_f64 v[14:15], v[12:13], v[4:5]
	v_mul_f64 v[4:5], v[10:11], v[4:5]
	s_delay_alu instid0(VALU_DEP_2) | instskip(NEXT) | instid1(VALU_DEP_2)
	v_fma_f64 v[10:11], v[10:11], v[2:3], -v[14:15]
	v_fma_f64 v[2:3], v[12:13], v[2:3], v[4:5]
	s_delay_alu instid0(VALU_DEP_2) | instskip(NEXT) | instid1(VALU_DEP_2)
	v_add_f64 v[4:5], v[10:11], 0
	v_add_f64 v[10:11], v[2:3], 0
	s_waitcnt vmcnt(0)
	s_delay_alu instid0(VALU_DEP_2) | instskip(NEXT) | instid1(VALU_DEP_2)
	v_add_f64 v[2:3], v[6:7], -v[4:5]
	v_add_f64 v[4:5], v[8:9], -v[10:11]
	scratch_store_b128 off, v[2:5], off offset:912
	v_cmpx_lt_u32_e32 56, v164
	s_cbranch_execz .LBB58_255
; %bb.254:
	scratch_load_b128 v[5:8], v195, off
	v_mov_b32_e32 v2, v1
	v_mov_b32_e32 v3, v1
	;; [unrolled: 1-line block ×3, first 2 shown]
	scratch_store_b128 off, v[1:4], off offset:896
	s_waitcnt vmcnt(0)
	ds_store_b128 v223, v[5:8]
.LBB58_255:
	s_or_b32 exec_lo, exec_lo, s2
	s_waitcnt lgkmcnt(0)
	s_waitcnt_vscnt null, 0x0
	s_barrier
	buffer_gl0_inv
	s_clause 0x2
	scratch_load_b128 v[2:5], off, off offset:912
	scratch_load_b128 v[6:9], off, off offset:928
	;; [unrolled: 1-line block ×3, first 2 shown]
	ds_load_b128 v[14:17], v1 offset:1856
	ds_load_b128 v[18:21], v1 offset:1872
	s_mov_b32 s2, exec_lo
	s_waitcnt vmcnt(2) lgkmcnt(1)
	v_mul_f64 v[22:23], v[16:17], v[4:5]
	v_mul_f64 v[4:5], v[14:15], v[4:5]
	s_waitcnt vmcnt(1) lgkmcnt(0)
	v_mul_f64 v[24:25], v[18:19], v[8:9]
	v_mul_f64 v[8:9], v[20:21], v[8:9]
	s_delay_alu instid0(VALU_DEP_4) | instskip(NEXT) | instid1(VALU_DEP_4)
	v_fma_f64 v[14:15], v[14:15], v[2:3], -v[22:23]
	v_fma_f64 v[1:2], v[16:17], v[2:3], v[4:5]
	s_delay_alu instid0(VALU_DEP_4) | instskip(NEXT) | instid1(VALU_DEP_4)
	v_fma_f64 v[3:4], v[20:21], v[6:7], v[24:25]
	v_fma_f64 v[5:6], v[18:19], v[6:7], -v[8:9]
	s_delay_alu instid0(VALU_DEP_4) | instskip(NEXT) | instid1(VALU_DEP_4)
	v_add_f64 v[7:8], v[14:15], 0
	v_add_f64 v[1:2], v[1:2], 0
	s_delay_alu instid0(VALU_DEP_2) | instskip(NEXT) | instid1(VALU_DEP_2)
	v_add_f64 v[5:6], v[7:8], v[5:6]
	v_add_f64 v[3:4], v[1:2], v[3:4]
	s_waitcnt vmcnt(0)
	s_delay_alu instid0(VALU_DEP_2) | instskip(NEXT) | instid1(VALU_DEP_2)
	v_add_f64 v[1:2], v[10:11], -v[5:6]
	v_add_f64 v[3:4], v[12:13], -v[3:4]
	scratch_store_b128 off, v[1:4], off offset:896
	v_cmpx_lt_u32_e32 55, v164
	s_cbranch_execz .LBB58_257
; %bb.256:
	scratch_load_b128 v[1:4], v176, off
	v_mov_b32_e32 v5, 0
	s_delay_alu instid0(VALU_DEP_1)
	v_mov_b32_e32 v6, v5
	v_mov_b32_e32 v7, v5
	;; [unrolled: 1-line block ×3, first 2 shown]
	scratch_store_b128 off, v[5:8], off offset:880
	s_waitcnt vmcnt(0)
	ds_store_b128 v223, v[1:4]
.LBB58_257:
	s_or_b32 exec_lo, exec_lo, s2
	s_waitcnt lgkmcnt(0)
	s_waitcnt_vscnt null, 0x0
	s_barrier
	buffer_gl0_inv
	s_clause 0x3
	scratch_load_b128 v[2:5], off, off offset:896
	scratch_load_b128 v[6:9], off, off offset:912
	;; [unrolled: 1-line block ×4, first 2 shown]
	v_mov_b32_e32 v1, 0
	ds_load_b128 v[18:21], v1 offset:1840
	ds_load_b128 v[22:25], v1 offset:1856
	s_mov_b32 s2, exec_lo
	s_waitcnt vmcnt(3) lgkmcnt(1)
	v_mul_f64 v[26:27], v[20:21], v[4:5]
	v_mul_f64 v[4:5], v[18:19], v[4:5]
	s_waitcnt vmcnt(2) lgkmcnt(0)
	v_mul_f64 v[28:29], v[22:23], v[8:9]
	v_mul_f64 v[8:9], v[24:25], v[8:9]
	s_delay_alu instid0(VALU_DEP_4) | instskip(NEXT) | instid1(VALU_DEP_4)
	v_fma_f64 v[18:19], v[18:19], v[2:3], -v[26:27]
	v_fma_f64 v[20:21], v[20:21], v[2:3], v[4:5]
	ds_load_b128 v[2:5], v1 offset:1872
	v_fma_f64 v[24:25], v[24:25], v[6:7], v[28:29]
	v_fma_f64 v[6:7], v[22:23], v[6:7], -v[8:9]
	s_waitcnt vmcnt(1) lgkmcnt(0)
	v_mul_f64 v[26:27], v[2:3], v[12:13]
	v_mul_f64 v[12:13], v[4:5], v[12:13]
	v_add_f64 v[8:9], v[18:19], 0
	v_add_f64 v[18:19], v[20:21], 0
	s_delay_alu instid0(VALU_DEP_4) | instskip(NEXT) | instid1(VALU_DEP_4)
	v_fma_f64 v[4:5], v[4:5], v[10:11], v[26:27]
	v_fma_f64 v[2:3], v[2:3], v[10:11], -v[12:13]
	s_delay_alu instid0(VALU_DEP_4) | instskip(NEXT) | instid1(VALU_DEP_4)
	v_add_f64 v[6:7], v[8:9], v[6:7]
	v_add_f64 v[8:9], v[18:19], v[24:25]
	s_delay_alu instid0(VALU_DEP_2) | instskip(NEXT) | instid1(VALU_DEP_2)
	v_add_f64 v[2:3], v[6:7], v[2:3]
	v_add_f64 v[4:5], v[8:9], v[4:5]
	s_waitcnt vmcnt(0)
	s_delay_alu instid0(VALU_DEP_2) | instskip(NEXT) | instid1(VALU_DEP_2)
	v_add_f64 v[2:3], v[14:15], -v[2:3]
	v_add_f64 v[4:5], v[16:17], -v[4:5]
	scratch_store_b128 off, v[2:5], off offset:880
	v_cmpx_lt_u32_e32 54, v164
	s_cbranch_execz .LBB58_259
; %bb.258:
	scratch_load_b128 v[5:8], v211, off
	v_mov_b32_e32 v2, v1
	v_mov_b32_e32 v3, v1
	;; [unrolled: 1-line block ×3, first 2 shown]
	scratch_store_b128 off, v[1:4], off offset:864
	s_waitcnt vmcnt(0)
	ds_store_b128 v223, v[5:8]
.LBB58_259:
	s_or_b32 exec_lo, exec_lo, s2
	s_waitcnt lgkmcnt(0)
	s_waitcnt_vscnt null, 0x0
	s_barrier
	buffer_gl0_inv
	s_clause 0x4
	scratch_load_b128 v[2:5], off, off offset:880
	scratch_load_b128 v[6:9], off, off offset:896
	;; [unrolled: 1-line block ×5, first 2 shown]
	ds_load_b128 v[22:25], v1 offset:1824
	ds_load_b128 v[26:29], v1 offset:1840
	s_mov_b32 s2, exec_lo
	s_waitcnt vmcnt(4) lgkmcnt(1)
	v_mul_f64 v[30:31], v[24:25], v[4:5]
	v_mul_f64 v[4:5], v[22:23], v[4:5]
	s_waitcnt vmcnt(3) lgkmcnt(0)
	v_mul_f64 v[32:33], v[26:27], v[8:9]
	v_mul_f64 v[8:9], v[28:29], v[8:9]
	s_delay_alu instid0(VALU_DEP_4) | instskip(NEXT) | instid1(VALU_DEP_4)
	v_fma_f64 v[30:31], v[22:23], v[2:3], -v[30:31]
	v_fma_f64 v[34:35], v[24:25], v[2:3], v[4:5]
	ds_load_b128 v[2:5], v1 offset:1856
	ds_load_b128 v[22:25], v1 offset:1872
	v_fma_f64 v[28:29], v[28:29], v[6:7], v[32:33]
	v_fma_f64 v[6:7], v[26:27], v[6:7], -v[8:9]
	s_waitcnt vmcnt(2) lgkmcnt(1)
	v_mul_f64 v[36:37], v[2:3], v[12:13]
	v_mul_f64 v[12:13], v[4:5], v[12:13]
	v_add_f64 v[8:9], v[30:31], 0
	v_add_f64 v[26:27], v[34:35], 0
	s_waitcnt vmcnt(1) lgkmcnt(0)
	v_mul_f64 v[30:31], v[22:23], v[16:17]
	v_mul_f64 v[16:17], v[24:25], v[16:17]
	v_fma_f64 v[4:5], v[4:5], v[10:11], v[36:37]
	v_fma_f64 v[1:2], v[2:3], v[10:11], -v[12:13]
	v_add_f64 v[6:7], v[8:9], v[6:7]
	v_add_f64 v[8:9], v[26:27], v[28:29]
	v_fma_f64 v[10:11], v[24:25], v[14:15], v[30:31]
	v_fma_f64 v[12:13], v[22:23], v[14:15], -v[16:17]
	s_delay_alu instid0(VALU_DEP_4) | instskip(NEXT) | instid1(VALU_DEP_4)
	v_add_f64 v[1:2], v[6:7], v[1:2]
	v_add_f64 v[3:4], v[8:9], v[4:5]
	s_delay_alu instid0(VALU_DEP_2) | instskip(NEXT) | instid1(VALU_DEP_2)
	v_add_f64 v[1:2], v[1:2], v[12:13]
	v_add_f64 v[3:4], v[3:4], v[10:11]
	s_waitcnt vmcnt(0)
	s_delay_alu instid0(VALU_DEP_2) | instskip(NEXT) | instid1(VALU_DEP_2)
	v_add_f64 v[1:2], v[18:19], -v[1:2]
	v_add_f64 v[3:4], v[20:21], -v[3:4]
	scratch_store_b128 off, v[1:4], off offset:864
	v_cmpx_lt_u32_e32 53, v164
	s_cbranch_execz .LBB58_261
; %bb.260:
	scratch_load_b128 v[1:4], v200, off
	v_mov_b32_e32 v5, 0
	s_delay_alu instid0(VALU_DEP_1)
	v_mov_b32_e32 v6, v5
	v_mov_b32_e32 v7, v5
	;; [unrolled: 1-line block ×3, first 2 shown]
	scratch_store_b128 off, v[5:8], off offset:848
	s_waitcnt vmcnt(0)
	ds_store_b128 v223, v[1:4]
.LBB58_261:
	s_or_b32 exec_lo, exec_lo, s2
	s_waitcnt lgkmcnt(0)
	s_waitcnt_vscnt null, 0x0
	s_barrier
	buffer_gl0_inv
	s_clause 0x5
	scratch_load_b128 v[2:5], off, off offset:864
	scratch_load_b128 v[6:9], off, off offset:880
	;; [unrolled: 1-line block ×6, first 2 shown]
	v_mov_b32_e32 v1, 0
	ds_load_b128 v[26:29], v1 offset:1808
	ds_load_b128 v[30:33], v1 offset:1824
	s_mov_b32 s2, exec_lo
	s_waitcnt vmcnt(5) lgkmcnt(1)
	v_mul_f64 v[34:35], v[28:29], v[4:5]
	v_mul_f64 v[4:5], v[26:27], v[4:5]
	s_waitcnt vmcnt(4) lgkmcnt(0)
	v_mul_f64 v[36:37], v[30:31], v[8:9]
	v_mul_f64 v[8:9], v[32:33], v[8:9]
	s_delay_alu instid0(VALU_DEP_4) | instskip(NEXT) | instid1(VALU_DEP_4)
	v_fma_f64 v[34:35], v[26:27], v[2:3], -v[34:35]
	v_fma_f64 v[38:39], v[28:29], v[2:3], v[4:5]
	ds_load_b128 v[2:5], v1 offset:1840
	ds_load_b128 v[26:29], v1 offset:1856
	v_fma_f64 v[32:33], v[32:33], v[6:7], v[36:37]
	v_fma_f64 v[6:7], v[30:31], v[6:7], -v[8:9]
	s_waitcnt vmcnt(3) lgkmcnt(1)
	v_mul_f64 v[40:41], v[2:3], v[12:13]
	v_mul_f64 v[12:13], v[4:5], v[12:13]
	v_add_f64 v[8:9], v[34:35], 0
	v_add_f64 v[30:31], v[38:39], 0
	s_waitcnt vmcnt(2) lgkmcnt(0)
	v_mul_f64 v[34:35], v[26:27], v[16:17]
	v_mul_f64 v[16:17], v[28:29], v[16:17]
	v_fma_f64 v[36:37], v[4:5], v[10:11], v[40:41]
	v_fma_f64 v[10:11], v[2:3], v[10:11], -v[12:13]
	ds_load_b128 v[2:5], v1 offset:1872
	v_add_f64 v[6:7], v[8:9], v[6:7]
	v_add_f64 v[8:9], v[30:31], v[32:33]
	v_fma_f64 v[28:29], v[28:29], v[14:15], v[34:35]
	v_fma_f64 v[14:15], v[26:27], v[14:15], -v[16:17]
	s_waitcnt vmcnt(1) lgkmcnt(0)
	v_mul_f64 v[12:13], v[2:3], v[20:21]
	v_mul_f64 v[20:21], v[4:5], v[20:21]
	v_add_f64 v[6:7], v[6:7], v[10:11]
	v_add_f64 v[8:9], v[8:9], v[36:37]
	s_delay_alu instid0(VALU_DEP_4) | instskip(NEXT) | instid1(VALU_DEP_4)
	v_fma_f64 v[4:5], v[4:5], v[18:19], v[12:13]
	v_fma_f64 v[2:3], v[2:3], v[18:19], -v[20:21]
	s_delay_alu instid0(VALU_DEP_4) | instskip(NEXT) | instid1(VALU_DEP_4)
	v_add_f64 v[6:7], v[6:7], v[14:15]
	v_add_f64 v[8:9], v[8:9], v[28:29]
	s_delay_alu instid0(VALU_DEP_2) | instskip(NEXT) | instid1(VALU_DEP_2)
	v_add_f64 v[2:3], v[6:7], v[2:3]
	v_add_f64 v[4:5], v[8:9], v[4:5]
	s_waitcnt vmcnt(0)
	s_delay_alu instid0(VALU_DEP_2) | instskip(NEXT) | instid1(VALU_DEP_2)
	v_add_f64 v[2:3], v[22:23], -v[2:3]
	v_add_f64 v[4:5], v[24:25], -v[4:5]
	scratch_store_b128 off, v[2:5], off offset:848
	v_cmpx_lt_u32_e32 52, v164
	s_cbranch_execz .LBB58_263
; %bb.262:
	scratch_load_b128 v[5:8], v201, off
	v_mov_b32_e32 v2, v1
	v_mov_b32_e32 v3, v1
	v_mov_b32_e32 v4, v1
	scratch_store_b128 off, v[1:4], off offset:832
	s_waitcnt vmcnt(0)
	ds_store_b128 v223, v[5:8]
.LBB58_263:
	s_or_b32 exec_lo, exec_lo, s2
	s_waitcnt lgkmcnt(0)
	s_waitcnt_vscnt null, 0x0
	s_barrier
	buffer_gl0_inv
	s_clause 0x5
	scratch_load_b128 v[2:5], off, off offset:848
	scratch_load_b128 v[6:9], off, off offset:864
	;; [unrolled: 1-line block ×6, first 2 shown]
	ds_load_b128 v[26:29], v1 offset:1792
	ds_load_b128 v[34:37], v1 offset:1808
	scratch_load_b128 v[30:33], off, off offset:832
	s_mov_b32 s2, exec_lo
	s_waitcnt vmcnt(6) lgkmcnt(1)
	v_mul_f64 v[38:39], v[28:29], v[4:5]
	v_mul_f64 v[4:5], v[26:27], v[4:5]
	s_waitcnt vmcnt(5) lgkmcnt(0)
	v_mul_f64 v[40:41], v[34:35], v[8:9]
	v_mul_f64 v[8:9], v[36:37], v[8:9]
	s_delay_alu instid0(VALU_DEP_4) | instskip(NEXT) | instid1(VALU_DEP_4)
	v_fma_f64 v[38:39], v[26:27], v[2:3], -v[38:39]
	v_fma_f64 v[42:43], v[28:29], v[2:3], v[4:5]
	ds_load_b128 v[2:5], v1 offset:1824
	ds_load_b128 v[26:29], v1 offset:1840
	v_fma_f64 v[36:37], v[36:37], v[6:7], v[40:41]
	v_fma_f64 v[6:7], v[34:35], v[6:7], -v[8:9]
	s_waitcnt vmcnt(4) lgkmcnt(1)
	v_mul_f64 v[44:45], v[2:3], v[12:13]
	v_mul_f64 v[12:13], v[4:5], v[12:13]
	v_add_f64 v[8:9], v[38:39], 0
	v_add_f64 v[34:35], v[42:43], 0
	s_waitcnt vmcnt(3) lgkmcnt(0)
	v_mul_f64 v[38:39], v[26:27], v[16:17]
	v_mul_f64 v[16:17], v[28:29], v[16:17]
	v_fma_f64 v[40:41], v[4:5], v[10:11], v[44:45]
	v_fma_f64 v[10:11], v[2:3], v[10:11], -v[12:13]
	v_add_f64 v[12:13], v[8:9], v[6:7]
	v_add_f64 v[34:35], v[34:35], v[36:37]
	ds_load_b128 v[2:5], v1 offset:1856
	ds_load_b128 v[6:9], v1 offset:1872
	v_fma_f64 v[28:29], v[28:29], v[14:15], v[38:39]
	v_fma_f64 v[14:15], v[26:27], v[14:15], -v[16:17]
	s_waitcnt vmcnt(2) lgkmcnt(1)
	v_mul_f64 v[36:37], v[2:3], v[20:21]
	v_mul_f64 v[20:21], v[4:5], v[20:21]
	s_waitcnt vmcnt(1) lgkmcnt(0)
	v_mul_f64 v[16:17], v[6:7], v[24:25]
	v_mul_f64 v[24:25], v[8:9], v[24:25]
	v_add_f64 v[10:11], v[12:13], v[10:11]
	v_add_f64 v[12:13], v[34:35], v[40:41]
	v_fma_f64 v[4:5], v[4:5], v[18:19], v[36:37]
	v_fma_f64 v[1:2], v[2:3], v[18:19], -v[20:21]
	v_fma_f64 v[8:9], v[8:9], v[22:23], v[16:17]
	v_fma_f64 v[6:7], v[6:7], v[22:23], -v[24:25]
	v_add_f64 v[10:11], v[10:11], v[14:15]
	v_add_f64 v[12:13], v[12:13], v[28:29]
	s_delay_alu instid0(VALU_DEP_2) | instskip(NEXT) | instid1(VALU_DEP_2)
	v_add_f64 v[1:2], v[10:11], v[1:2]
	v_add_f64 v[3:4], v[12:13], v[4:5]
	s_delay_alu instid0(VALU_DEP_2) | instskip(NEXT) | instid1(VALU_DEP_2)
	v_add_f64 v[1:2], v[1:2], v[6:7]
	v_add_f64 v[3:4], v[3:4], v[8:9]
	s_waitcnt vmcnt(0)
	s_delay_alu instid0(VALU_DEP_2) | instskip(NEXT) | instid1(VALU_DEP_2)
	v_add_f64 v[1:2], v[30:31], -v[1:2]
	v_add_f64 v[3:4], v[32:33], -v[3:4]
	scratch_store_b128 off, v[1:4], off offset:832
	v_cmpx_lt_u32_e32 51, v164
	s_cbranch_execz .LBB58_265
; %bb.264:
	scratch_load_b128 v[1:4], v184, off
	v_mov_b32_e32 v5, 0
	s_delay_alu instid0(VALU_DEP_1)
	v_mov_b32_e32 v6, v5
	v_mov_b32_e32 v7, v5
	v_mov_b32_e32 v8, v5
	scratch_store_b128 off, v[5:8], off offset:816
	s_waitcnt vmcnt(0)
	ds_store_b128 v223, v[1:4]
.LBB58_265:
	s_or_b32 exec_lo, exec_lo, s2
	s_waitcnt lgkmcnt(0)
	s_waitcnt_vscnt null, 0x0
	s_barrier
	buffer_gl0_inv
	s_clause 0x6
	scratch_load_b128 v[2:5], off, off offset:832
	scratch_load_b128 v[6:9], off, off offset:848
	;; [unrolled: 1-line block ×7, first 2 shown]
	v_mov_b32_e32 v1, 0
	scratch_load_b128 v[34:37], off, off offset:816
	s_mov_b32 s2, exec_lo
	ds_load_b128 v[30:33], v1 offset:1776
	ds_load_b128 v[38:41], v1 offset:1792
	s_waitcnt vmcnt(7) lgkmcnt(1)
	v_mul_f64 v[42:43], v[32:33], v[4:5]
	v_mul_f64 v[4:5], v[30:31], v[4:5]
	s_waitcnt vmcnt(6) lgkmcnt(0)
	v_mul_f64 v[44:45], v[38:39], v[8:9]
	v_mul_f64 v[8:9], v[40:41], v[8:9]
	s_delay_alu instid0(VALU_DEP_4) | instskip(NEXT) | instid1(VALU_DEP_4)
	v_fma_f64 v[42:43], v[30:31], v[2:3], -v[42:43]
	v_fma_f64 v[50:51], v[32:33], v[2:3], v[4:5]
	ds_load_b128 v[2:5], v1 offset:1808
	ds_load_b128 v[30:33], v1 offset:1824
	v_fma_f64 v[40:41], v[40:41], v[6:7], v[44:45]
	v_fma_f64 v[6:7], v[38:39], v[6:7], -v[8:9]
	s_waitcnt vmcnt(5) lgkmcnt(1)
	v_mul_f64 v[52:53], v[2:3], v[12:13]
	v_mul_f64 v[12:13], v[4:5], v[12:13]
	v_add_f64 v[8:9], v[42:43], 0
	v_add_f64 v[38:39], v[50:51], 0
	s_waitcnt vmcnt(4) lgkmcnt(0)
	v_mul_f64 v[42:43], v[30:31], v[16:17]
	v_mul_f64 v[16:17], v[32:33], v[16:17]
	v_fma_f64 v[44:45], v[4:5], v[10:11], v[52:53]
	v_fma_f64 v[10:11], v[2:3], v[10:11], -v[12:13]
	v_add_f64 v[12:13], v[8:9], v[6:7]
	v_add_f64 v[38:39], v[38:39], v[40:41]
	ds_load_b128 v[2:5], v1 offset:1840
	ds_load_b128 v[6:9], v1 offset:1856
	v_fma_f64 v[32:33], v[32:33], v[14:15], v[42:43]
	v_fma_f64 v[14:15], v[30:31], v[14:15], -v[16:17]
	s_waitcnt vmcnt(3) lgkmcnt(1)
	v_mul_f64 v[40:41], v[2:3], v[20:21]
	v_mul_f64 v[20:21], v[4:5], v[20:21]
	s_waitcnt vmcnt(2) lgkmcnt(0)
	v_mul_f64 v[16:17], v[6:7], v[24:25]
	v_mul_f64 v[24:25], v[8:9], v[24:25]
	v_add_f64 v[10:11], v[12:13], v[10:11]
	v_add_f64 v[12:13], v[38:39], v[44:45]
	v_fma_f64 v[30:31], v[4:5], v[18:19], v[40:41]
	v_fma_f64 v[18:19], v[2:3], v[18:19], -v[20:21]
	ds_load_b128 v[2:5], v1 offset:1872
	v_fma_f64 v[8:9], v[8:9], v[22:23], v[16:17]
	v_fma_f64 v[6:7], v[6:7], v[22:23], -v[24:25]
	v_add_f64 v[10:11], v[10:11], v[14:15]
	v_add_f64 v[12:13], v[12:13], v[32:33]
	s_waitcnt vmcnt(1) lgkmcnt(0)
	v_mul_f64 v[14:15], v[2:3], v[28:29]
	v_mul_f64 v[20:21], v[4:5], v[28:29]
	s_delay_alu instid0(VALU_DEP_4) | instskip(NEXT) | instid1(VALU_DEP_4)
	v_add_f64 v[10:11], v[10:11], v[18:19]
	v_add_f64 v[12:13], v[12:13], v[30:31]
	s_delay_alu instid0(VALU_DEP_4) | instskip(NEXT) | instid1(VALU_DEP_4)
	v_fma_f64 v[4:5], v[4:5], v[26:27], v[14:15]
	v_fma_f64 v[2:3], v[2:3], v[26:27], -v[20:21]
	s_delay_alu instid0(VALU_DEP_4) | instskip(NEXT) | instid1(VALU_DEP_4)
	v_add_f64 v[6:7], v[10:11], v[6:7]
	v_add_f64 v[8:9], v[12:13], v[8:9]
	s_delay_alu instid0(VALU_DEP_2) | instskip(NEXT) | instid1(VALU_DEP_2)
	v_add_f64 v[2:3], v[6:7], v[2:3]
	v_add_f64 v[4:5], v[8:9], v[4:5]
	s_waitcnt vmcnt(0)
	s_delay_alu instid0(VALU_DEP_2) | instskip(NEXT) | instid1(VALU_DEP_2)
	v_add_f64 v[2:3], v[34:35], -v[2:3]
	v_add_f64 v[4:5], v[36:37], -v[4:5]
	scratch_store_b128 off, v[2:5], off offset:816
	v_cmpx_lt_u32_e32 50, v164
	s_cbranch_execz .LBB58_267
; %bb.266:
	scratch_load_b128 v[5:8], v192, off
	v_mov_b32_e32 v2, v1
	v_mov_b32_e32 v3, v1
	;; [unrolled: 1-line block ×3, first 2 shown]
	scratch_store_b128 off, v[1:4], off offset:800
	s_waitcnt vmcnt(0)
	ds_store_b128 v223, v[5:8]
.LBB58_267:
	s_or_b32 exec_lo, exec_lo, s2
	s_waitcnt lgkmcnt(0)
	s_waitcnt_vscnt null, 0x0
	s_barrier
	buffer_gl0_inv
	s_clause 0x7
	scratch_load_b128 v[2:5], off, off offset:816
	scratch_load_b128 v[6:9], off, off offset:832
	;; [unrolled: 1-line block ×8, first 2 shown]
	ds_load_b128 v[34:37], v1 offset:1760
	ds_load_b128 v[38:41], v1 offset:1776
	scratch_load_b128 v[42:45], off, off offset:800
	s_mov_b32 s2, exec_lo
	s_waitcnt vmcnt(8) lgkmcnt(1)
	v_mul_f64 v[50:51], v[36:37], v[4:5]
	v_mul_f64 v[4:5], v[34:35], v[4:5]
	s_waitcnt vmcnt(7) lgkmcnt(0)
	v_mul_f64 v[52:53], v[38:39], v[8:9]
	v_mul_f64 v[8:9], v[40:41], v[8:9]
	s_delay_alu instid0(VALU_DEP_4) | instskip(NEXT) | instid1(VALU_DEP_4)
	v_fma_f64 v[50:51], v[34:35], v[2:3], -v[50:51]
	v_fma_f64 v[54:55], v[36:37], v[2:3], v[4:5]
	ds_load_b128 v[2:5], v1 offset:1792
	ds_load_b128 v[34:37], v1 offset:1808
	v_fma_f64 v[40:41], v[40:41], v[6:7], v[52:53]
	v_fma_f64 v[6:7], v[38:39], v[6:7], -v[8:9]
	s_waitcnt vmcnt(6) lgkmcnt(1)
	v_mul_f64 v[56:57], v[2:3], v[12:13]
	v_mul_f64 v[12:13], v[4:5], v[12:13]
	v_add_f64 v[8:9], v[50:51], 0
	v_add_f64 v[38:39], v[54:55], 0
	s_waitcnt vmcnt(5) lgkmcnt(0)
	v_mul_f64 v[50:51], v[34:35], v[16:17]
	v_mul_f64 v[16:17], v[36:37], v[16:17]
	v_fma_f64 v[52:53], v[4:5], v[10:11], v[56:57]
	v_fma_f64 v[10:11], v[2:3], v[10:11], -v[12:13]
	v_add_f64 v[12:13], v[8:9], v[6:7]
	v_add_f64 v[38:39], v[38:39], v[40:41]
	ds_load_b128 v[2:5], v1 offset:1824
	ds_load_b128 v[6:9], v1 offset:1840
	v_fma_f64 v[36:37], v[36:37], v[14:15], v[50:51]
	v_fma_f64 v[14:15], v[34:35], v[14:15], -v[16:17]
	s_waitcnt vmcnt(4) lgkmcnt(1)
	v_mul_f64 v[40:41], v[2:3], v[20:21]
	v_mul_f64 v[20:21], v[4:5], v[20:21]
	s_waitcnt vmcnt(3) lgkmcnt(0)
	v_mul_f64 v[16:17], v[6:7], v[24:25]
	v_mul_f64 v[24:25], v[8:9], v[24:25]
	v_add_f64 v[10:11], v[12:13], v[10:11]
	v_add_f64 v[12:13], v[38:39], v[52:53]
	v_fma_f64 v[34:35], v[4:5], v[18:19], v[40:41]
	v_fma_f64 v[18:19], v[2:3], v[18:19], -v[20:21]
	v_fma_f64 v[8:9], v[8:9], v[22:23], v[16:17]
	v_fma_f64 v[6:7], v[6:7], v[22:23], -v[24:25]
	v_add_f64 v[14:15], v[10:11], v[14:15]
	v_add_f64 v[20:21], v[12:13], v[36:37]
	ds_load_b128 v[2:5], v1 offset:1856
	ds_load_b128 v[10:13], v1 offset:1872
	s_waitcnt vmcnt(2) lgkmcnt(1)
	v_mul_f64 v[36:37], v[2:3], v[28:29]
	v_mul_f64 v[28:29], v[4:5], v[28:29]
	v_add_f64 v[14:15], v[14:15], v[18:19]
	v_add_f64 v[16:17], v[20:21], v[34:35]
	s_waitcnt vmcnt(1) lgkmcnt(0)
	v_mul_f64 v[18:19], v[10:11], v[32:33]
	v_mul_f64 v[20:21], v[12:13], v[32:33]
	v_fma_f64 v[4:5], v[4:5], v[26:27], v[36:37]
	v_fma_f64 v[1:2], v[2:3], v[26:27], -v[28:29]
	v_add_f64 v[6:7], v[14:15], v[6:7]
	v_add_f64 v[8:9], v[16:17], v[8:9]
	v_fma_f64 v[12:13], v[12:13], v[30:31], v[18:19]
	v_fma_f64 v[10:11], v[10:11], v[30:31], -v[20:21]
	s_delay_alu instid0(VALU_DEP_4) | instskip(NEXT) | instid1(VALU_DEP_4)
	v_add_f64 v[1:2], v[6:7], v[1:2]
	v_add_f64 v[3:4], v[8:9], v[4:5]
	s_delay_alu instid0(VALU_DEP_2) | instskip(NEXT) | instid1(VALU_DEP_2)
	v_add_f64 v[1:2], v[1:2], v[10:11]
	v_add_f64 v[3:4], v[3:4], v[12:13]
	s_waitcnt vmcnt(0)
	s_delay_alu instid0(VALU_DEP_2) | instskip(NEXT) | instid1(VALU_DEP_2)
	v_add_f64 v[1:2], v[42:43], -v[1:2]
	v_add_f64 v[3:4], v[44:45], -v[3:4]
	scratch_store_b128 off, v[1:4], off offset:800
	v_cmpx_lt_u32_e32 49, v164
	s_cbranch_execz .LBB58_269
; %bb.268:
	scratch_load_b128 v[1:4], v194, off
	v_mov_b32_e32 v5, 0
	s_delay_alu instid0(VALU_DEP_1)
	v_mov_b32_e32 v6, v5
	v_mov_b32_e32 v7, v5
	v_mov_b32_e32 v8, v5
	scratch_store_b128 off, v[5:8], off offset:784
	s_waitcnt vmcnt(0)
	ds_store_b128 v223, v[1:4]
.LBB58_269:
	s_or_b32 exec_lo, exec_lo, s2
	s_waitcnt lgkmcnt(0)
	s_waitcnt_vscnt null, 0x0
	s_barrier
	buffer_gl0_inv
	s_clause 0x7
	scratch_load_b128 v[2:5], off, off offset:800
	scratch_load_b128 v[6:9], off, off offset:816
	;; [unrolled: 1-line block ×8, first 2 shown]
	v_mov_b32_e32 v1, 0
	s_mov_b32 s2, exec_lo
	ds_load_b128 v[34:37], v1 offset:1744
	s_clause 0x1
	scratch_load_b128 v[38:41], off, off offset:928
	scratch_load_b128 v[42:45], off, off offset:784
	ds_load_b128 v[50:53], v1 offset:1760
	s_waitcnt vmcnt(9) lgkmcnt(1)
	v_mul_f64 v[54:55], v[36:37], v[4:5]
	v_mul_f64 v[4:5], v[34:35], v[4:5]
	s_waitcnt vmcnt(8) lgkmcnt(0)
	v_mul_f64 v[56:57], v[50:51], v[8:9]
	v_mul_f64 v[8:9], v[52:53], v[8:9]
	s_delay_alu instid0(VALU_DEP_4) | instskip(NEXT) | instid1(VALU_DEP_4)
	v_fma_f64 v[54:55], v[34:35], v[2:3], -v[54:55]
	v_fma_f64 v[58:59], v[36:37], v[2:3], v[4:5]
	ds_load_b128 v[2:5], v1 offset:1776
	ds_load_b128 v[34:37], v1 offset:1792
	v_fma_f64 v[52:53], v[52:53], v[6:7], v[56:57]
	v_fma_f64 v[6:7], v[50:51], v[6:7], -v[8:9]
	s_waitcnt vmcnt(7) lgkmcnt(1)
	v_mul_f64 v[60:61], v[2:3], v[12:13]
	v_mul_f64 v[12:13], v[4:5], v[12:13]
	v_add_f64 v[8:9], v[54:55], 0
	v_add_f64 v[50:51], v[58:59], 0
	s_waitcnt vmcnt(6) lgkmcnt(0)
	v_mul_f64 v[54:55], v[34:35], v[16:17]
	v_mul_f64 v[16:17], v[36:37], v[16:17]
	v_fma_f64 v[56:57], v[4:5], v[10:11], v[60:61]
	v_fma_f64 v[10:11], v[2:3], v[10:11], -v[12:13]
	v_add_f64 v[12:13], v[8:9], v[6:7]
	v_add_f64 v[50:51], v[50:51], v[52:53]
	ds_load_b128 v[2:5], v1 offset:1808
	ds_load_b128 v[6:9], v1 offset:1824
	v_fma_f64 v[36:37], v[36:37], v[14:15], v[54:55]
	v_fma_f64 v[14:15], v[34:35], v[14:15], -v[16:17]
	s_waitcnt vmcnt(5) lgkmcnt(1)
	v_mul_f64 v[52:53], v[2:3], v[20:21]
	v_mul_f64 v[20:21], v[4:5], v[20:21]
	s_waitcnt vmcnt(4) lgkmcnt(0)
	v_mul_f64 v[16:17], v[6:7], v[24:25]
	v_mul_f64 v[24:25], v[8:9], v[24:25]
	v_add_f64 v[10:11], v[12:13], v[10:11]
	v_add_f64 v[12:13], v[50:51], v[56:57]
	v_fma_f64 v[34:35], v[4:5], v[18:19], v[52:53]
	v_fma_f64 v[18:19], v[2:3], v[18:19], -v[20:21]
	v_fma_f64 v[8:9], v[8:9], v[22:23], v[16:17]
	v_fma_f64 v[6:7], v[6:7], v[22:23], -v[24:25]
	v_add_f64 v[14:15], v[10:11], v[14:15]
	v_add_f64 v[20:21], v[12:13], v[36:37]
	ds_load_b128 v[2:5], v1 offset:1840
	ds_load_b128 v[10:13], v1 offset:1856
	s_waitcnt vmcnt(3) lgkmcnt(1)
	v_mul_f64 v[36:37], v[2:3], v[28:29]
	v_mul_f64 v[28:29], v[4:5], v[28:29]
	v_add_f64 v[14:15], v[14:15], v[18:19]
	v_add_f64 v[16:17], v[20:21], v[34:35]
	s_waitcnt vmcnt(2) lgkmcnt(0)
	v_mul_f64 v[18:19], v[10:11], v[32:33]
	v_mul_f64 v[20:21], v[12:13], v[32:33]
	v_fma_f64 v[22:23], v[4:5], v[26:27], v[36:37]
	v_fma_f64 v[24:25], v[2:3], v[26:27], -v[28:29]
	ds_load_b128 v[2:5], v1 offset:1872
	v_add_f64 v[6:7], v[14:15], v[6:7]
	v_add_f64 v[8:9], v[16:17], v[8:9]
	v_fma_f64 v[12:13], v[12:13], v[30:31], v[18:19]
	v_fma_f64 v[10:11], v[10:11], v[30:31], -v[20:21]
	s_waitcnt vmcnt(1) lgkmcnt(0)
	v_mul_f64 v[14:15], v[2:3], v[40:41]
	v_mul_f64 v[16:17], v[4:5], v[40:41]
	v_add_f64 v[6:7], v[6:7], v[24:25]
	v_add_f64 v[8:9], v[8:9], v[22:23]
	s_delay_alu instid0(VALU_DEP_4) | instskip(NEXT) | instid1(VALU_DEP_4)
	v_fma_f64 v[4:5], v[4:5], v[38:39], v[14:15]
	v_fma_f64 v[2:3], v[2:3], v[38:39], -v[16:17]
	s_delay_alu instid0(VALU_DEP_4) | instskip(NEXT) | instid1(VALU_DEP_4)
	v_add_f64 v[6:7], v[6:7], v[10:11]
	v_add_f64 v[8:9], v[8:9], v[12:13]
	s_delay_alu instid0(VALU_DEP_2) | instskip(NEXT) | instid1(VALU_DEP_2)
	v_add_f64 v[2:3], v[6:7], v[2:3]
	v_add_f64 v[4:5], v[8:9], v[4:5]
	s_waitcnt vmcnt(0)
	s_delay_alu instid0(VALU_DEP_2) | instskip(NEXT) | instid1(VALU_DEP_2)
	v_add_f64 v[2:3], v[42:43], -v[2:3]
	v_add_f64 v[4:5], v[44:45], -v[4:5]
	scratch_store_b128 off, v[2:5], off offset:784
	v_cmpx_lt_u32_e32 48, v164
	s_cbranch_execz .LBB58_271
; %bb.270:
	scratch_load_b128 v[5:8], v189, off
	v_mov_b32_e32 v2, v1
	v_mov_b32_e32 v3, v1
	;; [unrolled: 1-line block ×3, first 2 shown]
	scratch_store_b128 off, v[1:4], off offset:768
	s_waitcnt vmcnt(0)
	ds_store_b128 v223, v[5:8]
.LBB58_271:
	s_or_b32 exec_lo, exec_lo, s2
	s_waitcnt lgkmcnt(0)
	s_waitcnt_vscnt null, 0x0
	s_barrier
	buffer_gl0_inv
	s_clause 0x7
	scratch_load_b128 v[2:5], off, off offset:784
	scratch_load_b128 v[6:9], off, off offset:800
	;; [unrolled: 1-line block ×8, first 2 shown]
	ds_load_b128 v[34:37], v1 offset:1728
	ds_load_b128 v[42:45], v1 offset:1744
	s_clause 0x1
	scratch_load_b128 v[38:41], off, off offset:912
	scratch_load_b128 v[50:53], off, off offset:928
	s_mov_b32 s2, exec_lo
	s_waitcnt vmcnt(9) lgkmcnt(1)
	v_mul_f64 v[54:55], v[36:37], v[4:5]
	v_mul_f64 v[4:5], v[34:35], v[4:5]
	s_waitcnt vmcnt(8) lgkmcnt(0)
	v_mul_f64 v[56:57], v[42:43], v[8:9]
	v_mul_f64 v[8:9], v[44:45], v[8:9]
	s_delay_alu instid0(VALU_DEP_4) | instskip(NEXT) | instid1(VALU_DEP_4)
	v_fma_f64 v[34:35], v[34:35], v[2:3], -v[54:55]
	v_fma_f64 v[36:37], v[36:37], v[2:3], v[4:5]
	ds_load_b128 v[2:5], v1 offset:1760
	v_fma_f64 v[44:45], v[44:45], v[6:7], v[56:57]
	v_fma_f64 v[42:43], v[42:43], v[6:7], -v[8:9]
	ds_load_b128 v[6:9], v1 offset:1776
	s_waitcnt vmcnt(7) lgkmcnt(1)
	v_mul_f64 v[54:55], v[2:3], v[12:13]
	v_mul_f64 v[12:13], v[4:5], v[12:13]
	s_waitcnt vmcnt(6) lgkmcnt(0)
	v_mul_f64 v[56:57], v[6:7], v[16:17]
	v_mul_f64 v[16:17], v[8:9], v[16:17]
	v_add_f64 v[34:35], v[34:35], 0
	v_add_f64 v[36:37], v[36:37], 0
	v_fma_f64 v[54:55], v[4:5], v[10:11], v[54:55]
	v_fma_f64 v[58:59], v[2:3], v[10:11], -v[12:13]
	ds_load_b128 v[2:5], v1 offset:1792
	scratch_load_b128 v[10:13], off, off offset:768
	v_add_f64 v[34:35], v[34:35], v[42:43]
	v_add_f64 v[36:37], v[36:37], v[44:45]
	v_fma_f64 v[44:45], v[8:9], v[14:15], v[56:57]
	v_fma_f64 v[14:15], v[6:7], v[14:15], -v[16:17]
	ds_load_b128 v[6:9], v1 offset:1808
	s_waitcnt vmcnt(6) lgkmcnt(1)
	v_mul_f64 v[42:43], v[2:3], v[20:21]
	v_mul_f64 v[20:21], v[4:5], v[20:21]
	v_add_f64 v[16:17], v[34:35], v[58:59]
	v_add_f64 v[34:35], v[36:37], v[54:55]
	s_waitcnt vmcnt(5) lgkmcnt(0)
	v_mul_f64 v[36:37], v[6:7], v[24:25]
	v_mul_f64 v[24:25], v[8:9], v[24:25]
	v_fma_f64 v[42:43], v[4:5], v[18:19], v[42:43]
	v_fma_f64 v[18:19], v[2:3], v[18:19], -v[20:21]
	ds_load_b128 v[2:5], v1 offset:1824
	v_add_f64 v[14:15], v[16:17], v[14:15]
	v_add_f64 v[16:17], v[34:35], v[44:45]
	v_fma_f64 v[34:35], v[8:9], v[22:23], v[36:37]
	v_fma_f64 v[22:23], v[6:7], v[22:23], -v[24:25]
	ds_load_b128 v[6:9], v1 offset:1840
	s_waitcnt vmcnt(4) lgkmcnt(1)
	v_mul_f64 v[20:21], v[2:3], v[28:29]
	v_mul_f64 v[28:29], v[4:5], v[28:29]
	s_waitcnt vmcnt(3) lgkmcnt(0)
	v_mul_f64 v[24:25], v[8:9], v[32:33]
	v_add_f64 v[14:15], v[14:15], v[18:19]
	v_add_f64 v[16:17], v[16:17], v[42:43]
	v_mul_f64 v[18:19], v[6:7], v[32:33]
	v_fma_f64 v[20:21], v[4:5], v[26:27], v[20:21]
	v_fma_f64 v[26:27], v[2:3], v[26:27], -v[28:29]
	ds_load_b128 v[2:5], v1 offset:1856
	v_fma_f64 v[24:25], v[6:7], v[30:31], -v[24:25]
	v_add_f64 v[14:15], v[14:15], v[22:23]
	v_add_f64 v[16:17], v[16:17], v[34:35]
	v_fma_f64 v[18:19], v[8:9], v[30:31], v[18:19]
	ds_load_b128 v[6:9], v1 offset:1872
	s_waitcnt vmcnt(2) lgkmcnt(1)
	v_mul_f64 v[22:23], v[2:3], v[40:41]
	v_mul_f64 v[28:29], v[4:5], v[40:41]
	v_add_f64 v[14:15], v[14:15], v[26:27]
	v_add_f64 v[16:17], v[16:17], v[20:21]
	s_waitcnt vmcnt(1) lgkmcnt(0)
	v_mul_f64 v[20:21], v[6:7], v[52:53]
	v_mul_f64 v[26:27], v[8:9], v[52:53]
	v_fma_f64 v[4:5], v[4:5], v[38:39], v[22:23]
	v_fma_f64 v[1:2], v[2:3], v[38:39], -v[28:29]
	v_add_f64 v[14:15], v[14:15], v[24:25]
	v_add_f64 v[16:17], v[16:17], v[18:19]
	v_fma_f64 v[8:9], v[8:9], v[50:51], v[20:21]
	v_fma_f64 v[6:7], v[6:7], v[50:51], -v[26:27]
	s_delay_alu instid0(VALU_DEP_4) | instskip(NEXT) | instid1(VALU_DEP_4)
	v_add_f64 v[1:2], v[14:15], v[1:2]
	v_add_f64 v[3:4], v[16:17], v[4:5]
	s_delay_alu instid0(VALU_DEP_2) | instskip(NEXT) | instid1(VALU_DEP_2)
	v_add_f64 v[1:2], v[1:2], v[6:7]
	v_add_f64 v[3:4], v[3:4], v[8:9]
	s_waitcnt vmcnt(0)
	s_delay_alu instid0(VALU_DEP_2) | instskip(NEXT) | instid1(VALU_DEP_2)
	v_add_f64 v[1:2], v[10:11], -v[1:2]
	v_add_f64 v[3:4], v[12:13], -v[3:4]
	scratch_store_b128 off, v[1:4], off offset:768
	v_cmpx_lt_u32_e32 47, v164
	s_cbranch_execz .LBB58_273
; %bb.272:
	scratch_load_b128 v[1:4], v191, off
	v_mov_b32_e32 v5, 0
	s_delay_alu instid0(VALU_DEP_1)
	v_mov_b32_e32 v6, v5
	v_mov_b32_e32 v7, v5
	;; [unrolled: 1-line block ×3, first 2 shown]
	scratch_store_b128 off, v[5:8], off offset:752
	s_waitcnt vmcnt(0)
	ds_store_b128 v223, v[1:4]
.LBB58_273:
	s_or_b32 exec_lo, exec_lo, s2
	s_waitcnt lgkmcnt(0)
	s_waitcnt_vscnt null, 0x0
	s_barrier
	buffer_gl0_inv
	s_clause 0x7
	scratch_load_b128 v[2:5], off, off offset:768
	scratch_load_b128 v[6:9], off, off offset:784
	;; [unrolled: 1-line block ×8, first 2 shown]
	v_mov_b32_e32 v1, 0
	s_clause 0x1
	scratch_load_b128 v[38:41], off, off offset:896
	scratch_load_b128 v[50:53], off, off offset:912
	s_mov_b32 s2, exec_lo
	ds_load_b128 v[34:37], v1 offset:1712
	ds_load_b128 v[42:45], v1 offset:1728
	s_waitcnt vmcnt(9) lgkmcnt(1)
	v_mul_f64 v[54:55], v[36:37], v[4:5]
	v_mul_f64 v[4:5], v[34:35], v[4:5]
	s_waitcnt vmcnt(8) lgkmcnt(0)
	v_mul_f64 v[56:57], v[42:43], v[8:9]
	v_mul_f64 v[8:9], v[44:45], v[8:9]
	s_delay_alu instid0(VALU_DEP_4) | instskip(NEXT) | instid1(VALU_DEP_4)
	v_fma_f64 v[54:55], v[34:35], v[2:3], -v[54:55]
	v_fma_f64 v[58:59], v[36:37], v[2:3], v[4:5]
	ds_load_b128 v[2:5], v1 offset:1744
	scratch_load_b128 v[34:37], off, off offset:928
	v_fma_f64 v[44:45], v[44:45], v[6:7], v[56:57]
	v_fma_f64 v[42:43], v[42:43], v[6:7], -v[8:9]
	ds_load_b128 v[6:9], v1 offset:1760
	s_waitcnt vmcnt(8) lgkmcnt(1)
	v_mul_f64 v[60:61], v[2:3], v[12:13]
	v_mul_f64 v[12:13], v[4:5], v[12:13]
	v_add_f64 v[54:55], v[54:55], 0
	v_add_f64 v[56:57], v[58:59], 0
	s_waitcnt vmcnt(7) lgkmcnt(0)
	v_mul_f64 v[58:59], v[6:7], v[16:17]
	v_mul_f64 v[16:17], v[8:9], v[16:17]
	v_fma_f64 v[60:61], v[4:5], v[10:11], v[60:61]
	v_fma_f64 v[10:11], v[2:3], v[10:11], -v[12:13]
	ds_load_b128 v[2:5], v1 offset:1776
	v_add_f64 v[12:13], v[54:55], v[42:43]
	v_add_f64 v[42:43], v[56:57], v[44:45]
	v_fma_f64 v[54:55], v[8:9], v[14:15], v[58:59]
	v_fma_f64 v[14:15], v[6:7], v[14:15], -v[16:17]
	ds_load_b128 v[6:9], v1 offset:1792
	s_waitcnt vmcnt(6) lgkmcnt(1)
	v_mul_f64 v[44:45], v[2:3], v[20:21]
	v_mul_f64 v[20:21], v[4:5], v[20:21]
	s_waitcnt vmcnt(5) lgkmcnt(0)
	v_mul_f64 v[56:57], v[6:7], v[24:25]
	v_mul_f64 v[24:25], v[8:9], v[24:25]
	v_add_f64 v[16:17], v[12:13], v[10:11]
	v_add_f64 v[42:43], v[42:43], v[60:61]
	scratch_load_b128 v[10:13], off, off offset:752
	v_fma_f64 v[44:45], v[4:5], v[18:19], v[44:45]
	v_fma_f64 v[18:19], v[2:3], v[18:19], -v[20:21]
	ds_load_b128 v[2:5], v1 offset:1808
	v_add_f64 v[14:15], v[16:17], v[14:15]
	v_add_f64 v[16:17], v[42:43], v[54:55]
	v_fma_f64 v[42:43], v[8:9], v[22:23], v[56:57]
	v_fma_f64 v[22:23], v[6:7], v[22:23], -v[24:25]
	ds_load_b128 v[6:9], v1 offset:1824
	s_waitcnt vmcnt(5) lgkmcnt(1)
	v_mul_f64 v[20:21], v[2:3], v[28:29]
	v_mul_f64 v[28:29], v[4:5], v[28:29]
	s_waitcnt vmcnt(4) lgkmcnt(0)
	v_mul_f64 v[24:25], v[8:9], v[32:33]
	v_add_f64 v[14:15], v[14:15], v[18:19]
	v_add_f64 v[16:17], v[16:17], v[44:45]
	v_mul_f64 v[18:19], v[6:7], v[32:33]
	v_fma_f64 v[20:21], v[4:5], v[26:27], v[20:21]
	v_fma_f64 v[26:27], v[2:3], v[26:27], -v[28:29]
	ds_load_b128 v[2:5], v1 offset:1840
	v_fma_f64 v[24:25], v[6:7], v[30:31], -v[24:25]
	v_add_f64 v[14:15], v[14:15], v[22:23]
	v_add_f64 v[16:17], v[16:17], v[42:43]
	v_fma_f64 v[18:19], v[8:9], v[30:31], v[18:19]
	ds_load_b128 v[6:9], v1 offset:1856
	s_waitcnt vmcnt(3) lgkmcnt(1)
	v_mul_f64 v[22:23], v[2:3], v[40:41]
	v_mul_f64 v[28:29], v[4:5], v[40:41]
	v_add_f64 v[14:15], v[14:15], v[26:27]
	v_add_f64 v[16:17], v[16:17], v[20:21]
	s_waitcnt vmcnt(2) lgkmcnt(0)
	v_mul_f64 v[20:21], v[6:7], v[52:53]
	v_mul_f64 v[26:27], v[8:9], v[52:53]
	v_fma_f64 v[22:23], v[4:5], v[38:39], v[22:23]
	v_fma_f64 v[28:29], v[2:3], v[38:39], -v[28:29]
	ds_load_b128 v[2:5], v1 offset:1872
	v_add_f64 v[14:15], v[14:15], v[24:25]
	v_add_f64 v[16:17], v[16:17], v[18:19]
	v_fma_f64 v[8:9], v[8:9], v[50:51], v[20:21]
	v_fma_f64 v[6:7], v[6:7], v[50:51], -v[26:27]
	s_waitcnt vmcnt(1) lgkmcnt(0)
	v_mul_f64 v[18:19], v[2:3], v[36:37]
	v_mul_f64 v[24:25], v[4:5], v[36:37]
	v_add_f64 v[14:15], v[14:15], v[28:29]
	v_add_f64 v[16:17], v[16:17], v[22:23]
	s_delay_alu instid0(VALU_DEP_4) | instskip(NEXT) | instid1(VALU_DEP_4)
	v_fma_f64 v[4:5], v[4:5], v[34:35], v[18:19]
	v_fma_f64 v[2:3], v[2:3], v[34:35], -v[24:25]
	s_delay_alu instid0(VALU_DEP_4) | instskip(NEXT) | instid1(VALU_DEP_4)
	v_add_f64 v[6:7], v[14:15], v[6:7]
	v_add_f64 v[8:9], v[16:17], v[8:9]
	s_delay_alu instid0(VALU_DEP_2) | instskip(NEXT) | instid1(VALU_DEP_2)
	v_add_f64 v[2:3], v[6:7], v[2:3]
	v_add_f64 v[4:5], v[8:9], v[4:5]
	s_waitcnt vmcnt(0)
	s_delay_alu instid0(VALU_DEP_2) | instskip(NEXT) | instid1(VALU_DEP_2)
	v_add_f64 v[2:3], v[10:11], -v[2:3]
	v_add_f64 v[4:5], v[12:13], -v[4:5]
	scratch_store_b128 off, v[2:5], off offset:752
	v_cmpx_lt_u32_e32 46, v164
	s_cbranch_execz .LBB58_275
; %bb.274:
	scratch_load_b128 v[5:8], v183, off
	v_mov_b32_e32 v2, v1
	v_mov_b32_e32 v3, v1
	v_mov_b32_e32 v4, v1
	scratch_store_b128 off, v[1:4], off offset:736
	s_waitcnt vmcnt(0)
	ds_store_b128 v223, v[5:8]
.LBB58_275:
	s_or_b32 exec_lo, exec_lo, s2
	s_waitcnt lgkmcnt(0)
	s_waitcnt_vscnt null, 0x0
	s_barrier
	buffer_gl0_inv
	s_clause 0x7
	scratch_load_b128 v[2:5], off, off offset:752
	scratch_load_b128 v[6:9], off, off offset:768
	;; [unrolled: 1-line block ×8, first 2 shown]
	ds_load_b128 v[34:37], v1 offset:1696
	ds_load_b128 v[42:45], v1 offset:1712
	s_clause 0x1
	scratch_load_b128 v[38:41], off, off offset:880
	scratch_load_b128 v[50:53], off, off offset:896
	s_mov_b32 s2, exec_lo
	s_waitcnt vmcnt(9) lgkmcnt(1)
	v_mul_f64 v[54:55], v[36:37], v[4:5]
	v_mul_f64 v[4:5], v[34:35], v[4:5]
	s_waitcnt vmcnt(8) lgkmcnt(0)
	v_mul_f64 v[56:57], v[42:43], v[8:9]
	v_mul_f64 v[8:9], v[44:45], v[8:9]
	s_delay_alu instid0(VALU_DEP_4) | instskip(NEXT) | instid1(VALU_DEP_4)
	v_fma_f64 v[54:55], v[34:35], v[2:3], -v[54:55]
	v_fma_f64 v[58:59], v[36:37], v[2:3], v[4:5]
	scratch_load_b128 v[34:37], off, off offset:912
	ds_load_b128 v[2:5], v1 offset:1728
	v_fma_f64 v[56:57], v[44:45], v[6:7], v[56:57]
	v_fma_f64 v[62:63], v[42:43], v[6:7], -v[8:9]
	ds_load_b128 v[6:9], v1 offset:1744
	scratch_load_b128 v[42:45], off, off offset:928
	s_waitcnt vmcnt(9) lgkmcnt(1)
	v_mul_f64 v[60:61], v[2:3], v[12:13]
	v_mul_f64 v[12:13], v[4:5], v[12:13]
	s_waitcnt vmcnt(8) lgkmcnt(0)
	v_mul_f64 v[76:77], v[6:7], v[16:17]
	v_mul_f64 v[16:17], v[8:9], v[16:17]
	v_add_f64 v[54:55], v[54:55], 0
	v_add_f64 v[58:59], v[58:59], 0
	v_fma_f64 v[60:61], v[4:5], v[10:11], v[60:61]
	v_fma_f64 v[10:11], v[2:3], v[10:11], -v[12:13]
	ds_load_b128 v[2:5], v1 offset:1760
	v_add_f64 v[12:13], v[54:55], v[62:63]
	v_add_f64 v[54:55], v[58:59], v[56:57]
	v_fma_f64 v[58:59], v[8:9], v[14:15], v[76:77]
	v_fma_f64 v[14:15], v[6:7], v[14:15], -v[16:17]
	ds_load_b128 v[6:9], v1 offset:1776
	s_waitcnt vmcnt(7) lgkmcnt(1)
	v_mul_f64 v[56:57], v[2:3], v[20:21]
	v_mul_f64 v[20:21], v[4:5], v[20:21]
	s_waitcnt vmcnt(6) lgkmcnt(0)
	v_mul_f64 v[16:17], v[6:7], v[24:25]
	v_mul_f64 v[24:25], v[8:9], v[24:25]
	v_add_f64 v[10:11], v[12:13], v[10:11]
	v_add_f64 v[12:13], v[54:55], v[60:61]
	v_fma_f64 v[54:55], v[4:5], v[18:19], v[56:57]
	v_fma_f64 v[18:19], v[2:3], v[18:19], -v[20:21]
	ds_load_b128 v[2:5], v1 offset:1792
	v_fma_f64 v[16:17], v[8:9], v[22:23], v[16:17]
	v_fma_f64 v[22:23], v[6:7], v[22:23], -v[24:25]
	ds_load_b128 v[6:9], v1 offset:1808
	s_waitcnt vmcnt(5) lgkmcnt(1)
	v_mul_f64 v[56:57], v[2:3], v[28:29]
	v_mul_f64 v[28:29], v[4:5], v[28:29]
	v_add_f64 v[14:15], v[10:11], v[14:15]
	v_add_f64 v[20:21], v[12:13], v[58:59]
	scratch_load_b128 v[10:13], off, off offset:736
	s_waitcnt vmcnt(5) lgkmcnt(0)
	v_mul_f64 v[24:25], v[8:9], v[32:33]
	v_add_f64 v[14:15], v[14:15], v[18:19]
	v_add_f64 v[18:19], v[20:21], v[54:55]
	v_mul_f64 v[20:21], v[6:7], v[32:33]
	v_fma_f64 v[32:33], v[4:5], v[26:27], v[56:57]
	v_fma_f64 v[26:27], v[2:3], v[26:27], -v[28:29]
	ds_load_b128 v[2:5], v1 offset:1824
	v_fma_f64 v[24:25], v[6:7], v[30:31], -v[24:25]
	v_add_f64 v[14:15], v[14:15], v[22:23]
	v_add_f64 v[16:17], v[18:19], v[16:17]
	v_fma_f64 v[20:21], v[8:9], v[30:31], v[20:21]
	ds_load_b128 v[6:9], v1 offset:1840
	s_waitcnt vmcnt(4) lgkmcnt(1)
	v_mul_f64 v[18:19], v[2:3], v[40:41]
	v_mul_f64 v[22:23], v[4:5], v[40:41]
	s_waitcnt vmcnt(3) lgkmcnt(0)
	v_mul_f64 v[28:29], v[8:9], v[52:53]
	v_add_f64 v[14:15], v[14:15], v[26:27]
	v_add_f64 v[16:17], v[16:17], v[32:33]
	v_mul_f64 v[26:27], v[6:7], v[52:53]
	v_fma_f64 v[18:19], v[4:5], v[38:39], v[18:19]
	v_fma_f64 v[22:23], v[2:3], v[38:39], -v[22:23]
	ds_load_b128 v[2:5], v1 offset:1856
	v_fma_f64 v[28:29], v[6:7], v[50:51], -v[28:29]
	v_add_f64 v[14:15], v[14:15], v[24:25]
	v_add_f64 v[16:17], v[16:17], v[20:21]
	v_fma_f64 v[26:27], v[8:9], v[50:51], v[26:27]
	ds_load_b128 v[6:9], v1 offset:1872
	s_waitcnt vmcnt(2) lgkmcnt(1)
	v_mul_f64 v[20:21], v[2:3], v[36:37]
	v_mul_f64 v[24:25], v[4:5], v[36:37]
	v_add_f64 v[14:15], v[14:15], v[22:23]
	v_add_f64 v[16:17], v[16:17], v[18:19]
	s_waitcnt vmcnt(1) lgkmcnt(0)
	v_mul_f64 v[18:19], v[6:7], v[44:45]
	v_mul_f64 v[22:23], v[8:9], v[44:45]
	v_fma_f64 v[4:5], v[4:5], v[34:35], v[20:21]
	v_fma_f64 v[1:2], v[2:3], v[34:35], -v[24:25]
	v_add_f64 v[14:15], v[14:15], v[28:29]
	v_add_f64 v[16:17], v[16:17], v[26:27]
	v_fma_f64 v[8:9], v[8:9], v[42:43], v[18:19]
	v_fma_f64 v[6:7], v[6:7], v[42:43], -v[22:23]
	s_delay_alu instid0(VALU_DEP_4) | instskip(NEXT) | instid1(VALU_DEP_4)
	v_add_f64 v[1:2], v[14:15], v[1:2]
	v_add_f64 v[3:4], v[16:17], v[4:5]
	s_delay_alu instid0(VALU_DEP_2) | instskip(NEXT) | instid1(VALU_DEP_2)
	v_add_f64 v[1:2], v[1:2], v[6:7]
	v_add_f64 v[3:4], v[3:4], v[8:9]
	s_waitcnt vmcnt(0)
	s_delay_alu instid0(VALU_DEP_2) | instskip(NEXT) | instid1(VALU_DEP_2)
	v_add_f64 v[1:2], v[10:11], -v[1:2]
	v_add_f64 v[3:4], v[12:13], -v[3:4]
	scratch_store_b128 off, v[1:4], off offset:736
	v_cmpx_lt_u32_e32 45, v164
	s_cbranch_execz .LBB58_277
; %bb.276:
	scratch_load_b128 v[1:4], v180, off
	v_mov_b32_e32 v5, 0
	s_delay_alu instid0(VALU_DEP_1)
	v_mov_b32_e32 v6, v5
	v_mov_b32_e32 v7, v5
	;; [unrolled: 1-line block ×3, first 2 shown]
	scratch_store_b128 off, v[5:8], off offset:720
	s_waitcnt vmcnt(0)
	ds_store_b128 v223, v[1:4]
.LBB58_277:
	s_or_b32 exec_lo, exec_lo, s2
	s_waitcnt lgkmcnt(0)
	s_waitcnt_vscnt null, 0x0
	s_barrier
	buffer_gl0_inv
	s_clause 0x7
	scratch_load_b128 v[2:5], off, off offset:736
	scratch_load_b128 v[6:9], off, off offset:752
	;; [unrolled: 1-line block ×8, first 2 shown]
	v_mov_b32_e32 v1, 0
	s_mov_b32 s2, exec_lo
	ds_load_b128 v[34:37], v1 offset:1680
	s_clause 0x1
	scratch_load_b128 v[38:41], off, off offset:864
	scratch_load_b128 v[42:45], off, off offset:720
	ds_load_b128 v[50:53], v1 offset:1696
	scratch_load_b128 v[54:57], off, off offset:880
	s_waitcnt vmcnt(10) lgkmcnt(1)
	v_mul_f64 v[58:59], v[36:37], v[4:5]
	v_mul_f64 v[4:5], v[34:35], v[4:5]
	s_delay_alu instid0(VALU_DEP_2) | instskip(NEXT) | instid1(VALU_DEP_2)
	v_fma_f64 v[76:77], v[34:35], v[2:3], -v[58:59]
	v_fma_f64 v[80:81], v[36:37], v[2:3], v[4:5]
	scratch_load_b128 v[34:37], off, off offset:896
	ds_load_b128 v[2:5], v1 offset:1712
	s_waitcnt vmcnt(10) lgkmcnt(1)
	v_mul_f64 v[62:63], v[50:51], v[8:9]
	v_mul_f64 v[8:9], v[52:53], v[8:9]
	ds_load_b128 v[58:61], v1 offset:1728
	s_waitcnt vmcnt(9) lgkmcnt(1)
	v_mul_f64 v[165:166], v[2:3], v[12:13]
	v_mul_f64 v[12:13], v[4:5], v[12:13]
	v_fma_f64 v[52:53], v[52:53], v[6:7], v[62:63]
	v_fma_f64 v[50:51], v[50:51], v[6:7], -v[8:9]
	v_add_f64 v[62:63], v[76:77], 0
	v_add_f64 v[76:77], v[80:81], 0
	scratch_load_b128 v[6:9], off, off offset:912
	v_fma_f64 v[165:166], v[4:5], v[10:11], v[165:166]
	v_fma_f64 v[167:168], v[2:3], v[10:11], -v[12:13]
	scratch_load_b128 v[10:13], off, off offset:928
	ds_load_b128 v[2:5], v1 offset:1744
	s_waitcnt vmcnt(10) lgkmcnt(1)
	v_mul_f64 v[80:81], v[58:59], v[16:17]
	v_mul_f64 v[16:17], v[60:61], v[16:17]
	v_add_f64 v[62:63], v[62:63], v[50:51]
	v_add_f64 v[76:77], v[76:77], v[52:53]
	s_waitcnt vmcnt(9) lgkmcnt(0)
	v_mul_f64 v[169:170], v[2:3], v[20:21]
	v_mul_f64 v[20:21], v[4:5], v[20:21]
	ds_load_b128 v[50:53], v1 offset:1760
	v_fma_f64 v[60:61], v[60:61], v[14:15], v[80:81]
	v_fma_f64 v[14:15], v[58:59], v[14:15], -v[16:17]
	v_add_f64 v[16:17], v[62:63], v[167:168]
	v_add_f64 v[58:59], v[76:77], v[165:166]
	s_waitcnt vmcnt(8) lgkmcnt(0)
	v_mul_f64 v[62:63], v[50:51], v[24:25]
	v_mul_f64 v[24:25], v[52:53], v[24:25]
	v_fma_f64 v[76:77], v[4:5], v[18:19], v[169:170]
	v_fma_f64 v[18:19], v[2:3], v[18:19], -v[20:21]
	v_add_f64 v[20:21], v[16:17], v[14:15]
	v_add_f64 v[58:59], v[58:59], v[60:61]
	ds_load_b128 v[2:5], v1 offset:1776
	ds_load_b128 v[14:17], v1 offset:1792
	v_fma_f64 v[52:53], v[52:53], v[22:23], v[62:63]
	v_fma_f64 v[22:23], v[50:51], v[22:23], -v[24:25]
	s_waitcnt vmcnt(7) lgkmcnt(1)
	v_mul_f64 v[60:61], v[2:3], v[28:29]
	v_mul_f64 v[28:29], v[4:5], v[28:29]
	s_waitcnt vmcnt(6) lgkmcnt(0)
	v_mul_f64 v[24:25], v[14:15], v[32:33]
	v_mul_f64 v[32:33], v[16:17], v[32:33]
	v_add_f64 v[18:19], v[20:21], v[18:19]
	v_add_f64 v[20:21], v[58:59], v[76:77]
	v_fma_f64 v[50:51], v[4:5], v[26:27], v[60:61]
	v_fma_f64 v[26:27], v[2:3], v[26:27], -v[28:29]
	v_fma_f64 v[16:17], v[16:17], v[30:31], v[24:25]
	v_fma_f64 v[14:15], v[14:15], v[30:31], -v[32:33]
	v_add_f64 v[22:23], v[18:19], v[22:23]
	v_add_f64 v[28:29], v[20:21], v[52:53]
	ds_load_b128 v[2:5], v1 offset:1808
	ds_load_b128 v[18:21], v1 offset:1824
	s_waitcnt vmcnt(5) lgkmcnt(1)
	v_mul_f64 v[52:53], v[2:3], v[40:41]
	v_mul_f64 v[40:41], v[4:5], v[40:41]
	v_add_f64 v[22:23], v[22:23], v[26:27]
	v_add_f64 v[24:25], v[28:29], v[50:51]
	s_waitcnt vmcnt(3) lgkmcnt(0)
	v_mul_f64 v[26:27], v[18:19], v[56:57]
	v_mul_f64 v[28:29], v[20:21], v[56:57]
	v_fma_f64 v[30:31], v[4:5], v[38:39], v[52:53]
	v_fma_f64 v[32:33], v[2:3], v[38:39], -v[40:41]
	v_add_f64 v[22:23], v[22:23], v[14:15]
	v_add_f64 v[24:25], v[24:25], v[16:17]
	ds_load_b128 v[2:5], v1 offset:1840
	ds_load_b128 v[14:17], v1 offset:1856
	v_fma_f64 v[20:21], v[20:21], v[54:55], v[26:27]
	v_fma_f64 v[18:19], v[18:19], v[54:55], -v[28:29]
	s_waitcnt vmcnt(2) lgkmcnt(1)
	v_mul_f64 v[38:39], v[2:3], v[36:37]
	v_mul_f64 v[36:37], v[4:5], v[36:37]
	v_add_f64 v[22:23], v[22:23], v[32:33]
	v_add_f64 v[24:25], v[24:25], v[30:31]
	s_waitcnt vmcnt(1) lgkmcnt(0)
	v_mul_f64 v[26:27], v[14:15], v[8:9]
	v_mul_f64 v[8:9], v[16:17], v[8:9]
	v_fma_f64 v[28:29], v[4:5], v[34:35], v[38:39]
	v_fma_f64 v[30:31], v[2:3], v[34:35], -v[36:37]
	ds_load_b128 v[2:5], v1 offset:1872
	v_add_f64 v[18:19], v[22:23], v[18:19]
	v_add_f64 v[20:21], v[24:25], v[20:21]
	s_waitcnt vmcnt(0) lgkmcnt(0)
	v_mul_f64 v[22:23], v[2:3], v[12:13]
	v_mul_f64 v[12:13], v[4:5], v[12:13]
	v_fma_f64 v[16:17], v[16:17], v[6:7], v[26:27]
	v_fma_f64 v[6:7], v[14:15], v[6:7], -v[8:9]
	v_add_f64 v[8:9], v[18:19], v[30:31]
	v_add_f64 v[14:15], v[20:21], v[28:29]
	v_fma_f64 v[4:5], v[4:5], v[10:11], v[22:23]
	v_fma_f64 v[2:3], v[2:3], v[10:11], -v[12:13]
	s_delay_alu instid0(VALU_DEP_4) | instskip(NEXT) | instid1(VALU_DEP_4)
	v_add_f64 v[6:7], v[8:9], v[6:7]
	v_add_f64 v[8:9], v[14:15], v[16:17]
	s_delay_alu instid0(VALU_DEP_2) | instskip(NEXT) | instid1(VALU_DEP_2)
	v_add_f64 v[2:3], v[6:7], v[2:3]
	v_add_f64 v[4:5], v[8:9], v[4:5]
	s_delay_alu instid0(VALU_DEP_2) | instskip(NEXT) | instid1(VALU_DEP_2)
	v_add_f64 v[2:3], v[42:43], -v[2:3]
	v_add_f64 v[4:5], v[44:45], -v[4:5]
	scratch_store_b128 off, v[2:5], off offset:720
	v_cmpx_lt_u32_e32 44, v164
	s_cbranch_execz .LBB58_279
; %bb.278:
	scratch_load_b128 v[5:8], v182, off
	v_mov_b32_e32 v2, v1
	v_mov_b32_e32 v3, v1
	v_mov_b32_e32 v4, v1
	scratch_store_b128 off, v[1:4], off offset:704
	s_waitcnt vmcnt(0)
	ds_store_b128 v223, v[5:8]
.LBB58_279:
	s_or_b32 exec_lo, exec_lo, s2
	s_waitcnt lgkmcnt(0)
	s_waitcnt_vscnt null, 0x0
	s_barrier
	buffer_gl0_inv
	s_clause 0x8
	scratch_load_b128 v[2:5], off, off offset:720
	scratch_load_b128 v[6:9], off, off offset:736
	;; [unrolled: 1-line block ×9, first 2 shown]
	ds_load_b128 v[38:41], v1 offset:1664
	ds_load_b128 v[42:45], v1 offset:1680
	s_clause 0x1
	scratch_load_b128 v[50:53], off, off offset:704
	scratch_load_b128 v[54:57], off, off offset:864
	s_mov_b32 s2, exec_lo
	s_waitcnt vmcnt(10) lgkmcnt(1)
	v_mul_f64 v[58:59], v[40:41], v[4:5]
	v_mul_f64 v[4:5], v[38:39], v[4:5]
	s_waitcnt vmcnt(9) lgkmcnt(0)
	v_mul_f64 v[62:63], v[42:43], v[8:9]
	v_mul_f64 v[8:9], v[44:45], v[8:9]
	s_delay_alu instid0(VALU_DEP_4) | instskip(NEXT) | instid1(VALU_DEP_4)
	v_fma_f64 v[76:77], v[38:39], v[2:3], -v[58:59]
	v_fma_f64 v[80:81], v[40:41], v[2:3], v[4:5]
	ds_load_b128 v[2:5], v1 offset:1696
	ds_load_b128 v[58:61], v1 offset:1712
	scratch_load_b128 v[38:41], off, off offset:880
	v_fma_f64 v[44:45], v[44:45], v[6:7], v[62:63]
	v_fma_f64 v[42:43], v[42:43], v[6:7], -v[8:9]
	scratch_load_b128 v[6:9], off, off offset:896
	s_waitcnt vmcnt(10) lgkmcnt(1)
	v_mul_f64 v[165:166], v[2:3], v[12:13]
	v_mul_f64 v[12:13], v[4:5], v[12:13]
	v_add_f64 v[62:63], v[76:77], 0
	v_add_f64 v[76:77], v[80:81], 0
	s_waitcnt vmcnt(9) lgkmcnt(0)
	v_mul_f64 v[80:81], v[58:59], v[16:17]
	v_mul_f64 v[16:17], v[60:61], v[16:17]
	v_fma_f64 v[165:166], v[4:5], v[10:11], v[165:166]
	v_fma_f64 v[167:168], v[2:3], v[10:11], -v[12:13]
	ds_load_b128 v[2:5], v1 offset:1728
	scratch_load_b128 v[10:13], off, off offset:912
	v_add_f64 v[62:63], v[62:63], v[42:43]
	v_add_f64 v[76:77], v[76:77], v[44:45]
	ds_load_b128 v[42:45], v1 offset:1744
	v_fma_f64 v[60:61], v[60:61], v[14:15], v[80:81]
	v_fma_f64 v[58:59], v[58:59], v[14:15], -v[16:17]
	scratch_load_b128 v[14:17], off, off offset:928
	s_waitcnt vmcnt(10) lgkmcnt(1)
	v_mul_f64 v[169:170], v[2:3], v[20:21]
	v_mul_f64 v[20:21], v[4:5], v[20:21]
	s_waitcnt vmcnt(9) lgkmcnt(0)
	v_mul_f64 v[80:81], v[42:43], v[24:25]
	v_mul_f64 v[24:25], v[44:45], v[24:25]
	v_add_f64 v[62:63], v[62:63], v[167:168]
	v_add_f64 v[76:77], v[76:77], v[165:166]
	v_fma_f64 v[165:166], v[4:5], v[18:19], v[169:170]
	v_fma_f64 v[167:168], v[2:3], v[18:19], -v[20:21]
	ds_load_b128 v[2:5], v1 offset:1760
	ds_load_b128 v[18:21], v1 offset:1776
	v_fma_f64 v[44:45], v[44:45], v[22:23], v[80:81]
	v_fma_f64 v[22:23], v[42:43], v[22:23], -v[24:25]
	v_add_f64 v[58:59], v[62:63], v[58:59]
	v_add_f64 v[60:61], v[76:77], v[60:61]
	s_waitcnt vmcnt(8) lgkmcnt(1)
	v_mul_f64 v[62:63], v[2:3], v[28:29]
	v_mul_f64 v[28:29], v[4:5], v[28:29]
	s_delay_alu instid0(VALU_DEP_4) | instskip(NEXT) | instid1(VALU_DEP_4)
	v_add_f64 v[24:25], v[58:59], v[167:168]
	v_add_f64 v[42:43], v[60:61], v[165:166]
	s_waitcnt vmcnt(7) lgkmcnt(0)
	v_mul_f64 v[58:59], v[18:19], v[32:33]
	v_mul_f64 v[32:33], v[20:21], v[32:33]
	v_fma_f64 v[60:61], v[4:5], v[26:27], v[62:63]
	v_fma_f64 v[26:27], v[2:3], v[26:27], -v[28:29]
	v_add_f64 v[28:29], v[24:25], v[22:23]
	v_add_f64 v[42:43], v[42:43], v[44:45]
	ds_load_b128 v[2:5], v1 offset:1792
	ds_load_b128 v[22:25], v1 offset:1808
	v_fma_f64 v[20:21], v[20:21], v[30:31], v[58:59]
	v_fma_f64 v[18:19], v[18:19], v[30:31], -v[32:33]
	s_waitcnt vmcnt(6) lgkmcnt(1)
	v_mul_f64 v[44:45], v[2:3], v[36:37]
	v_mul_f64 v[36:37], v[4:5], v[36:37]
	s_waitcnt vmcnt(4) lgkmcnt(0)
	v_mul_f64 v[30:31], v[22:23], v[56:57]
	v_mul_f64 v[32:33], v[24:25], v[56:57]
	v_add_f64 v[26:27], v[28:29], v[26:27]
	v_add_f64 v[28:29], v[42:43], v[60:61]
	v_fma_f64 v[42:43], v[4:5], v[34:35], v[44:45]
	v_fma_f64 v[34:35], v[2:3], v[34:35], -v[36:37]
	v_fma_f64 v[24:25], v[24:25], v[54:55], v[30:31]
	v_fma_f64 v[22:23], v[22:23], v[54:55], -v[32:33]
	v_add_f64 v[26:27], v[26:27], v[18:19]
	v_add_f64 v[28:29], v[28:29], v[20:21]
	ds_load_b128 v[2:5], v1 offset:1824
	ds_load_b128 v[18:21], v1 offset:1840
	s_waitcnt vmcnt(3) lgkmcnt(1)
	v_mul_f64 v[36:37], v[2:3], v[40:41]
	v_mul_f64 v[40:41], v[4:5], v[40:41]
	s_waitcnt vmcnt(2) lgkmcnt(0)
	v_mul_f64 v[30:31], v[18:19], v[8:9]
	v_mul_f64 v[8:9], v[20:21], v[8:9]
	v_add_f64 v[26:27], v[26:27], v[34:35]
	v_add_f64 v[28:29], v[28:29], v[42:43]
	v_fma_f64 v[32:33], v[4:5], v[38:39], v[36:37]
	v_fma_f64 v[34:35], v[2:3], v[38:39], -v[40:41]
	v_fma_f64 v[20:21], v[20:21], v[6:7], v[30:31]
	v_fma_f64 v[6:7], v[18:19], v[6:7], -v[8:9]
	v_add_f64 v[26:27], v[26:27], v[22:23]
	v_add_f64 v[28:29], v[28:29], v[24:25]
	ds_load_b128 v[2:5], v1 offset:1856
	ds_load_b128 v[22:25], v1 offset:1872
	s_waitcnt vmcnt(1) lgkmcnt(1)
	v_mul_f64 v[36:37], v[2:3], v[12:13]
	v_mul_f64 v[12:13], v[4:5], v[12:13]
	v_add_f64 v[8:9], v[26:27], v[34:35]
	v_add_f64 v[18:19], v[28:29], v[32:33]
	s_waitcnt vmcnt(0) lgkmcnt(0)
	v_mul_f64 v[26:27], v[22:23], v[16:17]
	v_mul_f64 v[16:17], v[24:25], v[16:17]
	v_fma_f64 v[4:5], v[4:5], v[10:11], v[36:37]
	v_fma_f64 v[1:2], v[2:3], v[10:11], -v[12:13]
	v_add_f64 v[6:7], v[8:9], v[6:7]
	v_add_f64 v[8:9], v[18:19], v[20:21]
	v_fma_f64 v[10:11], v[24:25], v[14:15], v[26:27]
	v_fma_f64 v[12:13], v[22:23], v[14:15], -v[16:17]
	s_delay_alu instid0(VALU_DEP_4) | instskip(NEXT) | instid1(VALU_DEP_4)
	v_add_f64 v[1:2], v[6:7], v[1:2]
	v_add_f64 v[3:4], v[8:9], v[4:5]
	s_delay_alu instid0(VALU_DEP_2) | instskip(NEXT) | instid1(VALU_DEP_2)
	v_add_f64 v[1:2], v[1:2], v[12:13]
	v_add_f64 v[3:4], v[3:4], v[10:11]
	s_delay_alu instid0(VALU_DEP_2) | instskip(NEXT) | instid1(VALU_DEP_2)
	v_add_f64 v[1:2], v[50:51], -v[1:2]
	v_add_f64 v[3:4], v[52:53], -v[3:4]
	scratch_store_b128 off, v[1:4], off offset:704
	v_cmpx_lt_u32_e32 43, v164
	s_cbranch_execz .LBB58_281
; %bb.280:
	scratch_load_b128 v[1:4], v181, off
	v_mov_b32_e32 v5, 0
	s_delay_alu instid0(VALU_DEP_1)
	v_mov_b32_e32 v6, v5
	v_mov_b32_e32 v7, v5
	;; [unrolled: 1-line block ×3, first 2 shown]
	scratch_store_b128 off, v[5:8], off offset:688
	s_waitcnt vmcnt(0)
	ds_store_b128 v223, v[1:4]
.LBB58_281:
	s_or_b32 exec_lo, exec_lo, s2
	s_waitcnt lgkmcnt(0)
	s_waitcnt_vscnt null, 0x0
	s_barrier
	buffer_gl0_inv
	s_clause 0x7
	scratch_load_b128 v[2:5], off, off offset:704
	scratch_load_b128 v[6:9], off, off offset:720
	;; [unrolled: 1-line block ×8, first 2 shown]
	v_mov_b32_e32 v1, 0
	s_mov_b32 s2, exec_lo
	ds_load_b128 v[34:37], v1 offset:1648
	s_clause 0x1
	scratch_load_b128 v[38:41], off, off offset:832
	scratch_load_b128 v[42:45], off, off offset:688
	ds_load_b128 v[50:53], v1 offset:1664
	scratch_load_b128 v[54:57], off, off offset:848
	s_waitcnt vmcnt(10) lgkmcnt(1)
	v_mul_f64 v[58:59], v[36:37], v[4:5]
	v_mul_f64 v[4:5], v[34:35], v[4:5]
	s_delay_alu instid0(VALU_DEP_2) | instskip(NEXT) | instid1(VALU_DEP_2)
	v_fma_f64 v[76:77], v[34:35], v[2:3], -v[58:59]
	v_fma_f64 v[80:81], v[36:37], v[2:3], v[4:5]
	scratch_load_b128 v[34:37], off, off offset:864
	ds_load_b128 v[2:5], v1 offset:1680
	s_waitcnt vmcnt(10) lgkmcnt(1)
	v_mul_f64 v[62:63], v[50:51], v[8:9]
	v_mul_f64 v[8:9], v[52:53], v[8:9]
	ds_load_b128 v[58:61], v1 offset:1696
	s_waitcnt vmcnt(9) lgkmcnt(1)
	v_mul_f64 v[165:166], v[2:3], v[12:13]
	v_mul_f64 v[12:13], v[4:5], v[12:13]
	v_fma_f64 v[52:53], v[52:53], v[6:7], v[62:63]
	v_fma_f64 v[50:51], v[50:51], v[6:7], -v[8:9]
	v_add_f64 v[62:63], v[76:77], 0
	v_add_f64 v[76:77], v[80:81], 0
	scratch_load_b128 v[6:9], off, off offset:880
	v_fma_f64 v[165:166], v[4:5], v[10:11], v[165:166]
	v_fma_f64 v[167:168], v[2:3], v[10:11], -v[12:13]
	scratch_load_b128 v[10:13], off, off offset:896
	ds_load_b128 v[2:5], v1 offset:1712
	s_waitcnt vmcnt(10) lgkmcnt(1)
	v_mul_f64 v[80:81], v[58:59], v[16:17]
	v_mul_f64 v[16:17], v[60:61], v[16:17]
	v_add_f64 v[62:63], v[62:63], v[50:51]
	v_add_f64 v[76:77], v[76:77], v[52:53]
	s_waitcnt vmcnt(9) lgkmcnt(0)
	v_mul_f64 v[169:170], v[2:3], v[20:21]
	v_mul_f64 v[20:21], v[4:5], v[20:21]
	ds_load_b128 v[50:53], v1 offset:1728
	v_fma_f64 v[60:61], v[60:61], v[14:15], v[80:81]
	v_fma_f64 v[58:59], v[58:59], v[14:15], -v[16:17]
	scratch_load_b128 v[14:17], off, off offset:912
	v_add_f64 v[62:63], v[62:63], v[167:168]
	v_add_f64 v[76:77], v[76:77], v[165:166]
	v_fma_f64 v[165:166], v[4:5], v[18:19], v[169:170]
	v_fma_f64 v[167:168], v[2:3], v[18:19], -v[20:21]
	scratch_load_b128 v[18:21], off, off offset:928
	ds_load_b128 v[2:5], v1 offset:1744
	s_waitcnt vmcnt(10) lgkmcnt(1)
	v_mul_f64 v[80:81], v[50:51], v[24:25]
	v_mul_f64 v[24:25], v[52:53], v[24:25]
	s_waitcnt vmcnt(9) lgkmcnt(0)
	v_mul_f64 v[169:170], v[2:3], v[28:29]
	v_mul_f64 v[28:29], v[4:5], v[28:29]
	v_add_f64 v[62:63], v[62:63], v[58:59]
	v_add_f64 v[76:77], v[76:77], v[60:61]
	ds_load_b128 v[58:61], v1 offset:1760
	v_fma_f64 v[52:53], v[52:53], v[22:23], v[80:81]
	v_fma_f64 v[22:23], v[50:51], v[22:23], -v[24:25]
	v_add_f64 v[24:25], v[62:63], v[167:168]
	v_add_f64 v[50:51], v[76:77], v[165:166]
	s_waitcnt vmcnt(8) lgkmcnt(0)
	v_mul_f64 v[62:63], v[58:59], v[32:33]
	v_mul_f64 v[32:33], v[60:61], v[32:33]
	v_fma_f64 v[76:77], v[4:5], v[26:27], v[169:170]
	v_fma_f64 v[26:27], v[2:3], v[26:27], -v[28:29]
	v_add_f64 v[28:29], v[24:25], v[22:23]
	v_add_f64 v[50:51], v[50:51], v[52:53]
	ds_load_b128 v[2:5], v1 offset:1776
	ds_load_b128 v[22:25], v1 offset:1792
	v_fma_f64 v[60:61], v[60:61], v[30:31], v[62:63]
	v_fma_f64 v[30:31], v[58:59], v[30:31], -v[32:33]
	s_waitcnt vmcnt(7) lgkmcnt(1)
	v_mul_f64 v[52:53], v[2:3], v[40:41]
	v_mul_f64 v[40:41], v[4:5], v[40:41]
	s_waitcnt vmcnt(5) lgkmcnt(0)
	v_mul_f64 v[32:33], v[22:23], v[56:57]
	v_add_f64 v[26:27], v[28:29], v[26:27]
	v_add_f64 v[28:29], v[50:51], v[76:77]
	v_mul_f64 v[50:51], v[24:25], v[56:57]
	v_fma_f64 v[52:53], v[4:5], v[38:39], v[52:53]
	v_fma_f64 v[38:39], v[2:3], v[38:39], -v[40:41]
	v_fma_f64 v[24:25], v[24:25], v[54:55], v[32:33]
	v_add_f64 v[30:31], v[26:27], v[30:31]
	v_add_f64 v[40:41], v[28:29], v[60:61]
	ds_load_b128 v[2:5], v1 offset:1808
	ds_load_b128 v[26:29], v1 offset:1824
	v_fma_f64 v[22:23], v[22:23], v[54:55], -v[50:51]
	s_waitcnt vmcnt(4) lgkmcnt(1)
	v_mul_f64 v[56:57], v[2:3], v[36:37]
	v_mul_f64 v[36:37], v[4:5], v[36:37]
	v_add_f64 v[30:31], v[30:31], v[38:39]
	v_add_f64 v[32:33], v[40:41], v[52:53]
	s_waitcnt vmcnt(3) lgkmcnt(0)
	v_mul_f64 v[38:39], v[26:27], v[8:9]
	v_mul_f64 v[8:9], v[28:29], v[8:9]
	v_fma_f64 v[40:41], v[4:5], v[34:35], v[56:57]
	v_fma_f64 v[34:35], v[2:3], v[34:35], -v[36:37]
	v_add_f64 v[30:31], v[30:31], v[22:23]
	v_add_f64 v[32:33], v[32:33], v[24:25]
	ds_load_b128 v[2:5], v1 offset:1840
	ds_load_b128 v[22:25], v1 offset:1856
	v_fma_f64 v[28:29], v[28:29], v[6:7], v[38:39]
	v_fma_f64 v[6:7], v[26:27], v[6:7], -v[8:9]
	s_waitcnt vmcnt(2) lgkmcnt(1)
	v_mul_f64 v[36:37], v[2:3], v[12:13]
	v_mul_f64 v[12:13], v[4:5], v[12:13]
	v_add_f64 v[8:9], v[30:31], v[34:35]
	v_add_f64 v[26:27], v[32:33], v[40:41]
	s_waitcnt vmcnt(1) lgkmcnt(0)
	v_mul_f64 v[30:31], v[22:23], v[16:17]
	v_mul_f64 v[16:17], v[24:25], v[16:17]
	v_fma_f64 v[32:33], v[4:5], v[10:11], v[36:37]
	v_fma_f64 v[10:11], v[2:3], v[10:11], -v[12:13]
	ds_load_b128 v[2:5], v1 offset:1872
	v_add_f64 v[6:7], v[8:9], v[6:7]
	v_add_f64 v[8:9], v[26:27], v[28:29]
	v_fma_f64 v[24:25], v[24:25], v[14:15], v[30:31]
	v_fma_f64 v[14:15], v[22:23], v[14:15], -v[16:17]
	s_waitcnt vmcnt(0) lgkmcnt(0)
	v_mul_f64 v[12:13], v[2:3], v[20:21]
	v_mul_f64 v[20:21], v[4:5], v[20:21]
	v_add_f64 v[6:7], v[6:7], v[10:11]
	v_add_f64 v[8:9], v[8:9], v[32:33]
	s_delay_alu instid0(VALU_DEP_4) | instskip(NEXT) | instid1(VALU_DEP_4)
	v_fma_f64 v[4:5], v[4:5], v[18:19], v[12:13]
	v_fma_f64 v[2:3], v[2:3], v[18:19], -v[20:21]
	s_delay_alu instid0(VALU_DEP_4) | instskip(NEXT) | instid1(VALU_DEP_4)
	v_add_f64 v[6:7], v[6:7], v[14:15]
	v_add_f64 v[8:9], v[8:9], v[24:25]
	s_delay_alu instid0(VALU_DEP_2) | instskip(NEXT) | instid1(VALU_DEP_2)
	v_add_f64 v[2:3], v[6:7], v[2:3]
	v_add_f64 v[4:5], v[8:9], v[4:5]
	s_delay_alu instid0(VALU_DEP_2) | instskip(NEXT) | instid1(VALU_DEP_2)
	v_add_f64 v[2:3], v[42:43], -v[2:3]
	v_add_f64 v[4:5], v[44:45], -v[4:5]
	scratch_store_b128 off, v[2:5], off offset:688
	v_cmpx_lt_u32_e32 42, v164
	s_cbranch_execz .LBB58_283
; %bb.282:
	scratch_load_b128 v[5:8], v187, off
	v_mov_b32_e32 v2, v1
	v_mov_b32_e32 v3, v1
	;; [unrolled: 1-line block ×3, first 2 shown]
	scratch_store_b128 off, v[1:4], off offset:672
	s_waitcnt vmcnt(0)
	ds_store_b128 v223, v[5:8]
.LBB58_283:
	s_or_b32 exec_lo, exec_lo, s2
	s_waitcnt lgkmcnt(0)
	s_waitcnt_vscnt null, 0x0
	s_barrier
	buffer_gl0_inv
	s_clause 0x8
	scratch_load_b128 v[2:5], off, off offset:688
	scratch_load_b128 v[6:9], off, off offset:704
	;; [unrolled: 1-line block ×9, first 2 shown]
	ds_load_b128 v[38:41], v1 offset:1632
	ds_load_b128 v[42:45], v1 offset:1648
	s_clause 0x1
	scratch_load_b128 v[50:53], off, off offset:672
	scratch_load_b128 v[54:57], off, off offset:832
	s_mov_b32 s2, exec_lo
	s_waitcnt vmcnt(10) lgkmcnt(1)
	v_mul_f64 v[58:59], v[40:41], v[4:5]
	v_mul_f64 v[4:5], v[38:39], v[4:5]
	s_waitcnt vmcnt(9) lgkmcnt(0)
	v_mul_f64 v[62:63], v[42:43], v[8:9]
	v_mul_f64 v[8:9], v[44:45], v[8:9]
	s_delay_alu instid0(VALU_DEP_4) | instskip(NEXT) | instid1(VALU_DEP_4)
	v_fma_f64 v[76:77], v[38:39], v[2:3], -v[58:59]
	v_fma_f64 v[80:81], v[40:41], v[2:3], v[4:5]
	ds_load_b128 v[2:5], v1 offset:1664
	ds_load_b128 v[58:61], v1 offset:1680
	scratch_load_b128 v[38:41], off, off offset:848
	v_fma_f64 v[44:45], v[44:45], v[6:7], v[62:63]
	v_fma_f64 v[42:43], v[42:43], v[6:7], -v[8:9]
	scratch_load_b128 v[6:9], off, off offset:864
	s_waitcnt vmcnt(10) lgkmcnt(1)
	v_mul_f64 v[165:166], v[2:3], v[12:13]
	v_mul_f64 v[12:13], v[4:5], v[12:13]
	v_add_f64 v[62:63], v[76:77], 0
	v_add_f64 v[76:77], v[80:81], 0
	s_waitcnt vmcnt(9) lgkmcnt(0)
	v_mul_f64 v[80:81], v[58:59], v[16:17]
	v_mul_f64 v[16:17], v[60:61], v[16:17]
	v_fma_f64 v[165:166], v[4:5], v[10:11], v[165:166]
	v_fma_f64 v[167:168], v[2:3], v[10:11], -v[12:13]
	ds_load_b128 v[2:5], v1 offset:1696
	scratch_load_b128 v[10:13], off, off offset:880
	v_add_f64 v[62:63], v[62:63], v[42:43]
	v_add_f64 v[76:77], v[76:77], v[44:45]
	ds_load_b128 v[42:45], v1 offset:1712
	v_fma_f64 v[60:61], v[60:61], v[14:15], v[80:81]
	v_fma_f64 v[58:59], v[58:59], v[14:15], -v[16:17]
	scratch_load_b128 v[14:17], off, off offset:896
	s_waitcnt vmcnt(10) lgkmcnt(1)
	v_mul_f64 v[169:170], v[2:3], v[20:21]
	v_mul_f64 v[20:21], v[4:5], v[20:21]
	s_waitcnt vmcnt(9) lgkmcnt(0)
	v_mul_f64 v[80:81], v[42:43], v[24:25]
	v_mul_f64 v[24:25], v[44:45], v[24:25]
	v_add_f64 v[62:63], v[62:63], v[167:168]
	v_add_f64 v[76:77], v[76:77], v[165:166]
	v_fma_f64 v[165:166], v[4:5], v[18:19], v[169:170]
	v_fma_f64 v[167:168], v[2:3], v[18:19], -v[20:21]
	ds_load_b128 v[2:5], v1 offset:1728
	scratch_load_b128 v[18:21], off, off offset:912
	v_fma_f64 v[44:45], v[44:45], v[22:23], v[80:81]
	v_fma_f64 v[42:43], v[42:43], v[22:23], -v[24:25]
	scratch_load_b128 v[22:25], off, off offset:928
	v_add_f64 v[62:63], v[62:63], v[58:59]
	v_add_f64 v[76:77], v[76:77], v[60:61]
	ds_load_b128 v[58:61], v1 offset:1744
	s_waitcnt vmcnt(10) lgkmcnt(1)
	v_mul_f64 v[169:170], v[2:3], v[28:29]
	v_mul_f64 v[28:29], v[4:5], v[28:29]
	s_waitcnt vmcnt(9) lgkmcnt(0)
	v_mul_f64 v[80:81], v[58:59], v[32:33]
	v_mul_f64 v[32:33], v[60:61], v[32:33]
	v_add_f64 v[62:63], v[62:63], v[167:168]
	v_add_f64 v[76:77], v[76:77], v[165:166]
	v_fma_f64 v[165:166], v[4:5], v[26:27], v[169:170]
	v_fma_f64 v[167:168], v[2:3], v[26:27], -v[28:29]
	ds_load_b128 v[2:5], v1 offset:1760
	ds_load_b128 v[26:29], v1 offset:1776
	v_fma_f64 v[60:61], v[60:61], v[30:31], v[80:81]
	v_fma_f64 v[30:31], v[58:59], v[30:31], -v[32:33]
	v_add_f64 v[42:43], v[62:63], v[42:43]
	v_add_f64 v[44:45], v[76:77], v[44:45]
	s_waitcnt vmcnt(8) lgkmcnt(1)
	v_mul_f64 v[62:63], v[2:3], v[36:37]
	v_mul_f64 v[36:37], v[4:5], v[36:37]
	s_delay_alu instid0(VALU_DEP_4) | instskip(NEXT) | instid1(VALU_DEP_4)
	v_add_f64 v[32:33], v[42:43], v[167:168]
	v_add_f64 v[42:43], v[44:45], v[165:166]
	s_waitcnt vmcnt(6) lgkmcnt(0)
	v_mul_f64 v[44:45], v[26:27], v[56:57]
	v_mul_f64 v[56:57], v[28:29], v[56:57]
	v_fma_f64 v[58:59], v[4:5], v[34:35], v[62:63]
	v_fma_f64 v[34:35], v[2:3], v[34:35], -v[36:37]
	v_add_f64 v[36:37], v[32:33], v[30:31]
	v_add_f64 v[42:43], v[42:43], v[60:61]
	ds_load_b128 v[2:5], v1 offset:1792
	ds_load_b128 v[30:33], v1 offset:1808
	v_fma_f64 v[28:29], v[28:29], v[54:55], v[44:45]
	v_fma_f64 v[26:27], v[26:27], v[54:55], -v[56:57]
	s_waitcnt vmcnt(5) lgkmcnt(1)
	v_mul_f64 v[60:61], v[2:3], v[40:41]
	v_mul_f64 v[40:41], v[4:5], v[40:41]
	v_add_f64 v[34:35], v[36:37], v[34:35]
	v_add_f64 v[36:37], v[42:43], v[58:59]
	s_waitcnt vmcnt(4) lgkmcnt(0)
	v_mul_f64 v[42:43], v[30:31], v[8:9]
	v_mul_f64 v[8:9], v[32:33], v[8:9]
	v_fma_f64 v[44:45], v[4:5], v[38:39], v[60:61]
	v_fma_f64 v[38:39], v[2:3], v[38:39], -v[40:41]
	v_add_f64 v[34:35], v[34:35], v[26:27]
	v_add_f64 v[36:37], v[36:37], v[28:29]
	ds_load_b128 v[2:5], v1 offset:1824
	ds_load_b128 v[26:29], v1 offset:1840
	v_fma_f64 v[32:33], v[32:33], v[6:7], v[42:43]
	v_fma_f64 v[6:7], v[30:31], v[6:7], -v[8:9]
	s_waitcnt vmcnt(3) lgkmcnt(1)
	v_mul_f64 v[40:41], v[2:3], v[12:13]
	v_mul_f64 v[12:13], v[4:5], v[12:13]
	v_add_f64 v[8:9], v[34:35], v[38:39]
	v_add_f64 v[30:31], v[36:37], v[44:45]
	s_waitcnt vmcnt(2) lgkmcnt(0)
	v_mul_f64 v[34:35], v[26:27], v[16:17]
	v_mul_f64 v[16:17], v[28:29], v[16:17]
	v_fma_f64 v[36:37], v[4:5], v[10:11], v[40:41]
	v_fma_f64 v[10:11], v[2:3], v[10:11], -v[12:13]
	v_add_f64 v[12:13], v[8:9], v[6:7]
	v_add_f64 v[30:31], v[30:31], v[32:33]
	ds_load_b128 v[2:5], v1 offset:1856
	ds_load_b128 v[6:9], v1 offset:1872
	v_fma_f64 v[28:29], v[28:29], v[14:15], v[34:35]
	v_fma_f64 v[14:15], v[26:27], v[14:15], -v[16:17]
	s_waitcnt vmcnt(1) lgkmcnt(1)
	v_mul_f64 v[32:33], v[2:3], v[20:21]
	v_mul_f64 v[20:21], v[4:5], v[20:21]
	s_waitcnt vmcnt(0) lgkmcnt(0)
	v_mul_f64 v[16:17], v[6:7], v[24:25]
	v_mul_f64 v[24:25], v[8:9], v[24:25]
	v_add_f64 v[10:11], v[12:13], v[10:11]
	v_add_f64 v[12:13], v[30:31], v[36:37]
	v_fma_f64 v[4:5], v[4:5], v[18:19], v[32:33]
	v_fma_f64 v[1:2], v[2:3], v[18:19], -v[20:21]
	v_fma_f64 v[8:9], v[8:9], v[22:23], v[16:17]
	v_fma_f64 v[6:7], v[6:7], v[22:23], -v[24:25]
	v_add_f64 v[10:11], v[10:11], v[14:15]
	v_add_f64 v[12:13], v[12:13], v[28:29]
	s_delay_alu instid0(VALU_DEP_2) | instskip(NEXT) | instid1(VALU_DEP_2)
	v_add_f64 v[1:2], v[10:11], v[1:2]
	v_add_f64 v[3:4], v[12:13], v[4:5]
	s_delay_alu instid0(VALU_DEP_2) | instskip(NEXT) | instid1(VALU_DEP_2)
	;; [unrolled: 3-line block ×3, first 2 shown]
	v_add_f64 v[1:2], v[50:51], -v[1:2]
	v_add_f64 v[3:4], v[52:53], -v[3:4]
	scratch_store_b128 off, v[1:4], off offset:672
	v_cmpx_lt_u32_e32 41, v164
	s_cbranch_execz .LBB58_285
; %bb.284:
	scratch_load_b128 v[1:4], v188, off
	v_mov_b32_e32 v5, 0
	s_delay_alu instid0(VALU_DEP_1)
	v_mov_b32_e32 v6, v5
	v_mov_b32_e32 v7, v5
	;; [unrolled: 1-line block ×3, first 2 shown]
	scratch_store_b128 off, v[5:8], off offset:656
	s_waitcnt vmcnt(0)
	ds_store_b128 v223, v[1:4]
.LBB58_285:
	s_or_b32 exec_lo, exec_lo, s2
	s_waitcnt lgkmcnt(0)
	s_waitcnt_vscnt null, 0x0
	s_barrier
	buffer_gl0_inv
	s_clause 0x7
	scratch_load_b128 v[2:5], off, off offset:672
	scratch_load_b128 v[6:9], off, off offset:688
	;; [unrolled: 1-line block ×8, first 2 shown]
	v_mov_b32_e32 v1, 0
	s_mov_b32 s2, exec_lo
	ds_load_b128 v[34:37], v1 offset:1616
	s_clause 0x1
	scratch_load_b128 v[38:41], off, off offset:800
	scratch_load_b128 v[42:45], off, off offset:656
	ds_load_b128 v[50:53], v1 offset:1632
	scratch_load_b128 v[54:57], off, off offset:816
	s_waitcnt vmcnt(10) lgkmcnt(1)
	v_mul_f64 v[58:59], v[36:37], v[4:5]
	v_mul_f64 v[4:5], v[34:35], v[4:5]
	s_delay_alu instid0(VALU_DEP_2) | instskip(NEXT) | instid1(VALU_DEP_2)
	v_fma_f64 v[76:77], v[34:35], v[2:3], -v[58:59]
	v_fma_f64 v[80:81], v[36:37], v[2:3], v[4:5]
	scratch_load_b128 v[34:37], off, off offset:832
	ds_load_b128 v[2:5], v1 offset:1648
	s_waitcnt vmcnt(10) lgkmcnt(1)
	v_mul_f64 v[62:63], v[50:51], v[8:9]
	v_mul_f64 v[8:9], v[52:53], v[8:9]
	ds_load_b128 v[58:61], v1 offset:1664
	s_waitcnt vmcnt(9) lgkmcnt(1)
	v_mul_f64 v[165:166], v[2:3], v[12:13]
	v_mul_f64 v[12:13], v[4:5], v[12:13]
	v_fma_f64 v[52:53], v[52:53], v[6:7], v[62:63]
	v_fma_f64 v[50:51], v[50:51], v[6:7], -v[8:9]
	v_add_f64 v[62:63], v[76:77], 0
	v_add_f64 v[76:77], v[80:81], 0
	scratch_load_b128 v[6:9], off, off offset:848
	v_fma_f64 v[165:166], v[4:5], v[10:11], v[165:166]
	v_fma_f64 v[167:168], v[2:3], v[10:11], -v[12:13]
	scratch_load_b128 v[10:13], off, off offset:864
	ds_load_b128 v[2:5], v1 offset:1680
	s_waitcnt vmcnt(10) lgkmcnt(1)
	v_mul_f64 v[80:81], v[58:59], v[16:17]
	v_mul_f64 v[16:17], v[60:61], v[16:17]
	v_add_f64 v[62:63], v[62:63], v[50:51]
	v_add_f64 v[76:77], v[76:77], v[52:53]
	s_waitcnt vmcnt(9) lgkmcnt(0)
	v_mul_f64 v[169:170], v[2:3], v[20:21]
	v_mul_f64 v[20:21], v[4:5], v[20:21]
	ds_load_b128 v[50:53], v1 offset:1696
	v_fma_f64 v[60:61], v[60:61], v[14:15], v[80:81]
	v_fma_f64 v[58:59], v[58:59], v[14:15], -v[16:17]
	scratch_load_b128 v[14:17], off, off offset:880
	v_add_f64 v[62:63], v[62:63], v[167:168]
	v_add_f64 v[76:77], v[76:77], v[165:166]
	v_fma_f64 v[165:166], v[4:5], v[18:19], v[169:170]
	v_fma_f64 v[167:168], v[2:3], v[18:19], -v[20:21]
	scratch_load_b128 v[18:21], off, off offset:896
	ds_load_b128 v[2:5], v1 offset:1712
	s_waitcnt vmcnt(10) lgkmcnt(1)
	v_mul_f64 v[80:81], v[50:51], v[24:25]
	v_mul_f64 v[24:25], v[52:53], v[24:25]
	s_waitcnt vmcnt(9) lgkmcnt(0)
	v_mul_f64 v[169:170], v[2:3], v[28:29]
	v_mul_f64 v[28:29], v[4:5], v[28:29]
	v_add_f64 v[62:63], v[62:63], v[58:59]
	v_add_f64 v[76:77], v[76:77], v[60:61]
	ds_load_b128 v[58:61], v1 offset:1728
	v_fma_f64 v[52:53], v[52:53], v[22:23], v[80:81]
	v_fma_f64 v[50:51], v[50:51], v[22:23], -v[24:25]
	scratch_load_b128 v[22:25], off, off offset:912
	v_add_f64 v[62:63], v[62:63], v[167:168]
	v_add_f64 v[76:77], v[76:77], v[165:166]
	v_fma_f64 v[165:166], v[4:5], v[26:27], v[169:170]
	v_fma_f64 v[167:168], v[2:3], v[26:27], -v[28:29]
	scratch_load_b128 v[26:29], off, off offset:928
	ds_load_b128 v[2:5], v1 offset:1744
	s_waitcnt vmcnt(10) lgkmcnt(1)
	v_mul_f64 v[80:81], v[58:59], v[32:33]
	v_mul_f64 v[32:33], v[60:61], v[32:33]
	s_waitcnt vmcnt(9) lgkmcnt(0)
	v_mul_f64 v[169:170], v[2:3], v[40:41]
	v_mul_f64 v[40:41], v[4:5], v[40:41]
	v_add_f64 v[62:63], v[62:63], v[50:51]
	v_add_f64 v[76:77], v[76:77], v[52:53]
	ds_load_b128 v[50:53], v1 offset:1760
	v_fma_f64 v[60:61], v[60:61], v[30:31], v[80:81]
	v_fma_f64 v[30:31], v[58:59], v[30:31], -v[32:33]
	v_add_f64 v[32:33], v[62:63], v[167:168]
	v_add_f64 v[58:59], v[76:77], v[165:166]
	s_waitcnt vmcnt(7) lgkmcnt(0)
	v_mul_f64 v[62:63], v[50:51], v[56:57]
	v_mul_f64 v[56:57], v[52:53], v[56:57]
	v_fma_f64 v[76:77], v[4:5], v[38:39], v[169:170]
	v_fma_f64 v[38:39], v[2:3], v[38:39], -v[40:41]
	v_add_f64 v[40:41], v[32:33], v[30:31]
	v_add_f64 v[58:59], v[58:59], v[60:61]
	ds_load_b128 v[2:5], v1 offset:1776
	ds_load_b128 v[30:33], v1 offset:1792
	v_fma_f64 v[52:53], v[52:53], v[54:55], v[62:63]
	v_fma_f64 v[50:51], v[50:51], v[54:55], -v[56:57]
	s_waitcnt vmcnt(6) lgkmcnt(1)
	v_mul_f64 v[60:61], v[2:3], v[36:37]
	v_mul_f64 v[36:37], v[4:5], v[36:37]
	v_add_f64 v[38:39], v[40:41], v[38:39]
	v_add_f64 v[40:41], v[58:59], v[76:77]
	s_waitcnt vmcnt(5) lgkmcnt(0)
	v_mul_f64 v[54:55], v[30:31], v[8:9]
	v_mul_f64 v[8:9], v[32:33], v[8:9]
	v_fma_f64 v[56:57], v[4:5], v[34:35], v[60:61]
	v_fma_f64 v[58:59], v[2:3], v[34:35], -v[36:37]
	ds_load_b128 v[2:5], v1 offset:1808
	ds_load_b128 v[34:37], v1 offset:1824
	v_add_f64 v[38:39], v[38:39], v[50:51]
	v_add_f64 v[40:41], v[40:41], v[52:53]
	s_waitcnt vmcnt(4) lgkmcnt(1)
	v_mul_f64 v[50:51], v[2:3], v[12:13]
	v_mul_f64 v[12:13], v[4:5], v[12:13]
	v_fma_f64 v[32:33], v[32:33], v[6:7], v[54:55]
	v_fma_f64 v[6:7], v[30:31], v[6:7], -v[8:9]
	v_add_f64 v[8:9], v[38:39], v[58:59]
	v_add_f64 v[30:31], v[40:41], v[56:57]
	s_waitcnt vmcnt(3) lgkmcnt(0)
	v_mul_f64 v[38:39], v[34:35], v[16:17]
	v_mul_f64 v[16:17], v[36:37], v[16:17]
	v_fma_f64 v[40:41], v[4:5], v[10:11], v[50:51]
	v_fma_f64 v[10:11], v[2:3], v[10:11], -v[12:13]
	v_add_f64 v[12:13], v[8:9], v[6:7]
	v_add_f64 v[30:31], v[30:31], v[32:33]
	ds_load_b128 v[2:5], v1 offset:1840
	ds_load_b128 v[6:9], v1 offset:1856
	v_fma_f64 v[36:37], v[36:37], v[14:15], v[38:39]
	v_fma_f64 v[14:15], v[34:35], v[14:15], -v[16:17]
	s_waitcnt vmcnt(2) lgkmcnt(1)
	v_mul_f64 v[32:33], v[2:3], v[20:21]
	v_mul_f64 v[20:21], v[4:5], v[20:21]
	s_waitcnt vmcnt(1) lgkmcnt(0)
	v_mul_f64 v[16:17], v[6:7], v[24:25]
	v_mul_f64 v[24:25], v[8:9], v[24:25]
	v_add_f64 v[10:11], v[12:13], v[10:11]
	v_add_f64 v[12:13], v[30:31], v[40:41]
	v_fma_f64 v[30:31], v[4:5], v[18:19], v[32:33]
	v_fma_f64 v[18:19], v[2:3], v[18:19], -v[20:21]
	ds_load_b128 v[2:5], v1 offset:1872
	v_fma_f64 v[8:9], v[8:9], v[22:23], v[16:17]
	v_fma_f64 v[6:7], v[6:7], v[22:23], -v[24:25]
	v_add_f64 v[10:11], v[10:11], v[14:15]
	v_add_f64 v[12:13], v[12:13], v[36:37]
	s_waitcnt vmcnt(0) lgkmcnt(0)
	v_mul_f64 v[14:15], v[2:3], v[28:29]
	v_mul_f64 v[20:21], v[4:5], v[28:29]
	s_delay_alu instid0(VALU_DEP_4) | instskip(NEXT) | instid1(VALU_DEP_4)
	v_add_f64 v[10:11], v[10:11], v[18:19]
	v_add_f64 v[12:13], v[12:13], v[30:31]
	s_delay_alu instid0(VALU_DEP_4) | instskip(NEXT) | instid1(VALU_DEP_4)
	v_fma_f64 v[4:5], v[4:5], v[26:27], v[14:15]
	v_fma_f64 v[2:3], v[2:3], v[26:27], -v[20:21]
	s_delay_alu instid0(VALU_DEP_4) | instskip(NEXT) | instid1(VALU_DEP_4)
	v_add_f64 v[6:7], v[10:11], v[6:7]
	v_add_f64 v[8:9], v[12:13], v[8:9]
	s_delay_alu instid0(VALU_DEP_2) | instskip(NEXT) | instid1(VALU_DEP_2)
	v_add_f64 v[2:3], v[6:7], v[2:3]
	v_add_f64 v[4:5], v[8:9], v[4:5]
	s_delay_alu instid0(VALU_DEP_2) | instskip(NEXT) | instid1(VALU_DEP_2)
	v_add_f64 v[2:3], v[42:43], -v[2:3]
	v_add_f64 v[4:5], v[44:45], -v[4:5]
	scratch_store_b128 off, v[2:5], off offset:656
	v_cmpx_lt_u32_e32 40, v164
	s_cbranch_execz .LBB58_287
; %bb.286:
	scratch_load_b128 v[5:8], v252, off
	v_mov_b32_e32 v2, v1
	v_mov_b32_e32 v3, v1
	;; [unrolled: 1-line block ×3, first 2 shown]
	scratch_store_b128 off, v[1:4], off offset:640
	s_waitcnt vmcnt(0)
	ds_store_b128 v223, v[5:8]
.LBB58_287:
	s_or_b32 exec_lo, exec_lo, s2
	s_waitcnt lgkmcnt(0)
	s_waitcnt_vscnt null, 0x0
	s_barrier
	buffer_gl0_inv
	s_clause 0x8
	scratch_load_b128 v[2:5], off, off offset:656
	scratch_load_b128 v[6:9], off, off offset:672
	;; [unrolled: 1-line block ×9, first 2 shown]
	ds_load_b128 v[38:41], v1 offset:1600
	ds_load_b128 v[42:45], v1 offset:1616
	s_clause 0x1
	scratch_load_b128 v[50:53], off, off offset:640
	scratch_load_b128 v[54:57], off, off offset:800
	s_mov_b32 s2, exec_lo
	s_waitcnt vmcnt(10) lgkmcnt(1)
	v_mul_f64 v[58:59], v[40:41], v[4:5]
	v_mul_f64 v[4:5], v[38:39], v[4:5]
	s_waitcnt vmcnt(9) lgkmcnt(0)
	v_mul_f64 v[62:63], v[42:43], v[8:9]
	v_mul_f64 v[8:9], v[44:45], v[8:9]
	s_delay_alu instid0(VALU_DEP_4) | instskip(NEXT) | instid1(VALU_DEP_4)
	v_fma_f64 v[76:77], v[38:39], v[2:3], -v[58:59]
	v_fma_f64 v[80:81], v[40:41], v[2:3], v[4:5]
	ds_load_b128 v[2:5], v1 offset:1632
	ds_load_b128 v[58:61], v1 offset:1648
	scratch_load_b128 v[38:41], off, off offset:816
	v_fma_f64 v[44:45], v[44:45], v[6:7], v[62:63]
	v_fma_f64 v[42:43], v[42:43], v[6:7], -v[8:9]
	scratch_load_b128 v[6:9], off, off offset:832
	s_waitcnt vmcnt(10) lgkmcnt(1)
	v_mul_f64 v[165:166], v[2:3], v[12:13]
	v_mul_f64 v[12:13], v[4:5], v[12:13]
	v_add_f64 v[62:63], v[76:77], 0
	v_add_f64 v[76:77], v[80:81], 0
	s_waitcnt vmcnt(9) lgkmcnt(0)
	v_mul_f64 v[80:81], v[58:59], v[16:17]
	v_mul_f64 v[16:17], v[60:61], v[16:17]
	v_fma_f64 v[165:166], v[4:5], v[10:11], v[165:166]
	v_fma_f64 v[167:168], v[2:3], v[10:11], -v[12:13]
	ds_load_b128 v[2:5], v1 offset:1664
	scratch_load_b128 v[10:13], off, off offset:848
	v_add_f64 v[62:63], v[62:63], v[42:43]
	v_add_f64 v[76:77], v[76:77], v[44:45]
	ds_load_b128 v[42:45], v1 offset:1680
	v_fma_f64 v[60:61], v[60:61], v[14:15], v[80:81]
	v_fma_f64 v[58:59], v[58:59], v[14:15], -v[16:17]
	scratch_load_b128 v[14:17], off, off offset:864
	s_waitcnt vmcnt(10) lgkmcnt(1)
	v_mul_f64 v[169:170], v[2:3], v[20:21]
	v_mul_f64 v[20:21], v[4:5], v[20:21]
	s_waitcnt vmcnt(9) lgkmcnt(0)
	v_mul_f64 v[80:81], v[42:43], v[24:25]
	v_mul_f64 v[24:25], v[44:45], v[24:25]
	v_add_f64 v[62:63], v[62:63], v[167:168]
	v_add_f64 v[76:77], v[76:77], v[165:166]
	v_fma_f64 v[165:166], v[4:5], v[18:19], v[169:170]
	v_fma_f64 v[167:168], v[2:3], v[18:19], -v[20:21]
	ds_load_b128 v[2:5], v1 offset:1696
	scratch_load_b128 v[18:21], off, off offset:880
	v_fma_f64 v[44:45], v[44:45], v[22:23], v[80:81]
	v_fma_f64 v[42:43], v[42:43], v[22:23], -v[24:25]
	scratch_load_b128 v[22:25], off, off offset:896
	v_add_f64 v[62:63], v[62:63], v[58:59]
	v_add_f64 v[76:77], v[76:77], v[60:61]
	ds_load_b128 v[58:61], v1 offset:1712
	s_waitcnt vmcnt(10) lgkmcnt(1)
	v_mul_f64 v[169:170], v[2:3], v[28:29]
	v_mul_f64 v[28:29], v[4:5], v[28:29]
	s_waitcnt vmcnt(9) lgkmcnt(0)
	v_mul_f64 v[80:81], v[58:59], v[32:33]
	v_mul_f64 v[32:33], v[60:61], v[32:33]
	v_add_f64 v[62:63], v[62:63], v[167:168]
	v_add_f64 v[76:77], v[76:77], v[165:166]
	v_fma_f64 v[165:166], v[4:5], v[26:27], v[169:170]
	v_fma_f64 v[167:168], v[2:3], v[26:27], -v[28:29]
	ds_load_b128 v[2:5], v1 offset:1728
	scratch_load_b128 v[26:29], off, off offset:912
	v_fma_f64 v[60:61], v[60:61], v[30:31], v[80:81]
	v_fma_f64 v[58:59], v[58:59], v[30:31], -v[32:33]
	scratch_load_b128 v[30:33], off, off offset:928
	v_add_f64 v[62:63], v[62:63], v[42:43]
	v_add_f64 v[76:77], v[76:77], v[44:45]
	ds_load_b128 v[42:45], v1 offset:1744
	s_waitcnt vmcnt(10) lgkmcnt(1)
	v_mul_f64 v[169:170], v[2:3], v[36:37]
	v_mul_f64 v[36:37], v[4:5], v[36:37]
	s_waitcnt vmcnt(8) lgkmcnt(0)
	v_mul_f64 v[80:81], v[42:43], v[56:57]
	v_mul_f64 v[56:57], v[44:45], v[56:57]
	v_add_f64 v[62:63], v[62:63], v[167:168]
	v_add_f64 v[76:77], v[76:77], v[165:166]
	v_fma_f64 v[165:166], v[4:5], v[34:35], v[169:170]
	v_fma_f64 v[167:168], v[2:3], v[34:35], -v[36:37]
	ds_load_b128 v[2:5], v1 offset:1760
	ds_load_b128 v[34:37], v1 offset:1776
	v_fma_f64 v[44:45], v[44:45], v[54:55], v[80:81]
	v_fma_f64 v[42:43], v[42:43], v[54:55], -v[56:57]
	v_add_f64 v[58:59], v[62:63], v[58:59]
	v_add_f64 v[60:61], v[76:77], v[60:61]
	s_waitcnt vmcnt(7) lgkmcnt(1)
	v_mul_f64 v[62:63], v[2:3], v[40:41]
	v_mul_f64 v[40:41], v[4:5], v[40:41]
	s_delay_alu instid0(VALU_DEP_4) | instskip(NEXT) | instid1(VALU_DEP_4)
	v_add_f64 v[54:55], v[58:59], v[167:168]
	v_add_f64 v[56:57], v[60:61], v[165:166]
	s_waitcnt vmcnt(6) lgkmcnt(0)
	v_mul_f64 v[58:59], v[34:35], v[8:9]
	v_mul_f64 v[8:9], v[36:37], v[8:9]
	v_fma_f64 v[60:61], v[4:5], v[38:39], v[62:63]
	v_fma_f64 v[62:63], v[2:3], v[38:39], -v[40:41]
	ds_load_b128 v[2:5], v1 offset:1792
	ds_load_b128 v[38:41], v1 offset:1808
	v_add_f64 v[42:43], v[54:55], v[42:43]
	v_add_f64 v[44:45], v[56:57], v[44:45]
	v_fma_f64 v[36:37], v[36:37], v[6:7], v[58:59]
	s_waitcnt vmcnt(5) lgkmcnt(1)
	v_mul_f64 v[54:55], v[2:3], v[12:13]
	v_mul_f64 v[12:13], v[4:5], v[12:13]
	v_fma_f64 v[6:7], v[34:35], v[6:7], -v[8:9]
	v_add_f64 v[8:9], v[42:43], v[62:63]
	v_add_f64 v[34:35], v[44:45], v[60:61]
	s_waitcnt vmcnt(4) lgkmcnt(0)
	v_mul_f64 v[42:43], v[38:39], v[16:17]
	v_mul_f64 v[16:17], v[40:41], v[16:17]
	v_fma_f64 v[44:45], v[4:5], v[10:11], v[54:55]
	v_fma_f64 v[10:11], v[2:3], v[10:11], -v[12:13]
	v_add_f64 v[12:13], v[8:9], v[6:7]
	v_add_f64 v[34:35], v[34:35], v[36:37]
	ds_load_b128 v[2:5], v1 offset:1824
	ds_load_b128 v[6:9], v1 offset:1840
	v_fma_f64 v[40:41], v[40:41], v[14:15], v[42:43]
	v_fma_f64 v[14:15], v[38:39], v[14:15], -v[16:17]
	s_waitcnt vmcnt(3) lgkmcnt(1)
	v_mul_f64 v[36:37], v[2:3], v[20:21]
	v_mul_f64 v[20:21], v[4:5], v[20:21]
	s_waitcnt vmcnt(2) lgkmcnt(0)
	v_mul_f64 v[16:17], v[6:7], v[24:25]
	v_mul_f64 v[24:25], v[8:9], v[24:25]
	v_add_f64 v[10:11], v[12:13], v[10:11]
	v_add_f64 v[12:13], v[34:35], v[44:45]
	v_fma_f64 v[34:35], v[4:5], v[18:19], v[36:37]
	v_fma_f64 v[18:19], v[2:3], v[18:19], -v[20:21]
	v_fma_f64 v[8:9], v[8:9], v[22:23], v[16:17]
	v_fma_f64 v[6:7], v[6:7], v[22:23], -v[24:25]
	v_add_f64 v[14:15], v[10:11], v[14:15]
	v_add_f64 v[20:21], v[12:13], v[40:41]
	ds_load_b128 v[2:5], v1 offset:1856
	ds_load_b128 v[10:13], v1 offset:1872
	s_waitcnt vmcnt(1) lgkmcnt(1)
	v_mul_f64 v[36:37], v[2:3], v[28:29]
	v_mul_f64 v[28:29], v[4:5], v[28:29]
	v_add_f64 v[14:15], v[14:15], v[18:19]
	v_add_f64 v[16:17], v[20:21], v[34:35]
	s_waitcnt vmcnt(0) lgkmcnt(0)
	v_mul_f64 v[18:19], v[10:11], v[32:33]
	v_mul_f64 v[20:21], v[12:13], v[32:33]
	v_fma_f64 v[4:5], v[4:5], v[26:27], v[36:37]
	v_fma_f64 v[1:2], v[2:3], v[26:27], -v[28:29]
	v_add_f64 v[6:7], v[14:15], v[6:7]
	v_add_f64 v[8:9], v[16:17], v[8:9]
	v_fma_f64 v[12:13], v[12:13], v[30:31], v[18:19]
	v_fma_f64 v[10:11], v[10:11], v[30:31], -v[20:21]
	s_delay_alu instid0(VALU_DEP_4) | instskip(NEXT) | instid1(VALU_DEP_4)
	v_add_f64 v[1:2], v[6:7], v[1:2]
	v_add_f64 v[3:4], v[8:9], v[4:5]
	s_delay_alu instid0(VALU_DEP_2) | instskip(NEXT) | instid1(VALU_DEP_2)
	v_add_f64 v[1:2], v[1:2], v[10:11]
	v_add_f64 v[3:4], v[3:4], v[12:13]
	s_delay_alu instid0(VALU_DEP_2) | instskip(NEXT) | instid1(VALU_DEP_2)
	v_add_f64 v[1:2], v[50:51], -v[1:2]
	v_add_f64 v[3:4], v[52:53], -v[3:4]
	scratch_store_b128 off, v[1:4], off offset:640
	v_cmpx_lt_u32_e32 39, v164
	s_cbranch_execz .LBB58_289
; %bb.288:
	scratch_load_b128 v[1:4], v193, off
	v_mov_b32_e32 v5, 0
	s_delay_alu instid0(VALU_DEP_1)
	v_mov_b32_e32 v6, v5
	v_mov_b32_e32 v7, v5
	;; [unrolled: 1-line block ×3, first 2 shown]
	scratch_store_b128 off, v[5:8], off offset:624
	s_waitcnt vmcnt(0)
	ds_store_b128 v223, v[1:4]
.LBB58_289:
	s_or_b32 exec_lo, exec_lo, s2
	s_waitcnt lgkmcnt(0)
	s_waitcnt_vscnt null, 0x0
	s_barrier
	buffer_gl0_inv
	s_clause 0x7
	scratch_load_b128 v[2:5], off, off offset:640
	scratch_load_b128 v[6:9], off, off offset:656
	;; [unrolled: 1-line block ×8, first 2 shown]
	v_mov_b32_e32 v1, 0
	s_mov_b32 s2, exec_lo
	ds_load_b128 v[34:37], v1 offset:1584
	s_clause 0x1
	scratch_load_b128 v[38:41], off, off offset:768
	scratch_load_b128 v[42:45], off, off offset:624
	ds_load_b128 v[50:53], v1 offset:1600
	scratch_load_b128 v[54:57], off, off offset:784
	s_waitcnt vmcnt(10) lgkmcnt(1)
	v_mul_f64 v[58:59], v[36:37], v[4:5]
	v_mul_f64 v[4:5], v[34:35], v[4:5]
	s_delay_alu instid0(VALU_DEP_2) | instskip(NEXT) | instid1(VALU_DEP_2)
	v_fma_f64 v[76:77], v[34:35], v[2:3], -v[58:59]
	v_fma_f64 v[80:81], v[36:37], v[2:3], v[4:5]
	scratch_load_b128 v[34:37], off, off offset:800
	ds_load_b128 v[2:5], v1 offset:1616
	s_waitcnt vmcnt(10) lgkmcnt(1)
	v_mul_f64 v[62:63], v[50:51], v[8:9]
	v_mul_f64 v[8:9], v[52:53], v[8:9]
	ds_load_b128 v[58:61], v1 offset:1632
	s_waitcnt vmcnt(9) lgkmcnt(1)
	v_mul_f64 v[165:166], v[2:3], v[12:13]
	v_mul_f64 v[12:13], v[4:5], v[12:13]
	v_fma_f64 v[52:53], v[52:53], v[6:7], v[62:63]
	v_fma_f64 v[50:51], v[50:51], v[6:7], -v[8:9]
	v_add_f64 v[62:63], v[76:77], 0
	v_add_f64 v[76:77], v[80:81], 0
	scratch_load_b128 v[6:9], off, off offset:816
	v_fma_f64 v[165:166], v[4:5], v[10:11], v[165:166]
	v_fma_f64 v[167:168], v[2:3], v[10:11], -v[12:13]
	scratch_load_b128 v[10:13], off, off offset:832
	ds_load_b128 v[2:5], v1 offset:1648
	s_waitcnt vmcnt(10) lgkmcnt(1)
	v_mul_f64 v[80:81], v[58:59], v[16:17]
	v_mul_f64 v[16:17], v[60:61], v[16:17]
	v_add_f64 v[62:63], v[62:63], v[50:51]
	v_add_f64 v[76:77], v[76:77], v[52:53]
	s_waitcnt vmcnt(9) lgkmcnt(0)
	v_mul_f64 v[169:170], v[2:3], v[20:21]
	v_mul_f64 v[20:21], v[4:5], v[20:21]
	ds_load_b128 v[50:53], v1 offset:1664
	v_fma_f64 v[60:61], v[60:61], v[14:15], v[80:81]
	v_fma_f64 v[58:59], v[58:59], v[14:15], -v[16:17]
	scratch_load_b128 v[14:17], off, off offset:848
	v_add_f64 v[62:63], v[62:63], v[167:168]
	v_add_f64 v[76:77], v[76:77], v[165:166]
	v_fma_f64 v[165:166], v[4:5], v[18:19], v[169:170]
	v_fma_f64 v[167:168], v[2:3], v[18:19], -v[20:21]
	scratch_load_b128 v[18:21], off, off offset:864
	ds_load_b128 v[2:5], v1 offset:1680
	s_waitcnt vmcnt(10) lgkmcnt(1)
	v_mul_f64 v[80:81], v[50:51], v[24:25]
	v_mul_f64 v[24:25], v[52:53], v[24:25]
	s_waitcnt vmcnt(9) lgkmcnt(0)
	v_mul_f64 v[169:170], v[2:3], v[28:29]
	v_mul_f64 v[28:29], v[4:5], v[28:29]
	v_add_f64 v[62:63], v[62:63], v[58:59]
	v_add_f64 v[76:77], v[76:77], v[60:61]
	ds_load_b128 v[58:61], v1 offset:1696
	v_fma_f64 v[52:53], v[52:53], v[22:23], v[80:81]
	v_fma_f64 v[50:51], v[50:51], v[22:23], -v[24:25]
	scratch_load_b128 v[22:25], off, off offset:880
	v_add_f64 v[62:63], v[62:63], v[167:168]
	v_add_f64 v[76:77], v[76:77], v[165:166]
	v_fma_f64 v[165:166], v[4:5], v[26:27], v[169:170]
	v_fma_f64 v[167:168], v[2:3], v[26:27], -v[28:29]
	scratch_load_b128 v[26:29], off, off offset:896
	ds_load_b128 v[2:5], v1 offset:1712
	s_waitcnt vmcnt(10) lgkmcnt(1)
	v_mul_f64 v[80:81], v[58:59], v[32:33]
	v_mul_f64 v[32:33], v[60:61], v[32:33]
	s_waitcnt vmcnt(9) lgkmcnt(0)
	v_mul_f64 v[169:170], v[2:3], v[40:41]
	v_mul_f64 v[40:41], v[4:5], v[40:41]
	v_add_f64 v[62:63], v[62:63], v[50:51]
	v_add_f64 v[76:77], v[76:77], v[52:53]
	ds_load_b128 v[50:53], v1 offset:1728
	v_fma_f64 v[60:61], v[60:61], v[30:31], v[80:81]
	v_fma_f64 v[58:59], v[58:59], v[30:31], -v[32:33]
	scratch_load_b128 v[30:33], off, off offset:912
	v_add_f64 v[62:63], v[62:63], v[167:168]
	v_add_f64 v[76:77], v[76:77], v[165:166]
	v_fma_f64 v[167:168], v[4:5], v[38:39], v[169:170]
	v_fma_f64 v[169:170], v[2:3], v[38:39], -v[40:41]
	scratch_load_b128 v[38:41], off, off offset:928
	ds_load_b128 v[2:5], v1 offset:1744
	s_waitcnt vmcnt(9) lgkmcnt(1)
	v_mul_f64 v[80:81], v[50:51], v[56:57]
	v_mul_f64 v[165:166], v[52:53], v[56:57]
	v_add_f64 v[62:63], v[62:63], v[58:59]
	v_add_f64 v[60:61], v[76:77], v[60:61]
	ds_load_b128 v[56:59], v1 offset:1760
	v_fma_f64 v[52:53], v[52:53], v[54:55], v[80:81]
	v_fma_f64 v[50:51], v[50:51], v[54:55], -v[165:166]
	s_waitcnt vmcnt(8) lgkmcnt(1)
	v_mul_f64 v[76:77], v[2:3], v[36:37]
	v_mul_f64 v[36:37], v[4:5], v[36:37]
	v_add_f64 v[54:55], v[62:63], v[169:170]
	v_add_f64 v[60:61], v[60:61], v[167:168]
	s_delay_alu instid0(VALU_DEP_4) | instskip(NEXT) | instid1(VALU_DEP_4)
	v_fma_f64 v[76:77], v[4:5], v[34:35], v[76:77]
	v_fma_f64 v[80:81], v[2:3], v[34:35], -v[36:37]
	ds_load_b128 v[2:5], v1 offset:1776
	ds_load_b128 v[34:37], v1 offset:1792
	s_waitcnt vmcnt(7) lgkmcnt(2)
	v_mul_f64 v[62:63], v[56:57], v[8:9]
	v_mul_f64 v[8:9], v[58:59], v[8:9]
	v_add_f64 v[50:51], v[54:55], v[50:51]
	v_add_f64 v[52:53], v[60:61], v[52:53]
	s_waitcnt vmcnt(6) lgkmcnt(1)
	v_mul_f64 v[54:55], v[2:3], v[12:13]
	v_mul_f64 v[12:13], v[4:5], v[12:13]
	v_fma_f64 v[58:59], v[58:59], v[6:7], v[62:63]
	v_fma_f64 v[6:7], v[56:57], v[6:7], -v[8:9]
	v_add_f64 v[8:9], v[50:51], v[80:81]
	v_add_f64 v[50:51], v[52:53], v[76:77]
	s_waitcnt vmcnt(5) lgkmcnt(0)
	v_mul_f64 v[52:53], v[34:35], v[16:17]
	v_mul_f64 v[16:17], v[36:37], v[16:17]
	v_fma_f64 v[54:55], v[4:5], v[10:11], v[54:55]
	v_fma_f64 v[10:11], v[2:3], v[10:11], -v[12:13]
	v_add_f64 v[12:13], v[8:9], v[6:7]
	v_add_f64 v[50:51], v[50:51], v[58:59]
	ds_load_b128 v[2:5], v1 offset:1808
	ds_load_b128 v[6:9], v1 offset:1824
	v_fma_f64 v[36:37], v[36:37], v[14:15], v[52:53]
	v_fma_f64 v[14:15], v[34:35], v[14:15], -v[16:17]
	s_waitcnt vmcnt(4) lgkmcnt(1)
	v_mul_f64 v[56:57], v[2:3], v[20:21]
	v_mul_f64 v[20:21], v[4:5], v[20:21]
	s_waitcnt vmcnt(3) lgkmcnt(0)
	v_mul_f64 v[16:17], v[6:7], v[24:25]
	v_mul_f64 v[24:25], v[8:9], v[24:25]
	v_add_f64 v[10:11], v[12:13], v[10:11]
	v_add_f64 v[12:13], v[50:51], v[54:55]
	v_fma_f64 v[34:35], v[4:5], v[18:19], v[56:57]
	v_fma_f64 v[18:19], v[2:3], v[18:19], -v[20:21]
	v_fma_f64 v[8:9], v[8:9], v[22:23], v[16:17]
	v_fma_f64 v[6:7], v[6:7], v[22:23], -v[24:25]
	v_add_f64 v[14:15], v[10:11], v[14:15]
	v_add_f64 v[20:21], v[12:13], v[36:37]
	ds_load_b128 v[2:5], v1 offset:1840
	ds_load_b128 v[10:13], v1 offset:1856
	s_waitcnt vmcnt(2) lgkmcnt(1)
	v_mul_f64 v[36:37], v[2:3], v[28:29]
	v_mul_f64 v[28:29], v[4:5], v[28:29]
	v_add_f64 v[14:15], v[14:15], v[18:19]
	v_add_f64 v[16:17], v[20:21], v[34:35]
	s_waitcnt vmcnt(1) lgkmcnt(0)
	v_mul_f64 v[18:19], v[10:11], v[32:33]
	v_mul_f64 v[20:21], v[12:13], v[32:33]
	v_fma_f64 v[22:23], v[4:5], v[26:27], v[36:37]
	v_fma_f64 v[24:25], v[2:3], v[26:27], -v[28:29]
	ds_load_b128 v[2:5], v1 offset:1872
	v_add_f64 v[6:7], v[14:15], v[6:7]
	v_add_f64 v[8:9], v[16:17], v[8:9]
	v_fma_f64 v[12:13], v[12:13], v[30:31], v[18:19]
	v_fma_f64 v[10:11], v[10:11], v[30:31], -v[20:21]
	s_waitcnt vmcnt(0) lgkmcnt(0)
	v_mul_f64 v[14:15], v[2:3], v[40:41]
	v_mul_f64 v[16:17], v[4:5], v[40:41]
	v_add_f64 v[6:7], v[6:7], v[24:25]
	v_add_f64 v[8:9], v[8:9], v[22:23]
	s_delay_alu instid0(VALU_DEP_4) | instskip(NEXT) | instid1(VALU_DEP_4)
	v_fma_f64 v[4:5], v[4:5], v[38:39], v[14:15]
	v_fma_f64 v[2:3], v[2:3], v[38:39], -v[16:17]
	s_delay_alu instid0(VALU_DEP_4) | instskip(NEXT) | instid1(VALU_DEP_4)
	v_add_f64 v[6:7], v[6:7], v[10:11]
	v_add_f64 v[8:9], v[8:9], v[12:13]
	s_delay_alu instid0(VALU_DEP_2) | instskip(NEXT) | instid1(VALU_DEP_2)
	v_add_f64 v[2:3], v[6:7], v[2:3]
	v_add_f64 v[4:5], v[8:9], v[4:5]
	s_delay_alu instid0(VALU_DEP_2) | instskip(NEXT) | instid1(VALU_DEP_2)
	v_add_f64 v[2:3], v[42:43], -v[2:3]
	v_add_f64 v[4:5], v[44:45], -v[4:5]
	scratch_store_b128 off, v[2:5], off offset:624
	v_cmpx_lt_u32_e32 38, v164
	s_cbranch_execz .LBB58_291
; %bb.290:
	scratch_load_b128 v[5:8], v196, off
	v_mov_b32_e32 v2, v1
	v_mov_b32_e32 v3, v1
	;; [unrolled: 1-line block ×3, first 2 shown]
	scratch_store_b128 off, v[1:4], off offset:608
	s_waitcnt vmcnt(0)
	ds_store_b128 v223, v[5:8]
.LBB58_291:
	s_or_b32 exec_lo, exec_lo, s2
	s_waitcnt lgkmcnt(0)
	s_waitcnt_vscnt null, 0x0
	s_barrier
	buffer_gl0_inv
	s_clause 0x8
	scratch_load_b128 v[2:5], off, off offset:624
	scratch_load_b128 v[6:9], off, off offset:640
	;; [unrolled: 1-line block ×9, first 2 shown]
	ds_load_b128 v[38:41], v1 offset:1568
	ds_load_b128 v[42:45], v1 offset:1584
	s_clause 0x1
	scratch_load_b128 v[50:53], off, off offset:608
	scratch_load_b128 v[54:57], off, off offset:768
	s_mov_b32 s2, exec_lo
	s_waitcnt vmcnt(10) lgkmcnt(1)
	v_mul_f64 v[58:59], v[40:41], v[4:5]
	v_mul_f64 v[4:5], v[38:39], v[4:5]
	s_waitcnt vmcnt(9) lgkmcnt(0)
	v_mul_f64 v[62:63], v[42:43], v[8:9]
	v_mul_f64 v[8:9], v[44:45], v[8:9]
	s_delay_alu instid0(VALU_DEP_4) | instskip(NEXT) | instid1(VALU_DEP_4)
	v_fma_f64 v[76:77], v[38:39], v[2:3], -v[58:59]
	v_fma_f64 v[80:81], v[40:41], v[2:3], v[4:5]
	ds_load_b128 v[2:5], v1 offset:1600
	ds_load_b128 v[58:61], v1 offset:1616
	scratch_load_b128 v[38:41], off, off offset:784
	v_fma_f64 v[44:45], v[44:45], v[6:7], v[62:63]
	v_fma_f64 v[42:43], v[42:43], v[6:7], -v[8:9]
	scratch_load_b128 v[6:9], off, off offset:800
	s_waitcnt vmcnt(10) lgkmcnt(1)
	v_mul_f64 v[165:166], v[2:3], v[12:13]
	v_mul_f64 v[12:13], v[4:5], v[12:13]
	v_add_f64 v[62:63], v[76:77], 0
	v_add_f64 v[76:77], v[80:81], 0
	s_waitcnt vmcnt(9) lgkmcnt(0)
	v_mul_f64 v[80:81], v[58:59], v[16:17]
	v_mul_f64 v[16:17], v[60:61], v[16:17]
	v_fma_f64 v[165:166], v[4:5], v[10:11], v[165:166]
	v_fma_f64 v[167:168], v[2:3], v[10:11], -v[12:13]
	ds_load_b128 v[2:5], v1 offset:1632
	scratch_load_b128 v[10:13], off, off offset:816
	v_add_f64 v[62:63], v[62:63], v[42:43]
	v_add_f64 v[76:77], v[76:77], v[44:45]
	ds_load_b128 v[42:45], v1 offset:1648
	v_fma_f64 v[60:61], v[60:61], v[14:15], v[80:81]
	v_fma_f64 v[58:59], v[58:59], v[14:15], -v[16:17]
	scratch_load_b128 v[14:17], off, off offset:832
	s_waitcnt vmcnt(10) lgkmcnt(1)
	v_mul_f64 v[169:170], v[2:3], v[20:21]
	v_mul_f64 v[20:21], v[4:5], v[20:21]
	s_waitcnt vmcnt(9) lgkmcnt(0)
	v_mul_f64 v[80:81], v[42:43], v[24:25]
	v_mul_f64 v[24:25], v[44:45], v[24:25]
	v_add_f64 v[62:63], v[62:63], v[167:168]
	v_add_f64 v[76:77], v[76:77], v[165:166]
	v_fma_f64 v[165:166], v[4:5], v[18:19], v[169:170]
	v_fma_f64 v[167:168], v[2:3], v[18:19], -v[20:21]
	ds_load_b128 v[2:5], v1 offset:1664
	scratch_load_b128 v[18:21], off, off offset:848
	v_fma_f64 v[44:45], v[44:45], v[22:23], v[80:81]
	v_fma_f64 v[42:43], v[42:43], v[22:23], -v[24:25]
	scratch_load_b128 v[22:25], off, off offset:864
	v_add_f64 v[62:63], v[62:63], v[58:59]
	v_add_f64 v[76:77], v[76:77], v[60:61]
	ds_load_b128 v[58:61], v1 offset:1680
	s_waitcnt vmcnt(10) lgkmcnt(1)
	v_mul_f64 v[169:170], v[2:3], v[28:29]
	v_mul_f64 v[28:29], v[4:5], v[28:29]
	s_waitcnt vmcnt(9) lgkmcnt(0)
	v_mul_f64 v[80:81], v[58:59], v[32:33]
	v_mul_f64 v[32:33], v[60:61], v[32:33]
	v_add_f64 v[62:63], v[62:63], v[167:168]
	v_add_f64 v[76:77], v[76:77], v[165:166]
	v_fma_f64 v[165:166], v[4:5], v[26:27], v[169:170]
	v_fma_f64 v[167:168], v[2:3], v[26:27], -v[28:29]
	ds_load_b128 v[2:5], v1 offset:1696
	scratch_load_b128 v[26:29], off, off offset:880
	v_fma_f64 v[60:61], v[60:61], v[30:31], v[80:81]
	v_fma_f64 v[58:59], v[58:59], v[30:31], -v[32:33]
	scratch_load_b128 v[30:33], off, off offset:896
	v_add_f64 v[62:63], v[62:63], v[42:43]
	v_add_f64 v[76:77], v[76:77], v[44:45]
	ds_load_b128 v[42:45], v1 offset:1712
	s_waitcnt vmcnt(10) lgkmcnt(1)
	v_mul_f64 v[169:170], v[2:3], v[36:37]
	v_mul_f64 v[36:37], v[4:5], v[36:37]
	s_waitcnt vmcnt(8) lgkmcnt(0)
	v_mul_f64 v[80:81], v[42:43], v[56:57]
	v_add_f64 v[62:63], v[62:63], v[167:168]
	v_add_f64 v[76:77], v[76:77], v[165:166]
	v_mul_f64 v[165:166], v[44:45], v[56:57]
	v_fma_f64 v[167:168], v[4:5], v[34:35], v[169:170]
	v_fma_f64 v[169:170], v[2:3], v[34:35], -v[36:37]
	ds_load_b128 v[2:5], v1 offset:1728
	scratch_load_b128 v[34:37], off, off offset:912
	v_fma_f64 v[44:45], v[44:45], v[54:55], v[80:81]
	v_add_f64 v[62:63], v[62:63], v[58:59]
	v_add_f64 v[60:61], v[76:77], v[60:61]
	ds_load_b128 v[56:59], v1 offset:1744
	v_fma_f64 v[54:55], v[42:43], v[54:55], -v[165:166]
	s_waitcnt vmcnt(8) lgkmcnt(1)
	v_mul_f64 v[76:77], v[2:3], v[40:41]
	v_mul_f64 v[171:172], v[4:5], v[40:41]
	scratch_load_b128 v[40:43], off, off offset:928
	s_waitcnt vmcnt(8) lgkmcnt(0)
	v_mul_f64 v[80:81], v[56:57], v[8:9]
	v_mul_f64 v[8:9], v[58:59], v[8:9]
	v_add_f64 v[62:63], v[62:63], v[169:170]
	v_add_f64 v[60:61], v[60:61], v[167:168]
	v_fma_f64 v[76:77], v[4:5], v[38:39], v[76:77]
	v_fma_f64 v[38:39], v[2:3], v[38:39], -v[171:172]
	v_fma_f64 v[58:59], v[58:59], v[6:7], v[80:81]
	v_fma_f64 v[6:7], v[56:57], v[6:7], -v[8:9]
	v_add_f64 v[54:55], v[62:63], v[54:55]
	v_add_f64 v[44:45], v[60:61], v[44:45]
	ds_load_b128 v[2:5], v1 offset:1760
	ds_load_b128 v[60:63], v1 offset:1776
	s_waitcnt vmcnt(7) lgkmcnt(1)
	v_mul_f64 v[165:166], v[2:3], v[12:13]
	v_mul_f64 v[12:13], v[4:5], v[12:13]
	v_add_f64 v[8:9], v[54:55], v[38:39]
	v_add_f64 v[38:39], v[44:45], v[76:77]
	s_waitcnt vmcnt(6) lgkmcnt(0)
	v_mul_f64 v[44:45], v[60:61], v[16:17]
	v_mul_f64 v[16:17], v[62:63], v[16:17]
	v_fma_f64 v[54:55], v[4:5], v[10:11], v[165:166]
	v_fma_f64 v[10:11], v[2:3], v[10:11], -v[12:13]
	v_add_f64 v[12:13], v[8:9], v[6:7]
	v_add_f64 v[38:39], v[38:39], v[58:59]
	ds_load_b128 v[2:5], v1 offset:1792
	ds_load_b128 v[6:9], v1 offset:1808
	v_fma_f64 v[44:45], v[62:63], v[14:15], v[44:45]
	v_fma_f64 v[14:15], v[60:61], v[14:15], -v[16:17]
	s_waitcnt vmcnt(5) lgkmcnt(1)
	v_mul_f64 v[56:57], v[2:3], v[20:21]
	v_mul_f64 v[20:21], v[4:5], v[20:21]
	s_waitcnt vmcnt(4) lgkmcnt(0)
	v_mul_f64 v[16:17], v[6:7], v[24:25]
	v_mul_f64 v[24:25], v[8:9], v[24:25]
	v_add_f64 v[10:11], v[12:13], v[10:11]
	v_add_f64 v[12:13], v[38:39], v[54:55]
	v_fma_f64 v[38:39], v[4:5], v[18:19], v[56:57]
	v_fma_f64 v[18:19], v[2:3], v[18:19], -v[20:21]
	v_fma_f64 v[8:9], v[8:9], v[22:23], v[16:17]
	v_fma_f64 v[6:7], v[6:7], v[22:23], -v[24:25]
	v_add_f64 v[14:15], v[10:11], v[14:15]
	v_add_f64 v[20:21], v[12:13], v[44:45]
	ds_load_b128 v[2:5], v1 offset:1824
	ds_load_b128 v[10:13], v1 offset:1840
	s_waitcnt vmcnt(3) lgkmcnt(1)
	v_mul_f64 v[44:45], v[2:3], v[28:29]
	v_mul_f64 v[28:29], v[4:5], v[28:29]
	v_add_f64 v[14:15], v[14:15], v[18:19]
	v_add_f64 v[16:17], v[20:21], v[38:39]
	s_waitcnt vmcnt(2) lgkmcnt(0)
	v_mul_f64 v[18:19], v[10:11], v[32:33]
	v_mul_f64 v[20:21], v[12:13], v[32:33]
	v_fma_f64 v[22:23], v[4:5], v[26:27], v[44:45]
	v_fma_f64 v[24:25], v[2:3], v[26:27], -v[28:29]
	v_add_f64 v[14:15], v[14:15], v[6:7]
	v_add_f64 v[16:17], v[16:17], v[8:9]
	ds_load_b128 v[2:5], v1 offset:1856
	ds_load_b128 v[6:9], v1 offset:1872
	v_fma_f64 v[12:13], v[12:13], v[30:31], v[18:19]
	v_fma_f64 v[10:11], v[10:11], v[30:31], -v[20:21]
	s_waitcnt vmcnt(1) lgkmcnt(1)
	v_mul_f64 v[26:27], v[2:3], v[36:37]
	v_mul_f64 v[28:29], v[4:5], v[36:37]
	s_waitcnt vmcnt(0) lgkmcnt(0)
	v_mul_f64 v[18:19], v[6:7], v[42:43]
	v_add_f64 v[14:15], v[14:15], v[24:25]
	v_add_f64 v[16:17], v[16:17], v[22:23]
	v_mul_f64 v[20:21], v[8:9], v[42:43]
	v_fma_f64 v[4:5], v[4:5], v[34:35], v[26:27]
	v_fma_f64 v[1:2], v[2:3], v[34:35], -v[28:29]
	v_fma_f64 v[8:9], v[8:9], v[40:41], v[18:19]
	v_add_f64 v[10:11], v[14:15], v[10:11]
	v_add_f64 v[12:13], v[16:17], v[12:13]
	v_fma_f64 v[6:7], v[6:7], v[40:41], -v[20:21]
	s_delay_alu instid0(VALU_DEP_3) | instskip(NEXT) | instid1(VALU_DEP_3)
	v_add_f64 v[1:2], v[10:11], v[1:2]
	v_add_f64 v[3:4], v[12:13], v[4:5]
	s_delay_alu instid0(VALU_DEP_2) | instskip(NEXT) | instid1(VALU_DEP_2)
	v_add_f64 v[1:2], v[1:2], v[6:7]
	v_add_f64 v[3:4], v[3:4], v[8:9]
	s_delay_alu instid0(VALU_DEP_2) | instskip(NEXT) | instid1(VALU_DEP_2)
	v_add_f64 v[1:2], v[50:51], -v[1:2]
	v_add_f64 v[3:4], v[52:53], -v[3:4]
	scratch_store_b128 off, v[1:4], off offset:608
	v_cmpx_lt_u32_e32 37, v164
	s_cbranch_execz .LBB58_293
; %bb.292:
	scratch_load_b128 v[1:4], v199, off
	v_mov_b32_e32 v5, 0
	s_delay_alu instid0(VALU_DEP_1)
	v_mov_b32_e32 v6, v5
	v_mov_b32_e32 v7, v5
	;; [unrolled: 1-line block ×3, first 2 shown]
	scratch_store_b128 off, v[5:8], off offset:592
	s_waitcnt vmcnt(0)
	ds_store_b128 v223, v[1:4]
.LBB58_293:
	s_or_b32 exec_lo, exec_lo, s2
	s_waitcnt lgkmcnt(0)
	s_waitcnt_vscnt null, 0x0
	s_barrier
	buffer_gl0_inv
	s_clause 0x7
	scratch_load_b128 v[2:5], off, off offset:608
	scratch_load_b128 v[6:9], off, off offset:624
	;; [unrolled: 1-line block ×8, first 2 shown]
	v_mov_b32_e32 v1, 0
	s_mov_b32 s2, exec_lo
	ds_load_b128 v[34:37], v1 offset:1552
	s_clause 0x1
	scratch_load_b128 v[38:41], off, off offset:736
	scratch_load_b128 v[42:45], off, off offset:592
	ds_load_b128 v[50:53], v1 offset:1568
	scratch_load_b128 v[54:57], off, off offset:752
	s_waitcnt vmcnt(10) lgkmcnt(1)
	v_mul_f64 v[58:59], v[36:37], v[4:5]
	v_mul_f64 v[4:5], v[34:35], v[4:5]
	s_delay_alu instid0(VALU_DEP_2) | instskip(NEXT) | instid1(VALU_DEP_2)
	v_fma_f64 v[76:77], v[34:35], v[2:3], -v[58:59]
	v_fma_f64 v[80:81], v[36:37], v[2:3], v[4:5]
	scratch_load_b128 v[34:37], off, off offset:768
	ds_load_b128 v[2:5], v1 offset:1584
	s_waitcnt vmcnt(10) lgkmcnt(1)
	v_mul_f64 v[62:63], v[50:51], v[8:9]
	v_mul_f64 v[8:9], v[52:53], v[8:9]
	ds_load_b128 v[58:61], v1 offset:1600
	s_waitcnt vmcnt(9) lgkmcnt(1)
	v_mul_f64 v[165:166], v[2:3], v[12:13]
	v_mul_f64 v[12:13], v[4:5], v[12:13]
	v_fma_f64 v[52:53], v[52:53], v[6:7], v[62:63]
	v_fma_f64 v[50:51], v[50:51], v[6:7], -v[8:9]
	v_add_f64 v[62:63], v[76:77], 0
	v_add_f64 v[76:77], v[80:81], 0
	scratch_load_b128 v[6:9], off, off offset:784
	v_fma_f64 v[165:166], v[4:5], v[10:11], v[165:166]
	v_fma_f64 v[167:168], v[2:3], v[10:11], -v[12:13]
	scratch_load_b128 v[10:13], off, off offset:800
	ds_load_b128 v[2:5], v1 offset:1616
	s_waitcnt vmcnt(10) lgkmcnt(1)
	v_mul_f64 v[80:81], v[58:59], v[16:17]
	v_mul_f64 v[16:17], v[60:61], v[16:17]
	v_add_f64 v[62:63], v[62:63], v[50:51]
	v_add_f64 v[76:77], v[76:77], v[52:53]
	s_waitcnt vmcnt(9) lgkmcnt(0)
	v_mul_f64 v[169:170], v[2:3], v[20:21]
	v_mul_f64 v[20:21], v[4:5], v[20:21]
	ds_load_b128 v[50:53], v1 offset:1632
	v_fma_f64 v[60:61], v[60:61], v[14:15], v[80:81]
	v_fma_f64 v[58:59], v[58:59], v[14:15], -v[16:17]
	scratch_load_b128 v[14:17], off, off offset:816
	v_add_f64 v[62:63], v[62:63], v[167:168]
	v_add_f64 v[76:77], v[76:77], v[165:166]
	v_fma_f64 v[165:166], v[4:5], v[18:19], v[169:170]
	v_fma_f64 v[167:168], v[2:3], v[18:19], -v[20:21]
	scratch_load_b128 v[18:21], off, off offset:832
	ds_load_b128 v[2:5], v1 offset:1648
	s_waitcnt vmcnt(10) lgkmcnt(1)
	v_mul_f64 v[80:81], v[50:51], v[24:25]
	v_mul_f64 v[24:25], v[52:53], v[24:25]
	s_waitcnt vmcnt(9) lgkmcnt(0)
	v_mul_f64 v[169:170], v[2:3], v[28:29]
	v_mul_f64 v[28:29], v[4:5], v[28:29]
	v_add_f64 v[62:63], v[62:63], v[58:59]
	v_add_f64 v[76:77], v[76:77], v[60:61]
	ds_load_b128 v[58:61], v1 offset:1664
	v_fma_f64 v[52:53], v[52:53], v[22:23], v[80:81]
	v_fma_f64 v[50:51], v[50:51], v[22:23], -v[24:25]
	scratch_load_b128 v[22:25], off, off offset:848
	v_add_f64 v[62:63], v[62:63], v[167:168]
	v_add_f64 v[76:77], v[76:77], v[165:166]
	v_fma_f64 v[165:166], v[4:5], v[26:27], v[169:170]
	v_fma_f64 v[167:168], v[2:3], v[26:27], -v[28:29]
	scratch_load_b128 v[26:29], off, off offset:864
	ds_load_b128 v[2:5], v1 offset:1680
	s_waitcnt vmcnt(10) lgkmcnt(1)
	v_mul_f64 v[80:81], v[58:59], v[32:33]
	v_mul_f64 v[32:33], v[60:61], v[32:33]
	s_waitcnt vmcnt(9) lgkmcnt(0)
	v_mul_f64 v[169:170], v[2:3], v[40:41]
	v_mul_f64 v[40:41], v[4:5], v[40:41]
	v_add_f64 v[62:63], v[62:63], v[50:51]
	v_add_f64 v[76:77], v[76:77], v[52:53]
	ds_load_b128 v[50:53], v1 offset:1696
	v_fma_f64 v[60:61], v[60:61], v[30:31], v[80:81]
	v_fma_f64 v[58:59], v[58:59], v[30:31], -v[32:33]
	scratch_load_b128 v[30:33], off, off offset:880
	v_add_f64 v[62:63], v[62:63], v[167:168]
	v_add_f64 v[76:77], v[76:77], v[165:166]
	v_fma_f64 v[167:168], v[4:5], v[38:39], v[169:170]
	v_fma_f64 v[169:170], v[2:3], v[38:39], -v[40:41]
	scratch_load_b128 v[38:41], off, off offset:896
	ds_load_b128 v[2:5], v1 offset:1712
	s_waitcnt vmcnt(9) lgkmcnt(1)
	v_mul_f64 v[80:81], v[50:51], v[56:57]
	v_mul_f64 v[165:166], v[52:53], v[56:57]
	v_add_f64 v[62:63], v[62:63], v[58:59]
	v_add_f64 v[60:61], v[76:77], v[60:61]
	ds_load_b128 v[56:59], v1 offset:1728
	v_fma_f64 v[80:81], v[52:53], v[54:55], v[80:81]
	v_fma_f64 v[54:55], v[50:51], v[54:55], -v[165:166]
	scratch_load_b128 v[50:53], off, off offset:912
	s_waitcnt vmcnt(9) lgkmcnt(1)
	v_mul_f64 v[76:77], v[2:3], v[36:37]
	v_mul_f64 v[36:37], v[4:5], v[36:37]
	v_add_f64 v[62:63], v[62:63], v[169:170]
	v_add_f64 v[60:61], v[60:61], v[167:168]
	s_delay_alu instid0(VALU_DEP_4) | instskip(NEXT) | instid1(VALU_DEP_4)
	v_fma_f64 v[76:77], v[4:5], v[34:35], v[76:77]
	v_fma_f64 v[167:168], v[2:3], v[34:35], -v[36:37]
	scratch_load_b128 v[34:37], off, off offset:928
	ds_load_b128 v[2:5], v1 offset:1744
	s_waitcnt vmcnt(9) lgkmcnt(1)
	v_mul_f64 v[165:166], v[56:57], v[8:9]
	v_mul_f64 v[8:9], v[58:59], v[8:9]
	s_waitcnt vmcnt(8) lgkmcnt(0)
	v_mul_f64 v[169:170], v[2:3], v[12:13]
	v_mul_f64 v[12:13], v[4:5], v[12:13]
	v_add_f64 v[54:55], v[62:63], v[54:55]
	v_add_f64 v[80:81], v[60:61], v[80:81]
	ds_load_b128 v[60:63], v1 offset:1760
	v_fma_f64 v[58:59], v[58:59], v[6:7], v[165:166]
	v_fma_f64 v[6:7], v[56:57], v[6:7], -v[8:9]
	v_add_f64 v[8:9], v[54:55], v[167:168]
	v_add_f64 v[54:55], v[80:81], v[76:77]
	s_waitcnt vmcnt(7) lgkmcnt(0)
	v_mul_f64 v[56:57], v[60:61], v[16:17]
	v_mul_f64 v[16:17], v[62:63], v[16:17]
	v_fma_f64 v[76:77], v[4:5], v[10:11], v[169:170]
	v_fma_f64 v[10:11], v[2:3], v[10:11], -v[12:13]
	v_add_f64 v[12:13], v[8:9], v[6:7]
	v_add_f64 v[54:55], v[54:55], v[58:59]
	ds_load_b128 v[2:5], v1 offset:1776
	ds_load_b128 v[6:9], v1 offset:1792
	v_fma_f64 v[56:57], v[62:63], v[14:15], v[56:57]
	v_fma_f64 v[14:15], v[60:61], v[14:15], -v[16:17]
	s_waitcnt vmcnt(6) lgkmcnt(1)
	v_mul_f64 v[58:59], v[2:3], v[20:21]
	v_mul_f64 v[20:21], v[4:5], v[20:21]
	s_waitcnt vmcnt(5) lgkmcnt(0)
	v_mul_f64 v[16:17], v[6:7], v[24:25]
	v_mul_f64 v[24:25], v[8:9], v[24:25]
	v_add_f64 v[10:11], v[12:13], v[10:11]
	v_add_f64 v[12:13], v[54:55], v[76:77]
	v_fma_f64 v[54:55], v[4:5], v[18:19], v[58:59]
	v_fma_f64 v[18:19], v[2:3], v[18:19], -v[20:21]
	v_fma_f64 v[8:9], v[8:9], v[22:23], v[16:17]
	v_fma_f64 v[6:7], v[6:7], v[22:23], -v[24:25]
	v_add_f64 v[14:15], v[10:11], v[14:15]
	v_add_f64 v[20:21], v[12:13], v[56:57]
	ds_load_b128 v[2:5], v1 offset:1808
	ds_load_b128 v[10:13], v1 offset:1824
	s_waitcnt vmcnt(4) lgkmcnt(1)
	v_mul_f64 v[56:57], v[2:3], v[28:29]
	v_mul_f64 v[28:29], v[4:5], v[28:29]
	v_add_f64 v[14:15], v[14:15], v[18:19]
	v_add_f64 v[16:17], v[20:21], v[54:55]
	s_waitcnt vmcnt(3) lgkmcnt(0)
	v_mul_f64 v[18:19], v[10:11], v[32:33]
	v_mul_f64 v[20:21], v[12:13], v[32:33]
	v_fma_f64 v[22:23], v[4:5], v[26:27], v[56:57]
	v_fma_f64 v[24:25], v[2:3], v[26:27], -v[28:29]
	v_add_f64 v[14:15], v[14:15], v[6:7]
	v_add_f64 v[16:17], v[16:17], v[8:9]
	ds_load_b128 v[2:5], v1 offset:1840
	ds_load_b128 v[6:9], v1 offset:1856
	v_fma_f64 v[12:13], v[12:13], v[30:31], v[18:19]
	v_fma_f64 v[10:11], v[10:11], v[30:31], -v[20:21]
	s_waitcnt vmcnt(2) lgkmcnt(1)
	v_mul_f64 v[26:27], v[2:3], v[40:41]
	v_mul_f64 v[28:29], v[4:5], v[40:41]
	s_waitcnt vmcnt(1) lgkmcnt(0)
	v_mul_f64 v[18:19], v[6:7], v[52:53]
	v_mul_f64 v[20:21], v[8:9], v[52:53]
	v_add_f64 v[14:15], v[14:15], v[24:25]
	v_add_f64 v[16:17], v[16:17], v[22:23]
	v_fma_f64 v[22:23], v[4:5], v[38:39], v[26:27]
	v_fma_f64 v[24:25], v[2:3], v[38:39], -v[28:29]
	ds_load_b128 v[2:5], v1 offset:1872
	v_fma_f64 v[8:9], v[8:9], v[50:51], v[18:19]
	v_fma_f64 v[6:7], v[6:7], v[50:51], -v[20:21]
	v_add_f64 v[10:11], v[14:15], v[10:11]
	v_add_f64 v[12:13], v[16:17], v[12:13]
	s_waitcnt vmcnt(0) lgkmcnt(0)
	v_mul_f64 v[14:15], v[2:3], v[36:37]
	v_mul_f64 v[16:17], v[4:5], v[36:37]
	s_delay_alu instid0(VALU_DEP_4) | instskip(NEXT) | instid1(VALU_DEP_4)
	v_add_f64 v[10:11], v[10:11], v[24:25]
	v_add_f64 v[12:13], v[12:13], v[22:23]
	s_delay_alu instid0(VALU_DEP_4) | instskip(NEXT) | instid1(VALU_DEP_4)
	v_fma_f64 v[4:5], v[4:5], v[34:35], v[14:15]
	v_fma_f64 v[2:3], v[2:3], v[34:35], -v[16:17]
	s_delay_alu instid0(VALU_DEP_4) | instskip(NEXT) | instid1(VALU_DEP_4)
	v_add_f64 v[6:7], v[10:11], v[6:7]
	v_add_f64 v[8:9], v[12:13], v[8:9]
	s_delay_alu instid0(VALU_DEP_2) | instskip(NEXT) | instid1(VALU_DEP_2)
	v_add_f64 v[2:3], v[6:7], v[2:3]
	v_add_f64 v[4:5], v[8:9], v[4:5]
	s_delay_alu instid0(VALU_DEP_2) | instskip(NEXT) | instid1(VALU_DEP_2)
	v_add_f64 v[2:3], v[42:43], -v[2:3]
	v_add_f64 v[4:5], v[44:45], -v[4:5]
	scratch_store_b128 off, v[2:5], off offset:592
	v_cmpx_lt_u32_e32 36, v164
	s_cbranch_execz .LBB58_295
; %bb.294:
	scratch_load_b128 v[5:8], v202, off
	v_mov_b32_e32 v2, v1
	v_mov_b32_e32 v3, v1
	;; [unrolled: 1-line block ×3, first 2 shown]
	scratch_store_b128 off, v[1:4], off offset:576
	s_waitcnt vmcnt(0)
	ds_store_b128 v223, v[5:8]
.LBB58_295:
	s_or_b32 exec_lo, exec_lo, s2
	s_waitcnt lgkmcnt(0)
	s_waitcnt_vscnt null, 0x0
	s_barrier
	buffer_gl0_inv
	s_clause 0x8
	scratch_load_b128 v[2:5], off, off offset:592
	scratch_load_b128 v[6:9], off, off offset:608
	;; [unrolled: 1-line block ×9, first 2 shown]
	ds_load_b128 v[38:41], v1 offset:1536
	ds_load_b128 v[42:45], v1 offset:1552
	s_clause 0x1
	scratch_load_b128 v[50:53], off, off offset:576
	scratch_load_b128 v[54:57], off, off offset:736
	s_mov_b32 s2, exec_lo
	ds_load_b128 v[203:206], v1 offset:1744
	s_waitcnt vmcnt(10) lgkmcnt(2)
	v_mul_f64 v[58:59], v[40:41], v[4:5]
	v_mul_f64 v[4:5], v[38:39], v[4:5]
	s_waitcnt vmcnt(9) lgkmcnt(1)
	v_mul_f64 v[62:63], v[42:43], v[8:9]
	v_mul_f64 v[8:9], v[44:45], v[8:9]
	s_delay_alu instid0(VALU_DEP_4) | instskip(NEXT) | instid1(VALU_DEP_4)
	v_fma_f64 v[76:77], v[38:39], v[2:3], -v[58:59]
	v_fma_f64 v[80:81], v[40:41], v[2:3], v[4:5]
	ds_load_b128 v[2:5], v1 offset:1568
	ds_load_b128 v[58:61], v1 offset:1584
	scratch_load_b128 v[38:41], off, off offset:752
	v_fma_f64 v[44:45], v[44:45], v[6:7], v[62:63]
	v_fma_f64 v[42:43], v[42:43], v[6:7], -v[8:9]
	scratch_load_b128 v[6:9], off, off offset:768
	s_waitcnt vmcnt(10) lgkmcnt(1)
	v_mul_f64 v[165:166], v[2:3], v[12:13]
	v_mul_f64 v[12:13], v[4:5], v[12:13]
	v_add_f64 v[62:63], v[76:77], 0
	v_add_f64 v[76:77], v[80:81], 0
	s_waitcnt vmcnt(9) lgkmcnt(0)
	v_mul_f64 v[80:81], v[58:59], v[16:17]
	v_mul_f64 v[16:17], v[60:61], v[16:17]
	v_fma_f64 v[165:166], v[4:5], v[10:11], v[165:166]
	v_fma_f64 v[167:168], v[2:3], v[10:11], -v[12:13]
	ds_load_b128 v[2:5], v1 offset:1600
	scratch_load_b128 v[10:13], off, off offset:784
	v_add_f64 v[62:63], v[62:63], v[42:43]
	v_add_f64 v[76:77], v[76:77], v[44:45]
	ds_load_b128 v[42:45], v1 offset:1616
	v_fma_f64 v[60:61], v[60:61], v[14:15], v[80:81]
	v_fma_f64 v[58:59], v[58:59], v[14:15], -v[16:17]
	scratch_load_b128 v[14:17], off, off offset:800
	s_waitcnt vmcnt(10) lgkmcnt(1)
	v_mul_f64 v[169:170], v[2:3], v[20:21]
	v_mul_f64 v[20:21], v[4:5], v[20:21]
	s_waitcnt vmcnt(9) lgkmcnt(0)
	v_mul_f64 v[80:81], v[42:43], v[24:25]
	v_mul_f64 v[24:25], v[44:45], v[24:25]
	v_add_f64 v[62:63], v[62:63], v[167:168]
	v_add_f64 v[76:77], v[76:77], v[165:166]
	v_fma_f64 v[165:166], v[4:5], v[18:19], v[169:170]
	v_fma_f64 v[167:168], v[2:3], v[18:19], -v[20:21]
	ds_load_b128 v[2:5], v1 offset:1632
	scratch_load_b128 v[18:21], off, off offset:816
	v_fma_f64 v[44:45], v[44:45], v[22:23], v[80:81]
	v_fma_f64 v[42:43], v[42:43], v[22:23], -v[24:25]
	scratch_load_b128 v[22:25], off, off offset:832
	v_add_f64 v[62:63], v[62:63], v[58:59]
	v_add_f64 v[76:77], v[76:77], v[60:61]
	ds_load_b128 v[58:61], v1 offset:1648
	s_waitcnt vmcnt(10) lgkmcnt(1)
	v_mul_f64 v[169:170], v[2:3], v[28:29]
	v_mul_f64 v[28:29], v[4:5], v[28:29]
	s_waitcnt vmcnt(9) lgkmcnt(0)
	v_mul_f64 v[80:81], v[58:59], v[32:33]
	v_mul_f64 v[32:33], v[60:61], v[32:33]
	v_add_f64 v[62:63], v[62:63], v[167:168]
	v_add_f64 v[76:77], v[76:77], v[165:166]
	v_fma_f64 v[165:166], v[4:5], v[26:27], v[169:170]
	v_fma_f64 v[167:168], v[2:3], v[26:27], -v[28:29]
	ds_load_b128 v[2:5], v1 offset:1664
	scratch_load_b128 v[26:29], off, off offset:848
	v_fma_f64 v[60:61], v[60:61], v[30:31], v[80:81]
	v_fma_f64 v[58:59], v[58:59], v[30:31], -v[32:33]
	scratch_load_b128 v[30:33], off, off offset:864
	v_add_f64 v[62:63], v[62:63], v[42:43]
	v_add_f64 v[76:77], v[76:77], v[44:45]
	ds_load_b128 v[42:45], v1 offset:1680
	s_waitcnt vmcnt(10) lgkmcnt(1)
	v_mul_f64 v[169:170], v[2:3], v[36:37]
	v_mul_f64 v[36:37], v[4:5], v[36:37]
	s_waitcnt vmcnt(8) lgkmcnt(0)
	v_mul_f64 v[80:81], v[42:43], v[56:57]
	v_add_f64 v[62:63], v[62:63], v[167:168]
	v_add_f64 v[76:77], v[76:77], v[165:166]
	v_mul_f64 v[165:166], v[44:45], v[56:57]
	v_fma_f64 v[167:168], v[4:5], v[34:35], v[169:170]
	v_fma_f64 v[169:170], v[2:3], v[34:35], -v[36:37]
	ds_load_b128 v[2:5], v1 offset:1696
	scratch_load_b128 v[34:37], off, off offset:880
	v_fma_f64 v[44:45], v[44:45], v[54:55], v[80:81]
	v_add_f64 v[62:63], v[62:63], v[58:59]
	v_add_f64 v[60:61], v[76:77], v[60:61]
	ds_load_b128 v[56:59], v1 offset:1712
	v_fma_f64 v[54:55], v[42:43], v[54:55], -v[165:166]
	s_waitcnt vmcnt(8) lgkmcnt(1)
	v_mul_f64 v[76:77], v[2:3], v[40:41]
	v_mul_f64 v[171:172], v[4:5], v[40:41]
	scratch_load_b128 v[40:43], off, off offset:896
	s_waitcnt vmcnt(8) lgkmcnt(0)
	v_mul_f64 v[80:81], v[56:57], v[8:9]
	v_mul_f64 v[8:9], v[58:59], v[8:9]
	v_add_f64 v[62:63], v[62:63], v[169:170]
	v_add_f64 v[60:61], v[60:61], v[167:168]
	v_fma_f64 v[76:77], v[4:5], v[38:39], v[76:77]
	v_fma_f64 v[38:39], v[2:3], v[38:39], -v[171:172]
	ds_load_b128 v[2:5], v1 offset:1728
	v_fma_f64 v[58:59], v[58:59], v[6:7], v[80:81]
	v_fma_f64 v[56:57], v[56:57], v[6:7], -v[8:9]
	scratch_load_b128 v[6:9], off, off offset:928
	v_add_f64 v[54:55], v[62:63], v[54:55]
	v_add_f64 v[44:45], v[60:61], v[44:45]
	scratch_load_b128 v[60:63], off, off offset:912
	s_waitcnt vmcnt(9) lgkmcnt(0)
	v_mul_f64 v[165:166], v[2:3], v[12:13]
	v_mul_f64 v[12:13], v[4:5], v[12:13]
	v_add_f64 v[38:39], v[54:55], v[38:39]
	v_add_f64 v[44:45], v[44:45], v[76:77]
	s_waitcnt vmcnt(8)
	v_mul_f64 v[54:55], v[203:204], v[16:17]
	v_mul_f64 v[16:17], v[205:206], v[16:17]
	v_fma_f64 v[76:77], v[4:5], v[10:11], v[165:166]
	v_fma_f64 v[80:81], v[2:3], v[10:11], -v[12:13]
	ds_load_b128 v[2:5], v1 offset:1760
	ds_load_b128 v[10:13], v1 offset:1776
	v_add_f64 v[38:39], v[38:39], v[56:57]
	v_add_f64 v[44:45], v[44:45], v[58:59]
	s_waitcnt vmcnt(7) lgkmcnt(1)
	v_mul_f64 v[56:57], v[2:3], v[20:21]
	v_mul_f64 v[20:21], v[4:5], v[20:21]
	v_fma_f64 v[54:55], v[205:206], v[14:15], v[54:55]
	v_fma_f64 v[14:15], v[203:204], v[14:15], -v[16:17]
	v_add_f64 v[16:17], v[38:39], v[80:81]
	v_add_f64 v[38:39], v[44:45], v[76:77]
	s_waitcnt vmcnt(6) lgkmcnt(0)
	v_mul_f64 v[44:45], v[10:11], v[24:25]
	v_mul_f64 v[24:25], v[12:13], v[24:25]
	v_fma_f64 v[56:57], v[4:5], v[18:19], v[56:57]
	v_fma_f64 v[18:19], v[2:3], v[18:19], -v[20:21]
	v_add_f64 v[20:21], v[16:17], v[14:15]
	v_add_f64 v[38:39], v[38:39], v[54:55]
	ds_load_b128 v[2:5], v1 offset:1792
	ds_load_b128 v[14:17], v1 offset:1808
	v_fma_f64 v[12:13], v[12:13], v[22:23], v[44:45]
	v_fma_f64 v[10:11], v[10:11], v[22:23], -v[24:25]
	s_waitcnt vmcnt(5) lgkmcnt(1)
	v_mul_f64 v[54:55], v[2:3], v[28:29]
	v_mul_f64 v[28:29], v[4:5], v[28:29]
	s_waitcnt vmcnt(4) lgkmcnt(0)
	v_mul_f64 v[22:23], v[14:15], v[32:33]
	v_mul_f64 v[24:25], v[16:17], v[32:33]
	v_add_f64 v[18:19], v[20:21], v[18:19]
	v_add_f64 v[20:21], v[38:39], v[56:57]
	v_fma_f64 v[32:33], v[4:5], v[26:27], v[54:55]
	v_fma_f64 v[26:27], v[2:3], v[26:27], -v[28:29]
	v_fma_f64 v[16:17], v[16:17], v[30:31], v[22:23]
	v_fma_f64 v[14:15], v[14:15], v[30:31], -v[24:25]
	v_add_f64 v[18:19], v[18:19], v[10:11]
	v_add_f64 v[20:21], v[20:21], v[12:13]
	ds_load_b128 v[2:5], v1 offset:1824
	ds_load_b128 v[10:13], v1 offset:1840
	s_waitcnt vmcnt(3) lgkmcnt(1)
	v_mul_f64 v[28:29], v[2:3], v[36:37]
	v_mul_f64 v[36:37], v[4:5], v[36:37]
	s_waitcnt vmcnt(2) lgkmcnt(0)
	v_mul_f64 v[22:23], v[10:11], v[42:43]
	v_add_f64 v[18:19], v[18:19], v[26:27]
	v_add_f64 v[20:21], v[20:21], v[32:33]
	v_mul_f64 v[24:25], v[12:13], v[42:43]
	v_fma_f64 v[26:27], v[4:5], v[34:35], v[28:29]
	v_fma_f64 v[28:29], v[2:3], v[34:35], -v[36:37]
	v_fma_f64 v[12:13], v[12:13], v[40:41], v[22:23]
	v_add_f64 v[18:19], v[18:19], v[14:15]
	v_add_f64 v[20:21], v[20:21], v[16:17]
	ds_load_b128 v[2:5], v1 offset:1856
	ds_load_b128 v[14:17], v1 offset:1872
	v_fma_f64 v[10:11], v[10:11], v[40:41], -v[24:25]
	s_waitcnt vmcnt(0) lgkmcnt(1)
	v_mul_f64 v[30:31], v[2:3], v[62:63]
	v_mul_f64 v[32:33], v[4:5], v[62:63]
	s_waitcnt lgkmcnt(0)
	v_mul_f64 v[22:23], v[14:15], v[8:9]
	v_mul_f64 v[8:9], v[16:17], v[8:9]
	v_add_f64 v[18:19], v[18:19], v[28:29]
	v_add_f64 v[20:21], v[20:21], v[26:27]
	v_fma_f64 v[4:5], v[4:5], v[60:61], v[30:31]
	v_fma_f64 v[1:2], v[2:3], v[60:61], -v[32:33]
	v_fma_f64 v[16:17], v[16:17], v[6:7], v[22:23]
	v_fma_f64 v[6:7], v[14:15], v[6:7], -v[8:9]
	v_add_f64 v[10:11], v[18:19], v[10:11]
	v_add_f64 v[12:13], v[20:21], v[12:13]
	s_delay_alu instid0(VALU_DEP_2) | instskip(NEXT) | instid1(VALU_DEP_2)
	v_add_f64 v[1:2], v[10:11], v[1:2]
	v_add_f64 v[3:4], v[12:13], v[4:5]
	s_delay_alu instid0(VALU_DEP_2) | instskip(NEXT) | instid1(VALU_DEP_2)
	;; [unrolled: 3-line block ×3, first 2 shown]
	v_add_f64 v[1:2], v[50:51], -v[1:2]
	v_add_f64 v[3:4], v[52:53], -v[3:4]
	scratch_store_b128 off, v[1:4], off offset:576
	v_cmpx_lt_u32_e32 35, v164
	s_cbranch_execz .LBB58_297
; %bb.296:
	scratch_load_b128 v[1:4], v48, off
	v_mov_b32_e32 v5, 0
	s_delay_alu instid0(VALU_DEP_1)
	v_mov_b32_e32 v6, v5
	v_mov_b32_e32 v7, v5
	v_mov_b32_e32 v8, v5
	scratch_store_b128 off, v[5:8], off offset:560
	s_waitcnt vmcnt(0)
	ds_store_b128 v223, v[1:4]
.LBB58_297:
	s_or_b32 exec_lo, exec_lo, s2
	s_waitcnt lgkmcnt(0)
	s_waitcnt_vscnt null, 0x0
	s_barrier
	buffer_gl0_inv
	s_clause 0x7
	scratch_load_b128 v[2:5], off, off offset:576
	scratch_load_b128 v[6:9], off, off offset:592
	;; [unrolled: 1-line block ×8, first 2 shown]
	v_mov_b32_e32 v1, 0
	s_mov_b32 s2, exec_lo
	ds_load_b128 v[34:37], v1 offset:1520
	s_clause 0x1
	scratch_load_b128 v[38:41], off, off offset:704
	scratch_load_b128 v[42:45], off, off offset:560
	ds_load_b128 v[50:53], v1 offset:1536
	scratch_load_b128 v[54:57], off, off offset:720
	s_waitcnt vmcnt(10) lgkmcnt(1)
	v_mul_f64 v[58:59], v[36:37], v[4:5]
	v_mul_f64 v[4:5], v[34:35], v[4:5]
	s_delay_alu instid0(VALU_DEP_2) | instskip(NEXT) | instid1(VALU_DEP_2)
	v_fma_f64 v[76:77], v[34:35], v[2:3], -v[58:59]
	v_fma_f64 v[80:81], v[36:37], v[2:3], v[4:5]
	scratch_load_b128 v[34:37], off, off offset:736
	ds_load_b128 v[2:5], v1 offset:1552
	s_waitcnt vmcnt(10) lgkmcnt(1)
	v_mul_f64 v[62:63], v[50:51], v[8:9]
	v_mul_f64 v[8:9], v[52:53], v[8:9]
	ds_load_b128 v[58:61], v1 offset:1568
	s_waitcnt vmcnt(9) lgkmcnt(1)
	v_mul_f64 v[165:166], v[2:3], v[12:13]
	v_mul_f64 v[12:13], v[4:5], v[12:13]
	v_fma_f64 v[52:53], v[52:53], v[6:7], v[62:63]
	v_fma_f64 v[50:51], v[50:51], v[6:7], -v[8:9]
	v_add_f64 v[62:63], v[76:77], 0
	v_add_f64 v[76:77], v[80:81], 0
	scratch_load_b128 v[6:9], off, off offset:752
	v_fma_f64 v[165:166], v[4:5], v[10:11], v[165:166]
	v_fma_f64 v[167:168], v[2:3], v[10:11], -v[12:13]
	scratch_load_b128 v[10:13], off, off offset:768
	ds_load_b128 v[2:5], v1 offset:1584
	s_waitcnt vmcnt(10) lgkmcnt(1)
	v_mul_f64 v[80:81], v[58:59], v[16:17]
	v_mul_f64 v[16:17], v[60:61], v[16:17]
	v_add_f64 v[62:63], v[62:63], v[50:51]
	v_add_f64 v[76:77], v[76:77], v[52:53]
	s_waitcnt vmcnt(9) lgkmcnt(0)
	v_mul_f64 v[169:170], v[2:3], v[20:21]
	v_mul_f64 v[20:21], v[4:5], v[20:21]
	ds_load_b128 v[50:53], v1 offset:1600
	v_fma_f64 v[60:61], v[60:61], v[14:15], v[80:81]
	v_fma_f64 v[58:59], v[58:59], v[14:15], -v[16:17]
	scratch_load_b128 v[14:17], off, off offset:784
	v_add_f64 v[62:63], v[62:63], v[167:168]
	v_add_f64 v[76:77], v[76:77], v[165:166]
	v_fma_f64 v[165:166], v[4:5], v[18:19], v[169:170]
	v_fma_f64 v[167:168], v[2:3], v[18:19], -v[20:21]
	scratch_load_b128 v[18:21], off, off offset:800
	ds_load_b128 v[2:5], v1 offset:1616
	s_waitcnt vmcnt(10) lgkmcnt(1)
	v_mul_f64 v[80:81], v[50:51], v[24:25]
	v_mul_f64 v[24:25], v[52:53], v[24:25]
	s_waitcnt vmcnt(9) lgkmcnt(0)
	v_mul_f64 v[169:170], v[2:3], v[28:29]
	v_mul_f64 v[28:29], v[4:5], v[28:29]
	v_add_f64 v[62:63], v[62:63], v[58:59]
	v_add_f64 v[76:77], v[76:77], v[60:61]
	ds_load_b128 v[58:61], v1 offset:1632
	v_fma_f64 v[52:53], v[52:53], v[22:23], v[80:81]
	v_fma_f64 v[50:51], v[50:51], v[22:23], -v[24:25]
	scratch_load_b128 v[22:25], off, off offset:816
	v_add_f64 v[62:63], v[62:63], v[167:168]
	v_add_f64 v[76:77], v[76:77], v[165:166]
	v_fma_f64 v[165:166], v[4:5], v[26:27], v[169:170]
	v_fma_f64 v[167:168], v[2:3], v[26:27], -v[28:29]
	scratch_load_b128 v[26:29], off, off offset:832
	ds_load_b128 v[2:5], v1 offset:1648
	s_waitcnt vmcnt(10) lgkmcnt(1)
	v_mul_f64 v[80:81], v[58:59], v[32:33]
	v_mul_f64 v[32:33], v[60:61], v[32:33]
	s_waitcnt vmcnt(9) lgkmcnt(0)
	v_mul_f64 v[169:170], v[2:3], v[40:41]
	v_mul_f64 v[40:41], v[4:5], v[40:41]
	v_add_f64 v[62:63], v[62:63], v[50:51]
	v_add_f64 v[76:77], v[76:77], v[52:53]
	ds_load_b128 v[50:53], v1 offset:1664
	v_fma_f64 v[60:61], v[60:61], v[30:31], v[80:81]
	v_fma_f64 v[58:59], v[58:59], v[30:31], -v[32:33]
	scratch_load_b128 v[30:33], off, off offset:848
	v_add_f64 v[62:63], v[62:63], v[167:168]
	v_add_f64 v[76:77], v[76:77], v[165:166]
	v_fma_f64 v[167:168], v[4:5], v[38:39], v[169:170]
	v_fma_f64 v[169:170], v[2:3], v[38:39], -v[40:41]
	scratch_load_b128 v[38:41], off, off offset:864
	ds_load_b128 v[2:5], v1 offset:1680
	s_waitcnt vmcnt(9) lgkmcnt(1)
	v_mul_f64 v[80:81], v[50:51], v[56:57]
	v_mul_f64 v[165:166], v[52:53], v[56:57]
	v_add_f64 v[62:63], v[62:63], v[58:59]
	v_add_f64 v[60:61], v[76:77], v[60:61]
	ds_load_b128 v[56:59], v1 offset:1696
	v_fma_f64 v[80:81], v[52:53], v[54:55], v[80:81]
	v_fma_f64 v[54:55], v[50:51], v[54:55], -v[165:166]
	scratch_load_b128 v[50:53], off, off offset:880
	s_waitcnt vmcnt(9) lgkmcnt(1)
	v_mul_f64 v[76:77], v[2:3], v[36:37]
	v_mul_f64 v[36:37], v[4:5], v[36:37]
	v_add_f64 v[62:63], v[62:63], v[169:170]
	v_add_f64 v[60:61], v[60:61], v[167:168]
	s_delay_alu instid0(VALU_DEP_4) | instskip(NEXT) | instid1(VALU_DEP_4)
	v_fma_f64 v[76:77], v[4:5], v[34:35], v[76:77]
	v_fma_f64 v[167:168], v[2:3], v[34:35], -v[36:37]
	scratch_load_b128 v[34:37], off, off offset:896
	ds_load_b128 v[2:5], v1 offset:1712
	s_waitcnt vmcnt(9) lgkmcnt(1)
	v_mul_f64 v[165:166], v[56:57], v[8:9]
	v_mul_f64 v[8:9], v[58:59], v[8:9]
	s_waitcnt vmcnt(8) lgkmcnt(0)
	v_mul_f64 v[169:170], v[2:3], v[12:13]
	v_mul_f64 v[12:13], v[4:5], v[12:13]
	v_add_f64 v[54:55], v[62:63], v[54:55]
	v_add_f64 v[80:81], v[60:61], v[80:81]
	ds_load_b128 v[60:63], v1 offset:1728
	v_fma_f64 v[58:59], v[58:59], v[6:7], v[165:166]
	v_fma_f64 v[56:57], v[56:57], v[6:7], -v[8:9]
	scratch_load_b128 v[6:9], off, off offset:912
	v_fma_f64 v[165:166], v[4:5], v[10:11], v[169:170]
	v_add_f64 v[54:55], v[54:55], v[167:168]
	v_add_f64 v[76:77], v[80:81], v[76:77]
	v_fma_f64 v[167:168], v[2:3], v[10:11], -v[12:13]
	scratch_load_b128 v[10:13], off, off offset:928
	ds_load_b128 v[2:5], v1 offset:1744
	s_waitcnt vmcnt(9) lgkmcnt(1)
	v_mul_f64 v[80:81], v[60:61], v[16:17]
	v_mul_f64 v[16:17], v[62:63], v[16:17]
	v_add_f64 v[169:170], v[54:55], v[56:57]
	v_add_f64 v[58:59], v[76:77], v[58:59]
	s_waitcnt vmcnt(8) lgkmcnt(0)
	v_mul_f64 v[76:77], v[2:3], v[20:21]
	v_mul_f64 v[20:21], v[4:5], v[20:21]
	ds_load_b128 v[54:57], v1 offset:1760
	v_fma_f64 v[62:63], v[62:63], v[14:15], v[80:81]
	v_fma_f64 v[14:15], v[60:61], v[14:15], -v[16:17]
	s_waitcnt vmcnt(7) lgkmcnt(0)
	v_mul_f64 v[60:61], v[54:55], v[24:25]
	v_mul_f64 v[24:25], v[56:57], v[24:25]
	v_add_f64 v[16:17], v[169:170], v[167:168]
	v_add_f64 v[58:59], v[58:59], v[165:166]
	v_fma_f64 v[76:77], v[4:5], v[18:19], v[76:77]
	v_fma_f64 v[18:19], v[2:3], v[18:19], -v[20:21]
	v_fma_f64 v[56:57], v[56:57], v[22:23], v[60:61]
	v_fma_f64 v[22:23], v[54:55], v[22:23], -v[24:25]
	v_add_f64 v[20:21], v[16:17], v[14:15]
	v_add_f64 v[58:59], v[58:59], v[62:63]
	ds_load_b128 v[2:5], v1 offset:1776
	ds_load_b128 v[14:17], v1 offset:1792
	s_waitcnt vmcnt(6) lgkmcnt(1)
	v_mul_f64 v[62:63], v[2:3], v[28:29]
	v_mul_f64 v[28:29], v[4:5], v[28:29]
	s_waitcnt vmcnt(5) lgkmcnt(0)
	v_mul_f64 v[24:25], v[14:15], v[32:33]
	v_mul_f64 v[32:33], v[16:17], v[32:33]
	v_add_f64 v[18:19], v[20:21], v[18:19]
	v_add_f64 v[20:21], v[58:59], v[76:77]
	v_fma_f64 v[54:55], v[4:5], v[26:27], v[62:63]
	v_fma_f64 v[26:27], v[2:3], v[26:27], -v[28:29]
	v_fma_f64 v[16:17], v[16:17], v[30:31], v[24:25]
	v_fma_f64 v[14:15], v[14:15], v[30:31], -v[32:33]
	v_add_f64 v[22:23], v[18:19], v[22:23]
	v_add_f64 v[28:29], v[20:21], v[56:57]
	ds_load_b128 v[2:5], v1 offset:1808
	ds_load_b128 v[18:21], v1 offset:1824
	s_waitcnt vmcnt(4) lgkmcnt(1)
	v_mul_f64 v[56:57], v[2:3], v[40:41]
	v_mul_f64 v[40:41], v[4:5], v[40:41]
	v_add_f64 v[22:23], v[22:23], v[26:27]
	v_add_f64 v[24:25], v[28:29], v[54:55]
	s_waitcnt vmcnt(3) lgkmcnt(0)
	v_mul_f64 v[26:27], v[18:19], v[52:53]
	v_mul_f64 v[28:29], v[20:21], v[52:53]
	v_fma_f64 v[30:31], v[4:5], v[38:39], v[56:57]
	v_fma_f64 v[32:33], v[2:3], v[38:39], -v[40:41]
	v_add_f64 v[22:23], v[22:23], v[14:15]
	v_add_f64 v[24:25], v[24:25], v[16:17]
	ds_load_b128 v[2:5], v1 offset:1840
	ds_load_b128 v[14:17], v1 offset:1856
	v_fma_f64 v[20:21], v[20:21], v[50:51], v[26:27]
	v_fma_f64 v[18:19], v[18:19], v[50:51], -v[28:29]
	s_waitcnt vmcnt(2) lgkmcnt(1)
	v_mul_f64 v[38:39], v[2:3], v[36:37]
	v_mul_f64 v[36:37], v[4:5], v[36:37]
	s_waitcnt vmcnt(1) lgkmcnt(0)
	v_mul_f64 v[26:27], v[14:15], v[8:9]
	v_mul_f64 v[8:9], v[16:17], v[8:9]
	v_add_f64 v[22:23], v[22:23], v[32:33]
	v_add_f64 v[24:25], v[24:25], v[30:31]
	v_fma_f64 v[28:29], v[4:5], v[34:35], v[38:39]
	v_fma_f64 v[30:31], v[2:3], v[34:35], -v[36:37]
	ds_load_b128 v[2:5], v1 offset:1872
	v_fma_f64 v[16:17], v[16:17], v[6:7], v[26:27]
	v_fma_f64 v[6:7], v[14:15], v[6:7], -v[8:9]
	v_add_f64 v[18:19], v[22:23], v[18:19]
	v_add_f64 v[20:21], v[24:25], v[20:21]
	s_waitcnt vmcnt(0) lgkmcnt(0)
	v_mul_f64 v[22:23], v[2:3], v[12:13]
	v_mul_f64 v[12:13], v[4:5], v[12:13]
	s_delay_alu instid0(VALU_DEP_4) | instskip(NEXT) | instid1(VALU_DEP_4)
	v_add_f64 v[8:9], v[18:19], v[30:31]
	v_add_f64 v[14:15], v[20:21], v[28:29]
	s_delay_alu instid0(VALU_DEP_4) | instskip(NEXT) | instid1(VALU_DEP_4)
	v_fma_f64 v[4:5], v[4:5], v[10:11], v[22:23]
	v_fma_f64 v[2:3], v[2:3], v[10:11], -v[12:13]
	s_delay_alu instid0(VALU_DEP_4) | instskip(NEXT) | instid1(VALU_DEP_4)
	v_add_f64 v[6:7], v[8:9], v[6:7]
	v_add_f64 v[8:9], v[14:15], v[16:17]
	s_delay_alu instid0(VALU_DEP_2) | instskip(NEXT) | instid1(VALU_DEP_2)
	v_add_f64 v[2:3], v[6:7], v[2:3]
	v_add_f64 v[4:5], v[8:9], v[4:5]
	s_delay_alu instid0(VALU_DEP_2) | instskip(NEXT) | instid1(VALU_DEP_2)
	v_add_f64 v[2:3], v[42:43], -v[2:3]
	v_add_f64 v[4:5], v[44:45], -v[4:5]
	scratch_store_b128 off, v[2:5], off offset:560
	v_cmpx_lt_u32_e32 34, v164
	s_cbranch_execz .LBB58_299
; %bb.298:
	scratch_load_b128 v[5:8], v49, off
	v_mov_b32_e32 v2, v1
	v_mov_b32_e32 v3, v1
	v_mov_b32_e32 v4, v1
	scratch_store_b128 off, v[1:4], off offset:544
	s_waitcnt vmcnt(0)
	ds_store_b128 v223, v[5:8]
.LBB58_299:
	s_or_b32 exec_lo, exec_lo, s2
	s_waitcnt lgkmcnt(0)
	s_waitcnt_vscnt null, 0x0
	s_barrier
	buffer_gl0_inv
	s_clause 0x8
	scratch_load_b128 v[2:5], off, off offset:560
	scratch_load_b128 v[6:9], off, off offset:576
	;; [unrolled: 1-line block ×9, first 2 shown]
	ds_load_b128 v[38:41], v1 offset:1504
	ds_load_b128 v[42:45], v1 offset:1520
	s_clause 0x1
	scratch_load_b128 v[50:53], off, off offset:544
	scratch_load_b128 v[54:57], off, off offset:704
	s_mov_b32 s2, exec_lo
	ds_load_b128 v[203:206], v1 offset:1712
	s_waitcnt vmcnt(10) lgkmcnt(2)
	v_mul_f64 v[58:59], v[40:41], v[4:5]
	v_mul_f64 v[4:5], v[38:39], v[4:5]
	s_waitcnt vmcnt(9) lgkmcnt(1)
	v_mul_f64 v[62:63], v[42:43], v[8:9]
	v_mul_f64 v[8:9], v[44:45], v[8:9]
	s_delay_alu instid0(VALU_DEP_4) | instskip(NEXT) | instid1(VALU_DEP_4)
	v_fma_f64 v[76:77], v[38:39], v[2:3], -v[58:59]
	v_fma_f64 v[80:81], v[40:41], v[2:3], v[4:5]
	ds_load_b128 v[2:5], v1 offset:1536
	ds_load_b128 v[58:61], v1 offset:1552
	scratch_load_b128 v[38:41], off, off offset:720
	v_fma_f64 v[44:45], v[44:45], v[6:7], v[62:63]
	v_fma_f64 v[42:43], v[42:43], v[6:7], -v[8:9]
	scratch_load_b128 v[6:9], off, off offset:736
	s_waitcnt vmcnt(10) lgkmcnt(1)
	v_mul_f64 v[165:166], v[2:3], v[12:13]
	v_mul_f64 v[12:13], v[4:5], v[12:13]
	v_add_f64 v[62:63], v[76:77], 0
	v_add_f64 v[76:77], v[80:81], 0
	s_waitcnt vmcnt(9) lgkmcnt(0)
	v_mul_f64 v[80:81], v[58:59], v[16:17]
	v_mul_f64 v[16:17], v[60:61], v[16:17]
	v_fma_f64 v[165:166], v[4:5], v[10:11], v[165:166]
	v_fma_f64 v[167:168], v[2:3], v[10:11], -v[12:13]
	ds_load_b128 v[2:5], v1 offset:1568
	scratch_load_b128 v[10:13], off, off offset:752
	v_add_f64 v[62:63], v[62:63], v[42:43]
	v_add_f64 v[76:77], v[76:77], v[44:45]
	ds_load_b128 v[42:45], v1 offset:1584
	v_fma_f64 v[60:61], v[60:61], v[14:15], v[80:81]
	v_fma_f64 v[58:59], v[58:59], v[14:15], -v[16:17]
	scratch_load_b128 v[14:17], off, off offset:768
	s_waitcnt vmcnt(10) lgkmcnt(1)
	v_mul_f64 v[169:170], v[2:3], v[20:21]
	v_mul_f64 v[20:21], v[4:5], v[20:21]
	s_waitcnt vmcnt(9) lgkmcnt(0)
	v_mul_f64 v[80:81], v[42:43], v[24:25]
	v_mul_f64 v[24:25], v[44:45], v[24:25]
	v_add_f64 v[62:63], v[62:63], v[167:168]
	v_add_f64 v[76:77], v[76:77], v[165:166]
	v_fma_f64 v[165:166], v[4:5], v[18:19], v[169:170]
	v_fma_f64 v[167:168], v[2:3], v[18:19], -v[20:21]
	ds_load_b128 v[2:5], v1 offset:1600
	scratch_load_b128 v[18:21], off, off offset:784
	v_fma_f64 v[44:45], v[44:45], v[22:23], v[80:81]
	v_fma_f64 v[42:43], v[42:43], v[22:23], -v[24:25]
	scratch_load_b128 v[22:25], off, off offset:800
	v_add_f64 v[62:63], v[62:63], v[58:59]
	v_add_f64 v[76:77], v[76:77], v[60:61]
	ds_load_b128 v[58:61], v1 offset:1616
	s_waitcnt vmcnt(10) lgkmcnt(1)
	v_mul_f64 v[169:170], v[2:3], v[28:29]
	v_mul_f64 v[28:29], v[4:5], v[28:29]
	s_waitcnt vmcnt(9) lgkmcnt(0)
	v_mul_f64 v[80:81], v[58:59], v[32:33]
	v_mul_f64 v[32:33], v[60:61], v[32:33]
	v_add_f64 v[62:63], v[62:63], v[167:168]
	v_add_f64 v[76:77], v[76:77], v[165:166]
	v_fma_f64 v[165:166], v[4:5], v[26:27], v[169:170]
	v_fma_f64 v[167:168], v[2:3], v[26:27], -v[28:29]
	ds_load_b128 v[2:5], v1 offset:1632
	scratch_load_b128 v[26:29], off, off offset:816
	v_fma_f64 v[60:61], v[60:61], v[30:31], v[80:81]
	v_fma_f64 v[58:59], v[58:59], v[30:31], -v[32:33]
	scratch_load_b128 v[30:33], off, off offset:832
	v_add_f64 v[62:63], v[62:63], v[42:43]
	v_add_f64 v[76:77], v[76:77], v[44:45]
	ds_load_b128 v[42:45], v1 offset:1648
	s_waitcnt vmcnt(10) lgkmcnt(1)
	v_mul_f64 v[169:170], v[2:3], v[36:37]
	v_mul_f64 v[36:37], v[4:5], v[36:37]
	s_waitcnt vmcnt(8) lgkmcnt(0)
	v_mul_f64 v[80:81], v[42:43], v[56:57]
	v_add_f64 v[62:63], v[62:63], v[167:168]
	v_add_f64 v[76:77], v[76:77], v[165:166]
	v_mul_f64 v[165:166], v[44:45], v[56:57]
	v_fma_f64 v[167:168], v[4:5], v[34:35], v[169:170]
	v_fma_f64 v[169:170], v[2:3], v[34:35], -v[36:37]
	ds_load_b128 v[2:5], v1 offset:1664
	scratch_load_b128 v[34:37], off, off offset:848
	v_fma_f64 v[44:45], v[44:45], v[54:55], v[80:81]
	v_add_f64 v[62:63], v[62:63], v[58:59]
	v_add_f64 v[60:61], v[76:77], v[60:61]
	ds_load_b128 v[56:59], v1 offset:1680
	v_fma_f64 v[54:55], v[42:43], v[54:55], -v[165:166]
	s_waitcnt vmcnt(8) lgkmcnt(1)
	v_mul_f64 v[76:77], v[2:3], v[40:41]
	v_mul_f64 v[171:172], v[4:5], v[40:41]
	scratch_load_b128 v[40:43], off, off offset:864
	s_waitcnt vmcnt(8) lgkmcnt(0)
	v_mul_f64 v[80:81], v[56:57], v[8:9]
	v_mul_f64 v[8:9], v[58:59], v[8:9]
	v_add_f64 v[62:63], v[62:63], v[169:170]
	v_add_f64 v[60:61], v[60:61], v[167:168]
	v_fma_f64 v[76:77], v[4:5], v[38:39], v[76:77]
	v_fma_f64 v[38:39], v[2:3], v[38:39], -v[171:172]
	ds_load_b128 v[2:5], v1 offset:1696
	v_fma_f64 v[58:59], v[58:59], v[6:7], v[80:81]
	v_fma_f64 v[56:57], v[56:57], v[6:7], -v[8:9]
	scratch_load_b128 v[6:9], off, off offset:896
	v_add_f64 v[54:55], v[62:63], v[54:55]
	v_add_f64 v[44:45], v[60:61], v[44:45]
	scratch_load_b128 v[60:63], off, off offset:880
	s_waitcnt vmcnt(9) lgkmcnt(0)
	v_mul_f64 v[165:166], v[2:3], v[12:13]
	v_mul_f64 v[12:13], v[4:5], v[12:13]
	v_add_f64 v[38:39], v[54:55], v[38:39]
	v_add_f64 v[44:45], v[44:45], v[76:77]
	s_waitcnt vmcnt(8)
	v_mul_f64 v[76:77], v[203:204], v[16:17]
	v_mul_f64 v[16:17], v[205:206], v[16:17]
	v_fma_f64 v[80:81], v[4:5], v[10:11], v[165:166]
	v_fma_f64 v[165:166], v[2:3], v[10:11], -v[12:13]
	ds_load_b128 v[2:5], v1 offset:1728
	scratch_load_b128 v[10:13], off, off offset:912
	v_add_f64 v[38:39], v[38:39], v[56:57]
	v_add_f64 v[44:45], v[44:45], v[58:59]
	ds_load_b128 v[54:57], v1 offset:1744
	s_waitcnt vmcnt(8) lgkmcnt(1)
	v_mul_f64 v[58:59], v[2:3], v[20:21]
	v_mul_f64 v[20:21], v[4:5], v[20:21]
	v_fma_f64 v[76:77], v[205:206], v[14:15], v[76:77]
	v_fma_f64 v[167:168], v[203:204], v[14:15], -v[16:17]
	scratch_load_b128 v[14:17], off, off offset:928
	v_add_f64 v[38:39], v[38:39], v[165:166]
	v_add_f64 v[44:45], v[44:45], v[80:81]
	s_waitcnt vmcnt(8) lgkmcnt(0)
	v_mul_f64 v[80:81], v[54:55], v[24:25]
	v_mul_f64 v[24:25], v[56:57], v[24:25]
	v_fma_f64 v[58:59], v[4:5], v[18:19], v[58:59]
	v_fma_f64 v[165:166], v[2:3], v[18:19], -v[20:21]
	ds_load_b128 v[2:5], v1 offset:1760
	ds_load_b128 v[18:21], v1 offset:1776
	v_add_f64 v[38:39], v[38:39], v[167:168]
	v_add_f64 v[44:45], v[44:45], v[76:77]
	s_waitcnt vmcnt(7) lgkmcnt(1)
	v_mul_f64 v[76:77], v[2:3], v[28:29]
	v_mul_f64 v[28:29], v[4:5], v[28:29]
	v_fma_f64 v[56:57], v[56:57], v[22:23], v[80:81]
	v_fma_f64 v[22:23], v[54:55], v[22:23], -v[24:25]
	v_add_f64 v[24:25], v[38:39], v[165:166]
	v_add_f64 v[38:39], v[44:45], v[58:59]
	s_waitcnt vmcnt(6) lgkmcnt(0)
	v_mul_f64 v[44:45], v[18:19], v[32:33]
	v_mul_f64 v[32:33], v[20:21], v[32:33]
	v_fma_f64 v[54:55], v[4:5], v[26:27], v[76:77]
	v_fma_f64 v[26:27], v[2:3], v[26:27], -v[28:29]
	v_add_f64 v[28:29], v[24:25], v[22:23]
	v_add_f64 v[38:39], v[38:39], v[56:57]
	ds_load_b128 v[2:5], v1 offset:1792
	ds_load_b128 v[22:25], v1 offset:1808
	v_fma_f64 v[20:21], v[20:21], v[30:31], v[44:45]
	v_fma_f64 v[18:19], v[18:19], v[30:31], -v[32:33]
	s_waitcnt vmcnt(5) lgkmcnt(1)
	v_mul_f64 v[56:57], v[2:3], v[36:37]
	v_mul_f64 v[36:37], v[4:5], v[36:37]
	s_waitcnt vmcnt(4) lgkmcnt(0)
	v_mul_f64 v[30:31], v[22:23], v[42:43]
	v_add_f64 v[26:27], v[28:29], v[26:27]
	v_add_f64 v[28:29], v[38:39], v[54:55]
	v_mul_f64 v[32:33], v[24:25], v[42:43]
	v_fma_f64 v[38:39], v[4:5], v[34:35], v[56:57]
	v_fma_f64 v[34:35], v[2:3], v[34:35], -v[36:37]
	v_fma_f64 v[24:25], v[24:25], v[40:41], v[30:31]
	v_add_f64 v[26:27], v[26:27], v[18:19]
	v_add_f64 v[28:29], v[28:29], v[20:21]
	ds_load_b128 v[2:5], v1 offset:1824
	ds_load_b128 v[18:21], v1 offset:1840
	v_fma_f64 v[22:23], v[22:23], v[40:41], -v[32:33]
	s_waitcnt vmcnt(2) lgkmcnt(1)
	v_mul_f64 v[36:37], v[2:3], v[62:63]
	v_mul_f64 v[42:43], v[4:5], v[62:63]
	s_waitcnt lgkmcnt(0)
	v_mul_f64 v[30:31], v[18:19], v[8:9]
	v_mul_f64 v[8:9], v[20:21], v[8:9]
	v_add_f64 v[26:27], v[26:27], v[34:35]
	v_add_f64 v[28:29], v[28:29], v[38:39]
	v_fma_f64 v[32:33], v[4:5], v[60:61], v[36:37]
	v_fma_f64 v[34:35], v[2:3], v[60:61], -v[42:43]
	v_fma_f64 v[20:21], v[20:21], v[6:7], v[30:31]
	v_fma_f64 v[6:7], v[18:19], v[6:7], -v[8:9]
	v_add_f64 v[26:27], v[26:27], v[22:23]
	v_add_f64 v[28:29], v[28:29], v[24:25]
	ds_load_b128 v[2:5], v1 offset:1856
	ds_load_b128 v[22:25], v1 offset:1872
	s_waitcnt vmcnt(1) lgkmcnt(1)
	v_mul_f64 v[36:37], v[2:3], v[12:13]
	v_mul_f64 v[12:13], v[4:5], v[12:13]
	v_add_f64 v[8:9], v[26:27], v[34:35]
	v_add_f64 v[18:19], v[28:29], v[32:33]
	s_waitcnt vmcnt(0) lgkmcnt(0)
	v_mul_f64 v[26:27], v[22:23], v[16:17]
	v_mul_f64 v[16:17], v[24:25], v[16:17]
	v_fma_f64 v[4:5], v[4:5], v[10:11], v[36:37]
	v_fma_f64 v[1:2], v[2:3], v[10:11], -v[12:13]
	v_add_f64 v[6:7], v[8:9], v[6:7]
	v_add_f64 v[8:9], v[18:19], v[20:21]
	v_fma_f64 v[10:11], v[24:25], v[14:15], v[26:27]
	v_fma_f64 v[12:13], v[22:23], v[14:15], -v[16:17]
	s_delay_alu instid0(VALU_DEP_4) | instskip(NEXT) | instid1(VALU_DEP_4)
	v_add_f64 v[1:2], v[6:7], v[1:2]
	v_add_f64 v[3:4], v[8:9], v[4:5]
	s_delay_alu instid0(VALU_DEP_2) | instskip(NEXT) | instid1(VALU_DEP_2)
	v_add_f64 v[1:2], v[1:2], v[12:13]
	v_add_f64 v[3:4], v[3:4], v[10:11]
	s_delay_alu instid0(VALU_DEP_2) | instskip(NEXT) | instid1(VALU_DEP_2)
	v_add_f64 v[1:2], v[50:51], -v[1:2]
	v_add_f64 v[3:4], v[52:53], -v[3:4]
	scratch_store_b128 off, v[1:4], off offset:544
	v_cmpx_lt_u32_e32 33, v164
	s_cbranch_execz .LBB58_301
; %bb.300:
	scratch_load_b128 v[1:4], v178, off
	v_mov_b32_e32 v5, 0
	s_delay_alu instid0(VALU_DEP_1)
	v_mov_b32_e32 v6, v5
	v_mov_b32_e32 v7, v5
	v_mov_b32_e32 v8, v5
	scratch_store_b128 off, v[5:8], off offset:528
	s_waitcnt vmcnt(0)
	ds_store_b128 v223, v[1:4]
.LBB58_301:
	s_or_b32 exec_lo, exec_lo, s2
	s_waitcnt lgkmcnt(0)
	s_waitcnt_vscnt null, 0x0
	s_barrier
	buffer_gl0_inv
	s_clause 0x7
	scratch_load_b128 v[2:5], off, off offset:544
	scratch_load_b128 v[6:9], off, off offset:560
	;; [unrolled: 1-line block ×8, first 2 shown]
	v_mov_b32_e32 v1, 0
	s_mov_b32 s2, exec_lo
	ds_load_b128 v[34:37], v1 offset:1488
	s_clause 0x1
	scratch_load_b128 v[38:41], off, off offset:672
	scratch_load_b128 v[42:45], off, off offset:528
	ds_load_b128 v[50:53], v1 offset:1504
	scratch_load_b128 v[54:57], off, off offset:688
	s_waitcnt vmcnt(10) lgkmcnt(1)
	v_mul_f64 v[58:59], v[36:37], v[4:5]
	v_mul_f64 v[4:5], v[34:35], v[4:5]
	s_delay_alu instid0(VALU_DEP_2) | instskip(NEXT) | instid1(VALU_DEP_2)
	v_fma_f64 v[76:77], v[34:35], v[2:3], -v[58:59]
	v_fma_f64 v[80:81], v[36:37], v[2:3], v[4:5]
	scratch_load_b128 v[34:37], off, off offset:704
	ds_load_b128 v[2:5], v1 offset:1520
	s_waitcnt vmcnt(10) lgkmcnt(1)
	v_mul_f64 v[62:63], v[50:51], v[8:9]
	v_mul_f64 v[8:9], v[52:53], v[8:9]
	ds_load_b128 v[58:61], v1 offset:1536
	s_waitcnt vmcnt(9) lgkmcnt(1)
	v_mul_f64 v[165:166], v[2:3], v[12:13]
	v_mul_f64 v[12:13], v[4:5], v[12:13]
	v_fma_f64 v[52:53], v[52:53], v[6:7], v[62:63]
	v_fma_f64 v[50:51], v[50:51], v[6:7], -v[8:9]
	v_add_f64 v[62:63], v[76:77], 0
	v_add_f64 v[76:77], v[80:81], 0
	scratch_load_b128 v[6:9], off, off offset:720
	v_fma_f64 v[165:166], v[4:5], v[10:11], v[165:166]
	v_fma_f64 v[167:168], v[2:3], v[10:11], -v[12:13]
	scratch_load_b128 v[10:13], off, off offset:736
	ds_load_b128 v[2:5], v1 offset:1552
	s_waitcnt vmcnt(10) lgkmcnt(1)
	v_mul_f64 v[80:81], v[58:59], v[16:17]
	v_mul_f64 v[16:17], v[60:61], v[16:17]
	v_add_f64 v[62:63], v[62:63], v[50:51]
	v_add_f64 v[76:77], v[76:77], v[52:53]
	s_waitcnt vmcnt(9) lgkmcnt(0)
	v_mul_f64 v[169:170], v[2:3], v[20:21]
	v_mul_f64 v[20:21], v[4:5], v[20:21]
	ds_load_b128 v[50:53], v1 offset:1568
	v_fma_f64 v[60:61], v[60:61], v[14:15], v[80:81]
	v_fma_f64 v[58:59], v[58:59], v[14:15], -v[16:17]
	scratch_load_b128 v[14:17], off, off offset:752
	v_add_f64 v[62:63], v[62:63], v[167:168]
	v_add_f64 v[76:77], v[76:77], v[165:166]
	v_fma_f64 v[165:166], v[4:5], v[18:19], v[169:170]
	v_fma_f64 v[167:168], v[2:3], v[18:19], -v[20:21]
	scratch_load_b128 v[18:21], off, off offset:768
	ds_load_b128 v[2:5], v1 offset:1584
	s_waitcnt vmcnt(10) lgkmcnt(1)
	v_mul_f64 v[80:81], v[50:51], v[24:25]
	v_mul_f64 v[24:25], v[52:53], v[24:25]
	s_waitcnt vmcnt(9) lgkmcnt(0)
	v_mul_f64 v[169:170], v[2:3], v[28:29]
	v_mul_f64 v[28:29], v[4:5], v[28:29]
	v_add_f64 v[62:63], v[62:63], v[58:59]
	v_add_f64 v[76:77], v[76:77], v[60:61]
	ds_load_b128 v[58:61], v1 offset:1600
	v_fma_f64 v[52:53], v[52:53], v[22:23], v[80:81]
	v_fma_f64 v[50:51], v[50:51], v[22:23], -v[24:25]
	scratch_load_b128 v[22:25], off, off offset:784
	v_add_f64 v[62:63], v[62:63], v[167:168]
	v_add_f64 v[76:77], v[76:77], v[165:166]
	v_fma_f64 v[165:166], v[4:5], v[26:27], v[169:170]
	v_fma_f64 v[167:168], v[2:3], v[26:27], -v[28:29]
	scratch_load_b128 v[26:29], off, off offset:800
	ds_load_b128 v[2:5], v1 offset:1616
	s_waitcnt vmcnt(10) lgkmcnt(1)
	v_mul_f64 v[80:81], v[58:59], v[32:33]
	v_mul_f64 v[32:33], v[60:61], v[32:33]
	s_waitcnt vmcnt(9) lgkmcnt(0)
	v_mul_f64 v[169:170], v[2:3], v[40:41]
	v_mul_f64 v[40:41], v[4:5], v[40:41]
	v_add_f64 v[62:63], v[62:63], v[50:51]
	v_add_f64 v[76:77], v[76:77], v[52:53]
	ds_load_b128 v[50:53], v1 offset:1632
	v_fma_f64 v[60:61], v[60:61], v[30:31], v[80:81]
	v_fma_f64 v[58:59], v[58:59], v[30:31], -v[32:33]
	scratch_load_b128 v[30:33], off, off offset:816
	v_add_f64 v[62:63], v[62:63], v[167:168]
	v_add_f64 v[76:77], v[76:77], v[165:166]
	v_fma_f64 v[167:168], v[4:5], v[38:39], v[169:170]
	v_fma_f64 v[169:170], v[2:3], v[38:39], -v[40:41]
	scratch_load_b128 v[38:41], off, off offset:832
	ds_load_b128 v[2:5], v1 offset:1648
	s_waitcnt vmcnt(9) lgkmcnt(1)
	v_mul_f64 v[80:81], v[50:51], v[56:57]
	v_mul_f64 v[165:166], v[52:53], v[56:57]
	v_add_f64 v[62:63], v[62:63], v[58:59]
	v_add_f64 v[60:61], v[76:77], v[60:61]
	ds_load_b128 v[56:59], v1 offset:1664
	v_fma_f64 v[80:81], v[52:53], v[54:55], v[80:81]
	v_fma_f64 v[54:55], v[50:51], v[54:55], -v[165:166]
	scratch_load_b128 v[50:53], off, off offset:848
	s_waitcnt vmcnt(9) lgkmcnt(1)
	v_mul_f64 v[76:77], v[2:3], v[36:37]
	v_mul_f64 v[36:37], v[4:5], v[36:37]
	v_add_f64 v[62:63], v[62:63], v[169:170]
	v_add_f64 v[60:61], v[60:61], v[167:168]
	s_delay_alu instid0(VALU_DEP_4) | instskip(NEXT) | instid1(VALU_DEP_4)
	v_fma_f64 v[76:77], v[4:5], v[34:35], v[76:77]
	v_fma_f64 v[167:168], v[2:3], v[34:35], -v[36:37]
	scratch_load_b128 v[34:37], off, off offset:864
	ds_load_b128 v[2:5], v1 offset:1680
	s_waitcnt vmcnt(9) lgkmcnt(1)
	v_mul_f64 v[165:166], v[56:57], v[8:9]
	v_mul_f64 v[8:9], v[58:59], v[8:9]
	s_waitcnt vmcnt(8) lgkmcnt(0)
	v_mul_f64 v[169:170], v[2:3], v[12:13]
	v_mul_f64 v[12:13], v[4:5], v[12:13]
	v_add_f64 v[54:55], v[62:63], v[54:55]
	v_add_f64 v[80:81], v[60:61], v[80:81]
	ds_load_b128 v[60:63], v1 offset:1696
	v_fma_f64 v[58:59], v[58:59], v[6:7], v[165:166]
	v_fma_f64 v[56:57], v[56:57], v[6:7], -v[8:9]
	scratch_load_b128 v[6:9], off, off offset:880
	v_fma_f64 v[165:166], v[4:5], v[10:11], v[169:170]
	v_add_f64 v[54:55], v[54:55], v[167:168]
	v_add_f64 v[76:77], v[80:81], v[76:77]
	v_fma_f64 v[167:168], v[2:3], v[10:11], -v[12:13]
	scratch_load_b128 v[10:13], off, off offset:896
	ds_load_b128 v[2:5], v1 offset:1712
	s_waitcnt vmcnt(9) lgkmcnt(1)
	v_mul_f64 v[80:81], v[60:61], v[16:17]
	v_mul_f64 v[16:17], v[62:63], v[16:17]
	v_add_f64 v[169:170], v[54:55], v[56:57]
	v_add_f64 v[58:59], v[76:77], v[58:59]
	s_waitcnt vmcnt(8) lgkmcnt(0)
	v_mul_f64 v[76:77], v[2:3], v[20:21]
	v_mul_f64 v[20:21], v[4:5], v[20:21]
	ds_load_b128 v[54:57], v1 offset:1728
	v_fma_f64 v[62:63], v[62:63], v[14:15], v[80:81]
	v_fma_f64 v[60:61], v[60:61], v[14:15], -v[16:17]
	scratch_load_b128 v[14:17], off, off offset:912
	v_add_f64 v[80:81], v[169:170], v[167:168]
	v_add_f64 v[58:59], v[58:59], v[165:166]
	v_fma_f64 v[76:77], v[4:5], v[18:19], v[76:77]
	v_fma_f64 v[167:168], v[2:3], v[18:19], -v[20:21]
	scratch_load_b128 v[18:21], off, off offset:928
	ds_load_b128 v[2:5], v1 offset:1744
	s_waitcnt vmcnt(9) lgkmcnt(1)
	v_mul_f64 v[165:166], v[54:55], v[24:25]
	v_mul_f64 v[24:25], v[56:57], v[24:25]
	s_waitcnt vmcnt(8) lgkmcnt(0)
	v_mul_f64 v[169:170], v[2:3], v[28:29]
	v_mul_f64 v[28:29], v[4:5], v[28:29]
	v_add_f64 v[80:81], v[80:81], v[60:61]
	v_add_f64 v[62:63], v[58:59], v[62:63]
	ds_load_b128 v[58:61], v1 offset:1760
	v_fma_f64 v[56:57], v[56:57], v[22:23], v[165:166]
	v_fma_f64 v[22:23], v[54:55], v[22:23], -v[24:25]
	v_add_f64 v[24:25], v[80:81], v[167:168]
	v_add_f64 v[54:55], v[62:63], v[76:77]
	s_waitcnt vmcnt(7) lgkmcnt(0)
	v_mul_f64 v[62:63], v[58:59], v[32:33]
	v_mul_f64 v[32:33], v[60:61], v[32:33]
	v_fma_f64 v[76:77], v[4:5], v[26:27], v[169:170]
	v_fma_f64 v[26:27], v[2:3], v[26:27], -v[28:29]
	v_add_f64 v[28:29], v[24:25], v[22:23]
	v_add_f64 v[54:55], v[54:55], v[56:57]
	ds_load_b128 v[2:5], v1 offset:1776
	ds_load_b128 v[22:25], v1 offset:1792
	v_fma_f64 v[60:61], v[60:61], v[30:31], v[62:63]
	v_fma_f64 v[30:31], v[58:59], v[30:31], -v[32:33]
	s_waitcnt vmcnt(6) lgkmcnt(1)
	v_mul_f64 v[56:57], v[2:3], v[40:41]
	v_mul_f64 v[40:41], v[4:5], v[40:41]
	s_waitcnt vmcnt(5) lgkmcnt(0)
	v_mul_f64 v[32:33], v[22:23], v[52:53]
	v_mul_f64 v[52:53], v[24:25], v[52:53]
	v_add_f64 v[26:27], v[28:29], v[26:27]
	v_add_f64 v[28:29], v[54:55], v[76:77]
	v_fma_f64 v[54:55], v[4:5], v[38:39], v[56:57]
	v_fma_f64 v[38:39], v[2:3], v[38:39], -v[40:41]
	v_fma_f64 v[24:25], v[24:25], v[50:51], v[32:33]
	v_fma_f64 v[22:23], v[22:23], v[50:51], -v[52:53]
	v_add_f64 v[30:31], v[26:27], v[30:31]
	v_add_f64 v[40:41], v[28:29], v[60:61]
	ds_load_b128 v[2:5], v1 offset:1808
	ds_load_b128 v[26:29], v1 offset:1824
	s_waitcnt vmcnt(4) lgkmcnt(1)
	v_mul_f64 v[56:57], v[2:3], v[36:37]
	v_mul_f64 v[36:37], v[4:5], v[36:37]
	v_add_f64 v[30:31], v[30:31], v[38:39]
	v_add_f64 v[32:33], v[40:41], v[54:55]
	s_waitcnt vmcnt(3) lgkmcnt(0)
	v_mul_f64 v[38:39], v[26:27], v[8:9]
	v_mul_f64 v[8:9], v[28:29], v[8:9]
	v_fma_f64 v[40:41], v[4:5], v[34:35], v[56:57]
	v_fma_f64 v[34:35], v[2:3], v[34:35], -v[36:37]
	v_add_f64 v[30:31], v[30:31], v[22:23]
	v_add_f64 v[32:33], v[32:33], v[24:25]
	ds_load_b128 v[2:5], v1 offset:1840
	ds_load_b128 v[22:25], v1 offset:1856
	v_fma_f64 v[28:29], v[28:29], v[6:7], v[38:39]
	v_fma_f64 v[6:7], v[26:27], v[6:7], -v[8:9]
	s_waitcnt vmcnt(2) lgkmcnt(1)
	v_mul_f64 v[36:37], v[2:3], v[12:13]
	v_mul_f64 v[12:13], v[4:5], v[12:13]
	v_add_f64 v[8:9], v[30:31], v[34:35]
	v_add_f64 v[26:27], v[32:33], v[40:41]
	s_waitcnt vmcnt(1) lgkmcnt(0)
	v_mul_f64 v[30:31], v[22:23], v[16:17]
	v_mul_f64 v[16:17], v[24:25], v[16:17]
	v_fma_f64 v[32:33], v[4:5], v[10:11], v[36:37]
	v_fma_f64 v[10:11], v[2:3], v[10:11], -v[12:13]
	ds_load_b128 v[2:5], v1 offset:1872
	v_add_f64 v[6:7], v[8:9], v[6:7]
	v_add_f64 v[8:9], v[26:27], v[28:29]
	v_fma_f64 v[24:25], v[24:25], v[14:15], v[30:31]
	v_fma_f64 v[14:15], v[22:23], v[14:15], -v[16:17]
	s_waitcnt vmcnt(0) lgkmcnt(0)
	v_mul_f64 v[12:13], v[2:3], v[20:21]
	v_mul_f64 v[20:21], v[4:5], v[20:21]
	v_add_f64 v[6:7], v[6:7], v[10:11]
	v_add_f64 v[8:9], v[8:9], v[32:33]
	s_delay_alu instid0(VALU_DEP_4) | instskip(NEXT) | instid1(VALU_DEP_4)
	v_fma_f64 v[4:5], v[4:5], v[18:19], v[12:13]
	v_fma_f64 v[2:3], v[2:3], v[18:19], -v[20:21]
	s_delay_alu instid0(VALU_DEP_4) | instskip(NEXT) | instid1(VALU_DEP_4)
	v_add_f64 v[6:7], v[6:7], v[14:15]
	v_add_f64 v[8:9], v[8:9], v[24:25]
	s_delay_alu instid0(VALU_DEP_2) | instskip(NEXT) | instid1(VALU_DEP_2)
	v_add_f64 v[2:3], v[6:7], v[2:3]
	v_add_f64 v[4:5], v[8:9], v[4:5]
	s_delay_alu instid0(VALU_DEP_2) | instskip(NEXT) | instid1(VALU_DEP_2)
	v_add_f64 v[2:3], v[42:43], -v[2:3]
	v_add_f64 v[4:5], v[44:45], -v[4:5]
	scratch_store_b128 off, v[2:5], off offset:528
	v_cmpx_lt_u32_e32 32, v164
	s_cbranch_execz .LBB58_303
; %bb.302:
	scratch_load_b32 v2, off, off offset:944 ; 4-byte Folded Reload
	v_mov_b32_e32 v3, v1
	v_mov_b32_e32 v4, v1
	s_waitcnt vmcnt(0)
	scratch_load_b128 v[5:8], v2, off
	v_mov_b32_e32 v2, v1
	scratch_store_b128 off, v[1:4], off offset:512
	s_waitcnt vmcnt(0)
	ds_store_b128 v223, v[5:8]
.LBB58_303:
	s_or_b32 exec_lo, exec_lo, s2
	s_waitcnt lgkmcnt(0)
	s_waitcnt_vscnt null, 0x0
	s_barrier
	buffer_gl0_inv
	s_clause 0x8
	scratch_load_b128 v[2:5], off, off offset:528
	scratch_load_b128 v[6:9], off, off offset:544
	;; [unrolled: 1-line block ×9, first 2 shown]
	ds_load_b128 v[38:41], v1 offset:1472
	ds_load_b128 v[42:45], v1 offset:1488
	s_clause 0x1
	scratch_load_b128 v[50:53], off, off offset:512
	scratch_load_b128 v[54:57], off, off offset:672
	s_mov_b32 s2, exec_lo
	ds_load_b128 v[203:206], v1 offset:1680
	s_waitcnt vmcnt(10) lgkmcnt(2)
	v_mul_f64 v[58:59], v[40:41], v[4:5]
	v_mul_f64 v[4:5], v[38:39], v[4:5]
	s_waitcnt vmcnt(9) lgkmcnt(1)
	v_mul_f64 v[62:63], v[42:43], v[8:9]
	v_mul_f64 v[8:9], v[44:45], v[8:9]
	s_delay_alu instid0(VALU_DEP_4) | instskip(NEXT) | instid1(VALU_DEP_4)
	v_fma_f64 v[76:77], v[38:39], v[2:3], -v[58:59]
	v_fma_f64 v[80:81], v[40:41], v[2:3], v[4:5]
	ds_load_b128 v[2:5], v1 offset:1504
	ds_load_b128 v[58:61], v1 offset:1520
	scratch_load_b128 v[38:41], off, off offset:688
	v_fma_f64 v[44:45], v[44:45], v[6:7], v[62:63]
	v_fma_f64 v[42:43], v[42:43], v[6:7], -v[8:9]
	scratch_load_b128 v[6:9], off, off offset:704
	s_waitcnt vmcnt(10) lgkmcnt(1)
	v_mul_f64 v[165:166], v[2:3], v[12:13]
	v_mul_f64 v[12:13], v[4:5], v[12:13]
	v_add_f64 v[62:63], v[76:77], 0
	v_add_f64 v[76:77], v[80:81], 0
	s_waitcnt vmcnt(9) lgkmcnt(0)
	v_mul_f64 v[80:81], v[58:59], v[16:17]
	v_mul_f64 v[16:17], v[60:61], v[16:17]
	v_fma_f64 v[165:166], v[4:5], v[10:11], v[165:166]
	v_fma_f64 v[167:168], v[2:3], v[10:11], -v[12:13]
	ds_load_b128 v[2:5], v1 offset:1536
	scratch_load_b128 v[10:13], off, off offset:720
	v_add_f64 v[62:63], v[62:63], v[42:43]
	v_add_f64 v[76:77], v[76:77], v[44:45]
	ds_load_b128 v[42:45], v1 offset:1552
	v_fma_f64 v[60:61], v[60:61], v[14:15], v[80:81]
	v_fma_f64 v[58:59], v[58:59], v[14:15], -v[16:17]
	scratch_load_b128 v[14:17], off, off offset:736
	s_waitcnt vmcnt(10) lgkmcnt(1)
	v_mul_f64 v[169:170], v[2:3], v[20:21]
	v_mul_f64 v[20:21], v[4:5], v[20:21]
	s_waitcnt vmcnt(9) lgkmcnt(0)
	v_mul_f64 v[80:81], v[42:43], v[24:25]
	v_mul_f64 v[24:25], v[44:45], v[24:25]
	v_add_f64 v[62:63], v[62:63], v[167:168]
	v_add_f64 v[76:77], v[76:77], v[165:166]
	v_fma_f64 v[165:166], v[4:5], v[18:19], v[169:170]
	v_fma_f64 v[167:168], v[2:3], v[18:19], -v[20:21]
	ds_load_b128 v[2:5], v1 offset:1568
	scratch_load_b128 v[18:21], off, off offset:752
	v_fma_f64 v[44:45], v[44:45], v[22:23], v[80:81]
	v_fma_f64 v[42:43], v[42:43], v[22:23], -v[24:25]
	scratch_load_b128 v[22:25], off, off offset:768
	v_add_f64 v[62:63], v[62:63], v[58:59]
	v_add_f64 v[76:77], v[76:77], v[60:61]
	ds_load_b128 v[58:61], v1 offset:1584
	s_waitcnt vmcnt(10) lgkmcnt(1)
	v_mul_f64 v[169:170], v[2:3], v[28:29]
	v_mul_f64 v[28:29], v[4:5], v[28:29]
	s_waitcnt vmcnt(9) lgkmcnt(0)
	v_mul_f64 v[80:81], v[58:59], v[32:33]
	v_mul_f64 v[32:33], v[60:61], v[32:33]
	v_add_f64 v[62:63], v[62:63], v[167:168]
	v_add_f64 v[76:77], v[76:77], v[165:166]
	v_fma_f64 v[165:166], v[4:5], v[26:27], v[169:170]
	v_fma_f64 v[167:168], v[2:3], v[26:27], -v[28:29]
	ds_load_b128 v[2:5], v1 offset:1600
	scratch_load_b128 v[26:29], off, off offset:784
	v_fma_f64 v[60:61], v[60:61], v[30:31], v[80:81]
	v_fma_f64 v[58:59], v[58:59], v[30:31], -v[32:33]
	scratch_load_b128 v[30:33], off, off offset:800
	v_add_f64 v[62:63], v[62:63], v[42:43]
	v_add_f64 v[76:77], v[76:77], v[44:45]
	ds_load_b128 v[42:45], v1 offset:1616
	s_waitcnt vmcnt(10) lgkmcnt(1)
	v_mul_f64 v[169:170], v[2:3], v[36:37]
	v_mul_f64 v[36:37], v[4:5], v[36:37]
	s_waitcnt vmcnt(8) lgkmcnt(0)
	v_mul_f64 v[80:81], v[42:43], v[56:57]
	v_add_f64 v[62:63], v[62:63], v[167:168]
	v_add_f64 v[76:77], v[76:77], v[165:166]
	v_mul_f64 v[165:166], v[44:45], v[56:57]
	v_fma_f64 v[167:168], v[4:5], v[34:35], v[169:170]
	v_fma_f64 v[169:170], v[2:3], v[34:35], -v[36:37]
	ds_load_b128 v[2:5], v1 offset:1632
	scratch_load_b128 v[34:37], off, off offset:816
	v_fma_f64 v[44:45], v[44:45], v[54:55], v[80:81]
	v_add_f64 v[62:63], v[62:63], v[58:59]
	v_add_f64 v[60:61], v[76:77], v[60:61]
	ds_load_b128 v[56:59], v1 offset:1648
	v_fma_f64 v[54:55], v[42:43], v[54:55], -v[165:166]
	s_waitcnt vmcnt(8) lgkmcnt(1)
	v_mul_f64 v[76:77], v[2:3], v[40:41]
	v_mul_f64 v[171:172], v[4:5], v[40:41]
	scratch_load_b128 v[40:43], off, off offset:832
	s_waitcnt vmcnt(8) lgkmcnt(0)
	v_mul_f64 v[80:81], v[56:57], v[8:9]
	v_mul_f64 v[8:9], v[58:59], v[8:9]
	v_add_f64 v[62:63], v[62:63], v[169:170]
	v_add_f64 v[60:61], v[60:61], v[167:168]
	v_fma_f64 v[76:77], v[4:5], v[38:39], v[76:77]
	v_fma_f64 v[38:39], v[2:3], v[38:39], -v[171:172]
	ds_load_b128 v[2:5], v1 offset:1664
	v_fma_f64 v[58:59], v[58:59], v[6:7], v[80:81]
	v_fma_f64 v[56:57], v[56:57], v[6:7], -v[8:9]
	scratch_load_b128 v[6:9], off, off offset:864
	v_add_f64 v[54:55], v[62:63], v[54:55]
	v_add_f64 v[44:45], v[60:61], v[44:45]
	scratch_load_b128 v[60:63], off, off offset:848
	s_waitcnt vmcnt(9) lgkmcnt(0)
	v_mul_f64 v[165:166], v[2:3], v[12:13]
	v_mul_f64 v[12:13], v[4:5], v[12:13]
	v_add_f64 v[38:39], v[54:55], v[38:39]
	v_add_f64 v[44:45], v[44:45], v[76:77]
	s_waitcnt vmcnt(8)
	v_mul_f64 v[76:77], v[203:204], v[16:17]
	v_mul_f64 v[16:17], v[205:206], v[16:17]
	v_fma_f64 v[80:81], v[4:5], v[10:11], v[165:166]
	v_fma_f64 v[165:166], v[2:3], v[10:11], -v[12:13]
	ds_load_b128 v[2:5], v1 offset:1696
	scratch_load_b128 v[10:13], off, off offset:880
	v_add_f64 v[38:39], v[38:39], v[56:57]
	v_add_f64 v[44:45], v[44:45], v[58:59]
	ds_load_b128 v[54:57], v1 offset:1712
	s_waitcnt vmcnt(8) lgkmcnt(1)
	v_mul_f64 v[58:59], v[2:3], v[20:21]
	v_mul_f64 v[20:21], v[4:5], v[20:21]
	v_fma_f64 v[76:77], v[205:206], v[14:15], v[76:77]
	v_fma_f64 v[167:168], v[203:204], v[14:15], -v[16:17]
	scratch_load_b128 v[14:17], off, off offset:896
	ds_load_b128 v[203:206], v1 offset:1744
	v_add_f64 v[38:39], v[38:39], v[165:166]
	v_add_f64 v[44:45], v[44:45], v[80:81]
	s_waitcnt vmcnt(8) lgkmcnt(1)
	v_mul_f64 v[80:81], v[54:55], v[24:25]
	v_mul_f64 v[24:25], v[56:57], v[24:25]
	v_fma_f64 v[58:59], v[4:5], v[18:19], v[58:59]
	v_fma_f64 v[165:166], v[2:3], v[18:19], -v[20:21]
	ds_load_b128 v[2:5], v1 offset:1728
	scratch_load_b128 v[18:21], off, off offset:912
	v_add_f64 v[38:39], v[38:39], v[167:168]
	v_add_f64 v[44:45], v[44:45], v[76:77]
	s_waitcnt vmcnt(8) lgkmcnt(0)
	v_mul_f64 v[76:77], v[2:3], v[28:29]
	v_mul_f64 v[28:29], v[4:5], v[28:29]
	v_fma_f64 v[56:57], v[56:57], v[22:23], v[80:81]
	v_fma_f64 v[54:55], v[54:55], v[22:23], -v[24:25]
	scratch_load_b128 v[22:25], off, off offset:928
	v_add_f64 v[38:39], v[38:39], v[165:166]
	v_add_f64 v[44:45], v[44:45], v[58:59]
	s_waitcnt vmcnt(8)
	v_mul_f64 v[58:59], v[203:204], v[32:33]
	v_mul_f64 v[32:33], v[205:206], v[32:33]
	v_fma_f64 v[76:77], v[4:5], v[26:27], v[76:77]
	v_fma_f64 v[80:81], v[2:3], v[26:27], -v[28:29]
	ds_load_b128 v[2:5], v1 offset:1760
	ds_load_b128 v[26:29], v1 offset:1776
	v_add_f64 v[38:39], v[38:39], v[54:55]
	v_add_f64 v[44:45], v[44:45], v[56:57]
	s_waitcnt vmcnt(7) lgkmcnt(1)
	v_mul_f64 v[54:55], v[2:3], v[36:37]
	v_mul_f64 v[36:37], v[4:5], v[36:37]
	v_fma_f64 v[56:57], v[205:206], v[30:31], v[58:59]
	v_fma_f64 v[30:31], v[203:204], v[30:31], -v[32:33]
	v_add_f64 v[32:33], v[38:39], v[80:81]
	v_add_f64 v[38:39], v[44:45], v[76:77]
	s_waitcnt vmcnt(6) lgkmcnt(0)
	v_mul_f64 v[44:45], v[26:27], v[42:43]
	v_mul_f64 v[42:43], v[28:29], v[42:43]
	v_fma_f64 v[54:55], v[4:5], v[34:35], v[54:55]
	v_fma_f64 v[34:35], v[2:3], v[34:35], -v[36:37]
	v_add_f64 v[36:37], v[32:33], v[30:31]
	v_add_f64 v[38:39], v[38:39], v[56:57]
	ds_load_b128 v[2:5], v1 offset:1792
	ds_load_b128 v[30:33], v1 offset:1808
	v_fma_f64 v[28:29], v[28:29], v[40:41], v[44:45]
	v_fma_f64 v[26:27], v[26:27], v[40:41], -v[42:43]
	s_waitcnt vmcnt(4) lgkmcnt(1)
	v_mul_f64 v[56:57], v[2:3], v[62:63]
	v_mul_f64 v[58:59], v[4:5], v[62:63]
	v_add_f64 v[34:35], v[36:37], v[34:35]
	v_add_f64 v[36:37], v[38:39], v[54:55]
	s_waitcnt lgkmcnt(0)
	v_mul_f64 v[38:39], v[30:31], v[8:9]
	v_mul_f64 v[8:9], v[32:33], v[8:9]
	v_fma_f64 v[40:41], v[4:5], v[60:61], v[56:57]
	v_fma_f64 v[42:43], v[2:3], v[60:61], -v[58:59]
	v_add_f64 v[34:35], v[34:35], v[26:27]
	v_add_f64 v[36:37], v[36:37], v[28:29]
	ds_load_b128 v[2:5], v1 offset:1824
	ds_load_b128 v[26:29], v1 offset:1840
	v_fma_f64 v[32:33], v[32:33], v[6:7], v[38:39]
	v_fma_f64 v[6:7], v[30:31], v[6:7], -v[8:9]
	s_waitcnt vmcnt(3) lgkmcnt(1)
	v_mul_f64 v[44:45], v[2:3], v[12:13]
	v_mul_f64 v[12:13], v[4:5], v[12:13]
	v_add_f64 v[8:9], v[34:35], v[42:43]
	v_add_f64 v[30:31], v[36:37], v[40:41]
	s_waitcnt vmcnt(2) lgkmcnt(0)
	v_mul_f64 v[34:35], v[26:27], v[16:17]
	v_mul_f64 v[16:17], v[28:29], v[16:17]
	v_fma_f64 v[36:37], v[4:5], v[10:11], v[44:45]
	v_fma_f64 v[10:11], v[2:3], v[10:11], -v[12:13]
	v_add_f64 v[12:13], v[8:9], v[6:7]
	v_add_f64 v[30:31], v[30:31], v[32:33]
	ds_load_b128 v[2:5], v1 offset:1856
	ds_load_b128 v[6:9], v1 offset:1872
	v_fma_f64 v[28:29], v[28:29], v[14:15], v[34:35]
	v_fma_f64 v[14:15], v[26:27], v[14:15], -v[16:17]
	s_waitcnt vmcnt(1) lgkmcnt(1)
	v_mul_f64 v[32:33], v[2:3], v[20:21]
	v_mul_f64 v[20:21], v[4:5], v[20:21]
	s_waitcnt vmcnt(0) lgkmcnt(0)
	v_mul_f64 v[16:17], v[6:7], v[24:25]
	v_mul_f64 v[24:25], v[8:9], v[24:25]
	v_add_f64 v[10:11], v[12:13], v[10:11]
	v_add_f64 v[12:13], v[30:31], v[36:37]
	v_fma_f64 v[4:5], v[4:5], v[18:19], v[32:33]
	v_fma_f64 v[1:2], v[2:3], v[18:19], -v[20:21]
	v_fma_f64 v[8:9], v[8:9], v[22:23], v[16:17]
	v_fma_f64 v[6:7], v[6:7], v[22:23], -v[24:25]
	v_add_f64 v[10:11], v[10:11], v[14:15]
	v_add_f64 v[12:13], v[12:13], v[28:29]
	s_delay_alu instid0(VALU_DEP_2) | instskip(NEXT) | instid1(VALU_DEP_2)
	v_add_f64 v[1:2], v[10:11], v[1:2]
	v_add_f64 v[3:4], v[12:13], v[4:5]
	s_delay_alu instid0(VALU_DEP_2) | instskip(NEXT) | instid1(VALU_DEP_2)
	;; [unrolled: 3-line block ×3, first 2 shown]
	v_add_f64 v[1:2], v[50:51], -v[1:2]
	v_add_f64 v[3:4], v[52:53], -v[3:4]
	scratch_store_b128 off, v[1:4], off offset:512
	v_cmpx_lt_u32_e32 31, v164
	s_cbranch_execz .LBB58_305
; %bb.304:
	scratch_load_b32 v1, off, off offset:948 ; 4-byte Folded Reload
	v_mov_b32_e32 v5, 0
	s_delay_alu instid0(VALU_DEP_1)
	v_mov_b32_e32 v6, v5
	v_mov_b32_e32 v7, v5
	;; [unrolled: 1-line block ×3, first 2 shown]
	s_waitcnt vmcnt(0)
	scratch_load_b128 v[1:4], v1, off
	scratch_store_b128 off, v[5:8], off offset:496
	s_waitcnt vmcnt(0)
	ds_store_b128 v223, v[1:4]
.LBB58_305:
	s_or_b32 exec_lo, exec_lo, s2
	s_waitcnt lgkmcnt(0)
	s_waitcnt_vscnt null, 0x0
	s_barrier
	buffer_gl0_inv
	s_clause 0x7
	scratch_load_b128 v[2:5], off, off offset:512
	scratch_load_b128 v[6:9], off, off offset:528
	;; [unrolled: 1-line block ×8, first 2 shown]
	v_mov_b32_e32 v1, 0
	s_mov_b32 s2, exec_lo
	ds_load_b128 v[38:41], v1 offset:1456
	s_clause 0x1
	scratch_load_b128 v[34:37], off, off offset:640
	scratch_load_b128 v[42:45], off, off offset:496
	ds_load_b128 v[50:53], v1 offset:1472
	scratch_load_b128 v[54:57], off, off offset:656
	s_waitcnt vmcnt(10) lgkmcnt(1)
	v_mul_f64 v[58:59], v[40:41], v[4:5]
	v_mul_f64 v[4:5], v[38:39], v[4:5]
	s_delay_alu instid0(VALU_DEP_2) | instskip(NEXT) | instid1(VALU_DEP_2)
	v_fma_f64 v[76:77], v[38:39], v[2:3], -v[58:59]
	v_fma_f64 v[80:81], v[40:41], v[2:3], v[4:5]
	scratch_load_b128 v[38:41], off, off offset:672
	ds_load_b128 v[2:5], v1 offset:1488
	s_waitcnt vmcnt(10) lgkmcnt(1)
	v_mul_f64 v[62:63], v[50:51], v[8:9]
	v_mul_f64 v[8:9], v[52:53], v[8:9]
	ds_load_b128 v[58:61], v1 offset:1504
	s_waitcnt vmcnt(9) lgkmcnt(1)
	v_mul_f64 v[165:166], v[2:3], v[12:13]
	v_mul_f64 v[12:13], v[4:5], v[12:13]
	v_fma_f64 v[52:53], v[52:53], v[6:7], v[62:63]
	v_fma_f64 v[50:51], v[50:51], v[6:7], -v[8:9]
	v_add_f64 v[62:63], v[76:77], 0
	v_add_f64 v[76:77], v[80:81], 0
	scratch_load_b128 v[6:9], off, off offset:688
	v_fma_f64 v[165:166], v[4:5], v[10:11], v[165:166]
	v_fma_f64 v[167:168], v[2:3], v[10:11], -v[12:13]
	scratch_load_b128 v[10:13], off, off offset:704
	ds_load_b128 v[2:5], v1 offset:1520
	s_waitcnt vmcnt(10) lgkmcnt(1)
	v_mul_f64 v[80:81], v[58:59], v[16:17]
	v_mul_f64 v[16:17], v[60:61], v[16:17]
	v_add_f64 v[62:63], v[62:63], v[50:51]
	v_add_f64 v[76:77], v[76:77], v[52:53]
	s_waitcnt vmcnt(9) lgkmcnt(0)
	v_mul_f64 v[169:170], v[2:3], v[20:21]
	v_mul_f64 v[20:21], v[4:5], v[20:21]
	ds_load_b128 v[50:53], v1 offset:1536
	v_fma_f64 v[60:61], v[60:61], v[14:15], v[80:81]
	v_fma_f64 v[58:59], v[58:59], v[14:15], -v[16:17]
	scratch_load_b128 v[14:17], off, off offset:720
	v_add_f64 v[62:63], v[62:63], v[167:168]
	v_add_f64 v[76:77], v[76:77], v[165:166]
	v_fma_f64 v[165:166], v[4:5], v[18:19], v[169:170]
	v_fma_f64 v[167:168], v[2:3], v[18:19], -v[20:21]
	scratch_load_b128 v[18:21], off, off offset:736
	ds_load_b128 v[2:5], v1 offset:1552
	s_waitcnt vmcnt(10) lgkmcnt(1)
	v_mul_f64 v[80:81], v[50:51], v[24:25]
	v_mul_f64 v[24:25], v[52:53], v[24:25]
	s_waitcnt vmcnt(9) lgkmcnt(0)
	v_mul_f64 v[169:170], v[2:3], v[28:29]
	v_mul_f64 v[28:29], v[4:5], v[28:29]
	v_add_f64 v[62:63], v[62:63], v[58:59]
	v_add_f64 v[76:77], v[76:77], v[60:61]
	ds_load_b128 v[58:61], v1 offset:1568
	v_fma_f64 v[52:53], v[52:53], v[22:23], v[80:81]
	v_fma_f64 v[50:51], v[50:51], v[22:23], -v[24:25]
	scratch_load_b128 v[22:25], off, off offset:752
	v_add_f64 v[62:63], v[62:63], v[167:168]
	v_add_f64 v[76:77], v[76:77], v[165:166]
	v_fma_f64 v[165:166], v[4:5], v[26:27], v[169:170]
	v_fma_f64 v[167:168], v[2:3], v[26:27], -v[28:29]
	scratch_load_b128 v[26:29], off, off offset:768
	ds_load_b128 v[2:5], v1 offset:1584
	s_waitcnt vmcnt(10) lgkmcnt(1)
	v_mul_f64 v[80:81], v[58:59], v[32:33]
	v_mul_f64 v[32:33], v[60:61], v[32:33]
	s_waitcnt vmcnt(9) lgkmcnt(0)
	v_mul_f64 v[169:170], v[2:3], v[36:37]
	v_mul_f64 v[36:37], v[4:5], v[36:37]
	v_add_f64 v[62:63], v[62:63], v[50:51]
	v_add_f64 v[76:77], v[76:77], v[52:53]
	ds_load_b128 v[50:53], v1 offset:1600
	v_fma_f64 v[60:61], v[60:61], v[30:31], v[80:81]
	v_fma_f64 v[58:59], v[58:59], v[30:31], -v[32:33]
	scratch_load_b128 v[30:33], off, off offset:784
	v_add_f64 v[62:63], v[62:63], v[167:168]
	v_add_f64 v[76:77], v[76:77], v[165:166]
	v_fma_f64 v[167:168], v[4:5], v[34:35], v[169:170]
	v_fma_f64 v[169:170], v[2:3], v[34:35], -v[36:37]
	scratch_load_b128 v[34:37], off, off offset:800
	ds_load_b128 v[2:5], v1 offset:1616
	s_waitcnt vmcnt(9) lgkmcnt(1)
	v_mul_f64 v[80:81], v[50:51], v[56:57]
	v_mul_f64 v[165:166], v[52:53], v[56:57]
	v_add_f64 v[62:63], v[62:63], v[58:59]
	v_add_f64 v[60:61], v[76:77], v[60:61]
	ds_load_b128 v[56:59], v1 offset:1632
	v_fma_f64 v[80:81], v[52:53], v[54:55], v[80:81]
	v_fma_f64 v[54:55], v[50:51], v[54:55], -v[165:166]
	scratch_load_b128 v[50:53], off, off offset:816
	s_waitcnt vmcnt(9) lgkmcnt(1)
	v_mul_f64 v[76:77], v[2:3], v[40:41]
	v_mul_f64 v[40:41], v[4:5], v[40:41]
	v_add_f64 v[62:63], v[62:63], v[169:170]
	v_add_f64 v[60:61], v[60:61], v[167:168]
	s_delay_alu instid0(VALU_DEP_4) | instskip(NEXT) | instid1(VALU_DEP_4)
	v_fma_f64 v[76:77], v[4:5], v[38:39], v[76:77]
	v_fma_f64 v[167:168], v[2:3], v[38:39], -v[40:41]
	scratch_load_b128 v[38:41], off, off offset:832
	ds_load_b128 v[2:5], v1 offset:1648
	s_waitcnt vmcnt(9) lgkmcnt(1)
	v_mul_f64 v[165:166], v[56:57], v[8:9]
	v_mul_f64 v[8:9], v[58:59], v[8:9]
	s_waitcnt vmcnt(8) lgkmcnt(0)
	v_mul_f64 v[169:170], v[2:3], v[12:13]
	v_mul_f64 v[12:13], v[4:5], v[12:13]
	v_add_f64 v[54:55], v[62:63], v[54:55]
	v_add_f64 v[80:81], v[60:61], v[80:81]
	ds_load_b128 v[60:63], v1 offset:1664
	v_fma_f64 v[58:59], v[58:59], v[6:7], v[165:166]
	v_fma_f64 v[56:57], v[56:57], v[6:7], -v[8:9]
	scratch_load_b128 v[6:9], off, off offset:848
	v_fma_f64 v[165:166], v[4:5], v[10:11], v[169:170]
	v_add_f64 v[54:55], v[54:55], v[167:168]
	v_add_f64 v[76:77], v[80:81], v[76:77]
	v_fma_f64 v[167:168], v[2:3], v[10:11], -v[12:13]
	scratch_load_b128 v[10:13], off, off offset:864
	ds_load_b128 v[2:5], v1 offset:1680
	s_waitcnt vmcnt(9) lgkmcnt(1)
	v_mul_f64 v[80:81], v[60:61], v[16:17]
	v_mul_f64 v[16:17], v[62:63], v[16:17]
	v_add_f64 v[169:170], v[54:55], v[56:57]
	v_add_f64 v[58:59], v[76:77], v[58:59]
	s_waitcnt vmcnt(8) lgkmcnt(0)
	v_mul_f64 v[76:77], v[2:3], v[20:21]
	v_mul_f64 v[20:21], v[4:5], v[20:21]
	ds_load_b128 v[54:57], v1 offset:1696
	v_fma_f64 v[62:63], v[62:63], v[14:15], v[80:81]
	v_fma_f64 v[60:61], v[60:61], v[14:15], -v[16:17]
	scratch_load_b128 v[14:17], off, off offset:880
	v_add_f64 v[80:81], v[169:170], v[167:168]
	v_add_f64 v[58:59], v[58:59], v[165:166]
	v_fma_f64 v[76:77], v[4:5], v[18:19], v[76:77]
	v_fma_f64 v[167:168], v[2:3], v[18:19], -v[20:21]
	scratch_load_b128 v[18:21], off, off offset:896
	ds_load_b128 v[2:5], v1 offset:1712
	s_waitcnt vmcnt(9) lgkmcnt(1)
	v_mul_f64 v[165:166], v[54:55], v[24:25]
	v_mul_f64 v[24:25], v[56:57], v[24:25]
	s_waitcnt vmcnt(8) lgkmcnt(0)
	v_mul_f64 v[169:170], v[2:3], v[28:29]
	v_mul_f64 v[28:29], v[4:5], v[28:29]
	v_add_f64 v[80:81], v[80:81], v[60:61]
	v_add_f64 v[62:63], v[58:59], v[62:63]
	ds_load_b128 v[58:61], v1 offset:1728
	v_fma_f64 v[56:57], v[56:57], v[22:23], v[165:166]
	v_fma_f64 v[54:55], v[54:55], v[22:23], -v[24:25]
	scratch_load_b128 v[22:25], off, off offset:912
	v_fma_f64 v[165:166], v[4:5], v[26:27], v[169:170]
	v_add_f64 v[80:81], v[80:81], v[167:168]
	v_add_f64 v[62:63], v[62:63], v[76:77]
	v_fma_f64 v[167:168], v[2:3], v[26:27], -v[28:29]
	scratch_load_b128 v[26:29], off, off offset:928
	ds_load_b128 v[2:5], v1 offset:1744
	s_waitcnt vmcnt(9) lgkmcnt(1)
	v_mul_f64 v[76:77], v[58:59], v[32:33]
	v_mul_f64 v[32:33], v[60:61], v[32:33]
	s_waitcnt vmcnt(8) lgkmcnt(0)
	v_mul_f64 v[169:170], v[2:3], v[36:37]
	v_mul_f64 v[36:37], v[4:5], v[36:37]
	v_add_f64 v[80:81], v[80:81], v[54:55]
	v_add_f64 v[62:63], v[62:63], v[56:57]
	ds_load_b128 v[54:57], v1 offset:1760
	v_fma_f64 v[60:61], v[60:61], v[30:31], v[76:77]
	v_fma_f64 v[30:31], v[58:59], v[30:31], -v[32:33]
	v_fma_f64 v[76:77], v[4:5], v[34:35], v[169:170]
	v_fma_f64 v[34:35], v[2:3], v[34:35], -v[36:37]
	v_add_f64 v[32:33], v[80:81], v[167:168]
	v_add_f64 v[58:59], v[62:63], v[165:166]
	s_waitcnt vmcnt(7) lgkmcnt(0)
	v_mul_f64 v[62:63], v[54:55], v[52:53]
	v_mul_f64 v[52:53], v[56:57], v[52:53]
	s_delay_alu instid0(VALU_DEP_4) | instskip(NEXT) | instid1(VALU_DEP_4)
	v_add_f64 v[36:37], v[32:33], v[30:31]
	v_add_f64 v[58:59], v[58:59], v[60:61]
	ds_load_b128 v[2:5], v1 offset:1776
	ds_load_b128 v[30:33], v1 offset:1792
	v_fma_f64 v[56:57], v[56:57], v[50:51], v[62:63]
	v_fma_f64 v[50:51], v[54:55], v[50:51], -v[52:53]
	s_waitcnt vmcnt(6) lgkmcnt(1)
	v_mul_f64 v[60:61], v[2:3], v[40:41]
	v_mul_f64 v[40:41], v[4:5], v[40:41]
	s_waitcnt vmcnt(5) lgkmcnt(0)
	v_mul_f64 v[52:53], v[30:31], v[8:9]
	v_mul_f64 v[8:9], v[32:33], v[8:9]
	v_add_f64 v[34:35], v[36:37], v[34:35]
	v_add_f64 v[36:37], v[58:59], v[76:77]
	v_fma_f64 v[54:55], v[4:5], v[38:39], v[60:61]
	v_fma_f64 v[38:39], v[2:3], v[38:39], -v[40:41]
	v_fma_f64 v[32:33], v[32:33], v[6:7], v[52:53]
	v_fma_f64 v[6:7], v[30:31], v[6:7], -v[8:9]
	v_add_f64 v[40:41], v[34:35], v[50:51]
	v_add_f64 v[50:51], v[36:37], v[56:57]
	ds_load_b128 v[2:5], v1 offset:1808
	ds_load_b128 v[34:37], v1 offset:1824
	s_waitcnt vmcnt(4) lgkmcnt(1)
	v_mul_f64 v[56:57], v[2:3], v[12:13]
	v_mul_f64 v[12:13], v[4:5], v[12:13]
	v_add_f64 v[8:9], v[40:41], v[38:39]
	v_add_f64 v[30:31], v[50:51], v[54:55]
	s_waitcnt vmcnt(3) lgkmcnt(0)
	v_mul_f64 v[38:39], v[34:35], v[16:17]
	v_mul_f64 v[16:17], v[36:37], v[16:17]
	v_fma_f64 v[40:41], v[4:5], v[10:11], v[56:57]
	v_fma_f64 v[10:11], v[2:3], v[10:11], -v[12:13]
	v_add_f64 v[12:13], v[8:9], v[6:7]
	v_add_f64 v[30:31], v[30:31], v[32:33]
	ds_load_b128 v[2:5], v1 offset:1840
	ds_load_b128 v[6:9], v1 offset:1856
	v_fma_f64 v[36:37], v[36:37], v[14:15], v[38:39]
	v_fma_f64 v[14:15], v[34:35], v[14:15], -v[16:17]
	s_waitcnt vmcnt(2) lgkmcnt(1)
	v_mul_f64 v[32:33], v[2:3], v[20:21]
	v_mul_f64 v[20:21], v[4:5], v[20:21]
	s_waitcnt vmcnt(1) lgkmcnt(0)
	v_mul_f64 v[16:17], v[6:7], v[24:25]
	v_mul_f64 v[24:25], v[8:9], v[24:25]
	v_add_f64 v[10:11], v[12:13], v[10:11]
	v_add_f64 v[12:13], v[30:31], v[40:41]
	v_fma_f64 v[30:31], v[4:5], v[18:19], v[32:33]
	v_fma_f64 v[18:19], v[2:3], v[18:19], -v[20:21]
	ds_load_b128 v[2:5], v1 offset:1872
	v_fma_f64 v[8:9], v[8:9], v[22:23], v[16:17]
	v_fma_f64 v[6:7], v[6:7], v[22:23], -v[24:25]
	v_add_f64 v[10:11], v[10:11], v[14:15]
	v_add_f64 v[12:13], v[12:13], v[36:37]
	s_waitcnt vmcnt(0) lgkmcnt(0)
	v_mul_f64 v[14:15], v[2:3], v[28:29]
	v_mul_f64 v[20:21], v[4:5], v[28:29]
	s_delay_alu instid0(VALU_DEP_4) | instskip(NEXT) | instid1(VALU_DEP_4)
	v_add_f64 v[10:11], v[10:11], v[18:19]
	v_add_f64 v[12:13], v[12:13], v[30:31]
	s_delay_alu instid0(VALU_DEP_4) | instskip(NEXT) | instid1(VALU_DEP_4)
	v_fma_f64 v[4:5], v[4:5], v[26:27], v[14:15]
	v_fma_f64 v[2:3], v[2:3], v[26:27], -v[20:21]
	s_delay_alu instid0(VALU_DEP_4) | instskip(NEXT) | instid1(VALU_DEP_4)
	v_add_f64 v[6:7], v[10:11], v[6:7]
	v_add_f64 v[8:9], v[12:13], v[8:9]
	s_delay_alu instid0(VALU_DEP_2) | instskip(NEXT) | instid1(VALU_DEP_2)
	v_add_f64 v[2:3], v[6:7], v[2:3]
	v_add_f64 v[4:5], v[8:9], v[4:5]
	s_delay_alu instid0(VALU_DEP_2) | instskip(NEXT) | instid1(VALU_DEP_2)
	v_add_f64 v[2:3], v[42:43], -v[2:3]
	v_add_f64 v[4:5], v[44:45], -v[4:5]
	scratch_store_b128 off, v[2:5], off offset:496
	v_cmpx_lt_u32_e32 30, v164
	s_cbranch_execz .LBB58_307
; %bb.306:
	scratch_load_b32 v2, off, off offset:952 ; 4-byte Folded Reload
	v_mov_b32_e32 v3, v1
	v_mov_b32_e32 v4, v1
	s_waitcnt vmcnt(0)
	scratch_load_b128 v[5:8], v2, off
	v_mov_b32_e32 v2, v1
	scratch_store_b128 off, v[1:4], off offset:480
	s_waitcnt vmcnt(0)
	ds_store_b128 v223, v[5:8]
.LBB58_307:
	s_or_b32 exec_lo, exec_lo, s2
	s_waitcnt lgkmcnt(0)
	s_waitcnt_vscnt null, 0x0
	s_barrier
	buffer_gl0_inv
	s_clause 0x8
	scratch_load_b128 v[2:5], off, off offset:496
	scratch_load_b128 v[6:9], off, off offset:512
	;; [unrolled: 1-line block ×9, first 2 shown]
	ds_load_b128 v[42:45], v1 offset:1440
	ds_load_b128 v[38:41], v1 offset:1456
	s_clause 0x1
	scratch_load_b128 v[50:53], off, off offset:480
	scratch_load_b128 v[54:57], off, off offset:640
	s_mov_b32 s2, exec_lo
	s_waitcnt vmcnt(10) lgkmcnt(1)
	v_mul_f64 v[58:59], v[44:45], v[4:5]
	v_mul_f64 v[4:5], v[42:43], v[4:5]
	s_waitcnt vmcnt(9) lgkmcnt(0)
	v_mul_f64 v[62:63], v[38:39], v[8:9]
	v_mul_f64 v[8:9], v[40:41], v[8:9]
	s_delay_alu instid0(VALU_DEP_4) | instskip(NEXT) | instid1(VALU_DEP_4)
	v_fma_f64 v[76:77], v[42:43], v[2:3], -v[58:59]
	v_fma_f64 v[80:81], v[44:45], v[2:3], v[4:5]
	ds_load_b128 v[2:5], v1 offset:1472
	ds_load_b128 v[58:61], v1 offset:1488
	scratch_load_b128 v[42:45], off, off offset:656
	v_fma_f64 v[40:41], v[40:41], v[6:7], v[62:63]
	v_fma_f64 v[38:39], v[38:39], v[6:7], -v[8:9]
	scratch_load_b128 v[6:9], off, off offset:672
	s_waitcnt vmcnt(10) lgkmcnt(1)
	v_mul_f64 v[165:166], v[2:3], v[12:13]
	v_mul_f64 v[12:13], v[4:5], v[12:13]
	v_add_f64 v[62:63], v[76:77], 0
	v_add_f64 v[76:77], v[80:81], 0
	s_waitcnt vmcnt(9) lgkmcnt(0)
	v_mul_f64 v[80:81], v[58:59], v[16:17]
	v_mul_f64 v[16:17], v[60:61], v[16:17]
	v_fma_f64 v[165:166], v[4:5], v[10:11], v[165:166]
	v_fma_f64 v[167:168], v[2:3], v[10:11], -v[12:13]
	ds_load_b128 v[2:5], v1 offset:1504
	scratch_load_b128 v[10:13], off, off offset:688
	v_add_f64 v[62:63], v[62:63], v[38:39]
	v_add_f64 v[76:77], v[76:77], v[40:41]
	ds_load_b128 v[38:41], v1 offset:1520
	v_fma_f64 v[60:61], v[60:61], v[14:15], v[80:81]
	v_fma_f64 v[58:59], v[58:59], v[14:15], -v[16:17]
	scratch_load_b128 v[14:17], off, off offset:704
	s_waitcnt vmcnt(10) lgkmcnt(1)
	v_mul_f64 v[169:170], v[2:3], v[20:21]
	v_mul_f64 v[20:21], v[4:5], v[20:21]
	s_waitcnt vmcnt(9) lgkmcnt(0)
	v_mul_f64 v[80:81], v[38:39], v[24:25]
	v_mul_f64 v[24:25], v[40:41], v[24:25]
	v_add_f64 v[62:63], v[62:63], v[167:168]
	v_add_f64 v[76:77], v[76:77], v[165:166]
	v_fma_f64 v[165:166], v[4:5], v[18:19], v[169:170]
	v_fma_f64 v[167:168], v[2:3], v[18:19], -v[20:21]
	ds_load_b128 v[2:5], v1 offset:1536
	scratch_load_b128 v[18:21], off, off offset:720
	v_fma_f64 v[40:41], v[40:41], v[22:23], v[80:81]
	v_fma_f64 v[38:39], v[38:39], v[22:23], -v[24:25]
	scratch_load_b128 v[22:25], off, off offset:736
	v_add_f64 v[62:63], v[62:63], v[58:59]
	v_add_f64 v[76:77], v[76:77], v[60:61]
	ds_load_b128 v[58:61], v1 offset:1552
	s_waitcnt vmcnt(10) lgkmcnt(1)
	v_mul_f64 v[169:170], v[2:3], v[28:29]
	v_mul_f64 v[28:29], v[4:5], v[28:29]
	s_waitcnt vmcnt(9) lgkmcnt(0)
	v_mul_f64 v[80:81], v[58:59], v[32:33]
	v_mul_f64 v[32:33], v[60:61], v[32:33]
	v_add_f64 v[62:63], v[62:63], v[167:168]
	v_add_f64 v[76:77], v[76:77], v[165:166]
	v_fma_f64 v[165:166], v[4:5], v[26:27], v[169:170]
	v_fma_f64 v[167:168], v[2:3], v[26:27], -v[28:29]
	ds_load_b128 v[2:5], v1 offset:1568
	scratch_load_b128 v[26:29], off, off offset:752
	v_fma_f64 v[60:61], v[60:61], v[30:31], v[80:81]
	v_fma_f64 v[58:59], v[58:59], v[30:31], -v[32:33]
	scratch_load_b128 v[30:33], off, off offset:768
	v_add_f64 v[62:63], v[62:63], v[38:39]
	v_add_f64 v[76:77], v[76:77], v[40:41]
	ds_load_b128 v[38:41], v1 offset:1584
	s_waitcnt vmcnt(10) lgkmcnt(1)
	v_mul_f64 v[169:170], v[2:3], v[36:37]
	v_mul_f64 v[36:37], v[4:5], v[36:37]
	s_waitcnt vmcnt(8) lgkmcnt(0)
	v_mul_f64 v[80:81], v[38:39], v[56:57]
	v_add_f64 v[62:63], v[62:63], v[167:168]
	v_add_f64 v[76:77], v[76:77], v[165:166]
	v_mul_f64 v[165:166], v[40:41], v[56:57]
	v_fma_f64 v[167:168], v[4:5], v[34:35], v[169:170]
	v_fma_f64 v[169:170], v[2:3], v[34:35], -v[36:37]
	ds_load_b128 v[2:5], v1 offset:1600
	scratch_load_b128 v[34:37], off, off offset:784
	v_fma_f64 v[80:81], v[40:41], v[54:55], v[80:81]
	v_add_f64 v[62:63], v[62:63], v[58:59]
	v_add_f64 v[60:61], v[76:77], v[60:61]
	ds_load_b128 v[56:59], v1 offset:1616
	v_fma_f64 v[54:55], v[38:39], v[54:55], -v[165:166]
	scratch_load_b128 v[38:41], off, off offset:800
	s_waitcnt vmcnt(9) lgkmcnt(1)
	v_mul_f64 v[76:77], v[2:3], v[44:45]
	v_mul_f64 v[44:45], v[4:5], v[44:45]
	s_waitcnt vmcnt(8) lgkmcnt(0)
	v_mul_f64 v[165:166], v[56:57], v[8:9]
	v_mul_f64 v[8:9], v[58:59], v[8:9]
	v_add_f64 v[62:63], v[62:63], v[169:170]
	v_add_f64 v[60:61], v[60:61], v[167:168]
	v_fma_f64 v[76:77], v[4:5], v[42:43], v[76:77]
	v_fma_f64 v[167:168], v[2:3], v[42:43], -v[44:45]
	ds_load_b128 v[2:5], v1 offset:1632
	scratch_load_b128 v[42:45], off, off offset:816
	v_fma_f64 v[58:59], v[58:59], v[6:7], v[165:166]
	v_fma_f64 v[56:57], v[56:57], v[6:7], -v[8:9]
	scratch_load_b128 v[6:9], off, off offset:832
	v_add_f64 v[54:55], v[62:63], v[54:55]
	v_add_f64 v[80:81], v[60:61], v[80:81]
	ds_load_b128 v[60:63], v1 offset:1648
	s_waitcnt vmcnt(9) lgkmcnt(1)
	v_mul_f64 v[169:170], v[2:3], v[12:13]
	v_mul_f64 v[12:13], v[4:5], v[12:13]
	v_add_f64 v[54:55], v[54:55], v[167:168]
	v_add_f64 v[76:77], v[80:81], v[76:77]
	s_waitcnt vmcnt(8) lgkmcnt(0)
	v_mul_f64 v[80:81], v[60:61], v[16:17]
	v_mul_f64 v[16:17], v[62:63], v[16:17]
	v_fma_f64 v[165:166], v[4:5], v[10:11], v[169:170]
	v_fma_f64 v[167:168], v[2:3], v[10:11], -v[12:13]
	ds_load_b128 v[2:5], v1 offset:1664
	scratch_load_b128 v[10:13], off, off offset:848
	v_add_f64 v[169:170], v[54:55], v[56:57]
	v_add_f64 v[58:59], v[76:77], v[58:59]
	ds_load_b128 v[54:57], v1 offset:1680
	s_waitcnt vmcnt(8) lgkmcnt(1)
	v_mul_f64 v[76:77], v[2:3], v[20:21]
	v_mul_f64 v[20:21], v[4:5], v[20:21]
	v_fma_f64 v[62:63], v[62:63], v[14:15], v[80:81]
	v_fma_f64 v[60:61], v[60:61], v[14:15], -v[16:17]
	scratch_load_b128 v[14:17], off, off offset:864
	v_add_f64 v[80:81], v[169:170], v[167:168]
	v_add_f64 v[58:59], v[58:59], v[165:166]
	s_waitcnt vmcnt(8) lgkmcnt(0)
	v_mul_f64 v[165:166], v[54:55], v[24:25]
	v_mul_f64 v[24:25], v[56:57], v[24:25]
	v_fma_f64 v[76:77], v[4:5], v[18:19], v[76:77]
	v_fma_f64 v[167:168], v[2:3], v[18:19], -v[20:21]
	ds_load_b128 v[2:5], v1 offset:1696
	scratch_load_b128 v[18:21], off, off offset:880
	v_add_f64 v[80:81], v[80:81], v[60:61]
	v_add_f64 v[62:63], v[58:59], v[62:63]
	ds_load_b128 v[58:61], v1 offset:1712
	s_waitcnt vmcnt(8) lgkmcnt(1)
	v_mul_f64 v[169:170], v[2:3], v[28:29]
	v_mul_f64 v[28:29], v[4:5], v[28:29]
	v_fma_f64 v[56:57], v[56:57], v[22:23], v[165:166]
	v_fma_f64 v[54:55], v[54:55], v[22:23], -v[24:25]
	scratch_load_b128 v[22:25], off, off offset:896
	;; [unrolled: 18-line block ×3, first 2 shown]
	v_add_f64 v[76:77], v[80:81], v[167:168]
	v_add_f64 v[62:63], v[62:63], v[165:166]
	s_waitcnt vmcnt(8) lgkmcnt(0)
	v_mul_f64 v[80:81], v[54:55], v[40:41]
	v_mul_f64 v[40:41], v[56:57], v[40:41]
	v_fma_f64 v[165:166], v[4:5], v[34:35], v[169:170]
	v_fma_f64 v[167:168], v[2:3], v[34:35], -v[36:37]
	ds_load_b128 v[2:5], v1 offset:1760
	ds_load_b128 v[34:37], v1 offset:1776
	v_add_f64 v[58:59], v[76:77], v[58:59]
	v_add_f64 v[60:61], v[62:63], v[60:61]
	s_waitcnt vmcnt(7) lgkmcnt(1)
	v_mul_f64 v[62:63], v[2:3], v[44:45]
	v_mul_f64 v[44:45], v[4:5], v[44:45]
	v_fma_f64 v[56:57], v[56:57], v[38:39], v[80:81]
	v_fma_f64 v[38:39], v[54:55], v[38:39], -v[40:41]
	v_add_f64 v[40:41], v[58:59], v[167:168]
	v_add_f64 v[54:55], v[60:61], v[165:166]
	s_waitcnt vmcnt(6) lgkmcnt(0)
	v_mul_f64 v[58:59], v[34:35], v[8:9]
	v_mul_f64 v[8:9], v[36:37], v[8:9]
	v_fma_f64 v[60:61], v[4:5], v[42:43], v[62:63]
	v_fma_f64 v[42:43], v[2:3], v[42:43], -v[44:45]
	v_add_f64 v[44:45], v[40:41], v[38:39]
	v_add_f64 v[54:55], v[54:55], v[56:57]
	ds_load_b128 v[2:5], v1 offset:1792
	ds_load_b128 v[38:41], v1 offset:1808
	v_fma_f64 v[36:37], v[36:37], v[6:7], v[58:59]
	v_fma_f64 v[6:7], v[34:35], v[6:7], -v[8:9]
	s_waitcnt vmcnt(5) lgkmcnt(1)
	v_mul_f64 v[56:57], v[2:3], v[12:13]
	v_mul_f64 v[12:13], v[4:5], v[12:13]
	v_add_f64 v[8:9], v[44:45], v[42:43]
	v_add_f64 v[34:35], v[54:55], v[60:61]
	s_waitcnt vmcnt(4) lgkmcnt(0)
	v_mul_f64 v[42:43], v[38:39], v[16:17]
	v_mul_f64 v[16:17], v[40:41], v[16:17]
	v_fma_f64 v[44:45], v[4:5], v[10:11], v[56:57]
	v_fma_f64 v[10:11], v[2:3], v[10:11], -v[12:13]
	v_add_f64 v[12:13], v[8:9], v[6:7]
	v_add_f64 v[34:35], v[34:35], v[36:37]
	ds_load_b128 v[2:5], v1 offset:1824
	ds_load_b128 v[6:9], v1 offset:1840
	v_fma_f64 v[40:41], v[40:41], v[14:15], v[42:43]
	v_fma_f64 v[14:15], v[38:39], v[14:15], -v[16:17]
	s_waitcnt vmcnt(3) lgkmcnt(1)
	v_mul_f64 v[36:37], v[2:3], v[20:21]
	v_mul_f64 v[20:21], v[4:5], v[20:21]
	s_waitcnt vmcnt(2) lgkmcnt(0)
	v_mul_f64 v[16:17], v[6:7], v[24:25]
	v_mul_f64 v[24:25], v[8:9], v[24:25]
	v_add_f64 v[10:11], v[12:13], v[10:11]
	v_add_f64 v[12:13], v[34:35], v[44:45]
	v_fma_f64 v[34:35], v[4:5], v[18:19], v[36:37]
	v_fma_f64 v[18:19], v[2:3], v[18:19], -v[20:21]
	v_fma_f64 v[8:9], v[8:9], v[22:23], v[16:17]
	v_fma_f64 v[6:7], v[6:7], v[22:23], -v[24:25]
	v_add_f64 v[14:15], v[10:11], v[14:15]
	v_add_f64 v[20:21], v[12:13], v[40:41]
	ds_load_b128 v[2:5], v1 offset:1856
	ds_load_b128 v[10:13], v1 offset:1872
	s_waitcnt vmcnt(1) lgkmcnt(1)
	v_mul_f64 v[36:37], v[2:3], v[28:29]
	v_mul_f64 v[28:29], v[4:5], v[28:29]
	v_add_f64 v[14:15], v[14:15], v[18:19]
	v_add_f64 v[16:17], v[20:21], v[34:35]
	s_waitcnt vmcnt(0) lgkmcnt(0)
	v_mul_f64 v[18:19], v[10:11], v[32:33]
	v_mul_f64 v[20:21], v[12:13], v[32:33]
	v_fma_f64 v[4:5], v[4:5], v[26:27], v[36:37]
	v_fma_f64 v[1:2], v[2:3], v[26:27], -v[28:29]
	v_add_f64 v[6:7], v[14:15], v[6:7]
	v_add_f64 v[8:9], v[16:17], v[8:9]
	v_fma_f64 v[12:13], v[12:13], v[30:31], v[18:19]
	v_fma_f64 v[10:11], v[10:11], v[30:31], -v[20:21]
	s_delay_alu instid0(VALU_DEP_4) | instskip(NEXT) | instid1(VALU_DEP_4)
	v_add_f64 v[1:2], v[6:7], v[1:2]
	v_add_f64 v[3:4], v[8:9], v[4:5]
	s_delay_alu instid0(VALU_DEP_2) | instskip(NEXT) | instid1(VALU_DEP_2)
	v_add_f64 v[1:2], v[1:2], v[10:11]
	v_add_f64 v[3:4], v[3:4], v[12:13]
	s_delay_alu instid0(VALU_DEP_2) | instskip(NEXT) | instid1(VALU_DEP_2)
	v_add_f64 v[1:2], v[50:51], -v[1:2]
	v_add_f64 v[3:4], v[52:53], -v[3:4]
	scratch_store_b128 off, v[1:4], off offset:480
	v_cmpx_lt_u32_e32 29, v164
	s_cbranch_execz .LBB58_309
; %bb.308:
	scratch_load_b32 v1, off, off offset:956 ; 4-byte Folded Reload
	v_mov_b32_e32 v5, 0
	s_delay_alu instid0(VALU_DEP_1)
	v_mov_b32_e32 v6, v5
	v_mov_b32_e32 v7, v5
	;; [unrolled: 1-line block ×3, first 2 shown]
	s_waitcnt vmcnt(0)
	scratch_load_b128 v[1:4], v1, off
	scratch_store_b128 off, v[5:8], off offset:464
	s_waitcnt vmcnt(0)
	ds_store_b128 v223, v[1:4]
.LBB58_309:
	s_or_b32 exec_lo, exec_lo, s2
	s_waitcnt lgkmcnt(0)
	s_waitcnt_vscnt null, 0x0
	s_barrier
	buffer_gl0_inv
	s_clause 0x7
	scratch_load_b128 v[2:5], off, off offset:480
	scratch_load_b128 v[6:9], off, off offset:496
	;; [unrolled: 1-line block ×8, first 2 shown]
	v_mov_b32_e32 v1, 0
	s_mov_b32 s2, exec_lo
	ds_load_b128 v[38:41], v1 offset:1424
	s_clause 0x1
	scratch_load_b128 v[34:37], off, off offset:608
	scratch_load_b128 v[42:45], off, off offset:464
	ds_load_b128 v[50:53], v1 offset:1440
	scratch_load_b128 v[54:57], off, off offset:624
	s_waitcnt vmcnt(10) lgkmcnt(1)
	v_mul_f64 v[58:59], v[40:41], v[4:5]
	v_mul_f64 v[4:5], v[38:39], v[4:5]
	s_delay_alu instid0(VALU_DEP_2) | instskip(NEXT) | instid1(VALU_DEP_2)
	v_fma_f64 v[76:77], v[38:39], v[2:3], -v[58:59]
	v_fma_f64 v[80:81], v[40:41], v[2:3], v[4:5]
	scratch_load_b128 v[38:41], off, off offset:640
	ds_load_b128 v[2:5], v1 offset:1456
	s_waitcnt vmcnt(10) lgkmcnt(1)
	v_mul_f64 v[62:63], v[50:51], v[8:9]
	v_mul_f64 v[8:9], v[52:53], v[8:9]
	ds_load_b128 v[58:61], v1 offset:1472
	s_waitcnt vmcnt(9) lgkmcnt(1)
	v_mul_f64 v[165:166], v[2:3], v[12:13]
	v_mul_f64 v[12:13], v[4:5], v[12:13]
	v_fma_f64 v[52:53], v[52:53], v[6:7], v[62:63]
	v_fma_f64 v[50:51], v[50:51], v[6:7], -v[8:9]
	v_add_f64 v[62:63], v[76:77], 0
	v_add_f64 v[76:77], v[80:81], 0
	scratch_load_b128 v[6:9], off, off offset:656
	v_fma_f64 v[165:166], v[4:5], v[10:11], v[165:166]
	v_fma_f64 v[167:168], v[2:3], v[10:11], -v[12:13]
	scratch_load_b128 v[10:13], off, off offset:672
	ds_load_b128 v[2:5], v1 offset:1488
	s_waitcnt vmcnt(10) lgkmcnt(1)
	v_mul_f64 v[80:81], v[58:59], v[16:17]
	v_mul_f64 v[16:17], v[60:61], v[16:17]
	v_add_f64 v[62:63], v[62:63], v[50:51]
	v_add_f64 v[76:77], v[76:77], v[52:53]
	s_waitcnt vmcnt(9) lgkmcnt(0)
	v_mul_f64 v[169:170], v[2:3], v[20:21]
	v_mul_f64 v[20:21], v[4:5], v[20:21]
	ds_load_b128 v[50:53], v1 offset:1504
	v_fma_f64 v[60:61], v[60:61], v[14:15], v[80:81]
	v_fma_f64 v[58:59], v[58:59], v[14:15], -v[16:17]
	scratch_load_b128 v[14:17], off, off offset:688
	v_add_f64 v[62:63], v[62:63], v[167:168]
	v_add_f64 v[76:77], v[76:77], v[165:166]
	v_fma_f64 v[165:166], v[4:5], v[18:19], v[169:170]
	v_fma_f64 v[167:168], v[2:3], v[18:19], -v[20:21]
	scratch_load_b128 v[18:21], off, off offset:704
	ds_load_b128 v[2:5], v1 offset:1520
	s_waitcnt vmcnt(10) lgkmcnt(1)
	v_mul_f64 v[80:81], v[50:51], v[24:25]
	v_mul_f64 v[24:25], v[52:53], v[24:25]
	s_waitcnt vmcnt(9) lgkmcnt(0)
	v_mul_f64 v[169:170], v[2:3], v[28:29]
	v_mul_f64 v[28:29], v[4:5], v[28:29]
	v_add_f64 v[62:63], v[62:63], v[58:59]
	v_add_f64 v[76:77], v[76:77], v[60:61]
	ds_load_b128 v[58:61], v1 offset:1536
	v_fma_f64 v[52:53], v[52:53], v[22:23], v[80:81]
	v_fma_f64 v[50:51], v[50:51], v[22:23], -v[24:25]
	scratch_load_b128 v[22:25], off, off offset:720
	v_add_f64 v[62:63], v[62:63], v[167:168]
	v_add_f64 v[76:77], v[76:77], v[165:166]
	v_fma_f64 v[165:166], v[4:5], v[26:27], v[169:170]
	v_fma_f64 v[167:168], v[2:3], v[26:27], -v[28:29]
	scratch_load_b128 v[26:29], off, off offset:736
	ds_load_b128 v[2:5], v1 offset:1552
	s_waitcnt vmcnt(10) lgkmcnt(1)
	v_mul_f64 v[80:81], v[58:59], v[32:33]
	v_mul_f64 v[32:33], v[60:61], v[32:33]
	s_waitcnt vmcnt(9) lgkmcnt(0)
	v_mul_f64 v[169:170], v[2:3], v[36:37]
	v_mul_f64 v[36:37], v[4:5], v[36:37]
	v_add_f64 v[62:63], v[62:63], v[50:51]
	v_add_f64 v[76:77], v[76:77], v[52:53]
	ds_load_b128 v[50:53], v1 offset:1568
	v_fma_f64 v[60:61], v[60:61], v[30:31], v[80:81]
	v_fma_f64 v[58:59], v[58:59], v[30:31], -v[32:33]
	scratch_load_b128 v[30:33], off, off offset:752
	v_add_f64 v[62:63], v[62:63], v[167:168]
	v_add_f64 v[76:77], v[76:77], v[165:166]
	v_fma_f64 v[167:168], v[4:5], v[34:35], v[169:170]
	v_fma_f64 v[169:170], v[2:3], v[34:35], -v[36:37]
	scratch_load_b128 v[34:37], off, off offset:768
	ds_load_b128 v[2:5], v1 offset:1584
	s_waitcnt vmcnt(9) lgkmcnt(1)
	v_mul_f64 v[80:81], v[50:51], v[56:57]
	v_mul_f64 v[165:166], v[52:53], v[56:57]
	v_add_f64 v[62:63], v[62:63], v[58:59]
	v_add_f64 v[60:61], v[76:77], v[60:61]
	ds_load_b128 v[56:59], v1 offset:1600
	v_fma_f64 v[80:81], v[52:53], v[54:55], v[80:81]
	v_fma_f64 v[54:55], v[50:51], v[54:55], -v[165:166]
	scratch_load_b128 v[50:53], off, off offset:784
	s_waitcnt vmcnt(9) lgkmcnt(1)
	v_mul_f64 v[76:77], v[2:3], v[40:41]
	v_mul_f64 v[40:41], v[4:5], v[40:41]
	v_add_f64 v[62:63], v[62:63], v[169:170]
	v_add_f64 v[60:61], v[60:61], v[167:168]
	s_delay_alu instid0(VALU_DEP_4) | instskip(NEXT) | instid1(VALU_DEP_4)
	v_fma_f64 v[76:77], v[4:5], v[38:39], v[76:77]
	v_fma_f64 v[167:168], v[2:3], v[38:39], -v[40:41]
	scratch_load_b128 v[38:41], off, off offset:800
	ds_load_b128 v[2:5], v1 offset:1616
	s_waitcnt vmcnt(9) lgkmcnt(1)
	v_mul_f64 v[165:166], v[56:57], v[8:9]
	v_mul_f64 v[8:9], v[58:59], v[8:9]
	s_waitcnt vmcnt(8) lgkmcnt(0)
	v_mul_f64 v[169:170], v[2:3], v[12:13]
	v_mul_f64 v[12:13], v[4:5], v[12:13]
	v_add_f64 v[54:55], v[62:63], v[54:55]
	v_add_f64 v[80:81], v[60:61], v[80:81]
	ds_load_b128 v[60:63], v1 offset:1632
	v_fma_f64 v[58:59], v[58:59], v[6:7], v[165:166]
	v_fma_f64 v[56:57], v[56:57], v[6:7], -v[8:9]
	scratch_load_b128 v[6:9], off, off offset:816
	v_fma_f64 v[165:166], v[4:5], v[10:11], v[169:170]
	v_add_f64 v[54:55], v[54:55], v[167:168]
	v_add_f64 v[76:77], v[80:81], v[76:77]
	v_fma_f64 v[167:168], v[2:3], v[10:11], -v[12:13]
	scratch_load_b128 v[10:13], off, off offset:832
	ds_load_b128 v[2:5], v1 offset:1648
	s_waitcnt vmcnt(9) lgkmcnt(1)
	v_mul_f64 v[80:81], v[60:61], v[16:17]
	v_mul_f64 v[16:17], v[62:63], v[16:17]
	v_add_f64 v[169:170], v[54:55], v[56:57]
	v_add_f64 v[58:59], v[76:77], v[58:59]
	s_waitcnt vmcnt(8) lgkmcnt(0)
	v_mul_f64 v[76:77], v[2:3], v[20:21]
	v_mul_f64 v[20:21], v[4:5], v[20:21]
	ds_load_b128 v[54:57], v1 offset:1664
	v_fma_f64 v[62:63], v[62:63], v[14:15], v[80:81]
	v_fma_f64 v[60:61], v[60:61], v[14:15], -v[16:17]
	scratch_load_b128 v[14:17], off, off offset:848
	v_add_f64 v[80:81], v[169:170], v[167:168]
	v_add_f64 v[58:59], v[58:59], v[165:166]
	v_fma_f64 v[76:77], v[4:5], v[18:19], v[76:77]
	v_fma_f64 v[167:168], v[2:3], v[18:19], -v[20:21]
	scratch_load_b128 v[18:21], off, off offset:864
	ds_load_b128 v[2:5], v1 offset:1680
	s_waitcnt vmcnt(9) lgkmcnt(1)
	v_mul_f64 v[165:166], v[54:55], v[24:25]
	v_mul_f64 v[24:25], v[56:57], v[24:25]
	s_waitcnt vmcnt(8) lgkmcnt(0)
	v_mul_f64 v[169:170], v[2:3], v[28:29]
	v_mul_f64 v[28:29], v[4:5], v[28:29]
	v_add_f64 v[80:81], v[80:81], v[60:61]
	v_add_f64 v[62:63], v[58:59], v[62:63]
	ds_load_b128 v[58:61], v1 offset:1696
	v_fma_f64 v[56:57], v[56:57], v[22:23], v[165:166]
	v_fma_f64 v[54:55], v[54:55], v[22:23], -v[24:25]
	scratch_load_b128 v[22:25], off, off offset:880
	v_fma_f64 v[165:166], v[4:5], v[26:27], v[169:170]
	v_add_f64 v[80:81], v[80:81], v[167:168]
	v_add_f64 v[62:63], v[62:63], v[76:77]
	v_fma_f64 v[167:168], v[2:3], v[26:27], -v[28:29]
	scratch_load_b128 v[26:29], off, off offset:896
	ds_load_b128 v[2:5], v1 offset:1712
	s_waitcnt vmcnt(9) lgkmcnt(1)
	v_mul_f64 v[76:77], v[58:59], v[32:33]
	v_mul_f64 v[32:33], v[60:61], v[32:33]
	s_waitcnt vmcnt(8) lgkmcnt(0)
	v_mul_f64 v[169:170], v[2:3], v[36:37]
	v_mul_f64 v[36:37], v[4:5], v[36:37]
	v_add_f64 v[80:81], v[80:81], v[54:55]
	v_add_f64 v[62:63], v[62:63], v[56:57]
	ds_load_b128 v[54:57], v1 offset:1728
	v_fma_f64 v[60:61], v[60:61], v[30:31], v[76:77]
	v_fma_f64 v[58:59], v[58:59], v[30:31], -v[32:33]
	scratch_load_b128 v[30:33], off, off offset:912
	v_add_f64 v[76:77], v[80:81], v[167:168]
	v_add_f64 v[62:63], v[62:63], v[165:166]
	v_fma_f64 v[165:166], v[4:5], v[34:35], v[169:170]
	v_fma_f64 v[167:168], v[2:3], v[34:35], -v[36:37]
	scratch_load_b128 v[34:37], off, off offset:928
	ds_load_b128 v[2:5], v1 offset:1744
	s_waitcnt vmcnt(9) lgkmcnt(1)
	v_mul_f64 v[80:81], v[54:55], v[52:53]
	v_mul_f64 v[52:53], v[56:57], v[52:53]
	s_waitcnt vmcnt(8) lgkmcnt(0)
	v_mul_f64 v[169:170], v[2:3], v[40:41]
	v_mul_f64 v[40:41], v[4:5], v[40:41]
	v_add_f64 v[76:77], v[76:77], v[58:59]
	v_add_f64 v[62:63], v[62:63], v[60:61]
	ds_load_b128 v[58:61], v1 offset:1760
	v_fma_f64 v[56:57], v[56:57], v[50:51], v[80:81]
	v_fma_f64 v[50:51], v[54:55], v[50:51], -v[52:53]
	v_fma_f64 v[80:81], v[2:3], v[38:39], -v[40:41]
	v_add_f64 v[52:53], v[76:77], v[167:168]
	v_add_f64 v[54:55], v[62:63], v[165:166]
	s_waitcnt vmcnt(7) lgkmcnt(0)
	v_mul_f64 v[62:63], v[58:59], v[8:9]
	v_mul_f64 v[8:9], v[60:61], v[8:9]
	v_fma_f64 v[76:77], v[4:5], v[38:39], v[169:170]
	ds_load_b128 v[2:5], v1 offset:1776
	ds_load_b128 v[38:41], v1 offset:1792
	v_add_f64 v[50:51], v[52:53], v[50:51]
	v_add_f64 v[52:53], v[54:55], v[56:57]
	s_waitcnt vmcnt(6) lgkmcnt(1)
	v_mul_f64 v[54:55], v[2:3], v[12:13]
	v_mul_f64 v[12:13], v[4:5], v[12:13]
	v_fma_f64 v[56:57], v[60:61], v[6:7], v[62:63]
	v_fma_f64 v[6:7], v[58:59], v[6:7], -v[8:9]
	v_add_f64 v[8:9], v[50:51], v[80:81]
	v_add_f64 v[50:51], v[52:53], v[76:77]
	s_waitcnt vmcnt(5) lgkmcnt(0)
	v_mul_f64 v[52:53], v[38:39], v[16:17]
	v_mul_f64 v[16:17], v[40:41], v[16:17]
	v_fma_f64 v[54:55], v[4:5], v[10:11], v[54:55]
	v_fma_f64 v[10:11], v[2:3], v[10:11], -v[12:13]
	v_add_f64 v[12:13], v[8:9], v[6:7]
	v_add_f64 v[50:51], v[50:51], v[56:57]
	ds_load_b128 v[2:5], v1 offset:1808
	ds_load_b128 v[6:9], v1 offset:1824
	v_fma_f64 v[40:41], v[40:41], v[14:15], v[52:53]
	v_fma_f64 v[14:15], v[38:39], v[14:15], -v[16:17]
	s_waitcnt vmcnt(4) lgkmcnt(1)
	v_mul_f64 v[56:57], v[2:3], v[20:21]
	v_mul_f64 v[20:21], v[4:5], v[20:21]
	s_waitcnt vmcnt(3) lgkmcnt(0)
	v_mul_f64 v[16:17], v[6:7], v[24:25]
	v_mul_f64 v[24:25], v[8:9], v[24:25]
	v_add_f64 v[10:11], v[12:13], v[10:11]
	v_add_f64 v[12:13], v[50:51], v[54:55]
	v_fma_f64 v[38:39], v[4:5], v[18:19], v[56:57]
	v_fma_f64 v[18:19], v[2:3], v[18:19], -v[20:21]
	v_fma_f64 v[8:9], v[8:9], v[22:23], v[16:17]
	v_fma_f64 v[6:7], v[6:7], v[22:23], -v[24:25]
	v_add_f64 v[14:15], v[10:11], v[14:15]
	v_add_f64 v[20:21], v[12:13], v[40:41]
	ds_load_b128 v[2:5], v1 offset:1840
	ds_load_b128 v[10:13], v1 offset:1856
	s_waitcnt vmcnt(2) lgkmcnt(1)
	v_mul_f64 v[40:41], v[2:3], v[28:29]
	v_mul_f64 v[28:29], v[4:5], v[28:29]
	v_add_f64 v[14:15], v[14:15], v[18:19]
	v_add_f64 v[16:17], v[20:21], v[38:39]
	s_waitcnt vmcnt(1) lgkmcnt(0)
	v_mul_f64 v[18:19], v[10:11], v[32:33]
	v_mul_f64 v[20:21], v[12:13], v[32:33]
	v_fma_f64 v[22:23], v[4:5], v[26:27], v[40:41]
	v_fma_f64 v[24:25], v[2:3], v[26:27], -v[28:29]
	ds_load_b128 v[2:5], v1 offset:1872
	v_add_f64 v[6:7], v[14:15], v[6:7]
	v_add_f64 v[8:9], v[16:17], v[8:9]
	v_fma_f64 v[12:13], v[12:13], v[30:31], v[18:19]
	v_fma_f64 v[10:11], v[10:11], v[30:31], -v[20:21]
	s_waitcnt vmcnt(0) lgkmcnt(0)
	v_mul_f64 v[14:15], v[2:3], v[36:37]
	v_mul_f64 v[16:17], v[4:5], v[36:37]
	v_add_f64 v[6:7], v[6:7], v[24:25]
	v_add_f64 v[8:9], v[8:9], v[22:23]
	s_delay_alu instid0(VALU_DEP_4) | instskip(NEXT) | instid1(VALU_DEP_4)
	v_fma_f64 v[4:5], v[4:5], v[34:35], v[14:15]
	v_fma_f64 v[2:3], v[2:3], v[34:35], -v[16:17]
	s_delay_alu instid0(VALU_DEP_4) | instskip(NEXT) | instid1(VALU_DEP_4)
	v_add_f64 v[6:7], v[6:7], v[10:11]
	v_add_f64 v[8:9], v[8:9], v[12:13]
	s_delay_alu instid0(VALU_DEP_2) | instskip(NEXT) | instid1(VALU_DEP_2)
	v_add_f64 v[2:3], v[6:7], v[2:3]
	v_add_f64 v[4:5], v[8:9], v[4:5]
	s_delay_alu instid0(VALU_DEP_2) | instskip(NEXT) | instid1(VALU_DEP_2)
	v_add_f64 v[2:3], v[42:43], -v[2:3]
	v_add_f64 v[4:5], v[44:45], -v[4:5]
	scratch_store_b128 off, v[2:5], off offset:464
	v_cmpx_lt_u32_e32 28, v164
	s_cbranch_execz .LBB58_311
; %bb.310:
	scratch_load_b32 v2, off, off offset:960 ; 4-byte Folded Reload
	v_mov_b32_e32 v3, v1
	v_mov_b32_e32 v4, v1
	s_waitcnt vmcnt(0)
	scratch_load_b128 v[5:8], v2, off
	v_mov_b32_e32 v2, v1
	scratch_store_b128 off, v[1:4], off offset:448
	s_waitcnt vmcnt(0)
	ds_store_b128 v223, v[5:8]
.LBB58_311:
	s_or_b32 exec_lo, exec_lo, s2
	s_waitcnt lgkmcnt(0)
	s_waitcnt_vscnt null, 0x0
	s_barrier
	buffer_gl0_inv
	s_clause 0x8
	scratch_load_b128 v[2:5], off, off offset:464
	scratch_load_b128 v[6:9], off, off offset:480
	;; [unrolled: 1-line block ×9, first 2 shown]
	ds_load_b128 v[42:45], v1 offset:1408
	ds_load_b128 v[38:41], v1 offset:1424
	s_clause 0x1
	scratch_load_b128 v[50:53], off, off offset:448
	scratch_load_b128 v[54:57], off, off offset:608
	s_mov_b32 s2, exec_lo
	s_waitcnt vmcnt(10) lgkmcnt(1)
	v_mul_f64 v[58:59], v[44:45], v[4:5]
	v_mul_f64 v[4:5], v[42:43], v[4:5]
	s_waitcnt vmcnt(9) lgkmcnt(0)
	v_mul_f64 v[62:63], v[38:39], v[8:9]
	v_mul_f64 v[8:9], v[40:41], v[8:9]
	s_delay_alu instid0(VALU_DEP_4) | instskip(NEXT) | instid1(VALU_DEP_4)
	v_fma_f64 v[76:77], v[42:43], v[2:3], -v[58:59]
	v_fma_f64 v[80:81], v[44:45], v[2:3], v[4:5]
	ds_load_b128 v[2:5], v1 offset:1440
	ds_load_b128 v[58:61], v1 offset:1456
	scratch_load_b128 v[42:45], off, off offset:624
	v_fma_f64 v[40:41], v[40:41], v[6:7], v[62:63]
	v_fma_f64 v[38:39], v[38:39], v[6:7], -v[8:9]
	scratch_load_b128 v[6:9], off, off offset:640
	s_waitcnt vmcnt(10) lgkmcnt(1)
	v_mul_f64 v[165:166], v[2:3], v[12:13]
	v_mul_f64 v[12:13], v[4:5], v[12:13]
	v_add_f64 v[62:63], v[76:77], 0
	v_add_f64 v[76:77], v[80:81], 0
	s_waitcnt vmcnt(9) lgkmcnt(0)
	v_mul_f64 v[80:81], v[58:59], v[16:17]
	v_mul_f64 v[16:17], v[60:61], v[16:17]
	v_fma_f64 v[165:166], v[4:5], v[10:11], v[165:166]
	v_fma_f64 v[167:168], v[2:3], v[10:11], -v[12:13]
	ds_load_b128 v[2:5], v1 offset:1472
	scratch_load_b128 v[10:13], off, off offset:656
	v_add_f64 v[62:63], v[62:63], v[38:39]
	v_add_f64 v[76:77], v[76:77], v[40:41]
	ds_load_b128 v[38:41], v1 offset:1488
	v_fma_f64 v[60:61], v[60:61], v[14:15], v[80:81]
	v_fma_f64 v[58:59], v[58:59], v[14:15], -v[16:17]
	scratch_load_b128 v[14:17], off, off offset:672
	s_waitcnt vmcnt(10) lgkmcnt(1)
	v_mul_f64 v[169:170], v[2:3], v[20:21]
	v_mul_f64 v[20:21], v[4:5], v[20:21]
	s_waitcnt vmcnt(9) lgkmcnt(0)
	v_mul_f64 v[80:81], v[38:39], v[24:25]
	v_mul_f64 v[24:25], v[40:41], v[24:25]
	v_add_f64 v[62:63], v[62:63], v[167:168]
	v_add_f64 v[76:77], v[76:77], v[165:166]
	v_fma_f64 v[165:166], v[4:5], v[18:19], v[169:170]
	v_fma_f64 v[167:168], v[2:3], v[18:19], -v[20:21]
	ds_load_b128 v[2:5], v1 offset:1504
	scratch_load_b128 v[18:21], off, off offset:688
	v_fma_f64 v[40:41], v[40:41], v[22:23], v[80:81]
	v_fma_f64 v[38:39], v[38:39], v[22:23], -v[24:25]
	scratch_load_b128 v[22:25], off, off offset:704
	v_add_f64 v[62:63], v[62:63], v[58:59]
	v_add_f64 v[76:77], v[76:77], v[60:61]
	ds_load_b128 v[58:61], v1 offset:1520
	s_waitcnt vmcnt(10) lgkmcnt(1)
	v_mul_f64 v[169:170], v[2:3], v[28:29]
	v_mul_f64 v[28:29], v[4:5], v[28:29]
	s_waitcnt vmcnt(9) lgkmcnt(0)
	v_mul_f64 v[80:81], v[58:59], v[32:33]
	v_mul_f64 v[32:33], v[60:61], v[32:33]
	v_add_f64 v[62:63], v[62:63], v[167:168]
	v_add_f64 v[76:77], v[76:77], v[165:166]
	v_fma_f64 v[165:166], v[4:5], v[26:27], v[169:170]
	v_fma_f64 v[167:168], v[2:3], v[26:27], -v[28:29]
	ds_load_b128 v[2:5], v1 offset:1536
	scratch_load_b128 v[26:29], off, off offset:720
	v_fma_f64 v[60:61], v[60:61], v[30:31], v[80:81]
	v_fma_f64 v[58:59], v[58:59], v[30:31], -v[32:33]
	scratch_load_b128 v[30:33], off, off offset:736
	v_add_f64 v[62:63], v[62:63], v[38:39]
	v_add_f64 v[76:77], v[76:77], v[40:41]
	ds_load_b128 v[38:41], v1 offset:1552
	s_waitcnt vmcnt(10) lgkmcnt(1)
	v_mul_f64 v[169:170], v[2:3], v[36:37]
	v_mul_f64 v[36:37], v[4:5], v[36:37]
	s_waitcnt vmcnt(8) lgkmcnt(0)
	v_mul_f64 v[80:81], v[38:39], v[56:57]
	v_add_f64 v[62:63], v[62:63], v[167:168]
	v_add_f64 v[76:77], v[76:77], v[165:166]
	v_mul_f64 v[165:166], v[40:41], v[56:57]
	v_fma_f64 v[167:168], v[4:5], v[34:35], v[169:170]
	v_fma_f64 v[169:170], v[2:3], v[34:35], -v[36:37]
	ds_load_b128 v[2:5], v1 offset:1568
	scratch_load_b128 v[34:37], off, off offset:752
	v_fma_f64 v[80:81], v[40:41], v[54:55], v[80:81]
	v_add_f64 v[62:63], v[62:63], v[58:59]
	v_add_f64 v[60:61], v[76:77], v[60:61]
	ds_load_b128 v[56:59], v1 offset:1584
	v_fma_f64 v[54:55], v[38:39], v[54:55], -v[165:166]
	scratch_load_b128 v[38:41], off, off offset:768
	s_waitcnt vmcnt(9) lgkmcnt(1)
	v_mul_f64 v[76:77], v[2:3], v[44:45]
	v_mul_f64 v[44:45], v[4:5], v[44:45]
	s_waitcnt vmcnt(8) lgkmcnt(0)
	v_mul_f64 v[165:166], v[56:57], v[8:9]
	v_mul_f64 v[8:9], v[58:59], v[8:9]
	v_add_f64 v[62:63], v[62:63], v[169:170]
	v_add_f64 v[60:61], v[60:61], v[167:168]
	v_fma_f64 v[76:77], v[4:5], v[42:43], v[76:77]
	v_fma_f64 v[167:168], v[2:3], v[42:43], -v[44:45]
	ds_load_b128 v[2:5], v1 offset:1600
	scratch_load_b128 v[42:45], off, off offset:784
	v_fma_f64 v[58:59], v[58:59], v[6:7], v[165:166]
	v_fma_f64 v[56:57], v[56:57], v[6:7], -v[8:9]
	scratch_load_b128 v[6:9], off, off offset:800
	v_add_f64 v[54:55], v[62:63], v[54:55]
	v_add_f64 v[80:81], v[60:61], v[80:81]
	ds_load_b128 v[60:63], v1 offset:1616
	s_waitcnt vmcnt(9) lgkmcnt(1)
	v_mul_f64 v[169:170], v[2:3], v[12:13]
	v_mul_f64 v[12:13], v[4:5], v[12:13]
	v_add_f64 v[54:55], v[54:55], v[167:168]
	v_add_f64 v[76:77], v[80:81], v[76:77]
	s_waitcnt vmcnt(8) lgkmcnt(0)
	v_mul_f64 v[80:81], v[60:61], v[16:17]
	v_mul_f64 v[16:17], v[62:63], v[16:17]
	v_fma_f64 v[165:166], v[4:5], v[10:11], v[169:170]
	v_fma_f64 v[167:168], v[2:3], v[10:11], -v[12:13]
	ds_load_b128 v[2:5], v1 offset:1632
	scratch_load_b128 v[10:13], off, off offset:816
	v_add_f64 v[169:170], v[54:55], v[56:57]
	v_add_f64 v[58:59], v[76:77], v[58:59]
	ds_load_b128 v[54:57], v1 offset:1648
	s_waitcnt vmcnt(8) lgkmcnt(1)
	v_mul_f64 v[76:77], v[2:3], v[20:21]
	v_mul_f64 v[20:21], v[4:5], v[20:21]
	v_fma_f64 v[62:63], v[62:63], v[14:15], v[80:81]
	v_fma_f64 v[60:61], v[60:61], v[14:15], -v[16:17]
	scratch_load_b128 v[14:17], off, off offset:832
	v_add_f64 v[80:81], v[169:170], v[167:168]
	v_add_f64 v[58:59], v[58:59], v[165:166]
	s_waitcnt vmcnt(8) lgkmcnt(0)
	v_mul_f64 v[165:166], v[54:55], v[24:25]
	v_mul_f64 v[24:25], v[56:57], v[24:25]
	v_fma_f64 v[76:77], v[4:5], v[18:19], v[76:77]
	v_fma_f64 v[167:168], v[2:3], v[18:19], -v[20:21]
	ds_load_b128 v[2:5], v1 offset:1664
	scratch_load_b128 v[18:21], off, off offset:848
	v_add_f64 v[80:81], v[80:81], v[60:61]
	v_add_f64 v[62:63], v[58:59], v[62:63]
	ds_load_b128 v[58:61], v1 offset:1680
	s_waitcnt vmcnt(8) lgkmcnt(1)
	v_mul_f64 v[169:170], v[2:3], v[28:29]
	v_mul_f64 v[28:29], v[4:5], v[28:29]
	v_fma_f64 v[56:57], v[56:57], v[22:23], v[165:166]
	v_fma_f64 v[54:55], v[54:55], v[22:23], -v[24:25]
	scratch_load_b128 v[22:25], off, off offset:864
	;; [unrolled: 18-line block ×4, first 2 shown]
	s_waitcnt vmcnt(8) lgkmcnt(0)
	v_mul_f64 v[80:81], v[58:59], v[8:9]
	v_mul_f64 v[8:9], v[60:61], v[8:9]
	v_add_f64 v[76:77], v[76:77], v[167:168]
	v_add_f64 v[62:63], v[62:63], v[165:166]
	v_fma_f64 v[165:166], v[4:5], v[42:43], v[169:170]
	v_fma_f64 v[167:168], v[2:3], v[42:43], -v[44:45]
	ds_load_b128 v[2:5], v1 offset:1760
	ds_load_b128 v[42:45], v1 offset:1776
	v_fma_f64 v[60:61], v[60:61], v[6:7], v[80:81]
	v_fma_f64 v[6:7], v[58:59], v[6:7], -v[8:9]
	v_add_f64 v[54:55], v[76:77], v[54:55]
	v_add_f64 v[56:57], v[62:63], v[56:57]
	s_waitcnt vmcnt(7) lgkmcnt(1)
	v_mul_f64 v[62:63], v[2:3], v[12:13]
	v_mul_f64 v[12:13], v[4:5], v[12:13]
	s_delay_alu instid0(VALU_DEP_4) | instskip(NEXT) | instid1(VALU_DEP_4)
	v_add_f64 v[8:9], v[54:55], v[167:168]
	v_add_f64 v[54:55], v[56:57], v[165:166]
	s_waitcnt vmcnt(6) lgkmcnt(0)
	v_mul_f64 v[56:57], v[42:43], v[16:17]
	v_mul_f64 v[16:17], v[44:45], v[16:17]
	v_fma_f64 v[58:59], v[4:5], v[10:11], v[62:63]
	v_fma_f64 v[10:11], v[2:3], v[10:11], -v[12:13]
	v_add_f64 v[12:13], v[8:9], v[6:7]
	v_add_f64 v[54:55], v[54:55], v[60:61]
	ds_load_b128 v[2:5], v1 offset:1792
	ds_load_b128 v[6:9], v1 offset:1808
	v_fma_f64 v[44:45], v[44:45], v[14:15], v[56:57]
	v_fma_f64 v[14:15], v[42:43], v[14:15], -v[16:17]
	s_waitcnt vmcnt(5) lgkmcnt(1)
	v_mul_f64 v[60:61], v[2:3], v[20:21]
	v_mul_f64 v[20:21], v[4:5], v[20:21]
	s_waitcnt vmcnt(4) lgkmcnt(0)
	v_mul_f64 v[16:17], v[6:7], v[24:25]
	v_mul_f64 v[24:25], v[8:9], v[24:25]
	v_add_f64 v[10:11], v[12:13], v[10:11]
	v_add_f64 v[12:13], v[54:55], v[58:59]
	v_fma_f64 v[42:43], v[4:5], v[18:19], v[60:61]
	v_fma_f64 v[18:19], v[2:3], v[18:19], -v[20:21]
	v_fma_f64 v[8:9], v[8:9], v[22:23], v[16:17]
	v_fma_f64 v[6:7], v[6:7], v[22:23], -v[24:25]
	v_add_f64 v[14:15], v[10:11], v[14:15]
	v_add_f64 v[20:21], v[12:13], v[44:45]
	ds_load_b128 v[2:5], v1 offset:1824
	ds_load_b128 v[10:13], v1 offset:1840
	s_waitcnt vmcnt(3) lgkmcnt(1)
	v_mul_f64 v[44:45], v[2:3], v[28:29]
	v_mul_f64 v[28:29], v[4:5], v[28:29]
	v_add_f64 v[14:15], v[14:15], v[18:19]
	v_add_f64 v[16:17], v[20:21], v[42:43]
	s_waitcnt vmcnt(2) lgkmcnt(0)
	v_mul_f64 v[18:19], v[10:11], v[32:33]
	v_mul_f64 v[20:21], v[12:13], v[32:33]
	v_fma_f64 v[22:23], v[4:5], v[26:27], v[44:45]
	v_fma_f64 v[24:25], v[2:3], v[26:27], -v[28:29]
	v_add_f64 v[14:15], v[14:15], v[6:7]
	v_add_f64 v[16:17], v[16:17], v[8:9]
	ds_load_b128 v[2:5], v1 offset:1856
	ds_load_b128 v[6:9], v1 offset:1872
	v_fma_f64 v[12:13], v[12:13], v[30:31], v[18:19]
	v_fma_f64 v[10:11], v[10:11], v[30:31], -v[20:21]
	s_waitcnt vmcnt(1) lgkmcnt(1)
	v_mul_f64 v[26:27], v[2:3], v[36:37]
	v_mul_f64 v[28:29], v[4:5], v[36:37]
	s_waitcnt vmcnt(0) lgkmcnt(0)
	v_mul_f64 v[18:19], v[6:7], v[40:41]
	v_mul_f64 v[20:21], v[8:9], v[40:41]
	v_add_f64 v[14:15], v[14:15], v[24:25]
	v_add_f64 v[16:17], v[16:17], v[22:23]
	v_fma_f64 v[4:5], v[4:5], v[34:35], v[26:27]
	v_fma_f64 v[1:2], v[2:3], v[34:35], -v[28:29]
	v_fma_f64 v[8:9], v[8:9], v[38:39], v[18:19]
	v_fma_f64 v[6:7], v[6:7], v[38:39], -v[20:21]
	v_add_f64 v[10:11], v[14:15], v[10:11]
	v_add_f64 v[12:13], v[16:17], v[12:13]
	s_delay_alu instid0(VALU_DEP_2) | instskip(NEXT) | instid1(VALU_DEP_2)
	v_add_f64 v[1:2], v[10:11], v[1:2]
	v_add_f64 v[3:4], v[12:13], v[4:5]
	s_delay_alu instid0(VALU_DEP_2) | instskip(NEXT) | instid1(VALU_DEP_2)
	;; [unrolled: 3-line block ×3, first 2 shown]
	v_add_f64 v[1:2], v[50:51], -v[1:2]
	v_add_f64 v[3:4], v[52:53], -v[3:4]
	scratch_store_b128 off, v[1:4], off offset:448
	v_cmpx_lt_u32_e32 27, v164
	s_cbranch_execz .LBB58_313
; %bb.312:
	scratch_load_b32 v1, off, off offset:964 ; 4-byte Folded Reload
	v_mov_b32_e32 v5, 0
	s_delay_alu instid0(VALU_DEP_1)
	v_mov_b32_e32 v6, v5
	v_mov_b32_e32 v7, v5
	;; [unrolled: 1-line block ×3, first 2 shown]
	s_waitcnt vmcnt(0)
	scratch_load_b128 v[1:4], v1, off
	scratch_store_b128 off, v[5:8], off offset:432
	s_waitcnt vmcnt(0)
	ds_store_b128 v223, v[1:4]
.LBB58_313:
	s_or_b32 exec_lo, exec_lo, s2
	s_waitcnt lgkmcnt(0)
	s_waitcnt_vscnt null, 0x0
	s_barrier
	buffer_gl0_inv
	s_clause 0x7
	scratch_load_b128 v[2:5], off, off offset:448
	scratch_load_b128 v[6:9], off, off offset:464
	scratch_load_b128 v[10:13], off, off offset:480
	scratch_load_b128 v[14:17], off, off offset:496
	scratch_load_b128 v[18:21], off, off offset:512
	scratch_load_b128 v[22:25], off, off offset:528
	scratch_load_b128 v[26:29], off, off offset:544
	scratch_load_b128 v[30:33], off, off offset:560
	v_mov_b32_e32 v1, 0
	s_mov_b32 s2, exec_lo
	ds_load_b128 v[38:41], v1 offset:1392
	s_clause 0x1
	scratch_load_b128 v[34:37], off, off offset:576
	scratch_load_b128 v[42:45], off, off offset:432
	ds_load_b128 v[50:53], v1 offset:1408
	scratch_load_b128 v[54:57], off, off offset:592
	s_waitcnt vmcnt(10) lgkmcnt(1)
	v_mul_f64 v[58:59], v[40:41], v[4:5]
	v_mul_f64 v[4:5], v[38:39], v[4:5]
	s_delay_alu instid0(VALU_DEP_2) | instskip(NEXT) | instid1(VALU_DEP_2)
	v_fma_f64 v[76:77], v[38:39], v[2:3], -v[58:59]
	v_fma_f64 v[80:81], v[40:41], v[2:3], v[4:5]
	scratch_load_b128 v[38:41], off, off offset:608
	ds_load_b128 v[2:5], v1 offset:1424
	s_waitcnt vmcnt(10) lgkmcnt(1)
	v_mul_f64 v[62:63], v[50:51], v[8:9]
	v_mul_f64 v[8:9], v[52:53], v[8:9]
	ds_load_b128 v[58:61], v1 offset:1440
	s_waitcnt vmcnt(9) lgkmcnt(1)
	v_mul_f64 v[165:166], v[2:3], v[12:13]
	v_mul_f64 v[12:13], v[4:5], v[12:13]
	v_fma_f64 v[52:53], v[52:53], v[6:7], v[62:63]
	v_fma_f64 v[50:51], v[50:51], v[6:7], -v[8:9]
	v_add_f64 v[62:63], v[76:77], 0
	v_add_f64 v[76:77], v[80:81], 0
	scratch_load_b128 v[6:9], off, off offset:624
	v_fma_f64 v[165:166], v[4:5], v[10:11], v[165:166]
	v_fma_f64 v[167:168], v[2:3], v[10:11], -v[12:13]
	scratch_load_b128 v[10:13], off, off offset:640
	ds_load_b128 v[2:5], v1 offset:1456
	s_waitcnt vmcnt(10) lgkmcnt(1)
	v_mul_f64 v[80:81], v[58:59], v[16:17]
	v_mul_f64 v[16:17], v[60:61], v[16:17]
	v_add_f64 v[62:63], v[62:63], v[50:51]
	v_add_f64 v[76:77], v[76:77], v[52:53]
	s_waitcnt vmcnt(9) lgkmcnt(0)
	v_mul_f64 v[169:170], v[2:3], v[20:21]
	v_mul_f64 v[20:21], v[4:5], v[20:21]
	ds_load_b128 v[50:53], v1 offset:1472
	v_fma_f64 v[60:61], v[60:61], v[14:15], v[80:81]
	v_fma_f64 v[58:59], v[58:59], v[14:15], -v[16:17]
	scratch_load_b128 v[14:17], off, off offset:656
	v_add_f64 v[62:63], v[62:63], v[167:168]
	v_add_f64 v[76:77], v[76:77], v[165:166]
	v_fma_f64 v[165:166], v[4:5], v[18:19], v[169:170]
	v_fma_f64 v[167:168], v[2:3], v[18:19], -v[20:21]
	scratch_load_b128 v[18:21], off, off offset:672
	ds_load_b128 v[2:5], v1 offset:1488
	s_waitcnt vmcnt(10) lgkmcnt(1)
	v_mul_f64 v[80:81], v[50:51], v[24:25]
	v_mul_f64 v[24:25], v[52:53], v[24:25]
	s_waitcnt vmcnt(9) lgkmcnt(0)
	v_mul_f64 v[169:170], v[2:3], v[28:29]
	v_mul_f64 v[28:29], v[4:5], v[28:29]
	v_add_f64 v[62:63], v[62:63], v[58:59]
	v_add_f64 v[76:77], v[76:77], v[60:61]
	ds_load_b128 v[58:61], v1 offset:1504
	v_fma_f64 v[52:53], v[52:53], v[22:23], v[80:81]
	v_fma_f64 v[50:51], v[50:51], v[22:23], -v[24:25]
	scratch_load_b128 v[22:25], off, off offset:688
	v_add_f64 v[62:63], v[62:63], v[167:168]
	v_add_f64 v[76:77], v[76:77], v[165:166]
	v_fma_f64 v[165:166], v[4:5], v[26:27], v[169:170]
	v_fma_f64 v[167:168], v[2:3], v[26:27], -v[28:29]
	scratch_load_b128 v[26:29], off, off offset:704
	ds_load_b128 v[2:5], v1 offset:1520
	s_waitcnt vmcnt(10) lgkmcnt(1)
	v_mul_f64 v[80:81], v[58:59], v[32:33]
	v_mul_f64 v[32:33], v[60:61], v[32:33]
	s_waitcnt vmcnt(9) lgkmcnt(0)
	v_mul_f64 v[169:170], v[2:3], v[36:37]
	v_mul_f64 v[36:37], v[4:5], v[36:37]
	v_add_f64 v[62:63], v[62:63], v[50:51]
	v_add_f64 v[76:77], v[76:77], v[52:53]
	ds_load_b128 v[50:53], v1 offset:1536
	v_fma_f64 v[60:61], v[60:61], v[30:31], v[80:81]
	v_fma_f64 v[58:59], v[58:59], v[30:31], -v[32:33]
	scratch_load_b128 v[30:33], off, off offset:720
	v_add_f64 v[62:63], v[62:63], v[167:168]
	v_add_f64 v[76:77], v[76:77], v[165:166]
	v_fma_f64 v[167:168], v[4:5], v[34:35], v[169:170]
	v_fma_f64 v[169:170], v[2:3], v[34:35], -v[36:37]
	scratch_load_b128 v[34:37], off, off offset:736
	ds_load_b128 v[2:5], v1 offset:1552
	s_waitcnt vmcnt(9) lgkmcnt(1)
	v_mul_f64 v[80:81], v[50:51], v[56:57]
	v_mul_f64 v[165:166], v[52:53], v[56:57]
	v_add_f64 v[62:63], v[62:63], v[58:59]
	v_add_f64 v[60:61], v[76:77], v[60:61]
	ds_load_b128 v[56:59], v1 offset:1568
	v_fma_f64 v[80:81], v[52:53], v[54:55], v[80:81]
	v_fma_f64 v[54:55], v[50:51], v[54:55], -v[165:166]
	scratch_load_b128 v[50:53], off, off offset:752
	s_waitcnt vmcnt(9) lgkmcnt(1)
	v_mul_f64 v[76:77], v[2:3], v[40:41]
	v_mul_f64 v[40:41], v[4:5], v[40:41]
	v_add_f64 v[62:63], v[62:63], v[169:170]
	v_add_f64 v[60:61], v[60:61], v[167:168]
	s_delay_alu instid0(VALU_DEP_4) | instskip(NEXT) | instid1(VALU_DEP_4)
	v_fma_f64 v[76:77], v[4:5], v[38:39], v[76:77]
	v_fma_f64 v[167:168], v[2:3], v[38:39], -v[40:41]
	scratch_load_b128 v[38:41], off, off offset:768
	ds_load_b128 v[2:5], v1 offset:1584
	s_waitcnt vmcnt(9) lgkmcnt(1)
	v_mul_f64 v[165:166], v[56:57], v[8:9]
	v_mul_f64 v[8:9], v[58:59], v[8:9]
	s_waitcnt vmcnt(8) lgkmcnt(0)
	v_mul_f64 v[169:170], v[2:3], v[12:13]
	v_mul_f64 v[12:13], v[4:5], v[12:13]
	v_add_f64 v[54:55], v[62:63], v[54:55]
	v_add_f64 v[80:81], v[60:61], v[80:81]
	ds_load_b128 v[60:63], v1 offset:1600
	v_fma_f64 v[58:59], v[58:59], v[6:7], v[165:166]
	v_fma_f64 v[56:57], v[56:57], v[6:7], -v[8:9]
	scratch_load_b128 v[6:9], off, off offset:784
	v_fma_f64 v[165:166], v[4:5], v[10:11], v[169:170]
	v_add_f64 v[54:55], v[54:55], v[167:168]
	v_add_f64 v[76:77], v[80:81], v[76:77]
	v_fma_f64 v[167:168], v[2:3], v[10:11], -v[12:13]
	scratch_load_b128 v[10:13], off, off offset:800
	ds_load_b128 v[2:5], v1 offset:1616
	s_waitcnt vmcnt(9) lgkmcnt(1)
	v_mul_f64 v[80:81], v[60:61], v[16:17]
	v_mul_f64 v[16:17], v[62:63], v[16:17]
	v_add_f64 v[169:170], v[54:55], v[56:57]
	v_add_f64 v[58:59], v[76:77], v[58:59]
	s_waitcnt vmcnt(8) lgkmcnt(0)
	v_mul_f64 v[76:77], v[2:3], v[20:21]
	v_mul_f64 v[20:21], v[4:5], v[20:21]
	ds_load_b128 v[54:57], v1 offset:1632
	v_fma_f64 v[62:63], v[62:63], v[14:15], v[80:81]
	v_fma_f64 v[60:61], v[60:61], v[14:15], -v[16:17]
	scratch_load_b128 v[14:17], off, off offset:816
	v_add_f64 v[80:81], v[169:170], v[167:168]
	v_add_f64 v[58:59], v[58:59], v[165:166]
	v_fma_f64 v[76:77], v[4:5], v[18:19], v[76:77]
	v_fma_f64 v[167:168], v[2:3], v[18:19], -v[20:21]
	scratch_load_b128 v[18:21], off, off offset:832
	ds_load_b128 v[2:5], v1 offset:1648
	s_waitcnt vmcnt(9) lgkmcnt(1)
	v_mul_f64 v[165:166], v[54:55], v[24:25]
	v_mul_f64 v[24:25], v[56:57], v[24:25]
	s_waitcnt vmcnt(8) lgkmcnt(0)
	v_mul_f64 v[169:170], v[2:3], v[28:29]
	v_mul_f64 v[28:29], v[4:5], v[28:29]
	v_add_f64 v[80:81], v[80:81], v[60:61]
	v_add_f64 v[62:63], v[58:59], v[62:63]
	ds_load_b128 v[58:61], v1 offset:1664
	v_fma_f64 v[56:57], v[56:57], v[22:23], v[165:166]
	v_fma_f64 v[54:55], v[54:55], v[22:23], -v[24:25]
	scratch_load_b128 v[22:25], off, off offset:848
	v_fma_f64 v[165:166], v[4:5], v[26:27], v[169:170]
	v_add_f64 v[80:81], v[80:81], v[167:168]
	v_add_f64 v[62:63], v[62:63], v[76:77]
	v_fma_f64 v[167:168], v[2:3], v[26:27], -v[28:29]
	scratch_load_b128 v[26:29], off, off offset:864
	ds_load_b128 v[2:5], v1 offset:1680
	s_waitcnt vmcnt(9) lgkmcnt(1)
	v_mul_f64 v[76:77], v[58:59], v[32:33]
	v_mul_f64 v[32:33], v[60:61], v[32:33]
	s_waitcnt vmcnt(8) lgkmcnt(0)
	v_mul_f64 v[169:170], v[2:3], v[36:37]
	v_mul_f64 v[36:37], v[4:5], v[36:37]
	v_add_f64 v[80:81], v[80:81], v[54:55]
	v_add_f64 v[62:63], v[62:63], v[56:57]
	ds_load_b128 v[54:57], v1 offset:1696
	v_fma_f64 v[60:61], v[60:61], v[30:31], v[76:77]
	v_fma_f64 v[58:59], v[58:59], v[30:31], -v[32:33]
	scratch_load_b128 v[30:33], off, off offset:880
	v_add_f64 v[76:77], v[80:81], v[167:168]
	v_add_f64 v[62:63], v[62:63], v[165:166]
	v_fma_f64 v[165:166], v[4:5], v[34:35], v[169:170]
	v_fma_f64 v[167:168], v[2:3], v[34:35], -v[36:37]
	scratch_load_b128 v[34:37], off, off offset:896
	ds_load_b128 v[2:5], v1 offset:1712
	s_waitcnt vmcnt(9) lgkmcnt(1)
	v_mul_f64 v[80:81], v[54:55], v[52:53]
	v_mul_f64 v[52:53], v[56:57], v[52:53]
	s_waitcnt vmcnt(8) lgkmcnt(0)
	v_mul_f64 v[169:170], v[2:3], v[40:41]
	v_mul_f64 v[40:41], v[4:5], v[40:41]
	v_add_f64 v[76:77], v[76:77], v[58:59]
	v_add_f64 v[62:63], v[62:63], v[60:61]
	ds_load_b128 v[58:61], v1 offset:1728
	v_fma_f64 v[56:57], v[56:57], v[50:51], v[80:81]
	v_fma_f64 v[54:55], v[54:55], v[50:51], -v[52:53]
	scratch_load_b128 v[50:53], off, off offset:912
	v_add_f64 v[76:77], v[76:77], v[167:168]
	v_add_f64 v[62:63], v[62:63], v[165:166]
	v_fma_f64 v[165:166], v[4:5], v[38:39], v[169:170]
	v_fma_f64 v[167:168], v[2:3], v[38:39], -v[40:41]
	scratch_load_b128 v[38:41], off, off offset:928
	ds_load_b128 v[2:5], v1 offset:1744
	s_waitcnt vmcnt(9) lgkmcnt(1)
	v_mul_f64 v[80:81], v[58:59], v[8:9]
	v_mul_f64 v[8:9], v[60:61], v[8:9]
	s_waitcnt vmcnt(8) lgkmcnt(0)
	v_mul_f64 v[169:170], v[2:3], v[12:13]
	v_mul_f64 v[12:13], v[4:5], v[12:13]
	v_add_f64 v[76:77], v[76:77], v[54:55]
	v_add_f64 v[62:63], v[62:63], v[56:57]
	ds_load_b128 v[54:57], v1 offset:1760
	v_fma_f64 v[60:61], v[60:61], v[6:7], v[80:81]
	v_fma_f64 v[6:7], v[58:59], v[6:7], -v[8:9]
	v_add_f64 v[8:9], v[76:77], v[167:168]
	v_add_f64 v[58:59], v[62:63], v[165:166]
	s_waitcnt vmcnt(7) lgkmcnt(0)
	v_mul_f64 v[62:63], v[54:55], v[16:17]
	v_mul_f64 v[16:17], v[56:57], v[16:17]
	v_fma_f64 v[76:77], v[4:5], v[10:11], v[169:170]
	v_fma_f64 v[10:11], v[2:3], v[10:11], -v[12:13]
	v_add_f64 v[12:13], v[8:9], v[6:7]
	v_add_f64 v[58:59], v[58:59], v[60:61]
	ds_load_b128 v[2:5], v1 offset:1776
	ds_load_b128 v[6:9], v1 offset:1792
	v_fma_f64 v[56:57], v[56:57], v[14:15], v[62:63]
	v_fma_f64 v[14:15], v[54:55], v[14:15], -v[16:17]
	s_waitcnt vmcnt(6) lgkmcnt(1)
	v_mul_f64 v[60:61], v[2:3], v[20:21]
	v_mul_f64 v[20:21], v[4:5], v[20:21]
	s_waitcnt vmcnt(5) lgkmcnt(0)
	v_mul_f64 v[16:17], v[6:7], v[24:25]
	v_mul_f64 v[24:25], v[8:9], v[24:25]
	v_add_f64 v[10:11], v[12:13], v[10:11]
	v_add_f64 v[12:13], v[58:59], v[76:77]
	v_fma_f64 v[54:55], v[4:5], v[18:19], v[60:61]
	v_fma_f64 v[18:19], v[2:3], v[18:19], -v[20:21]
	v_fma_f64 v[8:9], v[8:9], v[22:23], v[16:17]
	v_fma_f64 v[6:7], v[6:7], v[22:23], -v[24:25]
	v_add_f64 v[14:15], v[10:11], v[14:15]
	v_add_f64 v[20:21], v[12:13], v[56:57]
	ds_load_b128 v[2:5], v1 offset:1808
	ds_load_b128 v[10:13], v1 offset:1824
	s_waitcnt vmcnt(4) lgkmcnt(1)
	v_mul_f64 v[56:57], v[2:3], v[28:29]
	v_mul_f64 v[28:29], v[4:5], v[28:29]
	v_add_f64 v[14:15], v[14:15], v[18:19]
	v_add_f64 v[16:17], v[20:21], v[54:55]
	s_waitcnt vmcnt(3) lgkmcnt(0)
	v_mul_f64 v[18:19], v[10:11], v[32:33]
	v_mul_f64 v[20:21], v[12:13], v[32:33]
	v_fma_f64 v[22:23], v[4:5], v[26:27], v[56:57]
	v_fma_f64 v[24:25], v[2:3], v[26:27], -v[28:29]
	v_add_f64 v[14:15], v[14:15], v[6:7]
	v_add_f64 v[16:17], v[16:17], v[8:9]
	ds_load_b128 v[2:5], v1 offset:1840
	ds_load_b128 v[6:9], v1 offset:1856
	v_fma_f64 v[12:13], v[12:13], v[30:31], v[18:19]
	v_fma_f64 v[10:11], v[10:11], v[30:31], -v[20:21]
	s_waitcnt vmcnt(2) lgkmcnt(1)
	v_mul_f64 v[26:27], v[2:3], v[36:37]
	v_mul_f64 v[28:29], v[4:5], v[36:37]
	s_waitcnt vmcnt(1) lgkmcnt(0)
	v_mul_f64 v[18:19], v[6:7], v[52:53]
	v_mul_f64 v[20:21], v[8:9], v[52:53]
	v_add_f64 v[14:15], v[14:15], v[24:25]
	v_add_f64 v[16:17], v[16:17], v[22:23]
	v_fma_f64 v[22:23], v[4:5], v[34:35], v[26:27]
	v_fma_f64 v[24:25], v[2:3], v[34:35], -v[28:29]
	ds_load_b128 v[2:5], v1 offset:1872
	v_fma_f64 v[8:9], v[8:9], v[50:51], v[18:19]
	v_fma_f64 v[6:7], v[6:7], v[50:51], -v[20:21]
	v_add_f64 v[10:11], v[14:15], v[10:11]
	v_add_f64 v[12:13], v[16:17], v[12:13]
	s_waitcnt vmcnt(0) lgkmcnt(0)
	v_mul_f64 v[14:15], v[2:3], v[40:41]
	v_mul_f64 v[16:17], v[4:5], v[40:41]
	s_delay_alu instid0(VALU_DEP_4) | instskip(NEXT) | instid1(VALU_DEP_4)
	v_add_f64 v[10:11], v[10:11], v[24:25]
	v_add_f64 v[12:13], v[12:13], v[22:23]
	s_delay_alu instid0(VALU_DEP_4) | instskip(NEXT) | instid1(VALU_DEP_4)
	v_fma_f64 v[4:5], v[4:5], v[38:39], v[14:15]
	v_fma_f64 v[2:3], v[2:3], v[38:39], -v[16:17]
	s_delay_alu instid0(VALU_DEP_4) | instskip(NEXT) | instid1(VALU_DEP_4)
	v_add_f64 v[6:7], v[10:11], v[6:7]
	v_add_f64 v[8:9], v[12:13], v[8:9]
	s_delay_alu instid0(VALU_DEP_2) | instskip(NEXT) | instid1(VALU_DEP_2)
	v_add_f64 v[2:3], v[6:7], v[2:3]
	v_add_f64 v[4:5], v[8:9], v[4:5]
	s_delay_alu instid0(VALU_DEP_2) | instskip(NEXT) | instid1(VALU_DEP_2)
	v_add_f64 v[2:3], v[42:43], -v[2:3]
	v_add_f64 v[4:5], v[44:45], -v[4:5]
	scratch_store_b128 off, v[2:5], off offset:432
	v_cmpx_lt_u32_e32 26, v164
	s_cbranch_execz .LBB58_315
; %bb.314:
	scratch_load_b32 v2, off, off offset:968 ; 4-byte Folded Reload
	v_mov_b32_e32 v3, v1
	v_mov_b32_e32 v4, v1
	s_waitcnt vmcnt(0)
	scratch_load_b128 v[5:8], v2, off
	v_mov_b32_e32 v2, v1
	scratch_store_b128 off, v[1:4], off offset:416
	s_waitcnt vmcnt(0)
	ds_store_b128 v223, v[5:8]
.LBB58_315:
	s_or_b32 exec_lo, exec_lo, s2
	s_waitcnt lgkmcnt(0)
	s_waitcnt_vscnt null, 0x0
	s_barrier
	buffer_gl0_inv
	s_clause 0x8
	scratch_load_b128 v[2:5], off, off offset:432
	scratch_load_b128 v[6:9], off, off offset:448
	;; [unrolled: 1-line block ×9, first 2 shown]
	ds_load_b128 v[42:45], v1 offset:1376
	ds_load_b128 v[38:41], v1 offset:1392
	s_clause 0x1
	scratch_load_b128 v[50:53], off, off offset:416
	scratch_load_b128 v[54:57], off, off offset:576
	s_mov_b32 s2, exec_lo
	s_waitcnt vmcnt(10) lgkmcnt(1)
	v_mul_f64 v[58:59], v[44:45], v[4:5]
	v_mul_f64 v[4:5], v[42:43], v[4:5]
	s_waitcnt vmcnt(9) lgkmcnt(0)
	v_mul_f64 v[62:63], v[38:39], v[8:9]
	v_mul_f64 v[8:9], v[40:41], v[8:9]
	s_delay_alu instid0(VALU_DEP_4) | instskip(NEXT) | instid1(VALU_DEP_4)
	v_fma_f64 v[76:77], v[42:43], v[2:3], -v[58:59]
	v_fma_f64 v[80:81], v[44:45], v[2:3], v[4:5]
	ds_load_b128 v[2:5], v1 offset:1408
	ds_load_b128 v[58:61], v1 offset:1424
	scratch_load_b128 v[42:45], off, off offset:592
	v_fma_f64 v[40:41], v[40:41], v[6:7], v[62:63]
	v_fma_f64 v[38:39], v[38:39], v[6:7], -v[8:9]
	scratch_load_b128 v[6:9], off, off offset:608
	s_waitcnt vmcnt(10) lgkmcnt(1)
	v_mul_f64 v[165:166], v[2:3], v[12:13]
	v_mul_f64 v[12:13], v[4:5], v[12:13]
	v_add_f64 v[62:63], v[76:77], 0
	v_add_f64 v[76:77], v[80:81], 0
	s_waitcnt vmcnt(9) lgkmcnt(0)
	v_mul_f64 v[80:81], v[58:59], v[16:17]
	v_mul_f64 v[16:17], v[60:61], v[16:17]
	v_fma_f64 v[165:166], v[4:5], v[10:11], v[165:166]
	v_fma_f64 v[167:168], v[2:3], v[10:11], -v[12:13]
	ds_load_b128 v[2:5], v1 offset:1440
	scratch_load_b128 v[10:13], off, off offset:624
	v_add_f64 v[62:63], v[62:63], v[38:39]
	v_add_f64 v[76:77], v[76:77], v[40:41]
	ds_load_b128 v[38:41], v1 offset:1456
	v_fma_f64 v[60:61], v[60:61], v[14:15], v[80:81]
	v_fma_f64 v[58:59], v[58:59], v[14:15], -v[16:17]
	scratch_load_b128 v[14:17], off, off offset:640
	s_waitcnt vmcnt(10) lgkmcnt(1)
	v_mul_f64 v[169:170], v[2:3], v[20:21]
	v_mul_f64 v[20:21], v[4:5], v[20:21]
	s_waitcnt vmcnt(9) lgkmcnt(0)
	v_mul_f64 v[80:81], v[38:39], v[24:25]
	v_mul_f64 v[24:25], v[40:41], v[24:25]
	v_add_f64 v[62:63], v[62:63], v[167:168]
	v_add_f64 v[76:77], v[76:77], v[165:166]
	v_fma_f64 v[165:166], v[4:5], v[18:19], v[169:170]
	v_fma_f64 v[167:168], v[2:3], v[18:19], -v[20:21]
	ds_load_b128 v[2:5], v1 offset:1472
	scratch_load_b128 v[18:21], off, off offset:656
	v_fma_f64 v[40:41], v[40:41], v[22:23], v[80:81]
	v_fma_f64 v[38:39], v[38:39], v[22:23], -v[24:25]
	scratch_load_b128 v[22:25], off, off offset:672
	v_add_f64 v[62:63], v[62:63], v[58:59]
	v_add_f64 v[76:77], v[76:77], v[60:61]
	ds_load_b128 v[58:61], v1 offset:1488
	s_waitcnt vmcnt(10) lgkmcnt(1)
	v_mul_f64 v[169:170], v[2:3], v[28:29]
	v_mul_f64 v[28:29], v[4:5], v[28:29]
	s_waitcnt vmcnt(9) lgkmcnt(0)
	v_mul_f64 v[80:81], v[58:59], v[32:33]
	v_mul_f64 v[32:33], v[60:61], v[32:33]
	v_add_f64 v[62:63], v[62:63], v[167:168]
	v_add_f64 v[76:77], v[76:77], v[165:166]
	v_fma_f64 v[165:166], v[4:5], v[26:27], v[169:170]
	v_fma_f64 v[167:168], v[2:3], v[26:27], -v[28:29]
	ds_load_b128 v[2:5], v1 offset:1504
	scratch_load_b128 v[26:29], off, off offset:688
	v_fma_f64 v[60:61], v[60:61], v[30:31], v[80:81]
	v_fma_f64 v[58:59], v[58:59], v[30:31], -v[32:33]
	scratch_load_b128 v[30:33], off, off offset:704
	v_add_f64 v[62:63], v[62:63], v[38:39]
	v_add_f64 v[76:77], v[76:77], v[40:41]
	ds_load_b128 v[38:41], v1 offset:1520
	s_waitcnt vmcnt(10) lgkmcnt(1)
	v_mul_f64 v[169:170], v[2:3], v[36:37]
	v_mul_f64 v[36:37], v[4:5], v[36:37]
	s_waitcnt vmcnt(8) lgkmcnt(0)
	v_mul_f64 v[80:81], v[38:39], v[56:57]
	v_add_f64 v[62:63], v[62:63], v[167:168]
	v_add_f64 v[76:77], v[76:77], v[165:166]
	v_mul_f64 v[165:166], v[40:41], v[56:57]
	v_fma_f64 v[167:168], v[4:5], v[34:35], v[169:170]
	v_fma_f64 v[169:170], v[2:3], v[34:35], -v[36:37]
	ds_load_b128 v[2:5], v1 offset:1536
	scratch_load_b128 v[34:37], off, off offset:720
	v_fma_f64 v[80:81], v[40:41], v[54:55], v[80:81]
	v_add_f64 v[62:63], v[62:63], v[58:59]
	v_add_f64 v[60:61], v[76:77], v[60:61]
	ds_load_b128 v[56:59], v1 offset:1552
	v_fma_f64 v[54:55], v[38:39], v[54:55], -v[165:166]
	scratch_load_b128 v[38:41], off, off offset:736
	s_waitcnt vmcnt(9) lgkmcnt(1)
	v_mul_f64 v[76:77], v[2:3], v[44:45]
	v_mul_f64 v[44:45], v[4:5], v[44:45]
	s_waitcnt vmcnt(8) lgkmcnt(0)
	v_mul_f64 v[165:166], v[56:57], v[8:9]
	v_mul_f64 v[8:9], v[58:59], v[8:9]
	v_add_f64 v[62:63], v[62:63], v[169:170]
	v_add_f64 v[60:61], v[60:61], v[167:168]
	v_fma_f64 v[76:77], v[4:5], v[42:43], v[76:77]
	v_fma_f64 v[167:168], v[2:3], v[42:43], -v[44:45]
	ds_load_b128 v[2:5], v1 offset:1568
	scratch_load_b128 v[42:45], off, off offset:752
	v_fma_f64 v[58:59], v[58:59], v[6:7], v[165:166]
	v_fma_f64 v[56:57], v[56:57], v[6:7], -v[8:9]
	scratch_load_b128 v[6:9], off, off offset:768
	v_add_f64 v[54:55], v[62:63], v[54:55]
	v_add_f64 v[80:81], v[60:61], v[80:81]
	ds_load_b128 v[60:63], v1 offset:1584
	s_waitcnt vmcnt(9) lgkmcnt(1)
	v_mul_f64 v[169:170], v[2:3], v[12:13]
	v_mul_f64 v[12:13], v[4:5], v[12:13]
	v_add_f64 v[54:55], v[54:55], v[167:168]
	v_add_f64 v[76:77], v[80:81], v[76:77]
	s_waitcnt vmcnt(8) lgkmcnt(0)
	v_mul_f64 v[80:81], v[60:61], v[16:17]
	v_mul_f64 v[16:17], v[62:63], v[16:17]
	v_fma_f64 v[165:166], v[4:5], v[10:11], v[169:170]
	v_fma_f64 v[167:168], v[2:3], v[10:11], -v[12:13]
	ds_load_b128 v[2:5], v1 offset:1600
	scratch_load_b128 v[10:13], off, off offset:784
	v_add_f64 v[169:170], v[54:55], v[56:57]
	v_add_f64 v[58:59], v[76:77], v[58:59]
	ds_load_b128 v[54:57], v1 offset:1616
	s_waitcnt vmcnt(8) lgkmcnt(1)
	v_mul_f64 v[76:77], v[2:3], v[20:21]
	v_mul_f64 v[20:21], v[4:5], v[20:21]
	v_fma_f64 v[62:63], v[62:63], v[14:15], v[80:81]
	v_fma_f64 v[60:61], v[60:61], v[14:15], -v[16:17]
	scratch_load_b128 v[14:17], off, off offset:800
	v_add_f64 v[80:81], v[169:170], v[167:168]
	v_add_f64 v[58:59], v[58:59], v[165:166]
	s_waitcnt vmcnt(8) lgkmcnt(0)
	v_mul_f64 v[165:166], v[54:55], v[24:25]
	v_mul_f64 v[24:25], v[56:57], v[24:25]
	v_fma_f64 v[76:77], v[4:5], v[18:19], v[76:77]
	v_fma_f64 v[167:168], v[2:3], v[18:19], -v[20:21]
	ds_load_b128 v[2:5], v1 offset:1632
	scratch_load_b128 v[18:21], off, off offset:816
	v_add_f64 v[80:81], v[80:81], v[60:61]
	v_add_f64 v[62:63], v[58:59], v[62:63]
	ds_load_b128 v[58:61], v1 offset:1648
	s_waitcnt vmcnt(8) lgkmcnt(1)
	v_mul_f64 v[169:170], v[2:3], v[28:29]
	v_mul_f64 v[28:29], v[4:5], v[28:29]
	v_fma_f64 v[56:57], v[56:57], v[22:23], v[165:166]
	v_fma_f64 v[54:55], v[54:55], v[22:23], -v[24:25]
	scratch_load_b128 v[22:25], off, off offset:832
	;; [unrolled: 18-line block ×4, first 2 shown]
	s_waitcnt vmcnt(8) lgkmcnt(0)
	v_mul_f64 v[80:81], v[58:59], v[8:9]
	v_mul_f64 v[8:9], v[60:61], v[8:9]
	v_add_f64 v[76:77], v[76:77], v[167:168]
	v_add_f64 v[62:63], v[62:63], v[165:166]
	v_fma_f64 v[165:166], v[4:5], v[42:43], v[169:170]
	v_fma_f64 v[167:168], v[2:3], v[42:43], -v[44:45]
	ds_load_b128 v[2:5], v1 offset:1728
	scratch_load_b128 v[42:45], off, off offset:912
	v_fma_f64 v[60:61], v[60:61], v[6:7], v[80:81]
	v_fma_f64 v[58:59], v[58:59], v[6:7], -v[8:9]
	scratch_load_b128 v[6:9], off, off offset:928
	v_add_f64 v[76:77], v[76:77], v[54:55]
	v_add_f64 v[62:63], v[62:63], v[56:57]
	ds_load_b128 v[54:57], v1 offset:1744
	s_waitcnt vmcnt(9) lgkmcnt(1)
	v_mul_f64 v[169:170], v[2:3], v[12:13]
	v_mul_f64 v[12:13], v[4:5], v[12:13]
	s_waitcnt vmcnt(8) lgkmcnt(0)
	v_mul_f64 v[80:81], v[54:55], v[16:17]
	v_mul_f64 v[16:17], v[56:57], v[16:17]
	v_add_f64 v[76:77], v[76:77], v[167:168]
	v_add_f64 v[62:63], v[62:63], v[165:166]
	v_fma_f64 v[165:166], v[4:5], v[10:11], v[169:170]
	v_fma_f64 v[167:168], v[2:3], v[10:11], -v[12:13]
	ds_load_b128 v[2:5], v1 offset:1760
	ds_load_b128 v[10:13], v1 offset:1776
	v_fma_f64 v[56:57], v[56:57], v[14:15], v[80:81]
	v_fma_f64 v[14:15], v[54:55], v[14:15], -v[16:17]
	v_add_f64 v[58:59], v[76:77], v[58:59]
	v_add_f64 v[60:61], v[62:63], v[60:61]
	s_waitcnt vmcnt(7) lgkmcnt(1)
	v_mul_f64 v[62:63], v[2:3], v[20:21]
	v_mul_f64 v[20:21], v[4:5], v[20:21]
	s_delay_alu instid0(VALU_DEP_4) | instskip(NEXT) | instid1(VALU_DEP_4)
	v_add_f64 v[16:17], v[58:59], v[167:168]
	v_add_f64 v[54:55], v[60:61], v[165:166]
	s_waitcnt vmcnt(6) lgkmcnt(0)
	v_mul_f64 v[58:59], v[10:11], v[24:25]
	v_mul_f64 v[24:25], v[12:13], v[24:25]
	v_fma_f64 v[60:61], v[4:5], v[18:19], v[62:63]
	v_fma_f64 v[18:19], v[2:3], v[18:19], -v[20:21]
	v_add_f64 v[20:21], v[16:17], v[14:15]
	v_add_f64 v[54:55], v[54:55], v[56:57]
	ds_load_b128 v[2:5], v1 offset:1792
	ds_load_b128 v[14:17], v1 offset:1808
	v_fma_f64 v[12:13], v[12:13], v[22:23], v[58:59]
	v_fma_f64 v[10:11], v[10:11], v[22:23], -v[24:25]
	s_waitcnt vmcnt(5) lgkmcnt(1)
	v_mul_f64 v[56:57], v[2:3], v[28:29]
	v_mul_f64 v[28:29], v[4:5], v[28:29]
	s_waitcnt vmcnt(4) lgkmcnt(0)
	v_mul_f64 v[22:23], v[14:15], v[32:33]
	v_mul_f64 v[24:25], v[16:17], v[32:33]
	v_add_f64 v[18:19], v[20:21], v[18:19]
	v_add_f64 v[20:21], v[54:55], v[60:61]
	v_fma_f64 v[32:33], v[4:5], v[26:27], v[56:57]
	v_fma_f64 v[26:27], v[2:3], v[26:27], -v[28:29]
	v_fma_f64 v[16:17], v[16:17], v[30:31], v[22:23]
	v_fma_f64 v[14:15], v[14:15], v[30:31], -v[24:25]
	v_add_f64 v[18:19], v[18:19], v[10:11]
	v_add_f64 v[20:21], v[20:21], v[12:13]
	ds_load_b128 v[2:5], v1 offset:1824
	ds_load_b128 v[10:13], v1 offset:1840
	s_waitcnt vmcnt(3) lgkmcnt(1)
	v_mul_f64 v[28:29], v[2:3], v[36:37]
	v_mul_f64 v[36:37], v[4:5], v[36:37]
	s_waitcnt vmcnt(2) lgkmcnt(0)
	v_mul_f64 v[22:23], v[10:11], v[40:41]
	v_mul_f64 v[24:25], v[12:13], v[40:41]
	v_add_f64 v[18:19], v[18:19], v[26:27]
	v_add_f64 v[20:21], v[20:21], v[32:33]
	v_fma_f64 v[26:27], v[4:5], v[34:35], v[28:29]
	v_fma_f64 v[28:29], v[2:3], v[34:35], -v[36:37]
	v_fma_f64 v[12:13], v[12:13], v[38:39], v[22:23]
	v_fma_f64 v[10:11], v[10:11], v[38:39], -v[24:25]
	v_add_f64 v[18:19], v[18:19], v[14:15]
	v_add_f64 v[20:21], v[20:21], v[16:17]
	ds_load_b128 v[2:5], v1 offset:1856
	ds_load_b128 v[14:17], v1 offset:1872
	s_waitcnt vmcnt(1) lgkmcnt(1)
	v_mul_f64 v[30:31], v[2:3], v[44:45]
	v_mul_f64 v[32:33], v[4:5], v[44:45]
	s_waitcnt vmcnt(0) lgkmcnt(0)
	v_mul_f64 v[22:23], v[14:15], v[8:9]
	v_mul_f64 v[8:9], v[16:17], v[8:9]
	v_add_f64 v[18:19], v[18:19], v[28:29]
	v_add_f64 v[20:21], v[20:21], v[26:27]
	v_fma_f64 v[4:5], v[4:5], v[42:43], v[30:31]
	v_fma_f64 v[1:2], v[2:3], v[42:43], -v[32:33]
	v_fma_f64 v[16:17], v[16:17], v[6:7], v[22:23]
	v_fma_f64 v[6:7], v[14:15], v[6:7], -v[8:9]
	v_add_f64 v[10:11], v[18:19], v[10:11]
	v_add_f64 v[12:13], v[20:21], v[12:13]
	s_delay_alu instid0(VALU_DEP_2) | instskip(NEXT) | instid1(VALU_DEP_2)
	v_add_f64 v[1:2], v[10:11], v[1:2]
	v_add_f64 v[3:4], v[12:13], v[4:5]
	s_delay_alu instid0(VALU_DEP_2) | instskip(NEXT) | instid1(VALU_DEP_2)
	;; [unrolled: 3-line block ×3, first 2 shown]
	v_add_f64 v[1:2], v[50:51], -v[1:2]
	v_add_f64 v[3:4], v[52:53], -v[3:4]
	scratch_store_b128 off, v[1:4], off offset:416
	v_cmpx_lt_u32_e32 25, v164
	s_cbranch_execz .LBB58_317
; %bb.316:
	scratch_load_b32 v1, off, off offset:972 ; 4-byte Folded Reload
	v_mov_b32_e32 v5, 0
	s_delay_alu instid0(VALU_DEP_1)
	v_mov_b32_e32 v6, v5
	v_mov_b32_e32 v7, v5
	;; [unrolled: 1-line block ×3, first 2 shown]
	s_waitcnt vmcnt(0)
	scratch_load_b128 v[1:4], v1, off
	scratch_store_b128 off, v[5:8], off offset:400
	s_waitcnt vmcnt(0)
	ds_store_b128 v223, v[1:4]
.LBB58_317:
	s_or_b32 exec_lo, exec_lo, s2
	s_waitcnt lgkmcnt(0)
	s_waitcnt_vscnt null, 0x0
	s_barrier
	buffer_gl0_inv
	s_clause 0x7
	scratch_load_b128 v[2:5], off, off offset:416
	scratch_load_b128 v[6:9], off, off offset:432
	;; [unrolled: 1-line block ×8, first 2 shown]
	v_mov_b32_e32 v1, 0
	s_mov_b32 s2, exec_lo
	ds_load_b128 v[38:41], v1 offset:1360
	s_clause 0x1
	scratch_load_b128 v[34:37], off, off offset:544
	scratch_load_b128 v[42:45], off, off offset:400
	ds_load_b128 v[50:53], v1 offset:1376
	scratch_load_b128 v[54:57], off, off offset:560
	s_waitcnt vmcnt(10) lgkmcnt(1)
	v_mul_f64 v[58:59], v[40:41], v[4:5]
	v_mul_f64 v[4:5], v[38:39], v[4:5]
	s_delay_alu instid0(VALU_DEP_2) | instskip(NEXT) | instid1(VALU_DEP_2)
	v_fma_f64 v[76:77], v[38:39], v[2:3], -v[58:59]
	v_fma_f64 v[80:81], v[40:41], v[2:3], v[4:5]
	scratch_load_b128 v[38:41], off, off offset:576
	ds_load_b128 v[2:5], v1 offset:1392
	s_waitcnt vmcnt(10) lgkmcnt(1)
	v_mul_f64 v[62:63], v[50:51], v[8:9]
	v_mul_f64 v[8:9], v[52:53], v[8:9]
	ds_load_b128 v[58:61], v1 offset:1408
	s_waitcnt vmcnt(9) lgkmcnt(1)
	v_mul_f64 v[165:166], v[2:3], v[12:13]
	v_mul_f64 v[12:13], v[4:5], v[12:13]
	v_fma_f64 v[52:53], v[52:53], v[6:7], v[62:63]
	v_fma_f64 v[50:51], v[50:51], v[6:7], -v[8:9]
	v_add_f64 v[62:63], v[76:77], 0
	v_add_f64 v[76:77], v[80:81], 0
	scratch_load_b128 v[6:9], off, off offset:592
	v_fma_f64 v[165:166], v[4:5], v[10:11], v[165:166]
	v_fma_f64 v[167:168], v[2:3], v[10:11], -v[12:13]
	scratch_load_b128 v[10:13], off, off offset:608
	ds_load_b128 v[2:5], v1 offset:1424
	s_waitcnt vmcnt(10) lgkmcnt(1)
	v_mul_f64 v[80:81], v[58:59], v[16:17]
	v_mul_f64 v[16:17], v[60:61], v[16:17]
	v_add_f64 v[62:63], v[62:63], v[50:51]
	v_add_f64 v[76:77], v[76:77], v[52:53]
	s_waitcnt vmcnt(9) lgkmcnt(0)
	v_mul_f64 v[169:170], v[2:3], v[20:21]
	v_mul_f64 v[20:21], v[4:5], v[20:21]
	ds_load_b128 v[50:53], v1 offset:1440
	v_fma_f64 v[60:61], v[60:61], v[14:15], v[80:81]
	v_fma_f64 v[58:59], v[58:59], v[14:15], -v[16:17]
	scratch_load_b128 v[14:17], off, off offset:624
	v_add_f64 v[62:63], v[62:63], v[167:168]
	v_add_f64 v[76:77], v[76:77], v[165:166]
	v_fma_f64 v[165:166], v[4:5], v[18:19], v[169:170]
	v_fma_f64 v[167:168], v[2:3], v[18:19], -v[20:21]
	scratch_load_b128 v[18:21], off, off offset:640
	ds_load_b128 v[2:5], v1 offset:1456
	s_waitcnt vmcnt(10) lgkmcnt(1)
	v_mul_f64 v[80:81], v[50:51], v[24:25]
	v_mul_f64 v[24:25], v[52:53], v[24:25]
	s_waitcnt vmcnt(9) lgkmcnt(0)
	v_mul_f64 v[169:170], v[2:3], v[28:29]
	v_mul_f64 v[28:29], v[4:5], v[28:29]
	v_add_f64 v[62:63], v[62:63], v[58:59]
	v_add_f64 v[76:77], v[76:77], v[60:61]
	ds_load_b128 v[58:61], v1 offset:1472
	v_fma_f64 v[52:53], v[52:53], v[22:23], v[80:81]
	v_fma_f64 v[50:51], v[50:51], v[22:23], -v[24:25]
	scratch_load_b128 v[22:25], off, off offset:656
	v_add_f64 v[62:63], v[62:63], v[167:168]
	v_add_f64 v[76:77], v[76:77], v[165:166]
	v_fma_f64 v[165:166], v[4:5], v[26:27], v[169:170]
	v_fma_f64 v[167:168], v[2:3], v[26:27], -v[28:29]
	scratch_load_b128 v[26:29], off, off offset:672
	ds_load_b128 v[2:5], v1 offset:1488
	s_waitcnt vmcnt(10) lgkmcnt(1)
	v_mul_f64 v[80:81], v[58:59], v[32:33]
	v_mul_f64 v[32:33], v[60:61], v[32:33]
	s_waitcnt vmcnt(9) lgkmcnt(0)
	v_mul_f64 v[169:170], v[2:3], v[36:37]
	v_mul_f64 v[36:37], v[4:5], v[36:37]
	v_add_f64 v[62:63], v[62:63], v[50:51]
	v_add_f64 v[76:77], v[76:77], v[52:53]
	ds_load_b128 v[50:53], v1 offset:1504
	v_fma_f64 v[60:61], v[60:61], v[30:31], v[80:81]
	v_fma_f64 v[58:59], v[58:59], v[30:31], -v[32:33]
	scratch_load_b128 v[30:33], off, off offset:688
	v_add_f64 v[62:63], v[62:63], v[167:168]
	v_add_f64 v[76:77], v[76:77], v[165:166]
	v_fma_f64 v[167:168], v[4:5], v[34:35], v[169:170]
	v_fma_f64 v[169:170], v[2:3], v[34:35], -v[36:37]
	scratch_load_b128 v[34:37], off, off offset:704
	ds_load_b128 v[2:5], v1 offset:1520
	s_waitcnt vmcnt(9) lgkmcnt(1)
	v_mul_f64 v[80:81], v[50:51], v[56:57]
	v_mul_f64 v[165:166], v[52:53], v[56:57]
	v_add_f64 v[62:63], v[62:63], v[58:59]
	v_add_f64 v[60:61], v[76:77], v[60:61]
	ds_load_b128 v[56:59], v1 offset:1536
	v_fma_f64 v[80:81], v[52:53], v[54:55], v[80:81]
	v_fma_f64 v[54:55], v[50:51], v[54:55], -v[165:166]
	scratch_load_b128 v[50:53], off, off offset:720
	s_waitcnt vmcnt(9) lgkmcnt(1)
	v_mul_f64 v[76:77], v[2:3], v[40:41]
	v_mul_f64 v[40:41], v[4:5], v[40:41]
	v_add_f64 v[62:63], v[62:63], v[169:170]
	v_add_f64 v[60:61], v[60:61], v[167:168]
	s_delay_alu instid0(VALU_DEP_4) | instskip(NEXT) | instid1(VALU_DEP_4)
	v_fma_f64 v[76:77], v[4:5], v[38:39], v[76:77]
	v_fma_f64 v[167:168], v[2:3], v[38:39], -v[40:41]
	scratch_load_b128 v[38:41], off, off offset:736
	ds_load_b128 v[2:5], v1 offset:1552
	s_waitcnt vmcnt(9) lgkmcnt(1)
	v_mul_f64 v[165:166], v[56:57], v[8:9]
	v_mul_f64 v[8:9], v[58:59], v[8:9]
	s_waitcnt vmcnt(8) lgkmcnt(0)
	v_mul_f64 v[169:170], v[2:3], v[12:13]
	v_mul_f64 v[12:13], v[4:5], v[12:13]
	v_add_f64 v[54:55], v[62:63], v[54:55]
	v_add_f64 v[80:81], v[60:61], v[80:81]
	ds_load_b128 v[60:63], v1 offset:1568
	v_fma_f64 v[58:59], v[58:59], v[6:7], v[165:166]
	v_fma_f64 v[56:57], v[56:57], v[6:7], -v[8:9]
	scratch_load_b128 v[6:9], off, off offset:752
	v_fma_f64 v[165:166], v[4:5], v[10:11], v[169:170]
	v_add_f64 v[54:55], v[54:55], v[167:168]
	v_add_f64 v[76:77], v[80:81], v[76:77]
	v_fma_f64 v[167:168], v[2:3], v[10:11], -v[12:13]
	scratch_load_b128 v[10:13], off, off offset:768
	ds_load_b128 v[2:5], v1 offset:1584
	s_waitcnt vmcnt(9) lgkmcnt(1)
	v_mul_f64 v[80:81], v[60:61], v[16:17]
	v_mul_f64 v[16:17], v[62:63], v[16:17]
	v_add_f64 v[169:170], v[54:55], v[56:57]
	v_add_f64 v[58:59], v[76:77], v[58:59]
	s_waitcnt vmcnt(8) lgkmcnt(0)
	v_mul_f64 v[76:77], v[2:3], v[20:21]
	v_mul_f64 v[20:21], v[4:5], v[20:21]
	ds_load_b128 v[54:57], v1 offset:1600
	v_fma_f64 v[62:63], v[62:63], v[14:15], v[80:81]
	v_fma_f64 v[60:61], v[60:61], v[14:15], -v[16:17]
	scratch_load_b128 v[14:17], off, off offset:784
	v_add_f64 v[80:81], v[169:170], v[167:168]
	v_add_f64 v[58:59], v[58:59], v[165:166]
	v_fma_f64 v[76:77], v[4:5], v[18:19], v[76:77]
	v_fma_f64 v[167:168], v[2:3], v[18:19], -v[20:21]
	scratch_load_b128 v[18:21], off, off offset:800
	ds_load_b128 v[2:5], v1 offset:1616
	s_waitcnt vmcnt(9) lgkmcnt(1)
	v_mul_f64 v[165:166], v[54:55], v[24:25]
	v_mul_f64 v[24:25], v[56:57], v[24:25]
	s_waitcnt vmcnt(8) lgkmcnt(0)
	v_mul_f64 v[169:170], v[2:3], v[28:29]
	v_mul_f64 v[28:29], v[4:5], v[28:29]
	v_add_f64 v[80:81], v[80:81], v[60:61]
	v_add_f64 v[62:63], v[58:59], v[62:63]
	ds_load_b128 v[58:61], v1 offset:1632
	v_fma_f64 v[56:57], v[56:57], v[22:23], v[165:166]
	v_fma_f64 v[54:55], v[54:55], v[22:23], -v[24:25]
	scratch_load_b128 v[22:25], off, off offset:816
	v_fma_f64 v[165:166], v[4:5], v[26:27], v[169:170]
	v_add_f64 v[80:81], v[80:81], v[167:168]
	v_add_f64 v[62:63], v[62:63], v[76:77]
	v_fma_f64 v[167:168], v[2:3], v[26:27], -v[28:29]
	scratch_load_b128 v[26:29], off, off offset:832
	ds_load_b128 v[2:5], v1 offset:1648
	s_waitcnt vmcnt(9) lgkmcnt(1)
	v_mul_f64 v[76:77], v[58:59], v[32:33]
	v_mul_f64 v[32:33], v[60:61], v[32:33]
	s_waitcnt vmcnt(8) lgkmcnt(0)
	v_mul_f64 v[169:170], v[2:3], v[36:37]
	v_mul_f64 v[36:37], v[4:5], v[36:37]
	v_add_f64 v[80:81], v[80:81], v[54:55]
	v_add_f64 v[62:63], v[62:63], v[56:57]
	ds_load_b128 v[54:57], v1 offset:1664
	v_fma_f64 v[60:61], v[60:61], v[30:31], v[76:77]
	v_fma_f64 v[58:59], v[58:59], v[30:31], -v[32:33]
	scratch_load_b128 v[30:33], off, off offset:848
	v_add_f64 v[76:77], v[80:81], v[167:168]
	v_add_f64 v[62:63], v[62:63], v[165:166]
	v_fma_f64 v[165:166], v[4:5], v[34:35], v[169:170]
	v_fma_f64 v[167:168], v[2:3], v[34:35], -v[36:37]
	scratch_load_b128 v[34:37], off, off offset:864
	ds_load_b128 v[2:5], v1 offset:1680
	s_waitcnt vmcnt(9) lgkmcnt(1)
	v_mul_f64 v[80:81], v[54:55], v[52:53]
	v_mul_f64 v[52:53], v[56:57], v[52:53]
	s_waitcnt vmcnt(8) lgkmcnt(0)
	v_mul_f64 v[169:170], v[2:3], v[40:41]
	v_mul_f64 v[40:41], v[4:5], v[40:41]
	v_add_f64 v[76:77], v[76:77], v[58:59]
	v_add_f64 v[62:63], v[62:63], v[60:61]
	ds_load_b128 v[58:61], v1 offset:1696
	v_fma_f64 v[56:57], v[56:57], v[50:51], v[80:81]
	v_fma_f64 v[54:55], v[54:55], v[50:51], -v[52:53]
	scratch_load_b128 v[50:53], off, off offset:880
	v_add_f64 v[76:77], v[76:77], v[167:168]
	v_add_f64 v[62:63], v[62:63], v[165:166]
	v_fma_f64 v[165:166], v[4:5], v[38:39], v[169:170]
	;; [unrolled: 18-line block ×3, first 2 shown]
	v_fma_f64 v[167:168], v[2:3], v[10:11], -v[12:13]
	scratch_load_b128 v[10:13], off, off offset:928
	ds_load_b128 v[2:5], v1 offset:1744
	s_waitcnt vmcnt(9) lgkmcnt(1)
	v_mul_f64 v[80:81], v[54:55], v[16:17]
	v_mul_f64 v[16:17], v[56:57], v[16:17]
	s_waitcnt vmcnt(8) lgkmcnt(0)
	v_mul_f64 v[169:170], v[2:3], v[20:21]
	v_mul_f64 v[20:21], v[4:5], v[20:21]
	v_add_f64 v[76:77], v[76:77], v[58:59]
	v_add_f64 v[62:63], v[62:63], v[60:61]
	ds_load_b128 v[58:61], v1 offset:1760
	v_fma_f64 v[56:57], v[56:57], v[14:15], v[80:81]
	v_fma_f64 v[14:15], v[54:55], v[14:15], -v[16:17]
	v_add_f64 v[16:17], v[76:77], v[167:168]
	v_add_f64 v[54:55], v[62:63], v[165:166]
	s_waitcnt vmcnt(7) lgkmcnt(0)
	v_mul_f64 v[62:63], v[58:59], v[24:25]
	v_mul_f64 v[24:25], v[60:61], v[24:25]
	v_fma_f64 v[76:77], v[4:5], v[18:19], v[169:170]
	v_fma_f64 v[18:19], v[2:3], v[18:19], -v[20:21]
	v_add_f64 v[20:21], v[16:17], v[14:15]
	v_add_f64 v[54:55], v[54:55], v[56:57]
	ds_load_b128 v[2:5], v1 offset:1776
	ds_load_b128 v[14:17], v1 offset:1792
	v_fma_f64 v[60:61], v[60:61], v[22:23], v[62:63]
	v_fma_f64 v[22:23], v[58:59], v[22:23], -v[24:25]
	s_waitcnt vmcnt(6) lgkmcnt(1)
	v_mul_f64 v[56:57], v[2:3], v[28:29]
	v_mul_f64 v[28:29], v[4:5], v[28:29]
	s_waitcnt vmcnt(5) lgkmcnt(0)
	v_mul_f64 v[24:25], v[14:15], v[32:33]
	v_mul_f64 v[32:33], v[16:17], v[32:33]
	v_add_f64 v[18:19], v[20:21], v[18:19]
	v_add_f64 v[20:21], v[54:55], v[76:77]
	v_fma_f64 v[54:55], v[4:5], v[26:27], v[56:57]
	v_fma_f64 v[26:27], v[2:3], v[26:27], -v[28:29]
	v_fma_f64 v[16:17], v[16:17], v[30:31], v[24:25]
	v_fma_f64 v[14:15], v[14:15], v[30:31], -v[32:33]
	v_add_f64 v[22:23], v[18:19], v[22:23]
	v_add_f64 v[28:29], v[20:21], v[60:61]
	ds_load_b128 v[2:5], v1 offset:1808
	ds_load_b128 v[18:21], v1 offset:1824
	s_waitcnt vmcnt(4) lgkmcnt(1)
	v_mul_f64 v[56:57], v[2:3], v[36:37]
	v_mul_f64 v[36:37], v[4:5], v[36:37]
	v_add_f64 v[22:23], v[22:23], v[26:27]
	v_add_f64 v[24:25], v[28:29], v[54:55]
	s_waitcnt vmcnt(3) lgkmcnt(0)
	v_mul_f64 v[26:27], v[18:19], v[52:53]
	v_mul_f64 v[28:29], v[20:21], v[52:53]
	v_fma_f64 v[30:31], v[4:5], v[34:35], v[56:57]
	v_fma_f64 v[32:33], v[2:3], v[34:35], -v[36:37]
	v_add_f64 v[22:23], v[22:23], v[14:15]
	v_add_f64 v[24:25], v[24:25], v[16:17]
	ds_load_b128 v[2:5], v1 offset:1840
	ds_load_b128 v[14:17], v1 offset:1856
	v_fma_f64 v[20:21], v[20:21], v[50:51], v[26:27]
	v_fma_f64 v[18:19], v[18:19], v[50:51], -v[28:29]
	s_waitcnt vmcnt(2) lgkmcnt(1)
	v_mul_f64 v[34:35], v[2:3], v[40:41]
	v_mul_f64 v[36:37], v[4:5], v[40:41]
	s_waitcnt vmcnt(1) lgkmcnt(0)
	v_mul_f64 v[26:27], v[14:15], v[8:9]
	v_mul_f64 v[8:9], v[16:17], v[8:9]
	v_add_f64 v[22:23], v[22:23], v[32:33]
	v_add_f64 v[24:25], v[24:25], v[30:31]
	v_fma_f64 v[28:29], v[4:5], v[38:39], v[34:35]
	v_fma_f64 v[30:31], v[2:3], v[38:39], -v[36:37]
	ds_load_b128 v[2:5], v1 offset:1872
	v_fma_f64 v[16:17], v[16:17], v[6:7], v[26:27]
	v_fma_f64 v[6:7], v[14:15], v[6:7], -v[8:9]
	v_add_f64 v[18:19], v[22:23], v[18:19]
	v_add_f64 v[20:21], v[24:25], v[20:21]
	s_waitcnt vmcnt(0) lgkmcnt(0)
	v_mul_f64 v[22:23], v[2:3], v[12:13]
	v_mul_f64 v[12:13], v[4:5], v[12:13]
	s_delay_alu instid0(VALU_DEP_4) | instskip(NEXT) | instid1(VALU_DEP_4)
	v_add_f64 v[8:9], v[18:19], v[30:31]
	v_add_f64 v[14:15], v[20:21], v[28:29]
	s_delay_alu instid0(VALU_DEP_4) | instskip(NEXT) | instid1(VALU_DEP_4)
	v_fma_f64 v[4:5], v[4:5], v[10:11], v[22:23]
	v_fma_f64 v[2:3], v[2:3], v[10:11], -v[12:13]
	s_delay_alu instid0(VALU_DEP_4) | instskip(NEXT) | instid1(VALU_DEP_4)
	v_add_f64 v[6:7], v[8:9], v[6:7]
	v_add_f64 v[8:9], v[14:15], v[16:17]
	s_delay_alu instid0(VALU_DEP_2) | instskip(NEXT) | instid1(VALU_DEP_2)
	v_add_f64 v[2:3], v[6:7], v[2:3]
	v_add_f64 v[4:5], v[8:9], v[4:5]
	s_delay_alu instid0(VALU_DEP_2) | instskip(NEXT) | instid1(VALU_DEP_2)
	v_add_f64 v[2:3], v[42:43], -v[2:3]
	v_add_f64 v[4:5], v[44:45], -v[4:5]
	scratch_store_b128 off, v[2:5], off offset:400
	v_cmpx_lt_u32_e32 24, v164
	s_cbranch_execz .LBB58_319
; %bb.318:
	scratch_load_b32 v2, off, off offset:976 ; 4-byte Folded Reload
	v_mov_b32_e32 v3, v1
	v_mov_b32_e32 v4, v1
	s_waitcnt vmcnt(0)
	scratch_load_b128 v[5:8], v2, off
	v_mov_b32_e32 v2, v1
	scratch_store_b128 off, v[1:4], off offset:384
	s_waitcnt vmcnt(0)
	ds_store_b128 v223, v[5:8]
.LBB58_319:
	s_or_b32 exec_lo, exec_lo, s2
	s_waitcnt lgkmcnt(0)
	s_waitcnt_vscnt null, 0x0
	s_barrier
	buffer_gl0_inv
	s_clause 0x8
	scratch_load_b128 v[2:5], off, off offset:400
	scratch_load_b128 v[6:9], off, off offset:416
	;; [unrolled: 1-line block ×9, first 2 shown]
	ds_load_b128 v[42:45], v1 offset:1344
	ds_load_b128 v[38:41], v1 offset:1360
	s_clause 0x1
	scratch_load_b128 v[50:53], off, off offset:384
	scratch_load_b128 v[54:57], off, off offset:544
	s_mov_b32 s2, exec_lo
	s_waitcnt vmcnt(10) lgkmcnt(1)
	v_mul_f64 v[58:59], v[44:45], v[4:5]
	v_mul_f64 v[4:5], v[42:43], v[4:5]
	s_waitcnt vmcnt(9) lgkmcnt(0)
	v_mul_f64 v[62:63], v[38:39], v[8:9]
	v_mul_f64 v[8:9], v[40:41], v[8:9]
	s_delay_alu instid0(VALU_DEP_4) | instskip(NEXT) | instid1(VALU_DEP_4)
	v_fma_f64 v[76:77], v[42:43], v[2:3], -v[58:59]
	v_fma_f64 v[80:81], v[44:45], v[2:3], v[4:5]
	ds_load_b128 v[2:5], v1 offset:1376
	ds_load_b128 v[58:61], v1 offset:1392
	scratch_load_b128 v[42:45], off, off offset:560
	v_fma_f64 v[40:41], v[40:41], v[6:7], v[62:63]
	v_fma_f64 v[38:39], v[38:39], v[6:7], -v[8:9]
	scratch_load_b128 v[6:9], off, off offset:576
	s_waitcnt vmcnt(10) lgkmcnt(1)
	v_mul_f64 v[165:166], v[2:3], v[12:13]
	v_mul_f64 v[12:13], v[4:5], v[12:13]
	v_add_f64 v[62:63], v[76:77], 0
	v_add_f64 v[76:77], v[80:81], 0
	s_waitcnt vmcnt(9) lgkmcnt(0)
	v_mul_f64 v[80:81], v[58:59], v[16:17]
	v_mul_f64 v[16:17], v[60:61], v[16:17]
	v_fma_f64 v[165:166], v[4:5], v[10:11], v[165:166]
	v_fma_f64 v[167:168], v[2:3], v[10:11], -v[12:13]
	ds_load_b128 v[2:5], v1 offset:1408
	scratch_load_b128 v[10:13], off, off offset:592
	v_add_f64 v[62:63], v[62:63], v[38:39]
	v_add_f64 v[76:77], v[76:77], v[40:41]
	ds_load_b128 v[38:41], v1 offset:1424
	v_fma_f64 v[60:61], v[60:61], v[14:15], v[80:81]
	v_fma_f64 v[58:59], v[58:59], v[14:15], -v[16:17]
	scratch_load_b128 v[14:17], off, off offset:608
	s_waitcnt vmcnt(10) lgkmcnt(1)
	v_mul_f64 v[169:170], v[2:3], v[20:21]
	v_mul_f64 v[20:21], v[4:5], v[20:21]
	s_waitcnt vmcnt(9) lgkmcnt(0)
	v_mul_f64 v[80:81], v[38:39], v[24:25]
	v_mul_f64 v[24:25], v[40:41], v[24:25]
	v_add_f64 v[62:63], v[62:63], v[167:168]
	v_add_f64 v[76:77], v[76:77], v[165:166]
	v_fma_f64 v[165:166], v[4:5], v[18:19], v[169:170]
	v_fma_f64 v[167:168], v[2:3], v[18:19], -v[20:21]
	ds_load_b128 v[2:5], v1 offset:1440
	scratch_load_b128 v[18:21], off, off offset:624
	v_fma_f64 v[40:41], v[40:41], v[22:23], v[80:81]
	v_fma_f64 v[38:39], v[38:39], v[22:23], -v[24:25]
	scratch_load_b128 v[22:25], off, off offset:640
	v_add_f64 v[62:63], v[62:63], v[58:59]
	v_add_f64 v[76:77], v[76:77], v[60:61]
	ds_load_b128 v[58:61], v1 offset:1456
	s_waitcnt vmcnt(10) lgkmcnt(1)
	v_mul_f64 v[169:170], v[2:3], v[28:29]
	v_mul_f64 v[28:29], v[4:5], v[28:29]
	s_waitcnt vmcnt(9) lgkmcnt(0)
	v_mul_f64 v[80:81], v[58:59], v[32:33]
	v_mul_f64 v[32:33], v[60:61], v[32:33]
	v_add_f64 v[62:63], v[62:63], v[167:168]
	v_add_f64 v[76:77], v[76:77], v[165:166]
	v_fma_f64 v[165:166], v[4:5], v[26:27], v[169:170]
	v_fma_f64 v[167:168], v[2:3], v[26:27], -v[28:29]
	ds_load_b128 v[2:5], v1 offset:1472
	scratch_load_b128 v[26:29], off, off offset:656
	v_fma_f64 v[60:61], v[60:61], v[30:31], v[80:81]
	v_fma_f64 v[58:59], v[58:59], v[30:31], -v[32:33]
	scratch_load_b128 v[30:33], off, off offset:672
	v_add_f64 v[62:63], v[62:63], v[38:39]
	v_add_f64 v[76:77], v[76:77], v[40:41]
	ds_load_b128 v[38:41], v1 offset:1488
	s_waitcnt vmcnt(10) lgkmcnt(1)
	v_mul_f64 v[169:170], v[2:3], v[36:37]
	v_mul_f64 v[36:37], v[4:5], v[36:37]
	s_waitcnt vmcnt(8) lgkmcnt(0)
	v_mul_f64 v[80:81], v[38:39], v[56:57]
	v_add_f64 v[62:63], v[62:63], v[167:168]
	v_add_f64 v[76:77], v[76:77], v[165:166]
	v_mul_f64 v[165:166], v[40:41], v[56:57]
	v_fma_f64 v[167:168], v[4:5], v[34:35], v[169:170]
	v_fma_f64 v[169:170], v[2:3], v[34:35], -v[36:37]
	ds_load_b128 v[2:5], v1 offset:1504
	scratch_load_b128 v[34:37], off, off offset:688
	v_fma_f64 v[80:81], v[40:41], v[54:55], v[80:81]
	v_add_f64 v[62:63], v[62:63], v[58:59]
	v_add_f64 v[60:61], v[76:77], v[60:61]
	ds_load_b128 v[56:59], v1 offset:1520
	v_fma_f64 v[54:55], v[38:39], v[54:55], -v[165:166]
	scratch_load_b128 v[38:41], off, off offset:704
	s_waitcnt vmcnt(9) lgkmcnt(1)
	v_mul_f64 v[76:77], v[2:3], v[44:45]
	v_mul_f64 v[44:45], v[4:5], v[44:45]
	s_waitcnt vmcnt(8) lgkmcnt(0)
	v_mul_f64 v[165:166], v[56:57], v[8:9]
	v_mul_f64 v[8:9], v[58:59], v[8:9]
	v_add_f64 v[62:63], v[62:63], v[169:170]
	v_add_f64 v[60:61], v[60:61], v[167:168]
	v_fma_f64 v[76:77], v[4:5], v[42:43], v[76:77]
	v_fma_f64 v[167:168], v[2:3], v[42:43], -v[44:45]
	ds_load_b128 v[2:5], v1 offset:1536
	scratch_load_b128 v[42:45], off, off offset:720
	v_fma_f64 v[58:59], v[58:59], v[6:7], v[165:166]
	v_fma_f64 v[56:57], v[56:57], v[6:7], -v[8:9]
	scratch_load_b128 v[6:9], off, off offset:736
	v_add_f64 v[54:55], v[62:63], v[54:55]
	v_add_f64 v[80:81], v[60:61], v[80:81]
	ds_load_b128 v[60:63], v1 offset:1552
	s_waitcnt vmcnt(9) lgkmcnt(1)
	v_mul_f64 v[169:170], v[2:3], v[12:13]
	v_mul_f64 v[12:13], v[4:5], v[12:13]
	v_add_f64 v[54:55], v[54:55], v[167:168]
	v_add_f64 v[76:77], v[80:81], v[76:77]
	s_waitcnt vmcnt(8) lgkmcnt(0)
	v_mul_f64 v[80:81], v[60:61], v[16:17]
	v_mul_f64 v[16:17], v[62:63], v[16:17]
	v_fma_f64 v[165:166], v[4:5], v[10:11], v[169:170]
	v_fma_f64 v[167:168], v[2:3], v[10:11], -v[12:13]
	ds_load_b128 v[2:5], v1 offset:1568
	scratch_load_b128 v[10:13], off, off offset:752
	v_add_f64 v[169:170], v[54:55], v[56:57]
	v_add_f64 v[58:59], v[76:77], v[58:59]
	ds_load_b128 v[54:57], v1 offset:1584
	s_waitcnt vmcnt(8) lgkmcnt(1)
	v_mul_f64 v[76:77], v[2:3], v[20:21]
	v_mul_f64 v[20:21], v[4:5], v[20:21]
	v_fma_f64 v[62:63], v[62:63], v[14:15], v[80:81]
	v_fma_f64 v[60:61], v[60:61], v[14:15], -v[16:17]
	scratch_load_b128 v[14:17], off, off offset:768
	v_add_f64 v[80:81], v[169:170], v[167:168]
	v_add_f64 v[58:59], v[58:59], v[165:166]
	s_waitcnt vmcnt(8) lgkmcnt(0)
	v_mul_f64 v[165:166], v[54:55], v[24:25]
	v_mul_f64 v[24:25], v[56:57], v[24:25]
	v_fma_f64 v[76:77], v[4:5], v[18:19], v[76:77]
	v_fma_f64 v[167:168], v[2:3], v[18:19], -v[20:21]
	ds_load_b128 v[2:5], v1 offset:1600
	scratch_load_b128 v[18:21], off, off offset:784
	v_add_f64 v[80:81], v[80:81], v[60:61]
	v_add_f64 v[62:63], v[58:59], v[62:63]
	ds_load_b128 v[58:61], v1 offset:1616
	s_waitcnt vmcnt(8) lgkmcnt(1)
	v_mul_f64 v[169:170], v[2:3], v[28:29]
	v_mul_f64 v[28:29], v[4:5], v[28:29]
	v_fma_f64 v[56:57], v[56:57], v[22:23], v[165:166]
	v_fma_f64 v[54:55], v[54:55], v[22:23], -v[24:25]
	scratch_load_b128 v[22:25], off, off offset:800
	;; [unrolled: 18-line block ×4, first 2 shown]
	s_waitcnt vmcnt(8) lgkmcnt(0)
	v_mul_f64 v[80:81], v[58:59], v[8:9]
	v_mul_f64 v[8:9], v[60:61], v[8:9]
	v_add_f64 v[76:77], v[76:77], v[167:168]
	v_add_f64 v[62:63], v[62:63], v[165:166]
	v_fma_f64 v[165:166], v[4:5], v[42:43], v[169:170]
	v_fma_f64 v[167:168], v[2:3], v[42:43], -v[44:45]
	ds_load_b128 v[2:5], v1 offset:1696
	scratch_load_b128 v[42:45], off, off offset:880
	v_fma_f64 v[60:61], v[60:61], v[6:7], v[80:81]
	v_fma_f64 v[58:59], v[58:59], v[6:7], -v[8:9]
	scratch_load_b128 v[6:9], off, off offset:896
	v_add_f64 v[76:77], v[76:77], v[54:55]
	v_add_f64 v[62:63], v[62:63], v[56:57]
	ds_load_b128 v[54:57], v1 offset:1712
	s_waitcnt vmcnt(9) lgkmcnt(1)
	v_mul_f64 v[169:170], v[2:3], v[12:13]
	v_mul_f64 v[12:13], v[4:5], v[12:13]
	s_waitcnt vmcnt(8) lgkmcnt(0)
	v_mul_f64 v[80:81], v[54:55], v[16:17]
	v_mul_f64 v[16:17], v[56:57], v[16:17]
	v_add_f64 v[76:77], v[76:77], v[167:168]
	v_add_f64 v[62:63], v[62:63], v[165:166]
	v_fma_f64 v[165:166], v[4:5], v[10:11], v[169:170]
	v_fma_f64 v[167:168], v[2:3], v[10:11], -v[12:13]
	ds_load_b128 v[2:5], v1 offset:1728
	scratch_load_b128 v[10:13], off, off offset:912
	v_fma_f64 v[56:57], v[56:57], v[14:15], v[80:81]
	v_fma_f64 v[54:55], v[54:55], v[14:15], -v[16:17]
	scratch_load_b128 v[14:17], off, off offset:928
	v_add_f64 v[76:77], v[76:77], v[58:59]
	v_add_f64 v[62:63], v[62:63], v[60:61]
	ds_load_b128 v[58:61], v1 offset:1744
	s_waitcnt vmcnt(9) lgkmcnt(1)
	v_mul_f64 v[169:170], v[2:3], v[20:21]
	v_mul_f64 v[20:21], v[4:5], v[20:21]
	s_waitcnt vmcnt(8) lgkmcnt(0)
	v_mul_f64 v[80:81], v[58:59], v[24:25]
	v_mul_f64 v[24:25], v[60:61], v[24:25]
	v_add_f64 v[76:77], v[76:77], v[167:168]
	v_add_f64 v[62:63], v[62:63], v[165:166]
	v_fma_f64 v[165:166], v[4:5], v[18:19], v[169:170]
	v_fma_f64 v[167:168], v[2:3], v[18:19], -v[20:21]
	ds_load_b128 v[2:5], v1 offset:1760
	ds_load_b128 v[18:21], v1 offset:1776
	v_fma_f64 v[60:61], v[60:61], v[22:23], v[80:81]
	v_fma_f64 v[22:23], v[58:59], v[22:23], -v[24:25]
	v_add_f64 v[54:55], v[76:77], v[54:55]
	v_add_f64 v[56:57], v[62:63], v[56:57]
	s_waitcnt vmcnt(7) lgkmcnt(1)
	v_mul_f64 v[62:63], v[2:3], v[28:29]
	v_mul_f64 v[28:29], v[4:5], v[28:29]
	s_delay_alu instid0(VALU_DEP_4) | instskip(NEXT) | instid1(VALU_DEP_4)
	v_add_f64 v[24:25], v[54:55], v[167:168]
	v_add_f64 v[54:55], v[56:57], v[165:166]
	s_waitcnt vmcnt(6) lgkmcnt(0)
	v_mul_f64 v[56:57], v[18:19], v[32:33]
	v_mul_f64 v[32:33], v[20:21], v[32:33]
	v_fma_f64 v[58:59], v[4:5], v[26:27], v[62:63]
	v_fma_f64 v[26:27], v[2:3], v[26:27], -v[28:29]
	v_add_f64 v[28:29], v[24:25], v[22:23]
	v_add_f64 v[54:55], v[54:55], v[60:61]
	ds_load_b128 v[2:5], v1 offset:1792
	ds_load_b128 v[22:25], v1 offset:1808
	v_fma_f64 v[20:21], v[20:21], v[30:31], v[56:57]
	v_fma_f64 v[18:19], v[18:19], v[30:31], -v[32:33]
	s_waitcnt vmcnt(5) lgkmcnt(1)
	v_mul_f64 v[60:61], v[2:3], v[36:37]
	v_mul_f64 v[36:37], v[4:5], v[36:37]
	s_waitcnt vmcnt(4) lgkmcnt(0)
	v_mul_f64 v[30:31], v[22:23], v[40:41]
	v_mul_f64 v[32:33], v[24:25], v[40:41]
	v_add_f64 v[26:27], v[28:29], v[26:27]
	v_add_f64 v[28:29], v[54:55], v[58:59]
	v_fma_f64 v[40:41], v[4:5], v[34:35], v[60:61]
	v_fma_f64 v[34:35], v[2:3], v[34:35], -v[36:37]
	v_fma_f64 v[24:25], v[24:25], v[38:39], v[30:31]
	v_fma_f64 v[22:23], v[22:23], v[38:39], -v[32:33]
	v_add_f64 v[26:27], v[26:27], v[18:19]
	v_add_f64 v[28:29], v[28:29], v[20:21]
	ds_load_b128 v[2:5], v1 offset:1824
	ds_load_b128 v[18:21], v1 offset:1840
	s_waitcnt vmcnt(3) lgkmcnt(1)
	v_mul_f64 v[36:37], v[2:3], v[44:45]
	v_mul_f64 v[44:45], v[4:5], v[44:45]
	s_waitcnt vmcnt(2) lgkmcnt(0)
	v_mul_f64 v[30:31], v[18:19], v[8:9]
	v_mul_f64 v[8:9], v[20:21], v[8:9]
	v_add_f64 v[26:27], v[26:27], v[34:35]
	v_add_f64 v[28:29], v[28:29], v[40:41]
	v_fma_f64 v[32:33], v[4:5], v[42:43], v[36:37]
	v_fma_f64 v[34:35], v[2:3], v[42:43], -v[44:45]
	v_fma_f64 v[20:21], v[20:21], v[6:7], v[30:31]
	v_fma_f64 v[6:7], v[18:19], v[6:7], -v[8:9]
	v_add_f64 v[26:27], v[26:27], v[22:23]
	v_add_f64 v[28:29], v[28:29], v[24:25]
	ds_load_b128 v[2:5], v1 offset:1856
	ds_load_b128 v[22:25], v1 offset:1872
	s_waitcnt vmcnt(1) lgkmcnt(1)
	v_mul_f64 v[36:37], v[2:3], v[12:13]
	v_mul_f64 v[12:13], v[4:5], v[12:13]
	v_add_f64 v[8:9], v[26:27], v[34:35]
	v_add_f64 v[18:19], v[28:29], v[32:33]
	s_waitcnt vmcnt(0) lgkmcnt(0)
	v_mul_f64 v[26:27], v[22:23], v[16:17]
	v_mul_f64 v[16:17], v[24:25], v[16:17]
	v_fma_f64 v[4:5], v[4:5], v[10:11], v[36:37]
	v_fma_f64 v[1:2], v[2:3], v[10:11], -v[12:13]
	v_add_f64 v[6:7], v[8:9], v[6:7]
	v_add_f64 v[8:9], v[18:19], v[20:21]
	v_fma_f64 v[10:11], v[24:25], v[14:15], v[26:27]
	v_fma_f64 v[12:13], v[22:23], v[14:15], -v[16:17]
	s_delay_alu instid0(VALU_DEP_4) | instskip(NEXT) | instid1(VALU_DEP_4)
	v_add_f64 v[1:2], v[6:7], v[1:2]
	v_add_f64 v[3:4], v[8:9], v[4:5]
	s_delay_alu instid0(VALU_DEP_2) | instskip(NEXT) | instid1(VALU_DEP_2)
	v_add_f64 v[1:2], v[1:2], v[12:13]
	v_add_f64 v[3:4], v[3:4], v[10:11]
	s_delay_alu instid0(VALU_DEP_2) | instskip(NEXT) | instid1(VALU_DEP_2)
	v_add_f64 v[1:2], v[50:51], -v[1:2]
	v_add_f64 v[3:4], v[52:53], -v[3:4]
	scratch_store_b128 off, v[1:4], off offset:384
	v_cmpx_lt_u32_e32 23, v164
	s_cbranch_execz .LBB58_321
; %bb.320:
	scratch_load_b32 v1, off, off offset:980 ; 4-byte Folded Reload
	v_mov_b32_e32 v5, 0
	s_delay_alu instid0(VALU_DEP_1)
	v_mov_b32_e32 v6, v5
	v_mov_b32_e32 v7, v5
	;; [unrolled: 1-line block ×3, first 2 shown]
	s_waitcnt vmcnt(0)
	scratch_load_b128 v[1:4], v1, off
	scratch_store_b128 off, v[5:8], off offset:368
	s_waitcnt vmcnt(0)
	ds_store_b128 v223, v[1:4]
.LBB58_321:
	s_or_b32 exec_lo, exec_lo, s2
	s_waitcnt lgkmcnt(0)
	s_waitcnt_vscnt null, 0x0
	s_barrier
	buffer_gl0_inv
	s_clause 0x7
	scratch_load_b128 v[2:5], off, off offset:384
	scratch_load_b128 v[6:9], off, off offset:400
	;; [unrolled: 1-line block ×8, first 2 shown]
	v_mov_b32_e32 v1, 0
	s_mov_b32 s2, exec_lo
	ds_load_b128 v[38:41], v1 offset:1328
	s_clause 0x1
	scratch_load_b128 v[34:37], off, off offset:512
	scratch_load_b128 v[42:45], off, off offset:368
	ds_load_b128 v[50:53], v1 offset:1344
	scratch_load_b128 v[54:57], off, off offset:528
	s_waitcnt vmcnt(10) lgkmcnt(1)
	v_mul_f64 v[58:59], v[40:41], v[4:5]
	v_mul_f64 v[4:5], v[38:39], v[4:5]
	s_delay_alu instid0(VALU_DEP_2) | instskip(NEXT) | instid1(VALU_DEP_2)
	v_fma_f64 v[76:77], v[38:39], v[2:3], -v[58:59]
	v_fma_f64 v[80:81], v[40:41], v[2:3], v[4:5]
	scratch_load_b128 v[38:41], off, off offset:544
	ds_load_b128 v[2:5], v1 offset:1360
	s_waitcnt vmcnt(10) lgkmcnt(1)
	v_mul_f64 v[62:63], v[50:51], v[8:9]
	v_mul_f64 v[8:9], v[52:53], v[8:9]
	ds_load_b128 v[58:61], v1 offset:1376
	s_waitcnt vmcnt(9) lgkmcnt(1)
	v_mul_f64 v[165:166], v[2:3], v[12:13]
	v_mul_f64 v[12:13], v[4:5], v[12:13]
	v_fma_f64 v[52:53], v[52:53], v[6:7], v[62:63]
	v_fma_f64 v[50:51], v[50:51], v[6:7], -v[8:9]
	v_add_f64 v[62:63], v[76:77], 0
	v_add_f64 v[76:77], v[80:81], 0
	scratch_load_b128 v[6:9], off, off offset:560
	v_fma_f64 v[165:166], v[4:5], v[10:11], v[165:166]
	v_fma_f64 v[167:168], v[2:3], v[10:11], -v[12:13]
	scratch_load_b128 v[10:13], off, off offset:576
	ds_load_b128 v[2:5], v1 offset:1392
	s_waitcnt vmcnt(10) lgkmcnt(1)
	v_mul_f64 v[80:81], v[58:59], v[16:17]
	v_mul_f64 v[16:17], v[60:61], v[16:17]
	v_add_f64 v[62:63], v[62:63], v[50:51]
	v_add_f64 v[76:77], v[76:77], v[52:53]
	s_waitcnt vmcnt(9) lgkmcnt(0)
	v_mul_f64 v[169:170], v[2:3], v[20:21]
	v_mul_f64 v[20:21], v[4:5], v[20:21]
	ds_load_b128 v[50:53], v1 offset:1408
	v_fma_f64 v[60:61], v[60:61], v[14:15], v[80:81]
	v_fma_f64 v[58:59], v[58:59], v[14:15], -v[16:17]
	scratch_load_b128 v[14:17], off, off offset:592
	v_add_f64 v[62:63], v[62:63], v[167:168]
	v_add_f64 v[76:77], v[76:77], v[165:166]
	v_fma_f64 v[165:166], v[4:5], v[18:19], v[169:170]
	v_fma_f64 v[167:168], v[2:3], v[18:19], -v[20:21]
	scratch_load_b128 v[18:21], off, off offset:608
	ds_load_b128 v[2:5], v1 offset:1424
	s_waitcnt vmcnt(10) lgkmcnt(1)
	v_mul_f64 v[80:81], v[50:51], v[24:25]
	v_mul_f64 v[24:25], v[52:53], v[24:25]
	s_waitcnt vmcnt(9) lgkmcnt(0)
	v_mul_f64 v[169:170], v[2:3], v[28:29]
	v_mul_f64 v[28:29], v[4:5], v[28:29]
	v_add_f64 v[62:63], v[62:63], v[58:59]
	v_add_f64 v[76:77], v[76:77], v[60:61]
	ds_load_b128 v[58:61], v1 offset:1440
	v_fma_f64 v[52:53], v[52:53], v[22:23], v[80:81]
	v_fma_f64 v[50:51], v[50:51], v[22:23], -v[24:25]
	scratch_load_b128 v[22:25], off, off offset:624
	v_add_f64 v[62:63], v[62:63], v[167:168]
	v_add_f64 v[76:77], v[76:77], v[165:166]
	v_fma_f64 v[165:166], v[4:5], v[26:27], v[169:170]
	v_fma_f64 v[167:168], v[2:3], v[26:27], -v[28:29]
	scratch_load_b128 v[26:29], off, off offset:640
	ds_load_b128 v[2:5], v1 offset:1456
	s_waitcnt vmcnt(10) lgkmcnt(1)
	v_mul_f64 v[80:81], v[58:59], v[32:33]
	v_mul_f64 v[32:33], v[60:61], v[32:33]
	s_waitcnt vmcnt(9) lgkmcnt(0)
	v_mul_f64 v[169:170], v[2:3], v[36:37]
	v_mul_f64 v[36:37], v[4:5], v[36:37]
	v_add_f64 v[62:63], v[62:63], v[50:51]
	v_add_f64 v[76:77], v[76:77], v[52:53]
	ds_load_b128 v[50:53], v1 offset:1472
	v_fma_f64 v[60:61], v[60:61], v[30:31], v[80:81]
	v_fma_f64 v[58:59], v[58:59], v[30:31], -v[32:33]
	scratch_load_b128 v[30:33], off, off offset:656
	v_add_f64 v[62:63], v[62:63], v[167:168]
	v_add_f64 v[76:77], v[76:77], v[165:166]
	v_fma_f64 v[167:168], v[4:5], v[34:35], v[169:170]
	v_fma_f64 v[169:170], v[2:3], v[34:35], -v[36:37]
	scratch_load_b128 v[34:37], off, off offset:672
	ds_load_b128 v[2:5], v1 offset:1488
	s_waitcnt vmcnt(9) lgkmcnt(1)
	v_mul_f64 v[80:81], v[50:51], v[56:57]
	v_mul_f64 v[165:166], v[52:53], v[56:57]
	v_add_f64 v[62:63], v[62:63], v[58:59]
	v_add_f64 v[60:61], v[76:77], v[60:61]
	ds_load_b128 v[56:59], v1 offset:1504
	v_fma_f64 v[80:81], v[52:53], v[54:55], v[80:81]
	v_fma_f64 v[54:55], v[50:51], v[54:55], -v[165:166]
	scratch_load_b128 v[50:53], off, off offset:688
	s_waitcnt vmcnt(9) lgkmcnt(1)
	v_mul_f64 v[76:77], v[2:3], v[40:41]
	v_mul_f64 v[40:41], v[4:5], v[40:41]
	v_add_f64 v[62:63], v[62:63], v[169:170]
	v_add_f64 v[60:61], v[60:61], v[167:168]
	s_delay_alu instid0(VALU_DEP_4) | instskip(NEXT) | instid1(VALU_DEP_4)
	v_fma_f64 v[76:77], v[4:5], v[38:39], v[76:77]
	v_fma_f64 v[167:168], v[2:3], v[38:39], -v[40:41]
	scratch_load_b128 v[38:41], off, off offset:704
	ds_load_b128 v[2:5], v1 offset:1520
	s_waitcnt vmcnt(9) lgkmcnt(1)
	v_mul_f64 v[165:166], v[56:57], v[8:9]
	v_mul_f64 v[8:9], v[58:59], v[8:9]
	s_waitcnt vmcnt(8) lgkmcnt(0)
	v_mul_f64 v[169:170], v[2:3], v[12:13]
	v_mul_f64 v[12:13], v[4:5], v[12:13]
	v_add_f64 v[54:55], v[62:63], v[54:55]
	v_add_f64 v[80:81], v[60:61], v[80:81]
	ds_load_b128 v[60:63], v1 offset:1536
	v_fma_f64 v[58:59], v[58:59], v[6:7], v[165:166]
	v_fma_f64 v[56:57], v[56:57], v[6:7], -v[8:9]
	scratch_load_b128 v[6:9], off, off offset:720
	v_fma_f64 v[165:166], v[4:5], v[10:11], v[169:170]
	v_add_f64 v[54:55], v[54:55], v[167:168]
	v_add_f64 v[76:77], v[80:81], v[76:77]
	v_fma_f64 v[167:168], v[2:3], v[10:11], -v[12:13]
	scratch_load_b128 v[10:13], off, off offset:736
	ds_load_b128 v[2:5], v1 offset:1552
	s_waitcnt vmcnt(9) lgkmcnt(1)
	v_mul_f64 v[80:81], v[60:61], v[16:17]
	v_mul_f64 v[16:17], v[62:63], v[16:17]
	v_add_f64 v[169:170], v[54:55], v[56:57]
	v_add_f64 v[58:59], v[76:77], v[58:59]
	s_waitcnt vmcnt(8) lgkmcnt(0)
	v_mul_f64 v[76:77], v[2:3], v[20:21]
	v_mul_f64 v[20:21], v[4:5], v[20:21]
	ds_load_b128 v[54:57], v1 offset:1568
	v_fma_f64 v[62:63], v[62:63], v[14:15], v[80:81]
	v_fma_f64 v[60:61], v[60:61], v[14:15], -v[16:17]
	scratch_load_b128 v[14:17], off, off offset:752
	v_add_f64 v[80:81], v[169:170], v[167:168]
	v_add_f64 v[58:59], v[58:59], v[165:166]
	v_fma_f64 v[76:77], v[4:5], v[18:19], v[76:77]
	v_fma_f64 v[167:168], v[2:3], v[18:19], -v[20:21]
	scratch_load_b128 v[18:21], off, off offset:768
	ds_load_b128 v[2:5], v1 offset:1584
	s_waitcnt vmcnt(9) lgkmcnt(1)
	v_mul_f64 v[165:166], v[54:55], v[24:25]
	v_mul_f64 v[24:25], v[56:57], v[24:25]
	s_waitcnt vmcnt(8) lgkmcnt(0)
	v_mul_f64 v[169:170], v[2:3], v[28:29]
	v_mul_f64 v[28:29], v[4:5], v[28:29]
	v_add_f64 v[80:81], v[80:81], v[60:61]
	v_add_f64 v[62:63], v[58:59], v[62:63]
	ds_load_b128 v[58:61], v1 offset:1600
	v_fma_f64 v[56:57], v[56:57], v[22:23], v[165:166]
	v_fma_f64 v[54:55], v[54:55], v[22:23], -v[24:25]
	scratch_load_b128 v[22:25], off, off offset:784
	v_fma_f64 v[165:166], v[4:5], v[26:27], v[169:170]
	v_add_f64 v[80:81], v[80:81], v[167:168]
	v_add_f64 v[62:63], v[62:63], v[76:77]
	v_fma_f64 v[167:168], v[2:3], v[26:27], -v[28:29]
	scratch_load_b128 v[26:29], off, off offset:800
	ds_load_b128 v[2:5], v1 offset:1616
	s_waitcnt vmcnt(9) lgkmcnt(1)
	v_mul_f64 v[76:77], v[58:59], v[32:33]
	v_mul_f64 v[32:33], v[60:61], v[32:33]
	s_waitcnt vmcnt(8) lgkmcnt(0)
	v_mul_f64 v[169:170], v[2:3], v[36:37]
	v_mul_f64 v[36:37], v[4:5], v[36:37]
	v_add_f64 v[80:81], v[80:81], v[54:55]
	v_add_f64 v[62:63], v[62:63], v[56:57]
	ds_load_b128 v[54:57], v1 offset:1632
	v_fma_f64 v[60:61], v[60:61], v[30:31], v[76:77]
	v_fma_f64 v[58:59], v[58:59], v[30:31], -v[32:33]
	scratch_load_b128 v[30:33], off, off offset:816
	v_add_f64 v[76:77], v[80:81], v[167:168]
	v_add_f64 v[62:63], v[62:63], v[165:166]
	v_fma_f64 v[165:166], v[4:5], v[34:35], v[169:170]
	v_fma_f64 v[167:168], v[2:3], v[34:35], -v[36:37]
	scratch_load_b128 v[34:37], off, off offset:832
	ds_load_b128 v[2:5], v1 offset:1648
	s_waitcnt vmcnt(9) lgkmcnt(1)
	v_mul_f64 v[80:81], v[54:55], v[52:53]
	v_mul_f64 v[52:53], v[56:57], v[52:53]
	s_waitcnt vmcnt(8) lgkmcnt(0)
	v_mul_f64 v[169:170], v[2:3], v[40:41]
	v_mul_f64 v[40:41], v[4:5], v[40:41]
	v_add_f64 v[76:77], v[76:77], v[58:59]
	v_add_f64 v[62:63], v[62:63], v[60:61]
	ds_load_b128 v[58:61], v1 offset:1664
	v_fma_f64 v[56:57], v[56:57], v[50:51], v[80:81]
	v_fma_f64 v[54:55], v[54:55], v[50:51], -v[52:53]
	scratch_load_b128 v[50:53], off, off offset:848
	v_add_f64 v[76:77], v[76:77], v[167:168]
	v_add_f64 v[62:63], v[62:63], v[165:166]
	v_fma_f64 v[165:166], v[4:5], v[38:39], v[169:170]
	;; [unrolled: 18-line block ×4, first 2 shown]
	v_fma_f64 v[167:168], v[2:3], v[18:19], -v[20:21]
	scratch_load_b128 v[18:21], off, off offset:928
	ds_load_b128 v[2:5], v1 offset:1744
	s_waitcnt vmcnt(9) lgkmcnt(1)
	v_mul_f64 v[80:81], v[58:59], v[24:25]
	v_mul_f64 v[24:25], v[60:61], v[24:25]
	s_waitcnt vmcnt(8) lgkmcnt(0)
	v_mul_f64 v[169:170], v[2:3], v[28:29]
	v_mul_f64 v[28:29], v[4:5], v[28:29]
	v_add_f64 v[76:77], v[76:77], v[54:55]
	v_add_f64 v[62:63], v[62:63], v[56:57]
	ds_load_b128 v[54:57], v1 offset:1760
	v_fma_f64 v[60:61], v[60:61], v[22:23], v[80:81]
	v_fma_f64 v[22:23], v[58:59], v[22:23], -v[24:25]
	v_add_f64 v[24:25], v[76:77], v[167:168]
	v_add_f64 v[58:59], v[62:63], v[165:166]
	s_waitcnt vmcnt(7) lgkmcnt(0)
	v_mul_f64 v[62:63], v[54:55], v[32:33]
	v_mul_f64 v[32:33], v[56:57], v[32:33]
	v_fma_f64 v[76:77], v[4:5], v[26:27], v[169:170]
	v_fma_f64 v[26:27], v[2:3], v[26:27], -v[28:29]
	v_add_f64 v[28:29], v[24:25], v[22:23]
	v_add_f64 v[58:59], v[58:59], v[60:61]
	ds_load_b128 v[2:5], v1 offset:1776
	ds_load_b128 v[22:25], v1 offset:1792
	v_fma_f64 v[56:57], v[56:57], v[30:31], v[62:63]
	v_fma_f64 v[30:31], v[54:55], v[30:31], -v[32:33]
	s_waitcnt vmcnt(6) lgkmcnt(1)
	v_mul_f64 v[60:61], v[2:3], v[36:37]
	v_mul_f64 v[36:37], v[4:5], v[36:37]
	s_waitcnt vmcnt(5) lgkmcnt(0)
	v_mul_f64 v[32:33], v[22:23], v[52:53]
	v_mul_f64 v[52:53], v[24:25], v[52:53]
	v_add_f64 v[26:27], v[28:29], v[26:27]
	v_add_f64 v[28:29], v[58:59], v[76:77]
	v_fma_f64 v[54:55], v[4:5], v[34:35], v[60:61]
	v_fma_f64 v[34:35], v[2:3], v[34:35], -v[36:37]
	v_fma_f64 v[24:25], v[24:25], v[50:51], v[32:33]
	v_fma_f64 v[22:23], v[22:23], v[50:51], -v[52:53]
	v_add_f64 v[30:31], v[26:27], v[30:31]
	v_add_f64 v[36:37], v[28:29], v[56:57]
	ds_load_b128 v[2:5], v1 offset:1808
	ds_load_b128 v[26:29], v1 offset:1824
	s_waitcnt vmcnt(4) lgkmcnt(1)
	v_mul_f64 v[56:57], v[2:3], v[40:41]
	v_mul_f64 v[40:41], v[4:5], v[40:41]
	v_add_f64 v[30:31], v[30:31], v[34:35]
	v_add_f64 v[32:33], v[36:37], v[54:55]
	s_waitcnt vmcnt(3) lgkmcnt(0)
	v_mul_f64 v[34:35], v[26:27], v[8:9]
	v_mul_f64 v[8:9], v[28:29], v[8:9]
	v_fma_f64 v[36:37], v[4:5], v[38:39], v[56:57]
	v_fma_f64 v[38:39], v[2:3], v[38:39], -v[40:41]
	v_add_f64 v[30:31], v[30:31], v[22:23]
	v_add_f64 v[32:33], v[32:33], v[24:25]
	ds_load_b128 v[2:5], v1 offset:1840
	ds_load_b128 v[22:25], v1 offset:1856
	v_fma_f64 v[28:29], v[28:29], v[6:7], v[34:35]
	v_fma_f64 v[6:7], v[26:27], v[6:7], -v[8:9]
	s_waitcnt vmcnt(2) lgkmcnt(1)
	v_mul_f64 v[40:41], v[2:3], v[12:13]
	v_mul_f64 v[12:13], v[4:5], v[12:13]
	v_add_f64 v[8:9], v[30:31], v[38:39]
	v_add_f64 v[26:27], v[32:33], v[36:37]
	s_waitcnt vmcnt(1) lgkmcnt(0)
	v_mul_f64 v[30:31], v[22:23], v[16:17]
	v_mul_f64 v[16:17], v[24:25], v[16:17]
	v_fma_f64 v[32:33], v[4:5], v[10:11], v[40:41]
	v_fma_f64 v[10:11], v[2:3], v[10:11], -v[12:13]
	ds_load_b128 v[2:5], v1 offset:1872
	v_add_f64 v[6:7], v[8:9], v[6:7]
	v_add_f64 v[8:9], v[26:27], v[28:29]
	v_fma_f64 v[24:25], v[24:25], v[14:15], v[30:31]
	v_fma_f64 v[14:15], v[22:23], v[14:15], -v[16:17]
	s_waitcnt vmcnt(0) lgkmcnt(0)
	v_mul_f64 v[12:13], v[2:3], v[20:21]
	v_mul_f64 v[20:21], v[4:5], v[20:21]
	v_add_f64 v[6:7], v[6:7], v[10:11]
	v_add_f64 v[8:9], v[8:9], v[32:33]
	s_delay_alu instid0(VALU_DEP_4) | instskip(NEXT) | instid1(VALU_DEP_4)
	v_fma_f64 v[4:5], v[4:5], v[18:19], v[12:13]
	v_fma_f64 v[2:3], v[2:3], v[18:19], -v[20:21]
	s_delay_alu instid0(VALU_DEP_4) | instskip(NEXT) | instid1(VALU_DEP_4)
	v_add_f64 v[6:7], v[6:7], v[14:15]
	v_add_f64 v[8:9], v[8:9], v[24:25]
	s_delay_alu instid0(VALU_DEP_2) | instskip(NEXT) | instid1(VALU_DEP_2)
	v_add_f64 v[2:3], v[6:7], v[2:3]
	v_add_f64 v[4:5], v[8:9], v[4:5]
	s_delay_alu instid0(VALU_DEP_2) | instskip(NEXT) | instid1(VALU_DEP_2)
	v_add_f64 v[2:3], v[42:43], -v[2:3]
	v_add_f64 v[4:5], v[44:45], -v[4:5]
	scratch_store_b128 off, v[2:5], off offset:368
	v_cmpx_lt_u32_e32 22, v164
	s_cbranch_execz .LBB58_323
; %bb.322:
	scratch_load_b32 v2, off, off offset:984 ; 4-byte Folded Reload
	v_mov_b32_e32 v3, v1
	v_mov_b32_e32 v4, v1
	s_waitcnt vmcnt(0)
	scratch_load_b128 v[5:8], v2, off
	v_mov_b32_e32 v2, v1
	scratch_store_b128 off, v[1:4], off offset:352
	s_waitcnt vmcnt(0)
	ds_store_b128 v223, v[5:8]
.LBB58_323:
	s_or_b32 exec_lo, exec_lo, s2
	s_waitcnt lgkmcnt(0)
	s_waitcnt_vscnt null, 0x0
	s_barrier
	buffer_gl0_inv
	s_clause 0x8
	scratch_load_b128 v[2:5], off, off offset:368
	scratch_load_b128 v[6:9], off, off offset:384
	;; [unrolled: 1-line block ×9, first 2 shown]
	ds_load_b128 v[42:45], v1 offset:1312
	ds_load_b128 v[38:41], v1 offset:1328
	s_clause 0x1
	scratch_load_b128 v[50:53], off, off offset:352
	scratch_load_b128 v[54:57], off, off offset:512
	s_mov_b32 s2, exec_lo
	s_waitcnt vmcnt(10) lgkmcnt(1)
	v_mul_f64 v[58:59], v[44:45], v[4:5]
	v_mul_f64 v[4:5], v[42:43], v[4:5]
	s_waitcnt vmcnt(9) lgkmcnt(0)
	v_mul_f64 v[62:63], v[38:39], v[8:9]
	v_mul_f64 v[8:9], v[40:41], v[8:9]
	s_delay_alu instid0(VALU_DEP_4) | instskip(NEXT) | instid1(VALU_DEP_4)
	v_fma_f64 v[76:77], v[42:43], v[2:3], -v[58:59]
	v_fma_f64 v[80:81], v[44:45], v[2:3], v[4:5]
	ds_load_b128 v[2:5], v1 offset:1344
	ds_load_b128 v[58:61], v1 offset:1360
	scratch_load_b128 v[42:45], off, off offset:528
	v_fma_f64 v[40:41], v[40:41], v[6:7], v[62:63]
	v_fma_f64 v[38:39], v[38:39], v[6:7], -v[8:9]
	scratch_load_b128 v[6:9], off, off offset:544
	s_waitcnt vmcnt(10) lgkmcnt(1)
	v_mul_f64 v[165:166], v[2:3], v[12:13]
	v_mul_f64 v[12:13], v[4:5], v[12:13]
	v_add_f64 v[62:63], v[76:77], 0
	v_add_f64 v[76:77], v[80:81], 0
	s_waitcnt vmcnt(9) lgkmcnt(0)
	v_mul_f64 v[80:81], v[58:59], v[16:17]
	v_mul_f64 v[16:17], v[60:61], v[16:17]
	v_fma_f64 v[165:166], v[4:5], v[10:11], v[165:166]
	v_fma_f64 v[167:168], v[2:3], v[10:11], -v[12:13]
	ds_load_b128 v[2:5], v1 offset:1376
	scratch_load_b128 v[10:13], off, off offset:560
	v_add_f64 v[62:63], v[62:63], v[38:39]
	v_add_f64 v[76:77], v[76:77], v[40:41]
	ds_load_b128 v[38:41], v1 offset:1392
	v_fma_f64 v[60:61], v[60:61], v[14:15], v[80:81]
	v_fma_f64 v[58:59], v[58:59], v[14:15], -v[16:17]
	scratch_load_b128 v[14:17], off, off offset:576
	s_waitcnt vmcnt(10) lgkmcnt(1)
	v_mul_f64 v[169:170], v[2:3], v[20:21]
	v_mul_f64 v[20:21], v[4:5], v[20:21]
	s_waitcnt vmcnt(9) lgkmcnt(0)
	v_mul_f64 v[80:81], v[38:39], v[24:25]
	v_mul_f64 v[24:25], v[40:41], v[24:25]
	v_add_f64 v[62:63], v[62:63], v[167:168]
	v_add_f64 v[76:77], v[76:77], v[165:166]
	v_fma_f64 v[165:166], v[4:5], v[18:19], v[169:170]
	v_fma_f64 v[167:168], v[2:3], v[18:19], -v[20:21]
	ds_load_b128 v[2:5], v1 offset:1408
	scratch_load_b128 v[18:21], off, off offset:592
	v_fma_f64 v[40:41], v[40:41], v[22:23], v[80:81]
	v_fma_f64 v[38:39], v[38:39], v[22:23], -v[24:25]
	scratch_load_b128 v[22:25], off, off offset:608
	v_add_f64 v[62:63], v[62:63], v[58:59]
	v_add_f64 v[76:77], v[76:77], v[60:61]
	ds_load_b128 v[58:61], v1 offset:1424
	s_waitcnt vmcnt(10) lgkmcnt(1)
	v_mul_f64 v[169:170], v[2:3], v[28:29]
	v_mul_f64 v[28:29], v[4:5], v[28:29]
	s_waitcnt vmcnt(9) lgkmcnt(0)
	v_mul_f64 v[80:81], v[58:59], v[32:33]
	v_mul_f64 v[32:33], v[60:61], v[32:33]
	v_add_f64 v[62:63], v[62:63], v[167:168]
	v_add_f64 v[76:77], v[76:77], v[165:166]
	v_fma_f64 v[165:166], v[4:5], v[26:27], v[169:170]
	v_fma_f64 v[167:168], v[2:3], v[26:27], -v[28:29]
	ds_load_b128 v[2:5], v1 offset:1440
	scratch_load_b128 v[26:29], off, off offset:624
	v_fma_f64 v[60:61], v[60:61], v[30:31], v[80:81]
	v_fma_f64 v[58:59], v[58:59], v[30:31], -v[32:33]
	scratch_load_b128 v[30:33], off, off offset:640
	v_add_f64 v[62:63], v[62:63], v[38:39]
	v_add_f64 v[76:77], v[76:77], v[40:41]
	ds_load_b128 v[38:41], v1 offset:1456
	s_waitcnt vmcnt(10) lgkmcnt(1)
	v_mul_f64 v[169:170], v[2:3], v[36:37]
	v_mul_f64 v[36:37], v[4:5], v[36:37]
	s_waitcnt vmcnt(8) lgkmcnt(0)
	v_mul_f64 v[80:81], v[38:39], v[56:57]
	v_add_f64 v[62:63], v[62:63], v[167:168]
	v_add_f64 v[76:77], v[76:77], v[165:166]
	v_mul_f64 v[165:166], v[40:41], v[56:57]
	v_fma_f64 v[167:168], v[4:5], v[34:35], v[169:170]
	v_fma_f64 v[169:170], v[2:3], v[34:35], -v[36:37]
	ds_load_b128 v[2:5], v1 offset:1472
	scratch_load_b128 v[34:37], off, off offset:656
	v_fma_f64 v[80:81], v[40:41], v[54:55], v[80:81]
	v_add_f64 v[62:63], v[62:63], v[58:59]
	v_add_f64 v[60:61], v[76:77], v[60:61]
	ds_load_b128 v[56:59], v1 offset:1488
	v_fma_f64 v[54:55], v[38:39], v[54:55], -v[165:166]
	scratch_load_b128 v[38:41], off, off offset:672
	s_waitcnt vmcnt(9) lgkmcnt(1)
	v_mul_f64 v[76:77], v[2:3], v[44:45]
	v_mul_f64 v[44:45], v[4:5], v[44:45]
	s_waitcnt vmcnt(8) lgkmcnt(0)
	v_mul_f64 v[165:166], v[56:57], v[8:9]
	v_mul_f64 v[8:9], v[58:59], v[8:9]
	v_add_f64 v[62:63], v[62:63], v[169:170]
	v_add_f64 v[60:61], v[60:61], v[167:168]
	v_fma_f64 v[76:77], v[4:5], v[42:43], v[76:77]
	v_fma_f64 v[167:168], v[2:3], v[42:43], -v[44:45]
	ds_load_b128 v[2:5], v1 offset:1504
	scratch_load_b128 v[42:45], off, off offset:688
	v_fma_f64 v[58:59], v[58:59], v[6:7], v[165:166]
	v_fma_f64 v[56:57], v[56:57], v[6:7], -v[8:9]
	scratch_load_b128 v[6:9], off, off offset:704
	v_add_f64 v[54:55], v[62:63], v[54:55]
	v_add_f64 v[80:81], v[60:61], v[80:81]
	ds_load_b128 v[60:63], v1 offset:1520
	s_waitcnt vmcnt(9) lgkmcnt(1)
	v_mul_f64 v[169:170], v[2:3], v[12:13]
	v_mul_f64 v[12:13], v[4:5], v[12:13]
	v_add_f64 v[54:55], v[54:55], v[167:168]
	v_add_f64 v[76:77], v[80:81], v[76:77]
	s_waitcnt vmcnt(8) lgkmcnt(0)
	v_mul_f64 v[80:81], v[60:61], v[16:17]
	v_mul_f64 v[16:17], v[62:63], v[16:17]
	v_fma_f64 v[165:166], v[4:5], v[10:11], v[169:170]
	v_fma_f64 v[167:168], v[2:3], v[10:11], -v[12:13]
	ds_load_b128 v[2:5], v1 offset:1536
	scratch_load_b128 v[10:13], off, off offset:720
	v_add_f64 v[169:170], v[54:55], v[56:57]
	v_add_f64 v[58:59], v[76:77], v[58:59]
	ds_load_b128 v[54:57], v1 offset:1552
	s_waitcnt vmcnt(8) lgkmcnt(1)
	v_mul_f64 v[76:77], v[2:3], v[20:21]
	v_mul_f64 v[20:21], v[4:5], v[20:21]
	v_fma_f64 v[62:63], v[62:63], v[14:15], v[80:81]
	v_fma_f64 v[60:61], v[60:61], v[14:15], -v[16:17]
	scratch_load_b128 v[14:17], off, off offset:736
	v_add_f64 v[80:81], v[169:170], v[167:168]
	v_add_f64 v[58:59], v[58:59], v[165:166]
	s_waitcnt vmcnt(8) lgkmcnt(0)
	v_mul_f64 v[165:166], v[54:55], v[24:25]
	v_mul_f64 v[24:25], v[56:57], v[24:25]
	v_fma_f64 v[76:77], v[4:5], v[18:19], v[76:77]
	v_fma_f64 v[167:168], v[2:3], v[18:19], -v[20:21]
	ds_load_b128 v[2:5], v1 offset:1568
	scratch_load_b128 v[18:21], off, off offset:752
	v_add_f64 v[80:81], v[80:81], v[60:61]
	v_add_f64 v[62:63], v[58:59], v[62:63]
	ds_load_b128 v[58:61], v1 offset:1584
	s_waitcnt vmcnt(8) lgkmcnt(1)
	v_mul_f64 v[169:170], v[2:3], v[28:29]
	v_mul_f64 v[28:29], v[4:5], v[28:29]
	v_fma_f64 v[56:57], v[56:57], v[22:23], v[165:166]
	v_fma_f64 v[54:55], v[54:55], v[22:23], -v[24:25]
	scratch_load_b128 v[22:25], off, off offset:768
	v_add_f64 v[80:81], v[80:81], v[167:168]
	v_add_f64 v[62:63], v[62:63], v[76:77]
	s_waitcnt vmcnt(8) lgkmcnt(0)
	v_mul_f64 v[76:77], v[58:59], v[32:33]
	v_mul_f64 v[32:33], v[60:61], v[32:33]
	v_fma_f64 v[165:166], v[4:5], v[26:27], v[169:170]
	v_fma_f64 v[167:168], v[2:3], v[26:27], -v[28:29]
	ds_load_b128 v[2:5], v1 offset:1600
	scratch_load_b128 v[26:29], off, off offset:784
	v_add_f64 v[80:81], v[80:81], v[54:55]
	v_add_f64 v[62:63], v[62:63], v[56:57]
	ds_load_b128 v[54:57], v1 offset:1616
	s_waitcnt vmcnt(8) lgkmcnt(1)
	v_mul_f64 v[169:170], v[2:3], v[36:37]
	v_mul_f64 v[36:37], v[4:5], v[36:37]
	v_fma_f64 v[60:61], v[60:61], v[30:31], v[76:77]
	v_fma_f64 v[58:59], v[58:59], v[30:31], -v[32:33]
	scratch_load_b128 v[30:33], off, off offset:800
	v_add_f64 v[76:77], v[80:81], v[167:168]
	v_add_f64 v[62:63], v[62:63], v[165:166]
	s_waitcnt vmcnt(8) lgkmcnt(0)
	v_mul_f64 v[80:81], v[54:55], v[40:41]
	v_mul_f64 v[40:41], v[56:57], v[40:41]
	v_fma_f64 v[165:166], v[4:5], v[34:35], v[169:170]
	v_fma_f64 v[167:168], v[2:3], v[34:35], -v[36:37]
	ds_load_b128 v[2:5], v1 offset:1632
	scratch_load_b128 v[34:37], off, off offset:816
	v_add_f64 v[76:77], v[76:77], v[58:59]
	v_add_f64 v[62:63], v[62:63], v[60:61]
	ds_load_b128 v[58:61], v1 offset:1648
	s_waitcnt vmcnt(8) lgkmcnt(1)
	v_mul_f64 v[169:170], v[2:3], v[44:45]
	v_mul_f64 v[44:45], v[4:5], v[44:45]
	v_fma_f64 v[56:57], v[56:57], v[38:39], v[80:81]
	v_fma_f64 v[54:55], v[54:55], v[38:39], -v[40:41]
	scratch_load_b128 v[38:41], off, off offset:832
	s_waitcnt vmcnt(8) lgkmcnt(0)
	v_mul_f64 v[80:81], v[58:59], v[8:9]
	v_mul_f64 v[8:9], v[60:61], v[8:9]
	v_add_f64 v[76:77], v[76:77], v[167:168]
	v_add_f64 v[62:63], v[62:63], v[165:166]
	v_fma_f64 v[165:166], v[4:5], v[42:43], v[169:170]
	v_fma_f64 v[167:168], v[2:3], v[42:43], -v[44:45]
	ds_load_b128 v[2:5], v1 offset:1664
	scratch_load_b128 v[42:45], off, off offset:848
	v_fma_f64 v[60:61], v[60:61], v[6:7], v[80:81]
	v_fma_f64 v[58:59], v[58:59], v[6:7], -v[8:9]
	scratch_load_b128 v[6:9], off, off offset:864
	v_add_f64 v[76:77], v[76:77], v[54:55]
	v_add_f64 v[62:63], v[62:63], v[56:57]
	ds_load_b128 v[54:57], v1 offset:1680
	s_waitcnt vmcnt(9) lgkmcnt(1)
	v_mul_f64 v[169:170], v[2:3], v[12:13]
	v_mul_f64 v[12:13], v[4:5], v[12:13]
	s_waitcnt vmcnt(8) lgkmcnt(0)
	v_mul_f64 v[80:81], v[54:55], v[16:17]
	v_mul_f64 v[16:17], v[56:57], v[16:17]
	v_add_f64 v[76:77], v[76:77], v[167:168]
	v_add_f64 v[62:63], v[62:63], v[165:166]
	v_fma_f64 v[165:166], v[4:5], v[10:11], v[169:170]
	v_fma_f64 v[167:168], v[2:3], v[10:11], -v[12:13]
	ds_load_b128 v[2:5], v1 offset:1696
	scratch_load_b128 v[10:13], off, off offset:880
	v_fma_f64 v[56:57], v[56:57], v[14:15], v[80:81]
	v_fma_f64 v[54:55], v[54:55], v[14:15], -v[16:17]
	scratch_load_b128 v[14:17], off, off offset:896
	v_add_f64 v[76:77], v[76:77], v[58:59]
	v_add_f64 v[62:63], v[62:63], v[60:61]
	ds_load_b128 v[58:61], v1 offset:1712
	s_waitcnt vmcnt(9) lgkmcnt(1)
	v_mul_f64 v[169:170], v[2:3], v[20:21]
	v_mul_f64 v[20:21], v[4:5], v[20:21]
	s_waitcnt vmcnt(8) lgkmcnt(0)
	v_mul_f64 v[80:81], v[58:59], v[24:25]
	v_mul_f64 v[24:25], v[60:61], v[24:25]
	v_add_f64 v[76:77], v[76:77], v[167:168]
	v_add_f64 v[62:63], v[62:63], v[165:166]
	v_fma_f64 v[165:166], v[4:5], v[18:19], v[169:170]
	v_fma_f64 v[167:168], v[2:3], v[18:19], -v[20:21]
	ds_load_b128 v[2:5], v1 offset:1728
	scratch_load_b128 v[18:21], off, off offset:912
	v_fma_f64 v[60:61], v[60:61], v[22:23], v[80:81]
	v_fma_f64 v[58:59], v[58:59], v[22:23], -v[24:25]
	scratch_load_b128 v[22:25], off, off offset:928
	v_add_f64 v[76:77], v[76:77], v[54:55]
	v_add_f64 v[62:63], v[62:63], v[56:57]
	ds_load_b128 v[54:57], v1 offset:1744
	s_waitcnt vmcnt(9) lgkmcnt(1)
	v_mul_f64 v[169:170], v[2:3], v[28:29]
	v_mul_f64 v[28:29], v[4:5], v[28:29]
	s_waitcnt vmcnt(8) lgkmcnt(0)
	v_mul_f64 v[80:81], v[54:55], v[32:33]
	v_mul_f64 v[32:33], v[56:57], v[32:33]
	v_add_f64 v[76:77], v[76:77], v[167:168]
	v_add_f64 v[62:63], v[62:63], v[165:166]
	v_fma_f64 v[165:166], v[4:5], v[26:27], v[169:170]
	v_fma_f64 v[167:168], v[2:3], v[26:27], -v[28:29]
	ds_load_b128 v[2:5], v1 offset:1760
	ds_load_b128 v[26:29], v1 offset:1776
	v_fma_f64 v[56:57], v[56:57], v[30:31], v[80:81]
	v_fma_f64 v[30:31], v[54:55], v[30:31], -v[32:33]
	v_add_f64 v[58:59], v[76:77], v[58:59]
	v_add_f64 v[60:61], v[62:63], v[60:61]
	s_waitcnt vmcnt(7) lgkmcnt(1)
	v_mul_f64 v[62:63], v[2:3], v[36:37]
	v_mul_f64 v[36:37], v[4:5], v[36:37]
	s_delay_alu instid0(VALU_DEP_4) | instskip(NEXT) | instid1(VALU_DEP_4)
	v_add_f64 v[32:33], v[58:59], v[167:168]
	v_add_f64 v[54:55], v[60:61], v[165:166]
	s_waitcnt vmcnt(6) lgkmcnt(0)
	v_mul_f64 v[58:59], v[26:27], v[40:41]
	v_mul_f64 v[40:41], v[28:29], v[40:41]
	v_fma_f64 v[60:61], v[4:5], v[34:35], v[62:63]
	v_fma_f64 v[34:35], v[2:3], v[34:35], -v[36:37]
	v_add_f64 v[36:37], v[32:33], v[30:31]
	v_add_f64 v[54:55], v[54:55], v[56:57]
	ds_load_b128 v[2:5], v1 offset:1792
	ds_load_b128 v[30:33], v1 offset:1808
	v_fma_f64 v[28:29], v[28:29], v[38:39], v[58:59]
	v_fma_f64 v[26:27], v[26:27], v[38:39], -v[40:41]
	s_waitcnt vmcnt(5) lgkmcnt(1)
	v_mul_f64 v[56:57], v[2:3], v[44:45]
	v_mul_f64 v[44:45], v[4:5], v[44:45]
	s_waitcnt vmcnt(4) lgkmcnt(0)
	v_mul_f64 v[38:39], v[30:31], v[8:9]
	v_mul_f64 v[8:9], v[32:33], v[8:9]
	v_add_f64 v[34:35], v[36:37], v[34:35]
	v_add_f64 v[36:37], v[54:55], v[60:61]
	v_fma_f64 v[40:41], v[4:5], v[42:43], v[56:57]
	v_fma_f64 v[42:43], v[2:3], v[42:43], -v[44:45]
	v_fma_f64 v[32:33], v[32:33], v[6:7], v[38:39]
	v_fma_f64 v[6:7], v[30:31], v[6:7], -v[8:9]
	v_add_f64 v[34:35], v[34:35], v[26:27]
	v_add_f64 v[36:37], v[36:37], v[28:29]
	ds_load_b128 v[2:5], v1 offset:1824
	ds_load_b128 v[26:29], v1 offset:1840
	s_waitcnt vmcnt(3) lgkmcnt(1)
	v_mul_f64 v[44:45], v[2:3], v[12:13]
	v_mul_f64 v[12:13], v[4:5], v[12:13]
	v_add_f64 v[8:9], v[34:35], v[42:43]
	v_add_f64 v[30:31], v[36:37], v[40:41]
	s_waitcnt vmcnt(2) lgkmcnt(0)
	v_mul_f64 v[34:35], v[26:27], v[16:17]
	v_mul_f64 v[16:17], v[28:29], v[16:17]
	v_fma_f64 v[36:37], v[4:5], v[10:11], v[44:45]
	v_fma_f64 v[10:11], v[2:3], v[10:11], -v[12:13]
	v_add_f64 v[12:13], v[8:9], v[6:7]
	v_add_f64 v[30:31], v[30:31], v[32:33]
	ds_load_b128 v[2:5], v1 offset:1856
	ds_load_b128 v[6:9], v1 offset:1872
	v_fma_f64 v[28:29], v[28:29], v[14:15], v[34:35]
	v_fma_f64 v[14:15], v[26:27], v[14:15], -v[16:17]
	s_waitcnt vmcnt(1) lgkmcnt(1)
	v_mul_f64 v[32:33], v[2:3], v[20:21]
	v_mul_f64 v[20:21], v[4:5], v[20:21]
	s_waitcnt vmcnt(0) lgkmcnt(0)
	v_mul_f64 v[16:17], v[6:7], v[24:25]
	v_mul_f64 v[24:25], v[8:9], v[24:25]
	v_add_f64 v[10:11], v[12:13], v[10:11]
	v_add_f64 v[12:13], v[30:31], v[36:37]
	v_fma_f64 v[4:5], v[4:5], v[18:19], v[32:33]
	v_fma_f64 v[1:2], v[2:3], v[18:19], -v[20:21]
	v_fma_f64 v[8:9], v[8:9], v[22:23], v[16:17]
	v_fma_f64 v[6:7], v[6:7], v[22:23], -v[24:25]
	v_add_f64 v[10:11], v[10:11], v[14:15]
	v_add_f64 v[12:13], v[12:13], v[28:29]
	s_delay_alu instid0(VALU_DEP_2) | instskip(NEXT) | instid1(VALU_DEP_2)
	v_add_f64 v[1:2], v[10:11], v[1:2]
	v_add_f64 v[3:4], v[12:13], v[4:5]
	s_delay_alu instid0(VALU_DEP_2) | instskip(NEXT) | instid1(VALU_DEP_2)
	;; [unrolled: 3-line block ×3, first 2 shown]
	v_add_f64 v[1:2], v[50:51], -v[1:2]
	v_add_f64 v[3:4], v[52:53], -v[3:4]
	scratch_store_b128 off, v[1:4], off offset:352
	v_cmpx_lt_u32_e32 21, v164
	s_cbranch_execz .LBB58_325
; %bb.324:
	scratch_load_b32 v1, off, off offset:988 ; 4-byte Folded Reload
	v_mov_b32_e32 v5, 0
	s_delay_alu instid0(VALU_DEP_1)
	v_mov_b32_e32 v6, v5
	v_mov_b32_e32 v7, v5
	v_mov_b32_e32 v8, v5
	s_waitcnt vmcnt(0)
	scratch_load_b128 v[1:4], v1, off
	scratch_store_b128 off, v[5:8], off offset:336
	s_waitcnt vmcnt(0)
	ds_store_b128 v223, v[1:4]
.LBB58_325:
	s_or_b32 exec_lo, exec_lo, s2
	s_waitcnt lgkmcnt(0)
	s_waitcnt_vscnt null, 0x0
	s_barrier
	buffer_gl0_inv
	s_clause 0x7
	scratch_load_b128 v[2:5], off, off offset:352
	scratch_load_b128 v[6:9], off, off offset:368
	;; [unrolled: 1-line block ×8, first 2 shown]
	v_mov_b32_e32 v1, 0
	s_mov_b32 s2, exec_lo
	ds_load_b128 v[38:41], v1 offset:1296
	s_clause 0x1
	scratch_load_b128 v[34:37], off, off offset:480
	scratch_load_b128 v[42:45], off, off offset:336
	ds_load_b128 v[50:53], v1 offset:1312
	scratch_load_b128 v[54:57], off, off offset:496
	s_waitcnt vmcnt(10) lgkmcnt(1)
	v_mul_f64 v[58:59], v[40:41], v[4:5]
	v_mul_f64 v[4:5], v[38:39], v[4:5]
	s_delay_alu instid0(VALU_DEP_2) | instskip(NEXT) | instid1(VALU_DEP_2)
	v_fma_f64 v[76:77], v[38:39], v[2:3], -v[58:59]
	v_fma_f64 v[80:81], v[40:41], v[2:3], v[4:5]
	scratch_load_b128 v[38:41], off, off offset:512
	ds_load_b128 v[2:5], v1 offset:1328
	s_waitcnt vmcnt(10) lgkmcnt(1)
	v_mul_f64 v[62:63], v[50:51], v[8:9]
	v_mul_f64 v[8:9], v[52:53], v[8:9]
	ds_load_b128 v[58:61], v1 offset:1344
	s_waitcnt vmcnt(9) lgkmcnt(1)
	v_mul_f64 v[165:166], v[2:3], v[12:13]
	v_mul_f64 v[12:13], v[4:5], v[12:13]
	v_fma_f64 v[52:53], v[52:53], v[6:7], v[62:63]
	v_fma_f64 v[50:51], v[50:51], v[6:7], -v[8:9]
	v_add_f64 v[62:63], v[76:77], 0
	v_add_f64 v[76:77], v[80:81], 0
	scratch_load_b128 v[6:9], off, off offset:528
	v_fma_f64 v[165:166], v[4:5], v[10:11], v[165:166]
	v_fma_f64 v[167:168], v[2:3], v[10:11], -v[12:13]
	scratch_load_b128 v[10:13], off, off offset:544
	ds_load_b128 v[2:5], v1 offset:1360
	s_waitcnt vmcnt(10) lgkmcnt(1)
	v_mul_f64 v[80:81], v[58:59], v[16:17]
	v_mul_f64 v[16:17], v[60:61], v[16:17]
	v_add_f64 v[62:63], v[62:63], v[50:51]
	v_add_f64 v[76:77], v[76:77], v[52:53]
	s_waitcnt vmcnt(9) lgkmcnt(0)
	v_mul_f64 v[169:170], v[2:3], v[20:21]
	v_mul_f64 v[20:21], v[4:5], v[20:21]
	ds_load_b128 v[50:53], v1 offset:1376
	v_fma_f64 v[60:61], v[60:61], v[14:15], v[80:81]
	v_fma_f64 v[58:59], v[58:59], v[14:15], -v[16:17]
	scratch_load_b128 v[14:17], off, off offset:560
	v_add_f64 v[62:63], v[62:63], v[167:168]
	v_add_f64 v[76:77], v[76:77], v[165:166]
	v_fma_f64 v[165:166], v[4:5], v[18:19], v[169:170]
	v_fma_f64 v[167:168], v[2:3], v[18:19], -v[20:21]
	scratch_load_b128 v[18:21], off, off offset:576
	ds_load_b128 v[2:5], v1 offset:1392
	s_waitcnt vmcnt(10) lgkmcnt(1)
	v_mul_f64 v[80:81], v[50:51], v[24:25]
	v_mul_f64 v[24:25], v[52:53], v[24:25]
	s_waitcnt vmcnt(9) lgkmcnt(0)
	v_mul_f64 v[169:170], v[2:3], v[28:29]
	v_mul_f64 v[28:29], v[4:5], v[28:29]
	v_add_f64 v[62:63], v[62:63], v[58:59]
	v_add_f64 v[76:77], v[76:77], v[60:61]
	ds_load_b128 v[58:61], v1 offset:1408
	v_fma_f64 v[52:53], v[52:53], v[22:23], v[80:81]
	v_fma_f64 v[50:51], v[50:51], v[22:23], -v[24:25]
	scratch_load_b128 v[22:25], off, off offset:592
	v_add_f64 v[62:63], v[62:63], v[167:168]
	v_add_f64 v[76:77], v[76:77], v[165:166]
	v_fma_f64 v[165:166], v[4:5], v[26:27], v[169:170]
	v_fma_f64 v[167:168], v[2:3], v[26:27], -v[28:29]
	scratch_load_b128 v[26:29], off, off offset:608
	ds_load_b128 v[2:5], v1 offset:1424
	s_waitcnt vmcnt(10) lgkmcnt(1)
	v_mul_f64 v[80:81], v[58:59], v[32:33]
	v_mul_f64 v[32:33], v[60:61], v[32:33]
	s_waitcnt vmcnt(9) lgkmcnt(0)
	v_mul_f64 v[169:170], v[2:3], v[36:37]
	v_mul_f64 v[36:37], v[4:5], v[36:37]
	v_add_f64 v[62:63], v[62:63], v[50:51]
	v_add_f64 v[76:77], v[76:77], v[52:53]
	ds_load_b128 v[50:53], v1 offset:1440
	v_fma_f64 v[60:61], v[60:61], v[30:31], v[80:81]
	v_fma_f64 v[58:59], v[58:59], v[30:31], -v[32:33]
	scratch_load_b128 v[30:33], off, off offset:624
	v_add_f64 v[62:63], v[62:63], v[167:168]
	v_add_f64 v[76:77], v[76:77], v[165:166]
	v_fma_f64 v[167:168], v[4:5], v[34:35], v[169:170]
	v_fma_f64 v[169:170], v[2:3], v[34:35], -v[36:37]
	scratch_load_b128 v[34:37], off, off offset:640
	ds_load_b128 v[2:5], v1 offset:1456
	s_waitcnt vmcnt(9) lgkmcnt(1)
	v_mul_f64 v[80:81], v[50:51], v[56:57]
	v_mul_f64 v[165:166], v[52:53], v[56:57]
	v_add_f64 v[62:63], v[62:63], v[58:59]
	v_add_f64 v[60:61], v[76:77], v[60:61]
	ds_load_b128 v[56:59], v1 offset:1472
	v_fma_f64 v[80:81], v[52:53], v[54:55], v[80:81]
	v_fma_f64 v[54:55], v[50:51], v[54:55], -v[165:166]
	scratch_load_b128 v[50:53], off, off offset:656
	s_waitcnt vmcnt(9) lgkmcnt(1)
	v_mul_f64 v[76:77], v[2:3], v[40:41]
	v_mul_f64 v[40:41], v[4:5], v[40:41]
	v_add_f64 v[62:63], v[62:63], v[169:170]
	v_add_f64 v[60:61], v[60:61], v[167:168]
	s_delay_alu instid0(VALU_DEP_4) | instskip(NEXT) | instid1(VALU_DEP_4)
	v_fma_f64 v[76:77], v[4:5], v[38:39], v[76:77]
	v_fma_f64 v[167:168], v[2:3], v[38:39], -v[40:41]
	scratch_load_b128 v[38:41], off, off offset:672
	ds_load_b128 v[2:5], v1 offset:1488
	s_waitcnt vmcnt(9) lgkmcnt(1)
	v_mul_f64 v[165:166], v[56:57], v[8:9]
	v_mul_f64 v[8:9], v[58:59], v[8:9]
	s_waitcnt vmcnt(8) lgkmcnt(0)
	v_mul_f64 v[169:170], v[2:3], v[12:13]
	v_mul_f64 v[12:13], v[4:5], v[12:13]
	v_add_f64 v[54:55], v[62:63], v[54:55]
	v_add_f64 v[80:81], v[60:61], v[80:81]
	ds_load_b128 v[60:63], v1 offset:1504
	v_fma_f64 v[58:59], v[58:59], v[6:7], v[165:166]
	v_fma_f64 v[56:57], v[56:57], v[6:7], -v[8:9]
	scratch_load_b128 v[6:9], off, off offset:688
	v_fma_f64 v[165:166], v[4:5], v[10:11], v[169:170]
	v_add_f64 v[54:55], v[54:55], v[167:168]
	v_add_f64 v[76:77], v[80:81], v[76:77]
	v_fma_f64 v[167:168], v[2:3], v[10:11], -v[12:13]
	scratch_load_b128 v[10:13], off, off offset:704
	ds_load_b128 v[2:5], v1 offset:1520
	s_waitcnt vmcnt(9) lgkmcnt(1)
	v_mul_f64 v[80:81], v[60:61], v[16:17]
	v_mul_f64 v[16:17], v[62:63], v[16:17]
	v_add_f64 v[169:170], v[54:55], v[56:57]
	v_add_f64 v[58:59], v[76:77], v[58:59]
	s_waitcnt vmcnt(8) lgkmcnt(0)
	v_mul_f64 v[76:77], v[2:3], v[20:21]
	v_mul_f64 v[20:21], v[4:5], v[20:21]
	ds_load_b128 v[54:57], v1 offset:1536
	v_fma_f64 v[62:63], v[62:63], v[14:15], v[80:81]
	v_fma_f64 v[60:61], v[60:61], v[14:15], -v[16:17]
	scratch_load_b128 v[14:17], off, off offset:720
	v_add_f64 v[80:81], v[169:170], v[167:168]
	v_add_f64 v[58:59], v[58:59], v[165:166]
	v_fma_f64 v[76:77], v[4:5], v[18:19], v[76:77]
	v_fma_f64 v[167:168], v[2:3], v[18:19], -v[20:21]
	scratch_load_b128 v[18:21], off, off offset:736
	ds_load_b128 v[2:5], v1 offset:1552
	s_waitcnt vmcnt(9) lgkmcnt(1)
	v_mul_f64 v[165:166], v[54:55], v[24:25]
	v_mul_f64 v[24:25], v[56:57], v[24:25]
	s_waitcnt vmcnt(8) lgkmcnt(0)
	v_mul_f64 v[169:170], v[2:3], v[28:29]
	v_mul_f64 v[28:29], v[4:5], v[28:29]
	v_add_f64 v[80:81], v[80:81], v[60:61]
	v_add_f64 v[62:63], v[58:59], v[62:63]
	ds_load_b128 v[58:61], v1 offset:1568
	v_fma_f64 v[56:57], v[56:57], v[22:23], v[165:166]
	v_fma_f64 v[54:55], v[54:55], v[22:23], -v[24:25]
	scratch_load_b128 v[22:25], off, off offset:752
	v_fma_f64 v[165:166], v[4:5], v[26:27], v[169:170]
	v_add_f64 v[80:81], v[80:81], v[167:168]
	v_add_f64 v[62:63], v[62:63], v[76:77]
	v_fma_f64 v[167:168], v[2:3], v[26:27], -v[28:29]
	scratch_load_b128 v[26:29], off, off offset:768
	ds_load_b128 v[2:5], v1 offset:1584
	s_waitcnt vmcnt(9) lgkmcnt(1)
	v_mul_f64 v[76:77], v[58:59], v[32:33]
	v_mul_f64 v[32:33], v[60:61], v[32:33]
	s_waitcnt vmcnt(8) lgkmcnt(0)
	v_mul_f64 v[169:170], v[2:3], v[36:37]
	v_mul_f64 v[36:37], v[4:5], v[36:37]
	v_add_f64 v[80:81], v[80:81], v[54:55]
	v_add_f64 v[62:63], v[62:63], v[56:57]
	ds_load_b128 v[54:57], v1 offset:1600
	v_fma_f64 v[60:61], v[60:61], v[30:31], v[76:77]
	v_fma_f64 v[58:59], v[58:59], v[30:31], -v[32:33]
	scratch_load_b128 v[30:33], off, off offset:784
	v_add_f64 v[76:77], v[80:81], v[167:168]
	v_add_f64 v[62:63], v[62:63], v[165:166]
	v_fma_f64 v[165:166], v[4:5], v[34:35], v[169:170]
	v_fma_f64 v[167:168], v[2:3], v[34:35], -v[36:37]
	scratch_load_b128 v[34:37], off, off offset:800
	ds_load_b128 v[2:5], v1 offset:1616
	s_waitcnt vmcnt(9) lgkmcnt(1)
	v_mul_f64 v[80:81], v[54:55], v[52:53]
	v_mul_f64 v[52:53], v[56:57], v[52:53]
	s_waitcnt vmcnt(8) lgkmcnt(0)
	v_mul_f64 v[169:170], v[2:3], v[40:41]
	v_mul_f64 v[40:41], v[4:5], v[40:41]
	v_add_f64 v[76:77], v[76:77], v[58:59]
	v_add_f64 v[62:63], v[62:63], v[60:61]
	ds_load_b128 v[58:61], v1 offset:1632
	v_fma_f64 v[56:57], v[56:57], v[50:51], v[80:81]
	v_fma_f64 v[54:55], v[54:55], v[50:51], -v[52:53]
	scratch_load_b128 v[50:53], off, off offset:816
	v_add_f64 v[76:77], v[76:77], v[167:168]
	v_add_f64 v[62:63], v[62:63], v[165:166]
	v_fma_f64 v[165:166], v[4:5], v[38:39], v[169:170]
	;; [unrolled: 18-line block ×5, first 2 shown]
	v_fma_f64 v[167:168], v[2:3], v[26:27], -v[28:29]
	scratch_load_b128 v[26:29], off, off offset:928
	ds_load_b128 v[2:5], v1 offset:1744
	s_waitcnt vmcnt(9) lgkmcnt(1)
	v_mul_f64 v[80:81], v[54:55], v[32:33]
	v_mul_f64 v[32:33], v[56:57], v[32:33]
	s_waitcnt vmcnt(8) lgkmcnt(0)
	v_mul_f64 v[169:170], v[2:3], v[36:37]
	v_mul_f64 v[36:37], v[4:5], v[36:37]
	v_add_f64 v[76:77], v[76:77], v[58:59]
	v_add_f64 v[62:63], v[62:63], v[60:61]
	ds_load_b128 v[58:61], v1 offset:1760
	v_fma_f64 v[56:57], v[56:57], v[30:31], v[80:81]
	v_fma_f64 v[30:31], v[54:55], v[30:31], -v[32:33]
	v_add_f64 v[32:33], v[76:77], v[167:168]
	v_add_f64 v[54:55], v[62:63], v[165:166]
	s_waitcnt vmcnt(7) lgkmcnt(0)
	v_mul_f64 v[62:63], v[58:59], v[52:53]
	v_mul_f64 v[52:53], v[60:61], v[52:53]
	v_fma_f64 v[76:77], v[4:5], v[34:35], v[169:170]
	v_fma_f64 v[34:35], v[2:3], v[34:35], -v[36:37]
	v_add_f64 v[36:37], v[32:33], v[30:31]
	v_add_f64 v[54:55], v[54:55], v[56:57]
	ds_load_b128 v[2:5], v1 offset:1776
	ds_load_b128 v[30:33], v1 offset:1792
	v_fma_f64 v[60:61], v[60:61], v[50:51], v[62:63]
	v_fma_f64 v[50:51], v[58:59], v[50:51], -v[52:53]
	s_waitcnt vmcnt(6) lgkmcnt(1)
	v_mul_f64 v[56:57], v[2:3], v[40:41]
	v_mul_f64 v[40:41], v[4:5], v[40:41]
	s_waitcnt vmcnt(5) lgkmcnt(0)
	v_mul_f64 v[52:53], v[30:31], v[8:9]
	v_mul_f64 v[8:9], v[32:33], v[8:9]
	v_add_f64 v[34:35], v[36:37], v[34:35]
	v_add_f64 v[36:37], v[54:55], v[76:77]
	v_fma_f64 v[54:55], v[4:5], v[38:39], v[56:57]
	v_fma_f64 v[38:39], v[2:3], v[38:39], -v[40:41]
	v_fma_f64 v[32:33], v[32:33], v[6:7], v[52:53]
	v_fma_f64 v[6:7], v[30:31], v[6:7], -v[8:9]
	v_add_f64 v[40:41], v[34:35], v[50:51]
	v_add_f64 v[50:51], v[36:37], v[60:61]
	ds_load_b128 v[2:5], v1 offset:1808
	ds_load_b128 v[34:37], v1 offset:1824
	s_waitcnt vmcnt(4) lgkmcnt(1)
	v_mul_f64 v[56:57], v[2:3], v[12:13]
	v_mul_f64 v[12:13], v[4:5], v[12:13]
	v_add_f64 v[8:9], v[40:41], v[38:39]
	v_add_f64 v[30:31], v[50:51], v[54:55]
	s_waitcnt vmcnt(3) lgkmcnt(0)
	v_mul_f64 v[38:39], v[34:35], v[16:17]
	v_mul_f64 v[16:17], v[36:37], v[16:17]
	v_fma_f64 v[40:41], v[4:5], v[10:11], v[56:57]
	v_fma_f64 v[10:11], v[2:3], v[10:11], -v[12:13]
	v_add_f64 v[12:13], v[8:9], v[6:7]
	v_add_f64 v[30:31], v[30:31], v[32:33]
	ds_load_b128 v[2:5], v1 offset:1840
	ds_load_b128 v[6:9], v1 offset:1856
	v_fma_f64 v[36:37], v[36:37], v[14:15], v[38:39]
	v_fma_f64 v[14:15], v[34:35], v[14:15], -v[16:17]
	s_waitcnt vmcnt(2) lgkmcnt(1)
	v_mul_f64 v[32:33], v[2:3], v[20:21]
	v_mul_f64 v[20:21], v[4:5], v[20:21]
	s_waitcnt vmcnt(1) lgkmcnt(0)
	v_mul_f64 v[16:17], v[6:7], v[24:25]
	v_mul_f64 v[24:25], v[8:9], v[24:25]
	v_add_f64 v[10:11], v[12:13], v[10:11]
	v_add_f64 v[12:13], v[30:31], v[40:41]
	v_fma_f64 v[30:31], v[4:5], v[18:19], v[32:33]
	v_fma_f64 v[18:19], v[2:3], v[18:19], -v[20:21]
	ds_load_b128 v[2:5], v1 offset:1872
	v_fma_f64 v[8:9], v[8:9], v[22:23], v[16:17]
	v_fma_f64 v[6:7], v[6:7], v[22:23], -v[24:25]
	v_add_f64 v[10:11], v[10:11], v[14:15]
	v_add_f64 v[12:13], v[12:13], v[36:37]
	s_waitcnt vmcnt(0) lgkmcnt(0)
	v_mul_f64 v[14:15], v[2:3], v[28:29]
	v_mul_f64 v[20:21], v[4:5], v[28:29]
	s_delay_alu instid0(VALU_DEP_4) | instskip(NEXT) | instid1(VALU_DEP_4)
	v_add_f64 v[10:11], v[10:11], v[18:19]
	v_add_f64 v[12:13], v[12:13], v[30:31]
	s_delay_alu instid0(VALU_DEP_4) | instskip(NEXT) | instid1(VALU_DEP_4)
	v_fma_f64 v[4:5], v[4:5], v[26:27], v[14:15]
	v_fma_f64 v[2:3], v[2:3], v[26:27], -v[20:21]
	s_delay_alu instid0(VALU_DEP_4) | instskip(NEXT) | instid1(VALU_DEP_4)
	v_add_f64 v[6:7], v[10:11], v[6:7]
	v_add_f64 v[8:9], v[12:13], v[8:9]
	s_delay_alu instid0(VALU_DEP_2) | instskip(NEXT) | instid1(VALU_DEP_2)
	v_add_f64 v[2:3], v[6:7], v[2:3]
	v_add_f64 v[4:5], v[8:9], v[4:5]
	s_delay_alu instid0(VALU_DEP_2) | instskip(NEXT) | instid1(VALU_DEP_2)
	v_add_f64 v[2:3], v[42:43], -v[2:3]
	v_add_f64 v[4:5], v[44:45], -v[4:5]
	scratch_store_b128 off, v[2:5], off offset:336
	v_cmpx_lt_u32_e32 20, v164
	s_cbranch_execz .LBB58_327
; %bb.326:
	scratch_load_b32 v2, off, off offset:992 ; 4-byte Folded Reload
	v_mov_b32_e32 v3, v1
	v_mov_b32_e32 v4, v1
	s_waitcnt vmcnt(0)
	scratch_load_b128 v[5:8], v2, off
	v_mov_b32_e32 v2, v1
	scratch_store_b128 off, v[1:4], off offset:320
	s_waitcnt vmcnt(0)
	ds_store_b128 v223, v[5:8]
.LBB58_327:
	s_or_b32 exec_lo, exec_lo, s2
	s_waitcnt lgkmcnt(0)
	s_waitcnt_vscnt null, 0x0
	s_barrier
	buffer_gl0_inv
	s_clause 0x8
	scratch_load_b128 v[2:5], off, off offset:336
	scratch_load_b128 v[6:9], off, off offset:352
	;; [unrolled: 1-line block ×9, first 2 shown]
	ds_load_b128 v[42:45], v1 offset:1280
	ds_load_b128 v[38:41], v1 offset:1296
	s_clause 0x1
	scratch_load_b128 v[50:53], off, off offset:320
	scratch_load_b128 v[54:57], off, off offset:480
	s_mov_b32 s2, exec_lo
	s_waitcnt vmcnt(10) lgkmcnt(1)
	v_mul_f64 v[58:59], v[44:45], v[4:5]
	v_mul_f64 v[4:5], v[42:43], v[4:5]
	s_waitcnt vmcnt(9) lgkmcnt(0)
	v_mul_f64 v[62:63], v[38:39], v[8:9]
	v_mul_f64 v[8:9], v[40:41], v[8:9]
	s_delay_alu instid0(VALU_DEP_4) | instskip(NEXT) | instid1(VALU_DEP_4)
	v_fma_f64 v[76:77], v[42:43], v[2:3], -v[58:59]
	v_fma_f64 v[80:81], v[44:45], v[2:3], v[4:5]
	ds_load_b128 v[2:5], v1 offset:1312
	ds_load_b128 v[58:61], v1 offset:1328
	scratch_load_b128 v[42:45], off, off offset:496
	v_fma_f64 v[40:41], v[40:41], v[6:7], v[62:63]
	v_fma_f64 v[38:39], v[38:39], v[6:7], -v[8:9]
	scratch_load_b128 v[6:9], off, off offset:512
	s_waitcnt vmcnt(10) lgkmcnt(1)
	v_mul_f64 v[165:166], v[2:3], v[12:13]
	v_mul_f64 v[12:13], v[4:5], v[12:13]
	v_add_f64 v[62:63], v[76:77], 0
	v_add_f64 v[76:77], v[80:81], 0
	s_waitcnt vmcnt(9) lgkmcnt(0)
	v_mul_f64 v[80:81], v[58:59], v[16:17]
	v_mul_f64 v[16:17], v[60:61], v[16:17]
	v_fma_f64 v[165:166], v[4:5], v[10:11], v[165:166]
	v_fma_f64 v[167:168], v[2:3], v[10:11], -v[12:13]
	ds_load_b128 v[2:5], v1 offset:1344
	scratch_load_b128 v[10:13], off, off offset:528
	v_add_f64 v[62:63], v[62:63], v[38:39]
	v_add_f64 v[76:77], v[76:77], v[40:41]
	ds_load_b128 v[38:41], v1 offset:1360
	v_fma_f64 v[60:61], v[60:61], v[14:15], v[80:81]
	v_fma_f64 v[58:59], v[58:59], v[14:15], -v[16:17]
	scratch_load_b128 v[14:17], off, off offset:544
	s_waitcnt vmcnt(10) lgkmcnt(1)
	v_mul_f64 v[169:170], v[2:3], v[20:21]
	v_mul_f64 v[20:21], v[4:5], v[20:21]
	s_waitcnt vmcnt(9) lgkmcnt(0)
	v_mul_f64 v[80:81], v[38:39], v[24:25]
	v_mul_f64 v[24:25], v[40:41], v[24:25]
	v_add_f64 v[62:63], v[62:63], v[167:168]
	v_add_f64 v[76:77], v[76:77], v[165:166]
	v_fma_f64 v[165:166], v[4:5], v[18:19], v[169:170]
	v_fma_f64 v[167:168], v[2:3], v[18:19], -v[20:21]
	ds_load_b128 v[2:5], v1 offset:1376
	scratch_load_b128 v[18:21], off, off offset:560
	v_fma_f64 v[40:41], v[40:41], v[22:23], v[80:81]
	v_fma_f64 v[38:39], v[38:39], v[22:23], -v[24:25]
	scratch_load_b128 v[22:25], off, off offset:576
	v_add_f64 v[62:63], v[62:63], v[58:59]
	v_add_f64 v[76:77], v[76:77], v[60:61]
	ds_load_b128 v[58:61], v1 offset:1392
	s_waitcnt vmcnt(10) lgkmcnt(1)
	v_mul_f64 v[169:170], v[2:3], v[28:29]
	v_mul_f64 v[28:29], v[4:5], v[28:29]
	s_waitcnt vmcnt(9) lgkmcnt(0)
	v_mul_f64 v[80:81], v[58:59], v[32:33]
	v_mul_f64 v[32:33], v[60:61], v[32:33]
	v_add_f64 v[62:63], v[62:63], v[167:168]
	v_add_f64 v[76:77], v[76:77], v[165:166]
	v_fma_f64 v[165:166], v[4:5], v[26:27], v[169:170]
	v_fma_f64 v[167:168], v[2:3], v[26:27], -v[28:29]
	ds_load_b128 v[2:5], v1 offset:1408
	scratch_load_b128 v[26:29], off, off offset:592
	v_fma_f64 v[60:61], v[60:61], v[30:31], v[80:81]
	v_fma_f64 v[58:59], v[58:59], v[30:31], -v[32:33]
	scratch_load_b128 v[30:33], off, off offset:608
	v_add_f64 v[62:63], v[62:63], v[38:39]
	v_add_f64 v[76:77], v[76:77], v[40:41]
	ds_load_b128 v[38:41], v1 offset:1424
	s_waitcnt vmcnt(10) lgkmcnt(1)
	v_mul_f64 v[169:170], v[2:3], v[36:37]
	v_mul_f64 v[36:37], v[4:5], v[36:37]
	s_waitcnt vmcnt(8) lgkmcnt(0)
	v_mul_f64 v[80:81], v[38:39], v[56:57]
	v_add_f64 v[62:63], v[62:63], v[167:168]
	v_add_f64 v[76:77], v[76:77], v[165:166]
	v_mul_f64 v[165:166], v[40:41], v[56:57]
	v_fma_f64 v[167:168], v[4:5], v[34:35], v[169:170]
	v_fma_f64 v[169:170], v[2:3], v[34:35], -v[36:37]
	ds_load_b128 v[2:5], v1 offset:1440
	scratch_load_b128 v[34:37], off, off offset:624
	v_fma_f64 v[80:81], v[40:41], v[54:55], v[80:81]
	v_add_f64 v[62:63], v[62:63], v[58:59]
	v_add_f64 v[60:61], v[76:77], v[60:61]
	ds_load_b128 v[56:59], v1 offset:1456
	v_fma_f64 v[54:55], v[38:39], v[54:55], -v[165:166]
	scratch_load_b128 v[38:41], off, off offset:640
	s_waitcnt vmcnt(9) lgkmcnt(1)
	v_mul_f64 v[76:77], v[2:3], v[44:45]
	v_mul_f64 v[44:45], v[4:5], v[44:45]
	s_waitcnt vmcnt(8) lgkmcnt(0)
	v_mul_f64 v[165:166], v[56:57], v[8:9]
	v_mul_f64 v[8:9], v[58:59], v[8:9]
	v_add_f64 v[62:63], v[62:63], v[169:170]
	v_add_f64 v[60:61], v[60:61], v[167:168]
	v_fma_f64 v[76:77], v[4:5], v[42:43], v[76:77]
	v_fma_f64 v[167:168], v[2:3], v[42:43], -v[44:45]
	ds_load_b128 v[2:5], v1 offset:1472
	scratch_load_b128 v[42:45], off, off offset:656
	v_fma_f64 v[58:59], v[58:59], v[6:7], v[165:166]
	v_fma_f64 v[56:57], v[56:57], v[6:7], -v[8:9]
	scratch_load_b128 v[6:9], off, off offset:672
	v_add_f64 v[54:55], v[62:63], v[54:55]
	v_add_f64 v[80:81], v[60:61], v[80:81]
	ds_load_b128 v[60:63], v1 offset:1488
	s_waitcnt vmcnt(9) lgkmcnt(1)
	v_mul_f64 v[169:170], v[2:3], v[12:13]
	v_mul_f64 v[12:13], v[4:5], v[12:13]
	v_add_f64 v[54:55], v[54:55], v[167:168]
	v_add_f64 v[76:77], v[80:81], v[76:77]
	s_waitcnt vmcnt(8) lgkmcnt(0)
	v_mul_f64 v[80:81], v[60:61], v[16:17]
	v_mul_f64 v[16:17], v[62:63], v[16:17]
	v_fma_f64 v[165:166], v[4:5], v[10:11], v[169:170]
	v_fma_f64 v[167:168], v[2:3], v[10:11], -v[12:13]
	ds_load_b128 v[2:5], v1 offset:1504
	scratch_load_b128 v[10:13], off, off offset:688
	v_add_f64 v[169:170], v[54:55], v[56:57]
	v_add_f64 v[58:59], v[76:77], v[58:59]
	ds_load_b128 v[54:57], v1 offset:1520
	s_waitcnt vmcnt(8) lgkmcnt(1)
	v_mul_f64 v[76:77], v[2:3], v[20:21]
	v_mul_f64 v[20:21], v[4:5], v[20:21]
	v_fma_f64 v[62:63], v[62:63], v[14:15], v[80:81]
	v_fma_f64 v[60:61], v[60:61], v[14:15], -v[16:17]
	scratch_load_b128 v[14:17], off, off offset:704
	v_add_f64 v[80:81], v[169:170], v[167:168]
	v_add_f64 v[58:59], v[58:59], v[165:166]
	s_waitcnt vmcnt(8) lgkmcnt(0)
	v_mul_f64 v[165:166], v[54:55], v[24:25]
	v_mul_f64 v[24:25], v[56:57], v[24:25]
	v_fma_f64 v[76:77], v[4:5], v[18:19], v[76:77]
	v_fma_f64 v[167:168], v[2:3], v[18:19], -v[20:21]
	ds_load_b128 v[2:5], v1 offset:1536
	scratch_load_b128 v[18:21], off, off offset:720
	v_add_f64 v[80:81], v[80:81], v[60:61]
	v_add_f64 v[62:63], v[58:59], v[62:63]
	ds_load_b128 v[58:61], v1 offset:1552
	s_waitcnt vmcnt(8) lgkmcnt(1)
	v_mul_f64 v[169:170], v[2:3], v[28:29]
	v_mul_f64 v[28:29], v[4:5], v[28:29]
	v_fma_f64 v[56:57], v[56:57], v[22:23], v[165:166]
	v_fma_f64 v[54:55], v[54:55], v[22:23], -v[24:25]
	scratch_load_b128 v[22:25], off, off offset:736
	;; [unrolled: 18-line block ×4, first 2 shown]
	s_waitcnt vmcnt(8) lgkmcnt(0)
	v_mul_f64 v[80:81], v[58:59], v[8:9]
	v_mul_f64 v[8:9], v[60:61], v[8:9]
	v_add_f64 v[76:77], v[76:77], v[167:168]
	v_add_f64 v[62:63], v[62:63], v[165:166]
	v_fma_f64 v[165:166], v[4:5], v[42:43], v[169:170]
	v_fma_f64 v[167:168], v[2:3], v[42:43], -v[44:45]
	ds_load_b128 v[2:5], v1 offset:1632
	scratch_load_b128 v[42:45], off, off offset:816
	v_fma_f64 v[60:61], v[60:61], v[6:7], v[80:81]
	v_fma_f64 v[58:59], v[58:59], v[6:7], -v[8:9]
	scratch_load_b128 v[6:9], off, off offset:832
	v_add_f64 v[76:77], v[76:77], v[54:55]
	v_add_f64 v[62:63], v[62:63], v[56:57]
	ds_load_b128 v[54:57], v1 offset:1648
	s_waitcnt vmcnt(9) lgkmcnt(1)
	v_mul_f64 v[169:170], v[2:3], v[12:13]
	v_mul_f64 v[12:13], v[4:5], v[12:13]
	s_waitcnt vmcnt(8) lgkmcnt(0)
	v_mul_f64 v[80:81], v[54:55], v[16:17]
	v_mul_f64 v[16:17], v[56:57], v[16:17]
	v_add_f64 v[76:77], v[76:77], v[167:168]
	v_add_f64 v[62:63], v[62:63], v[165:166]
	v_fma_f64 v[165:166], v[4:5], v[10:11], v[169:170]
	v_fma_f64 v[167:168], v[2:3], v[10:11], -v[12:13]
	ds_load_b128 v[2:5], v1 offset:1664
	scratch_load_b128 v[10:13], off, off offset:848
	v_fma_f64 v[56:57], v[56:57], v[14:15], v[80:81]
	v_fma_f64 v[54:55], v[54:55], v[14:15], -v[16:17]
	scratch_load_b128 v[14:17], off, off offset:864
	v_add_f64 v[76:77], v[76:77], v[58:59]
	v_add_f64 v[62:63], v[62:63], v[60:61]
	ds_load_b128 v[58:61], v1 offset:1680
	s_waitcnt vmcnt(9) lgkmcnt(1)
	v_mul_f64 v[169:170], v[2:3], v[20:21]
	v_mul_f64 v[20:21], v[4:5], v[20:21]
	;; [unrolled: 18-line block ×4, first 2 shown]
	s_waitcnt vmcnt(8) lgkmcnt(0)
	v_mul_f64 v[80:81], v[58:59], v[40:41]
	v_mul_f64 v[40:41], v[60:61], v[40:41]
	v_add_f64 v[76:77], v[76:77], v[167:168]
	v_add_f64 v[62:63], v[62:63], v[165:166]
	v_fma_f64 v[165:166], v[4:5], v[34:35], v[169:170]
	v_fma_f64 v[167:168], v[2:3], v[34:35], -v[36:37]
	ds_load_b128 v[2:5], v1 offset:1760
	ds_load_b128 v[34:37], v1 offset:1776
	v_fma_f64 v[60:61], v[60:61], v[38:39], v[80:81]
	v_fma_f64 v[38:39], v[58:59], v[38:39], -v[40:41]
	v_add_f64 v[54:55], v[76:77], v[54:55]
	v_add_f64 v[56:57], v[62:63], v[56:57]
	s_waitcnt vmcnt(7) lgkmcnt(1)
	v_mul_f64 v[62:63], v[2:3], v[44:45]
	v_mul_f64 v[44:45], v[4:5], v[44:45]
	s_delay_alu instid0(VALU_DEP_4) | instskip(NEXT) | instid1(VALU_DEP_4)
	v_add_f64 v[40:41], v[54:55], v[167:168]
	v_add_f64 v[54:55], v[56:57], v[165:166]
	s_waitcnt vmcnt(6) lgkmcnt(0)
	v_mul_f64 v[56:57], v[34:35], v[8:9]
	v_mul_f64 v[8:9], v[36:37], v[8:9]
	v_fma_f64 v[58:59], v[4:5], v[42:43], v[62:63]
	v_fma_f64 v[42:43], v[2:3], v[42:43], -v[44:45]
	v_add_f64 v[44:45], v[40:41], v[38:39]
	v_add_f64 v[54:55], v[54:55], v[60:61]
	ds_load_b128 v[2:5], v1 offset:1792
	ds_load_b128 v[38:41], v1 offset:1808
	v_fma_f64 v[36:37], v[36:37], v[6:7], v[56:57]
	v_fma_f64 v[6:7], v[34:35], v[6:7], -v[8:9]
	s_waitcnt vmcnt(5) lgkmcnt(1)
	v_mul_f64 v[60:61], v[2:3], v[12:13]
	v_mul_f64 v[12:13], v[4:5], v[12:13]
	v_add_f64 v[8:9], v[44:45], v[42:43]
	v_add_f64 v[34:35], v[54:55], v[58:59]
	s_waitcnt vmcnt(4) lgkmcnt(0)
	v_mul_f64 v[42:43], v[38:39], v[16:17]
	v_mul_f64 v[16:17], v[40:41], v[16:17]
	v_fma_f64 v[44:45], v[4:5], v[10:11], v[60:61]
	v_fma_f64 v[10:11], v[2:3], v[10:11], -v[12:13]
	v_add_f64 v[12:13], v[8:9], v[6:7]
	v_add_f64 v[34:35], v[34:35], v[36:37]
	ds_load_b128 v[2:5], v1 offset:1824
	ds_load_b128 v[6:9], v1 offset:1840
	v_fma_f64 v[40:41], v[40:41], v[14:15], v[42:43]
	v_fma_f64 v[14:15], v[38:39], v[14:15], -v[16:17]
	s_waitcnt vmcnt(3) lgkmcnt(1)
	v_mul_f64 v[36:37], v[2:3], v[20:21]
	v_mul_f64 v[20:21], v[4:5], v[20:21]
	s_waitcnt vmcnt(2) lgkmcnt(0)
	v_mul_f64 v[16:17], v[6:7], v[24:25]
	v_mul_f64 v[24:25], v[8:9], v[24:25]
	v_add_f64 v[10:11], v[12:13], v[10:11]
	v_add_f64 v[12:13], v[34:35], v[44:45]
	v_fma_f64 v[34:35], v[4:5], v[18:19], v[36:37]
	v_fma_f64 v[18:19], v[2:3], v[18:19], -v[20:21]
	v_fma_f64 v[8:9], v[8:9], v[22:23], v[16:17]
	v_fma_f64 v[6:7], v[6:7], v[22:23], -v[24:25]
	v_add_f64 v[14:15], v[10:11], v[14:15]
	v_add_f64 v[20:21], v[12:13], v[40:41]
	ds_load_b128 v[2:5], v1 offset:1856
	ds_load_b128 v[10:13], v1 offset:1872
	s_waitcnt vmcnt(1) lgkmcnt(1)
	v_mul_f64 v[36:37], v[2:3], v[28:29]
	v_mul_f64 v[28:29], v[4:5], v[28:29]
	v_add_f64 v[14:15], v[14:15], v[18:19]
	v_add_f64 v[16:17], v[20:21], v[34:35]
	s_waitcnt vmcnt(0) lgkmcnt(0)
	v_mul_f64 v[18:19], v[10:11], v[32:33]
	v_mul_f64 v[20:21], v[12:13], v[32:33]
	v_fma_f64 v[4:5], v[4:5], v[26:27], v[36:37]
	v_fma_f64 v[1:2], v[2:3], v[26:27], -v[28:29]
	v_add_f64 v[6:7], v[14:15], v[6:7]
	v_add_f64 v[8:9], v[16:17], v[8:9]
	v_fma_f64 v[12:13], v[12:13], v[30:31], v[18:19]
	v_fma_f64 v[10:11], v[10:11], v[30:31], -v[20:21]
	s_delay_alu instid0(VALU_DEP_4) | instskip(NEXT) | instid1(VALU_DEP_4)
	v_add_f64 v[1:2], v[6:7], v[1:2]
	v_add_f64 v[3:4], v[8:9], v[4:5]
	s_delay_alu instid0(VALU_DEP_2) | instskip(NEXT) | instid1(VALU_DEP_2)
	v_add_f64 v[1:2], v[1:2], v[10:11]
	v_add_f64 v[3:4], v[3:4], v[12:13]
	s_delay_alu instid0(VALU_DEP_2) | instskip(NEXT) | instid1(VALU_DEP_2)
	v_add_f64 v[1:2], v[50:51], -v[1:2]
	v_add_f64 v[3:4], v[52:53], -v[3:4]
	scratch_store_b128 off, v[1:4], off offset:320
	v_cmpx_lt_u32_e32 19, v164
	s_cbranch_execz .LBB58_329
; %bb.328:
	scratch_load_b128 v[1:4], v255, off
	v_mov_b32_e32 v5, 0
	s_delay_alu instid0(VALU_DEP_1)
	v_mov_b32_e32 v6, v5
	v_mov_b32_e32 v7, v5
	;; [unrolled: 1-line block ×3, first 2 shown]
	scratch_store_b128 off, v[5:8], off offset:304
	s_waitcnt vmcnt(0)
	ds_store_b128 v223, v[1:4]
.LBB58_329:
	s_or_b32 exec_lo, exec_lo, s2
	s_waitcnt lgkmcnt(0)
	s_waitcnt_vscnt null, 0x0
	s_barrier
	buffer_gl0_inv
	s_clause 0x7
	scratch_load_b128 v[2:5], off, off offset:320
	scratch_load_b128 v[6:9], off, off offset:336
	;; [unrolled: 1-line block ×8, first 2 shown]
	v_mov_b32_e32 v1, 0
	s_mov_b32 s2, exec_lo
	ds_load_b128 v[38:41], v1 offset:1264
	s_clause 0x1
	scratch_load_b128 v[34:37], off, off offset:448
	scratch_load_b128 v[42:45], off, off offset:304
	ds_load_b128 v[50:53], v1 offset:1280
	scratch_load_b128 v[54:57], off, off offset:464
	s_waitcnt vmcnt(10) lgkmcnt(1)
	v_mul_f64 v[58:59], v[40:41], v[4:5]
	v_mul_f64 v[4:5], v[38:39], v[4:5]
	s_delay_alu instid0(VALU_DEP_2) | instskip(NEXT) | instid1(VALU_DEP_2)
	v_fma_f64 v[76:77], v[38:39], v[2:3], -v[58:59]
	v_fma_f64 v[80:81], v[40:41], v[2:3], v[4:5]
	scratch_load_b128 v[38:41], off, off offset:480
	ds_load_b128 v[2:5], v1 offset:1296
	s_waitcnt vmcnt(10) lgkmcnt(1)
	v_mul_f64 v[62:63], v[50:51], v[8:9]
	v_mul_f64 v[8:9], v[52:53], v[8:9]
	ds_load_b128 v[58:61], v1 offset:1312
	s_waitcnt vmcnt(9) lgkmcnt(1)
	v_mul_f64 v[165:166], v[2:3], v[12:13]
	v_mul_f64 v[12:13], v[4:5], v[12:13]
	v_fma_f64 v[52:53], v[52:53], v[6:7], v[62:63]
	v_fma_f64 v[50:51], v[50:51], v[6:7], -v[8:9]
	v_add_f64 v[62:63], v[76:77], 0
	v_add_f64 v[76:77], v[80:81], 0
	scratch_load_b128 v[6:9], off, off offset:496
	v_fma_f64 v[165:166], v[4:5], v[10:11], v[165:166]
	v_fma_f64 v[167:168], v[2:3], v[10:11], -v[12:13]
	scratch_load_b128 v[10:13], off, off offset:512
	ds_load_b128 v[2:5], v1 offset:1328
	s_waitcnt vmcnt(10) lgkmcnt(1)
	v_mul_f64 v[80:81], v[58:59], v[16:17]
	v_mul_f64 v[16:17], v[60:61], v[16:17]
	v_add_f64 v[62:63], v[62:63], v[50:51]
	v_add_f64 v[76:77], v[76:77], v[52:53]
	s_waitcnt vmcnt(9) lgkmcnt(0)
	v_mul_f64 v[169:170], v[2:3], v[20:21]
	v_mul_f64 v[20:21], v[4:5], v[20:21]
	ds_load_b128 v[50:53], v1 offset:1344
	v_fma_f64 v[60:61], v[60:61], v[14:15], v[80:81]
	v_fma_f64 v[58:59], v[58:59], v[14:15], -v[16:17]
	scratch_load_b128 v[14:17], off, off offset:528
	v_add_f64 v[62:63], v[62:63], v[167:168]
	v_add_f64 v[76:77], v[76:77], v[165:166]
	v_fma_f64 v[165:166], v[4:5], v[18:19], v[169:170]
	v_fma_f64 v[167:168], v[2:3], v[18:19], -v[20:21]
	scratch_load_b128 v[18:21], off, off offset:544
	ds_load_b128 v[2:5], v1 offset:1360
	s_waitcnt vmcnt(10) lgkmcnt(1)
	v_mul_f64 v[80:81], v[50:51], v[24:25]
	v_mul_f64 v[24:25], v[52:53], v[24:25]
	s_waitcnt vmcnt(9) lgkmcnt(0)
	v_mul_f64 v[169:170], v[2:3], v[28:29]
	v_mul_f64 v[28:29], v[4:5], v[28:29]
	v_add_f64 v[62:63], v[62:63], v[58:59]
	v_add_f64 v[76:77], v[76:77], v[60:61]
	ds_load_b128 v[58:61], v1 offset:1376
	v_fma_f64 v[52:53], v[52:53], v[22:23], v[80:81]
	v_fma_f64 v[50:51], v[50:51], v[22:23], -v[24:25]
	scratch_load_b128 v[22:25], off, off offset:560
	v_add_f64 v[62:63], v[62:63], v[167:168]
	v_add_f64 v[76:77], v[76:77], v[165:166]
	v_fma_f64 v[165:166], v[4:5], v[26:27], v[169:170]
	v_fma_f64 v[167:168], v[2:3], v[26:27], -v[28:29]
	scratch_load_b128 v[26:29], off, off offset:576
	ds_load_b128 v[2:5], v1 offset:1392
	s_waitcnt vmcnt(10) lgkmcnt(1)
	v_mul_f64 v[80:81], v[58:59], v[32:33]
	v_mul_f64 v[32:33], v[60:61], v[32:33]
	s_waitcnt vmcnt(9) lgkmcnt(0)
	v_mul_f64 v[169:170], v[2:3], v[36:37]
	v_mul_f64 v[36:37], v[4:5], v[36:37]
	v_add_f64 v[62:63], v[62:63], v[50:51]
	v_add_f64 v[76:77], v[76:77], v[52:53]
	ds_load_b128 v[50:53], v1 offset:1408
	v_fma_f64 v[60:61], v[60:61], v[30:31], v[80:81]
	v_fma_f64 v[58:59], v[58:59], v[30:31], -v[32:33]
	scratch_load_b128 v[30:33], off, off offset:592
	v_add_f64 v[62:63], v[62:63], v[167:168]
	v_add_f64 v[76:77], v[76:77], v[165:166]
	v_fma_f64 v[167:168], v[4:5], v[34:35], v[169:170]
	v_fma_f64 v[169:170], v[2:3], v[34:35], -v[36:37]
	scratch_load_b128 v[34:37], off, off offset:608
	ds_load_b128 v[2:5], v1 offset:1424
	s_waitcnt vmcnt(9) lgkmcnt(1)
	v_mul_f64 v[80:81], v[50:51], v[56:57]
	v_mul_f64 v[165:166], v[52:53], v[56:57]
	v_add_f64 v[62:63], v[62:63], v[58:59]
	v_add_f64 v[60:61], v[76:77], v[60:61]
	ds_load_b128 v[56:59], v1 offset:1440
	v_fma_f64 v[80:81], v[52:53], v[54:55], v[80:81]
	v_fma_f64 v[54:55], v[50:51], v[54:55], -v[165:166]
	scratch_load_b128 v[50:53], off, off offset:624
	s_waitcnt vmcnt(9) lgkmcnt(1)
	v_mul_f64 v[76:77], v[2:3], v[40:41]
	v_mul_f64 v[40:41], v[4:5], v[40:41]
	v_add_f64 v[62:63], v[62:63], v[169:170]
	v_add_f64 v[60:61], v[60:61], v[167:168]
	s_delay_alu instid0(VALU_DEP_4) | instskip(NEXT) | instid1(VALU_DEP_4)
	v_fma_f64 v[76:77], v[4:5], v[38:39], v[76:77]
	v_fma_f64 v[167:168], v[2:3], v[38:39], -v[40:41]
	scratch_load_b128 v[38:41], off, off offset:640
	ds_load_b128 v[2:5], v1 offset:1456
	s_waitcnt vmcnt(9) lgkmcnt(1)
	v_mul_f64 v[165:166], v[56:57], v[8:9]
	v_mul_f64 v[8:9], v[58:59], v[8:9]
	s_waitcnt vmcnt(8) lgkmcnt(0)
	v_mul_f64 v[169:170], v[2:3], v[12:13]
	v_mul_f64 v[12:13], v[4:5], v[12:13]
	v_add_f64 v[54:55], v[62:63], v[54:55]
	v_add_f64 v[80:81], v[60:61], v[80:81]
	ds_load_b128 v[60:63], v1 offset:1472
	v_fma_f64 v[58:59], v[58:59], v[6:7], v[165:166]
	v_fma_f64 v[56:57], v[56:57], v[6:7], -v[8:9]
	scratch_load_b128 v[6:9], off, off offset:656
	v_fma_f64 v[165:166], v[4:5], v[10:11], v[169:170]
	v_add_f64 v[54:55], v[54:55], v[167:168]
	v_add_f64 v[76:77], v[80:81], v[76:77]
	v_fma_f64 v[167:168], v[2:3], v[10:11], -v[12:13]
	scratch_load_b128 v[10:13], off, off offset:672
	ds_load_b128 v[2:5], v1 offset:1488
	s_waitcnt vmcnt(9) lgkmcnt(1)
	v_mul_f64 v[80:81], v[60:61], v[16:17]
	v_mul_f64 v[16:17], v[62:63], v[16:17]
	v_add_f64 v[169:170], v[54:55], v[56:57]
	v_add_f64 v[58:59], v[76:77], v[58:59]
	s_waitcnt vmcnt(8) lgkmcnt(0)
	v_mul_f64 v[76:77], v[2:3], v[20:21]
	v_mul_f64 v[20:21], v[4:5], v[20:21]
	ds_load_b128 v[54:57], v1 offset:1504
	v_fma_f64 v[62:63], v[62:63], v[14:15], v[80:81]
	v_fma_f64 v[60:61], v[60:61], v[14:15], -v[16:17]
	scratch_load_b128 v[14:17], off, off offset:688
	v_add_f64 v[80:81], v[169:170], v[167:168]
	v_add_f64 v[58:59], v[58:59], v[165:166]
	v_fma_f64 v[76:77], v[4:5], v[18:19], v[76:77]
	v_fma_f64 v[167:168], v[2:3], v[18:19], -v[20:21]
	scratch_load_b128 v[18:21], off, off offset:704
	ds_load_b128 v[2:5], v1 offset:1520
	s_waitcnt vmcnt(9) lgkmcnt(1)
	v_mul_f64 v[165:166], v[54:55], v[24:25]
	v_mul_f64 v[24:25], v[56:57], v[24:25]
	s_waitcnt vmcnt(8) lgkmcnt(0)
	v_mul_f64 v[169:170], v[2:3], v[28:29]
	v_mul_f64 v[28:29], v[4:5], v[28:29]
	v_add_f64 v[80:81], v[80:81], v[60:61]
	v_add_f64 v[62:63], v[58:59], v[62:63]
	ds_load_b128 v[58:61], v1 offset:1536
	v_fma_f64 v[56:57], v[56:57], v[22:23], v[165:166]
	v_fma_f64 v[54:55], v[54:55], v[22:23], -v[24:25]
	scratch_load_b128 v[22:25], off, off offset:720
	v_fma_f64 v[165:166], v[4:5], v[26:27], v[169:170]
	v_add_f64 v[80:81], v[80:81], v[167:168]
	v_add_f64 v[62:63], v[62:63], v[76:77]
	v_fma_f64 v[167:168], v[2:3], v[26:27], -v[28:29]
	scratch_load_b128 v[26:29], off, off offset:736
	ds_load_b128 v[2:5], v1 offset:1552
	s_waitcnt vmcnt(9) lgkmcnt(1)
	v_mul_f64 v[76:77], v[58:59], v[32:33]
	v_mul_f64 v[32:33], v[60:61], v[32:33]
	s_waitcnt vmcnt(8) lgkmcnt(0)
	v_mul_f64 v[169:170], v[2:3], v[36:37]
	v_mul_f64 v[36:37], v[4:5], v[36:37]
	v_add_f64 v[80:81], v[80:81], v[54:55]
	v_add_f64 v[62:63], v[62:63], v[56:57]
	ds_load_b128 v[54:57], v1 offset:1568
	v_fma_f64 v[60:61], v[60:61], v[30:31], v[76:77]
	v_fma_f64 v[58:59], v[58:59], v[30:31], -v[32:33]
	scratch_load_b128 v[30:33], off, off offset:752
	v_add_f64 v[76:77], v[80:81], v[167:168]
	v_add_f64 v[62:63], v[62:63], v[165:166]
	v_fma_f64 v[165:166], v[4:5], v[34:35], v[169:170]
	v_fma_f64 v[167:168], v[2:3], v[34:35], -v[36:37]
	scratch_load_b128 v[34:37], off, off offset:768
	ds_load_b128 v[2:5], v1 offset:1584
	s_waitcnt vmcnt(9) lgkmcnt(1)
	v_mul_f64 v[80:81], v[54:55], v[52:53]
	v_mul_f64 v[52:53], v[56:57], v[52:53]
	s_waitcnt vmcnt(8) lgkmcnt(0)
	v_mul_f64 v[169:170], v[2:3], v[40:41]
	v_mul_f64 v[40:41], v[4:5], v[40:41]
	v_add_f64 v[76:77], v[76:77], v[58:59]
	v_add_f64 v[62:63], v[62:63], v[60:61]
	ds_load_b128 v[58:61], v1 offset:1600
	v_fma_f64 v[56:57], v[56:57], v[50:51], v[80:81]
	v_fma_f64 v[54:55], v[54:55], v[50:51], -v[52:53]
	scratch_load_b128 v[50:53], off, off offset:784
	v_add_f64 v[76:77], v[76:77], v[167:168]
	v_add_f64 v[62:63], v[62:63], v[165:166]
	v_fma_f64 v[165:166], v[4:5], v[38:39], v[169:170]
	;; [unrolled: 18-line block ×6, first 2 shown]
	v_fma_f64 v[169:170], v[2:3], v[34:35], -v[36:37]
	scratch_load_b128 v[34:37], off, off offset:928
	ds_load_b128 v[2:5], v1 offset:1744
	s_waitcnt vmcnt(9) lgkmcnt(1)
	v_mul_f64 v[80:81], v[58:59], v[52:53]
	v_mul_f64 v[165:166], v[60:61], v[52:53]
	v_add_f64 v[76:77], v[76:77], v[54:55]
	v_add_f64 v[56:57], v[62:63], v[56:57]
	s_waitcnt vmcnt(8) lgkmcnt(0)
	v_mul_f64 v[62:63], v[2:3], v[40:41]
	v_mul_f64 v[40:41], v[4:5], v[40:41]
	ds_load_b128 v[52:55], v1 offset:1760
	v_fma_f64 v[60:61], v[60:61], v[50:51], v[80:81]
	v_fma_f64 v[50:51], v[58:59], v[50:51], -v[165:166]
	v_add_f64 v[58:59], v[76:77], v[169:170]
	v_add_f64 v[56:57], v[56:57], v[167:168]
	s_waitcnt vmcnt(7) lgkmcnt(0)
	v_mul_f64 v[76:77], v[52:53], v[8:9]
	v_mul_f64 v[8:9], v[54:55], v[8:9]
	v_fma_f64 v[62:63], v[4:5], v[38:39], v[62:63]
	v_fma_f64 v[80:81], v[2:3], v[38:39], -v[40:41]
	ds_load_b128 v[2:5], v1 offset:1776
	ds_load_b128 v[38:41], v1 offset:1792
	v_add_f64 v[50:51], v[58:59], v[50:51]
	v_add_f64 v[56:57], v[56:57], v[60:61]
	s_waitcnt vmcnt(6) lgkmcnt(1)
	v_mul_f64 v[58:59], v[2:3], v[12:13]
	v_mul_f64 v[12:13], v[4:5], v[12:13]
	v_fma_f64 v[54:55], v[54:55], v[6:7], v[76:77]
	v_fma_f64 v[6:7], v[52:53], v[6:7], -v[8:9]
	s_waitcnt vmcnt(5) lgkmcnt(0)
	v_mul_f64 v[52:53], v[38:39], v[16:17]
	v_mul_f64 v[16:17], v[40:41], v[16:17]
	v_add_f64 v[8:9], v[50:51], v[80:81]
	v_add_f64 v[50:51], v[56:57], v[62:63]
	v_fma_f64 v[56:57], v[4:5], v[10:11], v[58:59]
	v_fma_f64 v[10:11], v[2:3], v[10:11], -v[12:13]
	v_fma_f64 v[40:41], v[40:41], v[14:15], v[52:53]
	v_fma_f64 v[14:15], v[38:39], v[14:15], -v[16:17]
	v_add_f64 v[12:13], v[8:9], v[6:7]
	v_add_f64 v[50:51], v[50:51], v[54:55]
	ds_load_b128 v[2:5], v1 offset:1808
	ds_load_b128 v[6:9], v1 offset:1824
	s_waitcnt vmcnt(4) lgkmcnt(1)
	v_mul_f64 v[54:55], v[2:3], v[20:21]
	v_mul_f64 v[20:21], v[4:5], v[20:21]
	s_waitcnt vmcnt(3) lgkmcnt(0)
	v_mul_f64 v[16:17], v[6:7], v[24:25]
	v_mul_f64 v[24:25], v[8:9], v[24:25]
	v_add_f64 v[10:11], v[12:13], v[10:11]
	v_add_f64 v[12:13], v[50:51], v[56:57]
	v_fma_f64 v[38:39], v[4:5], v[18:19], v[54:55]
	v_fma_f64 v[18:19], v[2:3], v[18:19], -v[20:21]
	v_fma_f64 v[8:9], v[8:9], v[22:23], v[16:17]
	v_fma_f64 v[6:7], v[6:7], v[22:23], -v[24:25]
	v_add_f64 v[14:15], v[10:11], v[14:15]
	v_add_f64 v[20:21], v[12:13], v[40:41]
	ds_load_b128 v[2:5], v1 offset:1840
	ds_load_b128 v[10:13], v1 offset:1856
	s_waitcnt vmcnt(2) lgkmcnt(1)
	v_mul_f64 v[40:41], v[2:3], v[28:29]
	v_mul_f64 v[28:29], v[4:5], v[28:29]
	v_add_f64 v[14:15], v[14:15], v[18:19]
	v_add_f64 v[16:17], v[20:21], v[38:39]
	s_waitcnt vmcnt(1) lgkmcnt(0)
	v_mul_f64 v[18:19], v[10:11], v[32:33]
	v_mul_f64 v[20:21], v[12:13], v[32:33]
	v_fma_f64 v[22:23], v[4:5], v[26:27], v[40:41]
	v_fma_f64 v[24:25], v[2:3], v[26:27], -v[28:29]
	ds_load_b128 v[2:5], v1 offset:1872
	v_add_f64 v[6:7], v[14:15], v[6:7]
	v_add_f64 v[8:9], v[16:17], v[8:9]
	v_fma_f64 v[12:13], v[12:13], v[30:31], v[18:19]
	v_fma_f64 v[10:11], v[10:11], v[30:31], -v[20:21]
	s_waitcnt vmcnt(0) lgkmcnt(0)
	v_mul_f64 v[14:15], v[2:3], v[36:37]
	v_mul_f64 v[16:17], v[4:5], v[36:37]
	v_add_f64 v[6:7], v[6:7], v[24:25]
	v_add_f64 v[8:9], v[8:9], v[22:23]
	s_delay_alu instid0(VALU_DEP_4) | instskip(NEXT) | instid1(VALU_DEP_4)
	v_fma_f64 v[4:5], v[4:5], v[34:35], v[14:15]
	v_fma_f64 v[2:3], v[2:3], v[34:35], -v[16:17]
	s_delay_alu instid0(VALU_DEP_4) | instskip(NEXT) | instid1(VALU_DEP_4)
	v_add_f64 v[6:7], v[6:7], v[10:11]
	v_add_f64 v[8:9], v[8:9], v[12:13]
	s_delay_alu instid0(VALU_DEP_2) | instskip(NEXT) | instid1(VALU_DEP_2)
	v_add_f64 v[2:3], v[6:7], v[2:3]
	v_add_f64 v[4:5], v[8:9], v[4:5]
	s_delay_alu instid0(VALU_DEP_2) | instskip(NEXT) | instid1(VALU_DEP_2)
	v_add_f64 v[2:3], v[42:43], -v[2:3]
	v_add_f64 v[4:5], v[44:45], -v[4:5]
	scratch_store_b128 off, v[2:5], off offset:304
	v_cmpx_lt_u32_e32 18, v164
	s_cbranch_execz .LBB58_331
; %bb.330:
	scratch_load_b32 v2, off, off offset:996 ; 4-byte Folded Reload
	v_mov_b32_e32 v3, v1
	v_mov_b32_e32 v4, v1
	s_waitcnt vmcnt(0)
	scratch_load_b128 v[5:8], v2, off
	v_mov_b32_e32 v2, v1
	scratch_store_b128 off, v[1:4], off offset:288
	s_waitcnt vmcnt(0)
	ds_store_b128 v223, v[5:8]
.LBB58_331:
	s_or_b32 exec_lo, exec_lo, s2
	s_waitcnt lgkmcnt(0)
	s_waitcnt_vscnt null, 0x0
	s_barrier
	buffer_gl0_inv
	s_clause 0x8
	scratch_load_b128 v[2:5], off, off offset:304
	scratch_load_b128 v[6:9], off, off offset:320
	;; [unrolled: 1-line block ×9, first 2 shown]
	ds_load_b128 v[42:45], v1 offset:1248
	ds_load_b128 v[38:41], v1 offset:1264
	s_clause 0x1
	scratch_load_b128 v[50:53], off, off offset:288
	scratch_load_b128 v[54:57], off, off offset:448
	s_mov_b32 s2, exec_lo
	s_waitcnt vmcnt(10) lgkmcnt(1)
	v_mul_f64 v[58:59], v[44:45], v[4:5]
	v_mul_f64 v[4:5], v[42:43], v[4:5]
	s_waitcnt vmcnt(9) lgkmcnt(0)
	v_mul_f64 v[62:63], v[38:39], v[8:9]
	v_mul_f64 v[8:9], v[40:41], v[8:9]
	s_delay_alu instid0(VALU_DEP_4) | instskip(NEXT) | instid1(VALU_DEP_4)
	v_fma_f64 v[76:77], v[42:43], v[2:3], -v[58:59]
	v_fma_f64 v[80:81], v[44:45], v[2:3], v[4:5]
	ds_load_b128 v[2:5], v1 offset:1280
	ds_load_b128 v[58:61], v1 offset:1296
	scratch_load_b128 v[42:45], off, off offset:464
	v_fma_f64 v[40:41], v[40:41], v[6:7], v[62:63]
	v_fma_f64 v[38:39], v[38:39], v[6:7], -v[8:9]
	scratch_load_b128 v[6:9], off, off offset:480
	s_waitcnt vmcnt(10) lgkmcnt(1)
	v_mul_f64 v[165:166], v[2:3], v[12:13]
	v_mul_f64 v[12:13], v[4:5], v[12:13]
	v_add_f64 v[62:63], v[76:77], 0
	v_add_f64 v[76:77], v[80:81], 0
	s_waitcnt vmcnt(9) lgkmcnt(0)
	v_mul_f64 v[80:81], v[58:59], v[16:17]
	v_mul_f64 v[16:17], v[60:61], v[16:17]
	v_fma_f64 v[165:166], v[4:5], v[10:11], v[165:166]
	v_fma_f64 v[167:168], v[2:3], v[10:11], -v[12:13]
	ds_load_b128 v[2:5], v1 offset:1312
	scratch_load_b128 v[10:13], off, off offset:496
	v_add_f64 v[62:63], v[62:63], v[38:39]
	v_add_f64 v[76:77], v[76:77], v[40:41]
	ds_load_b128 v[38:41], v1 offset:1328
	v_fma_f64 v[60:61], v[60:61], v[14:15], v[80:81]
	v_fma_f64 v[58:59], v[58:59], v[14:15], -v[16:17]
	scratch_load_b128 v[14:17], off, off offset:512
	s_waitcnt vmcnt(10) lgkmcnt(1)
	v_mul_f64 v[169:170], v[2:3], v[20:21]
	v_mul_f64 v[20:21], v[4:5], v[20:21]
	s_waitcnt vmcnt(9) lgkmcnt(0)
	v_mul_f64 v[80:81], v[38:39], v[24:25]
	v_mul_f64 v[24:25], v[40:41], v[24:25]
	v_add_f64 v[62:63], v[62:63], v[167:168]
	v_add_f64 v[76:77], v[76:77], v[165:166]
	v_fma_f64 v[165:166], v[4:5], v[18:19], v[169:170]
	v_fma_f64 v[167:168], v[2:3], v[18:19], -v[20:21]
	ds_load_b128 v[2:5], v1 offset:1344
	scratch_load_b128 v[18:21], off, off offset:528
	v_fma_f64 v[40:41], v[40:41], v[22:23], v[80:81]
	v_fma_f64 v[38:39], v[38:39], v[22:23], -v[24:25]
	scratch_load_b128 v[22:25], off, off offset:544
	v_add_f64 v[62:63], v[62:63], v[58:59]
	v_add_f64 v[76:77], v[76:77], v[60:61]
	ds_load_b128 v[58:61], v1 offset:1360
	s_waitcnt vmcnt(10) lgkmcnt(1)
	v_mul_f64 v[169:170], v[2:3], v[28:29]
	v_mul_f64 v[28:29], v[4:5], v[28:29]
	s_waitcnt vmcnt(9) lgkmcnt(0)
	v_mul_f64 v[80:81], v[58:59], v[32:33]
	v_mul_f64 v[32:33], v[60:61], v[32:33]
	v_add_f64 v[62:63], v[62:63], v[167:168]
	v_add_f64 v[76:77], v[76:77], v[165:166]
	v_fma_f64 v[165:166], v[4:5], v[26:27], v[169:170]
	v_fma_f64 v[167:168], v[2:3], v[26:27], -v[28:29]
	ds_load_b128 v[2:5], v1 offset:1376
	scratch_load_b128 v[26:29], off, off offset:560
	v_fma_f64 v[60:61], v[60:61], v[30:31], v[80:81]
	v_fma_f64 v[58:59], v[58:59], v[30:31], -v[32:33]
	scratch_load_b128 v[30:33], off, off offset:576
	v_add_f64 v[62:63], v[62:63], v[38:39]
	v_add_f64 v[76:77], v[76:77], v[40:41]
	ds_load_b128 v[38:41], v1 offset:1392
	s_waitcnt vmcnt(10) lgkmcnt(1)
	v_mul_f64 v[169:170], v[2:3], v[36:37]
	v_mul_f64 v[36:37], v[4:5], v[36:37]
	s_waitcnt vmcnt(8) lgkmcnt(0)
	v_mul_f64 v[80:81], v[38:39], v[56:57]
	v_add_f64 v[62:63], v[62:63], v[167:168]
	v_add_f64 v[76:77], v[76:77], v[165:166]
	v_mul_f64 v[165:166], v[40:41], v[56:57]
	v_fma_f64 v[167:168], v[4:5], v[34:35], v[169:170]
	v_fma_f64 v[169:170], v[2:3], v[34:35], -v[36:37]
	ds_load_b128 v[2:5], v1 offset:1408
	scratch_load_b128 v[34:37], off, off offset:592
	v_fma_f64 v[80:81], v[40:41], v[54:55], v[80:81]
	v_add_f64 v[62:63], v[62:63], v[58:59]
	v_add_f64 v[60:61], v[76:77], v[60:61]
	ds_load_b128 v[56:59], v1 offset:1424
	v_fma_f64 v[54:55], v[38:39], v[54:55], -v[165:166]
	scratch_load_b128 v[38:41], off, off offset:608
	s_waitcnt vmcnt(9) lgkmcnt(1)
	v_mul_f64 v[76:77], v[2:3], v[44:45]
	v_mul_f64 v[44:45], v[4:5], v[44:45]
	s_waitcnt vmcnt(8) lgkmcnt(0)
	v_mul_f64 v[165:166], v[56:57], v[8:9]
	v_mul_f64 v[8:9], v[58:59], v[8:9]
	v_add_f64 v[62:63], v[62:63], v[169:170]
	v_add_f64 v[60:61], v[60:61], v[167:168]
	v_fma_f64 v[76:77], v[4:5], v[42:43], v[76:77]
	v_fma_f64 v[167:168], v[2:3], v[42:43], -v[44:45]
	ds_load_b128 v[2:5], v1 offset:1440
	scratch_load_b128 v[42:45], off, off offset:624
	v_fma_f64 v[58:59], v[58:59], v[6:7], v[165:166]
	v_fma_f64 v[56:57], v[56:57], v[6:7], -v[8:9]
	scratch_load_b128 v[6:9], off, off offset:640
	v_add_f64 v[54:55], v[62:63], v[54:55]
	v_add_f64 v[80:81], v[60:61], v[80:81]
	ds_load_b128 v[60:63], v1 offset:1456
	s_waitcnt vmcnt(9) lgkmcnt(1)
	v_mul_f64 v[169:170], v[2:3], v[12:13]
	v_mul_f64 v[12:13], v[4:5], v[12:13]
	v_add_f64 v[54:55], v[54:55], v[167:168]
	v_add_f64 v[76:77], v[80:81], v[76:77]
	s_waitcnt vmcnt(8) lgkmcnt(0)
	v_mul_f64 v[80:81], v[60:61], v[16:17]
	v_mul_f64 v[16:17], v[62:63], v[16:17]
	v_fma_f64 v[165:166], v[4:5], v[10:11], v[169:170]
	v_fma_f64 v[167:168], v[2:3], v[10:11], -v[12:13]
	ds_load_b128 v[2:5], v1 offset:1472
	scratch_load_b128 v[10:13], off, off offset:656
	v_add_f64 v[169:170], v[54:55], v[56:57]
	v_add_f64 v[58:59], v[76:77], v[58:59]
	ds_load_b128 v[54:57], v1 offset:1488
	s_waitcnt vmcnt(8) lgkmcnt(1)
	v_mul_f64 v[76:77], v[2:3], v[20:21]
	v_mul_f64 v[20:21], v[4:5], v[20:21]
	v_fma_f64 v[62:63], v[62:63], v[14:15], v[80:81]
	v_fma_f64 v[60:61], v[60:61], v[14:15], -v[16:17]
	scratch_load_b128 v[14:17], off, off offset:672
	v_add_f64 v[80:81], v[169:170], v[167:168]
	v_add_f64 v[58:59], v[58:59], v[165:166]
	s_waitcnt vmcnt(8) lgkmcnt(0)
	v_mul_f64 v[165:166], v[54:55], v[24:25]
	v_mul_f64 v[24:25], v[56:57], v[24:25]
	v_fma_f64 v[76:77], v[4:5], v[18:19], v[76:77]
	v_fma_f64 v[167:168], v[2:3], v[18:19], -v[20:21]
	ds_load_b128 v[2:5], v1 offset:1504
	scratch_load_b128 v[18:21], off, off offset:688
	v_add_f64 v[80:81], v[80:81], v[60:61]
	v_add_f64 v[62:63], v[58:59], v[62:63]
	ds_load_b128 v[58:61], v1 offset:1520
	s_waitcnt vmcnt(8) lgkmcnt(1)
	v_mul_f64 v[169:170], v[2:3], v[28:29]
	v_mul_f64 v[28:29], v[4:5], v[28:29]
	v_fma_f64 v[56:57], v[56:57], v[22:23], v[165:166]
	v_fma_f64 v[54:55], v[54:55], v[22:23], -v[24:25]
	scratch_load_b128 v[22:25], off, off offset:704
	;; [unrolled: 18-line block ×4, first 2 shown]
	s_waitcnt vmcnt(8) lgkmcnt(0)
	v_mul_f64 v[80:81], v[58:59], v[8:9]
	v_mul_f64 v[8:9], v[60:61], v[8:9]
	v_add_f64 v[76:77], v[76:77], v[167:168]
	v_add_f64 v[62:63], v[62:63], v[165:166]
	v_fma_f64 v[165:166], v[4:5], v[42:43], v[169:170]
	v_fma_f64 v[167:168], v[2:3], v[42:43], -v[44:45]
	ds_load_b128 v[2:5], v1 offset:1600
	scratch_load_b128 v[42:45], off, off offset:784
	v_fma_f64 v[60:61], v[60:61], v[6:7], v[80:81]
	v_fma_f64 v[58:59], v[58:59], v[6:7], -v[8:9]
	scratch_load_b128 v[6:9], off, off offset:800
	v_add_f64 v[76:77], v[76:77], v[54:55]
	v_add_f64 v[62:63], v[62:63], v[56:57]
	ds_load_b128 v[54:57], v1 offset:1616
	s_waitcnt vmcnt(9) lgkmcnt(1)
	v_mul_f64 v[169:170], v[2:3], v[12:13]
	v_mul_f64 v[12:13], v[4:5], v[12:13]
	s_waitcnt vmcnt(8) lgkmcnt(0)
	v_mul_f64 v[80:81], v[54:55], v[16:17]
	v_mul_f64 v[16:17], v[56:57], v[16:17]
	v_add_f64 v[76:77], v[76:77], v[167:168]
	v_add_f64 v[62:63], v[62:63], v[165:166]
	v_fma_f64 v[165:166], v[4:5], v[10:11], v[169:170]
	v_fma_f64 v[167:168], v[2:3], v[10:11], -v[12:13]
	ds_load_b128 v[2:5], v1 offset:1632
	scratch_load_b128 v[10:13], off, off offset:816
	v_fma_f64 v[56:57], v[56:57], v[14:15], v[80:81]
	v_fma_f64 v[54:55], v[54:55], v[14:15], -v[16:17]
	scratch_load_b128 v[14:17], off, off offset:832
	v_add_f64 v[76:77], v[76:77], v[58:59]
	v_add_f64 v[62:63], v[62:63], v[60:61]
	ds_load_b128 v[58:61], v1 offset:1648
	s_waitcnt vmcnt(9) lgkmcnt(1)
	v_mul_f64 v[169:170], v[2:3], v[20:21]
	v_mul_f64 v[20:21], v[4:5], v[20:21]
	;; [unrolled: 18-line block ×5, first 2 shown]
	s_waitcnt vmcnt(8) lgkmcnt(0)
	v_mul_f64 v[80:81], v[54:55], v[8:9]
	v_mul_f64 v[8:9], v[56:57], v[8:9]
	v_add_f64 v[76:77], v[76:77], v[167:168]
	v_add_f64 v[62:63], v[62:63], v[165:166]
	v_fma_f64 v[165:166], v[4:5], v[42:43], v[169:170]
	v_fma_f64 v[167:168], v[2:3], v[42:43], -v[44:45]
	ds_load_b128 v[2:5], v1 offset:1760
	ds_load_b128 v[42:45], v1 offset:1776
	v_fma_f64 v[56:57], v[56:57], v[6:7], v[80:81]
	v_fma_f64 v[6:7], v[54:55], v[6:7], -v[8:9]
	v_add_f64 v[58:59], v[76:77], v[58:59]
	v_add_f64 v[60:61], v[62:63], v[60:61]
	s_waitcnt vmcnt(7) lgkmcnt(1)
	v_mul_f64 v[62:63], v[2:3], v[12:13]
	v_mul_f64 v[12:13], v[4:5], v[12:13]
	s_delay_alu instid0(VALU_DEP_4) | instskip(NEXT) | instid1(VALU_DEP_4)
	v_add_f64 v[8:9], v[58:59], v[167:168]
	v_add_f64 v[54:55], v[60:61], v[165:166]
	s_waitcnt vmcnt(6) lgkmcnt(0)
	v_mul_f64 v[58:59], v[42:43], v[16:17]
	v_mul_f64 v[16:17], v[44:45], v[16:17]
	v_fma_f64 v[60:61], v[4:5], v[10:11], v[62:63]
	v_fma_f64 v[10:11], v[2:3], v[10:11], -v[12:13]
	v_add_f64 v[12:13], v[8:9], v[6:7]
	v_add_f64 v[54:55], v[54:55], v[56:57]
	ds_load_b128 v[2:5], v1 offset:1792
	ds_load_b128 v[6:9], v1 offset:1808
	v_fma_f64 v[44:45], v[44:45], v[14:15], v[58:59]
	v_fma_f64 v[14:15], v[42:43], v[14:15], -v[16:17]
	s_waitcnt vmcnt(5) lgkmcnt(1)
	v_mul_f64 v[56:57], v[2:3], v[20:21]
	v_mul_f64 v[20:21], v[4:5], v[20:21]
	s_waitcnt vmcnt(4) lgkmcnt(0)
	v_mul_f64 v[16:17], v[6:7], v[24:25]
	v_mul_f64 v[24:25], v[8:9], v[24:25]
	v_add_f64 v[10:11], v[12:13], v[10:11]
	v_add_f64 v[12:13], v[54:55], v[60:61]
	v_fma_f64 v[42:43], v[4:5], v[18:19], v[56:57]
	v_fma_f64 v[18:19], v[2:3], v[18:19], -v[20:21]
	v_fma_f64 v[8:9], v[8:9], v[22:23], v[16:17]
	v_fma_f64 v[6:7], v[6:7], v[22:23], -v[24:25]
	v_add_f64 v[14:15], v[10:11], v[14:15]
	v_add_f64 v[20:21], v[12:13], v[44:45]
	ds_load_b128 v[2:5], v1 offset:1824
	ds_load_b128 v[10:13], v1 offset:1840
	s_waitcnt vmcnt(3) lgkmcnt(1)
	v_mul_f64 v[44:45], v[2:3], v[28:29]
	v_mul_f64 v[28:29], v[4:5], v[28:29]
	v_add_f64 v[14:15], v[14:15], v[18:19]
	v_add_f64 v[16:17], v[20:21], v[42:43]
	s_waitcnt vmcnt(2) lgkmcnt(0)
	v_mul_f64 v[18:19], v[10:11], v[32:33]
	v_mul_f64 v[20:21], v[12:13], v[32:33]
	v_fma_f64 v[22:23], v[4:5], v[26:27], v[44:45]
	v_fma_f64 v[24:25], v[2:3], v[26:27], -v[28:29]
	v_add_f64 v[14:15], v[14:15], v[6:7]
	v_add_f64 v[16:17], v[16:17], v[8:9]
	ds_load_b128 v[2:5], v1 offset:1856
	ds_load_b128 v[6:9], v1 offset:1872
	v_fma_f64 v[12:13], v[12:13], v[30:31], v[18:19]
	v_fma_f64 v[10:11], v[10:11], v[30:31], -v[20:21]
	s_waitcnt vmcnt(1) lgkmcnt(1)
	v_mul_f64 v[26:27], v[2:3], v[36:37]
	v_mul_f64 v[28:29], v[4:5], v[36:37]
	s_waitcnt vmcnt(0) lgkmcnt(0)
	v_mul_f64 v[18:19], v[6:7], v[40:41]
	v_mul_f64 v[20:21], v[8:9], v[40:41]
	v_add_f64 v[14:15], v[14:15], v[24:25]
	v_add_f64 v[16:17], v[16:17], v[22:23]
	v_fma_f64 v[4:5], v[4:5], v[34:35], v[26:27]
	v_fma_f64 v[1:2], v[2:3], v[34:35], -v[28:29]
	v_fma_f64 v[8:9], v[8:9], v[38:39], v[18:19]
	v_fma_f64 v[6:7], v[6:7], v[38:39], -v[20:21]
	v_add_f64 v[10:11], v[14:15], v[10:11]
	v_add_f64 v[12:13], v[16:17], v[12:13]
	s_delay_alu instid0(VALU_DEP_2) | instskip(NEXT) | instid1(VALU_DEP_2)
	v_add_f64 v[1:2], v[10:11], v[1:2]
	v_add_f64 v[3:4], v[12:13], v[4:5]
	s_delay_alu instid0(VALU_DEP_2) | instskip(NEXT) | instid1(VALU_DEP_2)
	;; [unrolled: 3-line block ×3, first 2 shown]
	v_add_f64 v[1:2], v[50:51], -v[1:2]
	v_add_f64 v[3:4], v[52:53], -v[3:4]
	scratch_store_b128 off, v[1:4], off offset:288
	v_cmpx_lt_u32_e32 17, v164
	s_cbranch_execz .LBB58_333
; %bb.332:
	scratch_load_b32 v1, off, off offset:1000 ; 4-byte Folded Reload
	v_mov_b32_e32 v5, 0
	s_delay_alu instid0(VALU_DEP_1)
	v_mov_b32_e32 v6, v5
	v_mov_b32_e32 v7, v5
	;; [unrolled: 1-line block ×3, first 2 shown]
	s_waitcnt vmcnt(0)
	scratch_load_b128 v[1:4], v1, off
	scratch_store_b128 off, v[5:8], off offset:272
	s_waitcnt vmcnt(0)
	ds_store_b128 v223, v[1:4]
.LBB58_333:
	s_or_b32 exec_lo, exec_lo, s2
	s_waitcnt lgkmcnt(0)
	s_waitcnt_vscnt null, 0x0
	s_barrier
	buffer_gl0_inv
	s_clause 0x7
	scratch_load_b128 v[2:5], off, off offset:288
	scratch_load_b128 v[6:9], off, off offset:304
	scratch_load_b128 v[10:13], off, off offset:320
	scratch_load_b128 v[14:17], off, off offset:336
	scratch_load_b128 v[18:21], off, off offset:352
	scratch_load_b128 v[22:25], off, off offset:368
	scratch_load_b128 v[26:29], off, off offset:384
	scratch_load_b128 v[30:33], off, off offset:400
	v_mov_b32_e32 v1, 0
	s_mov_b32 s2, exec_lo
	ds_load_b128 v[38:41], v1 offset:1232
	s_clause 0x1
	scratch_load_b128 v[34:37], off, off offset:416
	scratch_load_b128 v[42:45], off, off offset:272
	ds_load_b128 v[50:53], v1 offset:1248
	scratch_load_b128 v[54:57], off, off offset:432
	s_waitcnt vmcnt(10) lgkmcnt(1)
	v_mul_f64 v[58:59], v[40:41], v[4:5]
	v_mul_f64 v[4:5], v[38:39], v[4:5]
	s_delay_alu instid0(VALU_DEP_2) | instskip(NEXT) | instid1(VALU_DEP_2)
	v_fma_f64 v[76:77], v[38:39], v[2:3], -v[58:59]
	v_fma_f64 v[80:81], v[40:41], v[2:3], v[4:5]
	scratch_load_b128 v[38:41], off, off offset:448
	ds_load_b128 v[2:5], v1 offset:1264
	s_waitcnt vmcnt(10) lgkmcnt(1)
	v_mul_f64 v[62:63], v[50:51], v[8:9]
	v_mul_f64 v[8:9], v[52:53], v[8:9]
	ds_load_b128 v[58:61], v1 offset:1280
	s_waitcnt vmcnt(9) lgkmcnt(1)
	v_mul_f64 v[165:166], v[2:3], v[12:13]
	v_mul_f64 v[12:13], v[4:5], v[12:13]
	v_fma_f64 v[52:53], v[52:53], v[6:7], v[62:63]
	v_fma_f64 v[50:51], v[50:51], v[6:7], -v[8:9]
	v_add_f64 v[62:63], v[76:77], 0
	v_add_f64 v[76:77], v[80:81], 0
	scratch_load_b128 v[6:9], off, off offset:464
	v_fma_f64 v[165:166], v[4:5], v[10:11], v[165:166]
	v_fma_f64 v[167:168], v[2:3], v[10:11], -v[12:13]
	scratch_load_b128 v[10:13], off, off offset:480
	ds_load_b128 v[2:5], v1 offset:1296
	s_waitcnt vmcnt(10) lgkmcnt(1)
	v_mul_f64 v[80:81], v[58:59], v[16:17]
	v_mul_f64 v[16:17], v[60:61], v[16:17]
	v_add_f64 v[62:63], v[62:63], v[50:51]
	v_add_f64 v[76:77], v[76:77], v[52:53]
	s_waitcnt vmcnt(9) lgkmcnt(0)
	v_mul_f64 v[169:170], v[2:3], v[20:21]
	v_mul_f64 v[20:21], v[4:5], v[20:21]
	ds_load_b128 v[50:53], v1 offset:1312
	v_fma_f64 v[60:61], v[60:61], v[14:15], v[80:81]
	v_fma_f64 v[58:59], v[58:59], v[14:15], -v[16:17]
	scratch_load_b128 v[14:17], off, off offset:496
	v_add_f64 v[62:63], v[62:63], v[167:168]
	v_add_f64 v[76:77], v[76:77], v[165:166]
	v_fma_f64 v[165:166], v[4:5], v[18:19], v[169:170]
	v_fma_f64 v[167:168], v[2:3], v[18:19], -v[20:21]
	scratch_load_b128 v[18:21], off, off offset:512
	ds_load_b128 v[2:5], v1 offset:1328
	s_waitcnt vmcnt(10) lgkmcnt(1)
	v_mul_f64 v[80:81], v[50:51], v[24:25]
	v_mul_f64 v[24:25], v[52:53], v[24:25]
	s_waitcnt vmcnt(9) lgkmcnt(0)
	v_mul_f64 v[169:170], v[2:3], v[28:29]
	v_mul_f64 v[28:29], v[4:5], v[28:29]
	v_add_f64 v[62:63], v[62:63], v[58:59]
	v_add_f64 v[76:77], v[76:77], v[60:61]
	ds_load_b128 v[58:61], v1 offset:1344
	v_fma_f64 v[52:53], v[52:53], v[22:23], v[80:81]
	v_fma_f64 v[50:51], v[50:51], v[22:23], -v[24:25]
	scratch_load_b128 v[22:25], off, off offset:528
	v_add_f64 v[62:63], v[62:63], v[167:168]
	v_add_f64 v[76:77], v[76:77], v[165:166]
	v_fma_f64 v[165:166], v[4:5], v[26:27], v[169:170]
	v_fma_f64 v[167:168], v[2:3], v[26:27], -v[28:29]
	scratch_load_b128 v[26:29], off, off offset:544
	ds_load_b128 v[2:5], v1 offset:1360
	s_waitcnt vmcnt(10) lgkmcnt(1)
	v_mul_f64 v[80:81], v[58:59], v[32:33]
	v_mul_f64 v[32:33], v[60:61], v[32:33]
	s_waitcnt vmcnt(9) lgkmcnt(0)
	v_mul_f64 v[169:170], v[2:3], v[36:37]
	v_mul_f64 v[36:37], v[4:5], v[36:37]
	v_add_f64 v[62:63], v[62:63], v[50:51]
	v_add_f64 v[76:77], v[76:77], v[52:53]
	ds_load_b128 v[50:53], v1 offset:1376
	v_fma_f64 v[60:61], v[60:61], v[30:31], v[80:81]
	v_fma_f64 v[58:59], v[58:59], v[30:31], -v[32:33]
	scratch_load_b128 v[30:33], off, off offset:560
	v_add_f64 v[62:63], v[62:63], v[167:168]
	v_add_f64 v[76:77], v[76:77], v[165:166]
	v_fma_f64 v[167:168], v[4:5], v[34:35], v[169:170]
	v_fma_f64 v[169:170], v[2:3], v[34:35], -v[36:37]
	scratch_load_b128 v[34:37], off, off offset:576
	ds_load_b128 v[2:5], v1 offset:1392
	s_waitcnt vmcnt(9) lgkmcnt(1)
	v_mul_f64 v[80:81], v[50:51], v[56:57]
	v_mul_f64 v[165:166], v[52:53], v[56:57]
	v_add_f64 v[62:63], v[62:63], v[58:59]
	v_add_f64 v[60:61], v[76:77], v[60:61]
	ds_load_b128 v[56:59], v1 offset:1408
	v_fma_f64 v[80:81], v[52:53], v[54:55], v[80:81]
	v_fma_f64 v[54:55], v[50:51], v[54:55], -v[165:166]
	scratch_load_b128 v[50:53], off, off offset:592
	s_waitcnt vmcnt(9) lgkmcnt(1)
	v_mul_f64 v[76:77], v[2:3], v[40:41]
	v_mul_f64 v[40:41], v[4:5], v[40:41]
	v_add_f64 v[62:63], v[62:63], v[169:170]
	v_add_f64 v[60:61], v[60:61], v[167:168]
	s_delay_alu instid0(VALU_DEP_4) | instskip(NEXT) | instid1(VALU_DEP_4)
	v_fma_f64 v[76:77], v[4:5], v[38:39], v[76:77]
	v_fma_f64 v[167:168], v[2:3], v[38:39], -v[40:41]
	scratch_load_b128 v[38:41], off, off offset:608
	ds_load_b128 v[2:5], v1 offset:1424
	s_waitcnt vmcnt(9) lgkmcnt(1)
	v_mul_f64 v[165:166], v[56:57], v[8:9]
	v_mul_f64 v[8:9], v[58:59], v[8:9]
	s_waitcnt vmcnt(8) lgkmcnt(0)
	v_mul_f64 v[169:170], v[2:3], v[12:13]
	v_mul_f64 v[12:13], v[4:5], v[12:13]
	v_add_f64 v[54:55], v[62:63], v[54:55]
	v_add_f64 v[80:81], v[60:61], v[80:81]
	ds_load_b128 v[60:63], v1 offset:1440
	v_fma_f64 v[58:59], v[58:59], v[6:7], v[165:166]
	v_fma_f64 v[56:57], v[56:57], v[6:7], -v[8:9]
	scratch_load_b128 v[6:9], off, off offset:624
	v_fma_f64 v[165:166], v[4:5], v[10:11], v[169:170]
	v_add_f64 v[54:55], v[54:55], v[167:168]
	v_add_f64 v[76:77], v[80:81], v[76:77]
	v_fma_f64 v[167:168], v[2:3], v[10:11], -v[12:13]
	scratch_load_b128 v[10:13], off, off offset:640
	ds_load_b128 v[2:5], v1 offset:1456
	s_waitcnt vmcnt(9) lgkmcnt(1)
	v_mul_f64 v[80:81], v[60:61], v[16:17]
	v_mul_f64 v[16:17], v[62:63], v[16:17]
	v_add_f64 v[169:170], v[54:55], v[56:57]
	v_add_f64 v[58:59], v[76:77], v[58:59]
	s_waitcnt vmcnt(8) lgkmcnt(0)
	v_mul_f64 v[76:77], v[2:3], v[20:21]
	v_mul_f64 v[20:21], v[4:5], v[20:21]
	ds_load_b128 v[54:57], v1 offset:1472
	v_fma_f64 v[62:63], v[62:63], v[14:15], v[80:81]
	v_fma_f64 v[60:61], v[60:61], v[14:15], -v[16:17]
	scratch_load_b128 v[14:17], off, off offset:656
	v_add_f64 v[80:81], v[169:170], v[167:168]
	v_add_f64 v[58:59], v[58:59], v[165:166]
	v_fma_f64 v[76:77], v[4:5], v[18:19], v[76:77]
	v_fma_f64 v[167:168], v[2:3], v[18:19], -v[20:21]
	scratch_load_b128 v[18:21], off, off offset:672
	ds_load_b128 v[2:5], v1 offset:1488
	s_waitcnt vmcnt(9) lgkmcnt(1)
	v_mul_f64 v[165:166], v[54:55], v[24:25]
	v_mul_f64 v[24:25], v[56:57], v[24:25]
	s_waitcnt vmcnt(8) lgkmcnt(0)
	v_mul_f64 v[169:170], v[2:3], v[28:29]
	v_mul_f64 v[28:29], v[4:5], v[28:29]
	v_add_f64 v[80:81], v[80:81], v[60:61]
	v_add_f64 v[62:63], v[58:59], v[62:63]
	ds_load_b128 v[58:61], v1 offset:1504
	v_fma_f64 v[56:57], v[56:57], v[22:23], v[165:166]
	v_fma_f64 v[54:55], v[54:55], v[22:23], -v[24:25]
	scratch_load_b128 v[22:25], off, off offset:688
	v_fma_f64 v[165:166], v[4:5], v[26:27], v[169:170]
	v_add_f64 v[80:81], v[80:81], v[167:168]
	v_add_f64 v[62:63], v[62:63], v[76:77]
	v_fma_f64 v[167:168], v[2:3], v[26:27], -v[28:29]
	scratch_load_b128 v[26:29], off, off offset:704
	ds_load_b128 v[2:5], v1 offset:1520
	s_waitcnt vmcnt(9) lgkmcnt(1)
	v_mul_f64 v[76:77], v[58:59], v[32:33]
	v_mul_f64 v[32:33], v[60:61], v[32:33]
	s_waitcnt vmcnt(8) lgkmcnt(0)
	v_mul_f64 v[169:170], v[2:3], v[36:37]
	v_mul_f64 v[36:37], v[4:5], v[36:37]
	v_add_f64 v[80:81], v[80:81], v[54:55]
	v_add_f64 v[62:63], v[62:63], v[56:57]
	ds_load_b128 v[54:57], v1 offset:1536
	v_fma_f64 v[60:61], v[60:61], v[30:31], v[76:77]
	v_fma_f64 v[58:59], v[58:59], v[30:31], -v[32:33]
	scratch_load_b128 v[30:33], off, off offset:720
	v_add_f64 v[76:77], v[80:81], v[167:168]
	v_add_f64 v[62:63], v[62:63], v[165:166]
	v_fma_f64 v[165:166], v[4:5], v[34:35], v[169:170]
	v_fma_f64 v[167:168], v[2:3], v[34:35], -v[36:37]
	scratch_load_b128 v[34:37], off, off offset:736
	ds_load_b128 v[2:5], v1 offset:1552
	s_waitcnt vmcnt(9) lgkmcnt(1)
	v_mul_f64 v[80:81], v[54:55], v[52:53]
	v_mul_f64 v[52:53], v[56:57], v[52:53]
	s_waitcnt vmcnt(8) lgkmcnt(0)
	v_mul_f64 v[169:170], v[2:3], v[40:41]
	v_mul_f64 v[40:41], v[4:5], v[40:41]
	v_add_f64 v[76:77], v[76:77], v[58:59]
	v_add_f64 v[62:63], v[62:63], v[60:61]
	ds_load_b128 v[58:61], v1 offset:1568
	v_fma_f64 v[56:57], v[56:57], v[50:51], v[80:81]
	v_fma_f64 v[54:55], v[54:55], v[50:51], -v[52:53]
	scratch_load_b128 v[50:53], off, off offset:752
	v_add_f64 v[76:77], v[76:77], v[167:168]
	v_add_f64 v[62:63], v[62:63], v[165:166]
	v_fma_f64 v[165:166], v[4:5], v[38:39], v[169:170]
	;; [unrolled: 18-line block ×6, first 2 shown]
	v_fma_f64 v[169:170], v[2:3], v[34:35], -v[36:37]
	scratch_load_b128 v[34:37], off, off offset:896
	ds_load_b128 v[2:5], v1 offset:1712
	s_waitcnt vmcnt(9) lgkmcnt(1)
	v_mul_f64 v[80:81], v[58:59], v[52:53]
	v_mul_f64 v[165:166], v[60:61], v[52:53]
	v_add_f64 v[76:77], v[76:77], v[54:55]
	v_add_f64 v[56:57], v[62:63], v[56:57]
	s_waitcnt vmcnt(8) lgkmcnt(0)
	v_mul_f64 v[62:63], v[2:3], v[40:41]
	v_mul_f64 v[40:41], v[4:5], v[40:41]
	ds_load_b128 v[52:55], v1 offset:1728
	v_fma_f64 v[60:61], v[60:61], v[50:51], v[80:81]
	v_fma_f64 v[50:51], v[58:59], v[50:51], -v[165:166]
	v_add_f64 v[76:77], v[76:77], v[169:170]
	v_add_f64 v[80:81], v[56:57], v[167:168]
	scratch_load_b128 v[56:59], off, off offset:912
	v_fma_f64 v[167:168], v[4:5], v[38:39], v[62:63]
	v_fma_f64 v[169:170], v[2:3], v[38:39], -v[40:41]
	scratch_load_b128 v[38:41], off, off offset:928
	ds_load_b128 v[2:5], v1 offset:1744
	s_waitcnt vmcnt(9) lgkmcnt(1)
	v_mul_f64 v[165:166], v[52:53], v[8:9]
	v_mul_f64 v[8:9], v[54:55], v[8:9]
	v_add_f64 v[50:51], v[76:77], v[50:51]
	v_add_f64 v[76:77], v[80:81], v[60:61]
	s_waitcnt vmcnt(8) lgkmcnt(0)
	v_mul_f64 v[80:81], v[2:3], v[12:13]
	v_mul_f64 v[12:13], v[4:5], v[12:13]
	ds_load_b128 v[60:63], v1 offset:1760
	v_fma_f64 v[54:55], v[54:55], v[6:7], v[165:166]
	v_fma_f64 v[6:7], v[52:53], v[6:7], -v[8:9]
	s_waitcnt vmcnt(7) lgkmcnt(0)
	v_mul_f64 v[52:53], v[60:61], v[16:17]
	v_mul_f64 v[16:17], v[62:63], v[16:17]
	v_add_f64 v[8:9], v[50:51], v[169:170]
	v_add_f64 v[50:51], v[76:77], v[167:168]
	v_fma_f64 v[76:77], v[4:5], v[10:11], v[80:81]
	v_fma_f64 v[10:11], v[2:3], v[10:11], -v[12:13]
	v_fma_f64 v[52:53], v[62:63], v[14:15], v[52:53]
	v_fma_f64 v[14:15], v[60:61], v[14:15], -v[16:17]
	v_add_f64 v[12:13], v[8:9], v[6:7]
	v_add_f64 v[50:51], v[50:51], v[54:55]
	ds_load_b128 v[2:5], v1 offset:1776
	ds_load_b128 v[6:9], v1 offset:1792
	s_waitcnt vmcnt(6) lgkmcnt(1)
	v_mul_f64 v[54:55], v[2:3], v[20:21]
	v_mul_f64 v[20:21], v[4:5], v[20:21]
	s_waitcnt vmcnt(5) lgkmcnt(0)
	v_mul_f64 v[16:17], v[6:7], v[24:25]
	v_mul_f64 v[24:25], v[8:9], v[24:25]
	v_add_f64 v[10:11], v[12:13], v[10:11]
	v_add_f64 v[12:13], v[50:51], v[76:77]
	v_fma_f64 v[50:51], v[4:5], v[18:19], v[54:55]
	v_fma_f64 v[18:19], v[2:3], v[18:19], -v[20:21]
	v_fma_f64 v[8:9], v[8:9], v[22:23], v[16:17]
	v_fma_f64 v[6:7], v[6:7], v[22:23], -v[24:25]
	v_add_f64 v[14:15], v[10:11], v[14:15]
	v_add_f64 v[20:21], v[12:13], v[52:53]
	ds_load_b128 v[2:5], v1 offset:1808
	ds_load_b128 v[10:13], v1 offset:1824
	s_waitcnt vmcnt(4) lgkmcnt(1)
	v_mul_f64 v[52:53], v[2:3], v[28:29]
	v_mul_f64 v[28:29], v[4:5], v[28:29]
	v_add_f64 v[14:15], v[14:15], v[18:19]
	v_add_f64 v[16:17], v[20:21], v[50:51]
	s_waitcnt vmcnt(3) lgkmcnt(0)
	v_mul_f64 v[18:19], v[10:11], v[32:33]
	v_mul_f64 v[20:21], v[12:13], v[32:33]
	v_fma_f64 v[22:23], v[4:5], v[26:27], v[52:53]
	v_fma_f64 v[24:25], v[2:3], v[26:27], -v[28:29]
	v_add_f64 v[14:15], v[14:15], v[6:7]
	v_add_f64 v[16:17], v[16:17], v[8:9]
	ds_load_b128 v[2:5], v1 offset:1840
	ds_load_b128 v[6:9], v1 offset:1856
	v_fma_f64 v[12:13], v[12:13], v[30:31], v[18:19]
	v_fma_f64 v[10:11], v[10:11], v[30:31], -v[20:21]
	s_waitcnt vmcnt(2) lgkmcnt(1)
	v_mul_f64 v[26:27], v[2:3], v[36:37]
	v_mul_f64 v[28:29], v[4:5], v[36:37]
	v_add_f64 v[14:15], v[14:15], v[24:25]
	v_add_f64 v[16:17], v[16:17], v[22:23]
	s_waitcnt vmcnt(1) lgkmcnt(0)
	v_mul_f64 v[18:19], v[6:7], v[58:59]
	v_mul_f64 v[20:21], v[8:9], v[58:59]
	v_fma_f64 v[22:23], v[4:5], v[34:35], v[26:27]
	v_fma_f64 v[24:25], v[2:3], v[34:35], -v[28:29]
	ds_load_b128 v[2:5], v1 offset:1872
	v_add_f64 v[10:11], v[14:15], v[10:11]
	v_add_f64 v[12:13], v[16:17], v[12:13]
	s_waitcnt vmcnt(0) lgkmcnt(0)
	v_mul_f64 v[14:15], v[2:3], v[40:41]
	v_mul_f64 v[16:17], v[4:5], v[40:41]
	v_fma_f64 v[8:9], v[8:9], v[56:57], v[18:19]
	v_fma_f64 v[6:7], v[6:7], v[56:57], -v[20:21]
	v_add_f64 v[10:11], v[10:11], v[24:25]
	v_add_f64 v[12:13], v[12:13], v[22:23]
	v_fma_f64 v[4:5], v[4:5], v[38:39], v[14:15]
	v_fma_f64 v[2:3], v[2:3], v[38:39], -v[16:17]
	s_delay_alu instid0(VALU_DEP_4) | instskip(NEXT) | instid1(VALU_DEP_4)
	v_add_f64 v[6:7], v[10:11], v[6:7]
	v_add_f64 v[8:9], v[12:13], v[8:9]
	s_delay_alu instid0(VALU_DEP_2) | instskip(NEXT) | instid1(VALU_DEP_2)
	v_add_f64 v[2:3], v[6:7], v[2:3]
	v_add_f64 v[4:5], v[8:9], v[4:5]
	s_delay_alu instid0(VALU_DEP_2) | instskip(NEXT) | instid1(VALU_DEP_2)
	v_add_f64 v[2:3], v[42:43], -v[2:3]
	v_add_f64 v[4:5], v[44:45], -v[4:5]
	scratch_store_b128 off, v[2:5], off offset:272
	v_cmpx_lt_u32_e32 16, v164
	s_cbranch_execz .LBB58_335
; %bb.334:
	scratch_load_b32 v2, off, off offset:1004 ; 4-byte Folded Reload
	v_mov_b32_e32 v3, v1
	v_mov_b32_e32 v4, v1
	s_waitcnt vmcnt(0)
	scratch_load_b128 v[5:8], v2, off
	v_mov_b32_e32 v2, v1
	scratch_store_b128 off, v[1:4], off offset:256
	s_waitcnt vmcnt(0)
	ds_store_b128 v223, v[5:8]
.LBB58_335:
	s_or_b32 exec_lo, exec_lo, s2
	s_waitcnt lgkmcnt(0)
	s_waitcnt_vscnt null, 0x0
	s_barrier
	buffer_gl0_inv
	s_clause 0x8
	scratch_load_b128 v[2:5], off, off offset:272
	scratch_load_b128 v[6:9], off, off offset:288
	;; [unrolled: 1-line block ×9, first 2 shown]
	ds_load_b128 v[42:45], v1 offset:1216
	ds_load_b128 v[38:41], v1 offset:1232
	s_clause 0x1
	scratch_load_b128 v[50:53], off, off offset:256
	scratch_load_b128 v[54:57], off, off offset:416
	s_mov_b32 s2, exec_lo
	s_waitcnt vmcnt(10) lgkmcnt(1)
	v_mul_f64 v[58:59], v[44:45], v[4:5]
	v_mul_f64 v[4:5], v[42:43], v[4:5]
	s_waitcnt vmcnt(9) lgkmcnt(0)
	v_mul_f64 v[62:63], v[38:39], v[8:9]
	v_mul_f64 v[8:9], v[40:41], v[8:9]
	s_delay_alu instid0(VALU_DEP_4) | instskip(NEXT) | instid1(VALU_DEP_4)
	v_fma_f64 v[76:77], v[42:43], v[2:3], -v[58:59]
	v_fma_f64 v[80:81], v[44:45], v[2:3], v[4:5]
	ds_load_b128 v[2:5], v1 offset:1248
	ds_load_b128 v[58:61], v1 offset:1264
	scratch_load_b128 v[42:45], off, off offset:432
	v_fma_f64 v[40:41], v[40:41], v[6:7], v[62:63]
	v_fma_f64 v[38:39], v[38:39], v[6:7], -v[8:9]
	scratch_load_b128 v[6:9], off, off offset:448
	s_waitcnt vmcnt(10) lgkmcnt(1)
	v_mul_f64 v[165:166], v[2:3], v[12:13]
	v_mul_f64 v[12:13], v[4:5], v[12:13]
	v_add_f64 v[62:63], v[76:77], 0
	v_add_f64 v[76:77], v[80:81], 0
	s_waitcnt vmcnt(9) lgkmcnt(0)
	v_mul_f64 v[80:81], v[58:59], v[16:17]
	v_mul_f64 v[16:17], v[60:61], v[16:17]
	v_fma_f64 v[165:166], v[4:5], v[10:11], v[165:166]
	v_fma_f64 v[167:168], v[2:3], v[10:11], -v[12:13]
	ds_load_b128 v[2:5], v1 offset:1280
	scratch_load_b128 v[10:13], off, off offset:464
	v_add_f64 v[62:63], v[62:63], v[38:39]
	v_add_f64 v[76:77], v[76:77], v[40:41]
	ds_load_b128 v[38:41], v1 offset:1296
	v_fma_f64 v[60:61], v[60:61], v[14:15], v[80:81]
	v_fma_f64 v[58:59], v[58:59], v[14:15], -v[16:17]
	scratch_load_b128 v[14:17], off, off offset:480
	s_waitcnt vmcnt(10) lgkmcnt(1)
	v_mul_f64 v[169:170], v[2:3], v[20:21]
	v_mul_f64 v[20:21], v[4:5], v[20:21]
	s_waitcnt vmcnt(9) lgkmcnt(0)
	v_mul_f64 v[80:81], v[38:39], v[24:25]
	v_mul_f64 v[24:25], v[40:41], v[24:25]
	v_add_f64 v[62:63], v[62:63], v[167:168]
	v_add_f64 v[76:77], v[76:77], v[165:166]
	v_fma_f64 v[165:166], v[4:5], v[18:19], v[169:170]
	v_fma_f64 v[167:168], v[2:3], v[18:19], -v[20:21]
	ds_load_b128 v[2:5], v1 offset:1312
	scratch_load_b128 v[18:21], off, off offset:496
	v_fma_f64 v[40:41], v[40:41], v[22:23], v[80:81]
	v_fma_f64 v[38:39], v[38:39], v[22:23], -v[24:25]
	scratch_load_b128 v[22:25], off, off offset:512
	v_add_f64 v[62:63], v[62:63], v[58:59]
	v_add_f64 v[76:77], v[76:77], v[60:61]
	ds_load_b128 v[58:61], v1 offset:1328
	s_waitcnt vmcnt(10) lgkmcnt(1)
	v_mul_f64 v[169:170], v[2:3], v[28:29]
	v_mul_f64 v[28:29], v[4:5], v[28:29]
	s_waitcnt vmcnt(9) lgkmcnt(0)
	v_mul_f64 v[80:81], v[58:59], v[32:33]
	v_mul_f64 v[32:33], v[60:61], v[32:33]
	v_add_f64 v[62:63], v[62:63], v[167:168]
	v_add_f64 v[76:77], v[76:77], v[165:166]
	v_fma_f64 v[165:166], v[4:5], v[26:27], v[169:170]
	v_fma_f64 v[167:168], v[2:3], v[26:27], -v[28:29]
	ds_load_b128 v[2:5], v1 offset:1344
	scratch_load_b128 v[26:29], off, off offset:528
	v_fma_f64 v[60:61], v[60:61], v[30:31], v[80:81]
	v_fma_f64 v[58:59], v[58:59], v[30:31], -v[32:33]
	scratch_load_b128 v[30:33], off, off offset:544
	v_add_f64 v[62:63], v[62:63], v[38:39]
	v_add_f64 v[76:77], v[76:77], v[40:41]
	ds_load_b128 v[38:41], v1 offset:1360
	s_waitcnt vmcnt(10) lgkmcnt(1)
	v_mul_f64 v[169:170], v[2:3], v[36:37]
	v_mul_f64 v[36:37], v[4:5], v[36:37]
	s_waitcnt vmcnt(8) lgkmcnt(0)
	v_mul_f64 v[80:81], v[38:39], v[56:57]
	v_add_f64 v[62:63], v[62:63], v[167:168]
	v_add_f64 v[76:77], v[76:77], v[165:166]
	v_mul_f64 v[165:166], v[40:41], v[56:57]
	v_fma_f64 v[167:168], v[4:5], v[34:35], v[169:170]
	v_fma_f64 v[169:170], v[2:3], v[34:35], -v[36:37]
	ds_load_b128 v[2:5], v1 offset:1376
	scratch_load_b128 v[34:37], off, off offset:560
	v_fma_f64 v[80:81], v[40:41], v[54:55], v[80:81]
	v_add_f64 v[62:63], v[62:63], v[58:59]
	v_add_f64 v[60:61], v[76:77], v[60:61]
	ds_load_b128 v[56:59], v1 offset:1392
	v_fma_f64 v[54:55], v[38:39], v[54:55], -v[165:166]
	scratch_load_b128 v[38:41], off, off offset:576
	s_waitcnt vmcnt(9) lgkmcnt(1)
	v_mul_f64 v[76:77], v[2:3], v[44:45]
	v_mul_f64 v[44:45], v[4:5], v[44:45]
	s_waitcnt vmcnt(8) lgkmcnt(0)
	v_mul_f64 v[165:166], v[56:57], v[8:9]
	v_mul_f64 v[8:9], v[58:59], v[8:9]
	v_add_f64 v[62:63], v[62:63], v[169:170]
	v_add_f64 v[60:61], v[60:61], v[167:168]
	v_fma_f64 v[76:77], v[4:5], v[42:43], v[76:77]
	v_fma_f64 v[167:168], v[2:3], v[42:43], -v[44:45]
	ds_load_b128 v[2:5], v1 offset:1408
	scratch_load_b128 v[42:45], off, off offset:592
	v_fma_f64 v[58:59], v[58:59], v[6:7], v[165:166]
	v_fma_f64 v[56:57], v[56:57], v[6:7], -v[8:9]
	scratch_load_b128 v[6:9], off, off offset:608
	v_add_f64 v[54:55], v[62:63], v[54:55]
	v_add_f64 v[80:81], v[60:61], v[80:81]
	ds_load_b128 v[60:63], v1 offset:1424
	s_waitcnt vmcnt(9) lgkmcnt(1)
	v_mul_f64 v[169:170], v[2:3], v[12:13]
	v_mul_f64 v[12:13], v[4:5], v[12:13]
	v_add_f64 v[54:55], v[54:55], v[167:168]
	v_add_f64 v[76:77], v[80:81], v[76:77]
	s_waitcnt vmcnt(8) lgkmcnt(0)
	v_mul_f64 v[80:81], v[60:61], v[16:17]
	v_mul_f64 v[16:17], v[62:63], v[16:17]
	v_fma_f64 v[165:166], v[4:5], v[10:11], v[169:170]
	v_fma_f64 v[167:168], v[2:3], v[10:11], -v[12:13]
	ds_load_b128 v[2:5], v1 offset:1440
	scratch_load_b128 v[10:13], off, off offset:624
	v_add_f64 v[169:170], v[54:55], v[56:57]
	v_add_f64 v[58:59], v[76:77], v[58:59]
	ds_load_b128 v[54:57], v1 offset:1456
	s_waitcnt vmcnt(8) lgkmcnt(1)
	v_mul_f64 v[76:77], v[2:3], v[20:21]
	v_mul_f64 v[20:21], v[4:5], v[20:21]
	v_fma_f64 v[62:63], v[62:63], v[14:15], v[80:81]
	v_fma_f64 v[60:61], v[60:61], v[14:15], -v[16:17]
	scratch_load_b128 v[14:17], off, off offset:640
	v_add_f64 v[80:81], v[169:170], v[167:168]
	v_add_f64 v[58:59], v[58:59], v[165:166]
	s_waitcnt vmcnt(8) lgkmcnt(0)
	v_mul_f64 v[165:166], v[54:55], v[24:25]
	v_mul_f64 v[24:25], v[56:57], v[24:25]
	v_fma_f64 v[76:77], v[4:5], v[18:19], v[76:77]
	v_fma_f64 v[167:168], v[2:3], v[18:19], -v[20:21]
	ds_load_b128 v[2:5], v1 offset:1472
	scratch_load_b128 v[18:21], off, off offset:656
	v_add_f64 v[80:81], v[80:81], v[60:61]
	v_add_f64 v[62:63], v[58:59], v[62:63]
	ds_load_b128 v[58:61], v1 offset:1488
	s_waitcnt vmcnt(8) lgkmcnt(1)
	v_mul_f64 v[169:170], v[2:3], v[28:29]
	v_mul_f64 v[28:29], v[4:5], v[28:29]
	v_fma_f64 v[56:57], v[56:57], v[22:23], v[165:166]
	v_fma_f64 v[54:55], v[54:55], v[22:23], -v[24:25]
	scratch_load_b128 v[22:25], off, off offset:672
	;; [unrolled: 18-line block ×4, first 2 shown]
	s_waitcnt vmcnt(8) lgkmcnt(0)
	v_mul_f64 v[80:81], v[58:59], v[8:9]
	v_mul_f64 v[8:9], v[60:61], v[8:9]
	v_add_f64 v[76:77], v[76:77], v[167:168]
	v_add_f64 v[62:63], v[62:63], v[165:166]
	v_fma_f64 v[165:166], v[4:5], v[42:43], v[169:170]
	v_fma_f64 v[167:168], v[2:3], v[42:43], -v[44:45]
	ds_load_b128 v[2:5], v1 offset:1568
	scratch_load_b128 v[42:45], off, off offset:752
	v_fma_f64 v[60:61], v[60:61], v[6:7], v[80:81]
	v_fma_f64 v[58:59], v[58:59], v[6:7], -v[8:9]
	scratch_load_b128 v[6:9], off, off offset:768
	v_add_f64 v[76:77], v[76:77], v[54:55]
	v_add_f64 v[62:63], v[62:63], v[56:57]
	ds_load_b128 v[54:57], v1 offset:1584
	s_waitcnt vmcnt(9) lgkmcnt(1)
	v_mul_f64 v[169:170], v[2:3], v[12:13]
	v_mul_f64 v[12:13], v[4:5], v[12:13]
	s_waitcnt vmcnt(8) lgkmcnt(0)
	v_mul_f64 v[80:81], v[54:55], v[16:17]
	v_mul_f64 v[16:17], v[56:57], v[16:17]
	v_add_f64 v[76:77], v[76:77], v[167:168]
	v_add_f64 v[62:63], v[62:63], v[165:166]
	v_fma_f64 v[165:166], v[4:5], v[10:11], v[169:170]
	v_fma_f64 v[167:168], v[2:3], v[10:11], -v[12:13]
	ds_load_b128 v[2:5], v1 offset:1600
	scratch_load_b128 v[10:13], off, off offset:784
	v_fma_f64 v[56:57], v[56:57], v[14:15], v[80:81]
	v_fma_f64 v[54:55], v[54:55], v[14:15], -v[16:17]
	scratch_load_b128 v[14:17], off, off offset:800
	v_add_f64 v[76:77], v[76:77], v[58:59]
	v_add_f64 v[62:63], v[62:63], v[60:61]
	ds_load_b128 v[58:61], v1 offset:1616
	s_waitcnt vmcnt(9) lgkmcnt(1)
	v_mul_f64 v[169:170], v[2:3], v[20:21]
	v_mul_f64 v[20:21], v[4:5], v[20:21]
	s_waitcnt vmcnt(8) lgkmcnt(0)
	v_mul_f64 v[80:81], v[58:59], v[24:25]
	v_mul_f64 v[24:25], v[60:61], v[24:25]
	v_add_f64 v[76:77], v[76:77], v[167:168]
	v_add_f64 v[62:63], v[62:63], v[165:166]
	v_fma_f64 v[165:166], v[4:5], v[18:19], v[169:170]
	v_fma_f64 v[167:168], v[2:3], v[18:19], -v[20:21]
	ds_load_b128 v[2:5], v1 offset:1632
	scratch_load_b128 v[18:21], off, off offset:816
	v_fma_f64 v[60:61], v[60:61], v[22:23], v[80:81]
	v_fma_f64 v[58:59], v[58:59], v[22:23], -v[24:25]
	scratch_load_b128 v[22:25], off, off offset:832
	v_add_f64 v[76:77], v[76:77], v[54:55]
	v_add_f64 v[62:63], v[62:63], v[56:57]
	ds_load_b128 v[54:57], v1 offset:1648
	s_waitcnt vmcnt(9) lgkmcnt(1)
	v_mul_f64 v[169:170], v[2:3], v[28:29]
	v_mul_f64 v[28:29], v[4:5], v[28:29]
	s_waitcnt vmcnt(8) lgkmcnt(0)
	v_mul_f64 v[80:81], v[54:55], v[32:33]
	v_mul_f64 v[32:33], v[56:57], v[32:33]
	v_add_f64 v[76:77], v[76:77], v[167:168]
	v_add_f64 v[62:63], v[62:63], v[165:166]
	v_fma_f64 v[165:166], v[4:5], v[26:27], v[169:170]
	v_fma_f64 v[167:168], v[2:3], v[26:27], -v[28:29]
	ds_load_b128 v[2:5], v1 offset:1664
	scratch_load_b128 v[26:29], off, off offset:848
	v_fma_f64 v[56:57], v[56:57], v[30:31], v[80:81]
	v_fma_f64 v[54:55], v[54:55], v[30:31], -v[32:33]
	scratch_load_b128 v[30:33], off, off offset:864
	v_add_f64 v[76:77], v[76:77], v[58:59]
	v_add_f64 v[62:63], v[62:63], v[60:61]
	ds_load_b128 v[58:61], v1 offset:1680
	s_waitcnt vmcnt(9) lgkmcnt(1)
	v_mul_f64 v[169:170], v[2:3], v[36:37]
	v_mul_f64 v[36:37], v[4:5], v[36:37]
	s_waitcnt vmcnt(8) lgkmcnt(0)
	v_mul_f64 v[80:81], v[58:59], v[40:41]
	v_mul_f64 v[40:41], v[60:61], v[40:41]
	v_add_f64 v[76:77], v[76:77], v[167:168]
	v_add_f64 v[62:63], v[62:63], v[165:166]
	v_fma_f64 v[165:166], v[4:5], v[34:35], v[169:170]
	v_fma_f64 v[167:168], v[2:3], v[34:35], -v[36:37]
	ds_load_b128 v[2:5], v1 offset:1696
	scratch_load_b128 v[34:37], off, off offset:880
	v_fma_f64 v[60:61], v[60:61], v[38:39], v[80:81]
	v_fma_f64 v[58:59], v[58:59], v[38:39], -v[40:41]
	scratch_load_b128 v[38:41], off, off offset:896
	v_add_f64 v[76:77], v[76:77], v[54:55]
	v_add_f64 v[62:63], v[62:63], v[56:57]
	ds_load_b128 v[54:57], v1 offset:1712
	s_waitcnt vmcnt(9) lgkmcnt(1)
	v_mul_f64 v[169:170], v[2:3], v[44:45]
	v_mul_f64 v[44:45], v[4:5], v[44:45]
	s_waitcnt vmcnt(8) lgkmcnt(0)
	v_mul_f64 v[80:81], v[54:55], v[8:9]
	v_mul_f64 v[8:9], v[56:57], v[8:9]
	v_add_f64 v[76:77], v[76:77], v[167:168]
	v_add_f64 v[62:63], v[62:63], v[165:166]
	v_fma_f64 v[165:166], v[4:5], v[42:43], v[169:170]
	v_fma_f64 v[167:168], v[2:3], v[42:43], -v[44:45]
	ds_load_b128 v[2:5], v1 offset:1728
	scratch_load_b128 v[42:45], off, off offset:912
	v_fma_f64 v[56:57], v[56:57], v[6:7], v[80:81]
	v_fma_f64 v[54:55], v[54:55], v[6:7], -v[8:9]
	scratch_load_b128 v[6:9], off, off offset:928
	v_add_f64 v[76:77], v[76:77], v[58:59]
	v_add_f64 v[62:63], v[62:63], v[60:61]
	ds_load_b128 v[58:61], v1 offset:1744
	s_waitcnt vmcnt(9) lgkmcnt(1)
	v_mul_f64 v[169:170], v[2:3], v[12:13]
	v_mul_f64 v[12:13], v[4:5], v[12:13]
	s_waitcnt vmcnt(8) lgkmcnt(0)
	v_mul_f64 v[80:81], v[58:59], v[16:17]
	v_mul_f64 v[16:17], v[60:61], v[16:17]
	v_add_f64 v[76:77], v[76:77], v[167:168]
	v_add_f64 v[62:63], v[62:63], v[165:166]
	v_fma_f64 v[165:166], v[4:5], v[10:11], v[169:170]
	v_fma_f64 v[167:168], v[2:3], v[10:11], -v[12:13]
	ds_load_b128 v[2:5], v1 offset:1760
	ds_load_b128 v[10:13], v1 offset:1776
	v_fma_f64 v[60:61], v[60:61], v[14:15], v[80:81]
	v_fma_f64 v[14:15], v[58:59], v[14:15], -v[16:17]
	v_add_f64 v[54:55], v[76:77], v[54:55]
	v_add_f64 v[56:57], v[62:63], v[56:57]
	s_waitcnt vmcnt(7) lgkmcnt(1)
	v_mul_f64 v[62:63], v[2:3], v[20:21]
	v_mul_f64 v[20:21], v[4:5], v[20:21]
	s_delay_alu instid0(VALU_DEP_4) | instskip(NEXT) | instid1(VALU_DEP_4)
	v_add_f64 v[16:17], v[54:55], v[167:168]
	v_add_f64 v[54:55], v[56:57], v[165:166]
	s_waitcnt vmcnt(6) lgkmcnt(0)
	v_mul_f64 v[56:57], v[10:11], v[24:25]
	v_mul_f64 v[24:25], v[12:13], v[24:25]
	v_fma_f64 v[58:59], v[4:5], v[18:19], v[62:63]
	v_fma_f64 v[18:19], v[2:3], v[18:19], -v[20:21]
	v_add_f64 v[20:21], v[16:17], v[14:15]
	v_add_f64 v[54:55], v[54:55], v[60:61]
	ds_load_b128 v[2:5], v1 offset:1792
	ds_load_b128 v[14:17], v1 offset:1808
	v_fma_f64 v[12:13], v[12:13], v[22:23], v[56:57]
	v_fma_f64 v[10:11], v[10:11], v[22:23], -v[24:25]
	s_waitcnt vmcnt(5) lgkmcnt(1)
	v_mul_f64 v[60:61], v[2:3], v[28:29]
	v_mul_f64 v[28:29], v[4:5], v[28:29]
	s_waitcnt vmcnt(4) lgkmcnt(0)
	v_mul_f64 v[22:23], v[14:15], v[32:33]
	v_mul_f64 v[24:25], v[16:17], v[32:33]
	v_add_f64 v[18:19], v[20:21], v[18:19]
	v_add_f64 v[20:21], v[54:55], v[58:59]
	v_fma_f64 v[32:33], v[4:5], v[26:27], v[60:61]
	v_fma_f64 v[26:27], v[2:3], v[26:27], -v[28:29]
	v_fma_f64 v[16:17], v[16:17], v[30:31], v[22:23]
	v_fma_f64 v[14:15], v[14:15], v[30:31], -v[24:25]
	v_add_f64 v[18:19], v[18:19], v[10:11]
	v_add_f64 v[20:21], v[20:21], v[12:13]
	ds_load_b128 v[2:5], v1 offset:1824
	ds_load_b128 v[10:13], v1 offset:1840
	s_waitcnt vmcnt(3) lgkmcnt(1)
	v_mul_f64 v[28:29], v[2:3], v[36:37]
	v_mul_f64 v[36:37], v[4:5], v[36:37]
	s_waitcnt vmcnt(2) lgkmcnt(0)
	v_mul_f64 v[22:23], v[10:11], v[40:41]
	v_mul_f64 v[24:25], v[12:13], v[40:41]
	v_add_f64 v[18:19], v[18:19], v[26:27]
	v_add_f64 v[20:21], v[20:21], v[32:33]
	v_fma_f64 v[26:27], v[4:5], v[34:35], v[28:29]
	v_fma_f64 v[28:29], v[2:3], v[34:35], -v[36:37]
	v_fma_f64 v[12:13], v[12:13], v[38:39], v[22:23]
	v_fma_f64 v[10:11], v[10:11], v[38:39], -v[24:25]
	v_add_f64 v[18:19], v[18:19], v[14:15]
	v_add_f64 v[20:21], v[20:21], v[16:17]
	ds_load_b128 v[2:5], v1 offset:1856
	ds_load_b128 v[14:17], v1 offset:1872
	s_waitcnt vmcnt(1) lgkmcnt(1)
	v_mul_f64 v[30:31], v[2:3], v[44:45]
	v_mul_f64 v[32:33], v[4:5], v[44:45]
	s_waitcnt vmcnt(0) lgkmcnt(0)
	v_mul_f64 v[22:23], v[14:15], v[8:9]
	v_mul_f64 v[8:9], v[16:17], v[8:9]
	v_add_f64 v[18:19], v[18:19], v[28:29]
	v_add_f64 v[20:21], v[20:21], v[26:27]
	v_fma_f64 v[4:5], v[4:5], v[42:43], v[30:31]
	v_fma_f64 v[1:2], v[2:3], v[42:43], -v[32:33]
	v_fma_f64 v[16:17], v[16:17], v[6:7], v[22:23]
	v_fma_f64 v[6:7], v[14:15], v[6:7], -v[8:9]
	v_add_f64 v[10:11], v[18:19], v[10:11]
	v_add_f64 v[12:13], v[20:21], v[12:13]
	s_delay_alu instid0(VALU_DEP_2) | instskip(NEXT) | instid1(VALU_DEP_2)
	v_add_f64 v[1:2], v[10:11], v[1:2]
	v_add_f64 v[3:4], v[12:13], v[4:5]
	s_delay_alu instid0(VALU_DEP_2) | instskip(NEXT) | instid1(VALU_DEP_2)
	v_add_f64 v[1:2], v[1:2], v[6:7]
	v_add_f64 v[3:4], v[3:4], v[16:17]
	s_delay_alu instid0(VALU_DEP_2) | instskip(NEXT) | instid1(VALU_DEP_2)
	v_add_f64 v[1:2], v[50:51], -v[1:2]
	v_add_f64 v[3:4], v[52:53], -v[3:4]
	scratch_store_b128 off, v[1:4], off offset:256
	v_cmpx_lt_u32_e32 15, v164
	s_cbranch_execz .LBB58_337
; %bb.336:
	scratch_load_b128 v[1:4], v231, off
	v_mov_b32_e32 v5, 0
	s_delay_alu instid0(VALU_DEP_1)
	v_mov_b32_e32 v6, v5
	v_mov_b32_e32 v7, v5
	v_mov_b32_e32 v8, v5
	scratch_store_b128 off, v[5:8], off offset:240
	s_waitcnt vmcnt(0)
	ds_store_b128 v223, v[1:4]
.LBB58_337:
	s_or_b32 exec_lo, exec_lo, s2
	s_waitcnt lgkmcnt(0)
	s_waitcnt_vscnt null, 0x0
	s_barrier
	buffer_gl0_inv
	s_clause 0x7
	scratch_load_b128 v[2:5], off, off offset:256
	scratch_load_b128 v[6:9], off, off offset:272
	;; [unrolled: 1-line block ×8, first 2 shown]
	v_mov_b32_e32 v1, 0
	s_mov_b32 s2, exec_lo
	ds_load_b128 v[38:41], v1 offset:1200
	s_clause 0x1
	scratch_load_b128 v[34:37], off, off offset:384
	scratch_load_b128 v[42:45], off, off offset:240
	ds_load_b128 v[50:53], v1 offset:1216
	scratch_load_b128 v[54:57], off, off offset:400
	s_waitcnt vmcnt(10) lgkmcnt(1)
	v_mul_f64 v[58:59], v[40:41], v[4:5]
	v_mul_f64 v[4:5], v[38:39], v[4:5]
	s_delay_alu instid0(VALU_DEP_2) | instskip(NEXT) | instid1(VALU_DEP_2)
	v_fma_f64 v[76:77], v[38:39], v[2:3], -v[58:59]
	v_fma_f64 v[80:81], v[40:41], v[2:3], v[4:5]
	scratch_load_b128 v[38:41], off, off offset:416
	ds_load_b128 v[2:5], v1 offset:1232
	s_waitcnt vmcnt(10) lgkmcnt(1)
	v_mul_f64 v[62:63], v[50:51], v[8:9]
	v_mul_f64 v[8:9], v[52:53], v[8:9]
	ds_load_b128 v[58:61], v1 offset:1248
	s_waitcnt vmcnt(9) lgkmcnt(1)
	v_mul_f64 v[165:166], v[2:3], v[12:13]
	v_mul_f64 v[12:13], v[4:5], v[12:13]
	v_fma_f64 v[52:53], v[52:53], v[6:7], v[62:63]
	v_fma_f64 v[50:51], v[50:51], v[6:7], -v[8:9]
	v_add_f64 v[62:63], v[76:77], 0
	v_add_f64 v[76:77], v[80:81], 0
	scratch_load_b128 v[6:9], off, off offset:432
	v_fma_f64 v[165:166], v[4:5], v[10:11], v[165:166]
	v_fma_f64 v[167:168], v[2:3], v[10:11], -v[12:13]
	scratch_load_b128 v[10:13], off, off offset:448
	ds_load_b128 v[2:5], v1 offset:1264
	s_waitcnt vmcnt(10) lgkmcnt(1)
	v_mul_f64 v[80:81], v[58:59], v[16:17]
	v_mul_f64 v[16:17], v[60:61], v[16:17]
	v_add_f64 v[62:63], v[62:63], v[50:51]
	v_add_f64 v[76:77], v[76:77], v[52:53]
	s_waitcnt vmcnt(9) lgkmcnt(0)
	v_mul_f64 v[169:170], v[2:3], v[20:21]
	v_mul_f64 v[20:21], v[4:5], v[20:21]
	ds_load_b128 v[50:53], v1 offset:1280
	v_fma_f64 v[60:61], v[60:61], v[14:15], v[80:81]
	v_fma_f64 v[58:59], v[58:59], v[14:15], -v[16:17]
	scratch_load_b128 v[14:17], off, off offset:464
	v_add_f64 v[62:63], v[62:63], v[167:168]
	v_add_f64 v[76:77], v[76:77], v[165:166]
	v_fma_f64 v[165:166], v[4:5], v[18:19], v[169:170]
	v_fma_f64 v[167:168], v[2:3], v[18:19], -v[20:21]
	scratch_load_b128 v[18:21], off, off offset:480
	ds_load_b128 v[2:5], v1 offset:1296
	s_waitcnt vmcnt(10) lgkmcnt(1)
	v_mul_f64 v[80:81], v[50:51], v[24:25]
	v_mul_f64 v[24:25], v[52:53], v[24:25]
	s_waitcnt vmcnt(9) lgkmcnt(0)
	v_mul_f64 v[169:170], v[2:3], v[28:29]
	v_mul_f64 v[28:29], v[4:5], v[28:29]
	v_add_f64 v[62:63], v[62:63], v[58:59]
	v_add_f64 v[76:77], v[76:77], v[60:61]
	ds_load_b128 v[58:61], v1 offset:1312
	v_fma_f64 v[52:53], v[52:53], v[22:23], v[80:81]
	v_fma_f64 v[50:51], v[50:51], v[22:23], -v[24:25]
	scratch_load_b128 v[22:25], off, off offset:496
	v_add_f64 v[62:63], v[62:63], v[167:168]
	v_add_f64 v[76:77], v[76:77], v[165:166]
	v_fma_f64 v[165:166], v[4:5], v[26:27], v[169:170]
	v_fma_f64 v[167:168], v[2:3], v[26:27], -v[28:29]
	scratch_load_b128 v[26:29], off, off offset:512
	ds_load_b128 v[2:5], v1 offset:1328
	s_waitcnt vmcnt(10) lgkmcnt(1)
	v_mul_f64 v[80:81], v[58:59], v[32:33]
	v_mul_f64 v[32:33], v[60:61], v[32:33]
	s_waitcnt vmcnt(9) lgkmcnt(0)
	v_mul_f64 v[169:170], v[2:3], v[36:37]
	v_mul_f64 v[36:37], v[4:5], v[36:37]
	v_add_f64 v[62:63], v[62:63], v[50:51]
	v_add_f64 v[76:77], v[76:77], v[52:53]
	ds_load_b128 v[50:53], v1 offset:1344
	v_fma_f64 v[60:61], v[60:61], v[30:31], v[80:81]
	v_fma_f64 v[58:59], v[58:59], v[30:31], -v[32:33]
	scratch_load_b128 v[30:33], off, off offset:528
	v_add_f64 v[62:63], v[62:63], v[167:168]
	v_add_f64 v[76:77], v[76:77], v[165:166]
	v_fma_f64 v[167:168], v[4:5], v[34:35], v[169:170]
	v_fma_f64 v[169:170], v[2:3], v[34:35], -v[36:37]
	scratch_load_b128 v[34:37], off, off offset:544
	ds_load_b128 v[2:5], v1 offset:1360
	s_waitcnt vmcnt(9) lgkmcnt(1)
	v_mul_f64 v[80:81], v[50:51], v[56:57]
	v_mul_f64 v[165:166], v[52:53], v[56:57]
	v_add_f64 v[62:63], v[62:63], v[58:59]
	v_add_f64 v[60:61], v[76:77], v[60:61]
	ds_load_b128 v[56:59], v1 offset:1376
	v_fma_f64 v[80:81], v[52:53], v[54:55], v[80:81]
	v_fma_f64 v[54:55], v[50:51], v[54:55], -v[165:166]
	scratch_load_b128 v[50:53], off, off offset:560
	s_waitcnt vmcnt(9) lgkmcnt(1)
	v_mul_f64 v[76:77], v[2:3], v[40:41]
	v_mul_f64 v[40:41], v[4:5], v[40:41]
	v_add_f64 v[62:63], v[62:63], v[169:170]
	v_add_f64 v[60:61], v[60:61], v[167:168]
	s_delay_alu instid0(VALU_DEP_4) | instskip(NEXT) | instid1(VALU_DEP_4)
	v_fma_f64 v[76:77], v[4:5], v[38:39], v[76:77]
	v_fma_f64 v[167:168], v[2:3], v[38:39], -v[40:41]
	scratch_load_b128 v[38:41], off, off offset:576
	ds_load_b128 v[2:5], v1 offset:1392
	s_waitcnt vmcnt(9) lgkmcnt(1)
	v_mul_f64 v[165:166], v[56:57], v[8:9]
	v_mul_f64 v[8:9], v[58:59], v[8:9]
	s_waitcnt vmcnt(8) lgkmcnt(0)
	v_mul_f64 v[169:170], v[2:3], v[12:13]
	v_mul_f64 v[12:13], v[4:5], v[12:13]
	v_add_f64 v[54:55], v[62:63], v[54:55]
	v_add_f64 v[80:81], v[60:61], v[80:81]
	ds_load_b128 v[60:63], v1 offset:1408
	v_fma_f64 v[58:59], v[58:59], v[6:7], v[165:166]
	v_fma_f64 v[56:57], v[56:57], v[6:7], -v[8:9]
	scratch_load_b128 v[6:9], off, off offset:592
	v_fma_f64 v[165:166], v[4:5], v[10:11], v[169:170]
	v_add_f64 v[54:55], v[54:55], v[167:168]
	v_add_f64 v[76:77], v[80:81], v[76:77]
	v_fma_f64 v[167:168], v[2:3], v[10:11], -v[12:13]
	scratch_load_b128 v[10:13], off, off offset:608
	ds_load_b128 v[2:5], v1 offset:1424
	s_waitcnt vmcnt(9) lgkmcnt(1)
	v_mul_f64 v[80:81], v[60:61], v[16:17]
	v_mul_f64 v[16:17], v[62:63], v[16:17]
	v_add_f64 v[169:170], v[54:55], v[56:57]
	v_add_f64 v[58:59], v[76:77], v[58:59]
	s_waitcnt vmcnt(8) lgkmcnt(0)
	v_mul_f64 v[76:77], v[2:3], v[20:21]
	v_mul_f64 v[20:21], v[4:5], v[20:21]
	ds_load_b128 v[54:57], v1 offset:1440
	v_fma_f64 v[62:63], v[62:63], v[14:15], v[80:81]
	v_fma_f64 v[60:61], v[60:61], v[14:15], -v[16:17]
	scratch_load_b128 v[14:17], off, off offset:624
	v_add_f64 v[80:81], v[169:170], v[167:168]
	v_add_f64 v[58:59], v[58:59], v[165:166]
	v_fma_f64 v[76:77], v[4:5], v[18:19], v[76:77]
	v_fma_f64 v[167:168], v[2:3], v[18:19], -v[20:21]
	scratch_load_b128 v[18:21], off, off offset:640
	ds_load_b128 v[2:5], v1 offset:1456
	s_waitcnt vmcnt(9) lgkmcnt(1)
	v_mul_f64 v[165:166], v[54:55], v[24:25]
	v_mul_f64 v[24:25], v[56:57], v[24:25]
	s_waitcnt vmcnt(8) lgkmcnt(0)
	v_mul_f64 v[169:170], v[2:3], v[28:29]
	v_mul_f64 v[28:29], v[4:5], v[28:29]
	v_add_f64 v[80:81], v[80:81], v[60:61]
	v_add_f64 v[62:63], v[58:59], v[62:63]
	ds_load_b128 v[58:61], v1 offset:1472
	v_fma_f64 v[56:57], v[56:57], v[22:23], v[165:166]
	v_fma_f64 v[54:55], v[54:55], v[22:23], -v[24:25]
	scratch_load_b128 v[22:25], off, off offset:656
	v_fma_f64 v[165:166], v[4:5], v[26:27], v[169:170]
	v_add_f64 v[80:81], v[80:81], v[167:168]
	v_add_f64 v[62:63], v[62:63], v[76:77]
	v_fma_f64 v[167:168], v[2:3], v[26:27], -v[28:29]
	scratch_load_b128 v[26:29], off, off offset:672
	ds_load_b128 v[2:5], v1 offset:1488
	s_waitcnt vmcnt(9) lgkmcnt(1)
	v_mul_f64 v[76:77], v[58:59], v[32:33]
	v_mul_f64 v[32:33], v[60:61], v[32:33]
	s_waitcnt vmcnt(8) lgkmcnt(0)
	v_mul_f64 v[169:170], v[2:3], v[36:37]
	v_mul_f64 v[36:37], v[4:5], v[36:37]
	v_add_f64 v[80:81], v[80:81], v[54:55]
	v_add_f64 v[62:63], v[62:63], v[56:57]
	ds_load_b128 v[54:57], v1 offset:1504
	v_fma_f64 v[60:61], v[60:61], v[30:31], v[76:77]
	v_fma_f64 v[58:59], v[58:59], v[30:31], -v[32:33]
	scratch_load_b128 v[30:33], off, off offset:688
	v_add_f64 v[76:77], v[80:81], v[167:168]
	v_add_f64 v[62:63], v[62:63], v[165:166]
	v_fma_f64 v[165:166], v[4:5], v[34:35], v[169:170]
	v_fma_f64 v[167:168], v[2:3], v[34:35], -v[36:37]
	scratch_load_b128 v[34:37], off, off offset:704
	ds_load_b128 v[2:5], v1 offset:1520
	s_waitcnt vmcnt(9) lgkmcnt(1)
	v_mul_f64 v[80:81], v[54:55], v[52:53]
	v_mul_f64 v[52:53], v[56:57], v[52:53]
	s_waitcnt vmcnt(8) lgkmcnt(0)
	v_mul_f64 v[169:170], v[2:3], v[40:41]
	v_mul_f64 v[40:41], v[4:5], v[40:41]
	v_add_f64 v[76:77], v[76:77], v[58:59]
	v_add_f64 v[62:63], v[62:63], v[60:61]
	ds_load_b128 v[58:61], v1 offset:1536
	v_fma_f64 v[56:57], v[56:57], v[50:51], v[80:81]
	v_fma_f64 v[54:55], v[54:55], v[50:51], -v[52:53]
	scratch_load_b128 v[50:53], off, off offset:720
	v_add_f64 v[76:77], v[76:77], v[167:168]
	v_add_f64 v[62:63], v[62:63], v[165:166]
	v_fma_f64 v[165:166], v[4:5], v[38:39], v[169:170]
	;; [unrolled: 18-line block ×6, first 2 shown]
	v_fma_f64 v[169:170], v[2:3], v[34:35], -v[36:37]
	scratch_load_b128 v[34:37], off, off offset:864
	ds_load_b128 v[2:5], v1 offset:1680
	s_waitcnt vmcnt(9) lgkmcnt(1)
	v_mul_f64 v[80:81], v[58:59], v[52:53]
	v_mul_f64 v[165:166], v[60:61], v[52:53]
	v_add_f64 v[76:77], v[76:77], v[54:55]
	v_add_f64 v[56:57], v[62:63], v[56:57]
	s_waitcnt vmcnt(8) lgkmcnt(0)
	v_mul_f64 v[62:63], v[2:3], v[40:41]
	v_mul_f64 v[40:41], v[4:5], v[40:41]
	ds_load_b128 v[52:55], v1 offset:1696
	v_fma_f64 v[60:61], v[60:61], v[50:51], v[80:81]
	v_fma_f64 v[50:51], v[58:59], v[50:51], -v[165:166]
	v_add_f64 v[76:77], v[76:77], v[169:170]
	v_add_f64 v[80:81], v[56:57], v[167:168]
	scratch_load_b128 v[56:59], off, off offset:880
	v_fma_f64 v[167:168], v[4:5], v[38:39], v[62:63]
	v_fma_f64 v[169:170], v[2:3], v[38:39], -v[40:41]
	scratch_load_b128 v[38:41], off, off offset:896
	ds_load_b128 v[2:5], v1 offset:1712
	s_waitcnt vmcnt(9) lgkmcnt(1)
	v_mul_f64 v[165:166], v[52:53], v[8:9]
	v_mul_f64 v[8:9], v[54:55], v[8:9]
	v_add_f64 v[50:51], v[76:77], v[50:51]
	v_add_f64 v[76:77], v[80:81], v[60:61]
	s_waitcnt vmcnt(8) lgkmcnt(0)
	v_mul_f64 v[80:81], v[2:3], v[12:13]
	v_mul_f64 v[12:13], v[4:5], v[12:13]
	ds_load_b128 v[60:63], v1 offset:1728
	v_fma_f64 v[54:55], v[54:55], v[6:7], v[165:166]
	v_fma_f64 v[52:53], v[52:53], v[6:7], -v[8:9]
	scratch_load_b128 v[6:9], off, off offset:912
	v_add_f64 v[50:51], v[50:51], v[169:170]
	v_add_f64 v[76:77], v[76:77], v[167:168]
	v_fma_f64 v[80:81], v[4:5], v[10:11], v[80:81]
	v_fma_f64 v[167:168], v[2:3], v[10:11], -v[12:13]
	scratch_load_b128 v[10:13], off, off offset:928
	ds_load_b128 v[2:5], v1 offset:1744
	s_waitcnt vmcnt(9) lgkmcnt(1)
	v_mul_f64 v[165:166], v[60:61], v[16:17]
	v_mul_f64 v[16:17], v[62:63], v[16:17]
	v_add_f64 v[169:170], v[50:51], v[52:53]
	v_add_f64 v[54:55], v[76:77], v[54:55]
	s_waitcnt vmcnt(8) lgkmcnt(0)
	v_mul_f64 v[76:77], v[2:3], v[20:21]
	v_mul_f64 v[20:21], v[4:5], v[20:21]
	ds_load_b128 v[50:53], v1 offset:1760
	v_fma_f64 v[62:63], v[62:63], v[14:15], v[165:166]
	v_fma_f64 v[14:15], v[60:61], v[14:15], -v[16:17]
	s_waitcnt vmcnt(7) lgkmcnt(0)
	v_mul_f64 v[60:61], v[50:51], v[24:25]
	v_mul_f64 v[24:25], v[52:53], v[24:25]
	v_add_f64 v[16:17], v[169:170], v[167:168]
	v_add_f64 v[54:55], v[54:55], v[80:81]
	v_fma_f64 v[76:77], v[4:5], v[18:19], v[76:77]
	v_fma_f64 v[18:19], v[2:3], v[18:19], -v[20:21]
	v_fma_f64 v[52:53], v[52:53], v[22:23], v[60:61]
	v_fma_f64 v[22:23], v[50:51], v[22:23], -v[24:25]
	v_add_f64 v[20:21], v[16:17], v[14:15]
	v_add_f64 v[54:55], v[54:55], v[62:63]
	ds_load_b128 v[2:5], v1 offset:1776
	ds_load_b128 v[14:17], v1 offset:1792
	s_waitcnt vmcnt(6) lgkmcnt(1)
	v_mul_f64 v[62:63], v[2:3], v[28:29]
	v_mul_f64 v[28:29], v[4:5], v[28:29]
	s_waitcnt vmcnt(5) lgkmcnt(0)
	v_mul_f64 v[24:25], v[14:15], v[32:33]
	v_mul_f64 v[32:33], v[16:17], v[32:33]
	v_add_f64 v[18:19], v[20:21], v[18:19]
	v_add_f64 v[20:21], v[54:55], v[76:77]
	v_fma_f64 v[50:51], v[4:5], v[26:27], v[62:63]
	v_fma_f64 v[26:27], v[2:3], v[26:27], -v[28:29]
	v_fma_f64 v[16:17], v[16:17], v[30:31], v[24:25]
	v_fma_f64 v[14:15], v[14:15], v[30:31], -v[32:33]
	v_add_f64 v[22:23], v[18:19], v[22:23]
	v_add_f64 v[28:29], v[20:21], v[52:53]
	ds_load_b128 v[2:5], v1 offset:1808
	ds_load_b128 v[18:21], v1 offset:1824
	s_waitcnt vmcnt(4) lgkmcnt(1)
	v_mul_f64 v[52:53], v[2:3], v[36:37]
	v_mul_f64 v[36:37], v[4:5], v[36:37]
	v_add_f64 v[22:23], v[22:23], v[26:27]
	v_add_f64 v[24:25], v[28:29], v[50:51]
	s_waitcnt vmcnt(3) lgkmcnt(0)
	v_mul_f64 v[26:27], v[18:19], v[58:59]
	v_mul_f64 v[28:29], v[20:21], v[58:59]
	v_fma_f64 v[30:31], v[4:5], v[34:35], v[52:53]
	v_fma_f64 v[32:33], v[2:3], v[34:35], -v[36:37]
	v_add_f64 v[22:23], v[22:23], v[14:15]
	v_add_f64 v[24:25], v[24:25], v[16:17]
	ds_load_b128 v[2:5], v1 offset:1840
	ds_load_b128 v[14:17], v1 offset:1856
	v_fma_f64 v[20:21], v[20:21], v[56:57], v[26:27]
	v_fma_f64 v[18:19], v[18:19], v[56:57], -v[28:29]
	s_waitcnt vmcnt(2) lgkmcnt(1)
	v_mul_f64 v[34:35], v[2:3], v[40:41]
	v_mul_f64 v[36:37], v[4:5], v[40:41]
	s_waitcnt vmcnt(1) lgkmcnt(0)
	v_mul_f64 v[26:27], v[14:15], v[8:9]
	v_mul_f64 v[8:9], v[16:17], v[8:9]
	v_add_f64 v[22:23], v[22:23], v[32:33]
	v_add_f64 v[24:25], v[24:25], v[30:31]
	v_fma_f64 v[28:29], v[4:5], v[38:39], v[34:35]
	v_fma_f64 v[30:31], v[2:3], v[38:39], -v[36:37]
	ds_load_b128 v[2:5], v1 offset:1872
	v_fma_f64 v[16:17], v[16:17], v[6:7], v[26:27]
	v_fma_f64 v[6:7], v[14:15], v[6:7], -v[8:9]
	v_add_f64 v[18:19], v[22:23], v[18:19]
	v_add_f64 v[20:21], v[24:25], v[20:21]
	s_waitcnt vmcnt(0) lgkmcnt(0)
	v_mul_f64 v[22:23], v[2:3], v[12:13]
	v_mul_f64 v[12:13], v[4:5], v[12:13]
	s_delay_alu instid0(VALU_DEP_4) | instskip(NEXT) | instid1(VALU_DEP_4)
	v_add_f64 v[8:9], v[18:19], v[30:31]
	v_add_f64 v[14:15], v[20:21], v[28:29]
	s_delay_alu instid0(VALU_DEP_4) | instskip(NEXT) | instid1(VALU_DEP_4)
	v_fma_f64 v[4:5], v[4:5], v[10:11], v[22:23]
	v_fma_f64 v[2:3], v[2:3], v[10:11], -v[12:13]
	s_delay_alu instid0(VALU_DEP_4) | instskip(NEXT) | instid1(VALU_DEP_4)
	v_add_f64 v[6:7], v[8:9], v[6:7]
	v_add_f64 v[8:9], v[14:15], v[16:17]
	s_delay_alu instid0(VALU_DEP_2) | instskip(NEXT) | instid1(VALU_DEP_2)
	v_add_f64 v[2:3], v[6:7], v[2:3]
	v_add_f64 v[4:5], v[8:9], v[4:5]
	s_delay_alu instid0(VALU_DEP_2) | instskip(NEXT) | instid1(VALU_DEP_2)
	v_add_f64 v[2:3], v[42:43], -v[2:3]
	v_add_f64 v[4:5], v[44:45], -v[4:5]
	scratch_store_b128 off, v[2:5], off offset:240
	v_cmpx_lt_u32_e32 14, v164
	s_cbranch_execz .LBB58_339
; %bb.338:
	scratch_load_b128 v[5:8], v232, off
	v_mov_b32_e32 v2, v1
	v_mov_b32_e32 v3, v1
	;; [unrolled: 1-line block ×3, first 2 shown]
	scratch_store_b128 off, v[1:4], off offset:224
	s_waitcnt vmcnt(0)
	ds_store_b128 v223, v[5:8]
.LBB58_339:
	s_or_b32 exec_lo, exec_lo, s2
	s_waitcnt lgkmcnt(0)
	s_waitcnt_vscnt null, 0x0
	s_barrier
	buffer_gl0_inv
	s_clause 0x8
	scratch_load_b128 v[2:5], off, off offset:240
	scratch_load_b128 v[6:9], off, off offset:256
	;; [unrolled: 1-line block ×9, first 2 shown]
	ds_load_b128 v[42:45], v1 offset:1184
	ds_load_b128 v[38:41], v1 offset:1200
	s_clause 0x1
	scratch_load_b128 v[50:53], off, off offset:224
	scratch_load_b128 v[54:57], off, off offset:384
	s_mov_b32 s2, exec_lo
	s_waitcnt vmcnt(10) lgkmcnt(1)
	v_mul_f64 v[58:59], v[44:45], v[4:5]
	v_mul_f64 v[4:5], v[42:43], v[4:5]
	s_waitcnt vmcnt(9) lgkmcnt(0)
	v_mul_f64 v[62:63], v[38:39], v[8:9]
	v_mul_f64 v[8:9], v[40:41], v[8:9]
	s_delay_alu instid0(VALU_DEP_4) | instskip(NEXT) | instid1(VALU_DEP_4)
	v_fma_f64 v[76:77], v[42:43], v[2:3], -v[58:59]
	v_fma_f64 v[80:81], v[44:45], v[2:3], v[4:5]
	ds_load_b128 v[2:5], v1 offset:1216
	ds_load_b128 v[58:61], v1 offset:1232
	scratch_load_b128 v[42:45], off, off offset:400
	v_fma_f64 v[40:41], v[40:41], v[6:7], v[62:63]
	v_fma_f64 v[38:39], v[38:39], v[6:7], -v[8:9]
	scratch_load_b128 v[6:9], off, off offset:416
	s_waitcnt vmcnt(10) lgkmcnt(1)
	v_mul_f64 v[165:166], v[2:3], v[12:13]
	v_mul_f64 v[12:13], v[4:5], v[12:13]
	v_add_f64 v[62:63], v[76:77], 0
	v_add_f64 v[76:77], v[80:81], 0
	s_waitcnt vmcnt(9) lgkmcnt(0)
	v_mul_f64 v[80:81], v[58:59], v[16:17]
	v_mul_f64 v[16:17], v[60:61], v[16:17]
	v_fma_f64 v[165:166], v[4:5], v[10:11], v[165:166]
	v_fma_f64 v[167:168], v[2:3], v[10:11], -v[12:13]
	ds_load_b128 v[2:5], v1 offset:1248
	scratch_load_b128 v[10:13], off, off offset:432
	v_add_f64 v[62:63], v[62:63], v[38:39]
	v_add_f64 v[76:77], v[76:77], v[40:41]
	ds_load_b128 v[38:41], v1 offset:1264
	v_fma_f64 v[60:61], v[60:61], v[14:15], v[80:81]
	v_fma_f64 v[58:59], v[58:59], v[14:15], -v[16:17]
	scratch_load_b128 v[14:17], off, off offset:448
	s_waitcnt vmcnt(10) lgkmcnt(1)
	v_mul_f64 v[169:170], v[2:3], v[20:21]
	v_mul_f64 v[20:21], v[4:5], v[20:21]
	s_waitcnt vmcnt(9) lgkmcnt(0)
	v_mul_f64 v[80:81], v[38:39], v[24:25]
	v_mul_f64 v[24:25], v[40:41], v[24:25]
	v_add_f64 v[62:63], v[62:63], v[167:168]
	v_add_f64 v[76:77], v[76:77], v[165:166]
	v_fma_f64 v[165:166], v[4:5], v[18:19], v[169:170]
	v_fma_f64 v[167:168], v[2:3], v[18:19], -v[20:21]
	ds_load_b128 v[2:5], v1 offset:1280
	scratch_load_b128 v[18:21], off, off offset:464
	v_fma_f64 v[40:41], v[40:41], v[22:23], v[80:81]
	v_fma_f64 v[38:39], v[38:39], v[22:23], -v[24:25]
	scratch_load_b128 v[22:25], off, off offset:480
	v_add_f64 v[62:63], v[62:63], v[58:59]
	v_add_f64 v[76:77], v[76:77], v[60:61]
	ds_load_b128 v[58:61], v1 offset:1296
	s_waitcnt vmcnt(10) lgkmcnt(1)
	v_mul_f64 v[169:170], v[2:3], v[28:29]
	v_mul_f64 v[28:29], v[4:5], v[28:29]
	s_waitcnt vmcnt(9) lgkmcnt(0)
	v_mul_f64 v[80:81], v[58:59], v[32:33]
	v_mul_f64 v[32:33], v[60:61], v[32:33]
	v_add_f64 v[62:63], v[62:63], v[167:168]
	v_add_f64 v[76:77], v[76:77], v[165:166]
	v_fma_f64 v[165:166], v[4:5], v[26:27], v[169:170]
	v_fma_f64 v[167:168], v[2:3], v[26:27], -v[28:29]
	ds_load_b128 v[2:5], v1 offset:1312
	scratch_load_b128 v[26:29], off, off offset:496
	v_fma_f64 v[60:61], v[60:61], v[30:31], v[80:81]
	v_fma_f64 v[58:59], v[58:59], v[30:31], -v[32:33]
	scratch_load_b128 v[30:33], off, off offset:512
	v_add_f64 v[62:63], v[62:63], v[38:39]
	v_add_f64 v[76:77], v[76:77], v[40:41]
	ds_load_b128 v[38:41], v1 offset:1328
	s_waitcnt vmcnt(10) lgkmcnt(1)
	v_mul_f64 v[169:170], v[2:3], v[36:37]
	v_mul_f64 v[36:37], v[4:5], v[36:37]
	s_waitcnt vmcnt(8) lgkmcnt(0)
	v_mul_f64 v[80:81], v[38:39], v[56:57]
	v_add_f64 v[62:63], v[62:63], v[167:168]
	v_add_f64 v[76:77], v[76:77], v[165:166]
	v_mul_f64 v[165:166], v[40:41], v[56:57]
	v_fma_f64 v[167:168], v[4:5], v[34:35], v[169:170]
	v_fma_f64 v[169:170], v[2:3], v[34:35], -v[36:37]
	ds_load_b128 v[2:5], v1 offset:1344
	scratch_load_b128 v[34:37], off, off offset:528
	v_fma_f64 v[80:81], v[40:41], v[54:55], v[80:81]
	v_add_f64 v[62:63], v[62:63], v[58:59]
	v_add_f64 v[60:61], v[76:77], v[60:61]
	ds_load_b128 v[56:59], v1 offset:1360
	v_fma_f64 v[54:55], v[38:39], v[54:55], -v[165:166]
	scratch_load_b128 v[38:41], off, off offset:544
	s_waitcnt vmcnt(9) lgkmcnt(1)
	v_mul_f64 v[76:77], v[2:3], v[44:45]
	v_mul_f64 v[44:45], v[4:5], v[44:45]
	s_waitcnt vmcnt(8) lgkmcnt(0)
	v_mul_f64 v[165:166], v[56:57], v[8:9]
	v_mul_f64 v[8:9], v[58:59], v[8:9]
	v_add_f64 v[62:63], v[62:63], v[169:170]
	v_add_f64 v[60:61], v[60:61], v[167:168]
	v_fma_f64 v[76:77], v[4:5], v[42:43], v[76:77]
	v_fma_f64 v[167:168], v[2:3], v[42:43], -v[44:45]
	ds_load_b128 v[2:5], v1 offset:1376
	scratch_load_b128 v[42:45], off, off offset:560
	v_fma_f64 v[58:59], v[58:59], v[6:7], v[165:166]
	v_fma_f64 v[56:57], v[56:57], v[6:7], -v[8:9]
	scratch_load_b128 v[6:9], off, off offset:576
	v_add_f64 v[54:55], v[62:63], v[54:55]
	v_add_f64 v[80:81], v[60:61], v[80:81]
	ds_load_b128 v[60:63], v1 offset:1392
	s_waitcnt vmcnt(9) lgkmcnt(1)
	v_mul_f64 v[169:170], v[2:3], v[12:13]
	v_mul_f64 v[12:13], v[4:5], v[12:13]
	v_add_f64 v[54:55], v[54:55], v[167:168]
	v_add_f64 v[76:77], v[80:81], v[76:77]
	s_waitcnt vmcnt(8) lgkmcnt(0)
	v_mul_f64 v[80:81], v[60:61], v[16:17]
	v_mul_f64 v[16:17], v[62:63], v[16:17]
	v_fma_f64 v[165:166], v[4:5], v[10:11], v[169:170]
	v_fma_f64 v[167:168], v[2:3], v[10:11], -v[12:13]
	ds_load_b128 v[2:5], v1 offset:1408
	scratch_load_b128 v[10:13], off, off offset:592
	v_add_f64 v[169:170], v[54:55], v[56:57]
	v_add_f64 v[58:59], v[76:77], v[58:59]
	ds_load_b128 v[54:57], v1 offset:1424
	s_waitcnt vmcnt(8) lgkmcnt(1)
	v_mul_f64 v[76:77], v[2:3], v[20:21]
	v_mul_f64 v[20:21], v[4:5], v[20:21]
	v_fma_f64 v[62:63], v[62:63], v[14:15], v[80:81]
	v_fma_f64 v[60:61], v[60:61], v[14:15], -v[16:17]
	scratch_load_b128 v[14:17], off, off offset:608
	v_add_f64 v[80:81], v[169:170], v[167:168]
	v_add_f64 v[58:59], v[58:59], v[165:166]
	s_waitcnt vmcnt(8) lgkmcnt(0)
	v_mul_f64 v[165:166], v[54:55], v[24:25]
	v_mul_f64 v[24:25], v[56:57], v[24:25]
	v_fma_f64 v[76:77], v[4:5], v[18:19], v[76:77]
	v_fma_f64 v[167:168], v[2:3], v[18:19], -v[20:21]
	ds_load_b128 v[2:5], v1 offset:1440
	scratch_load_b128 v[18:21], off, off offset:624
	v_add_f64 v[80:81], v[80:81], v[60:61]
	v_add_f64 v[62:63], v[58:59], v[62:63]
	ds_load_b128 v[58:61], v1 offset:1456
	s_waitcnt vmcnt(8) lgkmcnt(1)
	v_mul_f64 v[169:170], v[2:3], v[28:29]
	v_mul_f64 v[28:29], v[4:5], v[28:29]
	v_fma_f64 v[56:57], v[56:57], v[22:23], v[165:166]
	v_fma_f64 v[54:55], v[54:55], v[22:23], -v[24:25]
	scratch_load_b128 v[22:25], off, off offset:640
	v_add_f64 v[80:81], v[80:81], v[167:168]
	v_add_f64 v[62:63], v[62:63], v[76:77]
	s_waitcnt vmcnt(8) lgkmcnt(0)
	v_mul_f64 v[76:77], v[58:59], v[32:33]
	v_mul_f64 v[32:33], v[60:61], v[32:33]
	v_fma_f64 v[165:166], v[4:5], v[26:27], v[169:170]
	v_fma_f64 v[167:168], v[2:3], v[26:27], -v[28:29]
	ds_load_b128 v[2:5], v1 offset:1472
	scratch_load_b128 v[26:29], off, off offset:656
	v_add_f64 v[80:81], v[80:81], v[54:55]
	v_add_f64 v[62:63], v[62:63], v[56:57]
	ds_load_b128 v[54:57], v1 offset:1488
	s_waitcnt vmcnt(8) lgkmcnt(1)
	v_mul_f64 v[169:170], v[2:3], v[36:37]
	v_mul_f64 v[36:37], v[4:5], v[36:37]
	v_fma_f64 v[60:61], v[60:61], v[30:31], v[76:77]
	v_fma_f64 v[58:59], v[58:59], v[30:31], -v[32:33]
	scratch_load_b128 v[30:33], off, off offset:672
	v_add_f64 v[76:77], v[80:81], v[167:168]
	v_add_f64 v[62:63], v[62:63], v[165:166]
	s_waitcnt vmcnt(8) lgkmcnt(0)
	v_mul_f64 v[80:81], v[54:55], v[40:41]
	v_mul_f64 v[40:41], v[56:57], v[40:41]
	v_fma_f64 v[165:166], v[4:5], v[34:35], v[169:170]
	v_fma_f64 v[167:168], v[2:3], v[34:35], -v[36:37]
	ds_load_b128 v[2:5], v1 offset:1504
	scratch_load_b128 v[34:37], off, off offset:688
	v_add_f64 v[76:77], v[76:77], v[58:59]
	v_add_f64 v[62:63], v[62:63], v[60:61]
	ds_load_b128 v[58:61], v1 offset:1520
	s_waitcnt vmcnt(8) lgkmcnt(1)
	v_mul_f64 v[169:170], v[2:3], v[44:45]
	v_mul_f64 v[44:45], v[4:5], v[44:45]
	v_fma_f64 v[56:57], v[56:57], v[38:39], v[80:81]
	v_fma_f64 v[54:55], v[54:55], v[38:39], -v[40:41]
	scratch_load_b128 v[38:41], off, off offset:704
	s_waitcnt vmcnt(8) lgkmcnt(0)
	v_mul_f64 v[80:81], v[58:59], v[8:9]
	v_mul_f64 v[8:9], v[60:61], v[8:9]
	v_add_f64 v[76:77], v[76:77], v[167:168]
	v_add_f64 v[62:63], v[62:63], v[165:166]
	v_fma_f64 v[165:166], v[4:5], v[42:43], v[169:170]
	v_fma_f64 v[167:168], v[2:3], v[42:43], -v[44:45]
	ds_load_b128 v[2:5], v1 offset:1536
	scratch_load_b128 v[42:45], off, off offset:720
	v_fma_f64 v[60:61], v[60:61], v[6:7], v[80:81]
	v_fma_f64 v[58:59], v[58:59], v[6:7], -v[8:9]
	scratch_load_b128 v[6:9], off, off offset:736
	v_add_f64 v[76:77], v[76:77], v[54:55]
	v_add_f64 v[62:63], v[62:63], v[56:57]
	ds_load_b128 v[54:57], v1 offset:1552
	s_waitcnt vmcnt(9) lgkmcnt(1)
	v_mul_f64 v[169:170], v[2:3], v[12:13]
	v_mul_f64 v[12:13], v[4:5], v[12:13]
	s_waitcnt vmcnt(8) lgkmcnt(0)
	v_mul_f64 v[80:81], v[54:55], v[16:17]
	v_mul_f64 v[16:17], v[56:57], v[16:17]
	v_add_f64 v[76:77], v[76:77], v[167:168]
	v_add_f64 v[62:63], v[62:63], v[165:166]
	v_fma_f64 v[165:166], v[4:5], v[10:11], v[169:170]
	v_fma_f64 v[167:168], v[2:3], v[10:11], -v[12:13]
	ds_load_b128 v[2:5], v1 offset:1568
	scratch_load_b128 v[10:13], off, off offset:752
	v_fma_f64 v[56:57], v[56:57], v[14:15], v[80:81]
	v_fma_f64 v[54:55], v[54:55], v[14:15], -v[16:17]
	scratch_load_b128 v[14:17], off, off offset:768
	v_add_f64 v[76:77], v[76:77], v[58:59]
	v_add_f64 v[62:63], v[62:63], v[60:61]
	ds_load_b128 v[58:61], v1 offset:1584
	s_waitcnt vmcnt(9) lgkmcnt(1)
	v_mul_f64 v[169:170], v[2:3], v[20:21]
	v_mul_f64 v[20:21], v[4:5], v[20:21]
	;; [unrolled: 18-line block ×7, first 2 shown]
	s_waitcnt vmcnt(8) lgkmcnt(0)
	v_mul_f64 v[80:81], v[54:55], v[24:25]
	v_mul_f64 v[24:25], v[56:57], v[24:25]
	v_add_f64 v[76:77], v[76:77], v[167:168]
	v_add_f64 v[62:63], v[62:63], v[165:166]
	v_fma_f64 v[165:166], v[4:5], v[18:19], v[169:170]
	v_fma_f64 v[167:168], v[2:3], v[18:19], -v[20:21]
	ds_load_b128 v[2:5], v1 offset:1760
	ds_load_b128 v[18:21], v1 offset:1776
	v_fma_f64 v[56:57], v[56:57], v[22:23], v[80:81]
	v_fma_f64 v[22:23], v[54:55], v[22:23], -v[24:25]
	v_add_f64 v[58:59], v[76:77], v[58:59]
	v_add_f64 v[60:61], v[62:63], v[60:61]
	s_waitcnt vmcnt(7) lgkmcnt(1)
	v_mul_f64 v[62:63], v[2:3], v[28:29]
	v_mul_f64 v[28:29], v[4:5], v[28:29]
	s_delay_alu instid0(VALU_DEP_4) | instskip(NEXT) | instid1(VALU_DEP_4)
	v_add_f64 v[24:25], v[58:59], v[167:168]
	v_add_f64 v[54:55], v[60:61], v[165:166]
	s_waitcnt vmcnt(6) lgkmcnt(0)
	v_mul_f64 v[58:59], v[18:19], v[32:33]
	v_mul_f64 v[32:33], v[20:21], v[32:33]
	v_fma_f64 v[60:61], v[4:5], v[26:27], v[62:63]
	v_fma_f64 v[26:27], v[2:3], v[26:27], -v[28:29]
	v_add_f64 v[28:29], v[24:25], v[22:23]
	v_add_f64 v[54:55], v[54:55], v[56:57]
	ds_load_b128 v[2:5], v1 offset:1792
	ds_load_b128 v[22:25], v1 offset:1808
	v_fma_f64 v[20:21], v[20:21], v[30:31], v[58:59]
	v_fma_f64 v[18:19], v[18:19], v[30:31], -v[32:33]
	s_waitcnt vmcnt(5) lgkmcnt(1)
	v_mul_f64 v[56:57], v[2:3], v[36:37]
	v_mul_f64 v[36:37], v[4:5], v[36:37]
	s_waitcnt vmcnt(4) lgkmcnt(0)
	v_mul_f64 v[30:31], v[22:23], v[40:41]
	v_mul_f64 v[32:33], v[24:25], v[40:41]
	v_add_f64 v[26:27], v[28:29], v[26:27]
	v_add_f64 v[28:29], v[54:55], v[60:61]
	v_fma_f64 v[40:41], v[4:5], v[34:35], v[56:57]
	v_fma_f64 v[34:35], v[2:3], v[34:35], -v[36:37]
	v_fma_f64 v[24:25], v[24:25], v[38:39], v[30:31]
	v_fma_f64 v[22:23], v[22:23], v[38:39], -v[32:33]
	v_add_f64 v[26:27], v[26:27], v[18:19]
	v_add_f64 v[28:29], v[28:29], v[20:21]
	ds_load_b128 v[2:5], v1 offset:1824
	ds_load_b128 v[18:21], v1 offset:1840
	s_waitcnt vmcnt(3) lgkmcnt(1)
	v_mul_f64 v[36:37], v[2:3], v[44:45]
	v_mul_f64 v[44:45], v[4:5], v[44:45]
	s_waitcnt vmcnt(2) lgkmcnt(0)
	v_mul_f64 v[30:31], v[18:19], v[8:9]
	v_mul_f64 v[8:9], v[20:21], v[8:9]
	v_add_f64 v[26:27], v[26:27], v[34:35]
	v_add_f64 v[28:29], v[28:29], v[40:41]
	v_fma_f64 v[32:33], v[4:5], v[42:43], v[36:37]
	v_fma_f64 v[34:35], v[2:3], v[42:43], -v[44:45]
	v_fma_f64 v[20:21], v[20:21], v[6:7], v[30:31]
	v_fma_f64 v[6:7], v[18:19], v[6:7], -v[8:9]
	v_add_f64 v[26:27], v[26:27], v[22:23]
	v_add_f64 v[28:29], v[28:29], v[24:25]
	ds_load_b128 v[2:5], v1 offset:1856
	ds_load_b128 v[22:25], v1 offset:1872
	s_waitcnt vmcnt(1) lgkmcnt(1)
	v_mul_f64 v[36:37], v[2:3], v[12:13]
	v_mul_f64 v[12:13], v[4:5], v[12:13]
	v_add_f64 v[8:9], v[26:27], v[34:35]
	v_add_f64 v[18:19], v[28:29], v[32:33]
	s_waitcnt vmcnt(0) lgkmcnt(0)
	v_mul_f64 v[26:27], v[22:23], v[16:17]
	v_mul_f64 v[16:17], v[24:25], v[16:17]
	v_fma_f64 v[4:5], v[4:5], v[10:11], v[36:37]
	v_fma_f64 v[1:2], v[2:3], v[10:11], -v[12:13]
	v_add_f64 v[6:7], v[8:9], v[6:7]
	v_add_f64 v[8:9], v[18:19], v[20:21]
	v_fma_f64 v[10:11], v[24:25], v[14:15], v[26:27]
	v_fma_f64 v[12:13], v[22:23], v[14:15], -v[16:17]
	s_delay_alu instid0(VALU_DEP_4) | instskip(NEXT) | instid1(VALU_DEP_4)
	v_add_f64 v[1:2], v[6:7], v[1:2]
	v_add_f64 v[3:4], v[8:9], v[4:5]
	s_delay_alu instid0(VALU_DEP_2) | instskip(NEXT) | instid1(VALU_DEP_2)
	v_add_f64 v[1:2], v[1:2], v[12:13]
	v_add_f64 v[3:4], v[3:4], v[10:11]
	s_delay_alu instid0(VALU_DEP_2) | instskip(NEXT) | instid1(VALU_DEP_2)
	v_add_f64 v[1:2], v[50:51], -v[1:2]
	v_add_f64 v[3:4], v[52:53], -v[3:4]
	scratch_store_b128 off, v[1:4], off offset:224
	v_cmpx_lt_u32_e32 13, v164
	s_cbranch_execz .LBB58_341
; %bb.340:
	scratch_load_b128 v[1:4], v209, off
	v_mov_b32_e32 v5, 0
	s_delay_alu instid0(VALU_DEP_1)
	v_mov_b32_e32 v6, v5
	v_mov_b32_e32 v7, v5
	v_mov_b32_e32 v8, v5
	scratch_store_b128 off, v[5:8], off offset:208
	s_waitcnt vmcnt(0)
	ds_store_b128 v223, v[1:4]
.LBB58_341:
	s_or_b32 exec_lo, exec_lo, s2
	s_waitcnt lgkmcnt(0)
	s_waitcnt_vscnt null, 0x0
	s_barrier
	buffer_gl0_inv
	s_clause 0x7
	scratch_load_b128 v[2:5], off, off offset:224
	scratch_load_b128 v[6:9], off, off offset:240
	;; [unrolled: 1-line block ×8, first 2 shown]
	v_mov_b32_e32 v1, 0
	s_mov_b32 s2, exec_lo
	ds_load_b128 v[38:41], v1 offset:1168
	s_clause 0x1
	scratch_load_b128 v[34:37], off, off offset:352
	scratch_load_b128 v[42:45], off, off offset:208
	ds_load_b128 v[50:53], v1 offset:1184
	scratch_load_b128 v[54:57], off, off offset:368
	s_waitcnt vmcnt(10) lgkmcnt(1)
	v_mul_f64 v[58:59], v[40:41], v[4:5]
	v_mul_f64 v[4:5], v[38:39], v[4:5]
	s_delay_alu instid0(VALU_DEP_2) | instskip(NEXT) | instid1(VALU_DEP_2)
	v_fma_f64 v[76:77], v[38:39], v[2:3], -v[58:59]
	v_fma_f64 v[80:81], v[40:41], v[2:3], v[4:5]
	scratch_load_b128 v[38:41], off, off offset:384
	ds_load_b128 v[2:5], v1 offset:1200
	s_waitcnt vmcnt(10) lgkmcnt(1)
	v_mul_f64 v[62:63], v[50:51], v[8:9]
	v_mul_f64 v[8:9], v[52:53], v[8:9]
	ds_load_b128 v[58:61], v1 offset:1216
	s_waitcnt vmcnt(9) lgkmcnt(1)
	v_mul_f64 v[165:166], v[2:3], v[12:13]
	v_mul_f64 v[12:13], v[4:5], v[12:13]
	v_fma_f64 v[52:53], v[52:53], v[6:7], v[62:63]
	v_fma_f64 v[50:51], v[50:51], v[6:7], -v[8:9]
	v_add_f64 v[62:63], v[76:77], 0
	v_add_f64 v[76:77], v[80:81], 0
	scratch_load_b128 v[6:9], off, off offset:400
	v_fma_f64 v[165:166], v[4:5], v[10:11], v[165:166]
	v_fma_f64 v[167:168], v[2:3], v[10:11], -v[12:13]
	scratch_load_b128 v[10:13], off, off offset:416
	ds_load_b128 v[2:5], v1 offset:1232
	s_waitcnt vmcnt(10) lgkmcnt(1)
	v_mul_f64 v[80:81], v[58:59], v[16:17]
	v_mul_f64 v[16:17], v[60:61], v[16:17]
	v_add_f64 v[62:63], v[62:63], v[50:51]
	v_add_f64 v[76:77], v[76:77], v[52:53]
	s_waitcnt vmcnt(9) lgkmcnt(0)
	v_mul_f64 v[169:170], v[2:3], v[20:21]
	v_mul_f64 v[20:21], v[4:5], v[20:21]
	ds_load_b128 v[50:53], v1 offset:1248
	v_fma_f64 v[60:61], v[60:61], v[14:15], v[80:81]
	v_fma_f64 v[58:59], v[58:59], v[14:15], -v[16:17]
	scratch_load_b128 v[14:17], off, off offset:432
	v_add_f64 v[62:63], v[62:63], v[167:168]
	v_add_f64 v[76:77], v[76:77], v[165:166]
	v_fma_f64 v[165:166], v[4:5], v[18:19], v[169:170]
	v_fma_f64 v[167:168], v[2:3], v[18:19], -v[20:21]
	scratch_load_b128 v[18:21], off, off offset:448
	ds_load_b128 v[2:5], v1 offset:1264
	s_waitcnt vmcnt(10) lgkmcnt(1)
	v_mul_f64 v[80:81], v[50:51], v[24:25]
	v_mul_f64 v[24:25], v[52:53], v[24:25]
	s_waitcnt vmcnt(9) lgkmcnt(0)
	v_mul_f64 v[169:170], v[2:3], v[28:29]
	v_mul_f64 v[28:29], v[4:5], v[28:29]
	v_add_f64 v[62:63], v[62:63], v[58:59]
	v_add_f64 v[76:77], v[76:77], v[60:61]
	ds_load_b128 v[58:61], v1 offset:1280
	v_fma_f64 v[52:53], v[52:53], v[22:23], v[80:81]
	v_fma_f64 v[50:51], v[50:51], v[22:23], -v[24:25]
	scratch_load_b128 v[22:25], off, off offset:464
	v_add_f64 v[62:63], v[62:63], v[167:168]
	v_add_f64 v[76:77], v[76:77], v[165:166]
	v_fma_f64 v[165:166], v[4:5], v[26:27], v[169:170]
	v_fma_f64 v[167:168], v[2:3], v[26:27], -v[28:29]
	scratch_load_b128 v[26:29], off, off offset:480
	ds_load_b128 v[2:5], v1 offset:1296
	s_waitcnt vmcnt(10) lgkmcnt(1)
	v_mul_f64 v[80:81], v[58:59], v[32:33]
	v_mul_f64 v[32:33], v[60:61], v[32:33]
	s_waitcnt vmcnt(9) lgkmcnt(0)
	v_mul_f64 v[169:170], v[2:3], v[36:37]
	v_mul_f64 v[36:37], v[4:5], v[36:37]
	v_add_f64 v[62:63], v[62:63], v[50:51]
	v_add_f64 v[76:77], v[76:77], v[52:53]
	ds_load_b128 v[50:53], v1 offset:1312
	v_fma_f64 v[60:61], v[60:61], v[30:31], v[80:81]
	v_fma_f64 v[58:59], v[58:59], v[30:31], -v[32:33]
	scratch_load_b128 v[30:33], off, off offset:496
	v_add_f64 v[62:63], v[62:63], v[167:168]
	v_add_f64 v[76:77], v[76:77], v[165:166]
	v_fma_f64 v[167:168], v[4:5], v[34:35], v[169:170]
	v_fma_f64 v[169:170], v[2:3], v[34:35], -v[36:37]
	scratch_load_b128 v[34:37], off, off offset:512
	ds_load_b128 v[2:5], v1 offset:1328
	s_waitcnt vmcnt(9) lgkmcnt(1)
	v_mul_f64 v[80:81], v[50:51], v[56:57]
	v_mul_f64 v[165:166], v[52:53], v[56:57]
	v_add_f64 v[62:63], v[62:63], v[58:59]
	v_add_f64 v[60:61], v[76:77], v[60:61]
	ds_load_b128 v[56:59], v1 offset:1344
	v_fma_f64 v[80:81], v[52:53], v[54:55], v[80:81]
	v_fma_f64 v[54:55], v[50:51], v[54:55], -v[165:166]
	scratch_load_b128 v[50:53], off, off offset:528
	s_waitcnt vmcnt(9) lgkmcnt(1)
	v_mul_f64 v[76:77], v[2:3], v[40:41]
	v_mul_f64 v[40:41], v[4:5], v[40:41]
	v_add_f64 v[62:63], v[62:63], v[169:170]
	v_add_f64 v[60:61], v[60:61], v[167:168]
	s_delay_alu instid0(VALU_DEP_4) | instskip(NEXT) | instid1(VALU_DEP_4)
	v_fma_f64 v[76:77], v[4:5], v[38:39], v[76:77]
	v_fma_f64 v[167:168], v[2:3], v[38:39], -v[40:41]
	scratch_load_b128 v[38:41], off, off offset:544
	ds_load_b128 v[2:5], v1 offset:1360
	s_waitcnt vmcnt(9) lgkmcnt(1)
	v_mul_f64 v[165:166], v[56:57], v[8:9]
	v_mul_f64 v[8:9], v[58:59], v[8:9]
	s_waitcnt vmcnt(8) lgkmcnt(0)
	v_mul_f64 v[169:170], v[2:3], v[12:13]
	v_mul_f64 v[12:13], v[4:5], v[12:13]
	v_add_f64 v[54:55], v[62:63], v[54:55]
	v_add_f64 v[80:81], v[60:61], v[80:81]
	ds_load_b128 v[60:63], v1 offset:1376
	v_fma_f64 v[58:59], v[58:59], v[6:7], v[165:166]
	v_fma_f64 v[56:57], v[56:57], v[6:7], -v[8:9]
	scratch_load_b128 v[6:9], off, off offset:560
	v_fma_f64 v[165:166], v[4:5], v[10:11], v[169:170]
	v_add_f64 v[54:55], v[54:55], v[167:168]
	v_add_f64 v[76:77], v[80:81], v[76:77]
	v_fma_f64 v[167:168], v[2:3], v[10:11], -v[12:13]
	scratch_load_b128 v[10:13], off, off offset:576
	ds_load_b128 v[2:5], v1 offset:1392
	s_waitcnt vmcnt(9) lgkmcnt(1)
	v_mul_f64 v[80:81], v[60:61], v[16:17]
	v_mul_f64 v[16:17], v[62:63], v[16:17]
	v_add_f64 v[169:170], v[54:55], v[56:57]
	v_add_f64 v[58:59], v[76:77], v[58:59]
	s_waitcnt vmcnt(8) lgkmcnt(0)
	v_mul_f64 v[76:77], v[2:3], v[20:21]
	v_mul_f64 v[20:21], v[4:5], v[20:21]
	ds_load_b128 v[54:57], v1 offset:1408
	v_fma_f64 v[62:63], v[62:63], v[14:15], v[80:81]
	v_fma_f64 v[60:61], v[60:61], v[14:15], -v[16:17]
	scratch_load_b128 v[14:17], off, off offset:592
	v_add_f64 v[80:81], v[169:170], v[167:168]
	v_add_f64 v[58:59], v[58:59], v[165:166]
	v_fma_f64 v[76:77], v[4:5], v[18:19], v[76:77]
	v_fma_f64 v[167:168], v[2:3], v[18:19], -v[20:21]
	scratch_load_b128 v[18:21], off, off offset:608
	ds_load_b128 v[2:5], v1 offset:1424
	s_waitcnt vmcnt(9) lgkmcnt(1)
	v_mul_f64 v[165:166], v[54:55], v[24:25]
	v_mul_f64 v[24:25], v[56:57], v[24:25]
	s_waitcnt vmcnt(8) lgkmcnt(0)
	v_mul_f64 v[169:170], v[2:3], v[28:29]
	v_mul_f64 v[28:29], v[4:5], v[28:29]
	v_add_f64 v[80:81], v[80:81], v[60:61]
	v_add_f64 v[62:63], v[58:59], v[62:63]
	ds_load_b128 v[58:61], v1 offset:1440
	v_fma_f64 v[56:57], v[56:57], v[22:23], v[165:166]
	v_fma_f64 v[54:55], v[54:55], v[22:23], -v[24:25]
	scratch_load_b128 v[22:25], off, off offset:624
	v_fma_f64 v[165:166], v[4:5], v[26:27], v[169:170]
	v_add_f64 v[80:81], v[80:81], v[167:168]
	v_add_f64 v[62:63], v[62:63], v[76:77]
	v_fma_f64 v[167:168], v[2:3], v[26:27], -v[28:29]
	scratch_load_b128 v[26:29], off, off offset:640
	ds_load_b128 v[2:5], v1 offset:1456
	s_waitcnt vmcnt(9) lgkmcnt(1)
	v_mul_f64 v[76:77], v[58:59], v[32:33]
	v_mul_f64 v[32:33], v[60:61], v[32:33]
	s_waitcnt vmcnt(8) lgkmcnt(0)
	v_mul_f64 v[169:170], v[2:3], v[36:37]
	v_mul_f64 v[36:37], v[4:5], v[36:37]
	v_add_f64 v[80:81], v[80:81], v[54:55]
	v_add_f64 v[62:63], v[62:63], v[56:57]
	ds_load_b128 v[54:57], v1 offset:1472
	v_fma_f64 v[60:61], v[60:61], v[30:31], v[76:77]
	v_fma_f64 v[58:59], v[58:59], v[30:31], -v[32:33]
	scratch_load_b128 v[30:33], off, off offset:656
	v_add_f64 v[76:77], v[80:81], v[167:168]
	v_add_f64 v[62:63], v[62:63], v[165:166]
	v_fma_f64 v[165:166], v[4:5], v[34:35], v[169:170]
	v_fma_f64 v[167:168], v[2:3], v[34:35], -v[36:37]
	scratch_load_b128 v[34:37], off, off offset:672
	ds_load_b128 v[2:5], v1 offset:1488
	s_waitcnt vmcnt(9) lgkmcnt(1)
	v_mul_f64 v[80:81], v[54:55], v[52:53]
	v_mul_f64 v[52:53], v[56:57], v[52:53]
	s_waitcnt vmcnt(8) lgkmcnt(0)
	v_mul_f64 v[169:170], v[2:3], v[40:41]
	v_mul_f64 v[40:41], v[4:5], v[40:41]
	v_add_f64 v[76:77], v[76:77], v[58:59]
	v_add_f64 v[62:63], v[62:63], v[60:61]
	ds_load_b128 v[58:61], v1 offset:1504
	v_fma_f64 v[56:57], v[56:57], v[50:51], v[80:81]
	v_fma_f64 v[54:55], v[54:55], v[50:51], -v[52:53]
	scratch_load_b128 v[50:53], off, off offset:688
	v_add_f64 v[76:77], v[76:77], v[167:168]
	v_add_f64 v[62:63], v[62:63], v[165:166]
	v_fma_f64 v[165:166], v[4:5], v[38:39], v[169:170]
	;; [unrolled: 18-line block ×6, first 2 shown]
	v_fma_f64 v[169:170], v[2:3], v[34:35], -v[36:37]
	scratch_load_b128 v[34:37], off, off offset:832
	ds_load_b128 v[2:5], v1 offset:1648
	s_waitcnt vmcnt(9) lgkmcnt(1)
	v_mul_f64 v[80:81], v[58:59], v[52:53]
	v_mul_f64 v[165:166], v[60:61], v[52:53]
	v_add_f64 v[76:77], v[76:77], v[54:55]
	v_add_f64 v[56:57], v[62:63], v[56:57]
	s_waitcnt vmcnt(8) lgkmcnt(0)
	v_mul_f64 v[62:63], v[2:3], v[40:41]
	v_mul_f64 v[40:41], v[4:5], v[40:41]
	ds_load_b128 v[52:55], v1 offset:1664
	v_fma_f64 v[60:61], v[60:61], v[50:51], v[80:81]
	v_fma_f64 v[50:51], v[58:59], v[50:51], -v[165:166]
	v_add_f64 v[76:77], v[76:77], v[169:170]
	v_add_f64 v[80:81], v[56:57], v[167:168]
	scratch_load_b128 v[56:59], off, off offset:848
	v_fma_f64 v[167:168], v[4:5], v[38:39], v[62:63]
	v_fma_f64 v[169:170], v[2:3], v[38:39], -v[40:41]
	scratch_load_b128 v[38:41], off, off offset:864
	ds_load_b128 v[2:5], v1 offset:1680
	s_waitcnt vmcnt(9) lgkmcnt(1)
	v_mul_f64 v[165:166], v[52:53], v[8:9]
	v_mul_f64 v[8:9], v[54:55], v[8:9]
	v_add_f64 v[50:51], v[76:77], v[50:51]
	v_add_f64 v[76:77], v[80:81], v[60:61]
	s_waitcnt vmcnt(8) lgkmcnt(0)
	v_mul_f64 v[80:81], v[2:3], v[12:13]
	v_mul_f64 v[12:13], v[4:5], v[12:13]
	ds_load_b128 v[60:63], v1 offset:1696
	v_fma_f64 v[54:55], v[54:55], v[6:7], v[165:166]
	v_fma_f64 v[52:53], v[52:53], v[6:7], -v[8:9]
	scratch_load_b128 v[6:9], off, off offset:880
	v_add_f64 v[50:51], v[50:51], v[169:170]
	v_add_f64 v[76:77], v[76:77], v[167:168]
	v_fma_f64 v[80:81], v[4:5], v[10:11], v[80:81]
	v_fma_f64 v[167:168], v[2:3], v[10:11], -v[12:13]
	scratch_load_b128 v[10:13], off, off offset:896
	ds_load_b128 v[2:5], v1 offset:1712
	s_waitcnt vmcnt(9) lgkmcnt(1)
	v_mul_f64 v[165:166], v[60:61], v[16:17]
	v_mul_f64 v[16:17], v[62:63], v[16:17]
	v_add_f64 v[169:170], v[50:51], v[52:53]
	v_add_f64 v[54:55], v[76:77], v[54:55]
	s_waitcnt vmcnt(8) lgkmcnt(0)
	v_mul_f64 v[76:77], v[2:3], v[20:21]
	v_mul_f64 v[20:21], v[4:5], v[20:21]
	ds_load_b128 v[50:53], v1 offset:1728
	v_fma_f64 v[62:63], v[62:63], v[14:15], v[165:166]
	v_fma_f64 v[60:61], v[60:61], v[14:15], -v[16:17]
	scratch_load_b128 v[14:17], off, off offset:912
	v_add_f64 v[165:166], v[169:170], v[167:168]
	v_add_f64 v[54:55], v[54:55], v[80:81]
	v_fma_f64 v[76:77], v[4:5], v[18:19], v[76:77]
	v_fma_f64 v[167:168], v[2:3], v[18:19], -v[20:21]
	scratch_load_b128 v[18:21], off, off offset:928
	ds_load_b128 v[2:5], v1 offset:1744
	s_waitcnt vmcnt(9) lgkmcnt(1)
	v_mul_f64 v[80:81], v[50:51], v[24:25]
	v_mul_f64 v[24:25], v[52:53], v[24:25]
	s_waitcnt vmcnt(8) lgkmcnt(0)
	v_mul_f64 v[169:170], v[2:3], v[28:29]
	v_mul_f64 v[28:29], v[4:5], v[28:29]
	v_add_f64 v[165:166], v[165:166], v[60:61]
	v_add_f64 v[54:55], v[54:55], v[62:63]
	ds_load_b128 v[60:63], v1 offset:1760
	v_fma_f64 v[52:53], v[52:53], v[22:23], v[80:81]
	v_fma_f64 v[22:23], v[50:51], v[22:23], -v[24:25]
	v_add_f64 v[24:25], v[165:166], v[167:168]
	v_add_f64 v[50:51], v[54:55], v[76:77]
	s_waitcnt vmcnt(7) lgkmcnt(0)
	v_mul_f64 v[54:55], v[60:61], v[32:33]
	v_mul_f64 v[32:33], v[62:63], v[32:33]
	v_fma_f64 v[76:77], v[4:5], v[26:27], v[169:170]
	v_fma_f64 v[26:27], v[2:3], v[26:27], -v[28:29]
	v_add_f64 v[28:29], v[24:25], v[22:23]
	v_add_f64 v[50:51], v[50:51], v[52:53]
	ds_load_b128 v[2:5], v1 offset:1776
	ds_load_b128 v[22:25], v1 offset:1792
	v_fma_f64 v[54:55], v[62:63], v[30:31], v[54:55]
	v_fma_f64 v[30:31], v[60:61], v[30:31], -v[32:33]
	s_waitcnt vmcnt(6) lgkmcnt(1)
	v_mul_f64 v[52:53], v[2:3], v[36:37]
	v_mul_f64 v[36:37], v[4:5], v[36:37]
	v_add_f64 v[26:27], v[28:29], v[26:27]
	v_add_f64 v[28:29], v[50:51], v[76:77]
	s_waitcnt vmcnt(5) lgkmcnt(0)
	v_mul_f64 v[32:33], v[22:23], v[58:59]
	v_mul_f64 v[50:51], v[24:25], v[58:59]
	v_fma_f64 v[52:53], v[4:5], v[34:35], v[52:53]
	v_fma_f64 v[34:35], v[2:3], v[34:35], -v[36:37]
	v_add_f64 v[30:31], v[26:27], v[30:31]
	v_add_f64 v[36:37], v[28:29], v[54:55]
	ds_load_b128 v[2:5], v1 offset:1808
	ds_load_b128 v[26:29], v1 offset:1824
	v_fma_f64 v[24:25], v[24:25], v[56:57], v[32:33]
	v_fma_f64 v[22:23], v[22:23], v[56:57], -v[50:51]
	s_waitcnt vmcnt(4) lgkmcnt(1)
	v_mul_f64 v[54:55], v[2:3], v[40:41]
	v_mul_f64 v[40:41], v[4:5], v[40:41]
	;; [unrolled: 16-line block ×3, first 2 shown]
	v_add_f64 v[8:9], v[30:31], v[38:39]
	v_add_f64 v[26:27], v[32:33], v[36:37]
	s_waitcnt vmcnt(1) lgkmcnt(0)
	v_mul_f64 v[30:31], v[22:23], v[16:17]
	v_mul_f64 v[16:17], v[24:25], v[16:17]
	v_fma_f64 v[32:33], v[4:5], v[10:11], v[40:41]
	v_fma_f64 v[10:11], v[2:3], v[10:11], -v[12:13]
	ds_load_b128 v[2:5], v1 offset:1872
	v_add_f64 v[6:7], v[8:9], v[6:7]
	v_add_f64 v[8:9], v[26:27], v[28:29]
	v_fma_f64 v[24:25], v[24:25], v[14:15], v[30:31]
	v_fma_f64 v[14:15], v[22:23], v[14:15], -v[16:17]
	s_waitcnt vmcnt(0) lgkmcnt(0)
	v_mul_f64 v[12:13], v[2:3], v[20:21]
	v_mul_f64 v[20:21], v[4:5], v[20:21]
	v_add_f64 v[6:7], v[6:7], v[10:11]
	v_add_f64 v[8:9], v[8:9], v[32:33]
	s_delay_alu instid0(VALU_DEP_4) | instskip(NEXT) | instid1(VALU_DEP_4)
	v_fma_f64 v[4:5], v[4:5], v[18:19], v[12:13]
	v_fma_f64 v[2:3], v[2:3], v[18:19], -v[20:21]
	s_delay_alu instid0(VALU_DEP_4) | instskip(NEXT) | instid1(VALU_DEP_4)
	v_add_f64 v[6:7], v[6:7], v[14:15]
	v_add_f64 v[8:9], v[8:9], v[24:25]
	s_delay_alu instid0(VALU_DEP_2) | instskip(NEXT) | instid1(VALU_DEP_2)
	v_add_f64 v[2:3], v[6:7], v[2:3]
	v_add_f64 v[4:5], v[8:9], v[4:5]
	s_delay_alu instid0(VALU_DEP_2) | instskip(NEXT) | instid1(VALU_DEP_2)
	v_add_f64 v[2:3], v[42:43], -v[2:3]
	v_add_f64 v[4:5], v[44:45], -v[4:5]
	scratch_store_b128 off, v[2:5], off offset:208
	v_cmpx_lt_u32_e32 12, v164
	s_cbranch_execz .LBB58_343
; %bb.342:
	scratch_load_b128 v[5:8], v210, off
	v_mov_b32_e32 v2, v1
	v_mov_b32_e32 v3, v1
	;; [unrolled: 1-line block ×3, first 2 shown]
	scratch_store_b128 off, v[1:4], off offset:192
	s_waitcnt vmcnt(0)
	ds_store_b128 v223, v[5:8]
.LBB58_343:
	s_or_b32 exec_lo, exec_lo, s2
	s_waitcnt lgkmcnt(0)
	s_waitcnt_vscnt null, 0x0
	s_barrier
	buffer_gl0_inv
	s_clause 0x8
	scratch_load_b128 v[2:5], off, off offset:208
	scratch_load_b128 v[6:9], off, off offset:224
	;; [unrolled: 1-line block ×9, first 2 shown]
	ds_load_b128 v[42:45], v1 offset:1152
	ds_load_b128 v[38:41], v1 offset:1168
	s_clause 0x1
	scratch_load_b128 v[50:53], off, off offset:192
	scratch_load_b128 v[54:57], off, off offset:352
	s_mov_b32 s2, exec_lo
	s_waitcnt vmcnt(10) lgkmcnt(1)
	v_mul_f64 v[58:59], v[44:45], v[4:5]
	v_mul_f64 v[4:5], v[42:43], v[4:5]
	s_waitcnt vmcnt(9) lgkmcnt(0)
	v_mul_f64 v[62:63], v[38:39], v[8:9]
	v_mul_f64 v[8:9], v[40:41], v[8:9]
	s_delay_alu instid0(VALU_DEP_4) | instskip(NEXT) | instid1(VALU_DEP_4)
	v_fma_f64 v[76:77], v[42:43], v[2:3], -v[58:59]
	v_fma_f64 v[80:81], v[44:45], v[2:3], v[4:5]
	ds_load_b128 v[2:5], v1 offset:1184
	ds_load_b128 v[58:61], v1 offset:1200
	scratch_load_b128 v[42:45], off, off offset:368
	v_fma_f64 v[40:41], v[40:41], v[6:7], v[62:63]
	v_fma_f64 v[38:39], v[38:39], v[6:7], -v[8:9]
	scratch_load_b128 v[6:9], off, off offset:384
	s_waitcnt vmcnt(10) lgkmcnt(1)
	v_mul_f64 v[165:166], v[2:3], v[12:13]
	v_mul_f64 v[12:13], v[4:5], v[12:13]
	v_add_f64 v[62:63], v[76:77], 0
	v_add_f64 v[76:77], v[80:81], 0
	s_waitcnt vmcnt(9) lgkmcnt(0)
	v_mul_f64 v[80:81], v[58:59], v[16:17]
	v_mul_f64 v[16:17], v[60:61], v[16:17]
	v_fma_f64 v[165:166], v[4:5], v[10:11], v[165:166]
	v_fma_f64 v[167:168], v[2:3], v[10:11], -v[12:13]
	ds_load_b128 v[2:5], v1 offset:1216
	scratch_load_b128 v[10:13], off, off offset:400
	v_add_f64 v[62:63], v[62:63], v[38:39]
	v_add_f64 v[76:77], v[76:77], v[40:41]
	ds_load_b128 v[38:41], v1 offset:1232
	v_fma_f64 v[60:61], v[60:61], v[14:15], v[80:81]
	v_fma_f64 v[58:59], v[58:59], v[14:15], -v[16:17]
	scratch_load_b128 v[14:17], off, off offset:416
	s_waitcnt vmcnt(10) lgkmcnt(1)
	v_mul_f64 v[169:170], v[2:3], v[20:21]
	v_mul_f64 v[20:21], v[4:5], v[20:21]
	s_waitcnt vmcnt(9) lgkmcnt(0)
	v_mul_f64 v[80:81], v[38:39], v[24:25]
	v_mul_f64 v[24:25], v[40:41], v[24:25]
	v_add_f64 v[62:63], v[62:63], v[167:168]
	v_add_f64 v[76:77], v[76:77], v[165:166]
	v_fma_f64 v[165:166], v[4:5], v[18:19], v[169:170]
	v_fma_f64 v[167:168], v[2:3], v[18:19], -v[20:21]
	ds_load_b128 v[2:5], v1 offset:1248
	scratch_load_b128 v[18:21], off, off offset:432
	v_fma_f64 v[40:41], v[40:41], v[22:23], v[80:81]
	v_fma_f64 v[38:39], v[38:39], v[22:23], -v[24:25]
	scratch_load_b128 v[22:25], off, off offset:448
	v_add_f64 v[62:63], v[62:63], v[58:59]
	v_add_f64 v[76:77], v[76:77], v[60:61]
	ds_load_b128 v[58:61], v1 offset:1264
	s_waitcnt vmcnt(10) lgkmcnt(1)
	v_mul_f64 v[169:170], v[2:3], v[28:29]
	v_mul_f64 v[28:29], v[4:5], v[28:29]
	s_waitcnt vmcnt(9) lgkmcnt(0)
	v_mul_f64 v[80:81], v[58:59], v[32:33]
	v_mul_f64 v[32:33], v[60:61], v[32:33]
	v_add_f64 v[62:63], v[62:63], v[167:168]
	v_add_f64 v[76:77], v[76:77], v[165:166]
	v_fma_f64 v[165:166], v[4:5], v[26:27], v[169:170]
	v_fma_f64 v[167:168], v[2:3], v[26:27], -v[28:29]
	ds_load_b128 v[2:5], v1 offset:1280
	scratch_load_b128 v[26:29], off, off offset:464
	v_fma_f64 v[60:61], v[60:61], v[30:31], v[80:81]
	v_fma_f64 v[58:59], v[58:59], v[30:31], -v[32:33]
	scratch_load_b128 v[30:33], off, off offset:480
	v_add_f64 v[62:63], v[62:63], v[38:39]
	v_add_f64 v[76:77], v[76:77], v[40:41]
	ds_load_b128 v[38:41], v1 offset:1296
	s_waitcnt vmcnt(10) lgkmcnt(1)
	v_mul_f64 v[169:170], v[2:3], v[36:37]
	v_mul_f64 v[36:37], v[4:5], v[36:37]
	s_waitcnt vmcnt(8) lgkmcnt(0)
	v_mul_f64 v[80:81], v[38:39], v[56:57]
	v_add_f64 v[62:63], v[62:63], v[167:168]
	v_add_f64 v[76:77], v[76:77], v[165:166]
	v_mul_f64 v[165:166], v[40:41], v[56:57]
	v_fma_f64 v[167:168], v[4:5], v[34:35], v[169:170]
	v_fma_f64 v[169:170], v[2:3], v[34:35], -v[36:37]
	ds_load_b128 v[2:5], v1 offset:1312
	scratch_load_b128 v[34:37], off, off offset:496
	v_fma_f64 v[80:81], v[40:41], v[54:55], v[80:81]
	v_add_f64 v[62:63], v[62:63], v[58:59]
	v_add_f64 v[60:61], v[76:77], v[60:61]
	ds_load_b128 v[56:59], v1 offset:1328
	v_fma_f64 v[54:55], v[38:39], v[54:55], -v[165:166]
	scratch_load_b128 v[38:41], off, off offset:512
	s_waitcnt vmcnt(9) lgkmcnt(1)
	v_mul_f64 v[76:77], v[2:3], v[44:45]
	v_mul_f64 v[44:45], v[4:5], v[44:45]
	s_waitcnt vmcnt(8) lgkmcnt(0)
	v_mul_f64 v[165:166], v[56:57], v[8:9]
	v_mul_f64 v[8:9], v[58:59], v[8:9]
	v_add_f64 v[62:63], v[62:63], v[169:170]
	v_add_f64 v[60:61], v[60:61], v[167:168]
	v_fma_f64 v[76:77], v[4:5], v[42:43], v[76:77]
	v_fma_f64 v[167:168], v[2:3], v[42:43], -v[44:45]
	ds_load_b128 v[2:5], v1 offset:1344
	scratch_load_b128 v[42:45], off, off offset:528
	v_fma_f64 v[58:59], v[58:59], v[6:7], v[165:166]
	v_fma_f64 v[56:57], v[56:57], v[6:7], -v[8:9]
	scratch_load_b128 v[6:9], off, off offset:544
	v_add_f64 v[54:55], v[62:63], v[54:55]
	v_add_f64 v[80:81], v[60:61], v[80:81]
	ds_load_b128 v[60:63], v1 offset:1360
	s_waitcnt vmcnt(9) lgkmcnt(1)
	v_mul_f64 v[169:170], v[2:3], v[12:13]
	v_mul_f64 v[12:13], v[4:5], v[12:13]
	v_add_f64 v[54:55], v[54:55], v[167:168]
	v_add_f64 v[76:77], v[80:81], v[76:77]
	s_waitcnt vmcnt(8) lgkmcnt(0)
	v_mul_f64 v[80:81], v[60:61], v[16:17]
	v_mul_f64 v[16:17], v[62:63], v[16:17]
	v_fma_f64 v[165:166], v[4:5], v[10:11], v[169:170]
	v_fma_f64 v[167:168], v[2:3], v[10:11], -v[12:13]
	ds_load_b128 v[2:5], v1 offset:1376
	scratch_load_b128 v[10:13], off, off offset:560
	v_add_f64 v[169:170], v[54:55], v[56:57]
	v_add_f64 v[58:59], v[76:77], v[58:59]
	ds_load_b128 v[54:57], v1 offset:1392
	s_waitcnt vmcnt(8) lgkmcnt(1)
	v_mul_f64 v[76:77], v[2:3], v[20:21]
	v_mul_f64 v[20:21], v[4:5], v[20:21]
	v_fma_f64 v[62:63], v[62:63], v[14:15], v[80:81]
	v_fma_f64 v[60:61], v[60:61], v[14:15], -v[16:17]
	scratch_load_b128 v[14:17], off, off offset:576
	v_add_f64 v[80:81], v[169:170], v[167:168]
	v_add_f64 v[58:59], v[58:59], v[165:166]
	s_waitcnt vmcnt(8) lgkmcnt(0)
	v_mul_f64 v[165:166], v[54:55], v[24:25]
	v_mul_f64 v[24:25], v[56:57], v[24:25]
	v_fma_f64 v[76:77], v[4:5], v[18:19], v[76:77]
	v_fma_f64 v[167:168], v[2:3], v[18:19], -v[20:21]
	ds_load_b128 v[2:5], v1 offset:1408
	scratch_load_b128 v[18:21], off, off offset:592
	v_add_f64 v[80:81], v[80:81], v[60:61]
	v_add_f64 v[62:63], v[58:59], v[62:63]
	ds_load_b128 v[58:61], v1 offset:1424
	s_waitcnt vmcnt(8) lgkmcnt(1)
	v_mul_f64 v[169:170], v[2:3], v[28:29]
	v_mul_f64 v[28:29], v[4:5], v[28:29]
	v_fma_f64 v[56:57], v[56:57], v[22:23], v[165:166]
	v_fma_f64 v[54:55], v[54:55], v[22:23], -v[24:25]
	scratch_load_b128 v[22:25], off, off offset:608
	;; [unrolled: 18-line block ×4, first 2 shown]
	s_waitcnt vmcnt(8) lgkmcnt(0)
	v_mul_f64 v[80:81], v[58:59], v[8:9]
	v_mul_f64 v[8:9], v[60:61], v[8:9]
	v_add_f64 v[76:77], v[76:77], v[167:168]
	v_add_f64 v[62:63], v[62:63], v[165:166]
	v_fma_f64 v[165:166], v[4:5], v[42:43], v[169:170]
	v_fma_f64 v[167:168], v[2:3], v[42:43], -v[44:45]
	ds_load_b128 v[2:5], v1 offset:1504
	scratch_load_b128 v[42:45], off, off offset:688
	v_fma_f64 v[60:61], v[60:61], v[6:7], v[80:81]
	v_fma_f64 v[58:59], v[58:59], v[6:7], -v[8:9]
	scratch_load_b128 v[6:9], off, off offset:704
	v_add_f64 v[76:77], v[76:77], v[54:55]
	v_add_f64 v[62:63], v[62:63], v[56:57]
	ds_load_b128 v[54:57], v1 offset:1520
	s_waitcnt vmcnt(9) lgkmcnt(1)
	v_mul_f64 v[169:170], v[2:3], v[12:13]
	v_mul_f64 v[12:13], v[4:5], v[12:13]
	s_waitcnt vmcnt(8) lgkmcnt(0)
	v_mul_f64 v[80:81], v[54:55], v[16:17]
	v_mul_f64 v[16:17], v[56:57], v[16:17]
	v_add_f64 v[76:77], v[76:77], v[167:168]
	v_add_f64 v[62:63], v[62:63], v[165:166]
	v_fma_f64 v[165:166], v[4:5], v[10:11], v[169:170]
	v_fma_f64 v[167:168], v[2:3], v[10:11], -v[12:13]
	ds_load_b128 v[2:5], v1 offset:1536
	scratch_load_b128 v[10:13], off, off offset:720
	v_fma_f64 v[56:57], v[56:57], v[14:15], v[80:81]
	v_fma_f64 v[54:55], v[54:55], v[14:15], -v[16:17]
	scratch_load_b128 v[14:17], off, off offset:736
	v_add_f64 v[76:77], v[76:77], v[58:59]
	v_add_f64 v[62:63], v[62:63], v[60:61]
	ds_load_b128 v[58:61], v1 offset:1552
	s_waitcnt vmcnt(9) lgkmcnt(1)
	v_mul_f64 v[169:170], v[2:3], v[20:21]
	v_mul_f64 v[20:21], v[4:5], v[20:21]
	;; [unrolled: 18-line block ×8, first 2 shown]
	s_waitcnt vmcnt(8) lgkmcnt(0)
	v_mul_f64 v[80:81], v[58:59], v[32:33]
	v_mul_f64 v[32:33], v[60:61], v[32:33]
	v_add_f64 v[76:77], v[76:77], v[167:168]
	v_add_f64 v[62:63], v[62:63], v[165:166]
	v_fma_f64 v[165:166], v[4:5], v[26:27], v[169:170]
	v_fma_f64 v[167:168], v[2:3], v[26:27], -v[28:29]
	ds_load_b128 v[2:5], v1 offset:1760
	ds_load_b128 v[26:29], v1 offset:1776
	v_fma_f64 v[60:61], v[60:61], v[30:31], v[80:81]
	v_fma_f64 v[30:31], v[58:59], v[30:31], -v[32:33]
	v_add_f64 v[54:55], v[76:77], v[54:55]
	v_add_f64 v[56:57], v[62:63], v[56:57]
	s_waitcnt vmcnt(7) lgkmcnt(1)
	v_mul_f64 v[62:63], v[2:3], v[36:37]
	v_mul_f64 v[36:37], v[4:5], v[36:37]
	s_delay_alu instid0(VALU_DEP_4) | instskip(NEXT) | instid1(VALU_DEP_4)
	v_add_f64 v[32:33], v[54:55], v[167:168]
	v_add_f64 v[54:55], v[56:57], v[165:166]
	s_waitcnt vmcnt(6) lgkmcnt(0)
	v_mul_f64 v[56:57], v[26:27], v[40:41]
	v_mul_f64 v[40:41], v[28:29], v[40:41]
	v_fma_f64 v[58:59], v[4:5], v[34:35], v[62:63]
	v_fma_f64 v[34:35], v[2:3], v[34:35], -v[36:37]
	v_add_f64 v[36:37], v[32:33], v[30:31]
	v_add_f64 v[54:55], v[54:55], v[60:61]
	ds_load_b128 v[2:5], v1 offset:1792
	ds_load_b128 v[30:33], v1 offset:1808
	v_fma_f64 v[28:29], v[28:29], v[38:39], v[56:57]
	v_fma_f64 v[26:27], v[26:27], v[38:39], -v[40:41]
	s_waitcnt vmcnt(5) lgkmcnt(1)
	v_mul_f64 v[60:61], v[2:3], v[44:45]
	v_mul_f64 v[44:45], v[4:5], v[44:45]
	s_waitcnt vmcnt(4) lgkmcnt(0)
	v_mul_f64 v[38:39], v[30:31], v[8:9]
	v_mul_f64 v[8:9], v[32:33], v[8:9]
	v_add_f64 v[34:35], v[36:37], v[34:35]
	v_add_f64 v[36:37], v[54:55], v[58:59]
	v_fma_f64 v[40:41], v[4:5], v[42:43], v[60:61]
	v_fma_f64 v[42:43], v[2:3], v[42:43], -v[44:45]
	v_fma_f64 v[32:33], v[32:33], v[6:7], v[38:39]
	v_fma_f64 v[6:7], v[30:31], v[6:7], -v[8:9]
	v_add_f64 v[34:35], v[34:35], v[26:27]
	v_add_f64 v[36:37], v[36:37], v[28:29]
	ds_load_b128 v[2:5], v1 offset:1824
	ds_load_b128 v[26:29], v1 offset:1840
	s_waitcnt vmcnt(3) lgkmcnt(1)
	v_mul_f64 v[44:45], v[2:3], v[12:13]
	v_mul_f64 v[12:13], v[4:5], v[12:13]
	v_add_f64 v[8:9], v[34:35], v[42:43]
	v_add_f64 v[30:31], v[36:37], v[40:41]
	s_waitcnt vmcnt(2) lgkmcnt(0)
	v_mul_f64 v[34:35], v[26:27], v[16:17]
	v_mul_f64 v[16:17], v[28:29], v[16:17]
	v_fma_f64 v[36:37], v[4:5], v[10:11], v[44:45]
	v_fma_f64 v[10:11], v[2:3], v[10:11], -v[12:13]
	v_add_f64 v[12:13], v[8:9], v[6:7]
	v_add_f64 v[30:31], v[30:31], v[32:33]
	ds_load_b128 v[2:5], v1 offset:1856
	ds_load_b128 v[6:9], v1 offset:1872
	v_fma_f64 v[28:29], v[28:29], v[14:15], v[34:35]
	v_fma_f64 v[14:15], v[26:27], v[14:15], -v[16:17]
	s_waitcnt vmcnt(1) lgkmcnt(1)
	v_mul_f64 v[32:33], v[2:3], v[20:21]
	v_mul_f64 v[20:21], v[4:5], v[20:21]
	s_waitcnt vmcnt(0) lgkmcnt(0)
	v_mul_f64 v[16:17], v[6:7], v[24:25]
	v_mul_f64 v[24:25], v[8:9], v[24:25]
	v_add_f64 v[10:11], v[12:13], v[10:11]
	v_add_f64 v[12:13], v[30:31], v[36:37]
	v_fma_f64 v[4:5], v[4:5], v[18:19], v[32:33]
	v_fma_f64 v[1:2], v[2:3], v[18:19], -v[20:21]
	v_fma_f64 v[8:9], v[8:9], v[22:23], v[16:17]
	v_fma_f64 v[6:7], v[6:7], v[22:23], -v[24:25]
	v_add_f64 v[10:11], v[10:11], v[14:15]
	v_add_f64 v[12:13], v[12:13], v[28:29]
	s_delay_alu instid0(VALU_DEP_2) | instskip(NEXT) | instid1(VALU_DEP_2)
	v_add_f64 v[1:2], v[10:11], v[1:2]
	v_add_f64 v[3:4], v[12:13], v[4:5]
	s_delay_alu instid0(VALU_DEP_2) | instskip(NEXT) | instid1(VALU_DEP_2)
	v_add_f64 v[1:2], v[1:2], v[6:7]
	v_add_f64 v[3:4], v[3:4], v[8:9]
	s_delay_alu instid0(VALU_DEP_2) | instskip(NEXT) | instid1(VALU_DEP_2)
	v_add_f64 v[1:2], v[50:51], -v[1:2]
	v_add_f64 v[3:4], v[52:53], -v[3:4]
	scratch_store_b128 off, v[1:4], off offset:192
	v_cmpx_lt_u32_e32 11, v164
	s_cbranch_execz .LBB58_345
; %bb.344:
	scratch_load_b128 v[1:4], v212, off
	v_mov_b32_e32 v5, 0
	s_delay_alu instid0(VALU_DEP_1)
	v_mov_b32_e32 v6, v5
	v_mov_b32_e32 v7, v5
	;; [unrolled: 1-line block ×3, first 2 shown]
	scratch_store_b128 off, v[5:8], off offset:176
	s_waitcnt vmcnt(0)
	ds_store_b128 v223, v[1:4]
.LBB58_345:
	s_or_b32 exec_lo, exec_lo, s2
	s_waitcnt lgkmcnt(0)
	s_waitcnt_vscnt null, 0x0
	s_barrier
	buffer_gl0_inv
	s_clause 0x7
	scratch_load_b128 v[2:5], off, off offset:192
	scratch_load_b128 v[6:9], off, off offset:208
	;; [unrolled: 1-line block ×8, first 2 shown]
	v_mov_b32_e32 v1, 0
	s_mov_b32 s2, exec_lo
	ds_load_b128 v[38:41], v1 offset:1136
	s_clause 0x1
	scratch_load_b128 v[34:37], off, off offset:320
	scratch_load_b128 v[42:45], off, off offset:176
	ds_load_b128 v[50:53], v1 offset:1152
	scratch_load_b128 v[54:57], off, off offset:336
	s_waitcnt vmcnt(10) lgkmcnt(1)
	v_mul_f64 v[58:59], v[40:41], v[4:5]
	v_mul_f64 v[4:5], v[38:39], v[4:5]
	s_delay_alu instid0(VALU_DEP_2) | instskip(NEXT) | instid1(VALU_DEP_2)
	v_fma_f64 v[76:77], v[38:39], v[2:3], -v[58:59]
	v_fma_f64 v[80:81], v[40:41], v[2:3], v[4:5]
	scratch_load_b128 v[38:41], off, off offset:352
	ds_load_b128 v[2:5], v1 offset:1168
	s_waitcnt vmcnt(10) lgkmcnt(1)
	v_mul_f64 v[62:63], v[50:51], v[8:9]
	v_mul_f64 v[8:9], v[52:53], v[8:9]
	ds_load_b128 v[58:61], v1 offset:1184
	s_waitcnt vmcnt(9) lgkmcnt(1)
	v_mul_f64 v[165:166], v[2:3], v[12:13]
	v_mul_f64 v[12:13], v[4:5], v[12:13]
	v_fma_f64 v[52:53], v[52:53], v[6:7], v[62:63]
	v_fma_f64 v[50:51], v[50:51], v[6:7], -v[8:9]
	v_add_f64 v[62:63], v[76:77], 0
	v_add_f64 v[76:77], v[80:81], 0
	scratch_load_b128 v[6:9], off, off offset:368
	v_fma_f64 v[165:166], v[4:5], v[10:11], v[165:166]
	v_fma_f64 v[167:168], v[2:3], v[10:11], -v[12:13]
	scratch_load_b128 v[10:13], off, off offset:384
	ds_load_b128 v[2:5], v1 offset:1200
	s_waitcnt vmcnt(10) lgkmcnt(1)
	v_mul_f64 v[80:81], v[58:59], v[16:17]
	v_mul_f64 v[16:17], v[60:61], v[16:17]
	v_add_f64 v[62:63], v[62:63], v[50:51]
	v_add_f64 v[76:77], v[76:77], v[52:53]
	s_waitcnt vmcnt(9) lgkmcnt(0)
	v_mul_f64 v[169:170], v[2:3], v[20:21]
	v_mul_f64 v[20:21], v[4:5], v[20:21]
	ds_load_b128 v[50:53], v1 offset:1216
	v_fma_f64 v[60:61], v[60:61], v[14:15], v[80:81]
	v_fma_f64 v[58:59], v[58:59], v[14:15], -v[16:17]
	scratch_load_b128 v[14:17], off, off offset:400
	v_add_f64 v[62:63], v[62:63], v[167:168]
	v_add_f64 v[76:77], v[76:77], v[165:166]
	v_fma_f64 v[165:166], v[4:5], v[18:19], v[169:170]
	v_fma_f64 v[167:168], v[2:3], v[18:19], -v[20:21]
	scratch_load_b128 v[18:21], off, off offset:416
	ds_load_b128 v[2:5], v1 offset:1232
	s_waitcnt vmcnt(10) lgkmcnt(1)
	v_mul_f64 v[80:81], v[50:51], v[24:25]
	v_mul_f64 v[24:25], v[52:53], v[24:25]
	s_waitcnt vmcnt(9) lgkmcnt(0)
	v_mul_f64 v[169:170], v[2:3], v[28:29]
	v_mul_f64 v[28:29], v[4:5], v[28:29]
	v_add_f64 v[62:63], v[62:63], v[58:59]
	v_add_f64 v[76:77], v[76:77], v[60:61]
	ds_load_b128 v[58:61], v1 offset:1248
	v_fma_f64 v[52:53], v[52:53], v[22:23], v[80:81]
	v_fma_f64 v[50:51], v[50:51], v[22:23], -v[24:25]
	scratch_load_b128 v[22:25], off, off offset:432
	v_add_f64 v[62:63], v[62:63], v[167:168]
	v_add_f64 v[76:77], v[76:77], v[165:166]
	v_fma_f64 v[165:166], v[4:5], v[26:27], v[169:170]
	v_fma_f64 v[167:168], v[2:3], v[26:27], -v[28:29]
	scratch_load_b128 v[26:29], off, off offset:448
	ds_load_b128 v[2:5], v1 offset:1264
	s_waitcnt vmcnt(10) lgkmcnt(1)
	v_mul_f64 v[80:81], v[58:59], v[32:33]
	v_mul_f64 v[32:33], v[60:61], v[32:33]
	s_waitcnt vmcnt(9) lgkmcnt(0)
	v_mul_f64 v[169:170], v[2:3], v[36:37]
	v_mul_f64 v[36:37], v[4:5], v[36:37]
	v_add_f64 v[62:63], v[62:63], v[50:51]
	v_add_f64 v[76:77], v[76:77], v[52:53]
	ds_load_b128 v[50:53], v1 offset:1280
	v_fma_f64 v[60:61], v[60:61], v[30:31], v[80:81]
	v_fma_f64 v[58:59], v[58:59], v[30:31], -v[32:33]
	scratch_load_b128 v[30:33], off, off offset:464
	v_add_f64 v[62:63], v[62:63], v[167:168]
	v_add_f64 v[76:77], v[76:77], v[165:166]
	v_fma_f64 v[167:168], v[4:5], v[34:35], v[169:170]
	v_fma_f64 v[169:170], v[2:3], v[34:35], -v[36:37]
	scratch_load_b128 v[34:37], off, off offset:480
	ds_load_b128 v[2:5], v1 offset:1296
	s_waitcnt vmcnt(9) lgkmcnt(1)
	v_mul_f64 v[80:81], v[50:51], v[56:57]
	v_mul_f64 v[165:166], v[52:53], v[56:57]
	v_add_f64 v[62:63], v[62:63], v[58:59]
	v_add_f64 v[60:61], v[76:77], v[60:61]
	ds_load_b128 v[56:59], v1 offset:1312
	v_fma_f64 v[80:81], v[52:53], v[54:55], v[80:81]
	v_fma_f64 v[54:55], v[50:51], v[54:55], -v[165:166]
	scratch_load_b128 v[50:53], off, off offset:496
	s_waitcnt vmcnt(9) lgkmcnt(1)
	v_mul_f64 v[76:77], v[2:3], v[40:41]
	v_mul_f64 v[40:41], v[4:5], v[40:41]
	v_add_f64 v[62:63], v[62:63], v[169:170]
	v_add_f64 v[60:61], v[60:61], v[167:168]
	s_delay_alu instid0(VALU_DEP_4) | instskip(NEXT) | instid1(VALU_DEP_4)
	v_fma_f64 v[76:77], v[4:5], v[38:39], v[76:77]
	v_fma_f64 v[167:168], v[2:3], v[38:39], -v[40:41]
	scratch_load_b128 v[38:41], off, off offset:512
	ds_load_b128 v[2:5], v1 offset:1328
	s_waitcnt vmcnt(9) lgkmcnt(1)
	v_mul_f64 v[165:166], v[56:57], v[8:9]
	v_mul_f64 v[8:9], v[58:59], v[8:9]
	s_waitcnt vmcnt(8) lgkmcnt(0)
	v_mul_f64 v[169:170], v[2:3], v[12:13]
	v_mul_f64 v[12:13], v[4:5], v[12:13]
	v_add_f64 v[54:55], v[62:63], v[54:55]
	v_add_f64 v[80:81], v[60:61], v[80:81]
	ds_load_b128 v[60:63], v1 offset:1344
	v_fma_f64 v[58:59], v[58:59], v[6:7], v[165:166]
	v_fma_f64 v[56:57], v[56:57], v[6:7], -v[8:9]
	scratch_load_b128 v[6:9], off, off offset:528
	v_fma_f64 v[165:166], v[4:5], v[10:11], v[169:170]
	v_add_f64 v[54:55], v[54:55], v[167:168]
	v_add_f64 v[76:77], v[80:81], v[76:77]
	v_fma_f64 v[167:168], v[2:3], v[10:11], -v[12:13]
	scratch_load_b128 v[10:13], off, off offset:544
	ds_load_b128 v[2:5], v1 offset:1360
	s_waitcnt vmcnt(9) lgkmcnt(1)
	v_mul_f64 v[80:81], v[60:61], v[16:17]
	v_mul_f64 v[16:17], v[62:63], v[16:17]
	v_add_f64 v[169:170], v[54:55], v[56:57]
	v_add_f64 v[58:59], v[76:77], v[58:59]
	s_waitcnt vmcnt(8) lgkmcnt(0)
	v_mul_f64 v[76:77], v[2:3], v[20:21]
	v_mul_f64 v[20:21], v[4:5], v[20:21]
	ds_load_b128 v[54:57], v1 offset:1376
	v_fma_f64 v[62:63], v[62:63], v[14:15], v[80:81]
	v_fma_f64 v[60:61], v[60:61], v[14:15], -v[16:17]
	scratch_load_b128 v[14:17], off, off offset:560
	v_add_f64 v[80:81], v[169:170], v[167:168]
	v_add_f64 v[58:59], v[58:59], v[165:166]
	v_fma_f64 v[76:77], v[4:5], v[18:19], v[76:77]
	v_fma_f64 v[167:168], v[2:3], v[18:19], -v[20:21]
	scratch_load_b128 v[18:21], off, off offset:576
	ds_load_b128 v[2:5], v1 offset:1392
	s_waitcnt vmcnt(9) lgkmcnt(1)
	v_mul_f64 v[165:166], v[54:55], v[24:25]
	v_mul_f64 v[24:25], v[56:57], v[24:25]
	s_waitcnt vmcnt(8) lgkmcnt(0)
	v_mul_f64 v[169:170], v[2:3], v[28:29]
	v_mul_f64 v[28:29], v[4:5], v[28:29]
	v_add_f64 v[80:81], v[80:81], v[60:61]
	v_add_f64 v[62:63], v[58:59], v[62:63]
	ds_load_b128 v[58:61], v1 offset:1408
	v_fma_f64 v[56:57], v[56:57], v[22:23], v[165:166]
	v_fma_f64 v[54:55], v[54:55], v[22:23], -v[24:25]
	scratch_load_b128 v[22:25], off, off offset:592
	v_fma_f64 v[165:166], v[4:5], v[26:27], v[169:170]
	v_add_f64 v[80:81], v[80:81], v[167:168]
	v_add_f64 v[62:63], v[62:63], v[76:77]
	v_fma_f64 v[167:168], v[2:3], v[26:27], -v[28:29]
	scratch_load_b128 v[26:29], off, off offset:608
	ds_load_b128 v[2:5], v1 offset:1424
	s_waitcnt vmcnt(9) lgkmcnt(1)
	v_mul_f64 v[76:77], v[58:59], v[32:33]
	v_mul_f64 v[32:33], v[60:61], v[32:33]
	s_waitcnt vmcnt(8) lgkmcnt(0)
	v_mul_f64 v[169:170], v[2:3], v[36:37]
	v_mul_f64 v[36:37], v[4:5], v[36:37]
	v_add_f64 v[80:81], v[80:81], v[54:55]
	v_add_f64 v[62:63], v[62:63], v[56:57]
	ds_load_b128 v[54:57], v1 offset:1440
	v_fma_f64 v[60:61], v[60:61], v[30:31], v[76:77]
	v_fma_f64 v[58:59], v[58:59], v[30:31], -v[32:33]
	scratch_load_b128 v[30:33], off, off offset:624
	v_add_f64 v[76:77], v[80:81], v[167:168]
	v_add_f64 v[62:63], v[62:63], v[165:166]
	v_fma_f64 v[165:166], v[4:5], v[34:35], v[169:170]
	v_fma_f64 v[167:168], v[2:3], v[34:35], -v[36:37]
	scratch_load_b128 v[34:37], off, off offset:640
	ds_load_b128 v[2:5], v1 offset:1456
	s_waitcnt vmcnt(9) lgkmcnt(1)
	v_mul_f64 v[80:81], v[54:55], v[52:53]
	v_mul_f64 v[52:53], v[56:57], v[52:53]
	s_waitcnt vmcnt(8) lgkmcnt(0)
	v_mul_f64 v[169:170], v[2:3], v[40:41]
	v_mul_f64 v[40:41], v[4:5], v[40:41]
	v_add_f64 v[76:77], v[76:77], v[58:59]
	v_add_f64 v[62:63], v[62:63], v[60:61]
	ds_load_b128 v[58:61], v1 offset:1472
	v_fma_f64 v[56:57], v[56:57], v[50:51], v[80:81]
	v_fma_f64 v[54:55], v[54:55], v[50:51], -v[52:53]
	scratch_load_b128 v[50:53], off, off offset:656
	v_add_f64 v[76:77], v[76:77], v[167:168]
	v_add_f64 v[62:63], v[62:63], v[165:166]
	v_fma_f64 v[165:166], v[4:5], v[38:39], v[169:170]
	;; [unrolled: 18-line block ×6, first 2 shown]
	v_fma_f64 v[169:170], v[2:3], v[34:35], -v[36:37]
	scratch_load_b128 v[34:37], off, off offset:800
	ds_load_b128 v[2:5], v1 offset:1616
	s_waitcnt vmcnt(9) lgkmcnt(1)
	v_mul_f64 v[80:81], v[58:59], v[52:53]
	v_mul_f64 v[165:166], v[60:61], v[52:53]
	v_add_f64 v[76:77], v[76:77], v[54:55]
	v_add_f64 v[56:57], v[62:63], v[56:57]
	s_waitcnt vmcnt(8) lgkmcnt(0)
	v_mul_f64 v[62:63], v[2:3], v[40:41]
	v_mul_f64 v[40:41], v[4:5], v[40:41]
	ds_load_b128 v[52:55], v1 offset:1632
	v_fma_f64 v[60:61], v[60:61], v[50:51], v[80:81]
	v_fma_f64 v[50:51], v[58:59], v[50:51], -v[165:166]
	v_add_f64 v[76:77], v[76:77], v[169:170]
	v_add_f64 v[80:81], v[56:57], v[167:168]
	scratch_load_b128 v[56:59], off, off offset:816
	v_fma_f64 v[167:168], v[4:5], v[38:39], v[62:63]
	v_fma_f64 v[169:170], v[2:3], v[38:39], -v[40:41]
	scratch_load_b128 v[38:41], off, off offset:832
	ds_load_b128 v[2:5], v1 offset:1648
	s_waitcnt vmcnt(9) lgkmcnt(1)
	v_mul_f64 v[165:166], v[52:53], v[8:9]
	v_mul_f64 v[8:9], v[54:55], v[8:9]
	v_add_f64 v[50:51], v[76:77], v[50:51]
	v_add_f64 v[76:77], v[80:81], v[60:61]
	s_waitcnt vmcnt(8) lgkmcnt(0)
	v_mul_f64 v[80:81], v[2:3], v[12:13]
	v_mul_f64 v[12:13], v[4:5], v[12:13]
	ds_load_b128 v[60:63], v1 offset:1664
	v_fma_f64 v[54:55], v[54:55], v[6:7], v[165:166]
	v_fma_f64 v[52:53], v[52:53], v[6:7], -v[8:9]
	scratch_load_b128 v[6:9], off, off offset:848
	v_add_f64 v[50:51], v[50:51], v[169:170]
	v_add_f64 v[76:77], v[76:77], v[167:168]
	v_fma_f64 v[80:81], v[4:5], v[10:11], v[80:81]
	v_fma_f64 v[167:168], v[2:3], v[10:11], -v[12:13]
	scratch_load_b128 v[10:13], off, off offset:864
	ds_load_b128 v[2:5], v1 offset:1680
	s_waitcnt vmcnt(9) lgkmcnt(1)
	v_mul_f64 v[165:166], v[60:61], v[16:17]
	v_mul_f64 v[16:17], v[62:63], v[16:17]
	v_add_f64 v[169:170], v[50:51], v[52:53]
	v_add_f64 v[54:55], v[76:77], v[54:55]
	s_waitcnt vmcnt(8) lgkmcnt(0)
	v_mul_f64 v[76:77], v[2:3], v[20:21]
	v_mul_f64 v[20:21], v[4:5], v[20:21]
	ds_load_b128 v[50:53], v1 offset:1696
	v_fma_f64 v[62:63], v[62:63], v[14:15], v[165:166]
	v_fma_f64 v[60:61], v[60:61], v[14:15], -v[16:17]
	scratch_load_b128 v[14:17], off, off offset:880
	v_add_f64 v[165:166], v[169:170], v[167:168]
	v_add_f64 v[54:55], v[54:55], v[80:81]
	v_fma_f64 v[76:77], v[4:5], v[18:19], v[76:77]
	v_fma_f64 v[167:168], v[2:3], v[18:19], -v[20:21]
	scratch_load_b128 v[18:21], off, off offset:896
	ds_load_b128 v[2:5], v1 offset:1712
	s_waitcnt vmcnt(9) lgkmcnt(1)
	v_mul_f64 v[80:81], v[50:51], v[24:25]
	v_mul_f64 v[24:25], v[52:53], v[24:25]
	s_waitcnt vmcnt(8) lgkmcnt(0)
	v_mul_f64 v[169:170], v[2:3], v[28:29]
	v_mul_f64 v[28:29], v[4:5], v[28:29]
	v_add_f64 v[165:166], v[165:166], v[60:61]
	v_add_f64 v[54:55], v[54:55], v[62:63]
	ds_load_b128 v[60:63], v1 offset:1728
	v_fma_f64 v[52:53], v[52:53], v[22:23], v[80:81]
	v_fma_f64 v[50:51], v[50:51], v[22:23], -v[24:25]
	scratch_load_b128 v[22:25], off, off offset:912
	v_add_f64 v[80:81], v[165:166], v[167:168]
	v_add_f64 v[54:55], v[54:55], v[76:77]
	v_fma_f64 v[165:166], v[4:5], v[26:27], v[169:170]
	v_fma_f64 v[167:168], v[2:3], v[26:27], -v[28:29]
	scratch_load_b128 v[26:29], off, off offset:928
	ds_load_b128 v[2:5], v1 offset:1744
	s_waitcnt vmcnt(9) lgkmcnt(1)
	v_mul_f64 v[76:77], v[60:61], v[32:33]
	v_mul_f64 v[32:33], v[62:63], v[32:33]
	s_waitcnt vmcnt(8) lgkmcnt(0)
	v_mul_f64 v[169:170], v[2:3], v[36:37]
	v_mul_f64 v[36:37], v[4:5], v[36:37]
	v_add_f64 v[80:81], v[80:81], v[50:51]
	v_add_f64 v[54:55], v[54:55], v[52:53]
	ds_load_b128 v[50:53], v1 offset:1760
	v_fma_f64 v[62:63], v[62:63], v[30:31], v[76:77]
	v_fma_f64 v[30:31], v[60:61], v[30:31], -v[32:33]
	v_fma_f64 v[76:77], v[4:5], v[34:35], v[169:170]
	v_fma_f64 v[34:35], v[2:3], v[34:35], -v[36:37]
	v_add_f64 v[32:33], v[80:81], v[167:168]
	v_add_f64 v[54:55], v[54:55], v[165:166]
	s_waitcnt vmcnt(7) lgkmcnt(0)
	v_mul_f64 v[60:61], v[50:51], v[58:59]
	v_mul_f64 v[58:59], v[52:53], v[58:59]
	s_delay_alu instid0(VALU_DEP_4) | instskip(NEXT) | instid1(VALU_DEP_4)
	v_add_f64 v[36:37], v[32:33], v[30:31]
	v_add_f64 v[54:55], v[54:55], v[62:63]
	ds_load_b128 v[2:5], v1 offset:1776
	ds_load_b128 v[30:33], v1 offset:1792
	v_fma_f64 v[52:53], v[52:53], v[56:57], v[60:61]
	v_fma_f64 v[50:51], v[50:51], v[56:57], -v[58:59]
	s_waitcnt vmcnt(6) lgkmcnt(1)
	v_mul_f64 v[62:63], v[2:3], v[40:41]
	v_mul_f64 v[40:41], v[4:5], v[40:41]
	v_add_f64 v[34:35], v[36:37], v[34:35]
	v_add_f64 v[36:37], v[54:55], v[76:77]
	s_waitcnt vmcnt(5) lgkmcnt(0)
	v_mul_f64 v[54:55], v[30:31], v[8:9]
	v_mul_f64 v[8:9], v[32:33], v[8:9]
	v_fma_f64 v[56:57], v[4:5], v[38:39], v[62:63]
	v_fma_f64 v[38:39], v[2:3], v[38:39], -v[40:41]
	v_add_f64 v[40:41], v[34:35], v[50:51]
	v_add_f64 v[50:51], v[36:37], v[52:53]
	ds_load_b128 v[2:5], v1 offset:1808
	ds_load_b128 v[34:37], v1 offset:1824
	v_fma_f64 v[32:33], v[32:33], v[6:7], v[54:55]
	v_fma_f64 v[6:7], v[30:31], v[6:7], -v[8:9]
	s_waitcnt vmcnt(4) lgkmcnt(1)
	v_mul_f64 v[52:53], v[2:3], v[12:13]
	v_mul_f64 v[12:13], v[4:5], v[12:13]
	v_add_f64 v[8:9], v[40:41], v[38:39]
	v_add_f64 v[30:31], v[50:51], v[56:57]
	s_waitcnt vmcnt(3) lgkmcnt(0)
	v_mul_f64 v[38:39], v[34:35], v[16:17]
	v_mul_f64 v[16:17], v[36:37], v[16:17]
	v_fma_f64 v[40:41], v[4:5], v[10:11], v[52:53]
	v_fma_f64 v[10:11], v[2:3], v[10:11], -v[12:13]
	v_add_f64 v[12:13], v[8:9], v[6:7]
	v_add_f64 v[30:31], v[30:31], v[32:33]
	ds_load_b128 v[2:5], v1 offset:1840
	ds_load_b128 v[6:9], v1 offset:1856
	v_fma_f64 v[36:37], v[36:37], v[14:15], v[38:39]
	v_fma_f64 v[14:15], v[34:35], v[14:15], -v[16:17]
	s_waitcnt vmcnt(2) lgkmcnt(1)
	v_mul_f64 v[32:33], v[2:3], v[20:21]
	v_mul_f64 v[20:21], v[4:5], v[20:21]
	s_waitcnt vmcnt(1) lgkmcnt(0)
	v_mul_f64 v[16:17], v[6:7], v[24:25]
	v_mul_f64 v[24:25], v[8:9], v[24:25]
	v_add_f64 v[10:11], v[12:13], v[10:11]
	v_add_f64 v[12:13], v[30:31], v[40:41]
	v_fma_f64 v[30:31], v[4:5], v[18:19], v[32:33]
	v_fma_f64 v[18:19], v[2:3], v[18:19], -v[20:21]
	ds_load_b128 v[2:5], v1 offset:1872
	v_fma_f64 v[8:9], v[8:9], v[22:23], v[16:17]
	v_fma_f64 v[6:7], v[6:7], v[22:23], -v[24:25]
	v_add_f64 v[10:11], v[10:11], v[14:15]
	v_add_f64 v[12:13], v[12:13], v[36:37]
	s_waitcnt vmcnt(0) lgkmcnt(0)
	v_mul_f64 v[14:15], v[2:3], v[28:29]
	v_mul_f64 v[20:21], v[4:5], v[28:29]
	s_delay_alu instid0(VALU_DEP_4) | instskip(NEXT) | instid1(VALU_DEP_4)
	v_add_f64 v[10:11], v[10:11], v[18:19]
	v_add_f64 v[12:13], v[12:13], v[30:31]
	s_delay_alu instid0(VALU_DEP_4) | instskip(NEXT) | instid1(VALU_DEP_4)
	v_fma_f64 v[4:5], v[4:5], v[26:27], v[14:15]
	v_fma_f64 v[2:3], v[2:3], v[26:27], -v[20:21]
	s_delay_alu instid0(VALU_DEP_4) | instskip(NEXT) | instid1(VALU_DEP_4)
	v_add_f64 v[6:7], v[10:11], v[6:7]
	v_add_f64 v[8:9], v[12:13], v[8:9]
	s_delay_alu instid0(VALU_DEP_2) | instskip(NEXT) | instid1(VALU_DEP_2)
	v_add_f64 v[2:3], v[6:7], v[2:3]
	v_add_f64 v[4:5], v[8:9], v[4:5]
	s_delay_alu instid0(VALU_DEP_2) | instskip(NEXT) | instid1(VALU_DEP_2)
	v_add_f64 v[2:3], v[42:43], -v[2:3]
	v_add_f64 v[4:5], v[44:45], -v[4:5]
	scratch_store_b128 off, v[2:5], off offset:176
	v_cmpx_lt_u32_e32 10, v164
	s_cbranch_execz .LBB58_347
; %bb.346:
	scratch_load_b128 v[5:8], v213, off
	v_mov_b32_e32 v2, v1
	v_mov_b32_e32 v3, v1
	;; [unrolled: 1-line block ×3, first 2 shown]
	scratch_store_b128 off, v[1:4], off offset:160
	s_waitcnt vmcnt(0)
	ds_store_b128 v223, v[5:8]
.LBB58_347:
	s_or_b32 exec_lo, exec_lo, s2
	s_waitcnt lgkmcnt(0)
	s_waitcnt_vscnt null, 0x0
	s_barrier
	buffer_gl0_inv
	s_clause 0x8
	scratch_load_b128 v[2:5], off, off offset:176
	scratch_load_b128 v[6:9], off, off offset:192
	;; [unrolled: 1-line block ×9, first 2 shown]
	ds_load_b128 v[42:45], v1 offset:1120
	ds_load_b128 v[38:41], v1 offset:1136
	s_clause 0x1
	scratch_load_b128 v[50:53], off, off offset:160
	scratch_load_b128 v[54:57], off, off offset:320
	s_mov_b32 s2, exec_lo
	s_waitcnt vmcnt(10) lgkmcnt(1)
	v_mul_f64 v[58:59], v[44:45], v[4:5]
	v_mul_f64 v[4:5], v[42:43], v[4:5]
	s_waitcnt vmcnt(9) lgkmcnt(0)
	v_mul_f64 v[62:63], v[38:39], v[8:9]
	v_mul_f64 v[8:9], v[40:41], v[8:9]
	s_delay_alu instid0(VALU_DEP_4) | instskip(NEXT) | instid1(VALU_DEP_4)
	v_fma_f64 v[76:77], v[42:43], v[2:3], -v[58:59]
	v_fma_f64 v[80:81], v[44:45], v[2:3], v[4:5]
	ds_load_b128 v[2:5], v1 offset:1152
	ds_load_b128 v[58:61], v1 offset:1168
	scratch_load_b128 v[42:45], off, off offset:336
	v_fma_f64 v[40:41], v[40:41], v[6:7], v[62:63]
	v_fma_f64 v[38:39], v[38:39], v[6:7], -v[8:9]
	scratch_load_b128 v[6:9], off, off offset:352
	s_waitcnt vmcnt(10) lgkmcnt(1)
	v_mul_f64 v[165:166], v[2:3], v[12:13]
	v_mul_f64 v[12:13], v[4:5], v[12:13]
	v_add_f64 v[62:63], v[76:77], 0
	v_add_f64 v[76:77], v[80:81], 0
	s_waitcnt vmcnt(9) lgkmcnt(0)
	v_mul_f64 v[80:81], v[58:59], v[16:17]
	v_mul_f64 v[16:17], v[60:61], v[16:17]
	v_fma_f64 v[165:166], v[4:5], v[10:11], v[165:166]
	v_fma_f64 v[167:168], v[2:3], v[10:11], -v[12:13]
	ds_load_b128 v[2:5], v1 offset:1184
	scratch_load_b128 v[10:13], off, off offset:368
	v_add_f64 v[62:63], v[62:63], v[38:39]
	v_add_f64 v[76:77], v[76:77], v[40:41]
	ds_load_b128 v[38:41], v1 offset:1200
	v_fma_f64 v[60:61], v[60:61], v[14:15], v[80:81]
	v_fma_f64 v[58:59], v[58:59], v[14:15], -v[16:17]
	scratch_load_b128 v[14:17], off, off offset:384
	s_waitcnt vmcnt(10) lgkmcnt(1)
	v_mul_f64 v[169:170], v[2:3], v[20:21]
	v_mul_f64 v[20:21], v[4:5], v[20:21]
	s_waitcnt vmcnt(9) lgkmcnt(0)
	v_mul_f64 v[80:81], v[38:39], v[24:25]
	v_mul_f64 v[24:25], v[40:41], v[24:25]
	v_add_f64 v[62:63], v[62:63], v[167:168]
	v_add_f64 v[76:77], v[76:77], v[165:166]
	v_fma_f64 v[165:166], v[4:5], v[18:19], v[169:170]
	v_fma_f64 v[167:168], v[2:3], v[18:19], -v[20:21]
	ds_load_b128 v[2:5], v1 offset:1216
	scratch_load_b128 v[18:21], off, off offset:400
	v_fma_f64 v[40:41], v[40:41], v[22:23], v[80:81]
	v_fma_f64 v[38:39], v[38:39], v[22:23], -v[24:25]
	scratch_load_b128 v[22:25], off, off offset:416
	v_add_f64 v[62:63], v[62:63], v[58:59]
	v_add_f64 v[76:77], v[76:77], v[60:61]
	ds_load_b128 v[58:61], v1 offset:1232
	s_waitcnt vmcnt(10) lgkmcnt(1)
	v_mul_f64 v[169:170], v[2:3], v[28:29]
	v_mul_f64 v[28:29], v[4:5], v[28:29]
	s_waitcnt vmcnt(9) lgkmcnt(0)
	v_mul_f64 v[80:81], v[58:59], v[32:33]
	v_mul_f64 v[32:33], v[60:61], v[32:33]
	v_add_f64 v[62:63], v[62:63], v[167:168]
	v_add_f64 v[76:77], v[76:77], v[165:166]
	v_fma_f64 v[165:166], v[4:5], v[26:27], v[169:170]
	v_fma_f64 v[167:168], v[2:3], v[26:27], -v[28:29]
	ds_load_b128 v[2:5], v1 offset:1248
	scratch_load_b128 v[26:29], off, off offset:432
	v_fma_f64 v[60:61], v[60:61], v[30:31], v[80:81]
	v_fma_f64 v[58:59], v[58:59], v[30:31], -v[32:33]
	scratch_load_b128 v[30:33], off, off offset:448
	v_add_f64 v[62:63], v[62:63], v[38:39]
	v_add_f64 v[76:77], v[76:77], v[40:41]
	ds_load_b128 v[38:41], v1 offset:1264
	s_waitcnt vmcnt(10) lgkmcnt(1)
	v_mul_f64 v[169:170], v[2:3], v[36:37]
	v_mul_f64 v[36:37], v[4:5], v[36:37]
	s_waitcnt vmcnt(8) lgkmcnt(0)
	v_mul_f64 v[80:81], v[38:39], v[56:57]
	v_add_f64 v[62:63], v[62:63], v[167:168]
	v_add_f64 v[76:77], v[76:77], v[165:166]
	v_mul_f64 v[165:166], v[40:41], v[56:57]
	v_fma_f64 v[167:168], v[4:5], v[34:35], v[169:170]
	v_fma_f64 v[169:170], v[2:3], v[34:35], -v[36:37]
	ds_load_b128 v[2:5], v1 offset:1280
	scratch_load_b128 v[34:37], off, off offset:464
	v_fma_f64 v[80:81], v[40:41], v[54:55], v[80:81]
	v_add_f64 v[62:63], v[62:63], v[58:59]
	v_add_f64 v[60:61], v[76:77], v[60:61]
	ds_load_b128 v[56:59], v1 offset:1296
	v_fma_f64 v[54:55], v[38:39], v[54:55], -v[165:166]
	scratch_load_b128 v[38:41], off, off offset:480
	s_waitcnt vmcnt(9) lgkmcnt(1)
	v_mul_f64 v[76:77], v[2:3], v[44:45]
	v_mul_f64 v[44:45], v[4:5], v[44:45]
	s_waitcnt vmcnt(8) lgkmcnt(0)
	v_mul_f64 v[165:166], v[56:57], v[8:9]
	v_mul_f64 v[8:9], v[58:59], v[8:9]
	v_add_f64 v[62:63], v[62:63], v[169:170]
	v_add_f64 v[60:61], v[60:61], v[167:168]
	v_fma_f64 v[76:77], v[4:5], v[42:43], v[76:77]
	v_fma_f64 v[167:168], v[2:3], v[42:43], -v[44:45]
	ds_load_b128 v[2:5], v1 offset:1312
	scratch_load_b128 v[42:45], off, off offset:496
	v_fma_f64 v[58:59], v[58:59], v[6:7], v[165:166]
	v_fma_f64 v[56:57], v[56:57], v[6:7], -v[8:9]
	scratch_load_b128 v[6:9], off, off offset:512
	v_add_f64 v[54:55], v[62:63], v[54:55]
	v_add_f64 v[80:81], v[60:61], v[80:81]
	ds_load_b128 v[60:63], v1 offset:1328
	s_waitcnt vmcnt(9) lgkmcnt(1)
	v_mul_f64 v[169:170], v[2:3], v[12:13]
	v_mul_f64 v[12:13], v[4:5], v[12:13]
	v_add_f64 v[54:55], v[54:55], v[167:168]
	v_add_f64 v[76:77], v[80:81], v[76:77]
	s_waitcnt vmcnt(8) lgkmcnt(0)
	v_mul_f64 v[80:81], v[60:61], v[16:17]
	v_mul_f64 v[16:17], v[62:63], v[16:17]
	v_fma_f64 v[165:166], v[4:5], v[10:11], v[169:170]
	v_fma_f64 v[167:168], v[2:3], v[10:11], -v[12:13]
	ds_load_b128 v[2:5], v1 offset:1344
	scratch_load_b128 v[10:13], off, off offset:528
	v_add_f64 v[169:170], v[54:55], v[56:57]
	v_add_f64 v[58:59], v[76:77], v[58:59]
	ds_load_b128 v[54:57], v1 offset:1360
	s_waitcnt vmcnt(8) lgkmcnt(1)
	v_mul_f64 v[76:77], v[2:3], v[20:21]
	v_mul_f64 v[20:21], v[4:5], v[20:21]
	v_fma_f64 v[62:63], v[62:63], v[14:15], v[80:81]
	v_fma_f64 v[60:61], v[60:61], v[14:15], -v[16:17]
	scratch_load_b128 v[14:17], off, off offset:544
	v_add_f64 v[80:81], v[169:170], v[167:168]
	v_add_f64 v[58:59], v[58:59], v[165:166]
	s_waitcnt vmcnt(8) lgkmcnt(0)
	v_mul_f64 v[165:166], v[54:55], v[24:25]
	v_mul_f64 v[24:25], v[56:57], v[24:25]
	v_fma_f64 v[76:77], v[4:5], v[18:19], v[76:77]
	v_fma_f64 v[167:168], v[2:3], v[18:19], -v[20:21]
	ds_load_b128 v[2:5], v1 offset:1376
	scratch_load_b128 v[18:21], off, off offset:560
	v_add_f64 v[80:81], v[80:81], v[60:61]
	v_add_f64 v[62:63], v[58:59], v[62:63]
	ds_load_b128 v[58:61], v1 offset:1392
	s_waitcnt vmcnt(8) lgkmcnt(1)
	v_mul_f64 v[169:170], v[2:3], v[28:29]
	v_mul_f64 v[28:29], v[4:5], v[28:29]
	v_fma_f64 v[56:57], v[56:57], v[22:23], v[165:166]
	v_fma_f64 v[54:55], v[54:55], v[22:23], -v[24:25]
	scratch_load_b128 v[22:25], off, off offset:576
	;; [unrolled: 18-line block ×4, first 2 shown]
	s_waitcnt vmcnt(8) lgkmcnt(0)
	v_mul_f64 v[80:81], v[58:59], v[8:9]
	v_mul_f64 v[8:9], v[60:61], v[8:9]
	v_add_f64 v[76:77], v[76:77], v[167:168]
	v_add_f64 v[62:63], v[62:63], v[165:166]
	v_fma_f64 v[165:166], v[4:5], v[42:43], v[169:170]
	v_fma_f64 v[167:168], v[2:3], v[42:43], -v[44:45]
	ds_load_b128 v[2:5], v1 offset:1472
	scratch_load_b128 v[42:45], off, off offset:656
	v_fma_f64 v[60:61], v[60:61], v[6:7], v[80:81]
	v_fma_f64 v[58:59], v[58:59], v[6:7], -v[8:9]
	scratch_load_b128 v[6:9], off, off offset:672
	v_add_f64 v[76:77], v[76:77], v[54:55]
	v_add_f64 v[62:63], v[62:63], v[56:57]
	ds_load_b128 v[54:57], v1 offset:1488
	s_waitcnt vmcnt(9) lgkmcnt(1)
	v_mul_f64 v[169:170], v[2:3], v[12:13]
	v_mul_f64 v[12:13], v[4:5], v[12:13]
	s_waitcnt vmcnt(8) lgkmcnt(0)
	v_mul_f64 v[80:81], v[54:55], v[16:17]
	v_mul_f64 v[16:17], v[56:57], v[16:17]
	v_add_f64 v[76:77], v[76:77], v[167:168]
	v_add_f64 v[62:63], v[62:63], v[165:166]
	v_fma_f64 v[165:166], v[4:5], v[10:11], v[169:170]
	v_fma_f64 v[167:168], v[2:3], v[10:11], -v[12:13]
	ds_load_b128 v[2:5], v1 offset:1504
	scratch_load_b128 v[10:13], off, off offset:688
	v_fma_f64 v[56:57], v[56:57], v[14:15], v[80:81]
	v_fma_f64 v[54:55], v[54:55], v[14:15], -v[16:17]
	scratch_load_b128 v[14:17], off, off offset:704
	v_add_f64 v[76:77], v[76:77], v[58:59]
	v_add_f64 v[62:63], v[62:63], v[60:61]
	ds_load_b128 v[58:61], v1 offset:1520
	s_waitcnt vmcnt(9) lgkmcnt(1)
	v_mul_f64 v[169:170], v[2:3], v[20:21]
	v_mul_f64 v[20:21], v[4:5], v[20:21]
	;; [unrolled: 18-line block ×9, first 2 shown]
	s_waitcnt vmcnt(8) lgkmcnt(0)
	v_mul_f64 v[80:81], v[54:55], v[40:41]
	v_mul_f64 v[40:41], v[56:57], v[40:41]
	v_add_f64 v[76:77], v[76:77], v[167:168]
	v_add_f64 v[62:63], v[62:63], v[165:166]
	v_fma_f64 v[165:166], v[4:5], v[34:35], v[169:170]
	v_fma_f64 v[167:168], v[2:3], v[34:35], -v[36:37]
	ds_load_b128 v[2:5], v1 offset:1760
	ds_load_b128 v[34:37], v1 offset:1776
	v_fma_f64 v[56:57], v[56:57], v[38:39], v[80:81]
	v_fma_f64 v[38:39], v[54:55], v[38:39], -v[40:41]
	v_add_f64 v[58:59], v[76:77], v[58:59]
	v_add_f64 v[60:61], v[62:63], v[60:61]
	s_waitcnt vmcnt(7) lgkmcnt(1)
	v_mul_f64 v[62:63], v[2:3], v[44:45]
	v_mul_f64 v[44:45], v[4:5], v[44:45]
	s_delay_alu instid0(VALU_DEP_4) | instskip(NEXT) | instid1(VALU_DEP_4)
	v_add_f64 v[40:41], v[58:59], v[167:168]
	v_add_f64 v[54:55], v[60:61], v[165:166]
	s_waitcnt vmcnt(6) lgkmcnt(0)
	v_mul_f64 v[58:59], v[34:35], v[8:9]
	v_mul_f64 v[8:9], v[36:37], v[8:9]
	v_fma_f64 v[60:61], v[4:5], v[42:43], v[62:63]
	v_fma_f64 v[42:43], v[2:3], v[42:43], -v[44:45]
	v_add_f64 v[44:45], v[40:41], v[38:39]
	v_add_f64 v[54:55], v[54:55], v[56:57]
	ds_load_b128 v[2:5], v1 offset:1792
	ds_load_b128 v[38:41], v1 offset:1808
	v_fma_f64 v[36:37], v[36:37], v[6:7], v[58:59]
	v_fma_f64 v[6:7], v[34:35], v[6:7], -v[8:9]
	s_waitcnt vmcnt(5) lgkmcnt(1)
	v_mul_f64 v[56:57], v[2:3], v[12:13]
	v_mul_f64 v[12:13], v[4:5], v[12:13]
	v_add_f64 v[8:9], v[44:45], v[42:43]
	v_add_f64 v[34:35], v[54:55], v[60:61]
	s_waitcnt vmcnt(4) lgkmcnt(0)
	v_mul_f64 v[42:43], v[38:39], v[16:17]
	v_mul_f64 v[16:17], v[40:41], v[16:17]
	v_fma_f64 v[44:45], v[4:5], v[10:11], v[56:57]
	v_fma_f64 v[10:11], v[2:3], v[10:11], -v[12:13]
	v_add_f64 v[12:13], v[8:9], v[6:7]
	v_add_f64 v[34:35], v[34:35], v[36:37]
	ds_load_b128 v[2:5], v1 offset:1824
	ds_load_b128 v[6:9], v1 offset:1840
	v_fma_f64 v[40:41], v[40:41], v[14:15], v[42:43]
	v_fma_f64 v[14:15], v[38:39], v[14:15], -v[16:17]
	s_waitcnt vmcnt(3) lgkmcnt(1)
	v_mul_f64 v[36:37], v[2:3], v[20:21]
	v_mul_f64 v[20:21], v[4:5], v[20:21]
	s_waitcnt vmcnt(2) lgkmcnt(0)
	v_mul_f64 v[16:17], v[6:7], v[24:25]
	v_mul_f64 v[24:25], v[8:9], v[24:25]
	v_add_f64 v[10:11], v[12:13], v[10:11]
	v_add_f64 v[12:13], v[34:35], v[44:45]
	v_fma_f64 v[34:35], v[4:5], v[18:19], v[36:37]
	v_fma_f64 v[18:19], v[2:3], v[18:19], -v[20:21]
	v_fma_f64 v[8:9], v[8:9], v[22:23], v[16:17]
	v_fma_f64 v[6:7], v[6:7], v[22:23], -v[24:25]
	v_add_f64 v[14:15], v[10:11], v[14:15]
	v_add_f64 v[20:21], v[12:13], v[40:41]
	ds_load_b128 v[2:5], v1 offset:1856
	ds_load_b128 v[10:13], v1 offset:1872
	s_waitcnt vmcnt(1) lgkmcnt(1)
	v_mul_f64 v[36:37], v[2:3], v[28:29]
	v_mul_f64 v[28:29], v[4:5], v[28:29]
	v_add_f64 v[14:15], v[14:15], v[18:19]
	v_add_f64 v[16:17], v[20:21], v[34:35]
	s_waitcnt vmcnt(0) lgkmcnt(0)
	v_mul_f64 v[18:19], v[10:11], v[32:33]
	v_mul_f64 v[20:21], v[12:13], v[32:33]
	v_fma_f64 v[4:5], v[4:5], v[26:27], v[36:37]
	v_fma_f64 v[1:2], v[2:3], v[26:27], -v[28:29]
	v_add_f64 v[6:7], v[14:15], v[6:7]
	v_add_f64 v[8:9], v[16:17], v[8:9]
	v_fma_f64 v[12:13], v[12:13], v[30:31], v[18:19]
	v_fma_f64 v[10:11], v[10:11], v[30:31], -v[20:21]
	s_delay_alu instid0(VALU_DEP_4) | instskip(NEXT) | instid1(VALU_DEP_4)
	v_add_f64 v[1:2], v[6:7], v[1:2]
	v_add_f64 v[3:4], v[8:9], v[4:5]
	s_delay_alu instid0(VALU_DEP_2) | instskip(NEXT) | instid1(VALU_DEP_2)
	v_add_f64 v[1:2], v[1:2], v[10:11]
	v_add_f64 v[3:4], v[3:4], v[12:13]
	s_delay_alu instid0(VALU_DEP_2) | instskip(NEXT) | instid1(VALU_DEP_2)
	v_add_f64 v[1:2], v[50:51], -v[1:2]
	v_add_f64 v[3:4], v[52:53], -v[3:4]
	scratch_store_b128 off, v[1:4], off offset:160
	v_cmpx_lt_u32_e32 9, v164
	s_cbranch_execz .LBB58_349
; %bb.348:
	scratch_load_b128 v[1:4], v214, off
	v_mov_b32_e32 v5, 0
	s_delay_alu instid0(VALU_DEP_1)
	v_mov_b32_e32 v6, v5
	v_mov_b32_e32 v7, v5
	v_mov_b32_e32 v8, v5
	scratch_store_b128 off, v[5:8], off offset:144
	s_waitcnt vmcnt(0)
	ds_store_b128 v223, v[1:4]
.LBB58_349:
	s_or_b32 exec_lo, exec_lo, s2
	s_waitcnt lgkmcnt(0)
	s_waitcnt_vscnt null, 0x0
	s_barrier
	buffer_gl0_inv
	s_clause 0x7
	scratch_load_b128 v[2:5], off, off offset:160
	scratch_load_b128 v[6:9], off, off offset:176
	;; [unrolled: 1-line block ×8, first 2 shown]
	v_mov_b32_e32 v1, 0
	s_mov_b32 s2, exec_lo
	ds_load_b128 v[38:41], v1 offset:1104
	s_clause 0x1
	scratch_load_b128 v[34:37], off, off offset:288
	scratch_load_b128 v[42:45], off, off offset:144
	ds_load_b128 v[50:53], v1 offset:1120
	scratch_load_b128 v[54:57], off, off offset:304
	s_waitcnt vmcnt(10) lgkmcnt(1)
	v_mul_f64 v[58:59], v[40:41], v[4:5]
	v_mul_f64 v[4:5], v[38:39], v[4:5]
	s_delay_alu instid0(VALU_DEP_2) | instskip(NEXT) | instid1(VALU_DEP_2)
	v_fma_f64 v[76:77], v[38:39], v[2:3], -v[58:59]
	v_fma_f64 v[80:81], v[40:41], v[2:3], v[4:5]
	scratch_load_b128 v[38:41], off, off offset:320
	ds_load_b128 v[2:5], v1 offset:1136
	s_waitcnt vmcnt(10) lgkmcnt(1)
	v_mul_f64 v[62:63], v[50:51], v[8:9]
	v_mul_f64 v[8:9], v[52:53], v[8:9]
	ds_load_b128 v[58:61], v1 offset:1152
	s_waitcnt vmcnt(9) lgkmcnt(1)
	v_mul_f64 v[165:166], v[2:3], v[12:13]
	v_mul_f64 v[12:13], v[4:5], v[12:13]
	v_fma_f64 v[52:53], v[52:53], v[6:7], v[62:63]
	v_fma_f64 v[50:51], v[50:51], v[6:7], -v[8:9]
	v_add_f64 v[62:63], v[76:77], 0
	v_add_f64 v[76:77], v[80:81], 0
	scratch_load_b128 v[6:9], off, off offset:336
	v_fma_f64 v[165:166], v[4:5], v[10:11], v[165:166]
	v_fma_f64 v[167:168], v[2:3], v[10:11], -v[12:13]
	scratch_load_b128 v[10:13], off, off offset:352
	ds_load_b128 v[2:5], v1 offset:1168
	s_waitcnt vmcnt(10) lgkmcnt(1)
	v_mul_f64 v[80:81], v[58:59], v[16:17]
	v_mul_f64 v[16:17], v[60:61], v[16:17]
	v_add_f64 v[62:63], v[62:63], v[50:51]
	v_add_f64 v[76:77], v[76:77], v[52:53]
	s_waitcnt vmcnt(9) lgkmcnt(0)
	v_mul_f64 v[169:170], v[2:3], v[20:21]
	v_mul_f64 v[20:21], v[4:5], v[20:21]
	ds_load_b128 v[50:53], v1 offset:1184
	v_fma_f64 v[60:61], v[60:61], v[14:15], v[80:81]
	v_fma_f64 v[58:59], v[58:59], v[14:15], -v[16:17]
	scratch_load_b128 v[14:17], off, off offset:368
	v_add_f64 v[62:63], v[62:63], v[167:168]
	v_add_f64 v[76:77], v[76:77], v[165:166]
	v_fma_f64 v[165:166], v[4:5], v[18:19], v[169:170]
	v_fma_f64 v[167:168], v[2:3], v[18:19], -v[20:21]
	scratch_load_b128 v[18:21], off, off offset:384
	ds_load_b128 v[2:5], v1 offset:1200
	s_waitcnt vmcnt(10) lgkmcnt(1)
	v_mul_f64 v[80:81], v[50:51], v[24:25]
	v_mul_f64 v[24:25], v[52:53], v[24:25]
	s_waitcnt vmcnt(9) lgkmcnt(0)
	v_mul_f64 v[169:170], v[2:3], v[28:29]
	v_mul_f64 v[28:29], v[4:5], v[28:29]
	v_add_f64 v[62:63], v[62:63], v[58:59]
	v_add_f64 v[76:77], v[76:77], v[60:61]
	ds_load_b128 v[58:61], v1 offset:1216
	v_fma_f64 v[52:53], v[52:53], v[22:23], v[80:81]
	v_fma_f64 v[50:51], v[50:51], v[22:23], -v[24:25]
	scratch_load_b128 v[22:25], off, off offset:400
	v_add_f64 v[62:63], v[62:63], v[167:168]
	v_add_f64 v[76:77], v[76:77], v[165:166]
	v_fma_f64 v[165:166], v[4:5], v[26:27], v[169:170]
	v_fma_f64 v[167:168], v[2:3], v[26:27], -v[28:29]
	scratch_load_b128 v[26:29], off, off offset:416
	ds_load_b128 v[2:5], v1 offset:1232
	s_waitcnt vmcnt(10) lgkmcnt(1)
	v_mul_f64 v[80:81], v[58:59], v[32:33]
	v_mul_f64 v[32:33], v[60:61], v[32:33]
	s_waitcnt vmcnt(9) lgkmcnt(0)
	v_mul_f64 v[169:170], v[2:3], v[36:37]
	v_mul_f64 v[36:37], v[4:5], v[36:37]
	v_add_f64 v[62:63], v[62:63], v[50:51]
	v_add_f64 v[76:77], v[76:77], v[52:53]
	ds_load_b128 v[50:53], v1 offset:1248
	v_fma_f64 v[60:61], v[60:61], v[30:31], v[80:81]
	v_fma_f64 v[58:59], v[58:59], v[30:31], -v[32:33]
	scratch_load_b128 v[30:33], off, off offset:432
	v_add_f64 v[62:63], v[62:63], v[167:168]
	v_add_f64 v[76:77], v[76:77], v[165:166]
	v_fma_f64 v[167:168], v[4:5], v[34:35], v[169:170]
	v_fma_f64 v[169:170], v[2:3], v[34:35], -v[36:37]
	scratch_load_b128 v[34:37], off, off offset:448
	ds_load_b128 v[2:5], v1 offset:1264
	s_waitcnt vmcnt(9) lgkmcnt(1)
	v_mul_f64 v[80:81], v[50:51], v[56:57]
	v_mul_f64 v[165:166], v[52:53], v[56:57]
	v_add_f64 v[62:63], v[62:63], v[58:59]
	v_add_f64 v[60:61], v[76:77], v[60:61]
	ds_load_b128 v[56:59], v1 offset:1280
	v_fma_f64 v[80:81], v[52:53], v[54:55], v[80:81]
	v_fma_f64 v[54:55], v[50:51], v[54:55], -v[165:166]
	scratch_load_b128 v[50:53], off, off offset:464
	s_waitcnt vmcnt(9) lgkmcnt(1)
	v_mul_f64 v[76:77], v[2:3], v[40:41]
	v_mul_f64 v[40:41], v[4:5], v[40:41]
	v_add_f64 v[62:63], v[62:63], v[169:170]
	v_add_f64 v[60:61], v[60:61], v[167:168]
	s_delay_alu instid0(VALU_DEP_4) | instskip(NEXT) | instid1(VALU_DEP_4)
	v_fma_f64 v[76:77], v[4:5], v[38:39], v[76:77]
	v_fma_f64 v[167:168], v[2:3], v[38:39], -v[40:41]
	scratch_load_b128 v[38:41], off, off offset:480
	ds_load_b128 v[2:5], v1 offset:1296
	s_waitcnt vmcnt(9) lgkmcnt(1)
	v_mul_f64 v[165:166], v[56:57], v[8:9]
	v_mul_f64 v[8:9], v[58:59], v[8:9]
	s_waitcnt vmcnt(8) lgkmcnt(0)
	v_mul_f64 v[169:170], v[2:3], v[12:13]
	v_mul_f64 v[12:13], v[4:5], v[12:13]
	v_add_f64 v[54:55], v[62:63], v[54:55]
	v_add_f64 v[80:81], v[60:61], v[80:81]
	ds_load_b128 v[60:63], v1 offset:1312
	v_fma_f64 v[58:59], v[58:59], v[6:7], v[165:166]
	v_fma_f64 v[56:57], v[56:57], v[6:7], -v[8:9]
	scratch_load_b128 v[6:9], off, off offset:496
	v_fma_f64 v[165:166], v[4:5], v[10:11], v[169:170]
	v_add_f64 v[54:55], v[54:55], v[167:168]
	v_add_f64 v[76:77], v[80:81], v[76:77]
	v_fma_f64 v[167:168], v[2:3], v[10:11], -v[12:13]
	scratch_load_b128 v[10:13], off, off offset:512
	ds_load_b128 v[2:5], v1 offset:1328
	s_waitcnt vmcnt(9) lgkmcnt(1)
	v_mul_f64 v[80:81], v[60:61], v[16:17]
	v_mul_f64 v[16:17], v[62:63], v[16:17]
	v_add_f64 v[169:170], v[54:55], v[56:57]
	v_add_f64 v[58:59], v[76:77], v[58:59]
	s_waitcnt vmcnt(8) lgkmcnt(0)
	v_mul_f64 v[76:77], v[2:3], v[20:21]
	v_mul_f64 v[20:21], v[4:5], v[20:21]
	ds_load_b128 v[54:57], v1 offset:1344
	v_fma_f64 v[62:63], v[62:63], v[14:15], v[80:81]
	v_fma_f64 v[60:61], v[60:61], v[14:15], -v[16:17]
	scratch_load_b128 v[14:17], off, off offset:528
	v_add_f64 v[80:81], v[169:170], v[167:168]
	v_add_f64 v[58:59], v[58:59], v[165:166]
	v_fma_f64 v[76:77], v[4:5], v[18:19], v[76:77]
	v_fma_f64 v[167:168], v[2:3], v[18:19], -v[20:21]
	scratch_load_b128 v[18:21], off, off offset:544
	ds_load_b128 v[2:5], v1 offset:1360
	s_waitcnt vmcnt(9) lgkmcnt(1)
	v_mul_f64 v[165:166], v[54:55], v[24:25]
	v_mul_f64 v[24:25], v[56:57], v[24:25]
	s_waitcnt vmcnt(8) lgkmcnt(0)
	v_mul_f64 v[169:170], v[2:3], v[28:29]
	v_mul_f64 v[28:29], v[4:5], v[28:29]
	v_add_f64 v[80:81], v[80:81], v[60:61]
	v_add_f64 v[62:63], v[58:59], v[62:63]
	ds_load_b128 v[58:61], v1 offset:1376
	v_fma_f64 v[56:57], v[56:57], v[22:23], v[165:166]
	v_fma_f64 v[54:55], v[54:55], v[22:23], -v[24:25]
	scratch_load_b128 v[22:25], off, off offset:560
	v_fma_f64 v[165:166], v[4:5], v[26:27], v[169:170]
	v_add_f64 v[80:81], v[80:81], v[167:168]
	v_add_f64 v[62:63], v[62:63], v[76:77]
	v_fma_f64 v[167:168], v[2:3], v[26:27], -v[28:29]
	scratch_load_b128 v[26:29], off, off offset:576
	ds_load_b128 v[2:5], v1 offset:1392
	s_waitcnt vmcnt(9) lgkmcnt(1)
	v_mul_f64 v[76:77], v[58:59], v[32:33]
	v_mul_f64 v[32:33], v[60:61], v[32:33]
	s_waitcnt vmcnt(8) lgkmcnt(0)
	v_mul_f64 v[169:170], v[2:3], v[36:37]
	v_mul_f64 v[36:37], v[4:5], v[36:37]
	v_add_f64 v[80:81], v[80:81], v[54:55]
	v_add_f64 v[62:63], v[62:63], v[56:57]
	ds_load_b128 v[54:57], v1 offset:1408
	v_fma_f64 v[60:61], v[60:61], v[30:31], v[76:77]
	v_fma_f64 v[58:59], v[58:59], v[30:31], -v[32:33]
	scratch_load_b128 v[30:33], off, off offset:592
	v_add_f64 v[76:77], v[80:81], v[167:168]
	v_add_f64 v[62:63], v[62:63], v[165:166]
	v_fma_f64 v[165:166], v[4:5], v[34:35], v[169:170]
	v_fma_f64 v[167:168], v[2:3], v[34:35], -v[36:37]
	scratch_load_b128 v[34:37], off, off offset:608
	ds_load_b128 v[2:5], v1 offset:1424
	s_waitcnt vmcnt(9) lgkmcnt(1)
	v_mul_f64 v[80:81], v[54:55], v[52:53]
	v_mul_f64 v[52:53], v[56:57], v[52:53]
	s_waitcnt vmcnt(8) lgkmcnt(0)
	v_mul_f64 v[169:170], v[2:3], v[40:41]
	v_mul_f64 v[40:41], v[4:5], v[40:41]
	v_add_f64 v[76:77], v[76:77], v[58:59]
	v_add_f64 v[62:63], v[62:63], v[60:61]
	ds_load_b128 v[58:61], v1 offset:1440
	v_fma_f64 v[56:57], v[56:57], v[50:51], v[80:81]
	v_fma_f64 v[54:55], v[54:55], v[50:51], -v[52:53]
	scratch_load_b128 v[50:53], off, off offset:624
	v_add_f64 v[76:77], v[76:77], v[167:168]
	v_add_f64 v[62:63], v[62:63], v[165:166]
	v_fma_f64 v[165:166], v[4:5], v[38:39], v[169:170]
	;; [unrolled: 18-line block ×6, first 2 shown]
	v_fma_f64 v[169:170], v[2:3], v[34:35], -v[36:37]
	scratch_load_b128 v[34:37], off, off offset:768
	ds_load_b128 v[2:5], v1 offset:1584
	s_waitcnt vmcnt(9) lgkmcnt(1)
	v_mul_f64 v[80:81], v[58:59], v[52:53]
	v_mul_f64 v[165:166], v[60:61], v[52:53]
	v_add_f64 v[76:77], v[76:77], v[54:55]
	v_add_f64 v[56:57], v[62:63], v[56:57]
	s_waitcnt vmcnt(8) lgkmcnt(0)
	v_mul_f64 v[62:63], v[2:3], v[40:41]
	v_mul_f64 v[40:41], v[4:5], v[40:41]
	ds_load_b128 v[52:55], v1 offset:1600
	v_fma_f64 v[60:61], v[60:61], v[50:51], v[80:81]
	v_fma_f64 v[50:51], v[58:59], v[50:51], -v[165:166]
	v_add_f64 v[76:77], v[76:77], v[169:170]
	v_add_f64 v[80:81], v[56:57], v[167:168]
	scratch_load_b128 v[56:59], off, off offset:784
	v_fma_f64 v[167:168], v[4:5], v[38:39], v[62:63]
	v_fma_f64 v[169:170], v[2:3], v[38:39], -v[40:41]
	scratch_load_b128 v[38:41], off, off offset:800
	ds_load_b128 v[2:5], v1 offset:1616
	s_waitcnt vmcnt(9) lgkmcnt(1)
	v_mul_f64 v[165:166], v[52:53], v[8:9]
	v_mul_f64 v[8:9], v[54:55], v[8:9]
	v_add_f64 v[50:51], v[76:77], v[50:51]
	v_add_f64 v[76:77], v[80:81], v[60:61]
	s_waitcnt vmcnt(8) lgkmcnt(0)
	v_mul_f64 v[80:81], v[2:3], v[12:13]
	v_mul_f64 v[12:13], v[4:5], v[12:13]
	ds_load_b128 v[60:63], v1 offset:1632
	v_fma_f64 v[54:55], v[54:55], v[6:7], v[165:166]
	v_fma_f64 v[52:53], v[52:53], v[6:7], -v[8:9]
	scratch_load_b128 v[6:9], off, off offset:816
	v_add_f64 v[50:51], v[50:51], v[169:170]
	v_add_f64 v[76:77], v[76:77], v[167:168]
	v_fma_f64 v[80:81], v[4:5], v[10:11], v[80:81]
	v_fma_f64 v[167:168], v[2:3], v[10:11], -v[12:13]
	scratch_load_b128 v[10:13], off, off offset:832
	ds_load_b128 v[2:5], v1 offset:1648
	s_waitcnt vmcnt(9) lgkmcnt(1)
	v_mul_f64 v[165:166], v[60:61], v[16:17]
	v_mul_f64 v[16:17], v[62:63], v[16:17]
	v_add_f64 v[169:170], v[50:51], v[52:53]
	v_add_f64 v[54:55], v[76:77], v[54:55]
	s_waitcnt vmcnt(8) lgkmcnt(0)
	v_mul_f64 v[76:77], v[2:3], v[20:21]
	v_mul_f64 v[20:21], v[4:5], v[20:21]
	ds_load_b128 v[50:53], v1 offset:1664
	v_fma_f64 v[62:63], v[62:63], v[14:15], v[165:166]
	v_fma_f64 v[60:61], v[60:61], v[14:15], -v[16:17]
	scratch_load_b128 v[14:17], off, off offset:848
	v_add_f64 v[165:166], v[169:170], v[167:168]
	v_add_f64 v[54:55], v[54:55], v[80:81]
	v_fma_f64 v[76:77], v[4:5], v[18:19], v[76:77]
	v_fma_f64 v[167:168], v[2:3], v[18:19], -v[20:21]
	scratch_load_b128 v[18:21], off, off offset:864
	ds_load_b128 v[2:5], v1 offset:1680
	s_waitcnt vmcnt(9) lgkmcnt(1)
	v_mul_f64 v[80:81], v[50:51], v[24:25]
	v_mul_f64 v[24:25], v[52:53], v[24:25]
	s_waitcnt vmcnt(8) lgkmcnt(0)
	v_mul_f64 v[169:170], v[2:3], v[28:29]
	v_mul_f64 v[28:29], v[4:5], v[28:29]
	v_add_f64 v[165:166], v[165:166], v[60:61]
	v_add_f64 v[54:55], v[54:55], v[62:63]
	ds_load_b128 v[60:63], v1 offset:1696
	v_fma_f64 v[52:53], v[52:53], v[22:23], v[80:81]
	v_fma_f64 v[50:51], v[50:51], v[22:23], -v[24:25]
	scratch_load_b128 v[22:25], off, off offset:880
	v_add_f64 v[80:81], v[165:166], v[167:168]
	v_add_f64 v[54:55], v[54:55], v[76:77]
	v_fma_f64 v[165:166], v[4:5], v[26:27], v[169:170]
	v_fma_f64 v[167:168], v[2:3], v[26:27], -v[28:29]
	scratch_load_b128 v[26:29], off, off offset:896
	ds_load_b128 v[2:5], v1 offset:1712
	s_waitcnt vmcnt(9) lgkmcnt(1)
	v_mul_f64 v[76:77], v[60:61], v[32:33]
	v_mul_f64 v[32:33], v[62:63], v[32:33]
	s_waitcnt vmcnt(8) lgkmcnt(0)
	v_mul_f64 v[169:170], v[2:3], v[36:37]
	v_mul_f64 v[36:37], v[4:5], v[36:37]
	v_add_f64 v[80:81], v[80:81], v[50:51]
	v_add_f64 v[54:55], v[54:55], v[52:53]
	ds_load_b128 v[50:53], v1 offset:1728
	v_fma_f64 v[62:63], v[62:63], v[30:31], v[76:77]
	v_fma_f64 v[60:61], v[60:61], v[30:31], -v[32:33]
	scratch_load_b128 v[30:33], off, off offset:912
	v_add_f64 v[76:77], v[80:81], v[167:168]
	v_add_f64 v[54:55], v[54:55], v[165:166]
	v_fma_f64 v[167:168], v[4:5], v[34:35], v[169:170]
	v_fma_f64 v[169:170], v[2:3], v[34:35], -v[36:37]
	scratch_load_b128 v[34:37], off, off offset:928
	ds_load_b128 v[2:5], v1 offset:1744
	s_waitcnt vmcnt(9) lgkmcnt(1)
	v_mul_f64 v[80:81], v[50:51], v[58:59]
	v_mul_f64 v[165:166], v[52:53], v[58:59]
	v_add_f64 v[76:77], v[76:77], v[60:61]
	v_add_f64 v[54:55], v[54:55], v[62:63]
	s_waitcnt vmcnt(8) lgkmcnt(0)
	v_mul_f64 v[62:63], v[2:3], v[40:41]
	v_mul_f64 v[40:41], v[4:5], v[40:41]
	ds_load_b128 v[58:61], v1 offset:1760
	v_fma_f64 v[52:53], v[52:53], v[56:57], v[80:81]
	v_fma_f64 v[50:51], v[50:51], v[56:57], -v[165:166]
	v_add_f64 v[56:57], v[76:77], v[169:170]
	v_add_f64 v[54:55], v[54:55], v[167:168]
	s_waitcnt vmcnt(7) lgkmcnt(0)
	v_mul_f64 v[76:77], v[58:59], v[8:9]
	v_mul_f64 v[8:9], v[60:61], v[8:9]
	v_fma_f64 v[62:63], v[4:5], v[38:39], v[62:63]
	v_fma_f64 v[80:81], v[2:3], v[38:39], -v[40:41]
	ds_load_b128 v[2:5], v1 offset:1776
	ds_load_b128 v[38:41], v1 offset:1792
	v_add_f64 v[50:51], v[56:57], v[50:51]
	v_add_f64 v[52:53], v[54:55], v[52:53]
	s_waitcnt vmcnt(6) lgkmcnt(1)
	v_mul_f64 v[54:55], v[2:3], v[12:13]
	v_mul_f64 v[12:13], v[4:5], v[12:13]
	v_fma_f64 v[56:57], v[60:61], v[6:7], v[76:77]
	v_fma_f64 v[6:7], v[58:59], v[6:7], -v[8:9]
	v_add_f64 v[8:9], v[50:51], v[80:81]
	v_add_f64 v[50:51], v[52:53], v[62:63]
	s_waitcnt vmcnt(5) lgkmcnt(0)
	v_mul_f64 v[52:53], v[38:39], v[16:17]
	v_mul_f64 v[16:17], v[40:41], v[16:17]
	v_fma_f64 v[54:55], v[4:5], v[10:11], v[54:55]
	v_fma_f64 v[10:11], v[2:3], v[10:11], -v[12:13]
	v_add_f64 v[12:13], v[8:9], v[6:7]
	v_add_f64 v[50:51], v[50:51], v[56:57]
	ds_load_b128 v[2:5], v1 offset:1808
	ds_load_b128 v[6:9], v1 offset:1824
	v_fma_f64 v[40:41], v[40:41], v[14:15], v[52:53]
	v_fma_f64 v[14:15], v[38:39], v[14:15], -v[16:17]
	s_waitcnt vmcnt(4) lgkmcnt(1)
	v_mul_f64 v[56:57], v[2:3], v[20:21]
	v_mul_f64 v[20:21], v[4:5], v[20:21]
	s_waitcnt vmcnt(3) lgkmcnt(0)
	v_mul_f64 v[16:17], v[6:7], v[24:25]
	v_mul_f64 v[24:25], v[8:9], v[24:25]
	v_add_f64 v[10:11], v[12:13], v[10:11]
	v_add_f64 v[12:13], v[50:51], v[54:55]
	v_fma_f64 v[38:39], v[4:5], v[18:19], v[56:57]
	v_fma_f64 v[18:19], v[2:3], v[18:19], -v[20:21]
	v_fma_f64 v[8:9], v[8:9], v[22:23], v[16:17]
	v_fma_f64 v[6:7], v[6:7], v[22:23], -v[24:25]
	v_add_f64 v[14:15], v[10:11], v[14:15]
	v_add_f64 v[20:21], v[12:13], v[40:41]
	ds_load_b128 v[2:5], v1 offset:1840
	ds_load_b128 v[10:13], v1 offset:1856
	s_waitcnt vmcnt(2) lgkmcnt(1)
	v_mul_f64 v[40:41], v[2:3], v[28:29]
	v_mul_f64 v[28:29], v[4:5], v[28:29]
	v_add_f64 v[14:15], v[14:15], v[18:19]
	v_add_f64 v[16:17], v[20:21], v[38:39]
	s_waitcnt vmcnt(1) lgkmcnt(0)
	v_mul_f64 v[18:19], v[10:11], v[32:33]
	v_mul_f64 v[20:21], v[12:13], v[32:33]
	v_fma_f64 v[22:23], v[4:5], v[26:27], v[40:41]
	v_fma_f64 v[24:25], v[2:3], v[26:27], -v[28:29]
	ds_load_b128 v[2:5], v1 offset:1872
	v_add_f64 v[6:7], v[14:15], v[6:7]
	v_add_f64 v[8:9], v[16:17], v[8:9]
	v_fma_f64 v[12:13], v[12:13], v[30:31], v[18:19]
	v_fma_f64 v[10:11], v[10:11], v[30:31], -v[20:21]
	s_waitcnt vmcnt(0) lgkmcnt(0)
	v_mul_f64 v[14:15], v[2:3], v[36:37]
	v_mul_f64 v[16:17], v[4:5], v[36:37]
	v_add_f64 v[6:7], v[6:7], v[24:25]
	v_add_f64 v[8:9], v[8:9], v[22:23]
	s_delay_alu instid0(VALU_DEP_4) | instskip(NEXT) | instid1(VALU_DEP_4)
	v_fma_f64 v[4:5], v[4:5], v[34:35], v[14:15]
	v_fma_f64 v[2:3], v[2:3], v[34:35], -v[16:17]
	s_delay_alu instid0(VALU_DEP_4) | instskip(NEXT) | instid1(VALU_DEP_4)
	v_add_f64 v[6:7], v[6:7], v[10:11]
	v_add_f64 v[8:9], v[8:9], v[12:13]
	s_delay_alu instid0(VALU_DEP_2) | instskip(NEXT) | instid1(VALU_DEP_2)
	v_add_f64 v[2:3], v[6:7], v[2:3]
	v_add_f64 v[4:5], v[8:9], v[4:5]
	s_delay_alu instid0(VALU_DEP_2) | instskip(NEXT) | instid1(VALU_DEP_2)
	v_add_f64 v[2:3], v[42:43], -v[2:3]
	v_add_f64 v[4:5], v[44:45], -v[4:5]
	scratch_store_b128 off, v[2:5], off offset:144
	v_cmpx_lt_u32_e32 8, v164
	s_cbranch_execz .LBB58_351
; %bb.350:
	scratch_load_b128 v[5:8], v215, off
	v_mov_b32_e32 v2, v1
	v_mov_b32_e32 v3, v1
	;; [unrolled: 1-line block ×3, first 2 shown]
	scratch_store_b128 off, v[1:4], off offset:128
	s_waitcnt vmcnt(0)
	ds_store_b128 v223, v[5:8]
.LBB58_351:
	s_or_b32 exec_lo, exec_lo, s2
	s_waitcnt lgkmcnt(0)
	s_waitcnt_vscnt null, 0x0
	s_barrier
	buffer_gl0_inv
	s_clause 0x8
	scratch_load_b128 v[2:5], off, off offset:144
	scratch_load_b128 v[6:9], off, off offset:160
	;; [unrolled: 1-line block ×9, first 2 shown]
	ds_load_b128 v[42:45], v1 offset:1088
	ds_load_b128 v[38:41], v1 offset:1104
	s_clause 0x1
	scratch_load_b128 v[50:53], off, off offset:128
	scratch_load_b128 v[54:57], off, off offset:288
	s_mov_b32 s2, exec_lo
	s_waitcnt vmcnt(10) lgkmcnt(1)
	v_mul_f64 v[58:59], v[44:45], v[4:5]
	v_mul_f64 v[4:5], v[42:43], v[4:5]
	s_waitcnt vmcnt(9) lgkmcnt(0)
	v_mul_f64 v[62:63], v[38:39], v[8:9]
	v_mul_f64 v[8:9], v[40:41], v[8:9]
	s_delay_alu instid0(VALU_DEP_4) | instskip(NEXT) | instid1(VALU_DEP_4)
	v_fma_f64 v[76:77], v[42:43], v[2:3], -v[58:59]
	v_fma_f64 v[80:81], v[44:45], v[2:3], v[4:5]
	ds_load_b128 v[2:5], v1 offset:1120
	ds_load_b128 v[58:61], v1 offset:1136
	scratch_load_b128 v[42:45], off, off offset:304
	v_fma_f64 v[40:41], v[40:41], v[6:7], v[62:63]
	v_fma_f64 v[38:39], v[38:39], v[6:7], -v[8:9]
	scratch_load_b128 v[6:9], off, off offset:320
	s_waitcnt vmcnt(10) lgkmcnt(1)
	v_mul_f64 v[165:166], v[2:3], v[12:13]
	v_mul_f64 v[12:13], v[4:5], v[12:13]
	v_add_f64 v[62:63], v[76:77], 0
	v_add_f64 v[76:77], v[80:81], 0
	s_waitcnt vmcnt(9) lgkmcnt(0)
	v_mul_f64 v[80:81], v[58:59], v[16:17]
	v_mul_f64 v[16:17], v[60:61], v[16:17]
	v_fma_f64 v[165:166], v[4:5], v[10:11], v[165:166]
	v_fma_f64 v[167:168], v[2:3], v[10:11], -v[12:13]
	ds_load_b128 v[2:5], v1 offset:1152
	scratch_load_b128 v[10:13], off, off offset:336
	v_add_f64 v[62:63], v[62:63], v[38:39]
	v_add_f64 v[76:77], v[76:77], v[40:41]
	ds_load_b128 v[38:41], v1 offset:1168
	v_fma_f64 v[60:61], v[60:61], v[14:15], v[80:81]
	v_fma_f64 v[58:59], v[58:59], v[14:15], -v[16:17]
	scratch_load_b128 v[14:17], off, off offset:352
	s_waitcnt vmcnt(10) lgkmcnt(1)
	v_mul_f64 v[169:170], v[2:3], v[20:21]
	v_mul_f64 v[20:21], v[4:5], v[20:21]
	s_waitcnt vmcnt(9) lgkmcnt(0)
	v_mul_f64 v[80:81], v[38:39], v[24:25]
	v_mul_f64 v[24:25], v[40:41], v[24:25]
	v_add_f64 v[62:63], v[62:63], v[167:168]
	v_add_f64 v[76:77], v[76:77], v[165:166]
	v_fma_f64 v[165:166], v[4:5], v[18:19], v[169:170]
	v_fma_f64 v[167:168], v[2:3], v[18:19], -v[20:21]
	ds_load_b128 v[2:5], v1 offset:1184
	scratch_load_b128 v[18:21], off, off offset:368
	v_fma_f64 v[40:41], v[40:41], v[22:23], v[80:81]
	v_fma_f64 v[38:39], v[38:39], v[22:23], -v[24:25]
	scratch_load_b128 v[22:25], off, off offset:384
	v_add_f64 v[62:63], v[62:63], v[58:59]
	v_add_f64 v[76:77], v[76:77], v[60:61]
	ds_load_b128 v[58:61], v1 offset:1200
	s_waitcnt vmcnt(10) lgkmcnt(1)
	v_mul_f64 v[169:170], v[2:3], v[28:29]
	v_mul_f64 v[28:29], v[4:5], v[28:29]
	s_waitcnt vmcnt(9) lgkmcnt(0)
	v_mul_f64 v[80:81], v[58:59], v[32:33]
	v_mul_f64 v[32:33], v[60:61], v[32:33]
	v_add_f64 v[62:63], v[62:63], v[167:168]
	v_add_f64 v[76:77], v[76:77], v[165:166]
	v_fma_f64 v[165:166], v[4:5], v[26:27], v[169:170]
	v_fma_f64 v[167:168], v[2:3], v[26:27], -v[28:29]
	ds_load_b128 v[2:5], v1 offset:1216
	scratch_load_b128 v[26:29], off, off offset:400
	v_fma_f64 v[60:61], v[60:61], v[30:31], v[80:81]
	v_fma_f64 v[58:59], v[58:59], v[30:31], -v[32:33]
	scratch_load_b128 v[30:33], off, off offset:416
	v_add_f64 v[62:63], v[62:63], v[38:39]
	v_add_f64 v[76:77], v[76:77], v[40:41]
	ds_load_b128 v[38:41], v1 offset:1232
	s_waitcnt vmcnt(10) lgkmcnt(1)
	v_mul_f64 v[169:170], v[2:3], v[36:37]
	v_mul_f64 v[36:37], v[4:5], v[36:37]
	s_waitcnt vmcnt(8) lgkmcnt(0)
	v_mul_f64 v[80:81], v[38:39], v[56:57]
	v_add_f64 v[62:63], v[62:63], v[167:168]
	v_add_f64 v[76:77], v[76:77], v[165:166]
	v_mul_f64 v[165:166], v[40:41], v[56:57]
	v_fma_f64 v[167:168], v[4:5], v[34:35], v[169:170]
	v_fma_f64 v[169:170], v[2:3], v[34:35], -v[36:37]
	ds_load_b128 v[2:5], v1 offset:1248
	scratch_load_b128 v[34:37], off, off offset:432
	v_fma_f64 v[80:81], v[40:41], v[54:55], v[80:81]
	v_add_f64 v[62:63], v[62:63], v[58:59]
	v_add_f64 v[60:61], v[76:77], v[60:61]
	ds_load_b128 v[56:59], v1 offset:1264
	v_fma_f64 v[54:55], v[38:39], v[54:55], -v[165:166]
	scratch_load_b128 v[38:41], off, off offset:448
	s_waitcnt vmcnt(9) lgkmcnt(1)
	v_mul_f64 v[76:77], v[2:3], v[44:45]
	v_mul_f64 v[44:45], v[4:5], v[44:45]
	s_waitcnt vmcnt(8) lgkmcnt(0)
	v_mul_f64 v[165:166], v[56:57], v[8:9]
	v_mul_f64 v[8:9], v[58:59], v[8:9]
	v_add_f64 v[62:63], v[62:63], v[169:170]
	v_add_f64 v[60:61], v[60:61], v[167:168]
	v_fma_f64 v[76:77], v[4:5], v[42:43], v[76:77]
	v_fma_f64 v[167:168], v[2:3], v[42:43], -v[44:45]
	ds_load_b128 v[2:5], v1 offset:1280
	scratch_load_b128 v[42:45], off, off offset:464
	v_fma_f64 v[58:59], v[58:59], v[6:7], v[165:166]
	v_fma_f64 v[56:57], v[56:57], v[6:7], -v[8:9]
	scratch_load_b128 v[6:9], off, off offset:480
	v_add_f64 v[54:55], v[62:63], v[54:55]
	v_add_f64 v[80:81], v[60:61], v[80:81]
	ds_load_b128 v[60:63], v1 offset:1296
	s_waitcnt vmcnt(9) lgkmcnt(1)
	v_mul_f64 v[169:170], v[2:3], v[12:13]
	v_mul_f64 v[12:13], v[4:5], v[12:13]
	v_add_f64 v[54:55], v[54:55], v[167:168]
	v_add_f64 v[76:77], v[80:81], v[76:77]
	s_waitcnt vmcnt(8) lgkmcnt(0)
	v_mul_f64 v[80:81], v[60:61], v[16:17]
	v_mul_f64 v[16:17], v[62:63], v[16:17]
	v_fma_f64 v[165:166], v[4:5], v[10:11], v[169:170]
	v_fma_f64 v[167:168], v[2:3], v[10:11], -v[12:13]
	ds_load_b128 v[2:5], v1 offset:1312
	scratch_load_b128 v[10:13], off, off offset:496
	v_add_f64 v[169:170], v[54:55], v[56:57]
	v_add_f64 v[58:59], v[76:77], v[58:59]
	ds_load_b128 v[54:57], v1 offset:1328
	s_waitcnt vmcnt(8) lgkmcnt(1)
	v_mul_f64 v[76:77], v[2:3], v[20:21]
	v_mul_f64 v[20:21], v[4:5], v[20:21]
	v_fma_f64 v[62:63], v[62:63], v[14:15], v[80:81]
	v_fma_f64 v[60:61], v[60:61], v[14:15], -v[16:17]
	scratch_load_b128 v[14:17], off, off offset:512
	v_add_f64 v[80:81], v[169:170], v[167:168]
	v_add_f64 v[58:59], v[58:59], v[165:166]
	s_waitcnt vmcnt(8) lgkmcnt(0)
	v_mul_f64 v[165:166], v[54:55], v[24:25]
	v_mul_f64 v[24:25], v[56:57], v[24:25]
	v_fma_f64 v[76:77], v[4:5], v[18:19], v[76:77]
	v_fma_f64 v[167:168], v[2:3], v[18:19], -v[20:21]
	ds_load_b128 v[2:5], v1 offset:1344
	scratch_load_b128 v[18:21], off, off offset:528
	v_add_f64 v[80:81], v[80:81], v[60:61]
	v_add_f64 v[62:63], v[58:59], v[62:63]
	ds_load_b128 v[58:61], v1 offset:1360
	s_waitcnt vmcnt(8) lgkmcnt(1)
	v_mul_f64 v[169:170], v[2:3], v[28:29]
	v_mul_f64 v[28:29], v[4:5], v[28:29]
	v_fma_f64 v[56:57], v[56:57], v[22:23], v[165:166]
	v_fma_f64 v[54:55], v[54:55], v[22:23], -v[24:25]
	scratch_load_b128 v[22:25], off, off offset:544
	;; [unrolled: 18-line block ×4, first 2 shown]
	s_waitcnt vmcnt(8) lgkmcnt(0)
	v_mul_f64 v[80:81], v[58:59], v[8:9]
	v_mul_f64 v[8:9], v[60:61], v[8:9]
	v_add_f64 v[76:77], v[76:77], v[167:168]
	v_add_f64 v[62:63], v[62:63], v[165:166]
	v_fma_f64 v[165:166], v[4:5], v[42:43], v[169:170]
	v_fma_f64 v[167:168], v[2:3], v[42:43], -v[44:45]
	ds_load_b128 v[2:5], v1 offset:1440
	scratch_load_b128 v[42:45], off, off offset:624
	v_fma_f64 v[60:61], v[60:61], v[6:7], v[80:81]
	v_fma_f64 v[58:59], v[58:59], v[6:7], -v[8:9]
	scratch_load_b128 v[6:9], off, off offset:640
	v_add_f64 v[76:77], v[76:77], v[54:55]
	v_add_f64 v[62:63], v[62:63], v[56:57]
	ds_load_b128 v[54:57], v1 offset:1456
	s_waitcnt vmcnt(9) lgkmcnt(1)
	v_mul_f64 v[169:170], v[2:3], v[12:13]
	v_mul_f64 v[12:13], v[4:5], v[12:13]
	s_waitcnt vmcnt(8) lgkmcnt(0)
	v_mul_f64 v[80:81], v[54:55], v[16:17]
	v_mul_f64 v[16:17], v[56:57], v[16:17]
	v_add_f64 v[76:77], v[76:77], v[167:168]
	v_add_f64 v[62:63], v[62:63], v[165:166]
	v_fma_f64 v[165:166], v[4:5], v[10:11], v[169:170]
	v_fma_f64 v[167:168], v[2:3], v[10:11], -v[12:13]
	ds_load_b128 v[2:5], v1 offset:1472
	scratch_load_b128 v[10:13], off, off offset:656
	v_fma_f64 v[56:57], v[56:57], v[14:15], v[80:81]
	v_fma_f64 v[54:55], v[54:55], v[14:15], -v[16:17]
	scratch_load_b128 v[14:17], off, off offset:672
	v_add_f64 v[76:77], v[76:77], v[58:59]
	v_add_f64 v[62:63], v[62:63], v[60:61]
	ds_load_b128 v[58:61], v1 offset:1488
	s_waitcnt vmcnt(9) lgkmcnt(1)
	v_mul_f64 v[169:170], v[2:3], v[20:21]
	v_mul_f64 v[20:21], v[4:5], v[20:21]
	;; [unrolled: 18-line block ×10, first 2 shown]
	s_waitcnt vmcnt(8) lgkmcnt(0)
	v_mul_f64 v[80:81], v[58:59], v[8:9]
	v_mul_f64 v[8:9], v[60:61], v[8:9]
	v_add_f64 v[76:77], v[76:77], v[167:168]
	v_add_f64 v[62:63], v[62:63], v[165:166]
	v_fma_f64 v[165:166], v[4:5], v[42:43], v[169:170]
	v_fma_f64 v[167:168], v[2:3], v[42:43], -v[44:45]
	ds_load_b128 v[2:5], v1 offset:1760
	ds_load_b128 v[42:45], v1 offset:1776
	v_fma_f64 v[60:61], v[60:61], v[6:7], v[80:81]
	v_fma_f64 v[6:7], v[58:59], v[6:7], -v[8:9]
	v_add_f64 v[54:55], v[76:77], v[54:55]
	v_add_f64 v[56:57], v[62:63], v[56:57]
	s_waitcnt vmcnt(7) lgkmcnt(1)
	v_mul_f64 v[62:63], v[2:3], v[12:13]
	v_mul_f64 v[12:13], v[4:5], v[12:13]
	s_delay_alu instid0(VALU_DEP_4) | instskip(NEXT) | instid1(VALU_DEP_4)
	v_add_f64 v[8:9], v[54:55], v[167:168]
	v_add_f64 v[54:55], v[56:57], v[165:166]
	s_waitcnt vmcnt(6) lgkmcnt(0)
	v_mul_f64 v[56:57], v[42:43], v[16:17]
	v_mul_f64 v[16:17], v[44:45], v[16:17]
	v_fma_f64 v[58:59], v[4:5], v[10:11], v[62:63]
	v_fma_f64 v[10:11], v[2:3], v[10:11], -v[12:13]
	v_add_f64 v[12:13], v[8:9], v[6:7]
	v_add_f64 v[54:55], v[54:55], v[60:61]
	ds_load_b128 v[2:5], v1 offset:1792
	ds_load_b128 v[6:9], v1 offset:1808
	v_fma_f64 v[44:45], v[44:45], v[14:15], v[56:57]
	v_fma_f64 v[14:15], v[42:43], v[14:15], -v[16:17]
	s_waitcnt vmcnt(5) lgkmcnt(1)
	v_mul_f64 v[60:61], v[2:3], v[20:21]
	v_mul_f64 v[20:21], v[4:5], v[20:21]
	s_waitcnt vmcnt(4) lgkmcnt(0)
	v_mul_f64 v[16:17], v[6:7], v[24:25]
	v_mul_f64 v[24:25], v[8:9], v[24:25]
	v_add_f64 v[10:11], v[12:13], v[10:11]
	v_add_f64 v[12:13], v[54:55], v[58:59]
	v_fma_f64 v[42:43], v[4:5], v[18:19], v[60:61]
	v_fma_f64 v[18:19], v[2:3], v[18:19], -v[20:21]
	v_fma_f64 v[8:9], v[8:9], v[22:23], v[16:17]
	v_fma_f64 v[6:7], v[6:7], v[22:23], -v[24:25]
	v_add_f64 v[14:15], v[10:11], v[14:15]
	v_add_f64 v[20:21], v[12:13], v[44:45]
	ds_load_b128 v[2:5], v1 offset:1824
	ds_load_b128 v[10:13], v1 offset:1840
	s_waitcnt vmcnt(3) lgkmcnt(1)
	v_mul_f64 v[44:45], v[2:3], v[28:29]
	v_mul_f64 v[28:29], v[4:5], v[28:29]
	v_add_f64 v[14:15], v[14:15], v[18:19]
	v_add_f64 v[16:17], v[20:21], v[42:43]
	s_waitcnt vmcnt(2) lgkmcnt(0)
	v_mul_f64 v[18:19], v[10:11], v[32:33]
	v_mul_f64 v[20:21], v[12:13], v[32:33]
	v_fma_f64 v[22:23], v[4:5], v[26:27], v[44:45]
	v_fma_f64 v[24:25], v[2:3], v[26:27], -v[28:29]
	v_add_f64 v[14:15], v[14:15], v[6:7]
	v_add_f64 v[16:17], v[16:17], v[8:9]
	ds_load_b128 v[2:5], v1 offset:1856
	ds_load_b128 v[6:9], v1 offset:1872
	v_fma_f64 v[12:13], v[12:13], v[30:31], v[18:19]
	v_fma_f64 v[10:11], v[10:11], v[30:31], -v[20:21]
	s_waitcnt vmcnt(1) lgkmcnt(1)
	v_mul_f64 v[26:27], v[2:3], v[36:37]
	v_mul_f64 v[28:29], v[4:5], v[36:37]
	s_waitcnt vmcnt(0) lgkmcnt(0)
	v_mul_f64 v[18:19], v[6:7], v[40:41]
	v_mul_f64 v[20:21], v[8:9], v[40:41]
	v_add_f64 v[14:15], v[14:15], v[24:25]
	v_add_f64 v[16:17], v[16:17], v[22:23]
	v_fma_f64 v[4:5], v[4:5], v[34:35], v[26:27]
	v_fma_f64 v[1:2], v[2:3], v[34:35], -v[28:29]
	v_fma_f64 v[8:9], v[8:9], v[38:39], v[18:19]
	v_fma_f64 v[6:7], v[6:7], v[38:39], -v[20:21]
	v_add_f64 v[10:11], v[14:15], v[10:11]
	v_add_f64 v[12:13], v[16:17], v[12:13]
	s_delay_alu instid0(VALU_DEP_2) | instskip(NEXT) | instid1(VALU_DEP_2)
	v_add_f64 v[1:2], v[10:11], v[1:2]
	v_add_f64 v[3:4], v[12:13], v[4:5]
	s_delay_alu instid0(VALU_DEP_2) | instskip(NEXT) | instid1(VALU_DEP_2)
	v_add_f64 v[1:2], v[1:2], v[6:7]
	v_add_f64 v[3:4], v[3:4], v[8:9]
	s_delay_alu instid0(VALU_DEP_2) | instskip(NEXT) | instid1(VALU_DEP_2)
	v_add_f64 v[1:2], v[50:51], -v[1:2]
	v_add_f64 v[3:4], v[52:53], -v[3:4]
	scratch_store_b128 off, v[1:4], off offset:128
	v_cmpx_lt_u32_e32 7, v164
	s_cbranch_execz .LBB58_353
; %bb.352:
	scratch_load_b128 v[1:4], v216, off
	v_mov_b32_e32 v5, 0
	s_delay_alu instid0(VALU_DEP_1)
	v_mov_b32_e32 v6, v5
	v_mov_b32_e32 v7, v5
	;; [unrolled: 1-line block ×3, first 2 shown]
	scratch_store_b128 off, v[5:8], off offset:112
	s_waitcnt vmcnt(0)
	ds_store_b128 v223, v[1:4]
.LBB58_353:
	s_or_b32 exec_lo, exec_lo, s2
	s_waitcnt lgkmcnt(0)
	s_waitcnt_vscnt null, 0x0
	s_barrier
	buffer_gl0_inv
	s_clause 0x7
	scratch_load_b128 v[2:5], off, off offset:128
	scratch_load_b128 v[6:9], off, off offset:144
	;; [unrolled: 1-line block ×8, first 2 shown]
	v_mov_b32_e32 v1, 0
	s_mov_b32 s2, exec_lo
	ds_load_b128 v[38:41], v1 offset:1072
	s_clause 0x1
	scratch_load_b128 v[34:37], off, off offset:256
	scratch_load_b128 v[42:45], off, off offset:112
	ds_load_b128 v[50:53], v1 offset:1088
	scratch_load_b128 v[54:57], off, off offset:272
	s_waitcnt vmcnt(10) lgkmcnt(1)
	v_mul_f64 v[58:59], v[40:41], v[4:5]
	v_mul_f64 v[4:5], v[38:39], v[4:5]
	s_delay_alu instid0(VALU_DEP_2) | instskip(NEXT) | instid1(VALU_DEP_2)
	v_fma_f64 v[76:77], v[38:39], v[2:3], -v[58:59]
	v_fma_f64 v[80:81], v[40:41], v[2:3], v[4:5]
	scratch_load_b128 v[38:41], off, off offset:288
	ds_load_b128 v[2:5], v1 offset:1104
	s_waitcnt vmcnt(10) lgkmcnt(1)
	v_mul_f64 v[62:63], v[50:51], v[8:9]
	v_mul_f64 v[8:9], v[52:53], v[8:9]
	ds_load_b128 v[58:61], v1 offset:1120
	s_waitcnt vmcnt(9) lgkmcnt(1)
	v_mul_f64 v[165:166], v[2:3], v[12:13]
	v_mul_f64 v[12:13], v[4:5], v[12:13]
	v_fma_f64 v[52:53], v[52:53], v[6:7], v[62:63]
	v_fma_f64 v[50:51], v[50:51], v[6:7], -v[8:9]
	v_add_f64 v[62:63], v[76:77], 0
	v_add_f64 v[76:77], v[80:81], 0
	scratch_load_b128 v[6:9], off, off offset:304
	v_fma_f64 v[165:166], v[4:5], v[10:11], v[165:166]
	v_fma_f64 v[167:168], v[2:3], v[10:11], -v[12:13]
	scratch_load_b128 v[10:13], off, off offset:320
	ds_load_b128 v[2:5], v1 offset:1136
	s_waitcnt vmcnt(10) lgkmcnt(1)
	v_mul_f64 v[80:81], v[58:59], v[16:17]
	v_mul_f64 v[16:17], v[60:61], v[16:17]
	v_add_f64 v[62:63], v[62:63], v[50:51]
	v_add_f64 v[76:77], v[76:77], v[52:53]
	s_waitcnt vmcnt(9) lgkmcnt(0)
	v_mul_f64 v[169:170], v[2:3], v[20:21]
	v_mul_f64 v[20:21], v[4:5], v[20:21]
	ds_load_b128 v[50:53], v1 offset:1152
	v_fma_f64 v[60:61], v[60:61], v[14:15], v[80:81]
	v_fma_f64 v[58:59], v[58:59], v[14:15], -v[16:17]
	scratch_load_b128 v[14:17], off, off offset:336
	v_add_f64 v[62:63], v[62:63], v[167:168]
	v_add_f64 v[76:77], v[76:77], v[165:166]
	v_fma_f64 v[165:166], v[4:5], v[18:19], v[169:170]
	v_fma_f64 v[167:168], v[2:3], v[18:19], -v[20:21]
	scratch_load_b128 v[18:21], off, off offset:352
	ds_load_b128 v[2:5], v1 offset:1168
	s_waitcnt vmcnt(10) lgkmcnt(1)
	v_mul_f64 v[80:81], v[50:51], v[24:25]
	v_mul_f64 v[24:25], v[52:53], v[24:25]
	s_waitcnt vmcnt(9) lgkmcnt(0)
	v_mul_f64 v[169:170], v[2:3], v[28:29]
	v_mul_f64 v[28:29], v[4:5], v[28:29]
	v_add_f64 v[62:63], v[62:63], v[58:59]
	v_add_f64 v[76:77], v[76:77], v[60:61]
	ds_load_b128 v[58:61], v1 offset:1184
	v_fma_f64 v[52:53], v[52:53], v[22:23], v[80:81]
	v_fma_f64 v[50:51], v[50:51], v[22:23], -v[24:25]
	scratch_load_b128 v[22:25], off, off offset:368
	v_add_f64 v[62:63], v[62:63], v[167:168]
	v_add_f64 v[76:77], v[76:77], v[165:166]
	v_fma_f64 v[165:166], v[4:5], v[26:27], v[169:170]
	v_fma_f64 v[167:168], v[2:3], v[26:27], -v[28:29]
	scratch_load_b128 v[26:29], off, off offset:384
	ds_load_b128 v[2:5], v1 offset:1200
	s_waitcnt vmcnt(10) lgkmcnt(1)
	v_mul_f64 v[80:81], v[58:59], v[32:33]
	v_mul_f64 v[32:33], v[60:61], v[32:33]
	s_waitcnt vmcnt(9) lgkmcnt(0)
	v_mul_f64 v[169:170], v[2:3], v[36:37]
	v_mul_f64 v[36:37], v[4:5], v[36:37]
	v_add_f64 v[62:63], v[62:63], v[50:51]
	v_add_f64 v[76:77], v[76:77], v[52:53]
	ds_load_b128 v[50:53], v1 offset:1216
	v_fma_f64 v[60:61], v[60:61], v[30:31], v[80:81]
	v_fma_f64 v[58:59], v[58:59], v[30:31], -v[32:33]
	scratch_load_b128 v[30:33], off, off offset:400
	v_add_f64 v[62:63], v[62:63], v[167:168]
	v_add_f64 v[76:77], v[76:77], v[165:166]
	v_fma_f64 v[167:168], v[4:5], v[34:35], v[169:170]
	v_fma_f64 v[169:170], v[2:3], v[34:35], -v[36:37]
	scratch_load_b128 v[34:37], off, off offset:416
	ds_load_b128 v[2:5], v1 offset:1232
	s_waitcnt vmcnt(9) lgkmcnt(1)
	v_mul_f64 v[80:81], v[50:51], v[56:57]
	v_mul_f64 v[165:166], v[52:53], v[56:57]
	v_add_f64 v[62:63], v[62:63], v[58:59]
	v_add_f64 v[60:61], v[76:77], v[60:61]
	ds_load_b128 v[56:59], v1 offset:1248
	v_fma_f64 v[80:81], v[52:53], v[54:55], v[80:81]
	v_fma_f64 v[54:55], v[50:51], v[54:55], -v[165:166]
	scratch_load_b128 v[50:53], off, off offset:432
	s_waitcnt vmcnt(9) lgkmcnt(1)
	v_mul_f64 v[76:77], v[2:3], v[40:41]
	v_mul_f64 v[40:41], v[4:5], v[40:41]
	v_add_f64 v[62:63], v[62:63], v[169:170]
	v_add_f64 v[60:61], v[60:61], v[167:168]
	s_delay_alu instid0(VALU_DEP_4) | instskip(NEXT) | instid1(VALU_DEP_4)
	v_fma_f64 v[76:77], v[4:5], v[38:39], v[76:77]
	v_fma_f64 v[167:168], v[2:3], v[38:39], -v[40:41]
	scratch_load_b128 v[38:41], off, off offset:448
	ds_load_b128 v[2:5], v1 offset:1264
	s_waitcnt vmcnt(9) lgkmcnt(1)
	v_mul_f64 v[165:166], v[56:57], v[8:9]
	v_mul_f64 v[8:9], v[58:59], v[8:9]
	s_waitcnt vmcnt(8) lgkmcnt(0)
	v_mul_f64 v[169:170], v[2:3], v[12:13]
	v_mul_f64 v[12:13], v[4:5], v[12:13]
	v_add_f64 v[54:55], v[62:63], v[54:55]
	v_add_f64 v[80:81], v[60:61], v[80:81]
	ds_load_b128 v[60:63], v1 offset:1280
	v_fma_f64 v[58:59], v[58:59], v[6:7], v[165:166]
	v_fma_f64 v[56:57], v[56:57], v[6:7], -v[8:9]
	scratch_load_b128 v[6:9], off, off offset:464
	v_fma_f64 v[165:166], v[4:5], v[10:11], v[169:170]
	v_add_f64 v[54:55], v[54:55], v[167:168]
	v_add_f64 v[76:77], v[80:81], v[76:77]
	v_fma_f64 v[167:168], v[2:3], v[10:11], -v[12:13]
	scratch_load_b128 v[10:13], off, off offset:480
	ds_load_b128 v[2:5], v1 offset:1296
	s_waitcnt vmcnt(9) lgkmcnt(1)
	v_mul_f64 v[80:81], v[60:61], v[16:17]
	v_mul_f64 v[16:17], v[62:63], v[16:17]
	v_add_f64 v[169:170], v[54:55], v[56:57]
	v_add_f64 v[58:59], v[76:77], v[58:59]
	s_waitcnt vmcnt(8) lgkmcnt(0)
	v_mul_f64 v[76:77], v[2:3], v[20:21]
	v_mul_f64 v[20:21], v[4:5], v[20:21]
	ds_load_b128 v[54:57], v1 offset:1312
	v_fma_f64 v[62:63], v[62:63], v[14:15], v[80:81]
	v_fma_f64 v[60:61], v[60:61], v[14:15], -v[16:17]
	scratch_load_b128 v[14:17], off, off offset:496
	v_add_f64 v[80:81], v[169:170], v[167:168]
	v_add_f64 v[58:59], v[58:59], v[165:166]
	v_fma_f64 v[76:77], v[4:5], v[18:19], v[76:77]
	v_fma_f64 v[167:168], v[2:3], v[18:19], -v[20:21]
	scratch_load_b128 v[18:21], off, off offset:512
	ds_load_b128 v[2:5], v1 offset:1328
	s_waitcnt vmcnt(9) lgkmcnt(1)
	v_mul_f64 v[165:166], v[54:55], v[24:25]
	v_mul_f64 v[24:25], v[56:57], v[24:25]
	s_waitcnt vmcnt(8) lgkmcnt(0)
	v_mul_f64 v[169:170], v[2:3], v[28:29]
	v_mul_f64 v[28:29], v[4:5], v[28:29]
	v_add_f64 v[80:81], v[80:81], v[60:61]
	v_add_f64 v[62:63], v[58:59], v[62:63]
	ds_load_b128 v[58:61], v1 offset:1344
	v_fma_f64 v[56:57], v[56:57], v[22:23], v[165:166]
	v_fma_f64 v[54:55], v[54:55], v[22:23], -v[24:25]
	scratch_load_b128 v[22:25], off, off offset:528
	v_fma_f64 v[165:166], v[4:5], v[26:27], v[169:170]
	v_add_f64 v[80:81], v[80:81], v[167:168]
	v_add_f64 v[62:63], v[62:63], v[76:77]
	v_fma_f64 v[167:168], v[2:3], v[26:27], -v[28:29]
	scratch_load_b128 v[26:29], off, off offset:544
	ds_load_b128 v[2:5], v1 offset:1360
	s_waitcnt vmcnt(9) lgkmcnt(1)
	v_mul_f64 v[76:77], v[58:59], v[32:33]
	v_mul_f64 v[32:33], v[60:61], v[32:33]
	s_waitcnt vmcnt(8) lgkmcnt(0)
	v_mul_f64 v[169:170], v[2:3], v[36:37]
	v_mul_f64 v[36:37], v[4:5], v[36:37]
	v_add_f64 v[80:81], v[80:81], v[54:55]
	v_add_f64 v[62:63], v[62:63], v[56:57]
	ds_load_b128 v[54:57], v1 offset:1376
	v_fma_f64 v[60:61], v[60:61], v[30:31], v[76:77]
	v_fma_f64 v[58:59], v[58:59], v[30:31], -v[32:33]
	scratch_load_b128 v[30:33], off, off offset:560
	v_add_f64 v[76:77], v[80:81], v[167:168]
	v_add_f64 v[62:63], v[62:63], v[165:166]
	v_fma_f64 v[165:166], v[4:5], v[34:35], v[169:170]
	v_fma_f64 v[167:168], v[2:3], v[34:35], -v[36:37]
	scratch_load_b128 v[34:37], off, off offset:576
	ds_load_b128 v[2:5], v1 offset:1392
	s_waitcnt vmcnt(9) lgkmcnt(1)
	v_mul_f64 v[80:81], v[54:55], v[52:53]
	v_mul_f64 v[52:53], v[56:57], v[52:53]
	s_waitcnt vmcnt(8) lgkmcnt(0)
	v_mul_f64 v[169:170], v[2:3], v[40:41]
	v_mul_f64 v[40:41], v[4:5], v[40:41]
	v_add_f64 v[76:77], v[76:77], v[58:59]
	v_add_f64 v[62:63], v[62:63], v[60:61]
	ds_load_b128 v[58:61], v1 offset:1408
	v_fma_f64 v[56:57], v[56:57], v[50:51], v[80:81]
	v_fma_f64 v[54:55], v[54:55], v[50:51], -v[52:53]
	scratch_load_b128 v[50:53], off, off offset:592
	v_add_f64 v[76:77], v[76:77], v[167:168]
	v_add_f64 v[62:63], v[62:63], v[165:166]
	v_fma_f64 v[165:166], v[4:5], v[38:39], v[169:170]
	;; [unrolled: 18-line block ×6, first 2 shown]
	v_fma_f64 v[169:170], v[2:3], v[34:35], -v[36:37]
	scratch_load_b128 v[34:37], off, off offset:736
	ds_load_b128 v[2:5], v1 offset:1552
	s_waitcnt vmcnt(9) lgkmcnt(1)
	v_mul_f64 v[80:81], v[58:59], v[52:53]
	v_mul_f64 v[165:166], v[60:61], v[52:53]
	v_add_f64 v[76:77], v[76:77], v[54:55]
	v_add_f64 v[56:57], v[62:63], v[56:57]
	s_waitcnt vmcnt(8) lgkmcnt(0)
	v_mul_f64 v[62:63], v[2:3], v[40:41]
	v_mul_f64 v[40:41], v[4:5], v[40:41]
	ds_load_b128 v[52:55], v1 offset:1568
	v_fma_f64 v[60:61], v[60:61], v[50:51], v[80:81]
	v_fma_f64 v[50:51], v[58:59], v[50:51], -v[165:166]
	v_add_f64 v[76:77], v[76:77], v[169:170]
	v_add_f64 v[80:81], v[56:57], v[167:168]
	scratch_load_b128 v[56:59], off, off offset:752
	v_fma_f64 v[167:168], v[4:5], v[38:39], v[62:63]
	v_fma_f64 v[169:170], v[2:3], v[38:39], -v[40:41]
	scratch_load_b128 v[38:41], off, off offset:768
	ds_load_b128 v[2:5], v1 offset:1584
	s_waitcnt vmcnt(9) lgkmcnt(1)
	v_mul_f64 v[165:166], v[52:53], v[8:9]
	v_mul_f64 v[8:9], v[54:55], v[8:9]
	v_add_f64 v[50:51], v[76:77], v[50:51]
	v_add_f64 v[76:77], v[80:81], v[60:61]
	s_waitcnt vmcnt(8) lgkmcnt(0)
	v_mul_f64 v[80:81], v[2:3], v[12:13]
	v_mul_f64 v[12:13], v[4:5], v[12:13]
	ds_load_b128 v[60:63], v1 offset:1600
	v_fma_f64 v[54:55], v[54:55], v[6:7], v[165:166]
	v_fma_f64 v[52:53], v[52:53], v[6:7], -v[8:9]
	scratch_load_b128 v[6:9], off, off offset:784
	v_add_f64 v[50:51], v[50:51], v[169:170]
	v_add_f64 v[76:77], v[76:77], v[167:168]
	v_fma_f64 v[80:81], v[4:5], v[10:11], v[80:81]
	v_fma_f64 v[167:168], v[2:3], v[10:11], -v[12:13]
	scratch_load_b128 v[10:13], off, off offset:800
	ds_load_b128 v[2:5], v1 offset:1616
	s_waitcnt vmcnt(9) lgkmcnt(1)
	v_mul_f64 v[165:166], v[60:61], v[16:17]
	v_mul_f64 v[16:17], v[62:63], v[16:17]
	v_add_f64 v[169:170], v[50:51], v[52:53]
	v_add_f64 v[54:55], v[76:77], v[54:55]
	s_waitcnt vmcnt(8) lgkmcnt(0)
	v_mul_f64 v[76:77], v[2:3], v[20:21]
	v_mul_f64 v[20:21], v[4:5], v[20:21]
	ds_load_b128 v[50:53], v1 offset:1632
	v_fma_f64 v[62:63], v[62:63], v[14:15], v[165:166]
	v_fma_f64 v[60:61], v[60:61], v[14:15], -v[16:17]
	scratch_load_b128 v[14:17], off, off offset:816
	v_add_f64 v[165:166], v[169:170], v[167:168]
	v_add_f64 v[54:55], v[54:55], v[80:81]
	v_fma_f64 v[76:77], v[4:5], v[18:19], v[76:77]
	v_fma_f64 v[167:168], v[2:3], v[18:19], -v[20:21]
	scratch_load_b128 v[18:21], off, off offset:832
	ds_load_b128 v[2:5], v1 offset:1648
	s_waitcnt vmcnt(9) lgkmcnt(1)
	v_mul_f64 v[80:81], v[50:51], v[24:25]
	v_mul_f64 v[24:25], v[52:53], v[24:25]
	s_waitcnt vmcnt(8) lgkmcnt(0)
	v_mul_f64 v[169:170], v[2:3], v[28:29]
	v_mul_f64 v[28:29], v[4:5], v[28:29]
	v_add_f64 v[165:166], v[165:166], v[60:61]
	v_add_f64 v[54:55], v[54:55], v[62:63]
	ds_load_b128 v[60:63], v1 offset:1664
	v_fma_f64 v[52:53], v[52:53], v[22:23], v[80:81]
	v_fma_f64 v[50:51], v[50:51], v[22:23], -v[24:25]
	scratch_load_b128 v[22:25], off, off offset:848
	v_add_f64 v[80:81], v[165:166], v[167:168]
	v_add_f64 v[54:55], v[54:55], v[76:77]
	v_fma_f64 v[165:166], v[4:5], v[26:27], v[169:170]
	v_fma_f64 v[167:168], v[2:3], v[26:27], -v[28:29]
	scratch_load_b128 v[26:29], off, off offset:864
	ds_load_b128 v[2:5], v1 offset:1680
	s_waitcnt vmcnt(9) lgkmcnt(1)
	v_mul_f64 v[76:77], v[60:61], v[32:33]
	v_mul_f64 v[32:33], v[62:63], v[32:33]
	s_waitcnt vmcnt(8) lgkmcnt(0)
	v_mul_f64 v[169:170], v[2:3], v[36:37]
	v_mul_f64 v[36:37], v[4:5], v[36:37]
	v_add_f64 v[80:81], v[80:81], v[50:51]
	v_add_f64 v[54:55], v[54:55], v[52:53]
	ds_load_b128 v[50:53], v1 offset:1696
	v_fma_f64 v[62:63], v[62:63], v[30:31], v[76:77]
	v_fma_f64 v[60:61], v[60:61], v[30:31], -v[32:33]
	scratch_load_b128 v[30:33], off, off offset:880
	v_add_f64 v[76:77], v[80:81], v[167:168]
	v_add_f64 v[54:55], v[54:55], v[165:166]
	v_fma_f64 v[167:168], v[4:5], v[34:35], v[169:170]
	v_fma_f64 v[169:170], v[2:3], v[34:35], -v[36:37]
	scratch_load_b128 v[34:37], off, off offset:896
	ds_load_b128 v[2:5], v1 offset:1712
	s_waitcnt vmcnt(9) lgkmcnt(1)
	v_mul_f64 v[80:81], v[50:51], v[58:59]
	v_mul_f64 v[165:166], v[52:53], v[58:59]
	v_add_f64 v[76:77], v[76:77], v[60:61]
	v_add_f64 v[54:55], v[54:55], v[62:63]
	s_waitcnt vmcnt(8) lgkmcnt(0)
	v_mul_f64 v[62:63], v[2:3], v[40:41]
	v_mul_f64 v[40:41], v[4:5], v[40:41]
	ds_load_b128 v[58:61], v1 offset:1728
	v_fma_f64 v[80:81], v[52:53], v[56:57], v[80:81]
	v_fma_f64 v[56:57], v[50:51], v[56:57], -v[165:166]
	scratch_load_b128 v[50:53], off, off offset:912
	v_add_f64 v[76:77], v[76:77], v[169:170]
	v_add_f64 v[54:55], v[54:55], v[167:168]
	v_fma_f64 v[62:63], v[4:5], v[38:39], v[62:63]
	v_fma_f64 v[167:168], v[2:3], v[38:39], -v[40:41]
	scratch_load_b128 v[38:41], off, off offset:928
	ds_load_b128 v[2:5], v1 offset:1744
	s_waitcnt vmcnt(9) lgkmcnt(1)
	v_mul_f64 v[165:166], v[58:59], v[8:9]
	v_mul_f64 v[8:9], v[60:61], v[8:9]
	s_waitcnt vmcnt(8) lgkmcnt(0)
	v_mul_f64 v[169:170], v[2:3], v[12:13]
	v_mul_f64 v[12:13], v[4:5], v[12:13]
	v_add_f64 v[76:77], v[76:77], v[56:57]
	v_add_f64 v[80:81], v[54:55], v[80:81]
	ds_load_b128 v[54:57], v1 offset:1760
	v_fma_f64 v[60:61], v[60:61], v[6:7], v[165:166]
	v_fma_f64 v[6:7], v[58:59], v[6:7], -v[8:9]
	v_add_f64 v[8:9], v[76:77], v[167:168]
	v_add_f64 v[58:59], v[80:81], v[62:63]
	s_waitcnt vmcnt(7) lgkmcnt(0)
	v_mul_f64 v[62:63], v[54:55], v[16:17]
	v_mul_f64 v[16:17], v[56:57], v[16:17]
	v_fma_f64 v[76:77], v[4:5], v[10:11], v[169:170]
	v_fma_f64 v[10:11], v[2:3], v[10:11], -v[12:13]
	v_add_f64 v[12:13], v[8:9], v[6:7]
	v_add_f64 v[58:59], v[58:59], v[60:61]
	ds_load_b128 v[2:5], v1 offset:1776
	ds_load_b128 v[6:9], v1 offset:1792
	v_fma_f64 v[56:57], v[56:57], v[14:15], v[62:63]
	v_fma_f64 v[14:15], v[54:55], v[14:15], -v[16:17]
	s_waitcnt vmcnt(6) lgkmcnt(1)
	v_mul_f64 v[60:61], v[2:3], v[20:21]
	v_mul_f64 v[20:21], v[4:5], v[20:21]
	s_waitcnt vmcnt(5) lgkmcnt(0)
	v_mul_f64 v[16:17], v[6:7], v[24:25]
	v_mul_f64 v[24:25], v[8:9], v[24:25]
	v_add_f64 v[10:11], v[12:13], v[10:11]
	v_add_f64 v[12:13], v[58:59], v[76:77]
	v_fma_f64 v[54:55], v[4:5], v[18:19], v[60:61]
	v_fma_f64 v[18:19], v[2:3], v[18:19], -v[20:21]
	v_fma_f64 v[8:9], v[8:9], v[22:23], v[16:17]
	v_fma_f64 v[6:7], v[6:7], v[22:23], -v[24:25]
	v_add_f64 v[14:15], v[10:11], v[14:15]
	v_add_f64 v[20:21], v[12:13], v[56:57]
	ds_load_b128 v[2:5], v1 offset:1808
	ds_load_b128 v[10:13], v1 offset:1824
	s_waitcnt vmcnt(4) lgkmcnt(1)
	v_mul_f64 v[56:57], v[2:3], v[28:29]
	v_mul_f64 v[28:29], v[4:5], v[28:29]
	v_add_f64 v[14:15], v[14:15], v[18:19]
	v_add_f64 v[16:17], v[20:21], v[54:55]
	s_waitcnt vmcnt(3) lgkmcnt(0)
	v_mul_f64 v[18:19], v[10:11], v[32:33]
	v_mul_f64 v[20:21], v[12:13], v[32:33]
	v_fma_f64 v[22:23], v[4:5], v[26:27], v[56:57]
	v_fma_f64 v[24:25], v[2:3], v[26:27], -v[28:29]
	v_add_f64 v[14:15], v[14:15], v[6:7]
	v_add_f64 v[16:17], v[16:17], v[8:9]
	ds_load_b128 v[2:5], v1 offset:1840
	ds_load_b128 v[6:9], v1 offset:1856
	v_fma_f64 v[12:13], v[12:13], v[30:31], v[18:19]
	v_fma_f64 v[10:11], v[10:11], v[30:31], -v[20:21]
	s_waitcnt vmcnt(2) lgkmcnt(1)
	v_mul_f64 v[26:27], v[2:3], v[36:37]
	v_mul_f64 v[28:29], v[4:5], v[36:37]
	s_waitcnt vmcnt(1) lgkmcnt(0)
	v_mul_f64 v[18:19], v[6:7], v[52:53]
	v_mul_f64 v[20:21], v[8:9], v[52:53]
	v_add_f64 v[14:15], v[14:15], v[24:25]
	v_add_f64 v[16:17], v[16:17], v[22:23]
	v_fma_f64 v[22:23], v[4:5], v[34:35], v[26:27]
	v_fma_f64 v[24:25], v[2:3], v[34:35], -v[28:29]
	ds_load_b128 v[2:5], v1 offset:1872
	v_fma_f64 v[8:9], v[8:9], v[50:51], v[18:19]
	v_fma_f64 v[6:7], v[6:7], v[50:51], -v[20:21]
	v_add_f64 v[10:11], v[14:15], v[10:11]
	v_add_f64 v[12:13], v[16:17], v[12:13]
	s_waitcnt vmcnt(0) lgkmcnt(0)
	v_mul_f64 v[14:15], v[2:3], v[40:41]
	v_mul_f64 v[16:17], v[4:5], v[40:41]
	s_delay_alu instid0(VALU_DEP_4) | instskip(NEXT) | instid1(VALU_DEP_4)
	v_add_f64 v[10:11], v[10:11], v[24:25]
	v_add_f64 v[12:13], v[12:13], v[22:23]
	s_delay_alu instid0(VALU_DEP_4) | instskip(NEXT) | instid1(VALU_DEP_4)
	v_fma_f64 v[4:5], v[4:5], v[38:39], v[14:15]
	v_fma_f64 v[2:3], v[2:3], v[38:39], -v[16:17]
	s_delay_alu instid0(VALU_DEP_4) | instskip(NEXT) | instid1(VALU_DEP_4)
	v_add_f64 v[6:7], v[10:11], v[6:7]
	v_add_f64 v[8:9], v[12:13], v[8:9]
	s_delay_alu instid0(VALU_DEP_2) | instskip(NEXT) | instid1(VALU_DEP_2)
	v_add_f64 v[2:3], v[6:7], v[2:3]
	v_add_f64 v[4:5], v[8:9], v[4:5]
	s_delay_alu instid0(VALU_DEP_2) | instskip(NEXT) | instid1(VALU_DEP_2)
	v_add_f64 v[2:3], v[42:43], -v[2:3]
	v_add_f64 v[4:5], v[44:45], -v[4:5]
	scratch_store_b128 off, v[2:5], off offset:112
	v_cmpx_lt_u32_e32 6, v164
	s_cbranch_execz .LBB58_355
; %bb.354:
	scratch_load_b128 v[5:8], v217, off
	v_mov_b32_e32 v2, v1
	v_mov_b32_e32 v3, v1
	;; [unrolled: 1-line block ×3, first 2 shown]
	scratch_store_b128 off, v[1:4], off offset:96
	s_waitcnt vmcnt(0)
	ds_store_b128 v223, v[5:8]
.LBB58_355:
	s_or_b32 exec_lo, exec_lo, s2
	s_waitcnt lgkmcnt(0)
	s_waitcnt_vscnt null, 0x0
	s_barrier
	buffer_gl0_inv
	s_clause 0x8
	scratch_load_b128 v[2:5], off, off offset:112
	scratch_load_b128 v[6:9], off, off offset:128
	;; [unrolled: 1-line block ×9, first 2 shown]
	ds_load_b128 v[42:45], v1 offset:1056
	ds_load_b128 v[38:41], v1 offset:1072
	s_clause 0x1
	scratch_load_b128 v[50:53], off, off offset:96
	scratch_load_b128 v[54:57], off, off offset:256
	s_mov_b32 s2, exec_lo
	s_waitcnt vmcnt(10) lgkmcnt(1)
	v_mul_f64 v[58:59], v[44:45], v[4:5]
	v_mul_f64 v[4:5], v[42:43], v[4:5]
	s_waitcnt vmcnt(9) lgkmcnt(0)
	v_mul_f64 v[62:63], v[38:39], v[8:9]
	v_mul_f64 v[8:9], v[40:41], v[8:9]
	s_delay_alu instid0(VALU_DEP_4) | instskip(NEXT) | instid1(VALU_DEP_4)
	v_fma_f64 v[76:77], v[42:43], v[2:3], -v[58:59]
	v_fma_f64 v[80:81], v[44:45], v[2:3], v[4:5]
	ds_load_b128 v[2:5], v1 offset:1088
	ds_load_b128 v[58:61], v1 offset:1104
	scratch_load_b128 v[42:45], off, off offset:272
	v_fma_f64 v[40:41], v[40:41], v[6:7], v[62:63]
	v_fma_f64 v[38:39], v[38:39], v[6:7], -v[8:9]
	scratch_load_b128 v[6:9], off, off offset:288
	s_waitcnt vmcnt(10) lgkmcnt(1)
	v_mul_f64 v[165:166], v[2:3], v[12:13]
	v_mul_f64 v[12:13], v[4:5], v[12:13]
	v_add_f64 v[62:63], v[76:77], 0
	v_add_f64 v[76:77], v[80:81], 0
	s_waitcnt vmcnt(9) lgkmcnt(0)
	v_mul_f64 v[80:81], v[58:59], v[16:17]
	v_mul_f64 v[16:17], v[60:61], v[16:17]
	v_fma_f64 v[165:166], v[4:5], v[10:11], v[165:166]
	v_fma_f64 v[167:168], v[2:3], v[10:11], -v[12:13]
	ds_load_b128 v[2:5], v1 offset:1120
	scratch_load_b128 v[10:13], off, off offset:304
	v_add_f64 v[62:63], v[62:63], v[38:39]
	v_add_f64 v[76:77], v[76:77], v[40:41]
	ds_load_b128 v[38:41], v1 offset:1136
	v_fma_f64 v[60:61], v[60:61], v[14:15], v[80:81]
	v_fma_f64 v[58:59], v[58:59], v[14:15], -v[16:17]
	scratch_load_b128 v[14:17], off, off offset:320
	s_waitcnt vmcnt(10) lgkmcnt(1)
	v_mul_f64 v[169:170], v[2:3], v[20:21]
	v_mul_f64 v[20:21], v[4:5], v[20:21]
	s_waitcnt vmcnt(9) lgkmcnt(0)
	v_mul_f64 v[80:81], v[38:39], v[24:25]
	v_mul_f64 v[24:25], v[40:41], v[24:25]
	v_add_f64 v[62:63], v[62:63], v[167:168]
	v_add_f64 v[76:77], v[76:77], v[165:166]
	v_fma_f64 v[165:166], v[4:5], v[18:19], v[169:170]
	v_fma_f64 v[167:168], v[2:3], v[18:19], -v[20:21]
	ds_load_b128 v[2:5], v1 offset:1152
	scratch_load_b128 v[18:21], off, off offset:336
	v_fma_f64 v[40:41], v[40:41], v[22:23], v[80:81]
	v_fma_f64 v[38:39], v[38:39], v[22:23], -v[24:25]
	scratch_load_b128 v[22:25], off, off offset:352
	v_add_f64 v[62:63], v[62:63], v[58:59]
	v_add_f64 v[76:77], v[76:77], v[60:61]
	ds_load_b128 v[58:61], v1 offset:1168
	s_waitcnt vmcnt(10) lgkmcnt(1)
	v_mul_f64 v[169:170], v[2:3], v[28:29]
	v_mul_f64 v[28:29], v[4:5], v[28:29]
	s_waitcnt vmcnt(9) lgkmcnt(0)
	v_mul_f64 v[80:81], v[58:59], v[32:33]
	v_mul_f64 v[32:33], v[60:61], v[32:33]
	v_add_f64 v[62:63], v[62:63], v[167:168]
	v_add_f64 v[76:77], v[76:77], v[165:166]
	v_fma_f64 v[165:166], v[4:5], v[26:27], v[169:170]
	v_fma_f64 v[167:168], v[2:3], v[26:27], -v[28:29]
	ds_load_b128 v[2:5], v1 offset:1184
	scratch_load_b128 v[26:29], off, off offset:368
	v_fma_f64 v[60:61], v[60:61], v[30:31], v[80:81]
	v_fma_f64 v[58:59], v[58:59], v[30:31], -v[32:33]
	scratch_load_b128 v[30:33], off, off offset:384
	v_add_f64 v[62:63], v[62:63], v[38:39]
	v_add_f64 v[76:77], v[76:77], v[40:41]
	ds_load_b128 v[38:41], v1 offset:1200
	s_waitcnt vmcnt(10) lgkmcnt(1)
	v_mul_f64 v[169:170], v[2:3], v[36:37]
	v_mul_f64 v[36:37], v[4:5], v[36:37]
	s_waitcnt vmcnt(8) lgkmcnt(0)
	v_mul_f64 v[80:81], v[38:39], v[56:57]
	v_add_f64 v[62:63], v[62:63], v[167:168]
	v_add_f64 v[76:77], v[76:77], v[165:166]
	v_mul_f64 v[165:166], v[40:41], v[56:57]
	v_fma_f64 v[167:168], v[4:5], v[34:35], v[169:170]
	v_fma_f64 v[169:170], v[2:3], v[34:35], -v[36:37]
	ds_load_b128 v[2:5], v1 offset:1216
	scratch_load_b128 v[34:37], off, off offset:400
	v_fma_f64 v[80:81], v[40:41], v[54:55], v[80:81]
	v_add_f64 v[62:63], v[62:63], v[58:59]
	v_add_f64 v[60:61], v[76:77], v[60:61]
	ds_load_b128 v[56:59], v1 offset:1232
	v_fma_f64 v[54:55], v[38:39], v[54:55], -v[165:166]
	scratch_load_b128 v[38:41], off, off offset:416
	s_waitcnt vmcnt(9) lgkmcnt(1)
	v_mul_f64 v[76:77], v[2:3], v[44:45]
	v_mul_f64 v[44:45], v[4:5], v[44:45]
	s_waitcnt vmcnt(8) lgkmcnt(0)
	v_mul_f64 v[165:166], v[56:57], v[8:9]
	v_mul_f64 v[8:9], v[58:59], v[8:9]
	v_add_f64 v[62:63], v[62:63], v[169:170]
	v_add_f64 v[60:61], v[60:61], v[167:168]
	v_fma_f64 v[76:77], v[4:5], v[42:43], v[76:77]
	v_fma_f64 v[167:168], v[2:3], v[42:43], -v[44:45]
	ds_load_b128 v[2:5], v1 offset:1248
	scratch_load_b128 v[42:45], off, off offset:432
	v_fma_f64 v[58:59], v[58:59], v[6:7], v[165:166]
	v_fma_f64 v[56:57], v[56:57], v[6:7], -v[8:9]
	scratch_load_b128 v[6:9], off, off offset:448
	v_add_f64 v[54:55], v[62:63], v[54:55]
	v_add_f64 v[80:81], v[60:61], v[80:81]
	ds_load_b128 v[60:63], v1 offset:1264
	s_waitcnt vmcnt(9) lgkmcnt(1)
	v_mul_f64 v[169:170], v[2:3], v[12:13]
	v_mul_f64 v[12:13], v[4:5], v[12:13]
	v_add_f64 v[54:55], v[54:55], v[167:168]
	v_add_f64 v[76:77], v[80:81], v[76:77]
	s_waitcnt vmcnt(8) lgkmcnt(0)
	v_mul_f64 v[80:81], v[60:61], v[16:17]
	v_mul_f64 v[16:17], v[62:63], v[16:17]
	v_fma_f64 v[165:166], v[4:5], v[10:11], v[169:170]
	v_fma_f64 v[167:168], v[2:3], v[10:11], -v[12:13]
	ds_load_b128 v[2:5], v1 offset:1280
	scratch_load_b128 v[10:13], off, off offset:464
	v_add_f64 v[169:170], v[54:55], v[56:57]
	v_add_f64 v[58:59], v[76:77], v[58:59]
	ds_load_b128 v[54:57], v1 offset:1296
	s_waitcnt vmcnt(8) lgkmcnt(1)
	v_mul_f64 v[76:77], v[2:3], v[20:21]
	v_mul_f64 v[20:21], v[4:5], v[20:21]
	v_fma_f64 v[62:63], v[62:63], v[14:15], v[80:81]
	v_fma_f64 v[60:61], v[60:61], v[14:15], -v[16:17]
	scratch_load_b128 v[14:17], off, off offset:480
	v_add_f64 v[80:81], v[169:170], v[167:168]
	v_add_f64 v[58:59], v[58:59], v[165:166]
	s_waitcnt vmcnt(8) lgkmcnt(0)
	v_mul_f64 v[165:166], v[54:55], v[24:25]
	v_mul_f64 v[24:25], v[56:57], v[24:25]
	v_fma_f64 v[76:77], v[4:5], v[18:19], v[76:77]
	v_fma_f64 v[167:168], v[2:3], v[18:19], -v[20:21]
	ds_load_b128 v[2:5], v1 offset:1312
	scratch_load_b128 v[18:21], off, off offset:496
	v_add_f64 v[80:81], v[80:81], v[60:61]
	v_add_f64 v[62:63], v[58:59], v[62:63]
	ds_load_b128 v[58:61], v1 offset:1328
	s_waitcnt vmcnt(8) lgkmcnt(1)
	v_mul_f64 v[169:170], v[2:3], v[28:29]
	v_mul_f64 v[28:29], v[4:5], v[28:29]
	v_fma_f64 v[56:57], v[56:57], v[22:23], v[165:166]
	v_fma_f64 v[54:55], v[54:55], v[22:23], -v[24:25]
	scratch_load_b128 v[22:25], off, off offset:512
	;; [unrolled: 18-line block ×4, first 2 shown]
	s_waitcnt vmcnt(8) lgkmcnt(0)
	v_mul_f64 v[80:81], v[58:59], v[8:9]
	v_mul_f64 v[8:9], v[60:61], v[8:9]
	v_add_f64 v[76:77], v[76:77], v[167:168]
	v_add_f64 v[62:63], v[62:63], v[165:166]
	v_fma_f64 v[165:166], v[4:5], v[42:43], v[169:170]
	v_fma_f64 v[167:168], v[2:3], v[42:43], -v[44:45]
	ds_load_b128 v[2:5], v1 offset:1408
	scratch_load_b128 v[42:45], off, off offset:592
	v_fma_f64 v[60:61], v[60:61], v[6:7], v[80:81]
	v_fma_f64 v[58:59], v[58:59], v[6:7], -v[8:9]
	scratch_load_b128 v[6:9], off, off offset:608
	v_add_f64 v[76:77], v[76:77], v[54:55]
	v_add_f64 v[62:63], v[62:63], v[56:57]
	ds_load_b128 v[54:57], v1 offset:1424
	s_waitcnt vmcnt(9) lgkmcnt(1)
	v_mul_f64 v[169:170], v[2:3], v[12:13]
	v_mul_f64 v[12:13], v[4:5], v[12:13]
	s_waitcnt vmcnt(8) lgkmcnt(0)
	v_mul_f64 v[80:81], v[54:55], v[16:17]
	v_mul_f64 v[16:17], v[56:57], v[16:17]
	v_add_f64 v[76:77], v[76:77], v[167:168]
	v_add_f64 v[62:63], v[62:63], v[165:166]
	v_fma_f64 v[165:166], v[4:5], v[10:11], v[169:170]
	v_fma_f64 v[167:168], v[2:3], v[10:11], -v[12:13]
	ds_load_b128 v[2:5], v1 offset:1440
	scratch_load_b128 v[10:13], off, off offset:624
	v_fma_f64 v[56:57], v[56:57], v[14:15], v[80:81]
	v_fma_f64 v[54:55], v[54:55], v[14:15], -v[16:17]
	scratch_load_b128 v[14:17], off, off offset:640
	v_add_f64 v[76:77], v[76:77], v[58:59]
	v_add_f64 v[62:63], v[62:63], v[60:61]
	ds_load_b128 v[58:61], v1 offset:1456
	s_waitcnt vmcnt(9) lgkmcnt(1)
	v_mul_f64 v[169:170], v[2:3], v[20:21]
	v_mul_f64 v[20:21], v[4:5], v[20:21]
	;; [unrolled: 18-line block ×11, first 2 shown]
	s_waitcnt vmcnt(8) lgkmcnt(0)
	v_mul_f64 v[80:81], v[54:55], v[16:17]
	v_mul_f64 v[16:17], v[56:57], v[16:17]
	v_add_f64 v[76:77], v[76:77], v[167:168]
	v_add_f64 v[62:63], v[62:63], v[165:166]
	v_fma_f64 v[165:166], v[4:5], v[10:11], v[169:170]
	v_fma_f64 v[167:168], v[2:3], v[10:11], -v[12:13]
	ds_load_b128 v[2:5], v1 offset:1760
	ds_load_b128 v[10:13], v1 offset:1776
	v_fma_f64 v[56:57], v[56:57], v[14:15], v[80:81]
	v_fma_f64 v[14:15], v[54:55], v[14:15], -v[16:17]
	v_add_f64 v[58:59], v[76:77], v[58:59]
	v_add_f64 v[60:61], v[62:63], v[60:61]
	s_waitcnt vmcnt(7) lgkmcnt(1)
	v_mul_f64 v[62:63], v[2:3], v[20:21]
	v_mul_f64 v[20:21], v[4:5], v[20:21]
	s_delay_alu instid0(VALU_DEP_4) | instskip(NEXT) | instid1(VALU_DEP_4)
	v_add_f64 v[16:17], v[58:59], v[167:168]
	v_add_f64 v[54:55], v[60:61], v[165:166]
	s_waitcnt vmcnt(6) lgkmcnt(0)
	v_mul_f64 v[58:59], v[10:11], v[24:25]
	v_mul_f64 v[24:25], v[12:13], v[24:25]
	v_fma_f64 v[60:61], v[4:5], v[18:19], v[62:63]
	v_fma_f64 v[18:19], v[2:3], v[18:19], -v[20:21]
	v_add_f64 v[20:21], v[16:17], v[14:15]
	v_add_f64 v[54:55], v[54:55], v[56:57]
	ds_load_b128 v[2:5], v1 offset:1792
	ds_load_b128 v[14:17], v1 offset:1808
	v_fma_f64 v[12:13], v[12:13], v[22:23], v[58:59]
	v_fma_f64 v[10:11], v[10:11], v[22:23], -v[24:25]
	s_waitcnt vmcnt(5) lgkmcnt(1)
	v_mul_f64 v[56:57], v[2:3], v[28:29]
	v_mul_f64 v[28:29], v[4:5], v[28:29]
	s_waitcnt vmcnt(4) lgkmcnt(0)
	v_mul_f64 v[22:23], v[14:15], v[32:33]
	v_mul_f64 v[24:25], v[16:17], v[32:33]
	v_add_f64 v[18:19], v[20:21], v[18:19]
	v_add_f64 v[20:21], v[54:55], v[60:61]
	v_fma_f64 v[32:33], v[4:5], v[26:27], v[56:57]
	v_fma_f64 v[26:27], v[2:3], v[26:27], -v[28:29]
	v_fma_f64 v[16:17], v[16:17], v[30:31], v[22:23]
	v_fma_f64 v[14:15], v[14:15], v[30:31], -v[24:25]
	v_add_f64 v[18:19], v[18:19], v[10:11]
	v_add_f64 v[20:21], v[20:21], v[12:13]
	ds_load_b128 v[2:5], v1 offset:1824
	ds_load_b128 v[10:13], v1 offset:1840
	s_waitcnt vmcnt(3) lgkmcnt(1)
	v_mul_f64 v[28:29], v[2:3], v[36:37]
	v_mul_f64 v[36:37], v[4:5], v[36:37]
	s_waitcnt vmcnt(2) lgkmcnt(0)
	v_mul_f64 v[22:23], v[10:11], v[40:41]
	v_mul_f64 v[24:25], v[12:13], v[40:41]
	v_add_f64 v[18:19], v[18:19], v[26:27]
	v_add_f64 v[20:21], v[20:21], v[32:33]
	v_fma_f64 v[26:27], v[4:5], v[34:35], v[28:29]
	v_fma_f64 v[28:29], v[2:3], v[34:35], -v[36:37]
	v_fma_f64 v[12:13], v[12:13], v[38:39], v[22:23]
	v_fma_f64 v[10:11], v[10:11], v[38:39], -v[24:25]
	v_add_f64 v[18:19], v[18:19], v[14:15]
	v_add_f64 v[20:21], v[20:21], v[16:17]
	ds_load_b128 v[2:5], v1 offset:1856
	ds_load_b128 v[14:17], v1 offset:1872
	s_waitcnt vmcnt(1) lgkmcnt(1)
	v_mul_f64 v[30:31], v[2:3], v[44:45]
	v_mul_f64 v[32:33], v[4:5], v[44:45]
	s_waitcnt vmcnt(0) lgkmcnt(0)
	v_mul_f64 v[22:23], v[14:15], v[8:9]
	v_mul_f64 v[8:9], v[16:17], v[8:9]
	v_add_f64 v[18:19], v[18:19], v[28:29]
	v_add_f64 v[20:21], v[20:21], v[26:27]
	v_fma_f64 v[4:5], v[4:5], v[42:43], v[30:31]
	v_fma_f64 v[1:2], v[2:3], v[42:43], -v[32:33]
	v_fma_f64 v[16:17], v[16:17], v[6:7], v[22:23]
	v_fma_f64 v[6:7], v[14:15], v[6:7], -v[8:9]
	v_add_f64 v[10:11], v[18:19], v[10:11]
	v_add_f64 v[12:13], v[20:21], v[12:13]
	s_delay_alu instid0(VALU_DEP_2) | instskip(NEXT) | instid1(VALU_DEP_2)
	v_add_f64 v[1:2], v[10:11], v[1:2]
	v_add_f64 v[3:4], v[12:13], v[4:5]
	s_delay_alu instid0(VALU_DEP_2) | instskip(NEXT) | instid1(VALU_DEP_2)
	;; [unrolled: 3-line block ×3, first 2 shown]
	v_add_f64 v[1:2], v[50:51], -v[1:2]
	v_add_f64 v[3:4], v[52:53], -v[3:4]
	scratch_store_b128 off, v[1:4], off offset:96
	v_cmpx_lt_u32_e32 5, v164
	s_cbranch_execz .LBB58_357
; %bb.356:
	scratch_load_b128 v[1:4], v218, off
	v_mov_b32_e32 v5, 0
	s_delay_alu instid0(VALU_DEP_1)
	v_mov_b32_e32 v6, v5
	v_mov_b32_e32 v7, v5
	;; [unrolled: 1-line block ×3, first 2 shown]
	scratch_store_b128 off, v[5:8], off offset:80
	s_waitcnt vmcnt(0)
	ds_store_b128 v223, v[1:4]
.LBB58_357:
	s_or_b32 exec_lo, exec_lo, s2
	s_waitcnt lgkmcnt(0)
	s_waitcnt_vscnt null, 0x0
	s_barrier
	buffer_gl0_inv
	s_clause 0x7
	scratch_load_b128 v[2:5], off, off offset:96
	scratch_load_b128 v[6:9], off, off offset:112
	;; [unrolled: 1-line block ×8, first 2 shown]
	v_mov_b32_e32 v1, 0
	s_mov_b32 s2, exec_lo
	ds_load_b128 v[38:41], v1 offset:1040
	s_clause 0x1
	scratch_load_b128 v[34:37], off, off offset:224
	scratch_load_b128 v[42:45], off, off offset:80
	ds_load_b128 v[50:53], v1 offset:1056
	scratch_load_b128 v[54:57], off, off offset:240
	s_waitcnt vmcnt(10) lgkmcnt(1)
	v_mul_f64 v[58:59], v[40:41], v[4:5]
	v_mul_f64 v[4:5], v[38:39], v[4:5]
	s_delay_alu instid0(VALU_DEP_2) | instskip(NEXT) | instid1(VALU_DEP_2)
	v_fma_f64 v[76:77], v[38:39], v[2:3], -v[58:59]
	v_fma_f64 v[80:81], v[40:41], v[2:3], v[4:5]
	scratch_load_b128 v[38:41], off, off offset:256
	ds_load_b128 v[2:5], v1 offset:1072
	s_waitcnt vmcnt(10) lgkmcnt(1)
	v_mul_f64 v[62:63], v[50:51], v[8:9]
	v_mul_f64 v[8:9], v[52:53], v[8:9]
	ds_load_b128 v[58:61], v1 offset:1088
	s_waitcnt vmcnt(9) lgkmcnt(1)
	v_mul_f64 v[165:166], v[2:3], v[12:13]
	v_mul_f64 v[12:13], v[4:5], v[12:13]
	v_fma_f64 v[52:53], v[52:53], v[6:7], v[62:63]
	v_fma_f64 v[50:51], v[50:51], v[6:7], -v[8:9]
	v_add_f64 v[62:63], v[76:77], 0
	v_add_f64 v[76:77], v[80:81], 0
	scratch_load_b128 v[6:9], off, off offset:272
	v_fma_f64 v[165:166], v[4:5], v[10:11], v[165:166]
	v_fma_f64 v[167:168], v[2:3], v[10:11], -v[12:13]
	scratch_load_b128 v[10:13], off, off offset:288
	ds_load_b128 v[2:5], v1 offset:1104
	s_waitcnt vmcnt(10) lgkmcnt(1)
	v_mul_f64 v[80:81], v[58:59], v[16:17]
	v_mul_f64 v[16:17], v[60:61], v[16:17]
	v_add_f64 v[62:63], v[62:63], v[50:51]
	v_add_f64 v[76:77], v[76:77], v[52:53]
	s_waitcnt vmcnt(9) lgkmcnt(0)
	v_mul_f64 v[169:170], v[2:3], v[20:21]
	v_mul_f64 v[20:21], v[4:5], v[20:21]
	ds_load_b128 v[50:53], v1 offset:1120
	v_fma_f64 v[60:61], v[60:61], v[14:15], v[80:81]
	v_fma_f64 v[58:59], v[58:59], v[14:15], -v[16:17]
	scratch_load_b128 v[14:17], off, off offset:304
	v_add_f64 v[62:63], v[62:63], v[167:168]
	v_add_f64 v[76:77], v[76:77], v[165:166]
	v_fma_f64 v[165:166], v[4:5], v[18:19], v[169:170]
	v_fma_f64 v[167:168], v[2:3], v[18:19], -v[20:21]
	scratch_load_b128 v[18:21], off, off offset:320
	ds_load_b128 v[2:5], v1 offset:1136
	s_waitcnt vmcnt(10) lgkmcnt(1)
	v_mul_f64 v[80:81], v[50:51], v[24:25]
	v_mul_f64 v[24:25], v[52:53], v[24:25]
	s_waitcnt vmcnt(9) lgkmcnt(0)
	v_mul_f64 v[169:170], v[2:3], v[28:29]
	v_mul_f64 v[28:29], v[4:5], v[28:29]
	v_add_f64 v[62:63], v[62:63], v[58:59]
	v_add_f64 v[76:77], v[76:77], v[60:61]
	ds_load_b128 v[58:61], v1 offset:1152
	v_fma_f64 v[52:53], v[52:53], v[22:23], v[80:81]
	v_fma_f64 v[50:51], v[50:51], v[22:23], -v[24:25]
	scratch_load_b128 v[22:25], off, off offset:336
	v_add_f64 v[62:63], v[62:63], v[167:168]
	v_add_f64 v[76:77], v[76:77], v[165:166]
	v_fma_f64 v[165:166], v[4:5], v[26:27], v[169:170]
	v_fma_f64 v[167:168], v[2:3], v[26:27], -v[28:29]
	scratch_load_b128 v[26:29], off, off offset:352
	ds_load_b128 v[2:5], v1 offset:1168
	s_waitcnt vmcnt(10) lgkmcnt(1)
	v_mul_f64 v[80:81], v[58:59], v[32:33]
	v_mul_f64 v[32:33], v[60:61], v[32:33]
	s_waitcnt vmcnt(9) lgkmcnt(0)
	v_mul_f64 v[169:170], v[2:3], v[36:37]
	v_mul_f64 v[36:37], v[4:5], v[36:37]
	v_add_f64 v[62:63], v[62:63], v[50:51]
	v_add_f64 v[76:77], v[76:77], v[52:53]
	ds_load_b128 v[50:53], v1 offset:1184
	v_fma_f64 v[60:61], v[60:61], v[30:31], v[80:81]
	v_fma_f64 v[58:59], v[58:59], v[30:31], -v[32:33]
	scratch_load_b128 v[30:33], off, off offset:368
	v_add_f64 v[62:63], v[62:63], v[167:168]
	v_add_f64 v[76:77], v[76:77], v[165:166]
	v_fma_f64 v[167:168], v[4:5], v[34:35], v[169:170]
	v_fma_f64 v[169:170], v[2:3], v[34:35], -v[36:37]
	scratch_load_b128 v[34:37], off, off offset:384
	ds_load_b128 v[2:5], v1 offset:1200
	s_waitcnt vmcnt(9) lgkmcnt(1)
	v_mul_f64 v[80:81], v[50:51], v[56:57]
	v_mul_f64 v[165:166], v[52:53], v[56:57]
	v_add_f64 v[62:63], v[62:63], v[58:59]
	v_add_f64 v[60:61], v[76:77], v[60:61]
	ds_load_b128 v[56:59], v1 offset:1216
	v_fma_f64 v[80:81], v[52:53], v[54:55], v[80:81]
	v_fma_f64 v[54:55], v[50:51], v[54:55], -v[165:166]
	scratch_load_b128 v[50:53], off, off offset:400
	s_waitcnt vmcnt(9) lgkmcnt(1)
	v_mul_f64 v[76:77], v[2:3], v[40:41]
	v_mul_f64 v[40:41], v[4:5], v[40:41]
	v_add_f64 v[62:63], v[62:63], v[169:170]
	v_add_f64 v[60:61], v[60:61], v[167:168]
	s_delay_alu instid0(VALU_DEP_4) | instskip(NEXT) | instid1(VALU_DEP_4)
	v_fma_f64 v[76:77], v[4:5], v[38:39], v[76:77]
	v_fma_f64 v[167:168], v[2:3], v[38:39], -v[40:41]
	scratch_load_b128 v[38:41], off, off offset:416
	ds_load_b128 v[2:5], v1 offset:1232
	s_waitcnt vmcnt(9) lgkmcnt(1)
	v_mul_f64 v[165:166], v[56:57], v[8:9]
	v_mul_f64 v[8:9], v[58:59], v[8:9]
	s_waitcnt vmcnt(8) lgkmcnt(0)
	v_mul_f64 v[169:170], v[2:3], v[12:13]
	v_mul_f64 v[12:13], v[4:5], v[12:13]
	v_add_f64 v[54:55], v[62:63], v[54:55]
	v_add_f64 v[80:81], v[60:61], v[80:81]
	ds_load_b128 v[60:63], v1 offset:1248
	v_fma_f64 v[58:59], v[58:59], v[6:7], v[165:166]
	v_fma_f64 v[56:57], v[56:57], v[6:7], -v[8:9]
	scratch_load_b128 v[6:9], off, off offset:432
	v_fma_f64 v[165:166], v[4:5], v[10:11], v[169:170]
	v_add_f64 v[54:55], v[54:55], v[167:168]
	v_add_f64 v[76:77], v[80:81], v[76:77]
	v_fma_f64 v[167:168], v[2:3], v[10:11], -v[12:13]
	scratch_load_b128 v[10:13], off, off offset:448
	ds_load_b128 v[2:5], v1 offset:1264
	s_waitcnt vmcnt(9) lgkmcnt(1)
	v_mul_f64 v[80:81], v[60:61], v[16:17]
	v_mul_f64 v[16:17], v[62:63], v[16:17]
	v_add_f64 v[169:170], v[54:55], v[56:57]
	v_add_f64 v[58:59], v[76:77], v[58:59]
	s_waitcnt vmcnt(8) lgkmcnt(0)
	v_mul_f64 v[76:77], v[2:3], v[20:21]
	v_mul_f64 v[20:21], v[4:5], v[20:21]
	ds_load_b128 v[54:57], v1 offset:1280
	v_fma_f64 v[62:63], v[62:63], v[14:15], v[80:81]
	v_fma_f64 v[60:61], v[60:61], v[14:15], -v[16:17]
	scratch_load_b128 v[14:17], off, off offset:464
	v_add_f64 v[80:81], v[169:170], v[167:168]
	v_add_f64 v[58:59], v[58:59], v[165:166]
	v_fma_f64 v[76:77], v[4:5], v[18:19], v[76:77]
	v_fma_f64 v[167:168], v[2:3], v[18:19], -v[20:21]
	scratch_load_b128 v[18:21], off, off offset:480
	ds_load_b128 v[2:5], v1 offset:1296
	s_waitcnt vmcnt(9) lgkmcnt(1)
	v_mul_f64 v[165:166], v[54:55], v[24:25]
	v_mul_f64 v[24:25], v[56:57], v[24:25]
	s_waitcnt vmcnt(8) lgkmcnt(0)
	v_mul_f64 v[169:170], v[2:3], v[28:29]
	v_mul_f64 v[28:29], v[4:5], v[28:29]
	v_add_f64 v[80:81], v[80:81], v[60:61]
	v_add_f64 v[62:63], v[58:59], v[62:63]
	ds_load_b128 v[58:61], v1 offset:1312
	v_fma_f64 v[56:57], v[56:57], v[22:23], v[165:166]
	v_fma_f64 v[54:55], v[54:55], v[22:23], -v[24:25]
	scratch_load_b128 v[22:25], off, off offset:496
	v_fma_f64 v[165:166], v[4:5], v[26:27], v[169:170]
	v_add_f64 v[80:81], v[80:81], v[167:168]
	v_add_f64 v[62:63], v[62:63], v[76:77]
	v_fma_f64 v[167:168], v[2:3], v[26:27], -v[28:29]
	scratch_load_b128 v[26:29], off, off offset:512
	ds_load_b128 v[2:5], v1 offset:1328
	s_waitcnt vmcnt(9) lgkmcnt(1)
	v_mul_f64 v[76:77], v[58:59], v[32:33]
	v_mul_f64 v[32:33], v[60:61], v[32:33]
	s_waitcnt vmcnt(8) lgkmcnt(0)
	v_mul_f64 v[169:170], v[2:3], v[36:37]
	v_mul_f64 v[36:37], v[4:5], v[36:37]
	v_add_f64 v[80:81], v[80:81], v[54:55]
	v_add_f64 v[62:63], v[62:63], v[56:57]
	ds_load_b128 v[54:57], v1 offset:1344
	v_fma_f64 v[60:61], v[60:61], v[30:31], v[76:77]
	v_fma_f64 v[58:59], v[58:59], v[30:31], -v[32:33]
	scratch_load_b128 v[30:33], off, off offset:528
	v_add_f64 v[76:77], v[80:81], v[167:168]
	v_add_f64 v[62:63], v[62:63], v[165:166]
	v_fma_f64 v[165:166], v[4:5], v[34:35], v[169:170]
	v_fma_f64 v[167:168], v[2:3], v[34:35], -v[36:37]
	scratch_load_b128 v[34:37], off, off offset:544
	ds_load_b128 v[2:5], v1 offset:1360
	s_waitcnt vmcnt(9) lgkmcnt(1)
	v_mul_f64 v[80:81], v[54:55], v[52:53]
	v_mul_f64 v[52:53], v[56:57], v[52:53]
	s_waitcnt vmcnt(8) lgkmcnt(0)
	v_mul_f64 v[169:170], v[2:3], v[40:41]
	v_mul_f64 v[40:41], v[4:5], v[40:41]
	v_add_f64 v[76:77], v[76:77], v[58:59]
	v_add_f64 v[62:63], v[62:63], v[60:61]
	ds_load_b128 v[58:61], v1 offset:1376
	v_fma_f64 v[56:57], v[56:57], v[50:51], v[80:81]
	v_fma_f64 v[54:55], v[54:55], v[50:51], -v[52:53]
	scratch_load_b128 v[50:53], off, off offset:560
	v_add_f64 v[76:77], v[76:77], v[167:168]
	v_add_f64 v[62:63], v[62:63], v[165:166]
	v_fma_f64 v[165:166], v[4:5], v[38:39], v[169:170]
	;; [unrolled: 18-line block ×6, first 2 shown]
	v_fma_f64 v[169:170], v[2:3], v[34:35], -v[36:37]
	scratch_load_b128 v[34:37], off, off offset:704
	ds_load_b128 v[2:5], v1 offset:1520
	s_waitcnt vmcnt(9) lgkmcnt(1)
	v_mul_f64 v[80:81], v[58:59], v[52:53]
	v_mul_f64 v[165:166], v[60:61], v[52:53]
	v_add_f64 v[76:77], v[76:77], v[54:55]
	v_add_f64 v[56:57], v[62:63], v[56:57]
	s_waitcnt vmcnt(8) lgkmcnt(0)
	v_mul_f64 v[62:63], v[2:3], v[40:41]
	v_mul_f64 v[40:41], v[4:5], v[40:41]
	ds_load_b128 v[52:55], v1 offset:1536
	v_fma_f64 v[60:61], v[60:61], v[50:51], v[80:81]
	v_fma_f64 v[50:51], v[58:59], v[50:51], -v[165:166]
	v_add_f64 v[76:77], v[76:77], v[169:170]
	v_add_f64 v[80:81], v[56:57], v[167:168]
	scratch_load_b128 v[56:59], off, off offset:720
	v_fma_f64 v[167:168], v[4:5], v[38:39], v[62:63]
	v_fma_f64 v[169:170], v[2:3], v[38:39], -v[40:41]
	scratch_load_b128 v[38:41], off, off offset:736
	ds_load_b128 v[2:5], v1 offset:1552
	s_waitcnt vmcnt(9) lgkmcnt(1)
	v_mul_f64 v[165:166], v[52:53], v[8:9]
	v_mul_f64 v[8:9], v[54:55], v[8:9]
	v_add_f64 v[50:51], v[76:77], v[50:51]
	v_add_f64 v[76:77], v[80:81], v[60:61]
	s_waitcnt vmcnt(8) lgkmcnt(0)
	v_mul_f64 v[80:81], v[2:3], v[12:13]
	v_mul_f64 v[12:13], v[4:5], v[12:13]
	ds_load_b128 v[60:63], v1 offset:1568
	v_fma_f64 v[54:55], v[54:55], v[6:7], v[165:166]
	v_fma_f64 v[52:53], v[52:53], v[6:7], -v[8:9]
	scratch_load_b128 v[6:9], off, off offset:752
	v_add_f64 v[50:51], v[50:51], v[169:170]
	v_add_f64 v[76:77], v[76:77], v[167:168]
	v_fma_f64 v[80:81], v[4:5], v[10:11], v[80:81]
	v_fma_f64 v[167:168], v[2:3], v[10:11], -v[12:13]
	scratch_load_b128 v[10:13], off, off offset:768
	ds_load_b128 v[2:5], v1 offset:1584
	s_waitcnt vmcnt(9) lgkmcnt(1)
	v_mul_f64 v[165:166], v[60:61], v[16:17]
	v_mul_f64 v[16:17], v[62:63], v[16:17]
	v_add_f64 v[169:170], v[50:51], v[52:53]
	v_add_f64 v[54:55], v[76:77], v[54:55]
	s_waitcnt vmcnt(8) lgkmcnt(0)
	v_mul_f64 v[76:77], v[2:3], v[20:21]
	v_mul_f64 v[20:21], v[4:5], v[20:21]
	ds_load_b128 v[50:53], v1 offset:1600
	v_fma_f64 v[62:63], v[62:63], v[14:15], v[165:166]
	v_fma_f64 v[60:61], v[60:61], v[14:15], -v[16:17]
	scratch_load_b128 v[14:17], off, off offset:784
	v_add_f64 v[165:166], v[169:170], v[167:168]
	v_add_f64 v[54:55], v[54:55], v[80:81]
	v_fma_f64 v[76:77], v[4:5], v[18:19], v[76:77]
	v_fma_f64 v[167:168], v[2:3], v[18:19], -v[20:21]
	scratch_load_b128 v[18:21], off, off offset:800
	ds_load_b128 v[2:5], v1 offset:1616
	s_waitcnt vmcnt(9) lgkmcnt(1)
	v_mul_f64 v[80:81], v[50:51], v[24:25]
	v_mul_f64 v[24:25], v[52:53], v[24:25]
	s_waitcnt vmcnt(8) lgkmcnt(0)
	v_mul_f64 v[169:170], v[2:3], v[28:29]
	v_mul_f64 v[28:29], v[4:5], v[28:29]
	v_add_f64 v[165:166], v[165:166], v[60:61]
	v_add_f64 v[54:55], v[54:55], v[62:63]
	ds_load_b128 v[60:63], v1 offset:1632
	v_fma_f64 v[52:53], v[52:53], v[22:23], v[80:81]
	v_fma_f64 v[50:51], v[50:51], v[22:23], -v[24:25]
	scratch_load_b128 v[22:25], off, off offset:816
	v_add_f64 v[80:81], v[165:166], v[167:168]
	v_add_f64 v[54:55], v[54:55], v[76:77]
	v_fma_f64 v[165:166], v[4:5], v[26:27], v[169:170]
	v_fma_f64 v[167:168], v[2:3], v[26:27], -v[28:29]
	scratch_load_b128 v[26:29], off, off offset:832
	ds_load_b128 v[2:5], v1 offset:1648
	s_waitcnt vmcnt(9) lgkmcnt(1)
	v_mul_f64 v[76:77], v[60:61], v[32:33]
	v_mul_f64 v[32:33], v[62:63], v[32:33]
	s_waitcnt vmcnt(8) lgkmcnt(0)
	v_mul_f64 v[169:170], v[2:3], v[36:37]
	v_mul_f64 v[36:37], v[4:5], v[36:37]
	v_add_f64 v[80:81], v[80:81], v[50:51]
	v_add_f64 v[54:55], v[54:55], v[52:53]
	ds_load_b128 v[50:53], v1 offset:1664
	v_fma_f64 v[62:63], v[62:63], v[30:31], v[76:77]
	v_fma_f64 v[60:61], v[60:61], v[30:31], -v[32:33]
	scratch_load_b128 v[30:33], off, off offset:848
	v_add_f64 v[76:77], v[80:81], v[167:168]
	v_add_f64 v[54:55], v[54:55], v[165:166]
	v_fma_f64 v[167:168], v[4:5], v[34:35], v[169:170]
	v_fma_f64 v[169:170], v[2:3], v[34:35], -v[36:37]
	scratch_load_b128 v[34:37], off, off offset:864
	ds_load_b128 v[2:5], v1 offset:1680
	s_waitcnt vmcnt(9) lgkmcnt(1)
	v_mul_f64 v[80:81], v[50:51], v[58:59]
	v_mul_f64 v[165:166], v[52:53], v[58:59]
	v_add_f64 v[76:77], v[76:77], v[60:61]
	v_add_f64 v[54:55], v[54:55], v[62:63]
	s_waitcnt vmcnt(8) lgkmcnt(0)
	v_mul_f64 v[62:63], v[2:3], v[40:41]
	v_mul_f64 v[40:41], v[4:5], v[40:41]
	ds_load_b128 v[58:61], v1 offset:1696
	v_fma_f64 v[80:81], v[52:53], v[56:57], v[80:81]
	v_fma_f64 v[56:57], v[50:51], v[56:57], -v[165:166]
	scratch_load_b128 v[50:53], off, off offset:880
	v_add_f64 v[76:77], v[76:77], v[169:170]
	v_add_f64 v[54:55], v[54:55], v[167:168]
	v_fma_f64 v[62:63], v[4:5], v[38:39], v[62:63]
	v_fma_f64 v[167:168], v[2:3], v[38:39], -v[40:41]
	scratch_load_b128 v[38:41], off, off offset:896
	ds_load_b128 v[2:5], v1 offset:1712
	s_waitcnt vmcnt(9) lgkmcnt(1)
	v_mul_f64 v[165:166], v[58:59], v[8:9]
	v_mul_f64 v[8:9], v[60:61], v[8:9]
	s_waitcnt vmcnt(8) lgkmcnt(0)
	v_mul_f64 v[169:170], v[2:3], v[12:13]
	v_mul_f64 v[12:13], v[4:5], v[12:13]
	v_add_f64 v[76:77], v[76:77], v[56:57]
	v_add_f64 v[80:81], v[54:55], v[80:81]
	ds_load_b128 v[54:57], v1 offset:1728
	v_fma_f64 v[60:61], v[60:61], v[6:7], v[165:166]
	v_fma_f64 v[58:59], v[58:59], v[6:7], -v[8:9]
	scratch_load_b128 v[6:9], off, off offset:912
	v_fma_f64 v[165:166], v[4:5], v[10:11], v[169:170]
	v_add_f64 v[76:77], v[76:77], v[167:168]
	v_add_f64 v[62:63], v[80:81], v[62:63]
	v_fma_f64 v[167:168], v[2:3], v[10:11], -v[12:13]
	scratch_load_b128 v[10:13], off, off offset:928
	ds_load_b128 v[2:5], v1 offset:1744
	s_waitcnt vmcnt(9) lgkmcnt(1)
	v_mul_f64 v[80:81], v[54:55], v[16:17]
	v_mul_f64 v[16:17], v[56:57], v[16:17]
	s_waitcnt vmcnt(8) lgkmcnt(0)
	v_mul_f64 v[169:170], v[2:3], v[20:21]
	v_mul_f64 v[20:21], v[4:5], v[20:21]
	v_add_f64 v[76:77], v[76:77], v[58:59]
	v_add_f64 v[62:63], v[62:63], v[60:61]
	ds_load_b128 v[58:61], v1 offset:1760
	v_fma_f64 v[56:57], v[56:57], v[14:15], v[80:81]
	v_fma_f64 v[14:15], v[54:55], v[14:15], -v[16:17]
	v_add_f64 v[16:17], v[76:77], v[167:168]
	v_add_f64 v[54:55], v[62:63], v[165:166]
	s_waitcnt vmcnt(7) lgkmcnt(0)
	v_mul_f64 v[62:63], v[58:59], v[24:25]
	v_mul_f64 v[24:25], v[60:61], v[24:25]
	v_fma_f64 v[76:77], v[4:5], v[18:19], v[169:170]
	v_fma_f64 v[18:19], v[2:3], v[18:19], -v[20:21]
	v_add_f64 v[20:21], v[16:17], v[14:15]
	v_add_f64 v[54:55], v[54:55], v[56:57]
	ds_load_b128 v[2:5], v1 offset:1776
	ds_load_b128 v[14:17], v1 offset:1792
	v_fma_f64 v[60:61], v[60:61], v[22:23], v[62:63]
	v_fma_f64 v[22:23], v[58:59], v[22:23], -v[24:25]
	s_waitcnt vmcnt(6) lgkmcnt(1)
	v_mul_f64 v[56:57], v[2:3], v[28:29]
	v_mul_f64 v[28:29], v[4:5], v[28:29]
	s_waitcnt vmcnt(5) lgkmcnt(0)
	v_mul_f64 v[24:25], v[14:15], v[32:33]
	v_mul_f64 v[32:33], v[16:17], v[32:33]
	v_add_f64 v[18:19], v[20:21], v[18:19]
	v_add_f64 v[20:21], v[54:55], v[76:77]
	v_fma_f64 v[54:55], v[4:5], v[26:27], v[56:57]
	v_fma_f64 v[26:27], v[2:3], v[26:27], -v[28:29]
	v_fma_f64 v[16:17], v[16:17], v[30:31], v[24:25]
	v_fma_f64 v[14:15], v[14:15], v[30:31], -v[32:33]
	v_add_f64 v[22:23], v[18:19], v[22:23]
	v_add_f64 v[28:29], v[20:21], v[60:61]
	ds_load_b128 v[2:5], v1 offset:1808
	ds_load_b128 v[18:21], v1 offset:1824
	s_waitcnt vmcnt(4) lgkmcnt(1)
	v_mul_f64 v[56:57], v[2:3], v[36:37]
	v_mul_f64 v[36:37], v[4:5], v[36:37]
	v_add_f64 v[22:23], v[22:23], v[26:27]
	v_add_f64 v[24:25], v[28:29], v[54:55]
	s_waitcnt vmcnt(3) lgkmcnt(0)
	v_mul_f64 v[26:27], v[18:19], v[52:53]
	v_mul_f64 v[28:29], v[20:21], v[52:53]
	v_fma_f64 v[30:31], v[4:5], v[34:35], v[56:57]
	v_fma_f64 v[32:33], v[2:3], v[34:35], -v[36:37]
	v_add_f64 v[22:23], v[22:23], v[14:15]
	v_add_f64 v[24:25], v[24:25], v[16:17]
	ds_load_b128 v[2:5], v1 offset:1840
	ds_load_b128 v[14:17], v1 offset:1856
	v_fma_f64 v[20:21], v[20:21], v[50:51], v[26:27]
	v_fma_f64 v[18:19], v[18:19], v[50:51], -v[28:29]
	s_waitcnt vmcnt(2) lgkmcnt(1)
	v_mul_f64 v[34:35], v[2:3], v[40:41]
	v_mul_f64 v[36:37], v[4:5], v[40:41]
	s_waitcnt vmcnt(1) lgkmcnt(0)
	v_mul_f64 v[26:27], v[14:15], v[8:9]
	v_mul_f64 v[8:9], v[16:17], v[8:9]
	v_add_f64 v[22:23], v[22:23], v[32:33]
	v_add_f64 v[24:25], v[24:25], v[30:31]
	v_fma_f64 v[28:29], v[4:5], v[38:39], v[34:35]
	v_fma_f64 v[30:31], v[2:3], v[38:39], -v[36:37]
	ds_load_b128 v[2:5], v1 offset:1872
	v_fma_f64 v[16:17], v[16:17], v[6:7], v[26:27]
	v_fma_f64 v[6:7], v[14:15], v[6:7], -v[8:9]
	v_add_f64 v[18:19], v[22:23], v[18:19]
	v_add_f64 v[20:21], v[24:25], v[20:21]
	s_waitcnt vmcnt(0) lgkmcnt(0)
	v_mul_f64 v[22:23], v[2:3], v[12:13]
	v_mul_f64 v[12:13], v[4:5], v[12:13]
	s_delay_alu instid0(VALU_DEP_4) | instskip(NEXT) | instid1(VALU_DEP_4)
	v_add_f64 v[8:9], v[18:19], v[30:31]
	v_add_f64 v[14:15], v[20:21], v[28:29]
	s_delay_alu instid0(VALU_DEP_4) | instskip(NEXT) | instid1(VALU_DEP_4)
	v_fma_f64 v[4:5], v[4:5], v[10:11], v[22:23]
	v_fma_f64 v[2:3], v[2:3], v[10:11], -v[12:13]
	s_delay_alu instid0(VALU_DEP_4) | instskip(NEXT) | instid1(VALU_DEP_4)
	v_add_f64 v[6:7], v[8:9], v[6:7]
	v_add_f64 v[8:9], v[14:15], v[16:17]
	s_delay_alu instid0(VALU_DEP_2) | instskip(NEXT) | instid1(VALU_DEP_2)
	v_add_f64 v[2:3], v[6:7], v[2:3]
	v_add_f64 v[4:5], v[8:9], v[4:5]
	s_delay_alu instid0(VALU_DEP_2) | instskip(NEXT) | instid1(VALU_DEP_2)
	v_add_f64 v[2:3], v[42:43], -v[2:3]
	v_add_f64 v[4:5], v[44:45], -v[4:5]
	scratch_store_b128 off, v[2:5], off offset:80
	v_cmpx_lt_u32_e32 4, v164
	s_cbranch_execz .LBB58_359
; %bb.358:
	scratch_load_b128 v[5:8], v219, off
	v_mov_b32_e32 v2, v1
	v_mov_b32_e32 v3, v1
	;; [unrolled: 1-line block ×3, first 2 shown]
	scratch_store_b128 off, v[1:4], off offset:64
	s_waitcnt vmcnt(0)
	ds_store_b128 v223, v[5:8]
.LBB58_359:
	s_or_b32 exec_lo, exec_lo, s2
	s_waitcnt lgkmcnt(0)
	s_waitcnt_vscnt null, 0x0
	s_barrier
	buffer_gl0_inv
	s_clause 0x8
	scratch_load_b128 v[2:5], off, off offset:80
	scratch_load_b128 v[6:9], off, off offset:96
	;; [unrolled: 1-line block ×9, first 2 shown]
	ds_load_b128 v[42:45], v1 offset:1024
	ds_load_b128 v[38:41], v1 offset:1040
	s_clause 0x1
	scratch_load_b128 v[50:53], off, off offset:64
	scratch_load_b128 v[54:57], off, off offset:224
	s_mov_b32 s2, exec_lo
	s_waitcnt vmcnt(10) lgkmcnt(1)
	v_mul_f64 v[58:59], v[44:45], v[4:5]
	v_mul_f64 v[4:5], v[42:43], v[4:5]
	s_waitcnt vmcnt(9) lgkmcnt(0)
	v_mul_f64 v[62:63], v[38:39], v[8:9]
	v_mul_f64 v[8:9], v[40:41], v[8:9]
	s_delay_alu instid0(VALU_DEP_4) | instskip(NEXT) | instid1(VALU_DEP_4)
	v_fma_f64 v[76:77], v[42:43], v[2:3], -v[58:59]
	v_fma_f64 v[80:81], v[44:45], v[2:3], v[4:5]
	ds_load_b128 v[2:5], v1 offset:1056
	ds_load_b128 v[58:61], v1 offset:1072
	scratch_load_b128 v[42:45], off, off offset:240
	v_fma_f64 v[40:41], v[40:41], v[6:7], v[62:63]
	v_fma_f64 v[38:39], v[38:39], v[6:7], -v[8:9]
	scratch_load_b128 v[6:9], off, off offset:256
	s_waitcnt vmcnt(10) lgkmcnt(1)
	v_mul_f64 v[165:166], v[2:3], v[12:13]
	v_mul_f64 v[12:13], v[4:5], v[12:13]
	v_add_f64 v[62:63], v[76:77], 0
	v_add_f64 v[76:77], v[80:81], 0
	s_waitcnt vmcnt(9) lgkmcnt(0)
	v_mul_f64 v[80:81], v[58:59], v[16:17]
	v_mul_f64 v[16:17], v[60:61], v[16:17]
	v_fma_f64 v[165:166], v[4:5], v[10:11], v[165:166]
	v_fma_f64 v[167:168], v[2:3], v[10:11], -v[12:13]
	ds_load_b128 v[2:5], v1 offset:1088
	scratch_load_b128 v[10:13], off, off offset:272
	v_add_f64 v[62:63], v[62:63], v[38:39]
	v_add_f64 v[76:77], v[76:77], v[40:41]
	ds_load_b128 v[38:41], v1 offset:1104
	v_fma_f64 v[60:61], v[60:61], v[14:15], v[80:81]
	v_fma_f64 v[58:59], v[58:59], v[14:15], -v[16:17]
	scratch_load_b128 v[14:17], off, off offset:288
	s_waitcnt vmcnt(10) lgkmcnt(1)
	v_mul_f64 v[169:170], v[2:3], v[20:21]
	v_mul_f64 v[20:21], v[4:5], v[20:21]
	s_waitcnt vmcnt(9) lgkmcnt(0)
	v_mul_f64 v[80:81], v[38:39], v[24:25]
	v_mul_f64 v[24:25], v[40:41], v[24:25]
	v_add_f64 v[62:63], v[62:63], v[167:168]
	v_add_f64 v[76:77], v[76:77], v[165:166]
	v_fma_f64 v[165:166], v[4:5], v[18:19], v[169:170]
	v_fma_f64 v[167:168], v[2:3], v[18:19], -v[20:21]
	ds_load_b128 v[2:5], v1 offset:1120
	scratch_load_b128 v[18:21], off, off offset:304
	v_fma_f64 v[40:41], v[40:41], v[22:23], v[80:81]
	v_fma_f64 v[38:39], v[38:39], v[22:23], -v[24:25]
	scratch_load_b128 v[22:25], off, off offset:320
	v_add_f64 v[62:63], v[62:63], v[58:59]
	v_add_f64 v[76:77], v[76:77], v[60:61]
	ds_load_b128 v[58:61], v1 offset:1136
	s_waitcnt vmcnt(10) lgkmcnt(1)
	v_mul_f64 v[169:170], v[2:3], v[28:29]
	v_mul_f64 v[28:29], v[4:5], v[28:29]
	s_waitcnt vmcnt(9) lgkmcnt(0)
	v_mul_f64 v[80:81], v[58:59], v[32:33]
	v_mul_f64 v[32:33], v[60:61], v[32:33]
	v_add_f64 v[62:63], v[62:63], v[167:168]
	v_add_f64 v[76:77], v[76:77], v[165:166]
	v_fma_f64 v[165:166], v[4:5], v[26:27], v[169:170]
	v_fma_f64 v[167:168], v[2:3], v[26:27], -v[28:29]
	ds_load_b128 v[2:5], v1 offset:1152
	scratch_load_b128 v[26:29], off, off offset:336
	v_fma_f64 v[60:61], v[60:61], v[30:31], v[80:81]
	v_fma_f64 v[58:59], v[58:59], v[30:31], -v[32:33]
	scratch_load_b128 v[30:33], off, off offset:352
	v_add_f64 v[62:63], v[62:63], v[38:39]
	v_add_f64 v[76:77], v[76:77], v[40:41]
	ds_load_b128 v[38:41], v1 offset:1168
	s_waitcnt vmcnt(10) lgkmcnt(1)
	v_mul_f64 v[169:170], v[2:3], v[36:37]
	v_mul_f64 v[36:37], v[4:5], v[36:37]
	s_waitcnt vmcnt(8) lgkmcnt(0)
	v_mul_f64 v[80:81], v[38:39], v[56:57]
	v_add_f64 v[62:63], v[62:63], v[167:168]
	v_add_f64 v[76:77], v[76:77], v[165:166]
	v_mul_f64 v[165:166], v[40:41], v[56:57]
	v_fma_f64 v[167:168], v[4:5], v[34:35], v[169:170]
	v_fma_f64 v[169:170], v[2:3], v[34:35], -v[36:37]
	ds_load_b128 v[2:5], v1 offset:1184
	scratch_load_b128 v[34:37], off, off offset:368
	v_fma_f64 v[80:81], v[40:41], v[54:55], v[80:81]
	v_add_f64 v[62:63], v[62:63], v[58:59]
	v_add_f64 v[60:61], v[76:77], v[60:61]
	ds_load_b128 v[56:59], v1 offset:1200
	v_fma_f64 v[54:55], v[38:39], v[54:55], -v[165:166]
	scratch_load_b128 v[38:41], off, off offset:384
	s_waitcnt vmcnt(9) lgkmcnt(1)
	v_mul_f64 v[76:77], v[2:3], v[44:45]
	v_mul_f64 v[44:45], v[4:5], v[44:45]
	s_waitcnt vmcnt(8) lgkmcnt(0)
	v_mul_f64 v[165:166], v[56:57], v[8:9]
	v_mul_f64 v[8:9], v[58:59], v[8:9]
	v_add_f64 v[62:63], v[62:63], v[169:170]
	v_add_f64 v[60:61], v[60:61], v[167:168]
	v_fma_f64 v[76:77], v[4:5], v[42:43], v[76:77]
	v_fma_f64 v[167:168], v[2:3], v[42:43], -v[44:45]
	ds_load_b128 v[2:5], v1 offset:1216
	scratch_load_b128 v[42:45], off, off offset:400
	v_fma_f64 v[58:59], v[58:59], v[6:7], v[165:166]
	v_fma_f64 v[56:57], v[56:57], v[6:7], -v[8:9]
	scratch_load_b128 v[6:9], off, off offset:416
	v_add_f64 v[54:55], v[62:63], v[54:55]
	v_add_f64 v[80:81], v[60:61], v[80:81]
	ds_load_b128 v[60:63], v1 offset:1232
	s_waitcnt vmcnt(9) lgkmcnt(1)
	v_mul_f64 v[169:170], v[2:3], v[12:13]
	v_mul_f64 v[12:13], v[4:5], v[12:13]
	v_add_f64 v[54:55], v[54:55], v[167:168]
	v_add_f64 v[76:77], v[80:81], v[76:77]
	s_waitcnt vmcnt(8) lgkmcnt(0)
	v_mul_f64 v[80:81], v[60:61], v[16:17]
	v_mul_f64 v[16:17], v[62:63], v[16:17]
	v_fma_f64 v[165:166], v[4:5], v[10:11], v[169:170]
	v_fma_f64 v[167:168], v[2:3], v[10:11], -v[12:13]
	ds_load_b128 v[2:5], v1 offset:1248
	scratch_load_b128 v[10:13], off, off offset:432
	v_add_f64 v[169:170], v[54:55], v[56:57]
	v_add_f64 v[58:59], v[76:77], v[58:59]
	ds_load_b128 v[54:57], v1 offset:1264
	s_waitcnt vmcnt(8) lgkmcnt(1)
	v_mul_f64 v[76:77], v[2:3], v[20:21]
	v_mul_f64 v[20:21], v[4:5], v[20:21]
	v_fma_f64 v[62:63], v[62:63], v[14:15], v[80:81]
	v_fma_f64 v[60:61], v[60:61], v[14:15], -v[16:17]
	scratch_load_b128 v[14:17], off, off offset:448
	v_add_f64 v[80:81], v[169:170], v[167:168]
	v_add_f64 v[58:59], v[58:59], v[165:166]
	s_waitcnt vmcnt(8) lgkmcnt(0)
	v_mul_f64 v[165:166], v[54:55], v[24:25]
	v_mul_f64 v[24:25], v[56:57], v[24:25]
	v_fma_f64 v[76:77], v[4:5], v[18:19], v[76:77]
	v_fma_f64 v[167:168], v[2:3], v[18:19], -v[20:21]
	ds_load_b128 v[2:5], v1 offset:1280
	scratch_load_b128 v[18:21], off, off offset:464
	v_add_f64 v[80:81], v[80:81], v[60:61]
	v_add_f64 v[62:63], v[58:59], v[62:63]
	ds_load_b128 v[58:61], v1 offset:1296
	s_waitcnt vmcnt(8) lgkmcnt(1)
	v_mul_f64 v[169:170], v[2:3], v[28:29]
	v_mul_f64 v[28:29], v[4:5], v[28:29]
	v_fma_f64 v[56:57], v[56:57], v[22:23], v[165:166]
	v_fma_f64 v[54:55], v[54:55], v[22:23], -v[24:25]
	scratch_load_b128 v[22:25], off, off offset:480
	;; [unrolled: 18-line block ×4, first 2 shown]
	s_waitcnt vmcnt(8) lgkmcnt(0)
	v_mul_f64 v[80:81], v[58:59], v[8:9]
	v_mul_f64 v[8:9], v[60:61], v[8:9]
	v_add_f64 v[76:77], v[76:77], v[167:168]
	v_add_f64 v[62:63], v[62:63], v[165:166]
	v_fma_f64 v[165:166], v[4:5], v[42:43], v[169:170]
	v_fma_f64 v[167:168], v[2:3], v[42:43], -v[44:45]
	ds_load_b128 v[2:5], v1 offset:1376
	scratch_load_b128 v[42:45], off, off offset:560
	v_fma_f64 v[60:61], v[60:61], v[6:7], v[80:81]
	v_fma_f64 v[58:59], v[58:59], v[6:7], -v[8:9]
	scratch_load_b128 v[6:9], off, off offset:576
	v_add_f64 v[76:77], v[76:77], v[54:55]
	v_add_f64 v[62:63], v[62:63], v[56:57]
	ds_load_b128 v[54:57], v1 offset:1392
	s_waitcnt vmcnt(9) lgkmcnt(1)
	v_mul_f64 v[169:170], v[2:3], v[12:13]
	v_mul_f64 v[12:13], v[4:5], v[12:13]
	s_waitcnt vmcnt(8) lgkmcnt(0)
	v_mul_f64 v[80:81], v[54:55], v[16:17]
	v_mul_f64 v[16:17], v[56:57], v[16:17]
	v_add_f64 v[76:77], v[76:77], v[167:168]
	v_add_f64 v[62:63], v[62:63], v[165:166]
	v_fma_f64 v[165:166], v[4:5], v[10:11], v[169:170]
	v_fma_f64 v[167:168], v[2:3], v[10:11], -v[12:13]
	ds_load_b128 v[2:5], v1 offset:1408
	scratch_load_b128 v[10:13], off, off offset:592
	v_fma_f64 v[56:57], v[56:57], v[14:15], v[80:81]
	v_fma_f64 v[54:55], v[54:55], v[14:15], -v[16:17]
	scratch_load_b128 v[14:17], off, off offset:608
	v_add_f64 v[76:77], v[76:77], v[58:59]
	v_add_f64 v[62:63], v[62:63], v[60:61]
	ds_load_b128 v[58:61], v1 offset:1424
	s_waitcnt vmcnt(9) lgkmcnt(1)
	v_mul_f64 v[169:170], v[2:3], v[20:21]
	v_mul_f64 v[20:21], v[4:5], v[20:21]
	;; [unrolled: 18-line block ×12, first 2 shown]
	s_waitcnt vmcnt(8) lgkmcnt(0)
	v_mul_f64 v[80:81], v[58:59], v[24:25]
	v_mul_f64 v[24:25], v[60:61], v[24:25]
	v_add_f64 v[76:77], v[76:77], v[167:168]
	v_add_f64 v[62:63], v[62:63], v[165:166]
	v_fma_f64 v[165:166], v[4:5], v[18:19], v[169:170]
	v_fma_f64 v[167:168], v[2:3], v[18:19], -v[20:21]
	ds_load_b128 v[2:5], v1 offset:1760
	ds_load_b128 v[18:21], v1 offset:1776
	v_fma_f64 v[60:61], v[60:61], v[22:23], v[80:81]
	v_fma_f64 v[22:23], v[58:59], v[22:23], -v[24:25]
	v_add_f64 v[54:55], v[76:77], v[54:55]
	v_add_f64 v[56:57], v[62:63], v[56:57]
	s_waitcnt vmcnt(7) lgkmcnt(1)
	v_mul_f64 v[62:63], v[2:3], v[28:29]
	v_mul_f64 v[28:29], v[4:5], v[28:29]
	s_delay_alu instid0(VALU_DEP_4) | instskip(NEXT) | instid1(VALU_DEP_4)
	v_add_f64 v[24:25], v[54:55], v[167:168]
	v_add_f64 v[54:55], v[56:57], v[165:166]
	s_waitcnt vmcnt(6) lgkmcnt(0)
	v_mul_f64 v[56:57], v[18:19], v[32:33]
	v_mul_f64 v[32:33], v[20:21], v[32:33]
	v_fma_f64 v[58:59], v[4:5], v[26:27], v[62:63]
	v_fma_f64 v[26:27], v[2:3], v[26:27], -v[28:29]
	v_add_f64 v[28:29], v[24:25], v[22:23]
	v_add_f64 v[54:55], v[54:55], v[60:61]
	ds_load_b128 v[2:5], v1 offset:1792
	ds_load_b128 v[22:25], v1 offset:1808
	v_fma_f64 v[20:21], v[20:21], v[30:31], v[56:57]
	v_fma_f64 v[18:19], v[18:19], v[30:31], -v[32:33]
	s_waitcnt vmcnt(5) lgkmcnt(1)
	v_mul_f64 v[60:61], v[2:3], v[36:37]
	v_mul_f64 v[36:37], v[4:5], v[36:37]
	s_waitcnt vmcnt(4) lgkmcnt(0)
	v_mul_f64 v[30:31], v[22:23], v[40:41]
	v_mul_f64 v[32:33], v[24:25], v[40:41]
	v_add_f64 v[26:27], v[28:29], v[26:27]
	v_add_f64 v[28:29], v[54:55], v[58:59]
	v_fma_f64 v[40:41], v[4:5], v[34:35], v[60:61]
	v_fma_f64 v[34:35], v[2:3], v[34:35], -v[36:37]
	v_fma_f64 v[24:25], v[24:25], v[38:39], v[30:31]
	v_fma_f64 v[22:23], v[22:23], v[38:39], -v[32:33]
	v_add_f64 v[26:27], v[26:27], v[18:19]
	v_add_f64 v[28:29], v[28:29], v[20:21]
	ds_load_b128 v[2:5], v1 offset:1824
	ds_load_b128 v[18:21], v1 offset:1840
	s_waitcnt vmcnt(3) lgkmcnt(1)
	v_mul_f64 v[36:37], v[2:3], v[44:45]
	v_mul_f64 v[44:45], v[4:5], v[44:45]
	s_waitcnt vmcnt(2) lgkmcnt(0)
	v_mul_f64 v[30:31], v[18:19], v[8:9]
	v_mul_f64 v[8:9], v[20:21], v[8:9]
	v_add_f64 v[26:27], v[26:27], v[34:35]
	v_add_f64 v[28:29], v[28:29], v[40:41]
	v_fma_f64 v[32:33], v[4:5], v[42:43], v[36:37]
	v_fma_f64 v[34:35], v[2:3], v[42:43], -v[44:45]
	v_fma_f64 v[20:21], v[20:21], v[6:7], v[30:31]
	v_fma_f64 v[6:7], v[18:19], v[6:7], -v[8:9]
	v_add_f64 v[26:27], v[26:27], v[22:23]
	v_add_f64 v[28:29], v[28:29], v[24:25]
	ds_load_b128 v[2:5], v1 offset:1856
	ds_load_b128 v[22:25], v1 offset:1872
	s_waitcnt vmcnt(1) lgkmcnt(1)
	v_mul_f64 v[36:37], v[2:3], v[12:13]
	v_mul_f64 v[12:13], v[4:5], v[12:13]
	v_add_f64 v[8:9], v[26:27], v[34:35]
	v_add_f64 v[18:19], v[28:29], v[32:33]
	s_waitcnt vmcnt(0) lgkmcnt(0)
	v_mul_f64 v[26:27], v[22:23], v[16:17]
	v_mul_f64 v[16:17], v[24:25], v[16:17]
	v_fma_f64 v[4:5], v[4:5], v[10:11], v[36:37]
	v_fma_f64 v[1:2], v[2:3], v[10:11], -v[12:13]
	v_add_f64 v[6:7], v[8:9], v[6:7]
	v_add_f64 v[8:9], v[18:19], v[20:21]
	v_fma_f64 v[10:11], v[24:25], v[14:15], v[26:27]
	v_fma_f64 v[12:13], v[22:23], v[14:15], -v[16:17]
	s_delay_alu instid0(VALU_DEP_4) | instskip(NEXT) | instid1(VALU_DEP_4)
	v_add_f64 v[1:2], v[6:7], v[1:2]
	v_add_f64 v[3:4], v[8:9], v[4:5]
	s_delay_alu instid0(VALU_DEP_2) | instskip(NEXT) | instid1(VALU_DEP_2)
	v_add_f64 v[1:2], v[1:2], v[12:13]
	v_add_f64 v[3:4], v[3:4], v[10:11]
	s_delay_alu instid0(VALU_DEP_2) | instskip(NEXT) | instid1(VALU_DEP_2)
	v_add_f64 v[1:2], v[50:51], -v[1:2]
	v_add_f64 v[3:4], v[52:53], -v[3:4]
	scratch_store_b128 off, v[1:4], off offset:64
	v_cmpx_lt_u32_e32 3, v164
	s_cbranch_execz .LBB58_361
; %bb.360:
	scratch_load_b128 v[1:4], v220, off
	v_mov_b32_e32 v5, 0
	s_delay_alu instid0(VALU_DEP_1)
	v_mov_b32_e32 v6, v5
	v_mov_b32_e32 v7, v5
	;; [unrolled: 1-line block ×3, first 2 shown]
	scratch_store_b128 off, v[5:8], off offset:48
	s_waitcnt vmcnt(0)
	ds_store_b128 v223, v[1:4]
.LBB58_361:
	s_or_b32 exec_lo, exec_lo, s2
	s_waitcnt lgkmcnt(0)
	s_waitcnt_vscnt null, 0x0
	s_barrier
	buffer_gl0_inv
	s_clause 0x7
	scratch_load_b128 v[2:5], off, off offset:64
	scratch_load_b128 v[6:9], off, off offset:80
	;; [unrolled: 1-line block ×8, first 2 shown]
	v_mov_b32_e32 v1, 0
	s_mov_b32 s2, exec_lo
	ds_load_b128 v[38:41], v1 offset:1008
	s_clause 0x1
	scratch_load_b128 v[34:37], off, off offset:192
	scratch_load_b128 v[42:45], off, off offset:48
	ds_load_b128 v[50:53], v1 offset:1024
	scratch_load_b128 v[54:57], off, off offset:208
	s_waitcnt vmcnt(10) lgkmcnt(1)
	v_mul_f64 v[58:59], v[40:41], v[4:5]
	v_mul_f64 v[4:5], v[38:39], v[4:5]
	s_delay_alu instid0(VALU_DEP_2) | instskip(NEXT) | instid1(VALU_DEP_2)
	v_fma_f64 v[76:77], v[38:39], v[2:3], -v[58:59]
	v_fma_f64 v[80:81], v[40:41], v[2:3], v[4:5]
	scratch_load_b128 v[38:41], off, off offset:224
	ds_load_b128 v[2:5], v1 offset:1040
	s_waitcnt vmcnt(10) lgkmcnt(1)
	v_mul_f64 v[62:63], v[50:51], v[8:9]
	v_mul_f64 v[8:9], v[52:53], v[8:9]
	ds_load_b128 v[58:61], v1 offset:1056
	s_waitcnt vmcnt(9) lgkmcnt(1)
	v_mul_f64 v[165:166], v[2:3], v[12:13]
	v_mul_f64 v[12:13], v[4:5], v[12:13]
	v_fma_f64 v[52:53], v[52:53], v[6:7], v[62:63]
	v_fma_f64 v[50:51], v[50:51], v[6:7], -v[8:9]
	v_add_f64 v[62:63], v[76:77], 0
	v_add_f64 v[76:77], v[80:81], 0
	scratch_load_b128 v[6:9], off, off offset:240
	v_fma_f64 v[165:166], v[4:5], v[10:11], v[165:166]
	v_fma_f64 v[167:168], v[2:3], v[10:11], -v[12:13]
	scratch_load_b128 v[10:13], off, off offset:256
	ds_load_b128 v[2:5], v1 offset:1072
	s_waitcnt vmcnt(10) lgkmcnt(1)
	v_mul_f64 v[80:81], v[58:59], v[16:17]
	v_mul_f64 v[16:17], v[60:61], v[16:17]
	v_add_f64 v[62:63], v[62:63], v[50:51]
	v_add_f64 v[76:77], v[76:77], v[52:53]
	s_waitcnt vmcnt(9) lgkmcnt(0)
	v_mul_f64 v[169:170], v[2:3], v[20:21]
	v_mul_f64 v[20:21], v[4:5], v[20:21]
	ds_load_b128 v[50:53], v1 offset:1088
	v_fma_f64 v[60:61], v[60:61], v[14:15], v[80:81]
	v_fma_f64 v[58:59], v[58:59], v[14:15], -v[16:17]
	scratch_load_b128 v[14:17], off, off offset:272
	v_add_f64 v[62:63], v[62:63], v[167:168]
	v_add_f64 v[76:77], v[76:77], v[165:166]
	v_fma_f64 v[165:166], v[4:5], v[18:19], v[169:170]
	v_fma_f64 v[167:168], v[2:3], v[18:19], -v[20:21]
	scratch_load_b128 v[18:21], off, off offset:288
	ds_load_b128 v[2:5], v1 offset:1104
	s_waitcnt vmcnt(10) lgkmcnt(1)
	v_mul_f64 v[80:81], v[50:51], v[24:25]
	v_mul_f64 v[24:25], v[52:53], v[24:25]
	s_waitcnt vmcnt(9) lgkmcnt(0)
	v_mul_f64 v[169:170], v[2:3], v[28:29]
	v_mul_f64 v[28:29], v[4:5], v[28:29]
	v_add_f64 v[62:63], v[62:63], v[58:59]
	v_add_f64 v[76:77], v[76:77], v[60:61]
	ds_load_b128 v[58:61], v1 offset:1120
	v_fma_f64 v[52:53], v[52:53], v[22:23], v[80:81]
	v_fma_f64 v[50:51], v[50:51], v[22:23], -v[24:25]
	scratch_load_b128 v[22:25], off, off offset:304
	v_add_f64 v[62:63], v[62:63], v[167:168]
	v_add_f64 v[76:77], v[76:77], v[165:166]
	v_fma_f64 v[165:166], v[4:5], v[26:27], v[169:170]
	v_fma_f64 v[167:168], v[2:3], v[26:27], -v[28:29]
	scratch_load_b128 v[26:29], off, off offset:320
	ds_load_b128 v[2:5], v1 offset:1136
	s_waitcnt vmcnt(10) lgkmcnt(1)
	v_mul_f64 v[80:81], v[58:59], v[32:33]
	v_mul_f64 v[32:33], v[60:61], v[32:33]
	s_waitcnt vmcnt(9) lgkmcnt(0)
	v_mul_f64 v[169:170], v[2:3], v[36:37]
	v_mul_f64 v[36:37], v[4:5], v[36:37]
	v_add_f64 v[62:63], v[62:63], v[50:51]
	v_add_f64 v[76:77], v[76:77], v[52:53]
	ds_load_b128 v[50:53], v1 offset:1152
	v_fma_f64 v[60:61], v[60:61], v[30:31], v[80:81]
	v_fma_f64 v[58:59], v[58:59], v[30:31], -v[32:33]
	scratch_load_b128 v[30:33], off, off offset:336
	v_add_f64 v[62:63], v[62:63], v[167:168]
	v_add_f64 v[76:77], v[76:77], v[165:166]
	v_fma_f64 v[167:168], v[4:5], v[34:35], v[169:170]
	v_fma_f64 v[169:170], v[2:3], v[34:35], -v[36:37]
	scratch_load_b128 v[34:37], off, off offset:352
	ds_load_b128 v[2:5], v1 offset:1168
	s_waitcnt vmcnt(9) lgkmcnt(1)
	v_mul_f64 v[80:81], v[50:51], v[56:57]
	v_mul_f64 v[165:166], v[52:53], v[56:57]
	v_add_f64 v[62:63], v[62:63], v[58:59]
	v_add_f64 v[60:61], v[76:77], v[60:61]
	ds_load_b128 v[56:59], v1 offset:1184
	v_fma_f64 v[80:81], v[52:53], v[54:55], v[80:81]
	v_fma_f64 v[54:55], v[50:51], v[54:55], -v[165:166]
	scratch_load_b128 v[50:53], off, off offset:368
	s_waitcnt vmcnt(9) lgkmcnt(1)
	v_mul_f64 v[76:77], v[2:3], v[40:41]
	v_mul_f64 v[40:41], v[4:5], v[40:41]
	v_add_f64 v[62:63], v[62:63], v[169:170]
	v_add_f64 v[60:61], v[60:61], v[167:168]
	s_delay_alu instid0(VALU_DEP_4) | instskip(NEXT) | instid1(VALU_DEP_4)
	v_fma_f64 v[76:77], v[4:5], v[38:39], v[76:77]
	v_fma_f64 v[167:168], v[2:3], v[38:39], -v[40:41]
	scratch_load_b128 v[38:41], off, off offset:384
	ds_load_b128 v[2:5], v1 offset:1200
	s_waitcnt vmcnt(9) lgkmcnt(1)
	v_mul_f64 v[165:166], v[56:57], v[8:9]
	v_mul_f64 v[8:9], v[58:59], v[8:9]
	s_waitcnt vmcnt(8) lgkmcnt(0)
	v_mul_f64 v[169:170], v[2:3], v[12:13]
	v_mul_f64 v[12:13], v[4:5], v[12:13]
	v_add_f64 v[54:55], v[62:63], v[54:55]
	v_add_f64 v[80:81], v[60:61], v[80:81]
	ds_load_b128 v[60:63], v1 offset:1216
	v_fma_f64 v[58:59], v[58:59], v[6:7], v[165:166]
	v_fma_f64 v[56:57], v[56:57], v[6:7], -v[8:9]
	scratch_load_b128 v[6:9], off, off offset:400
	v_fma_f64 v[165:166], v[4:5], v[10:11], v[169:170]
	v_add_f64 v[54:55], v[54:55], v[167:168]
	v_add_f64 v[76:77], v[80:81], v[76:77]
	v_fma_f64 v[167:168], v[2:3], v[10:11], -v[12:13]
	scratch_load_b128 v[10:13], off, off offset:416
	ds_load_b128 v[2:5], v1 offset:1232
	s_waitcnt vmcnt(9) lgkmcnt(1)
	v_mul_f64 v[80:81], v[60:61], v[16:17]
	v_mul_f64 v[16:17], v[62:63], v[16:17]
	v_add_f64 v[169:170], v[54:55], v[56:57]
	v_add_f64 v[58:59], v[76:77], v[58:59]
	s_waitcnt vmcnt(8) lgkmcnt(0)
	v_mul_f64 v[76:77], v[2:3], v[20:21]
	v_mul_f64 v[20:21], v[4:5], v[20:21]
	ds_load_b128 v[54:57], v1 offset:1248
	v_fma_f64 v[62:63], v[62:63], v[14:15], v[80:81]
	v_fma_f64 v[60:61], v[60:61], v[14:15], -v[16:17]
	scratch_load_b128 v[14:17], off, off offset:432
	v_add_f64 v[80:81], v[169:170], v[167:168]
	v_add_f64 v[58:59], v[58:59], v[165:166]
	v_fma_f64 v[76:77], v[4:5], v[18:19], v[76:77]
	v_fma_f64 v[167:168], v[2:3], v[18:19], -v[20:21]
	scratch_load_b128 v[18:21], off, off offset:448
	ds_load_b128 v[2:5], v1 offset:1264
	s_waitcnt vmcnt(9) lgkmcnt(1)
	v_mul_f64 v[165:166], v[54:55], v[24:25]
	v_mul_f64 v[24:25], v[56:57], v[24:25]
	s_waitcnt vmcnt(8) lgkmcnt(0)
	v_mul_f64 v[169:170], v[2:3], v[28:29]
	v_mul_f64 v[28:29], v[4:5], v[28:29]
	v_add_f64 v[80:81], v[80:81], v[60:61]
	v_add_f64 v[62:63], v[58:59], v[62:63]
	ds_load_b128 v[58:61], v1 offset:1280
	v_fma_f64 v[56:57], v[56:57], v[22:23], v[165:166]
	v_fma_f64 v[54:55], v[54:55], v[22:23], -v[24:25]
	scratch_load_b128 v[22:25], off, off offset:464
	v_fma_f64 v[165:166], v[4:5], v[26:27], v[169:170]
	v_add_f64 v[80:81], v[80:81], v[167:168]
	v_add_f64 v[62:63], v[62:63], v[76:77]
	v_fma_f64 v[167:168], v[2:3], v[26:27], -v[28:29]
	scratch_load_b128 v[26:29], off, off offset:480
	ds_load_b128 v[2:5], v1 offset:1296
	s_waitcnt vmcnt(9) lgkmcnt(1)
	v_mul_f64 v[76:77], v[58:59], v[32:33]
	v_mul_f64 v[32:33], v[60:61], v[32:33]
	s_waitcnt vmcnt(8) lgkmcnt(0)
	v_mul_f64 v[169:170], v[2:3], v[36:37]
	v_mul_f64 v[36:37], v[4:5], v[36:37]
	v_add_f64 v[80:81], v[80:81], v[54:55]
	v_add_f64 v[62:63], v[62:63], v[56:57]
	ds_load_b128 v[54:57], v1 offset:1312
	v_fma_f64 v[60:61], v[60:61], v[30:31], v[76:77]
	v_fma_f64 v[58:59], v[58:59], v[30:31], -v[32:33]
	scratch_load_b128 v[30:33], off, off offset:496
	v_add_f64 v[76:77], v[80:81], v[167:168]
	v_add_f64 v[62:63], v[62:63], v[165:166]
	v_fma_f64 v[165:166], v[4:5], v[34:35], v[169:170]
	v_fma_f64 v[167:168], v[2:3], v[34:35], -v[36:37]
	scratch_load_b128 v[34:37], off, off offset:512
	ds_load_b128 v[2:5], v1 offset:1328
	s_waitcnt vmcnt(9) lgkmcnt(1)
	v_mul_f64 v[80:81], v[54:55], v[52:53]
	v_mul_f64 v[52:53], v[56:57], v[52:53]
	s_waitcnt vmcnt(8) lgkmcnt(0)
	v_mul_f64 v[169:170], v[2:3], v[40:41]
	v_mul_f64 v[40:41], v[4:5], v[40:41]
	v_add_f64 v[76:77], v[76:77], v[58:59]
	v_add_f64 v[62:63], v[62:63], v[60:61]
	ds_load_b128 v[58:61], v1 offset:1344
	v_fma_f64 v[56:57], v[56:57], v[50:51], v[80:81]
	v_fma_f64 v[54:55], v[54:55], v[50:51], -v[52:53]
	scratch_load_b128 v[50:53], off, off offset:528
	v_add_f64 v[76:77], v[76:77], v[167:168]
	v_add_f64 v[62:63], v[62:63], v[165:166]
	v_fma_f64 v[165:166], v[4:5], v[38:39], v[169:170]
	;; [unrolled: 18-line block ×6, first 2 shown]
	v_fma_f64 v[169:170], v[2:3], v[34:35], -v[36:37]
	scratch_load_b128 v[34:37], off, off offset:672
	ds_load_b128 v[2:5], v1 offset:1488
	s_waitcnt vmcnt(9) lgkmcnt(1)
	v_mul_f64 v[80:81], v[58:59], v[52:53]
	v_mul_f64 v[165:166], v[60:61], v[52:53]
	v_add_f64 v[76:77], v[76:77], v[54:55]
	v_add_f64 v[56:57], v[62:63], v[56:57]
	s_waitcnt vmcnt(8) lgkmcnt(0)
	v_mul_f64 v[62:63], v[2:3], v[40:41]
	v_mul_f64 v[40:41], v[4:5], v[40:41]
	ds_load_b128 v[52:55], v1 offset:1504
	v_fma_f64 v[60:61], v[60:61], v[50:51], v[80:81]
	v_fma_f64 v[50:51], v[58:59], v[50:51], -v[165:166]
	v_add_f64 v[76:77], v[76:77], v[169:170]
	v_add_f64 v[80:81], v[56:57], v[167:168]
	scratch_load_b128 v[56:59], off, off offset:688
	v_fma_f64 v[167:168], v[4:5], v[38:39], v[62:63]
	v_fma_f64 v[169:170], v[2:3], v[38:39], -v[40:41]
	scratch_load_b128 v[38:41], off, off offset:704
	ds_load_b128 v[2:5], v1 offset:1520
	s_waitcnt vmcnt(9) lgkmcnt(1)
	v_mul_f64 v[165:166], v[52:53], v[8:9]
	v_mul_f64 v[8:9], v[54:55], v[8:9]
	v_add_f64 v[50:51], v[76:77], v[50:51]
	v_add_f64 v[76:77], v[80:81], v[60:61]
	s_waitcnt vmcnt(8) lgkmcnt(0)
	v_mul_f64 v[80:81], v[2:3], v[12:13]
	v_mul_f64 v[12:13], v[4:5], v[12:13]
	ds_load_b128 v[60:63], v1 offset:1536
	v_fma_f64 v[54:55], v[54:55], v[6:7], v[165:166]
	v_fma_f64 v[52:53], v[52:53], v[6:7], -v[8:9]
	scratch_load_b128 v[6:9], off, off offset:720
	v_add_f64 v[50:51], v[50:51], v[169:170]
	v_add_f64 v[76:77], v[76:77], v[167:168]
	v_fma_f64 v[80:81], v[4:5], v[10:11], v[80:81]
	v_fma_f64 v[167:168], v[2:3], v[10:11], -v[12:13]
	scratch_load_b128 v[10:13], off, off offset:736
	ds_load_b128 v[2:5], v1 offset:1552
	s_waitcnt vmcnt(9) lgkmcnt(1)
	v_mul_f64 v[165:166], v[60:61], v[16:17]
	v_mul_f64 v[16:17], v[62:63], v[16:17]
	v_add_f64 v[169:170], v[50:51], v[52:53]
	v_add_f64 v[54:55], v[76:77], v[54:55]
	s_waitcnt vmcnt(8) lgkmcnt(0)
	v_mul_f64 v[76:77], v[2:3], v[20:21]
	v_mul_f64 v[20:21], v[4:5], v[20:21]
	ds_load_b128 v[50:53], v1 offset:1568
	v_fma_f64 v[62:63], v[62:63], v[14:15], v[165:166]
	v_fma_f64 v[60:61], v[60:61], v[14:15], -v[16:17]
	scratch_load_b128 v[14:17], off, off offset:752
	v_add_f64 v[165:166], v[169:170], v[167:168]
	v_add_f64 v[54:55], v[54:55], v[80:81]
	v_fma_f64 v[76:77], v[4:5], v[18:19], v[76:77]
	v_fma_f64 v[167:168], v[2:3], v[18:19], -v[20:21]
	scratch_load_b128 v[18:21], off, off offset:768
	ds_load_b128 v[2:5], v1 offset:1584
	s_waitcnt vmcnt(9) lgkmcnt(1)
	v_mul_f64 v[80:81], v[50:51], v[24:25]
	v_mul_f64 v[24:25], v[52:53], v[24:25]
	s_waitcnt vmcnt(8) lgkmcnt(0)
	v_mul_f64 v[169:170], v[2:3], v[28:29]
	v_mul_f64 v[28:29], v[4:5], v[28:29]
	v_add_f64 v[165:166], v[165:166], v[60:61]
	v_add_f64 v[54:55], v[54:55], v[62:63]
	ds_load_b128 v[60:63], v1 offset:1600
	v_fma_f64 v[52:53], v[52:53], v[22:23], v[80:81]
	v_fma_f64 v[50:51], v[50:51], v[22:23], -v[24:25]
	scratch_load_b128 v[22:25], off, off offset:784
	v_add_f64 v[80:81], v[165:166], v[167:168]
	v_add_f64 v[54:55], v[54:55], v[76:77]
	v_fma_f64 v[165:166], v[4:5], v[26:27], v[169:170]
	v_fma_f64 v[167:168], v[2:3], v[26:27], -v[28:29]
	scratch_load_b128 v[26:29], off, off offset:800
	ds_load_b128 v[2:5], v1 offset:1616
	s_waitcnt vmcnt(9) lgkmcnt(1)
	v_mul_f64 v[76:77], v[60:61], v[32:33]
	v_mul_f64 v[32:33], v[62:63], v[32:33]
	s_waitcnt vmcnt(8) lgkmcnt(0)
	v_mul_f64 v[169:170], v[2:3], v[36:37]
	v_mul_f64 v[36:37], v[4:5], v[36:37]
	v_add_f64 v[80:81], v[80:81], v[50:51]
	v_add_f64 v[54:55], v[54:55], v[52:53]
	ds_load_b128 v[50:53], v1 offset:1632
	v_fma_f64 v[62:63], v[62:63], v[30:31], v[76:77]
	v_fma_f64 v[60:61], v[60:61], v[30:31], -v[32:33]
	scratch_load_b128 v[30:33], off, off offset:816
	v_add_f64 v[76:77], v[80:81], v[167:168]
	v_add_f64 v[54:55], v[54:55], v[165:166]
	v_fma_f64 v[167:168], v[4:5], v[34:35], v[169:170]
	v_fma_f64 v[169:170], v[2:3], v[34:35], -v[36:37]
	scratch_load_b128 v[34:37], off, off offset:832
	ds_load_b128 v[2:5], v1 offset:1648
	s_waitcnt vmcnt(9) lgkmcnt(1)
	v_mul_f64 v[80:81], v[50:51], v[58:59]
	v_mul_f64 v[165:166], v[52:53], v[58:59]
	v_add_f64 v[76:77], v[76:77], v[60:61]
	v_add_f64 v[54:55], v[54:55], v[62:63]
	s_waitcnt vmcnt(8) lgkmcnt(0)
	v_mul_f64 v[62:63], v[2:3], v[40:41]
	v_mul_f64 v[40:41], v[4:5], v[40:41]
	ds_load_b128 v[58:61], v1 offset:1664
	v_fma_f64 v[80:81], v[52:53], v[56:57], v[80:81]
	v_fma_f64 v[56:57], v[50:51], v[56:57], -v[165:166]
	scratch_load_b128 v[50:53], off, off offset:848
	v_add_f64 v[76:77], v[76:77], v[169:170]
	v_add_f64 v[54:55], v[54:55], v[167:168]
	v_fma_f64 v[62:63], v[4:5], v[38:39], v[62:63]
	v_fma_f64 v[167:168], v[2:3], v[38:39], -v[40:41]
	scratch_load_b128 v[38:41], off, off offset:864
	ds_load_b128 v[2:5], v1 offset:1680
	s_waitcnt vmcnt(9) lgkmcnt(1)
	v_mul_f64 v[165:166], v[58:59], v[8:9]
	v_mul_f64 v[8:9], v[60:61], v[8:9]
	s_waitcnt vmcnt(8) lgkmcnt(0)
	v_mul_f64 v[169:170], v[2:3], v[12:13]
	v_mul_f64 v[12:13], v[4:5], v[12:13]
	v_add_f64 v[76:77], v[76:77], v[56:57]
	v_add_f64 v[80:81], v[54:55], v[80:81]
	ds_load_b128 v[54:57], v1 offset:1696
	v_fma_f64 v[60:61], v[60:61], v[6:7], v[165:166]
	v_fma_f64 v[58:59], v[58:59], v[6:7], -v[8:9]
	scratch_load_b128 v[6:9], off, off offset:880
	v_fma_f64 v[165:166], v[4:5], v[10:11], v[169:170]
	v_add_f64 v[76:77], v[76:77], v[167:168]
	v_add_f64 v[62:63], v[80:81], v[62:63]
	v_fma_f64 v[167:168], v[2:3], v[10:11], -v[12:13]
	scratch_load_b128 v[10:13], off, off offset:896
	ds_load_b128 v[2:5], v1 offset:1712
	s_waitcnt vmcnt(9) lgkmcnt(1)
	v_mul_f64 v[80:81], v[54:55], v[16:17]
	v_mul_f64 v[16:17], v[56:57], v[16:17]
	s_waitcnt vmcnt(8) lgkmcnt(0)
	v_mul_f64 v[169:170], v[2:3], v[20:21]
	v_mul_f64 v[20:21], v[4:5], v[20:21]
	v_add_f64 v[76:77], v[76:77], v[58:59]
	v_add_f64 v[62:63], v[62:63], v[60:61]
	ds_load_b128 v[58:61], v1 offset:1728
	v_fma_f64 v[56:57], v[56:57], v[14:15], v[80:81]
	v_fma_f64 v[54:55], v[54:55], v[14:15], -v[16:17]
	scratch_load_b128 v[14:17], off, off offset:912
	v_add_f64 v[76:77], v[76:77], v[167:168]
	v_add_f64 v[62:63], v[62:63], v[165:166]
	v_fma_f64 v[165:166], v[4:5], v[18:19], v[169:170]
	v_fma_f64 v[167:168], v[2:3], v[18:19], -v[20:21]
	scratch_load_b128 v[18:21], off, off offset:928
	ds_load_b128 v[2:5], v1 offset:1744
	s_waitcnt vmcnt(9) lgkmcnt(1)
	v_mul_f64 v[80:81], v[58:59], v[24:25]
	v_mul_f64 v[24:25], v[60:61], v[24:25]
	s_waitcnt vmcnt(8) lgkmcnt(0)
	v_mul_f64 v[169:170], v[2:3], v[28:29]
	v_mul_f64 v[28:29], v[4:5], v[28:29]
	v_add_f64 v[76:77], v[76:77], v[54:55]
	v_add_f64 v[62:63], v[62:63], v[56:57]
	ds_load_b128 v[54:57], v1 offset:1760
	v_fma_f64 v[60:61], v[60:61], v[22:23], v[80:81]
	v_fma_f64 v[22:23], v[58:59], v[22:23], -v[24:25]
	v_add_f64 v[24:25], v[76:77], v[167:168]
	v_add_f64 v[58:59], v[62:63], v[165:166]
	s_waitcnt vmcnt(7) lgkmcnt(0)
	v_mul_f64 v[62:63], v[54:55], v[32:33]
	v_mul_f64 v[32:33], v[56:57], v[32:33]
	v_fma_f64 v[76:77], v[4:5], v[26:27], v[169:170]
	v_fma_f64 v[26:27], v[2:3], v[26:27], -v[28:29]
	v_add_f64 v[28:29], v[24:25], v[22:23]
	v_add_f64 v[58:59], v[58:59], v[60:61]
	ds_load_b128 v[2:5], v1 offset:1776
	ds_load_b128 v[22:25], v1 offset:1792
	v_fma_f64 v[56:57], v[56:57], v[30:31], v[62:63]
	v_fma_f64 v[30:31], v[54:55], v[30:31], -v[32:33]
	s_waitcnt vmcnt(6) lgkmcnt(1)
	v_mul_f64 v[60:61], v[2:3], v[36:37]
	v_mul_f64 v[36:37], v[4:5], v[36:37]
	s_waitcnt vmcnt(5) lgkmcnt(0)
	v_mul_f64 v[32:33], v[22:23], v[52:53]
	v_mul_f64 v[52:53], v[24:25], v[52:53]
	v_add_f64 v[26:27], v[28:29], v[26:27]
	v_add_f64 v[28:29], v[58:59], v[76:77]
	v_fma_f64 v[54:55], v[4:5], v[34:35], v[60:61]
	v_fma_f64 v[34:35], v[2:3], v[34:35], -v[36:37]
	v_fma_f64 v[24:25], v[24:25], v[50:51], v[32:33]
	v_fma_f64 v[22:23], v[22:23], v[50:51], -v[52:53]
	v_add_f64 v[30:31], v[26:27], v[30:31]
	v_add_f64 v[36:37], v[28:29], v[56:57]
	ds_load_b128 v[2:5], v1 offset:1808
	ds_load_b128 v[26:29], v1 offset:1824
	s_waitcnt vmcnt(4) lgkmcnt(1)
	v_mul_f64 v[56:57], v[2:3], v[40:41]
	v_mul_f64 v[40:41], v[4:5], v[40:41]
	v_add_f64 v[30:31], v[30:31], v[34:35]
	v_add_f64 v[32:33], v[36:37], v[54:55]
	s_waitcnt vmcnt(3) lgkmcnt(0)
	v_mul_f64 v[34:35], v[26:27], v[8:9]
	v_mul_f64 v[8:9], v[28:29], v[8:9]
	v_fma_f64 v[36:37], v[4:5], v[38:39], v[56:57]
	v_fma_f64 v[38:39], v[2:3], v[38:39], -v[40:41]
	v_add_f64 v[30:31], v[30:31], v[22:23]
	v_add_f64 v[32:33], v[32:33], v[24:25]
	ds_load_b128 v[2:5], v1 offset:1840
	ds_load_b128 v[22:25], v1 offset:1856
	v_fma_f64 v[28:29], v[28:29], v[6:7], v[34:35]
	v_fma_f64 v[6:7], v[26:27], v[6:7], -v[8:9]
	s_waitcnt vmcnt(2) lgkmcnt(1)
	v_mul_f64 v[40:41], v[2:3], v[12:13]
	v_mul_f64 v[12:13], v[4:5], v[12:13]
	v_add_f64 v[8:9], v[30:31], v[38:39]
	v_add_f64 v[26:27], v[32:33], v[36:37]
	s_waitcnt vmcnt(1) lgkmcnt(0)
	v_mul_f64 v[30:31], v[22:23], v[16:17]
	v_mul_f64 v[16:17], v[24:25], v[16:17]
	v_fma_f64 v[32:33], v[4:5], v[10:11], v[40:41]
	v_fma_f64 v[10:11], v[2:3], v[10:11], -v[12:13]
	ds_load_b128 v[2:5], v1 offset:1872
	v_add_f64 v[6:7], v[8:9], v[6:7]
	v_add_f64 v[8:9], v[26:27], v[28:29]
	v_fma_f64 v[24:25], v[24:25], v[14:15], v[30:31]
	v_fma_f64 v[14:15], v[22:23], v[14:15], -v[16:17]
	s_waitcnt vmcnt(0) lgkmcnt(0)
	v_mul_f64 v[12:13], v[2:3], v[20:21]
	v_mul_f64 v[20:21], v[4:5], v[20:21]
	v_add_f64 v[6:7], v[6:7], v[10:11]
	v_add_f64 v[8:9], v[8:9], v[32:33]
	s_delay_alu instid0(VALU_DEP_4) | instskip(NEXT) | instid1(VALU_DEP_4)
	v_fma_f64 v[4:5], v[4:5], v[18:19], v[12:13]
	v_fma_f64 v[2:3], v[2:3], v[18:19], -v[20:21]
	s_delay_alu instid0(VALU_DEP_4) | instskip(NEXT) | instid1(VALU_DEP_4)
	v_add_f64 v[6:7], v[6:7], v[14:15]
	v_add_f64 v[8:9], v[8:9], v[24:25]
	s_delay_alu instid0(VALU_DEP_2) | instskip(NEXT) | instid1(VALU_DEP_2)
	v_add_f64 v[2:3], v[6:7], v[2:3]
	v_add_f64 v[4:5], v[8:9], v[4:5]
	s_delay_alu instid0(VALU_DEP_2) | instskip(NEXT) | instid1(VALU_DEP_2)
	v_add_f64 v[2:3], v[42:43], -v[2:3]
	v_add_f64 v[4:5], v[44:45], -v[4:5]
	scratch_store_b128 off, v[2:5], off offset:48
	v_cmpx_lt_u32_e32 2, v164
	s_cbranch_execz .LBB58_363
; %bb.362:
	scratch_load_b128 v[5:8], v221, off
	v_mov_b32_e32 v2, v1
	v_mov_b32_e32 v3, v1
	;; [unrolled: 1-line block ×3, first 2 shown]
	scratch_store_b128 off, v[1:4], off offset:32
	s_waitcnt vmcnt(0)
	ds_store_b128 v223, v[5:8]
.LBB58_363:
	s_or_b32 exec_lo, exec_lo, s2
	s_waitcnt lgkmcnt(0)
	s_waitcnt_vscnt null, 0x0
	s_barrier
	buffer_gl0_inv
	s_clause 0x8
	scratch_load_b128 v[2:5], off, off offset:48
	scratch_load_b128 v[6:9], off, off offset:64
	;; [unrolled: 1-line block ×9, first 2 shown]
	ds_load_b128 v[42:45], v1 offset:992
	ds_load_b128 v[38:41], v1 offset:1008
	s_clause 0x1
	scratch_load_b128 v[50:53], off, off offset:32
	scratch_load_b128 v[54:57], off, off offset:192
	s_mov_b32 s2, exec_lo
	s_waitcnt vmcnt(10) lgkmcnt(1)
	v_mul_f64 v[58:59], v[44:45], v[4:5]
	v_mul_f64 v[4:5], v[42:43], v[4:5]
	s_waitcnt vmcnt(9) lgkmcnt(0)
	v_mul_f64 v[62:63], v[38:39], v[8:9]
	v_mul_f64 v[8:9], v[40:41], v[8:9]
	s_delay_alu instid0(VALU_DEP_4) | instskip(NEXT) | instid1(VALU_DEP_4)
	v_fma_f64 v[76:77], v[42:43], v[2:3], -v[58:59]
	v_fma_f64 v[80:81], v[44:45], v[2:3], v[4:5]
	ds_load_b128 v[2:5], v1 offset:1024
	ds_load_b128 v[58:61], v1 offset:1040
	scratch_load_b128 v[42:45], off, off offset:208
	v_fma_f64 v[40:41], v[40:41], v[6:7], v[62:63]
	v_fma_f64 v[38:39], v[38:39], v[6:7], -v[8:9]
	scratch_load_b128 v[6:9], off, off offset:224
	s_waitcnt vmcnt(10) lgkmcnt(1)
	v_mul_f64 v[165:166], v[2:3], v[12:13]
	v_mul_f64 v[12:13], v[4:5], v[12:13]
	v_add_f64 v[62:63], v[76:77], 0
	v_add_f64 v[76:77], v[80:81], 0
	s_waitcnt vmcnt(9) lgkmcnt(0)
	v_mul_f64 v[80:81], v[58:59], v[16:17]
	v_mul_f64 v[16:17], v[60:61], v[16:17]
	v_fma_f64 v[165:166], v[4:5], v[10:11], v[165:166]
	v_fma_f64 v[167:168], v[2:3], v[10:11], -v[12:13]
	ds_load_b128 v[2:5], v1 offset:1056
	scratch_load_b128 v[10:13], off, off offset:240
	v_add_f64 v[62:63], v[62:63], v[38:39]
	v_add_f64 v[76:77], v[76:77], v[40:41]
	ds_load_b128 v[38:41], v1 offset:1072
	v_fma_f64 v[60:61], v[60:61], v[14:15], v[80:81]
	v_fma_f64 v[58:59], v[58:59], v[14:15], -v[16:17]
	scratch_load_b128 v[14:17], off, off offset:256
	s_waitcnt vmcnt(10) lgkmcnt(1)
	v_mul_f64 v[169:170], v[2:3], v[20:21]
	v_mul_f64 v[20:21], v[4:5], v[20:21]
	s_waitcnt vmcnt(9) lgkmcnt(0)
	v_mul_f64 v[80:81], v[38:39], v[24:25]
	v_mul_f64 v[24:25], v[40:41], v[24:25]
	v_add_f64 v[62:63], v[62:63], v[167:168]
	v_add_f64 v[76:77], v[76:77], v[165:166]
	v_fma_f64 v[165:166], v[4:5], v[18:19], v[169:170]
	v_fma_f64 v[167:168], v[2:3], v[18:19], -v[20:21]
	ds_load_b128 v[2:5], v1 offset:1088
	scratch_load_b128 v[18:21], off, off offset:272
	v_fma_f64 v[40:41], v[40:41], v[22:23], v[80:81]
	v_fma_f64 v[38:39], v[38:39], v[22:23], -v[24:25]
	scratch_load_b128 v[22:25], off, off offset:288
	v_add_f64 v[62:63], v[62:63], v[58:59]
	v_add_f64 v[76:77], v[76:77], v[60:61]
	ds_load_b128 v[58:61], v1 offset:1104
	s_waitcnt vmcnt(10) lgkmcnt(1)
	v_mul_f64 v[169:170], v[2:3], v[28:29]
	v_mul_f64 v[28:29], v[4:5], v[28:29]
	s_waitcnt vmcnt(9) lgkmcnt(0)
	v_mul_f64 v[80:81], v[58:59], v[32:33]
	v_mul_f64 v[32:33], v[60:61], v[32:33]
	v_add_f64 v[62:63], v[62:63], v[167:168]
	v_add_f64 v[76:77], v[76:77], v[165:166]
	v_fma_f64 v[165:166], v[4:5], v[26:27], v[169:170]
	v_fma_f64 v[167:168], v[2:3], v[26:27], -v[28:29]
	ds_load_b128 v[2:5], v1 offset:1120
	scratch_load_b128 v[26:29], off, off offset:304
	v_fma_f64 v[60:61], v[60:61], v[30:31], v[80:81]
	v_fma_f64 v[58:59], v[58:59], v[30:31], -v[32:33]
	scratch_load_b128 v[30:33], off, off offset:320
	v_add_f64 v[62:63], v[62:63], v[38:39]
	v_add_f64 v[76:77], v[76:77], v[40:41]
	ds_load_b128 v[38:41], v1 offset:1136
	s_waitcnt vmcnt(10) lgkmcnt(1)
	v_mul_f64 v[169:170], v[2:3], v[36:37]
	v_mul_f64 v[36:37], v[4:5], v[36:37]
	s_waitcnt vmcnt(8) lgkmcnt(0)
	v_mul_f64 v[80:81], v[38:39], v[56:57]
	v_add_f64 v[62:63], v[62:63], v[167:168]
	v_add_f64 v[76:77], v[76:77], v[165:166]
	v_mul_f64 v[165:166], v[40:41], v[56:57]
	v_fma_f64 v[167:168], v[4:5], v[34:35], v[169:170]
	v_fma_f64 v[169:170], v[2:3], v[34:35], -v[36:37]
	ds_load_b128 v[2:5], v1 offset:1152
	scratch_load_b128 v[34:37], off, off offset:336
	v_fma_f64 v[80:81], v[40:41], v[54:55], v[80:81]
	v_add_f64 v[62:63], v[62:63], v[58:59]
	v_add_f64 v[60:61], v[76:77], v[60:61]
	ds_load_b128 v[56:59], v1 offset:1168
	v_fma_f64 v[54:55], v[38:39], v[54:55], -v[165:166]
	scratch_load_b128 v[38:41], off, off offset:352
	s_waitcnt vmcnt(9) lgkmcnt(1)
	v_mul_f64 v[76:77], v[2:3], v[44:45]
	v_mul_f64 v[44:45], v[4:5], v[44:45]
	s_waitcnt vmcnt(8) lgkmcnt(0)
	v_mul_f64 v[165:166], v[56:57], v[8:9]
	v_mul_f64 v[8:9], v[58:59], v[8:9]
	v_add_f64 v[62:63], v[62:63], v[169:170]
	v_add_f64 v[60:61], v[60:61], v[167:168]
	v_fma_f64 v[76:77], v[4:5], v[42:43], v[76:77]
	v_fma_f64 v[167:168], v[2:3], v[42:43], -v[44:45]
	ds_load_b128 v[2:5], v1 offset:1184
	scratch_load_b128 v[42:45], off, off offset:368
	v_fma_f64 v[58:59], v[58:59], v[6:7], v[165:166]
	v_fma_f64 v[56:57], v[56:57], v[6:7], -v[8:9]
	scratch_load_b128 v[6:9], off, off offset:384
	v_add_f64 v[54:55], v[62:63], v[54:55]
	v_add_f64 v[80:81], v[60:61], v[80:81]
	ds_load_b128 v[60:63], v1 offset:1200
	s_waitcnt vmcnt(9) lgkmcnt(1)
	v_mul_f64 v[169:170], v[2:3], v[12:13]
	v_mul_f64 v[12:13], v[4:5], v[12:13]
	v_add_f64 v[54:55], v[54:55], v[167:168]
	v_add_f64 v[76:77], v[80:81], v[76:77]
	s_waitcnt vmcnt(8) lgkmcnt(0)
	v_mul_f64 v[80:81], v[60:61], v[16:17]
	v_mul_f64 v[16:17], v[62:63], v[16:17]
	v_fma_f64 v[165:166], v[4:5], v[10:11], v[169:170]
	v_fma_f64 v[167:168], v[2:3], v[10:11], -v[12:13]
	ds_load_b128 v[2:5], v1 offset:1216
	scratch_load_b128 v[10:13], off, off offset:400
	v_add_f64 v[169:170], v[54:55], v[56:57]
	v_add_f64 v[58:59], v[76:77], v[58:59]
	ds_load_b128 v[54:57], v1 offset:1232
	s_waitcnt vmcnt(8) lgkmcnt(1)
	v_mul_f64 v[76:77], v[2:3], v[20:21]
	v_mul_f64 v[20:21], v[4:5], v[20:21]
	v_fma_f64 v[62:63], v[62:63], v[14:15], v[80:81]
	v_fma_f64 v[60:61], v[60:61], v[14:15], -v[16:17]
	scratch_load_b128 v[14:17], off, off offset:416
	v_add_f64 v[80:81], v[169:170], v[167:168]
	v_add_f64 v[58:59], v[58:59], v[165:166]
	s_waitcnt vmcnt(8) lgkmcnt(0)
	v_mul_f64 v[165:166], v[54:55], v[24:25]
	v_mul_f64 v[24:25], v[56:57], v[24:25]
	v_fma_f64 v[76:77], v[4:5], v[18:19], v[76:77]
	v_fma_f64 v[167:168], v[2:3], v[18:19], -v[20:21]
	ds_load_b128 v[2:5], v1 offset:1248
	scratch_load_b128 v[18:21], off, off offset:432
	v_add_f64 v[80:81], v[80:81], v[60:61]
	v_add_f64 v[62:63], v[58:59], v[62:63]
	ds_load_b128 v[58:61], v1 offset:1264
	s_waitcnt vmcnt(8) lgkmcnt(1)
	v_mul_f64 v[169:170], v[2:3], v[28:29]
	v_mul_f64 v[28:29], v[4:5], v[28:29]
	v_fma_f64 v[56:57], v[56:57], v[22:23], v[165:166]
	v_fma_f64 v[54:55], v[54:55], v[22:23], -v[24:25]
	scratch_load_b128 v[22:25], off, off offset:448
	;; [unrolled: 18-line block ×4, first 2 shown]
	s_waitcnt vmcnt(8) lgkmcnt(0)
	v_mul_f64 v[80:81], v[58:59], v[8:9]
	v_mul_f64 v[8:9], v[60:61], v[8:9]
	v_add_f64 v[76:77], v[76:77], v[167:168]
	v_add_f64 v[62:63], v[62:63], v[165:166]
	v_fma_f64 v[165:166], v[4:5], v[42:43], v[169:170]
	v_fma_f64 v[167:168], v[2:3], v[42:43], -v[44:45]
	ds_load_b128 v[2:5], v1 offset:1344
	scratch_load_b128 v[42:45], off, off offset:528
	v_fma_f64 v[60:61], v[60:61], v[6:7], v[80:81]
	v_fma_f64 v[58:59], v[58:59], v[6:7], -v[8:9]
	scratch_load_b128 v[6:9], off, off offset:544
	v_add_f64 v[76:77], v[76:77], v[54:55]
	v_add_f64 v[62:63], v[62:63], v[56:57]
	ds_load_b128 v[54:57], v1 offset:1360
	s_waitcnt vmcnt(9) lgkmcnt(1)
	v_mul_f64 v[169:170], v[2:3], v[12:13]
	v_mul_f64 v[12:13], v[4:5], v[12:13]
	s_waitcnt vmcnt(8) lgkmcnt(0)
	v_mul_f64 v[80:81], v[54:55], v[16:17]
	v_mul_f64 v[16:17], v[56:57], v[16:17]
	v_add_f64 v[76:77], v[76:77], v[167:168]
	v_add_f64 v[62:63], v[62:63], v[165:166]
	v_fma_f64 v[165:166], v[4:5], v[10:11], v[169:170]
	v_fma_f64 v[167:168], v[2:3], v[10:11], -v[12:13]
	ds_load_b128 v[2:5], v1 offset:1376
	scratch_load_b128 v[10:13], off, off offset:560
	v_fma_f64 v[56:57], v[56:57], v[14:15], v[80:81]
	v_fma_f64 v[54:55], v[54:55], v[14:15], -v[16:17]
	scratch_load_b128 v[14:17], off, off offset:576
	v_add_f64 v[76:77], v[76:77], v[58:59]
	v_add_f64 v[62:63], v[62:63], v[60:61]
	ds_load_b128 v[58:61], v1 offset:1392
	s_waitcnt vmcnt(9) lgkmcnt(1)
	v_mul_f64 v[169:170], v[2:3], v[20:21]
	v_mul_f64 v[20:21], v[4:5], v[20:21]
	;; [unrolled: 18-line block ×13, first 2 shown]
	s_waitcnt vmcnt(8) lgkmcnt(0)
	v_mul_f64 v[80:81], v[54:55], v[32:33]
	v_mul_f64 v[32:33], v[56:57], v[32:33]
	v_add_f64 v[76:77], v[76:77], v[167:168]
	v_add_f64 v[62:63], v[62:63], v[165:166]
	v_fma_f64 v[165:166], v[4:5], v[26:27], v[169:170]
	v_fma_f64 v[167:168], v[2:3], v[26:27], -v[28:29]
	ds_load_b128 v[2:5], v1 offset:1760
	ds_load_b128 v[26:29], v1 offset:1776
	v_fma_f64 v[56:57], v[56:57], v[30:31], v[80:81]
	v_fma_f64 v[30:31], v[54:55], v[30:31], -v[32:33]
	v_add_f64 v[58:59], v[76:77], v[58:59]
	v_add_f64 v[60:61], v[62:63], v[60:61]
	s_waitcnt vmcnt(7) lgkmcnt(1)
	v_mul_f64 v[62:63], v[2:3], v[36:37]
	v_mul_f64 v[36:37], v[4:5], v[36:37]
	s_delay_alu instid0(VALU_DEP_4) | instskip(NEXT) | instid1(VALU_DEP_4)
	v_add_f64 v[32:33], v[58:59], v[167:168]
	v_add_f64 v[54:55], v[60:61], v[165:166]
	s_waitcnt vmcnt(6) lgkmcnt(0)
	v_mul_f64 v[58:59], v[26:27], v[40:41]
	v_mul_f64 v[40:41], v[28:29], v[40:41]
	v_fma_f64 v[60:61], v[4:5], v[34:35], v[62:63]
	v_fma_f64 v[34:35], v[2:3], v[34:35], -v[36:37]
	v_add_f64 v[36:37], v[32:33], v[30:31]
	v_add_f64 v[54:55], v[54:55], v[56:57]
	ds_load_b128 v[2:5], v1 offset:1792
	ds_load_b128 v[30:33], v1 offset:1808
	v_fma_f64 v[28:29], v[28:29], v[38:39], v[58:59]
	v_fma_f64 v[26:27], v[26:27], v[38:39], -v[40:41]
	s_waitcnt vmcnt(5) lgkmcnt(1)
	v_mul_f64 v[56:57], v[2:3], v[44:45]
	v_mul_f64 v[44:45], v[4:5], v[44:45]
	s_waitcnt vmcnt(4) lgkmcnt(0)
	v_mul_f64 v[38:39], v[30:31], v[8:9]
	v_mul_f64 v[8:9], v[32:33], v[8:9]
	v_add_f64 v[34:35], v[36:37], v[34:35]
	v_add_f64 v[36:37], v[54:55], v[60:61]
	v_fma_f64 v[40:41], v[4:5], v[42:43], v[56:57]
	v_fma_f64 v[42:43], v[2:3], v[42:43], -v[44:45]
	v_fma_f64 v[32:33], v[32:33], v[6:7], v[38:39]
	v_fma_f64 v[6:7], v[30:31], v[6:7], -v[8:9]
	v_add_f64 v[34:35], v[34:35], v[26:27]
	v_add_f64 v[36:37], v[36:37], v[28:29]
	ds_load_b128 v[2:5], v1 offset:1824
	ds_load_b128 v[26:29], v1 offset:1840
	s_waitcnt vmcnt(3) lgkmcnt(1)
	v_mul_f64 v[44:45], v[2:3], v[12:13]
	v_mul_f64 v[12:13], v[4:5], v[12:13]
	v_add_f64 v[8:9], v[34:35], v[42:43]
	v_add_f64 v[30:31], v[36:37], v[40:41]
	s_waitcnt vmcnt(2) lgkmcnt(0)
	v_mul_f64 v[34:35], v[26:27], v[16:17]
	v_mul_f64 v[16:17], v[28:29], v[16:17]
	v_fma_f64 v[36:37], v[4:5], v[10:11], v[44:45]
	v_fma_f64 v[10:11], v[2:3], v[10:11], -v[12:13]
	v_add_f64 v[12:13], v[8:9], v[6:7]
	v_add_f64 v[30:31], v[30:31], v[32:33]
	ds_load_b128 v[2:5], v1 offset:1856
	ds_load_b128 v[6:9], v1 offset:1872
	v_fma_f64 v[28:29], v[28:29], v[14:15], v[34:35]
	v_fma_f64 v[14:15], v[26:27], v[14:15], -v[16:17]
	s_waitcnt vmcnt(1) lgkmcnt(1)
	v_mul_f64 v[32:33], v[2:3], v[20:21]
	v_mul_f64 v[20:21], v[4:5], v[20:21]
	s_waitcnt vmcnt(0) lgkmcnt(0)
	v_mul_f64 v[16:17], v[6:7], v[24:25]
	v_mul_f64 v[24:25], v[8:9], v[24:25]
	v_add_f64 v[10:11], v[12:13], v[10:11]
	v_add_f64 v[12:13], v[30:31], v[36:37]
	v_fma_f64 v[4:5], v[4:5], v[18:19], v[32:33]
	v_fma_f64 v[1:2], v[2:3], v[18:19], -v[20:21]
	v_fma_f64 v[8:9], v[8:9], v[22:23], v[16:17]
	v_fma_f64 v[6:7], v[6:7], v[22:23], -v[24:25]
	v_add_f64 v[10:11], v[10:11], v[14:15]
	v_add_f64 v[12:13], v[12:13], v[28:29]
	s_delay_alu instid0(VALU_DEP_2) | instskip(NEXT) | instid1(VALU_DEP_2)
	v_add_f64 v[1:2], v[10:11], v[1:2]
	v_add_f64 v[3:4], v[12:13], v[4:5]
	s_delay_alu instid0(VALU_DEP_2) | instskip(NEXT) | instid1(VALU_DEP_2)
	;; [unrolled: 3-line block ×3, first 2 shown]
	v_add_f64 v[1:2], v[50:51], -v[1:2]
	v_add_f64 v[3:4], v[52:53], -v[3:4]
	scratch_store_b128 off, v[1:4], off offset:32
	v_cmpx_lt_u32_e32 1, v164
	s_cbranch_execz .LBB58_365
; %bb.364:
	scratch_load_b128 v[1:4], v222, off
	v_mov_b32_e32 v5, 0
	s_delay_alu instid0(VALU_DEP_1)
	v_mov_b32_e32 v6, v5
	v_mov_b32_e32 v7, v5
	;; [unrolled: 1-line block ×3, first 2 shown]
	scratch_store_b128 off, v[5:8], off offset:16
	s_waitcnt vmcnt(0)
	ds_store_b128 v223, v[1:4]
.LBB58_365:
	s_or_b32 exec_lo, exec_lo, s2
	s_clause 0x1
	scratch_store_b32 off, v176, off offset:1084
	scratch_store_b32 off, v174, off offset:1080
	s_waitcnt lgkmcnt(0)
	s_waitcnt_vscnt null, 0x0
	s_barrier
	buffer_gl0_inv
	s_clause 0x7
	scratch_load_b128 v[2:5], off, off offset:32
	scratch_load_b128 v[6:9], off, off offset:48
	;; [unrolled: 1-line block ×8, first 2 shown]
	v_mov_b32_e32 v1, 0
	s_mov_b32 s2, exec_lo
	ds_load_b128 v[38:41], v1 offset:976
	s_clause 0x1
	scratch_load_b128 v[34:37], off, off offset:160
	scratch_load_b128 v[42:45], off, off offset:16
	ds_load_b128 v[50:53], v1 offset:992
	scratch_load_b128 v[54:57], off, off offset:176
	s_waitcnt vmcnt(10) lgkmcnt(1)
	v_mul_f64 v[58:59], v[40:41], v[4:5]
	v_mul_f64 v[4:5], v[38:39], v[4:5]
	s_delay_alu instid0(VALU_DEP_2) | instskip(NEXT) | instid1(VALU_DEP_2)
	v_fma_f64 v[76:77], v[38:39], v[2:3], -v[58:59]
	v_fma_f64 v[80:81], v[40:41], v[2:3], v[4:5]
	scratch_load_b128 v[38:41], off, off offset:192
	ds_load_b128 v[2:5], v1 offset:1008
	s_waitcnt vmcnt(10) lgkmcnt(1)
	v_mul_f64 v[62:63], v[50:51], v[8:9]
	v_mul_f64 v[8:9], v[52:53], v[8:9]
	ds_load_b128 v[58:61], v1 offset:1024
	s_waitcnt vmcnt(9) lgkmcnt(1)
	v_mul_f64 v[165:166], v[2:3], v[12:13]
	v_mul_f64 v[12:13], v[4:5], v[12:13]
	v_fma_f64 v[52:53], v[52:53], v[6:7], v[62:63]
	v_fma_f64 v[50:51], v[50:51], v[6:7], -v[8:9]
	v_add_f64 v[62:63], v[76:77], 0
	v_add_f64 v[76:77], v[80:81], 0
	scratch_load_b128 v[6:9], off, off offset:208
	v_fma_f64 v[165:166], v[4:5], v[10:11], v[165:166]
	v_fma_f64 v[167:168], v[2:3], v[10:11], -v[12:13]
	scratch_load_b128 v[10:13], off, off offset:224
	ds_load_b128 v[2:5], v1 offset:1040
	s_waitcnt vmcnt(10) lgkmcnt(1)
	v_mul_f64 v[80:81], v[58:59], v[16:17]
	v_mul_f64 v[16:17], v[60:61], v[16:17]
	v_add_f64 v[62:63], v[62:63], v[50:51]
	v_add_f64 v[76:77], v[76:77], v[52:53]
	s_waitcnt vmcnt(9) lgkmcnt(0)
	v_mul_f64 v[169:170], v[2:3], v[20:21]
	v_mul_f64 v[20:21], v[4:5], v[20:21]
	ds_load_b128 v[50:53], v1 offset:1056
	v_fma_f64 v[60:61], v[60:61], v[14:15], v[80:81]
	v_fma_f64 v[58:59], v[58:59], v[14:15], -v[16:17]
	scratch_load_b128 v[14:17], off, off offset:240
	v_add_f64 v[62:63], v[62:63], v[167:168]
	v_add_f64 v[76:77], v[76:77], v[165:166]
	v_fma_f64 v[165:166], v[4:5], v[18:19], v[169:170]
	v_fma_f64 v[167:168], v[2:3], v[18:19], -v[20:21]
	scratch_load_b128 v[18:21], off, off offset:256
	ds_load_b128 v[2:5], v1 offset:1072
	s_waitcnt vmcnt(10) lgkmcnt(1)
	v_mul_f64 v[80:81], v[50:51], v[24:25]
	v_mul_f64 v[24:25], v[52:53], v[24:25]
	s_waitcnt vmcnt(9) lgkmcnt(0)
	v_mul_f64 v[169:170], v[2:3], v[28:29]
	v_mul_f64 v[28:29], v[4:5], v[28:29]
	v_add_f64 v[62:63], v[62:63], v[58:59]
	v_add_f64 v[76:77], v[76:77], v[60:61]
	ds_load_b128 v[58:61], v1 offset:1088
	v_fma_f64 v[52:53], v[52:53], v[22:23], v[80:81]
	v_fma_f64 v[50:51], v[50:51], v[22:23], -v[24:25]
	scratch_load_b128 v[22:25], off, off offset:272
	v_add_f64 v[62:63], v[62:63], v[167:168]
	v_add_f64 v[76:77], v[76:77], v[165:166]
	v_fma_f64 v[165:166], v[4:5], v[26:27], v[169:170]
	v_fma_f64 v[167:168], v[2:3], v[26:27], -v[28:29]
	scratch_load_b128 v[26:29], off, off offset:288
	ds_load_b128 v[2:5], v1 offset:1104
	s_waitcnt vmcnt(10) lgkmcnt(1)
	v_mul_f64 v[80:81], v[58:59], v[32:33]
	v_mul_f64 v[32:33], v[60:61], v[32:33]
	s_waitcnt vmcnt(9) lgkmcnt(0)
	v_mul_f64 v[169:170], v[2:3], v[36:37]
	v_mul_f64 v[36:37], v[4:5], v[36:37]
	v_add_f64 v[62:63], v[62:63], v[50:51]
	v_add_f64 v[76:77], v[76:77], v[52:53]
	ds_load_b128 v[50:53], v1 offset:1120
	v_fma_f64 v[60:61], v[60:61], v[30:31], v[80:81]
	v_fma_f64 v[58:59], v[58:59], v[30:31], -v[32:33]
	scratch_load_b128 v[30:33], off, off offset:304
	v_add_f64 v[62:63], v[62:63], v[167:168]
	v_add_f64 v[76:77], v[76:77], v[165:166]
	v_fma_f64 v[167:168], v[4:5], v[34:35], v[169:170]
	v_fma_f64 v[169:170], v[2:3], v[34:35], -v[36:37]
	scratch_load_b128 v[34:37], off, off offset:320
	ds_load_b128 v[2:5], v1 offset:1136
	s_waitcnt vmcnt(9) lgkmcnt(1)
	v_mul_f64 v[80:81], v[50:51], v[56:57]
	v_mul_f64 v[165:166], v[52:53], v[56:57]
	v_add_f64 v[62:63], v[62:63], v[58:59]
	v_add_f64 v[60:61], v[76:77], v[60:61]
	ds_load_b128 v[56:59], v1 offset:1152
	v_fma_f64 v[80:81], v[52:53], v[54:55], v[80:81]
	v_fma_f64 v[54:55], v[50:51], v[54:55], -v[165:166]
	scratch_load_b128 v[50:53], off, off offset:336
	s_waitcnt vmcnt(9) lgkmcnt(1)
	v_mul_f64 v[76:77], v[2:3], v[40:41]
	v_mul_f64 v[40:41], v[4:5], v[40:41]
	v_add_f64 v[62:63], v[62:63], v[169:170]
	v_add_f64 v[60:61], v[60:61], v[167:168]
	s_delay_alu instid0(VALU_DEP_4) | instskip(NEXT) | instid1(VALU_DEP_4)
	v_fma_f64 v[76:77], v[4:5], v[38:39], v[76:77]
	v_fma_f64 v[167:168], v[2:3], v[38:39], -v[40:41]
	scratch_load_b128 v[38:41], off, off offset:352
	ds_load_b128 v[2:5], v1 offset:1168
	s_waitcnt vmcnt(9) lgkmcnt(1)
	v_mul_f64 v[165:166], v[56:57], v[8:9]
	v_mul_f64 v[8:9], v[58:59], v[8:9]
	s_waitcnt vmcnt(8) lgkmcnt(0)
	v_mul_f64 v[169:170], v[2:3], v[12:13]
	v_mul_f64 v[12:13], v[4:5], v[12:13]
	v_add_f64 v[54:55], v[62:63], v[54:55]
	v_add_f64 v[80:81], v[60:61], v[80:81]
	ds_load_b128 v[60:63], v1 offset:1184
	v_fma_f64 v[58:59], v[58:59], v[6:7], v[165:166]
	v_fma_f64 v[56:57], v[56:57], v[6:7], -v[8:9]
	scratch_load_b128 v[6:9], off, off offset:368
	v_fma_f64 v[165:166], v[4:5], v[10:11], v[169:170]
	v_add_f64 v[54:55], v[54:55], v[167:168]
	v_add_f64 v[76:77], v[80:81], v[76:77]
	v_fma_f64 v[167:168], v[2:3], v[10:11], -v[12:13]
	scratch_load_b128 v[10:13], off, off offset:384
	ds_load_b128 v[2:5], v1 offset:1200
	s_waitcnt vmcnt(9) lgkmcnt(1)
	v_mul_f64 v[80:81], v[60:61], v[16:17]
	v_mul_f64 v[16:17], v[62:63], v[16:17]
	v_add_f64 v[169:170], v[54:55], v[56:57]
	v_add_f64 v[58:59], v[76:77], v[58:59]
	s_waitcnt vmcnt(8) lgkmcnt(0)
	v_mul_f64 v[76:77], v[2:3], v[20:21]
	v_mul_f64 v[20:21], v[4:5], v[20:21]
	ds_load_b128 v[54:57], v1 offset:1216
	v_fma_f64 v[62:63], v[62:63], v[14:15], v[80:81]
	v_fma_f64 v[60:61], v[60:61], v[14:15], -v[16:17]
	scratch_load_b128 v[14:17], off, off offset:400
	v_add_f64 v[80:81], v[169:170], v[167:168]
	v_add_f64 v[58:59], v[58:59], v[165:166]
	v_fma_f64 v[76:77], v[4:5], v[18:19], v[76:77]
	v_fma_f64 v[167:168], v[2:3], v[18:19], -v[20:21]
	scratch_load_b128 v[18:21], off, off offset:416
	ds_load_b128 v[2:5], v1 offset:1232
	s_waitcnt vmcnt(9) lgkmcnt(1)
	v_mul_f64 v[165:166], v[54:55], v[24:25]
	v_mul_f64 v[24:25], v[56:57], v[24:25]
	s_waitcnt vmcnt(8) lgkmcnt(0)
	v_mul_f64 v[169:170], v[2:3], v[28:29]
	v_mul_f64 v[28:29], v[4:5], v[28:29]
	v_add_f64 v[80:81], v[80:81], v[60:61]
	v_add_f64 v[62:63], v[58:59], v[62:63]
	ds_load_b128 v[58:61], v1 offset:1248
	v_fma_f64 v[56:57], v[56:57], v[22:23], v[165:166]
	v_fma_f64 v[54:55], v[54:55], v[22:23], -v[24:25]
	scratch_load_b128 v[22:25], off, off offset:432
	v_fma_f64 v[165:166], v[4:5], v[26:27], v[169:170]
	v_add_f64 v[80:81], v[80:81], v[167:168]
	v_add_f64 v[62:63], v[62:63], v[76:77]
	v_fma_f64 v[167:168], v[2:3], v[26:27], -v[28:29]
	scratch_load_b128 v[26:29], off, off offset:448
	ds_load_b128 v[2:5], v1 offset:1264
	s_waitcnt vmcnt(9) lgkmcnt(1)
	v_mul_f64 v[76:77], v[58:59], v[32:33]
	v_mul_f64 v[32:33], v[60:61], v[32:33]
	s_waitcnt vmcnt(8) lgkmcnt(0)
	v_mul_f64 v[169:170], v[2:3], v[36:37]
	v_mul_f64 v[36:37], v[4:5], v[36:37]
	v_add_f64 v[80:81], v[80:81], v[54:55]
	v_add_f64 v[62:63], v[62:63], v[56:57]
	ds_load_b128 v[54:57], v1 offset:1280
	v_fma_f64 v[60:61], v[60:61], v[30:31], v[76:77]
	v_fma_f64 v[58:59], v[58:59], v[30:31], -v[32:33]
	scratch_load_b128 v[30:33], off, off offset:464
	v_add_f64 v[76:77], v[80:81], v[167:168]
	v_add_f64 v[62:63], v[62:63], v[165:166]
	v_fma_f64 v[165:166], v[4:5], v[34:35], v[169:170]
	v_fma_f64 v[167:168], v[2:3], v[34:35], -v[36:37]
	scratch_load_b128 v[34:37], off, off offset:480
	ds_load_b128 v[2:5], v1 offset:1296
	s_waitcnt vmcnt(9) lgkmcnt(1)
	v_mul_f64 v[80:81], v[54:55], v[52:53]
	v_mul_f64 v[52:53], v[56:57], v[52:53]
	s_waitcnt vmcnt(8) lgkmcnt(0)
	v_mul_f64 v[169:170], v[2:3], v[40:41]
	v_mul_f64 v[40:41], v[4:5], v[40:41]
	v_add_f64 v[76:77], v[76:77], v[58:59]
	v_add_f64 v[62:63], v[62:63], v[60:61]
	ds_load_b128 v[58:61], v1 offset:1312
	v_fma_f64 v[56:57], v[56:57], v[50:51], v[80:81]
	v_fma_f64 v[54:55], v[54:55], v[50:51], -v[52:53]
	scratch_load_b128 v[50:53], off, off offset:496
	v_add_f64 v[76:77], v[76:77], v[167:168]
	v_add_f64 v[62:63], v[62:63], v[165:166]
	v_fma_f64 v[165:166], v[4:5], v[38:39], v[169:170]
	;; [unrolled: 18-line block ×6, first 2 shown]
	v_fma_f64 v[169:170], v[2:3], v[34:35], -v[36:37]
	scratch_load_b128 v[34:37], off, off offset:640
	ds_load_b128 v[2:5], v1 offset:1456
	s_waitcnt vmcnt(9) lgkmcnt(1)
	v_mul_f64 v[80:81], v[58:59], v[52:53]
	v_mul_f64 v[165:166], v[60:61], v[52:53]
	v_add_f64 v[76:77], v[76:77], v[54:55]
	v_add_f64 v[56:57], v[62:63], v[56:57]
	s_waitcnt vmcnt(8) lgkmcnt(0)
	v_mul_f64 v[62:63], v[2:3], v[40:41]
	v_mul_f64 v[40:41], v[4:5], v[40:41]
	ds_load_b128 v[52:55], v1 offset:1472
	v_fma_f64 v[60:61], v[60:61], v[50:51], v[80:81]
	v_fma_f64 v[50:51], v[58:59], v[50:51], -v[165:166]
	v_add_f64 v[76:77], v[76:77], v[169:170]
	v_add_f64 v[80:81], v[56:57], v[167:168]
	scratch_load_b128 v[56:59], off, off offset:656
	v_fma_f64 v[167:168], v[4:5], v[38:39], v[62:63]
	v_fma_f64 v[169:170], v[2:3], v[38:39], -v[40:41]
	scratch_load_b128 v[38:41], off, off offset:672
	ds_load_b128 v[2:5], v1 offset:1488
	s_waitcnt vmcnt(9) lgkmcnt(1)
	v_mul_f64 v[165:166], v[52:53], v[8:9]
	v_mul_f64 v[8:9], v[54:55], v[8:9]
	v_add_f64 v[50:51], v[76:77], v[50:51]
	v_add_f64 v[76:77], v[80:81], v[60:61]
	s_waitcnt vmcnt(8) lgkmcnt(0)
	v_mul_f64 v[80:81], v[2:3], v[12:13]
	v_mul_f64 v[12:13], v[4:5], v[12:13]
	ds_load_b128 v[60:63], v1 offset:1504
	v_fma_f64 v[54:55], v[54:55], v[6:7], v[165:166]
	v_fma_f64 v[52:53], v[52:53], v[6:7], -v[8:9]
	scratch_load_b128 v[6:9], off, off offset:688
	v_add_f64 v[50:51], v[50:51], v[169:170]
	v_add_f64 v[76:77], v[76:77], v[167:168]
	v_fma_f64 v[80:81], v[4:5], v[10:11], v[80:81]
	v_fma_f64 v[167:168], v[2:3], v[10:11], -v[12:13]
	scratch_load_b128 v[10:13], off, off offset:704
	ds_load_b128 v[2:5], v1 offset:1520
	s_waitcnt vmcnt(9) lgkmcnt(1)
	v_mul_f64 v[165:166], v[60:61], v[16:17]
	v_mul_f64 v[16:17], v[62:63], v[16:17]
	v_add_f64 v[169:170], v[50:51], v[52:53]
	v_add_f64 v[54:55], v[76:77], v[54:55]
	s_waitcnt vmcnt(8) lgkmcnt(0)
	v_mul_f64 v[76:77], v[2:3], v[20:21]
	v_mul_f64 v[20:21], v[4:5], v[20:21]
	ds_load_b128 v[50:53], v1 offset:1536
	v_fma_f64 v[62:63], v[62:63], v[14:15], v[165:166]
	v_fma_f64 v[60:61], v[60:61], v[14:15], -v[16:17]
	scratch_load_b128 v[14:17], off, off offset:720
	v_add_f64 v[165:166], v[169:170], v[167:168]
	v_add_f64 v[54:55], v[54:55], v[80:81]
	v_fma_f64 v[76:77], v[4:5], v[18:19], v[76:77]
	v_fma_f64 v[167:168], v[2:3], v[18:19], -v[20:21]
	scratch_load_b128 v[18:21], off, off offset:736
	ds_load_b128 v[2:5], v1 offset:1552
	s_waitcnt vmcnt(9) lgkmcnt(1)
	v_mul_f64 v[80:81], v[50:51], v[24:25]
	v_mul_f64 v[24:25], v[52:53], v[24:25]
	s_waitcnt vmcnt(8) lgkmcnt(0)
	v_mul_f64 v[169:170], v[2:3], v[28:29]
	v_mul_f64 v[28:29], v[4:5], v[28:29]
	v_add_f64 v[165:166], v[165:166], v[60:61]
	v_add_f64 v[54:55], v[54:55], v[62:63]
	ds_load_b128 v[60:63], v1 offset:1568
	v_fma_f64 v[52:53], v[52:53], v[22:23], v[80:81]
	v_fma_f64 v[50:51], v[50:51], v[22:23], -v[24:25]
	scratch_load_b128 v[22:25], off, off offset:752
	v_add_f64 v[80:81], v[165:166], v[167:168]
	v_add_f64 v[54:55], v[54:55], v[76:77]
	v_fma_f64 v[165:166], v[4:5], v[26:27], v[169:170]
	v_fma_f64 v[167:168], v[2:3], v[26:27], -v[28:29]
	scratch_load_b128 v[26:29], off, off offset:768
	ds_load_b128 v[2:5], v1 offset:1584
	s_waitcnt vmcnt(9) lgkmcnt(1)
	v_mul_f64 v[76:77], v[60:61], v[32:33]
	v_mul_f64 v[32:33], v[62:63], v[32:33]
	s_waitcnt vmcnt(8) lgkmcnt(0)
	v_mul_f64 v[169:170], v[2:3], v[36:37]
	v_mul_f64 v[36:37], v[4:5], v[36:37]
	v_add_f64 v[80:81], v[80:81], v[50:51]
	v_add_f64 v[54:55], v[54:55], v[52:53]
	ds_load_b128 v[50:53], v1 offset:1600
	v_fma_f64 v[62:63], v[62:63], v[30:31], v[76:77]
	v_fma_f64 v[60:61], v[60:61], v[30:31], -v[32:33]
	scratch_load_b128 v[30:33], off, off offset:784
	v_add_f64 v[76:77], v[80:81], v[167:168]
	v_add_f64 v[54:55], v[54:55], v[165:166]
	v_fma_f64 v[167:168], v[4:5], v[34:35], v[169:170]
	v_fma_f64 v[169:170], v[2:3], v[34:35], -v[36:37]
	scratch_load_b128 v[34:37], off, off offset:800
	ds_load_b128 v[2:5], v1 offset:1616
	s_waitcnt vmcnt(9) lgkmcnt(1)
	v_mul_f64 v[80:81], v[50:51], v[58:59]
	v_mul_f64 v[165:166], v[52:53], v[58:59]
	v_add_f64 v[76:77], v[76:77], v[60:61]
	v_add_f64 v[54:55], v[54:55], v[62:63]
	s_waitcnt vmcnt(8) lgkmcnt(0)
	v_mul_f64 v[62:63], v[2:3], v[40:41]
	v_mul_f64 v[40:41], v[4:5], v[40:41]
	ds_load_b128 v[58:61], v1 offset:1632
	v_fma_f64 v[80:81], v[52:53], v[56:57], v[80:81]
	v_fma_f64 v[56:57], v[50:51], v[56:57], -v[165:166]
	scratch_load_b128 v[50:53], off, off offset:816
	v_add_f64 v[76:77], v[76:77], v[169:170]
	v_add_f64 v[54:55], v[54:55], v[167:168]
	v_fma_f64 v[62:63], v[4:5], v[38:39], v[62:63]
	v_fma_f64 v[167:168], v[2:3], v[38:39], -v[40:41]
	scratch_load_b128 v[38:41], off, off offset:832
	ds_load_b128 v[2:5], v1 offset:1648
	s_waitcnt vmcnt(9) lgkmcnt(1)
	v_mul_f64 v[165:166], v[58:59], v[8:9]
	v_mul_f64 v[8:9], v[60:61], v[8:9]
	s_waitcnt vmcnt(8) lgkmcnt(0)
	v_mul_f64 v[169:170], v[2:3], v[12:13]
	v_mul_f64 v[12:13], v[4:5], v[12:13]
	v_add_f64 v[76:77], v[76:77], v[56:57]
	v_add_f64 v[80:81], v[54:55], v[80:81]
	ds_load_b128 v[54:57], v1 offset:1664
	v_fma_f64 v[60:61], v[60:61], v[6:7], v[165:166]
	v_fma_f64 v[58:59], v[58:59], v[6:7], -v[8:9]
	scratch_load_b128 v[6:9], off, off offset:848
	v_fma_f64 v[165:166], v[4:5], v[10:11], v[169:170]
	v_add_f64 v[76:77], v[76:77], v[167:168]
	v_add_f64 v[62:63], v[80:81], v[62:63]
	v_fma_f64 v[167:168], v[2:3], v[10:11], -v[12:13]
	scratch_load_b128 v[10:13], off, off offset:864
	ds_load_b128 v[2:5], v1 offset:1680
	s_waitcnt vmcnt(9) lgkmcnt(1)
	v_mul_f64 v[80:81], v[54:55], v[16:17]
	v_mul_f64 v[16:17], v[56:57], v[16:17]
	s_waitcnt vmcnt(8) lgkmcnt(0)
	v_mul_f64 v[169:170], v[2:3], v[20:21]
	v_mul_f64 v[20:21], v[4:5], v[20:21]
	v_add_f64 v[76:77], v[76:77], v[58:59]
	v_add_f64 v[62:63], v[62:63], v[60:61]
	ds_load_b128 v[58:61], v1 offset:1696
	v_fma_f64 v[56:57], v[56:57], v[14:15], v[80:81]
	v_fma_f64 v[54:55], v[54:55], v[14:15], -v[16:17]
	scratch_load_b128 v[14:17], off, off offset:880
	v_add_f64 v[76:77], v[76:77], v[167:168]
	v_add_f64 v[62:63], v[62:63], v[165:166]
	v_fma_f64 v[165:166], v[4:5], v[18:19], v[169:170]
	v_fma_f64 v[167:168], v[2:3], v[18:19], -v[20:21]
	scratch_load_b128 v[18:21], off, off offset:896
	ds_load_b128 v[2:5], v1 offset:1712
	s_waitcnt vmcnt(9) lgkmcnt(1)
	v_mul_f64 v[80:81], v[58:59], v[24:25]
	v_mul_f64 v[24:25], v[60:61], v[24:25]
	s_waitcnt vmcnt(8) lgkmcnt(0)
	v_mul_f64 v[169:170], v[2:3], v[28:29]
	v_mul_f64 v[28:29], v[4:5], v[28:29]
	v_add_f64 v[76:77], v[76:77], v[54:55]
	v_add_f64 v[62:63], v[62:63], v[56:57]
	ds_load_b128 v[54:57], v1 offset:1728
	v_fma_f64 v[60:61], v[60:61], v[22:23], v[80:81]
	v_fma_f64 v[58:59], v[58:59], v[22:23], -v[24:25]
	scratch_load_b128 v[22:25], off, off offset:912
	v_add_f64 v[76:77], v[76:77], v[167:168]
	v_add_f64 v[62:63], v[62:63], v[165:166]
	v_fma_f64 v[165:166], v[4:5], v[26:27], v[169:170]
	v_fma_f64 v[167:168], v[2:3], v[26:27], -v[28:29]
	scratch_load_b128 v[26:29], off, off offset:928
	ds_load_b128 v[2:5], v1 offset:1744
	s_waitcnt vmcnt(9) lgkmcnt(1)
	v_mul_f64 v[80:81], v[54:55], v[32:33]
	v_mul_f64 v[32:33], v[56:57], v[32:33]
	s_waitcnt vmcnt(8) lgkmcnt(0)
	v_mul_f64 v[169:170], v[2:3], v[36:37]
	v_mul_f64 v[36:37], v[4:5], v[36:37]
	v_add_f64 v[76:77], v[76:77], v[58:59]
	v_add_f64 v[62:63], v[62:63], v[60:61]
	ds_load_b128 v[58:61], v1 offset:1760
	v_fma_f64 v[56:57], v[56:57], v[30:31], v[80:81]
	v_fma_f64 v[30:31], v[54:55], v[30:31], -v[32:33]
	v_add_f64 v[32:33], v[76:77], v[167:168]
	v_add_f64 v[54:55], v[62:63], v[165:166]
	s_waitcnt vmcnt(7) lgkmcnt(0)
	v_mul_f64 v[62:63], v[58:59], v[52:53]
	v_mul_f64 v[52:53], v[60:61], v[52:53]
	v_fma_f64 v[76:77], v[4:5], v[34:35], v[169:170]
	v_fma_f64 v[34:35], v[2:3], v[34:35], -v[36:37]
	v_add_f64 v[36:37], v[32:33], v[30:31]
	v_add_f64 v[54:55], v[54:55], v[56:57]
	ds_load_b128 v[2:5], v1 offset:1776
	ds_load_b128 v[30:33], v1 offset:1792
	v_fma_f64 v[60:61], v[60:61], v[50:51], v[62:63]
	v_fma_f64 v[50:51], v[58:59], v[50:51], -v[52:53]
	s_waitcnt vmcnt(6) lgkmcnt(1)
	v_mul_f64 v[56:57], v[2:3], v[40:41]
	v_mul_f64 v[40:41], v[4:5], v[40:41]
	s_waitcnt vmcnt(5) lgkmcnt(0)
	v_mul_f64 v[52:53], v[30:31], v[8:9]
	v_mul_f64 v[8:9], v[32:33], v[8:9]
	v_add_f64 v[34:35], v[36:37], v[34:35]
	v_add_f64 v[36:37], v[54:55], v[76:77]
	v_fma_f64 v[54:55], v[4:5], v[38:39], v[56:57]
	v_fma_f64 v[38:39], v[2:3], v[38:39], -v[40:41]
	v_fma_f64 v[32:33], v[32:33], v[6:7], v[52:53]
	v_fma_f64 v[6:7], v[30:31], v[6:7], -v[8:9]
	v_add_f64 v[40:41], v[34:35], v[50:51]
	v_add_f64 v[50:51], v[36:37], v[60:61]
	ds_load_b128 v[2:5], v1 offset:1808
	ds_load_b128 v[34:37], v1 offset:1824
	s_waitcnt vmcnt(4) lgkmcnt(1)
	v_mul_f64 v[56:57], v[2:3], v[12:13]
	v_mul_f64 v[12:13], v[4:5], v[12:13]
	v_add_f64 v[8:9], v[40:41], v[38:39]
	v_add_f64 v[30:31], v[50:51], v[54:55]
	s_waitcnt vmcnt(3) lgkmcnt(0)
	v_mul_f64 v[38:39], v[34:35], v[16:17]
	v_mul_f64 v[16:17], v[36:37], v[16:17]
	v_fma_f64 v[40:41], v[4:5], v[10:11], v[56:57]
	v_fma_f64 v[10:11], v[2:3], v[10:11], -v[12:13]
	v_add_f64 v[12:13], v[8:9], v[6:7]
	v_add_f64 v[30:31], v[30:31], v[32:33]
	ds_load_b128 v[2:5], v1 offset:1840
	ds_load_b128 v[6:9], v1 offset:1856
	v_fma_f64 v[36:37], v[36:37], v[14:15], v[38:39]
	v_fma_f64 v[14:15], v[34:35], v[14:15], -v[16:17]
	s_waitcnt vmcnt(2) lgkmcnt(1)
	v_mul_f64 v[32:33], v[2:3], v[20:21]
	v_mul_f64 v[20:21], v[4:5], v[20:21]
	s_waitcnt vmcnt(1) lgkmcnt(0)
	v_mul_f64 v[16:17], v[6:7], v[24:25]
	v_mul_f64 v[24:25], v[8:9], v[24:25]
	v_add_f64 v[10:11], v[12:13], v[10:11]
	v_add_f64 v[12:13], v[30:31], v[40:41]
	v_fma_f64 v[30:31], v[4:5], v[18:19], v[32:33]
	v_fma_f64 v[18:19], v[2:3], v[18:19], -v[20:21]
	ds_load_b128 v[2:5], v1 offset:1872
	v_fma_f64 v[8:9], v[8:9], v[22:23], v[16:17]
	v_fma_f64 v[6:7], v[6:7], v[22:23], -v[24:25]
	v_add_f64 v[10:11], v[10:11], v[14:15]
	v_add_f64 v[12:13], v[12:13], v[36:37]
	s_waitcnt vmcnt(0) lgkmcnt(0)
	v_mul_f64 v[14:15], v[2:3], v[28:29]
	v_mul_f64 v[20:21], v[4:5], v[28:29]
	s_delay_alu instid0(VALU_DEP_4) | instskip(NEXT) | instid1(VALU_DEP_4)
	v_add_f64 v[10:11], v[10:11], v[18:19]
	v_add_f64 v[12:13], v[12:13], v[30:31]
	s_delay_alu instid0(VALU_DEP_4) | instskip(NEXT) | instid1(VALU_DEP_4)
	v_fma_f64 v[4:5], v[4:5], v[26:27], v[14:15]
	v_fma_f64 v[2:3], v[2:3], v[26:27], -v[20:21]
	s_delay_alu instid0(VALU_DEP_4) | instskip(NEXT) | instid1(VALU_DEP_4)
	v_add_f64 v[6:7], v[10:11], v[6:7]
	v_add_f64 v[8:9], v[12:13], v[8:9]
	s_delay_alu instid0(VALU_DEP_2) | instskip(NEXT) | instid1(VALU_DEP_2)
	v_add_f64 v[2:3], v[6:7], v[2:3]
	v_add_f64 v[4:5], v[8:9], v[4:5]
	s_delay_alu instid0(VALU_DEP_2) | instskip(NEXT) | instid1(VALU_DEP_2)
	v_add_f64 v[2:3], v[42:43], -v[2:3]
	v_add_f64 v[4:5], v[44:45], -v[4:5]
	scratch_store_b128 off, v[2:5], off offset:16
	v_cmpx_ne_u32_e32 0, v164
	s_cbranch_execz .LBB58_367
; %bb.366:
	scratch_load_b128 v[5:8], off, off
	v_mov_b32_e32 v2, v1
	v_mov_b32_e32 v3, v1
	;; [unrolled: 1-line block ×3, first 2 shown]
	scratch_store_b128 off, v[1:4], off
	s_waitcnt vmcnt(0)
	ds_store_b128 v223, v[5:8]
.LBB58_367:
	s_or_b32 exec_lo, exec_lo, s2
	s_waitcnt lgkmcnt(0)
	s_waitcnt_vscnt null, 0x0
	s_barrier
	buffer_gl0_inv
	s_clause 0x8
	scratch_load_b128 v[2:5], off, off offset:16
	scratch_load_b128 v[6:9], off, off offset:32
	;; [unrolled: 1-line block ×9, first 2 shown]
	ds_load_b128 v[42:45], v1 offset:960
	ds_load_b128 v[38:41], v1 offset:976
	s_clause 0x1
	scratch_load_b128 v[50:53], off, off
	scratch_load_b128 v[54:57], off, off offset:160
	v_mov_b32_e32 v190, v173
	s_and_b32 vcc_lo, exec_lo, s20
	s_waitcnt vmcnt(10) lgkmcnt(1)
	v_mul_f64 v[58:59], v[44:45], v[4:5]
	v_mul_f64 v[4:5], v[42:43], v[4:5]
	s_waitcnt vmcnt(9) lgkmcnt(0)
	v_mul_f64 v[62:63], v[38:39], v[8:9]
	v_mul_f64 v[8:9], v[40:41], v[8:9]
	s_delay_alu instid0(VALU_DEP_4) | instskip(NEXT) | instid1(VALU_DEP_4)
	v_fma_f64 v[76:77], v[42:43], v[2:3], -v[58:59]
	v_fma_f64 v[80:81], v[44:45], v[2:3], v[4:5]
	ds_load_b128 v[2:5], v1 offset:992
	ds_load_b128 v[58:61], v1 offset:1008
	scratch_load_b128 v[42:45], off, off offset:176
	v_fma_f64 v[40:41], v[40:41], v[6:7], v[62:63]
	v_fma_f64 v[38:39], v[38:39], v[6:7], -v[8:9]
	scratch_load_b128 v[6:9], off, off offset:192
	s_waitcnt vmcnt(10) lgkmcnt(1)
	v_mul_f64 v[165:166], v[2:3], v[12:13]
	v_mul_f64 v[12:13], v[4:5], v[12:13]
	v_add_f64 v[62:63], v[76:77], 0
	v_add_f64 v[76:77], v[80:81], 0
	s_waitcnt vmcnt(9) lgkmcnt(0)
	v_mul_f64 v[80:81], v[58:59], v[16:17]
	v_mul_f64 v[16:17], v[60:61], v[16:17]
	v_fma_f64 v[165:166], v[4:5], v[10:11], v[165:166]
	v_fma_f64 v[167:168], v[2:3], v[10:11], -v[12:13]
	ds_load_b128 v[2:5], v1 offset:1024
	scratch_load_b128 v[10:13], off, off offset:208
	v_add_f64 v[62:63], v[62:63], v[38:39]
	v_add_f64 v[76:77], v[76:77], v[40:41]
	ds_load_b128 v[38:41], v1 offset:1040
	v_fma_f64 v[60:61], v[60:61], v[14:15], v[80:81]
	v_fma_f64 v[58:59], v[58:59], v[14:15], -v[16:17]
	scratch_load_b128 v[14:17], off, off offset:224
	s_waitcnt vmcnt(10) lgkmcnt(1)
	v_mul_f64 v[169:170], v[2:3], v[20:21]
	v_mul_f64 v[20:21], v[4:5], v[20:21]
	s_waitcnt vmcnt(9) lgkmcnt(0)
	v_mul_f64 v[80:81], v[38:39], v[24:25]
	v_mul_f64 v[24:25], v[40:41], v[24:25]
	v_add_f64 v[62:63], v[62:63], v[167:168]
	v_add_f64 v[76:77], v[76:77], v[165:166]
	v_fma_f64 v[165:166], v[4:5], v[18:19], v[169:170]
	v_fma_f64 v[167:168], v[2:3], v[18:19], -v[20:21]
	ds_load_b128 v[2:5], v1 offset:1056
	scratch_load_b128 v[18:21], off, off offset:240
	v_fma_f64 v[40:41], v[40:41], v[22:23], v[80:81]
	v_fma_f64 v[38:39], v[38:39], v[22:23], -v[24:25]
	scratch_load_b128 v[22:25], off, off offset:256
	v_add_f64 v[62:63], v[62:63], v[58:59]
	v_add_f64 v[76:77], v[76:77], v[60:61]
	ds_load_b128 v[58:61], v1 offset:1072
	s_waitcnt vmcnt(10) lgkmcnt(1)
	v_mul_f64 v[169:170], v[2:3], v[28:29]
	v_mul_f64 v[28:29], v[4:5], v[28:29]
	s_waitcnt vmcnt(9) lgkmcnt(0)
	v_mul_f64 v[80:81], v[58:59], v[32:33]
	v_mul_f64 v[32:33], v[60:61], v[32:33]
	v_add_f64 v[62:63], v[62:63], v[167:168]
	v_add_f64 v[76:77], v[76:77], v[165:166]
	v_fma_f64 v[165:166], v[4:5], v[26:27], v[169:170]
	v_fma_f64 v[167:168], v[2:3], v[26:27], -v[28:29]
	ds_load_b128 v[2:5], v1 offset:1088
	scratch_load_b128 v[26:29], off, off offset:272
	v_fma_f64 v[60:61], v[60:61], v[30:31], v[80:81]
	v_fma_f64 v[58:59], v[58:59], v[30:31], -v[32:33]
	scratch_load_b128 v[30:33], off, off offset:288
	v_add_f64 v[62:63], v[62:63], v[38:39]
	v_add_f64 v[76:77], v[76:77], v[40:41]
	ds_load_b128 v[38:41], v1 offset:1104
	s_waitcnt vmcnt(10) lgkmcnt(1)
	v_mul_f64 v[169:170], v[2:3], v[36:37]
	v_mul_f64 v[36:37], v[4:5], v[36:37]
	s_waitcnt vmcnt(8) lgkmcnt(0)
	v_mul_f64 v[80:81], v[38:39], v[56:57]
	v_add_f64 v[62:63], v[62:63], v[167:168]
	v_add_f64 v[76:77], v[76:77], v[165:166]
	v_mul_f64 v[165:166], v[40:41], v[56:57]
	v_fma_f64 v[167:168], v[4:5], v[34:35], v[169:170]
	v_fma_f64 v[169:170], v[2:3], v[34:35], -v[36:37]
	ds_load_b128 v[2:5], v1 offset:1120
	scratch_load_b128 v[34:37], off, off offset:304
	v_fma_f64 v[80:81], v[40:41], v[54:55], v[80:81]
	v_add_f64 v[62:63], v[62:63], v[58:59]
	v_add_f64 v[60:61], v[76:77], v[60:61]
	ds_load_b128 v[56:59], v1 offset:1136
	v_fma_f64 v[54:55], v[38:39], v[54:55], -v[165:166]
	scratch_load_b128 v[38:41], off, off offset:320
	s_waitcnt vmcnt(9) lgkmcnt(1)
	v_mul_f64 v[76:77], v[2:3], v[44:45]
	v_mul_f64 v[44:45], v[4:5], v[44:45]
	s_waitcnt vmcnt(8) lgkmcnt(0)
	v_mul_f64 v[165:166], v[56:57], v[8:9]
	v_mul_f64 v[8:9], v[58:59], v[8:9]
	v_add_f64 v[62:63], v[62:63], v[169:170]
	v_add_f64 v[60:61], v[60:61], v[167:168]
	v_fma_f64 v[76:77], v[4:5], v[42:43], v[76:77]
	v_fma_f64 v[167:168], v[2:3], v[42:43], -v[44:45]
	ds_load_b128 v[2:5], v1 offset:1152
	scratch_load_b128 v[42:45], off, off offset:336
	v_fma_f64 v[58:59], v[58:59], v[6:7], v[165:166]
	v_fma_f64 v[56:57], v[56:57], v[6:7], -v[8:9]
	scratch_load_b128 v[6:9], off, off offset:352
	v_add_f64 v[54:55], v[62:63], v[54:55]
	v_add_f64 v[80:81], v[60:61], v[80:81]
	ds_load_b128 v[60:63], v1 offset:1168
	s_waitcnt vmcnt(9) lgkmcnt(1)
	v_mul_f64 v[169:170], v[2:3], v[12:13]
	v_mul_f64 v[12:13], v[4:5], v[12:13]
	v_add_f64 v[54:55], v[54:55], v[167:168]
	v_add_f64 v[76:77], v[80:81], v[76:77]
	s_waitcnt vmcnt(8) lgkmcnt(0)
	v_mul_f64 v[80:81], v[60:61], v[16:17]
	v_mul_f64 v[16:17], v[62:63], v[16:17]
	v_fma_f64 v[165:166], v[4:5], v[10:11], v[169:170]
	v_fma_f64 v[167:168], v[2:3], v[10:11], -v[12:13]
	ds_load_b128 v[2:5], v1 offset:1184
	scratch_load_b128 v[10:13], off, off offset:368
	v_add_f64 v[169:170], v[54:55], v[56:57]
	v_add_f64 v[58:59], v[76:77], v[58:59]
	ds_load_b128 v[54:57], v1 offset:1200
	s_waitcnt vmcnt(8) lgkmcnt(1)
	v_mul_f64 v[76:77], v[2:3], v[20:21]
	v_mul_f64 v[20:21], v[4:5], v[20:21]
	v_fma_f64 v[62:63], v[62:63], v[14:15], v[80:81]
	v_fma_f64 v[60:61], v[60:61], v[14:15], -v[16:17]
	scratch_load_b128 v[14:17], off, off offset:384
	v_add_f64 v[80:81], v[169:170], v[167:168]
	v_add_f64 v[58:59], v[58:59], v[165:166]
	s_waitcnt vmcnt(8) lgkmcnt(0)
	v_mul_f64 v[165:166], v[54:55], v[24:25]
	v_mul_f64 v[24:25], v[56:57], v[24:25]
	v_fma_f64 v[76:77], v[4:5], v[18:19], v[76:77]
	v_fma_f64 v[167:168], v[2:3], v[18:19], -v[20:21]
	ds_load_b128 v[2:5], v1 offset:1216
	scratch_load_b128 v[18:21], off, off offset:400
	v_add_f64 v[80:81], v[80:81], v[60:61]
	v_add_f64 v[62:63], v[58:59], v[62:63]
	ds_load_b128 v[58:61], v1 offset:1232
	s_waitcnt vmcnt(8) lgkmcnt(1)
	v_mul_f64 v[169:170], v[2:3], v[28:29]
	v_mul_f64 v[28:29], v[4:5], v[28:29]
	v_fma_f64 v[56:57], v[56:57], v[22:23], v[165:166]
	v_fma_f64 v[54:55], v[54:55], v[22:23], -v[24:25]
	scratch_load_b128 v[22:25], off, off offset:416
	;; [unrolled: 18-line block ×4, first 2 shown]
	s_waitcnt vmcnt(8) lgkmcnt(0)
	v_mul_f64 v[80:81], v[58:59], v[8:9]
	v_mul_f64 v[8:9], v[60:61], v[8:9]
	v_add_f64 v[76:77], v[76:77], v[167:168]
	v_add_f64 v[62:63], v[62:63], v[165:166]
	v_fma_f64 v[165:166], v[4:5], v[42:43], v[169:170]
	v_fma_f64 v[167:168], v[2:3], v[42:43], -v[44:45]
	ds_load_b128 v[2:5], v1 offset:1312
	scratch_load_b128 v[42:45], off, off offset:496
	v_fma_f64 v[60:61], v[60:61], v[6:7], v[80:81]
	v_fma_f64 v[58:59], v[58:59], v[6:7], -v[8:9]
	scratch_load_b128 v[6:9], off, off offset:512
	v_add_f64 v[76:77], v[76:77], v[54:55]
	v_add_f64 v[62:63], v[62:63], v[56:57]
	ds_load_b128 v[54:57], v1 offset:1328
	s_waitcnt vmcnt(9) lgkmcnt(1)
	v_mul_f64 v[169:170], v[2:3], v[12:13]
	v_mul_f64 v[12:13], v[4:5], v[12:13]
	s_waitcnt vmcnt(8) lgkmcnt(0)
	v_mul_f64 v[80:81], v[54:55], v[16:17]
	v_mul_f64 v[16:17], v[56:57], v[16:17]
	v_add_f64 v[76:77], v[76:77], v[167:168]
	v_add_f64 v[62:63], v[62:63], v[165:166]
	v_fma_f64 v[165:166], v[4:5], v[10:11], v[169:170]
	v_fma_f64 v[167:168], v[2:3], v[10:11], -v[12:13]
	ds_load_b128 v[2:5], v1 offset:1344
	scratch_load_b128 v[10:13], off, off offset:528
	v_fma_f64 v[56:57], v[56:57], v[14:15], v[80:81]
	v_fma_f64 v[54:55], v[54:55], v[14:15], -v[16:17]
	scratch_load_b128 v[14:17], off, off offset:544
	v_add_f64 v[76:77], v[76:77], v[58:59]
	v_add_f64 v[62:63], v[62:63], v[60:61]
	ds_load_b128 v[58:61], v1 offset:1360
	s_waitcnt vmcnt(9) lgkmcnt(1)
	v_mul_f64 v[169:170], v[2:3], v[20:21]
	v_mul_f64 v[20:21], v[4:5], v[20:21]
	;; [unrolled: 18-line block ×14, first 2 shown]
	s_waitcnt vmcnt(8) lgkmcnt(0)
	v_mul_f64 v[80:81], v[58:59], v[40:41]
	v_mul_f64 v[40:41], v[60:61], v[40:41]
	v_add_f64 v[76:77], v[76:77], v[167:168]
	v_add_f64 v[62:63], v[62:63], v[165:166]
	v_fma_f64 v[165:166], v[4:5], v[34:35], v[169:170]
	v_fma_f64 v[167:168], v[2:3], v[34:35], -v[36:37]
	ds_load_b128 v[2:5], v1 offset:1760
	ds_load_b128 v[34:37], v1 offset:1776
	v_fma_f64 v[60:61], v[60:61], v[38:39], v[80:81]
	v_fma_f64 v[38:39], v[58:59], v[38:39], -v[40:41]
	v_add_f64 v[54:55], v[76:77], v[54:55]
	v_add_f64 v[56:57], v[62:63], v[56:57]
	s_waitcnt vmcnt(7) lgkmcnt(1)
	v_mul_f64 v[62:63], v[2:3], v[44:45]
	v_mul_f64 v[44:45], v[4:5], v[44:45]
	s_delay_alu instid0(VALU_DEP_4) | instskip(NEXT) | instid1(VALU_DEP_4)
	v_add_f64 v[40:41], v[54:55], v[167:168]
	v_add_f64 v[54:55], v[56:57], v[165:166]
	s_waitcnt vmcnt(6) lgkmcnt(0)
	v_mul_f64 v[56:57], v[34:35], v[8:9]
	v_mul_f64 v[8:9], v[36:37], v[8:9]
	v_fma_f64 v[58:59], v[4:5], v[42:43], v[62:63]
	v_fma_f64 v[42:43], v[2:3], v[42:43], -v[44:45]
	v_add_f64 v[44:45], v[40:41], v[38:39]
	v_add_f64 v[54:55], v[54:55], v[60:61]
	ds_load_b128 v[2:5], v1 offset:1792
	ds_load_b128 v[38:41], v1 offset:1808
	v_fma_f64 v[36:37], v[36:37], v[6:7], v[56:57]
	v_fma_f64 v[6:7], v[34:35], v[6:7], -v[8:9]
	s_waitcnt vmcnt(5) lgkmcnt(1)
	v_mul_f64 v[60:61], v[2:3], v[12:13]
	v_mul_f64 v[12:13], v[4:5], v[12:13]
	v_add_f64 v[8:9], v[44:45], v[42:43]
	v_add_f64 v[34:35], v[54:55], v[58:59]
	s_waitcnt vmcnt(4) lgkmcnt(0)
	v_mul_f64 v[42:43], v[38:39], v[16:17]
	v_mul_f64 v[16:17], v[40:41], v[16:17]
	v_fma_f64 v[44:45], v[4:5], v[10:11], v[60:61]
	v_fma_f64 v[10:11], v[2:3], v[10:11], -v[12:13]
	v_add_f64 v[12:13], v[8:9], v[6:7]
	v_add_f64 v[34:35], v[34:35], v[36:37]
	ds_load_b128 v[2:5], v1 offset:1824
	ds_load_b128 v[6:9], v1 offset:1840
	v_fma_f64 v[40:41], v[40:41], v[14:15], v[42:43]
	v_fma_f64 v[14:15], v[38:39], v[14:15], -v[16:17]
	s_waitcnt vmcnt(3) lgkmcnt(1)
	v_mul_f64 v[36:37], v[2:3], v[20:21]
	v_mul_f64 v[20:21], v[4:5], v[20:21]
	s_waitcnt vmcnt(2) lgkmcnt(0)
	v_mul_f64 v[16:17], v[6:7], v[24:25]
	v_mul_f64 v[24:25], v[8:9], v[24:25]
	v_add_f64 v[10:11], v[12:13], v[10:11]
	v_add_f64 v[12:13], v[34:35], v[44:45]
	v_fma_f64 v[34:35], v[4:5], v[18:19], v[36:37]
	v_fma_f64 v[18:19], v[2:3], v[18:19], -v[20:21]
	v_fma_f64 v[8:9], v[8:9], v[22:23], v[16:17]
	v_fma_f64 v[6:7], v[6:7], v[22:23], -v[24:25]
	v_add_f64 v[14:15], v[10:11], v[14:15]
	v_add_f64 v[20:21], v[12:13], v[40:41]
	ds_load_b128 v[2:5], v1 offset:1856
	ds_load_b128 v[10:13], v1 offset:1872
	s_waitcnt vmcnt(1) lgkmcnt(1)
	v_mul_f64 v[36:37], v[2:3], v[28:29]
	v_mul_f64 v[28:29], v[4:5], v[28:29]
	v_add_f64 v[14:15], v[14:15], v[18:19]
	v_add_f64 v[16:17], v[20:21], v[34:35]
	s_waitcnt vmcnt(0) lgkmcnt(0)
	v_mul_f64 v[18:19], v[10:11], v[32:33]
	v_mul_f64 v[20:21], v[12:13], v[32:33]
	v_fma_f64 v[4:5], v[4:5], v[26:27], v[36:37]
	v_fma_f64 v[1:2], v[2:3], v[26:27], -v[28:29]
	v_add_f64 v[6:7], v[14:15], v[6:7]
	v_add_f64 v[8:9], v[16:17], v[8:9]
	v_fma_f64 v[12:13], v[12:13], v[30:31], v[18:19]
	v_fma_f64 v[10:11], v[10:11], v[30:31], -v[20:21]
	s_delay_alu instid0(VALU_DEP_4) | instskip(NEXT) | instid1(VALU_DEP_4)
	v_add_f64 v[1:2], v[6:7], v[1:2]
	v_add_f64 v[3:4], v[8:9], v[4:5]
	s_delay_alu instid0(VALU_DEP_2) | instskip(NEXT) | instid1(VALU_DEP_2)
	v_add_f64 v[1:2], v[1:2], v[10:11]
	v_add_f64 v[3:4], v[3:4], v[12:13]
	s_delay_alu instid0(VALU_DEP_2) | instskip(NEXT) | instid1(VALU_DEP_2)
	v_add_f64 v[1:2], v[50:51], -v[1:2]
	v_add_f64 v[3:4], v[52:53], -v[3:4]
	scratch_store_b128 off, v[1:4], off
	s_cbranch_vccz .LBB58_485
; %bb.368:
	v_dual_mov_b32 v1, s16 :: v_dual_mov_b32 v2, s17
	s_load_b64 s[0:1], s[0:1], 0x4
	flat_load_b32 v1, v[1:2] offset:228
	v_bfe_u32 v2, v0, 10, 10
	v_bfe_u32 v0, v0, 20, 10
	s_waitcnt lgkmcnt(0)
	s_lshr_b32 s0, s0, 16
	s_delay_alu instid0(VALU_DEP_2) | instskip(SKIP_1) | instid1(SALU_CYCLE_1)
	v_mul_u32_u24_e32 v2, s1, v2
	s_mul_i32 s0, s0, s1
	v_mul_u32_u24_e32 v3, s0, v164
	s_delay_alu instid0(VALU_DEP_1) | instskip(NEXT) | instid1(VALU_DEP_1)
	v_add3_u32 v0, v3, v2, v0
	v_lshl_add_u32 v0, v0, 4, 0x768
	s_waitcnt vmcnt(0)
	v_cmp_ne_u32_e32 vcc_lo, 58, v1
	s_mov_b32 s0, exec_lo
	scratch_load_b32 v10, off, off offset:1080 ; 4-byte Folded Reload
	s_and_b32 s1, s0, vcc_lo
	s_delay_alu instid0(SALU_CYCLE_1)
	s_mov_b32 exec_lo, s1
	s_cbranch_execz .LBB58_370
; %bb.369:
	v_lshl_add_u32 v9, v1, 4, 0
	s_waitcnt vmcnt(0)
	s_clause 0x1
	scratch_load_b128 v[1:4], v10, off
	scratch_load_b128 v[5:8], v9, off offset:-16
	s_waitcnt vmcnt(1)
	ds_store_2addr_b64 v0, v[1:2], v[3:4] offset1:1
	s_waitcnt vmcnt(0)
	s_clause 0x1
	scratch_store_b128 v10, v[5:8], off
	scratch_store_b128 v9, v[1:4], off offset:-16
.LBB58_370:
	s_or_b32 exec_lo, exec_lo, s0
	v_dual_mov_b32 v1, s16 :: v_dual_mov_b32 v2, s17
	flat_load_b32 v1, v[1:2] offset:224
	s_waitcnt vmcnt(0) lgkmcnt(0)
	v_cmp_ne_u32_e32 vcc_lo, 57, v1
	s_mov_b32 s0, exec_lo
	scratch_load_b32 v11, off, off offset:1084 ; 4-byte Folded Reload
	v_dual_mov_b32 v10, v195 :: v_dual_mov_b32 v13, v200
	v_dual_mov_b32 v12, v211 :: v_dual_mov_b32 v15, v184
	;; [unrolled: 1-line block ×4, first 2 shown]
	v_mov_b32_e32 v18, v189
	s_and_b32 s1, s0, vcc_lo
	s_delay_alu instid0(SALU_CYCLE_1)
	s_mov_b32 exec_lo, s1
	s_cbranch_execz .LBB58_372
; %bb.371:
	v_lshl_add_u32 v9, v1, 4, 0
	s_clause 0x1
	scratch_load_b128 v[1:4], v10, off
	scratch_load_b128 v[5:8], v9, off offset:-16
	s_waitcnt vmcnt(1)
	ds_store_2addr_b64 v0, v[1:2], v[3:4] offset1:1
	s_waitcnt vmcnt(0)
	s_clause 0x1
	scratch_store_b128 v10, v[5:8], off
	scratch_store_b128 v9, v[1:4], off offset:-16
.LBB58_372:
	s_or_b32 exec_lo, exec_lo, s0
	v_dual_mov_b32 v1, s16 :: v_dual_mov_b32 v2, s17
	s_mov_b32 s0, exec_lo
	flat_load_b32 v1, v[1:2] offset:220
	s_waitcnt vmcnt(0) lgkmcnt(0)
	v_cmpx_ne_u32_e32 56, v1
	s_cbranch_execz .LBB58_374
; %bb.373:
	v_lshl_add_u32 v9, v1, 4, 0
	s_clause 0x1
	scratch_load_b128 v[1:4], v11, off
	scratch_load_b128 v[5:8], v9, off offset:-16
	s_waitcnt vmcnt(1)
	ds_store_2addr_b64 v0, v[1:2], v[3:4] offset1:1
	s_waitcnt vmcnt(0)
	s_clause 0x1
	scratch_store_b128 v11, v[5:8], off
	scratch_store_b128 v9, v[1:4], off offset:-16
.LBB58_374:
	s_or_b32 exec_lo, exec_lo, s0
	v_dual_mov_b32 v1, s16 :: v_dual_mov_b32 v2, s17
	s_mov_b32 s0, exec_lo
	flat_load_b32 v1, v[1:2] offset:216
	s_waitcnt vmcnt(0) lgkmcnt(0)
	v_cmpx_ne_u32_e32 55, v1
	;; [unrolled: 19-line block ×24, first 2 shown]
	s_cbranch_execz .LBB58_420
; %bb.419:
	scratch_load_b32 v10, off, off offset:944 ; 4-byte Folded Reload
	v_lshl_add_u32 v9, v1, 4, 0
	s_waitcnt vmcnt(0)
	s_clause 0x1
	scratch_load_b128 v[1:4], v10, off
	scratch_load_b128 v[5:8], v9, off offset:-16
	s_waitcnt vmcnt(1)
	ds_store_2addr_b64 v0, v[1:2], v[3:4] offset1:1
	s_waitcnt vmcnt(0)
	s_clause 0x1
	scratch_store_b128 v10, v[5:8], off
	scratch_store_b128 v9, v[1:4], off offset:-16
.LBB58_420:
	s_or_b32 exec_lo, exec_lo, s0
	v_dual_mov_b32 v1, s16 :: v_dual_mov_b32 v2, s17
	s_mov_b32 s0, exec_lo
	flat_load_b32 v1, v[1:2] offset:124
	s_waitcnt vmcnt(0) lgkmcnt(0)
	v_cmpx_ne_u32_e32 32, v1
	s_cbranch_execz .LBB58_422
; %bb.421:
	scratch_load_b32 v10, off, off offset:948 ; 4-byte Folded Reload
	v_lshl_add_u32 v9, v1, 4, 0
	s_waitcnt vmcnt(0)
	s_clause 0x1
	scratch_load_b128 v[1:4], v10, off
	scratch_load_b128 v[5:8], v9, off offset:-16
	s_waitcnt vmcnt(1)
	ds_store_2addr_b64 v0, v[1:2], v[3:4] offset1:1
	s_waitcnt vmcnt(0)
	s_clause 0x1
	scratch_store_b128 v10, v[5:8], off
	scratch_store_b128 v9, v[1:4], off offset:-16
.LBB58_422:
	s_or_b32 exec_lo, exec_lo, s0
	v_dual_mov_b32 v1, s16 :: v_dual_mov_b32 v2, s17
	s_mov_b32 s0, exec_lo
	flat_load_b32 v1, v[1:2] offset:120
	s_waitcnt vmcnt(0) lgkmcnt(0)
	v_cmpx_ne_u32_e32 31, v1
	;; [unrolled: 21-line block ×13, first 2 shown]
	s_cbranch_execz .LBB58_446
; %bb.445:
	v_lshl_add_u32 v9, v1, 4, 0
	s_clause 0x1
	scratch_load_b128 v[1:4], v255, off
	scratch_load_b128 v[5:8], v9, off offset:-16
	s_waitcnt vmcnt(1)
	ds_store_2addr_b64 v0, v[1:2], v[3:4] offset1:1
	s_waitcnt vmcnt(0)
	s_clause 0x1
	scratch_store_b128 v255, v[5:8], off
	scratch_store_b128 v9, v[1:4], off offset:-16
.LBB58_446:
	s_or_b32 exec_lo, exec_lo, s0
	v_dual_mov_b32 v1, s16 :: v_dual_mov_b32 v2, s17
	s_mov_b32 s0, exec_lo
	flat_load_b32 v1, v[1:2] offset:72
	s_waitcnt vmcnt(0) lgkmcnt(0)
	v_cmpx_ne_u32_e32 19, v1
	s_cbranch_execz .LBB58_448
; %bb.447:
	scratch_load_b32 v10, off, off offset:996 ; 4-byte Folded Reload
	v_lshl_add_u32 v9, v1, 4, 0
	s_waitcnt vmcnt(0)
	s_clause 0x1
	scratch_load_b128 v[1:4], v10, off
	scratch_load_b128 v[5:8], v9, off offset:-16
	s_waitcnt vmcnt(1)
	ds_store_2addr_b64 v0, v[1:2], v[3:4] offset1:1
	s_waitcnt vmcnt(0)
	s_clause 0x1
	scratch_store_b128 v10, v[5:8], off
	scratch_store_b128 v9, v[1:4], off offset:-16
.LBB58_448:
	s_or_b32 exec_lo, exec_lo, s0
	v_dual_mov_b32 v1, s16 :: v_dual_mov_b32 v2, s17
	s_mov_b32 s0, exec_lo
	flat_load_b32 v1, v[1:2] offset:68
	s_waitcnt vmcnt(0) lgkmcnt(0)
	v_cmpx_ne_u32_e32 18, v1
	s_cbranch_execz .LBB58_450
; %bb.449:
	scratch_load_b32 v10, off, off offset:1000 ; 4-byte Folded Reload
	v_lshl_add_u32 v9, v1, 4, 0
	s_waitcnt vmcnt(0)
	s_clause 0x1
	scratch_load_b128 v[1:4], v10, off
	scratch_load_b128 v[5:8], v9, off offset:-16
	s_waitcnt vmcnt(1)
	ds_store_2addr_b64 v0, v[1:2], v[3:4] offset1:1
	s_waitcnt vmcnt(0)
	s_clause 0x1
	scratch_store_b128 v10, v[5:8], off
	scratch_store_b128 v9, v[1:4], off offset:-16
.LBB58_450:
	;; [unrolled: 21-line block ×3, first 2 shown]
	s_or_b32 exec_lo, exec_lo, s0
	v_dual_mov_b32 v1, s16 :: v_dual_mov_b32 v2, s17
	s_mov_b32 s0, exec_lo
	flat_load_b32 v1, v[1:2] offset:60
	s_waitcnt vmcnt(0) lgkmcnt(0)
	v_cmpx_ne_u32_e32 16, v1
	s_cbranch_execz .LBB58_454
; %bb.453:
	v_lshl_add_u32 v9, v1, 4, 0
	s_clause 0x1
	scratch_load_b128 v[1:4], v231, off
	scratch_load_b128 v[5:8], v9, off offset:-16
	s_waitcnt vmcnt(1)
	ds_store_2addr_b64 v0, v[1:2], v[3:4] offset1:1
	s_waitcnt vmcnt(0)
	s_clause 0x1
	scratch_store_b128 v231, v[5:8], off
	scratch_store_b128 v9, v[1:4], off offset:-16
.LBB58_454:
	s_or_b32 exec_lo, exec_lo, s0
	v_dual_mov_b32 v1, s16 :: v_dual_mov_b32 v2, s17
	s_mov_b32 s0, exec_lo
	flat_load_b32 v1, v[1:2] offset:56
	s_waitcnt vmcnt(0) lgkmcnt(0)
	v_cmpx_ne_u32_e32 15, v1
	s_cbranch_execz .LBB58_456
; %bb.455:
	v_lshl_add_u32 v9, v1, 4, 0
	s_clause 0x1
	scratch_load_b128 v[1:4], v232, off
	scratch_load_b128 v[5:8], v9, off offset:-16
	s_waitcnt vmcnt(1)
	ds_store_2addr_b64 v0, v[1:2], v[3:4] offset1:1
	s_waitcnt vmcnt(0)
	s_clause 0x1
	scratch_store_b128 v232, v[5:8], off
	scratch_store_b128 v9, v[1:4], off offset:-16
.LBB58_456:
	;; [unrolled: 19-line block ×15, first 2 shown]
	s_or_b32 exec_lo, exec_lo, s0
	v_dual_mov_b32 v1, s16 :: v_dual_mov_b32 v2, s17
	s_mov_b32 s0, exec_lo
	flat_load_b32 v1, v[1:2]
	s_waitcnt vmcnt(0) lgkmcnt(0)
	v_cmpx_ne_u32_e32 1, v1
	s_cbranch_execz .LBB58_484
; %bb.483:
	v_lshl_add_u32 v9, v1, 4, 0
	scratch_load_b128 v[1:4], off, off
	scratch_load_b128 v[5:8], v9, off offset:-16
	s_waitcnt vmcnt(1)
	ds_store_2addr_b64 v0, v[1:2], v[3:4] offset1:1
	s_waitcnt vmcnt(0)
	scratch_store_b128 off, v[5:8], off
	scratch_store_b128 v9, v[1:4], off offset:-16
.LBB58_484:
	s_or_b32 exec_lo, exec_lo, s0
.LBB58_485:
	scratch_load_b128 v[0:3], off, off
	s_clause 0xe
	scratch_load_b128 v[4:7], v222, off
	scratch_load_b128 v[8:11], v221, off
	;; [unrolled: 1-line block ×15, first 2 shown]
	scratch_load_b32 v44, off, off offset:1004 ; 4-byte Folded Reload
	s_waitcnt vmcnt(0)
	scratch_load_b128 v[212:215], v44, off
	scratch_load_b32 v44, off, off offset:1000 ; 4-byte Folded Reload
	s_waitcnt vmcnt(0)
	scratch_load_b128 v[216:219], v44, off
	scratch_load_b32 v44, off, off offset:996 ; 4-byte Folded Reload
	s_waitcnt vmcnt(0)
	s_clause 0x1
	scratch_load_b128 v[220:223], v44, off
	scratch_load_b128 v[224:227], v255, off
	scratch_load_b32 v44, off, off offset:992 ; 4-byte Folded Reload
	s_waitcnt vmcnt(0)
	scratch_load_b128 v[228:231], v44, off
	scratch_load_b32 v44, off, off offset:988 ; 4-byte Folded Reload
	s_waitcnt vmcnt(0)
	;; [unrolled: 3-line block ×4, first 2 shown]
	scratch_load_b128 v[240:243], v44, off
	scratch_load_b32 v44, off, off offset:976 ; 4-byte Folded Reload
	global_store_b128 v[46:47], v[0:3], off
	scratch_load_b32 v0, off, off offset:972 ; 4-byte Folded Reload
	s_waitcnt vmcnt(1)
	scratch_load_b128 v[244:247], v44, off
	s_waitcnt vmcnt(1)
	scratch_load_b128 v[0:3], v0, off
	scratch_load_b32 v44, off, off offset:968 ; 4-byte Folded Reload
	s_waitcnt vmcnt(0)
	scratch_load_b128 v[44:47], v44, off
	scratch_load_b64 v[62:63], off, off offset:1008 ; 8-byte Folded Reload
	s_waitcnt vmcnt(0)
	global_store_b128 v[62:63], v[4:7], off
	scratch_load_b32 v4, off, off offset:964 ; 4-byte Folded Reload
	s_waitcnt vmcnt(0)
	scratch_load_b128 v[4:7], v4, off
	scratch_load_b32 v62, off, off offset:960 ; 4-byte Folded Reload
	s_waitcnt vmcnt(0)
	scratch_load_b128 v[248:251], v62, off
	scratch_load_b64 v[62:63], off, off offset:1016 ; 8-byte Folded Reload
	s_waitcnt vmcnt(0)
	global_store_b128 v[62:63], v[8:11], off
	scratch_load_b32 v8, off, off offset:956 ; 4-byte Folded Reload
	;; [unrolled: 9-line block ×3, first 2 shown]
	s_waitcnt vmcnt(0)
	scratch_load_b128 v[12:15], v12, off
	scratch_load_b32 v62, off, off offset:944 ; 4-byte Folded Reload
	s_waitcnt vmcnt(0)
	scratch_load_b128 v[168:171], v62, off
	scratch_load_b64 v[62:63], off, off offset:1032 ; 8-byte Folded Reload
	s_waitcnt vmcnt(0)
	global_store_b128 v[62:63], v[16:19], off
	s_clause 0x1
	scratch_load_b128 v[16:19], v178, off
	scratch_load_b128 v[172:175], v49, off
	scratch_load_b64 v[62:63], off, off offset:1040 ; 8-byte Folded Reload
	s_waitcnt vmcnt(0)
	global_store_b128 v[62:63], v[20:23], off
	s_clause 0x1
	scratch_load_b128 v[20:23], v48, off
	;; [unrolled: 6-line block ×3, first 2 shown]
	scratch_load_b128 v[196:199], v196, off
	global_store_b128 v[253:254], v[28:31], off
	s_clause 0x1
	scratch_load_b128 v[28:31], v193, off
	scratch_load_b128 v[252:255], v252, off
	scratch_load_b64 v[48:49], off, off offset:1056 ; 8-byte Folded Reload
	s_waitcnt vmcnt(0)
	global_store_b128 v[48:49], v[32:35], off
	s_clause 0x1
	scratch_load_b128 v[32:35], v188, off
	scratch_load_b128 v[185:188], v187, off
	global_store_b128 v[64:65], v[36:39], off
	s_clause 0x1
	scratch_load_b128 v[36:39], v181, off
	scratch_load_b128 v[62:65], v182, off
	;; [unrolled: 4-line block ×7, first 2 shown]
	scratch_load_b64 v[60:61], off, off offset:1064 ; 8-byte Folded Reload
	s_waitcnt vmcnt(0)
	global_store_b128 v[60:61], v[207:210], off
	scratch_load_b32 v60, off, off offset:1084 ; 4-byte Folded Reload
	s_waitcnt vmcnt(0)
	s_clause 0x1
	scratch_load_b128 v[204:207], v60, off
	scratch_load_b128 v[208:211], v195, off
	scratch_load_b32 v60, off, off offset:1080 ; 4-byte Folded Reload
	global_store_b128 v[78:79], v[212:215], off
	s_waitcnt vmcnt(0)
	s_clause 0x1
	scratch_load_b128 v[212:215], v60, off
	scratch_load_b128 v[78:81], v190, off
	scratch_load_b64 v[60:61], off, off offset:1072 ; 8-byte Folded Reload
	s_waitcnt vmcnt(0)
	s_clause 0x1f
	global_store_b128 v[60:61], v[216:219], off
	global_store_b128 v[82:83], v[220:223], off
	;; [unrolled: 1-line block ×32, first 2 shown]
	s_clause 0x9
	global_store_b128 v[144:145], v[52:55], off
	global_store_b128 v[146:147], v[191:194], off
	global_store_b128 v[148:149], v[56:59], off
	global_store_b128 v[150:151], v[70:73], off
	global_store_b128 v[152:153], v[200:203], off
	global_store_b128 v[154:155], v[74:77], off
	global_store_b128 v[156:157], v[204:207], off
	global_store_b128 v[158:159], v[208:211], off
	global_store_b128 v[160:161], v[212:215], off
	global_store_b128 v[162:163], v[78:81], off
	s_endpgm
	.section	.rodata,"a",@progbits
	.p2align	6, 0x0
	.amdhsa_kernel _ZN9rocsolver6v33100L18getri_kernel_smallILi59E19rocblas_complex_numIdEPS3_EEvT1_iilPiilS6_bb
		.amdhsa_group_segment_fixed_size 2920
		.amdhsa_private_segment_fixed_size 1104
		.amdhsa_kernarg_size 60
		.amdhsa_user_sgpr_count 15
		.amdhsa_user_sgpr_dispatch_ptr 1
		.amdhsa_user_sgpr_queue_ptr 0
		.amdhsa_user_sgpr_kernarg_segment_ptr 1
		.amdhsa_user_sgpr_dispatch_id 0
		.amdhsa_user_sgpr_private_segment_size 0
		.amdhsa_wavefront_size32 1
		.amdhsa_uses_dynamic_stack 0
		.amdhsa_enable_private_segment 1
		.amdhsa_system_sgpr_workgroup_id_x 1
		.amdhsa_system_sgpr_workgroup_id_y 0
		.amdhsa_system_sgpr_workgroup_id_z 0
		.amdhsa_system_sgpr_workgroup_info 0
		.amdhsa_system_vgpr_workitem_id 2
		.amdhsa_next_free_vgpr 256
		.amdhsa_next_free_sgpr 65
		.amdhsa_reserve_vcc 1
		.amdhsa_float_round_mode_32 0
		.amdhsa_float_round_mode_16_64 0
		.amdhsa_float_denorm_mode_32 3
		.amdhsa_float_denorm_mode_16_64 3
		.amdhsa_dx10_clamp 1
		.amdhsa_ieee_mode 1
		.amdhsa_fp16_overflow 0
		.amdhsa_workgroup_processor_mode 1
		.amdhsa_memory_ordered 1
		.amdhsa_forward_progress 0
		.amdhsa_shared_vgpr_count 0
		.amdhsa_exception_fp_ieee_invalid_op 0
		.amdhsa_exception_fp_denorm_src 0
		.amdhsa_exception_fp_ieee_div_zero 0
		.amdhsa_exception_fp_ieee_overflow 0
		.amdhsa_exception_fp_ieee_underflow 0
		.amdhsa_exception_fp_ieee_inexact 0
		.amdhsa_exception_int_div_zero 0
	.end_amdhsa_kernel
	.section	.text._ZN9rocsolver6v33100L18getri_kernel_smallILi59E19rocblas_complex_numIdEPS3_EEvT1_iilPiilS6_bb,"axG",@progbits,_ZN9rocsolver6v33100L18getri_kernel_smallILi59E19rocblas_complex_numIdEPS3_EEvT1_iilPiilS6_bb,comdat
.Lfunc_end58:
	.size	_ZN9rocsolver6v33100L18getri_kernel_smallILi59E19rocblas_complex_numIdEPS3_EEvT1_iilPiilS6_bb, .Lfunc_end58-_ZN9rocsolver6v33100L18getri_kernel_smallILi59E19rocblas_complex_numIdEPS3_EEvT1_iilPiilS6_bb
                                        ; -- End function
	.section	.AMDGPU.csdata,"",@progbits
; Kernel info:
; codeLenInByte = 153880
; NumSgprs: 67
; NumVgprs: 256
; ScratchSize: 1104
; MemoryBound: 0
; FloatMode: 240
; IeeeMode: 1
; LDSByteSize: 2920 bytes/workgroup (compile time only)
; SGPRBlocks: 8
; VGPRBlocks: 31
; NumSGPRsForWavesPerEU: 67
; NumVGPRsForWavesPerEU: 256
; Occupancy: 5
; WaveLimiterHint : 1
; COMPUTE_PGM_RSRC2:SCRATCH_EN: 1
; COMPUTE_PGM_RSRC2:USER_SGPR: 15
; COMPUTE_PGM_RSRC2:TRAP_HANDLER: 0
; COMPUTE_PGM_RSRC2:TGID_X_EN: 1
; COMPUTE_PGM_RSRC2:TGID_Y_EN: 0
; COMPUTE_PGM_RSRC2:TGID_Z_EN: 0
; COMPUTE_PGM_RSRC2:TIDIG_COMP_CNT: 2
	.section	.text._ZN9rocsolver6v33100L18getri_kernel_smallILi60E19rocblas_complex_numIdEPS3_EEvT1_iilPiilS6_bb,"axG",@progbits,_ZN9rocsolver6v33100L18getri_kernel_smallILi60E19rocblas_complex_numIdEPS3_EEvT1_iilPiilS6_bb,comdat
	.globl	_ZN9rocsolver6v33100L18getri_kernel_smallILi60E19rocblas_complex_numIdEPS3_EEvT1_iilPiilS6_bb ; -- Begin function _ZN9rocsolver6v33100L18getri_kernel_smallILi60E19rocblas_complex_numIdEPS3_EEvT1_iilPiilS6_bb
	.p2align	8
	.type	_ZN9rocsolver6v33100L18getri_kernel_smallILi60E19rocblas_complex_numIdEPS3_EEvT1_iilPiilS6_bb,@function
_ZN9rocsolver6v33100L18getri_kernel_smallILi60E19rocblas_complex_numIdEPS3_EEvT1_iilPiilS6_bb: ; @_ZN9rocsolver6v33100L18getri_kernel_smallILi60E19rocblas_complex_numIdEPS3_EEvT1_iilPiilS6_bb
; %bb.0:
	v_and_b32_e32 v166, 0x3ff, v0
	s_mov_b32 s4, exec_lo
	s_delay_alu instid0(VALU_DEP_1)
	v_cmpx_gt_u32_e32 60, v166
	s_cbranch_execz .LBB59_254
; %bb.1:
	s_mov_b32 s18, s15
	s_clause 0x2
	s_load_b32 s21, s[2:3], 0x38
	s_load_b128 s[12:15], s[2:3], 0x10
	s_load_b128 s[4:7], s[2:3], 0x28
                                        ; implicit-def: $sgpr16_sgpr17
	s_waitcnt lgkmcnt(0)
	s_bitcmp1_b32 s21, 8
	s_cselect_b32 s20, -1, 0
	s_bfe_u32 s8, s21, 0x10008
	s_ashr_i32 s19, s18, 31
	s_cmp_eq_u32 s8, 0
	s_cbranch_scc1 .LBB59_3
; %bb.2:
	s_load_b32 s8, s[2:3], 0x20
	s_mul_i32 s5, s18, s5
	s_mul_hi_u32 s9, s18, s4
	s_mul_i32 s10, s19, s4
	s_add_i32 s5, s9, s5
	s_mul_i32 s4, s18, s4
	s_add_i32 s5, s5, s10
	s_delay_alu instid0(SALU_CYCLE_1)
	s_lshl_b64 s[4:5], s[4:5], 2
	s_waitcnt lgkmcnt(0)
	s_ashr_i32 s9, s8, 31
	s_add_u32 s10, s14, s4
	s_addc_u32 s11, s15, s5
	s_lshl_b64 s[4:5], s[8:9], 2
	s_delay_alu instid0(SALU_CYCLE_1)
	s_add_u32 s16, s10, s4
	s_addc_u32 s17, s11, s5
.LBB59_3:
	s_load_b128 s[8:11], s[2:3], 0x0
	s_mul_i32 s2, s18, s13
	s_mul_hi_u32 s3, s18, s12
	s_mul_i32 s4, s19, s12
	s_add_i32 s3, s3, s2
	s_mul_i32 s2, s18, s12
	s_add_i32 s3, s3, s4
	v_lshlrev_b32_e32 v13, 4, v166
	s_lshl_b64 s[2:3], s[2:3], 4
	s_movk_i32 s15, 0x100
	s_movk_i32 s14, 0xf0
	;; [unrolled: 1-line block ×11, first 2 shown]
	s_waitcnt lgkmcnt(0)
	v_add3_u32 v1, s11, s11, v166
	s_ashr_i32 s5, s10, 31
	s_mov_b32 s4, s10
	s_add_u32 s8, s8, s2
	s_addc_u32 s9, s9, s3
	v_add_nc_u32_e32 v7, s11, v1
	s_lshl_b64 s[2:3], s[4:5], 4
	v_ashrrev_i32_e32 v2, 31, v1
	s_add_u32 s2, s8, s2
	s_addc_u32 s3, s9, s3
	v_add_nc_u32_e32 v9, s11, v7
	v_add_co_u32 v46, s4, s2, v13
	v_ashrrev_i32_e32 v8, 31, v7
	s_mov_b32 s12, s11
	s_delay_alu instid0(VALU_DEP_3) | instskip(SKIP_3) | instid1(VALU_DEP_3)
	v_add_nc_u32_e32 v11, s11, v9
	s_ashr_i32 s13, s11, 31
	v_add_co_ci_u32_e64 v47, null, s3, 0, s4
	v_lshlrev_b64 v[1:2], 4, v[1:2]
	v_add_nc_u32_e32 v18, s11, v11
	s_lshl_b64 s[4:5], s[12:13], 4
	v_ashrrev_i32_e32 v10, 31, v9
	v_add_co_u32 v14, vcc_lo, v46, s4
	s_delay_alu instid0(VALU_DEP_3) | instskip(SKIP_3) | instid1(VALU_DEP_4)
	v_add_nc_u32_e32 v26, s11, v18
	v_lshlrev_b64 v[19:20], 4, v[7:8]
	v_add_co_ci_u32_e32 v15, vcc_lo, s5, v47, vcc_lo
	v_add_co_u32 v16, vcc_lo, s2, v1
	v_add_nc_u32_e32 v28, s11, v26
	v_lshlrev_b64 v[21:22], 4, v[9:10]
	v_add_co_ci_u32_e32 v17, vcc_lo, s3, v2, vcc_lo
	v_ashrrev_i32_e32 v12, 31, v11
	s_delay_alu instid0(VALU_DEP_4) | instskip(SKIP_2) | instid1(VALU_DEP_3)
	v_add_nc_u32_e32 v34, s11, v28
	v_add_co_u32 v23, vcc_lo, s2, v19
	v_add_co_ci_u32_e32 v24, vcc_lo, s3, v20, vcc_lo
	v_add_nc_u32_e32 v36, s11, v34
	v_add_co_u32 v32, vcc_lo, s2, v21
	v_lshlrev_b64 v[11:12], 4, v[11:12]
	v_ashrrev_i32_e32 v19, 31, v18
	s_delay_alu instid0(VALU_DEP_4) | instskip(SKIP_2) | instid1(VALU_DEP_4)
	v_add_nc_u32_e32 v1, s11, v36
	v_add_co_ci_u32_e32 v33, vcc_lo, s3, v22, vcc_lo
	v_ashrrev_i32_e32 v27, 31, v26
	v_lshlrev_b64 v[30:31], 4, v[18:19]
	s_delay_alu instid0(VALU_DEP_4)
	v_add_nc_u32_e32 v42, s11, v1
	s_clause 0x1
	global_load_b128 v[3:6], v13, s[2:3]
	global_load_b128 v[7:10], v[14:15], off
	s_clause 0x3
	scratch_store_b64 off, v[14:15], off offset:964
	scratch_store_b64 off, v[16:17], off offset:972
	;; [unrolled: 1-line block ×4, first 2 shown]
	s_clause 0x2
	global_load_b128 v[14:17], v[16:17], off
	global_load_b128 v[18:21], v[23:24], off
	;; [unrolled: 1-line block ×3, first 2 shown]
	v_add_co_u32 v32, vcc_lo, s2, v11
	v_add_co_ci_u32_e32 v33, vcc_lo, s3, v12, vcc_lo
	v_lshlrev_b64 v[11:12], 4, v[26:27]
	v_ashrrev_i32_e32 v29, 31, v28
	v_add_nc_u32_e32 v48, s11, v42
	v_add_co_u32 v30, vcc_lo, s2, v30
	v_ashrrev_i32_e32 v35, 31, v34
	v_add_co_ci_u32_e32 v31, vcc_lo, s3, v31, vcc_lo
	v_lshlrev_b64 v[38:39], 4, v[28:29]
	v_add_nc_u32_e32 v50, s11, v48
	v_add_co_u32 v40, vcc_lo, s2, v11
	v_ashrrev_i32_e32 v37, 31, v36
	v_add_co_ci_u32_e32 v41, vcc_lo, s3, v12, vcc_lo
	v_lshlrev_b64 v[11:12], 4, v[34:35]
	v_ashrrev_i32_e32 v2, 31, v1
	v_add_nc_u32_e32 v74, s11, v50
	v_add_co_u32 v38, vcc_lo, s2, v38
	v_lshlrev_b64 v[44:45], 4, v[36:37]
	v_ashrrev_i32_e32 v43, 31, v42
	v_add_co_ci_u32_e32 v39, vcc_lo, s3, v39, vcc_lo
	v_add_co_u32 v51, vcc_lo, s2, v11
	v_lshlrev_b64 v[1:2], 4, v[1:2]
	v_add_nc_u32_e32 v76, s11, v74
	v_add_co_ci_u32_e32 v52, vcc_lo, s3, v12, vcc_lo
	v_add_co_u32 v53, vcc_lo, s2, v44
	v_lshlrev_b64 v[70:71], 4, v[42:43]
	v_add_co_ci_u32_e32 v54, vcc_lo, s3, v45, vcc_lo
	v_ashrrev_i32_e32 v49, 31, v48
	v_add_co_u32 v68, vcc_lo, s2, v1
	v_add_nc_u32_e32 v80, s11, v76
	v_add_co_ci_u32_e32 v69, vcc_lo, s3, v2, vcc_lo
	v_add_co_u32 v70, vcc_lo, s2, v70
	s_clause 0x1
	scratch_store_b64 off, v[51:52], off offset:1028
	scratch_store_b64 off, v[53:54], off offset:1036
	s_clause 0x1
	global_load_b128 v[42:45], v[51:52], off
	global_load_b128 v[134:137], v[53:54], off
	v_lshlrev_b64 v[1:2], 4, v[48:49]
	v_ashrrev_i32_e32 v51, 31, v50
	v_add_co_ci_u32_e32 v71, vcc_lo, s3, v71, vcc_lo
	s_clause 0x3
	scratch_store_b64 off, v[32:33], off offset:996
	scratch_store_b64 off, v[30:31], off offset:1004
	;; [unrolled: 1-line block ×4, first 2 shown]
	s_clause 0x3
	global_load_b128 v[26:29], v[32:33], off
	global_load_b128 v[34:37], v[40:41], off
	;; [unrolled: 1-line block ×4, first 2 shown]
	v_add_nc_u32_e32 v82, s11, v80
	v_ashrrev_i32_e32 v75, 31, v74
	s_clause 0x1
	global_load_b128 v[138:141], v[68:69], off
	global_load_b128 v[142:145], v[70:71], off
	v_lshlrev_b64 v[49:50], 4, v[50:51]
	v_add_co_u32 v72, vcc_lo, s2, v1
	v_add_nc_u32_e32 v86, s11, v82
	v_add_co_ci_u32_e32 v73, vcc_lo, s3, v2, vcc_lo
	v_lshlrev_b64 v[1:2], 4, v[74:75]
	v_ashrrev_i32_e32 v77, 31, v76
	s_delay_alu instid0(VALU_DEP_4)
	v_add_nc_u32_e32 v88, s11, v86
	v_add_co_u32 v74, vcc_lo, s2, v49
	v_ashrrev_i32_e32 v81, 31, v80
	v_add_co_ci_u32_e32 v75, vcc_lo, s3, v50, vcc_lo
	v_lshlrev_b64 v[84:85], 4, v[76:77]
	v_add_co_u32 v76, vcc_lo, s2, v1
	v_add_nc_u32_e32 v90, s11, v88
	v_add_co_ci_u32_e32 v77, vcc_lo, s3, v2, vcc_lo
	v_lshlrev_b64 v[1:2], 4, v[80:81]
	v_ashrrev_i32_e32 v83, 31, v82
	v_add_co_u32 v80, vcc_lo, s2, v84
	v_ashrrev_i32_e32 v87, 31, v86
	s_clause 0x1
	global_load_b128 v[146:149], v[72:73], off
	global_load_b128 v[150:153], v[74:75], off
	v_add_nc_u32_e32 v11, s11, v90
	v_add_co_ci_u32_e32 v81, vcc_lo, s3, v85, vcc_lo
	v_lshlrev_b64 v[82:83], 4, v[82:83]
	v_add_co_u32 v84, vcc_lo, s2, v1
	v_add_co_ci_u32_e32 v85, vcc_lo, s3, v2, vcc_lo
	v_lshlrev_b64 v[1:2], 4, v[86:87]
	v_ashrrev_i32_e32 v89, 31, v88
	v_add_nc_u32_e32 v92, s11, v11
	v_add_co_u32 v51, vcc_lo, s2, v82
	v_ashrrev_i32_e32 v91, 31, v90
	v_add_co_ci_u32_e32 v52, vcc_lo, s3, v83, vcc_lo
	v_lshlrev_b64 v[82:83], 4, v[88:89]
	v_add_co_u32 v254, vcc_lo, s2, v1
	v_add_nc_u32_e32 v94, s11, v92
	v_add_co_ci_u32_e32 v255, vcc_lo, s3, v2, vcc_lo
	v_ashrrev_i32_e32 v12, 31, v11
	v_lshlrev_b64 v[1:2], 4, v[90:91]
	v_add_co_u32 v53, vcc_lo, s2, v82
	v_ashrrev_i32_e32 v93, 31, v92
	v_add_nc_u32_e32 v48, s11, v94
	s_clause 0x1
	global_load_b128 v[154:157], v[76:77], off
	global_load_b128 v[158:161], v[80:81], off
	v_add_co_ci_u32_e32 v54, vcc_lo, s3, v83, vcc_lo
	v_lshlrev_b64 v[11:12], 4, v[11:12]
	v_add_co_u32 v88, vcc_lo, s2, v1
	v_add_co_ci_u32_e32 v89, vcc_lo, s3, v2, vcc_lo
	v_lshlrev_b64 v[1:2], 4, v[92:93]
	v_ashrrev_i32_e32 v95, 31, v94
	v_add_nc_u32_e32 v96, s11, v48
	v_add_co_u32 v90, vcc_lo, s2, v11
	v_ashrrev_i32_e32 v49, 31, v48
	v_add_co_ci_u32_e32 v91, vcc_lo, s3, v12, vcc_lo
	v_lshlrev_b64 v[11:12], 4, v[94:95]
	v_add_nc_u32_e32 v100, s11, v96
	v_add_co_u32 v92, vcc_lo, s2, v1
	v_add_co_ci_u32_e32 v93, vcc_lo, s3, v2, vcc_lo
	v_lshlrev_b64 v[1:2], 4, v[48:49]
	v_ashrrev_i32_e32 v97, 31, v96
	v_add_co_u32 v94, vcc_lo, s2, v11
	v_ashrrev_i32_e32 v101, 31, v100
	s_clause 0x1
	global_load_b128 v[162:165], v[84:85], off
	global_load_b128 v[179:182], v[88:89], off
	v_add_co_ci_u32_e32 v95, vcc_lo, s3, v12, vcc_lo
	v_lshlrev_b64 v[11:12], 4, v[96:97]
	v_add_co_u32 v96, vcc_lo, s2, v1
	v_add_co_ci_u32_e32 v97, vcc_lo, s3, v2, vcc_lo
	v_lshlrev_b64 v[1:2], 4, v[100:101]
	s_delay_alu instid0(VALU_DEP_4)
	v_add_co_u32 v98, vcc_lo, s2, v11
	s_clause 0x1
	global_load_b128 v[167:170], v[51:52], off
	global_load_b128 v[175:178], v[53:54], off
	v_add_co_ci_u32_e32 v99, vcc_lo, s3, v12, vcc_lo
	v_add_nc_u32_e32 v102, s11, v100
	s_clause 0x1
	scratch_store_b64 off, v[51:52], off offset:1044
	scratch_store_b64 off, v[53:54], off offset:1052
	global_load_b128 v[171:174], v[254:255], off
	v_add_co_u32 v100, vcc_lo, s2, v1
	s_clause 0x4
	global_load_b128 v[183:186], v[90:91], off
	global_load_b128 v[187:190], v[92:93], off
	;; [unrolled: 1-line block ×5, first 2 shown]
	v_add_co_ci_u32_e32 v101, vcc_lo, s3, v2, vcc_lo
	v_add_nc_u32_e32 v50, s11, v102
	v_ashrrev_i32_e32 v103, 31, v102
	s_movk_i32 s4, 0x70
	global_load_b128 v[203:206], v[100:101], off
	s_movk_i32 s5, 0x80
	v_add_nc_u32_e32 v104, s11, v50
	v_lshlrev_b64 v[1:2], 4, v[102:103]
	v_ashrrev_i32_e32 v51, 31, v50
	s_movk_i32 s8, 0x90
	s_movk_i32 s9, 0xa0
	v_add_nc_u32_e32 v108, s11, v104
	v_ashrrev_i32_e32 v105, 31, v104
	v_add_co_u32 v102, vcc_lo, s2, v1
	v_add_co_ci_u32_e32 v103, vcc_lo, s3, v2, vcc_lo
	s_delay_alu instid0(VALU_DEP_4)
	v_add_nc_u32_e32 v110, s11, v108
	v_lshlrev_b64 v[1:2], 4, v[50:51]
	v_lshlrev_b64 v[49:50], 4, v[104:105]
	global_load_b128 v[207:210], v[102:103], off
	v_ashrrev_i32_e32 v109, 31, v108
	v_add_nc_u32_e32 v112, s11, v110
	v_ashrrev_i32_e32 v111, 31, v110
	v_add_co_u32 v106, vcc_lo, s2, v1
	v_add_co_ci_u32_e32 v107, vcc_lo, s3, v2, vcc_lo
	s_delay_alu instid0(VALU_DEP_4) | instskip(SKIP_3) | instid1(VALU_DEP_4)
	v_add_nc_u32_e32 v86, s11, v112
	v_lshlrev_b64 v[1:2], 4, v[108:109]
	v_add_co_u32 v108, vcc_lo, s2, v49
	v_add_co_ci_u32_e32 v109, vcc_lo, s3, v50, vcc_lo
	v_add_nc_u32_e32 v11, s11, v86
	v_lshlrev_b64 v[49:50], 4, v[110:111]
	v_ashrrev_i32_e32 v113, 31, v112
	v_add_co_u32 v110, vcc_lo, s2, v1
	s_delay_alu instid0(VALU_DEP_4) | instskip(SKIP_3) | instid1(VALU_DEP_4)
	v_add_nc_u32_e32 v48, s11, v11
	v_add_co_ci_u32_e32 v111, vcc_lo, s3, v2, vcc_lo
	v_ashrrev_i32_e32 v87, 31, v86
	v_lshlrev_b64 v[114:115], 4, v[112:113]
	v_add_nc_u32_e32 v82, s11, v48
	v_ashrrev_i32_e32 v12, 31, v11
	s_clause 0x1
	global_load_b128 v[211:214], v[106:107], off
	global_load_b128 v[226:229], v[108:109], off
	s_movk_i32 s10, 0xb0
	s_movk_i32 s12, 0xd0
	v_add_nc_u32_e32 v122, s11, v82
	v_ashrrev_i32_e32 v83, 31, v82
	s_movk_i32 s13, 0xe0
	s_movk_i32 s31, 0x1a0
	s_movk_i32 s33, 0x1b0
	v_add_nc_u32_e32 v124, s11, v122
	v_ashrrev_i32_e32 v123, 31, v122
	s_movk_i32 s34, 0x1c0
	;; [unrolled: 5-line block ×12, first 2 shown]
	s_movk_i32 s65, 0x3b0
	v_add_nc_u32_e64 v225, 0, 16
	v_add_nc_u32_e32 v223, s11, v78
	v_ashrrev_i32_e32 v79, 31, v78
	s_bitcmp0_b32 s21, 0
	s_delay_alu instid0(VALU_DEP_2) | instskip(SKIP_1) | instid1(VALU_DEP_2)
	v_add_nc_u32_e32 v52, s11, v223
	v_ashrrev_i32_e32 v224, 31, v223
	v_add_nc_u32_e32 v54, s11, v52
	v_ashrrev_i32_e32 v53, 31, v52
	s_delay_alu instid0(VALU_DEP_2) | instskip(SKIP_1) | instid1(VALU_DEP_2)
	v_add_nc_u32_e32 v56, s11, v54
	v_ashrrev_i32_e32 v55, 31, v54
	v_add_nc_u32_e32 v58, s11, v56
	v_ashrrev_i32_e32 v57, 31, v56
	;; [unrolled: 5-line block ×4, first 2 shown]
	s_delay_alu instid0(VALU_DEP_2) | instskip(SKIP_2) | instid1(VALU_DEP_2)
	v_add_nc_u32_e32 v104, s11, v66
	v_ashrrev_i32_e32 v67, 31, v66
	s_movk_i32 s11, 0xc0
	v_ashrrev_i32_e32 v105, 31, v104
	s_delay_alu instid0(VALU_DEP_1) | instskip(NEXT) | instid1(VALU_DEP_1)
	v_lshlrev_b64 v[104:105], 4, v[104:105]
	v_add_co_u32 v104, vcc_lo, s2, v104
	s_delay_alu instid0(VALU_DEP_2)
	v_add_co_ci_u32_e32 v105, vcc_lo, s3, v105, vcc_lo
	v_add_co_u32 v112, vcc_lo, s2, v49
	v_add_co_ci_u32_e32 v113, vcc_lo, s3, v50, vcc_lo
	v_lshlrev_b64 v[50:51], 4, v[86:87]
	v_ashrrev_i32_e32 v49, 31, v48
	v_add_co_u32 v114, vcc_lo, s2, v114
	v_lshlrev_b64 v[86:87], 4, v[11:12]
	v_add_co_ci_u32_e32 v115, vcc_lo, s3, v115, vcc_lo
	v_add_co_u32 v116, vcc_lo, s2, v50
	v_lshlrev_b64 v[48:49], 4, v[48:49]
	v_add_co_ci_u32_e32 v117, vcc_lo, s3, v51, vcc_lo
	;; [unrolled: 3-line block ×3, first 2 shown]
	v_add_co_u32 v120, vcc_lo, s2, v48
	v_add_co_ci_u32_e32 v121, vcc_lo, s3, v49, vcc_lo
	v_lshlrev_b64 v[48:49], 4, v[122:123]
	v_add_co_u32 v122, vcc_lo, s2, v50
	v_add_co_ci_u32_e32 v123, vcc_lo, s3, v51, vcc_lo
	v_lshlrev_b64 v[50:51], 4, v[124:125]
	s_delay_alu instid0(VALU_DEP_4) | instskip(SKIP_2) | instid1(VALU_DEP_4)
	v_add_co_u32 v124, vcc_lo, s2, v48
	v_add_co_ci_u32_e32 v125, vcc_lo, s3, v49, vcc_lo
	v_lshlrev_b64 v[48:49], 4, v[126:127]
	v_add_co_u32 v126, vcc_lo, s2, v50
	v_add_co_ci_u32_e32 v127, vcc_lo, s3, v51, vcc_lo
	v_lshlrev_b64 v[50:51], 4, v[128:129]
	s_delay_alu instid0(VALU_DEP_4) | instskip(SKIP_2) | instid1(VALU_DEP_4)
	v_add_co_u32 v128, vcc_lo, s2, v48
	v_add_co_ci_u32_e32 v129, vcc_lo, s3, v49, vcc_lo
	v_lshlrev_b64 v[48:49], 4, v[130:131]
	v_add_co_u32 v130, vcc_lo, s2, v50
	v_add_co_ci_u32_e32 v131, vcc_lo, s3, v51, vcc_lo
	v_lshlrev_b64 v[50:51], 4, v[132:133]
	global_load_b128 v[230:233], v[104:105], off
	s_waitcnt vmcnt(31)
	scratch_store_b128 off, v[3:6], off
	s_waitcnt vmcnt(30)
	scratch_store_b128 off, v[7:10], off offset:16
	s_clause 0x1
	global_load_b128 v[1:4], v[110:111], off
	global_load_b128 v[5:8], v[112:113], off
	s_waitcnt vmcnt(31)
	scratch_store_b128 off, v[14:17], off offset:32
	s_waitcnt vmcnt(30)
	scratch_store_b128 off, v[18:21], off offset:48
	s_clause 0x1
	global_load_b128 v[9:12], v[114:115], off
	global_load_b128 v[14:17], v[116:117], off
	s_waitcnt vmcnt(31)
	scratch_store_b128 off, v[22:25], off offset:64
	s_waitcnt vmcnt(28)
	scratch_store_b128 off, v[26:29], off offset:80
	v_add_co_u32 v132, vcc_lo, s2, v48
	s_clause 0x1
	global_load_b128 v[18:21], v[118:119], off
	global_load_b128 v[22:25], v[120:121], off
	s_waitcnt vmcnt(28)
	s_clause 0x1
	scratch_store_b128 off, v[30:33], off offset:96
	scratch_store_b128 off, v[34:37], off offset:112
	s_clause 0x1
	global_load_b128 v[26:29], v[122:123], off
	global_load_b128 v[30:33], v[124:125], off
	s_waitcnt vmcnt(29)
	s_clause 0x1
	scratch_store_b128 off, v[38:41], off offset:128
	scratch_store_b128 off, v[42:45], off offset:144
	v_add_co_ci_u32_e32 v133, vcc_lo, s3, v49, vcc_lo
	v_lshlrev_b64 v[48:49], 4, v[215:216]
	s_clause 0x1
	global_load_b128 v[34:37], v[126:127], off
	global_load_b128 v[38:41], v[128:129], off
	scratch_store_b128 off, v[134:137], off offset:160
	s_waitcnt vmcnt(30)
	scratch_store_b128 off, v[138:141], off offset:176
	v_add_co_u32 v134, vcc_lo, s2, v50
	v_add_co_ci_u32_e32 v135, vcc_lo, s3, v51, vcc_lo
	v_lshlrev_b64 v[50:51], 4, v[217:218]
	v_add_co_u32 v136, vcc_lo, s2, v48
	v_add_co_ci_u32_e32 v137, vcc_lo, s3, v49, vcc_lo
	v_lshlrev_b64 v[48:49], 4, v[219:220]
	s_delay_alu instid0(VALU_DEP_4) | instskip(SKIP_2) | instid1(VALU_DEP_4)
	v_add_co_u32 v138, vcc_lo, s2, v50
	v_add_co_ci_u32_e32 v139, vcc_lo, s3, v51, vcc_lo
	v_lshlrev_b64 v[50:51], 4, v[221:222]
	v_add_co_u32 v140, vcc_lo, s2, v48
	v_add_co_ci_u32_e32 v141, vcc_lo, s3, v49, vcc_lo
	v_lshlrev_b64 v[48:49], 4, v[246:247]
	s_clause 0x1
	global_load_b128 v[42:45], v[130:131], off
	global_load_b128 v[234:237], v[132:133], off
	s_waitcnt vmcnt(31)
	scratch_store_b128 off, v[142:145], off offset:192
	s_waitcnt vmcnt(30)
	scratch_store_b128 off, v[146:149], off offset:208
	v_add_co_u32 v142, vcc_lo, s2, v50
	v_add_co_ci_u32_e32 v143, vcc_lo, s3, v51, vcc_lo
	v_lshlrev_b64 v[50:51], 4, v[78:79]
	v_add_co_u32 v144, vcc_lo, s2, v48
	v_add_co_ci_u32_e32 v145, vcc_lo, s3, v49, vcc_lo
	v_lshlrev_b64 v[48:49], 4, v[223:224]
	s_delay_alu instid0(VALU_DEP_4) | instskip(SKIP_2) | instid1(VALU_DEP_4)
	v_add_co_u32 v146, vcc_lo, s2, v50
	v_add_co_ci_u32_e32 v147, vcc_lo, s3, v51, vcc_lo
	v_lshlrev_b64 v[50:51], 4, v[52:53]
	v_add_co_u32 v148, vcc_lo, s2, v48
	v_add_co_ci_u32_e32 v149, vcc_lo, s3, v49, vcc_lo
	v_lshlrev_b64 v[48:49], 4, v[54:55]
	s_clause 0x1
	global_load_b128 v[238:241], v[134:135], off
	global_load_b128 v[242:245], v[136:137], off
	s_waitcnt vmcnt(31)
	;; [unrolled: 20-line block ×3, first 2 shown]
	scratch_store_b128 off, v[158:161], off offset:256
	s_waitcnt vmcnt(30)
	scratch_store_b128 off, v[162:165], off offset:272
	v_add_co_u32 v158, vcc_lo, s2, v50
	v_add_co_ci_u32_e32 v159, vcc_lo, s3, v51, vcc_lo
	v_lshlrev_b64 v[50:51], 4, v[64:65]
	v_add_co_u32 v160, vcc_lo, s2, v48
	v_lshlrev_b64 v[52:53], 4, v[66:67]
	v_add_co_ci_u32_e32 v161, vcc_lo, s3, v49, vcc_lo
	s_delay_alu instid0(VALU_DEP_4)
	v_add_co_u32 v162, vcc_lo, s2, v50
	s_clause 0x1
	global_load_b128 v[215:218], v[142:143], off
	global_load_b128 v[219:222], v[144:145], off
	s_waitcnt vmcnt(30)
	scratch_store_b128 off, v[167:170], off offset:288
	s_waitcnt vmcnt(28)
	scratch_store_b128 off, v[171:174], off offset:304
	v_add_co_ci_u32_e32 v163, vcc_lo, s3, v51, vcc_lo
	s_clause 0x1
	global_load_b128 v[167:170], v[146:147], off
	global_load_b128 v[171:174], v[148:149], off
	s_clause 0x1
	scratch_store_b128 off, v[175:178], off offset:320
	scratch_store_b128 off, v[179:182], off offset:336
	v_add_co_u32 v164, vcc_lo, s2, v52
	s_clause 0x1
	global_load_b128 v[175:178], v[150:151], off
	global_load_b128 v[179:182], v[152:153], off
	s_waitcnt vmcnt(31)
	scratch_store_b128 off, v[183:186], off offset:352
	s_waitcnt vmcnt(30)
	scratch_store_b128 off, v[187:190], off offset:368
	;; [unrolled: 2-line block ×5, first 2 shown]
	s_clause 0x4
	global_load_b128 v[188:191], v[154:155], off
	global_load_b128 v[192:195], v[156:157], off
	;; [unrolled: 1-line block ×5, first 2 shown]
	v_add_co_ci_u32_e32 v165, vcc_lo, s3, v53, vcc_lo
	s_waitcnt vmcnt(31)
	scratch_store_b128 off, v[203:206], off offset:432
	s_movk_i32 s2, 0x50
	s_movk_i32 s3, 0x60
	global_load_b128 v[201:204], v[164:165], off
	v_add_nc_u32_e64 v200, 0, 32
	v_add_nc_u32_e64 v206, 0, 48
	;; [unrolled: 1-line block ×3, first 2 shown]
	s_waitcnt vmcnt(31)
	scratch_store_b128 off, v[207:210], off offset:448
	v_add_nc_u32_e64 v205, s2, 0
	v_add_nc_u32_e64 v210, s3, 0
	;; [unrolled: 1-line block ×24, first 2 shown]
	s_waitcnt vmcnt(30)
	scratch_store_b128 off, v[211:214], off offset:464
	s_waitcnt vmcnt(29)
	scratch_store_b128 off, v[226:229], off offset:480
	v_add_nc_u32_e64 v211, s8, 0
	v_add_nc_u32_e64 v214, s10, 0
	;; [unrolled: 1-line block ×7, first 2 shown]
	s_mov_b32 s3, -1
	s_waitcnt vmcnt(27)
	scratch_store_b128 off, v[1:4], off offset:496
	s_waitcnt vmcnt(26)
	scratch_store_b128 off, v[5:8], off offset:512
	v_add_nc_u32_e64 v1, s15, 0
	s_waitcnt vmcnt(25)
	scratch_store_b128 off, v[9:12], off offset:528
	s_waitcnt vmcnt(24)
	scratch_store_b128 off, v[14:17], off offset:544
	s_waitcnt vmcnt(23)
	s_clause 0x1
	scratch_store_b128 off, v[18:21], off offset:560
	scratch_store_b32 off, v1, off offset:960
	s_waitcnt vmcnt(22)
	scratch_store_b128 off, v[22:25], off offset:576
	s_waitcnt vmcnt(21)
	scratch_store_b128 off, v[26:29], off offset:592
	;; [unrolled: 2-line block ×22, first 2 shown]
	v_add_nc_u32_e64 v216, s38, 0
	v_add_nc_u32_e64 v50, s40, 0
	;; [unrolled: 1-line block ×23, first 2 shown]
	s_waitcnt vmcnt(0)
	s_clause 0x1
	scratch_store_b128 off, v[201:204], off offset:928
	scratch_store_b128 off, v[230:233], off offset:944
	s_cbranch_scc1 .LBB59_252
; %bb.4:
	v_cmp_eq_u32_e64 s2, 0, v166
	s_delay_alu instid0(VALU_DEP_1)
	s_and_saveexec_b32 s3, s2
	s_cbranch_execz .LBB59_6
; %bb.5:
	v_mov_b32_e32 v1, 0
	ds_store_b32 v1, v1 offset:1920
.LBB59_6:
	s_or_b32 exec_lo, exec_lo, s3
	s_waitcnt lgkmcnt(0)
	s_waitcnt_vscnt null, 0x0
	s_barrier
	buffer_gl0_inv
	scratch_load_b128 v[1:4], v13, off
	s_waitcnt vmcnt(0)
	v_cmp_eq_f64_e32 vcc_lo, 0, v[1:2]
	v_cmp_eq_f64_e64 s3, 0, v[3:4]
	s_delay_alu instid0(VALU_DEP_1) | instskip(NEXT) | instid1(SALU_CYCLE_1)
	s_and_b32 s3, vcc_lo, s3
	s_and_saveexec_b32 s4, s3
	s_cbranch_execz .LBB59_10
; %bb.7:
	v_mov_b32_e32 v1, 0
	s_mov_b32 s5, 0
	ds_load_b32 v2, v1 offset:1920
	s_waitcnt lgkmcnt(0)
	v_readfirstlane_b32 s3, v2
	v_add_nc_u32_e32 v2, 1, v166
	s_delay_alu instid0(VALU_DEP_2) | instskip(NEXT) | instid1(VALU_DEP_1)
	s_cmp_eq_u32 s3, 0
	v_cmp_gt_i32_e32 vcc_lo, s3, v2
	s_cselect_b32 s8, -1, 0
	s_delay_alu instid0(SALU_CYCLE_1) | instskip(NEXT) | instid1(SALU_CYCLE_1)
	s_or_b32 s8, s8, vcc_lo
	s_and_b32 exec_lo, exec_lo, s8
	s_cbranch_execz .LBB59_10
; %bb.8:
	v_mov_b32_e32 v3, s3
.LBB59_9:                               ; =>This Inner Loop Header: Depth=1
	ds_cmpstore_rtn_b32 v3, v1, v2, v3 offset:1920
	s_waitcnt lgkmcnt(0)
	v_cmp_ne_u32_e32 vcc_lo, 0, v3
	v_cmp_le_i32_e64 s3, v3, v2
	s_delay_alu instid0(VALU_DEP_1) | instskip(NEXT) | instid1(SALU_CYCLE_1)
	s_and_b32 s3, vcc_lo, s3
	s_and_b32 s3, exec_lo, s3
	s_delay_alu instid0(SALU_CYCLE_1) | instskip(NEXT) | instid1(SALU_CYCLE_1)
	s_or_b32 s5, s3, s5
	s_and_not1_b32 exec_lo, exec_lo, s5
	s_cbranch_execnz .LBB59_9
.LBB59_10:
	s_or_b32 exec_lo, exec_lo, s4
	v_mov_b32_e32 v1, 0
	s_barrier
	buffer_gl0_inv
	ds_load_b32 v2, v1 offset:1920
	s_and_saveexec_b32 s3, s2
	s_cbranch_execz .LBB59_12
; %bb.11:
	s_lshl_b64 s[4:5], s[18:19], 2
	s_delay_alu instid0(SALU_CYCLE_1)
	s_add_u32 s4, s6, s4
	s_addc_u32 s5, s7, s5
	s_waitcnt lgkmcnt(0)
	global_store_b32 v1, v2, s[4:5]
.LBB59_12:
	s_or_b32 exec_lo, exec_lo, s3
	s_waitcnt lgkmcnt(0)
	v_cmp_ne_u32_e32 vcc_lo, 0, v2
	s_mov_b32 s3, 0
	s_cbranch_vccnz .LBB59_252
; %bb.13:
	v_add_nc_u32_e32 v14, 0, v13
                                        ; implicit-def: $vgpr9_vgpr10
	scratch_load_b128 v[1:4], v14, off
	s_waitcnt vmcnt(0)
	v_mov_b32_e32 v5, v1
	v_cmp_gt_f64_e32 vcc_lo, 0, v[1:2]
	v_xor_b32_e32 v6, 0x80000000, v2
	v_xor_b32_e32 v7, 0x80000000, v4
	s_delay_alu instid0(VALU_DEP_2) | instskip(SKIP_1) | instid1(VALU_DEP_3)
	v_cndmask_b32_e32 v6, v2, v6, vcc_lo
	v_cmp_gt_f64_e32 vcc_lo, 0, v[3:4]
	v_dual_cndmask_b32 v8, v4, v7 :: v_dual_mov_b32 v7, v3
	s_delay_alu instid0(VALU_DEP_1) | instskip(SKIP_1) | instid1(SALU_CYCLE_1)
	v_cmp_ngt_f64_e32 vcc_lo, v[5:6], v[7:8]
                                        ; implicit-def: $vgpr5_vgpr6
	s_and_saveexec_b32 s3, vcc_lo
	s_xor_b32 s3, exec_lo, s3
	s_cbranch_execz .LBB59_15
; %bb.14:
	v_div_scale_f64 v[5:6], null, v[3:4], v[3:4], v[1:2]
	v_div_scale_f64 v[11:12], vcc_lo, v[1:2], v[3:4], v[1:2]
	s_delay_alu instid0(VALU_DEP_2) | instskip(SKIP_2) | instid1(VALU_DEP_1)
	v_rcp_f64_e32 v[7:8], v[5:6]
	s_waitcnt_depctr 0xfff
	v_fma_f64 v[9:10], -v[5:6], v[7:8], 1.0
	v_fma_f64 v[7:8], v[7:8], v[9:10], v[7:8]
	s_delay_alu instid0(VALU_DEP_1) | instskip(NEXT) | instid1(VALU_DEP_1)
	v_fma_f64 v[9:10], -v[5:6], v[7:8], 1.0
	v_fma_f64 v[7:8], v[7:8], v[9:10], v[7:8]
	s_delay_alu instid0(VALU_DEP_1) | instskip(NEXT) | instid1(VALU_DEP_1)
	v_mul_f64 v[9:10], v[11:12], v[7:8]
	v_fma_f64 v[5:6], -v[5:6], v[9:10], v[11:12]
	s_delay_alu instid0(VALU_DEP_1) | instskip(NEXT) | instid1(VALU_DEP_1)
	v_div_fmas_f64 v[5:6], v[5:6], v[7:8], v[9:10]
	v_div_fixup_f64 v[5:6], v[5:6], v[3:4], v[1:2]
	s_delay_alu instid0(VALU_DEP_1) | instskip(NEXT) | instid1(VALU_DEP_1)
	v_fma_f64 v[1:2], v[1:2], v[5:6], v[3:4]
	v_div_scale_f64 v[3:4], null, v[1:2], v[1:2], 1.0
	v_div_scale_f64 v[11:12], vcc_lo, 1.0, v[1:2], 1.0
	s_delay_alu instid0(VALU_DEP_2) | instskip(SKIP_2) | instid1(VALU_DEP_1)
	v_rcp_f64_e32 v[7:8], v[3:4]
	s_waitcnt_depctr 0xfff
	v_fma_f64 v[9:10], -v[3:4], v[7:8], 1.0
	v_fma_f64 v[7:8], v[7:8], v[9:10], v[7:8]
	s_delay_alu instid0(VALU_DEP_1) | instskip(NEXT) | instid1(VALU_DEP_1)
	v_fma_f64 v[9:10], -v[3:4], v[7:8], 1.0
	v_fma_f64 v[7:8], v[7:8], v[9:10], v[7:8]
	s_delay_alu instid0(VALU_DEP_1) | instskip(NEXT) | instid1(VALU_DEP_1)
	v_mul_f64 v[9:10], v[11:12], v[7:8]
	v_fma_f64 v[3:4], -v[3:4], v[9:10], v[11:12]
	s_delay_alu instid0(VALU_DEP_1) | instskip(NEXT) | instid1(VALU_DEP_1)
	v_div_fmas_f64 v[3:4], v[3:4], v[7:8], v[9:10]
	v_div_fixup_f64 v[7:8], v[3:4], v[1:2], 1.0
                                        ; implicit-def: $vgpr1_vgpr2
	s_delay_alu instid0(VALU_DEP_1) | instskip(SKIP_1) | instid1(VALU_DEP_2)
	v_mul_f64 v[5:6], v[5:6], v[7:8]
	v_xor_b32_e32 v8, 0x80000000, v8
	v_xor_b32_e32 v10, 0x80000000, v6
	s_delay_alu instid0(VALU_DEP_3)
	v_mov_b32_e32 v9, v5
.LBB59_15:
	s_and_not1_saveexec_b32 s3, s3
	s_cbranch_execz .LBB59_17
; %bb.16:
	v_div_scale_f64 v[5:6], null, v[1:2], v[1:2], v[3:4]
	v_div_scale_f64 v[11:12], vcc_lo, v[3:4], v[1:2], v[3:4]
	s_delay_alu instid0(VALU_DEP_2) | instskip(SKIP_2) | instid1(VALU_DEP_1)
	v_rcp_f64_e32 v[7:8], v[5:6]
	s_waitcnt_depctr 0xfff
	v_fma_f64 v[9:10], -v[5:6], v[7:8], 1.0
	v_fma_f64 v[7:8], v[7:8], v[9:10], v[7:8]
	s_delay_alu instid0(VALU_DEP_1) | instskip(NEXT) | instid1(VALU_DEP_1)
	v_fma_f64 v[9:10], -v[5:6], v[7:8], 1.0
	v_fma_f64 v[7:8], v[7:8], v[9:10], v[7:8]
	s_delay_alu instid0(VALU_DEP_1) | instskip(NEXT) | instid1(VALU_DEP_1)
	v_mul_f64 v[9:10], v[11:12], v[7:8]
	v_fma_f64 v[5:6], -v[5:6], v[9:10], v[11:12]
	s_delay_alu instid0(VALU_DEP_1) | instskip(NEXT) | instid1(VALU_DEP_1)
	v_div_fmas_f64 v[5:6], v[5:6], v[7:8], v[9:10]
	v_div_fixup_f64 v[7:8], v[5:6], v[1:2], v[3:4]
	s_delay_alu instid0(VALU_DEP_1) | instskip(NEXT) | instid1(VALU_DEP_1)
	v_fma_f64 v[1:2], v[3:4], v[7:8], v[1:2]
	v_div_scale_f64 v[3:4], null, v[1:2], v[1:2], 1.0
	s_delay_alu instid0(VALU_DEP_1) | instskip(SKIP_2) | instid1(VALU_DEP_1)
	v_rcp_f64_e32 v[5:6], v[3:4]
	s_waitcnt_depctr 0xfff
	v_fma_f64 v[9:10], -v[3:4], v[5:6], 1.0
	v_fma_f64 v[5:6], v[5:6], v[9:10], v[5:6]
	s_delay_alu instid0(VALU_DEP_1) | instskip(NEXT) | instid1(VALU_DEP_1)
	v_fma_f64 v[9:10], -v[3:4], v[5:6], 1.0
	v_fma_f64 v[5:6], v[5:6], v[9:10], v[5:6]
	v_div_scale_f64 v[9:10], vcc_lo, 1.0, v[1:2], 1.0
	s_delay_alu instid0(VALU_DEP_1) | instskip(NEXT) | instid1(VALU_DEP_1)
	v_mul_f64 v[11:12], v[9:10], v[5:6]
	v_fma_f64 v[3:4], -v[3:4], v[11:12], v[9:10]
	s_delay_alu instid0(VALU_DEP_1) | instskip(NEXT) | instid1(VALU_DEP_1)
	v_div_fmas_f64 v[3:4], v[3:4], v[5:6], v[11:12]
	v_div_fixup_f64 v[5:6], v[3:4], v[1:2], 1.0
	s_delay_alu instid0(VALU_DEP_1)
	v_mul_f64 v[7:8], v[7:8], -v[5:6]
	v_xor_b32_e32 v10, 0x80000000, v6
	v_mov_b32_e32 v9, v5
.LBB59_17:
	s_or_b32 exec_lo, exec_lo, s3
	scratch_store_b128 v14, v[5:8], off
	scratch_load_b128 v[1:4], v225, off
	v_xor_b32_e32 v12, 0x80000000, v8
	v_mov_b32_e32 v11, v7
	v_add_nc_u32_e32 v5, 0x3c0, v13
	ds_store_b128 v13, v[9:12]
	s_waitcnt vmcnt(0)
	ds_store_b128 v13, v[1:4] offset:960
	s_waitcnt lgkmcnt(0)
	s_waitcnt_vscnt null, 0x0
	s_barrier
	buffer_gl0_inv
	s_and_saveexec_b32 s3, s2
	s_cbranch_execz .LBB59_19
; %bb.18:
	scratch_load_b128 v[1:4], v14, off
	ds_load_b128 v[6:9], v5
	v_mov_b32_e32 v10, 0
	ds_load_b128 v[15:18], v10 offset:16
	s_waitcnt vmcnt(0) lgkmcnt(1)
	v_mul_f64 v[10:11], v[6:7], v[3:4]
	v_mul_f64 v[3:4], v[8:9], v[3:4]
	s_delay_alu instid0(VALU_DEP_2) | instskip(NEXT) | instid1(VALU_DEP_2)
	v_fma_f64 v[8:9], v[8:9], v[1:2], v[10:11]
	v_fma_f64 v[1:2], v[6:7], v[1:2], -v[3:4]
	s_delay_alu instid0(VALU_DEP_2) | instskip(NEXT) | instid1(VALU_DEP_2)
	v_add_f64 v[3:4], v[8:9], 0
	v_add_f64 v[1:2], v[1:2], 0
	s_waitcnt lgkmcnt(0)
	s_delay_alu instid0(VALU_DEP_2) | instskip(NEXT) | instid1(VALU_DEP_2)
	v_mul_f64 v[6:7], v[3:4], v[17:18]
	v_mul_f64 v[8:9], v[1:2], v[17:18]
	s_delay_alu instid0(VALU_DEP_2) | instskip(NEXT) | instid1(VALU_DEP_2)
	v_fma_f64 v[1:2], v[1:2], v[15:16], -v[6:7]
	v_fma_f64 v[3:4], v[3:4], v[15:16], v[8:9]
	scratch_store_b128 off, v[1:4], off offset:16
.LBB59_19:
	s_or_b32 exec_lo, exec_lo, s3
	s_waitcnt_vscnt null, 0x0
	s_barrier
	buffer_gl0_inv
	scratch_load_b128 v[1:4], v200, off
	s_mov_b32 s3, exec_lo
	s_waitcnt vmcnt(0)
	ds_store_b128 v5, v[1:4]
	s_waitcnt lgkmcnt(0)
	s_barrier
	buffer_gl0_inv
	v_cmpx_gt_u32_e32 2, v166
	s_cbranch_execz .LBB59_23
; %bb.20:
	scratch_load_b128 v[1:4], v14, off
	ds_load_b128 v[6:9], v5
	s_waitcnt vmcnt(0) lgkmcnt(0)
	v_mul_f64 v[10:11], v[8:9], v[3:4]
	v_mul_f64 v[3:4], v[6:7], v[3:4]
	s_delay_alu instid0(VALU_DEP_2) | instskip(NEXT) | instid1(VALU_DEP_2)
	v_fma_f64 v[6:7], v[6:7], v[1:2], -v[10:11]
	v_fma_f64 v[3:4], v[8:9], v[1:2], v[3:4]
	s_delay_alu instid0(VALU_DEP_2) | instskip(NEXT) | instid1(VALU_DEP_2)
	v_add_f64 v[1:2], v[6:7], 0
	v_add_f64 v[3:4], v[3:4], 0
	s_and_saveexec_b32 s4, s2
	s_cbranch_execz .LBB59_22
; %bb.21:
	scratch_load_b128 v[6:9], off, off offset:16
	v_mov_b32_e32 v10, 0
	ds_load_b128 v[15:18], v10 offset:976
	s_waitcnt vmcnt(0) lgkmcnt(0)
	v_mul_f64 v[10:11], v[15:16], v[8:9]
	v_mul_f64 v[8:9], v[17:18], v[8:9]
	s_delay_alu instid0(VALU_DEP_2) | instskip(NEXT) | instid1(VALU_DEP_2)
	v_fma_f64 v[10:11], v[17:18], v[6:7], v[10:11]
	v_fma_f64 v[6:7], v[15:16], v[6:7], -v[8:9]
	s_delay_alu instid0(VALU_DEP_2) | instskip(NEXT) | instid1(VALU_DEP_2)
	v_add_f64 v[3:4], v[3:4], v[10:11]
	v_add_f64 v[1:2], v[1:2], v[6:7]
.LBB59_22:
	s_or_b32 exec_lo, exec_lo, s4
	v_mov_b32_e32 v6, 0
	ds_load_b128 v[6:9], v6 offset:32
	s_waitcnt lgkmcnt(0)
	v_mul_f64 v[10:11], v[3:4], v[8:9]
	v_mul_f64 v[8:9], v[1:2], v[8:9]
	s_delay_alu instid0(VALU_DEP_2) | instskip(NEXT) | instid1(VALU_DEP_2)
	v_fma_f64 v[1:2], v[1:2], v[6:7], -v[10:11]
	v_fma_f64 v[3:4], v[3:4], v[6:7], v[8:9]
	scratch_store_b128 off, v[1:4], off offset:32
.LBB59_23:
	s_or_b32 exec_lo, exec_lo, s3
	s_waitcnt_vscnt null, 0x0
	s_barrier
	buffer_gl0_inv
	scratch_load_b128 v[1:4], v206, off
	v_add_nc_u32_e32 v6, -1, v166
	s_mov_b32 s2, exec_lo
	s_waitcnt vmcnt(0)
	ds_store_b128 v5, v[1:4]
	s_waitcnt lgkmcnt(0)
	s_barrier
	buffer_gl0_inv
	v_cmpx_gt_u32_e32 3, v166
	s_cbranch_execz .LBB59_27
; %bb.24:
	v_dual_mov_b32 v1, 0 :: v_dual_add_nc_u32 v8, 0x3c0, v13
	v_dual_mov_b32 v2, 0 :: v_dual_add_nc_u32 v7, -1, v166
	v_or_b32_e32 v9, 8, v14
	s_mov_b32 s3, 0
	s_delay_alu instid0(VALU_DEP_2)
	v_dual_mov_b32 v4, v2 :: v_dual_mov_b32 v3, v1
	.p2align	6
.LBB59_25:                              ; =>This Inner Loop Header: Depth=1
	scratch_load_b128 v[15:18], v9, off offset:-8
	ds_load_b128 v[19:22], v8
	v_add_nc_u32_e32 v7, 1, v7
	v_add_nc_u32_e32 v8, 16, v8
	;; [unrolled: 1-line block ×3, first 2 shown]
	s_delay_alu instid0(VALU_DEP_3) | instskip(SKIP_4) | instid1(VALU_DEP_2)
	v_cmp_lt_u32_e32 vcc_lo, 1, v7
	s_or_b32 s3, vcc_lo, s3
	s_waitcnt vmcnt(0) lgkmcnt(0)
	v_mul_f64 v[10:11], v[21:22], v[17:18]
	v_mul_f64 v[17:18], v[19:20], v[17:18]
	v_fma_f64 v[10:11], v[19:20], v[15:16], -v[10:11]
	s_delay_alu instid0(VALU_DEP_2) | instskip(NEXT) | instid1(VALU_DEP_2)
	v_fma_f64 v[15:16], v[21:22], v[15:16], v[17:18]
	v_add_f64 v[3:4], v[3:4], v[10:11]
	s_delay_alu instid0(VALU_DEP_2)
	v_add_f64 v[1:2], v[1:2], v[15:16]
	s_and_not1_b32 exec_lo, exec_lo, s3
	s_cbranch_execnz .LBB59_25
; %bb.26:
	s_or_b32 exec_lo, exec_lo, s3
	v_mov_b32_e32 v7, 0
	ds_load_b128 v[7:10], v7 offset:48
	s_waitcnt lgkmcnt(0)
	v_mul_f64 v[11:12], v[1:2], v[9:10]
	v_mul_f64 v[15:16], v[3:4], v[9:10]
	s_delay_alu instid0(VALU_DEP_2) | instskip(NEXT) | instid1(VALU_DEP_2)
	v_fma_f64 v[9:10], v[3:4], v[7:8], -v[11:12]
	v_fma_f64 v[11:12], v[1:2], v[7:8], v[15:16]
	scratch_store_b128 off, v[9:12], off offset:48
.LBB59_27:
	s_or_b32 exec_lo, exec_lo, s2
	s_waitcnt_vscnt null, 0x0
	s_barrier
	buffer_gl0_inv
	scratch_load_b128 v[1:4], v187, off
	s_mov_b32 s2, exec_lo
	s_waitcnt vmcnt(0)
	ds_store_b128 v5, v[1:4]
	s_waitcnt lgkmcnt(0)
	s_barrier
	buffer_gl0_inv
	v_cmpx_gt_u32_e32 4, v166
	s_cbranch_execz .LBB59_31
; %bb.28:
	v_dual_mov_b32 v1, 0 :: v_dual_add_nc_u32 v8, 0x3c0, v13
	v_dual_mov_b32 v2, 0 :: v_dual_add_nc_u32 v7, -1, v166
	v_or_b32_e32 v9, 8, v14
	s_mov_b32 s3, 0
	s_delay_alu instid0(VALU_DEP_2)
	v_dual_mov_b32 v4, v2 :: v_dual_mov_b32 v3, v1
	.p2align	6
.LBB59_29:                              ; =>This Inner Loop Header: Depth=1
	scratch_load_b128 v[15:18], v9, off offset:-8
	ds_load_b128 v[19:22], v8
	v_add_nc_u32_e32 v7, 1, v7
	v_add_nc_u32_e32 v8, 16, v8
	;; [unrolled: 1-line block ×3, first 2 shown]
	s_delay_alu instid0(VALU_DEP_3) | instskip(SKIP_4) | instid1(VALU_DEP_2)
	v_cmp_lt_u32_e32 vcc_lo, 2, v7
	s_or_b32 s3, vcc_lo, s3
	s_waitcnt vmcnt(0) lgkmcnt(0)
	v_mul_f64 v[10:11], v[21:22], v[17:18]
	v_mul_f64 v[17:18], v[19:20], v[17:18]
	v_fma_f64 v[10:11], v[19:20], v[15:16], -v[10:11]
	s_delay_alu instid0(VALU_DEP_2) | instskip(NEXT) | instid1(VALU_DEP_2)
	v_fma_f64 v[15:16], v[21:22], v[15:16], v[17:18]
	v_add_f64 v[3:4], v[3:4], v[10:11]
	s_delay_alu instid0(VALU_DEP_2)
	v_add_f64 v[1:2], v[1:2], v[15:16]
	s_and_not1_b32 exec_lo, exec_lo, s3
	s_cbranch_execnz .LBB59_29
; %bb.30:
	s_or_b32 exec_lo, exec_lo, s3
	v_mov_b32_e32 v7, 0
	ds_load_b128 v[7:10], v7 offset:64
	s_waitcnt lgkmcnt(0)
	v_mul_f64 v[11:12], v[1:2], v[9:10]
	v_mul_f64 v[15:16], v[3:4], v[9:10]
	s_delay_alu instid0(VALU_DEP_2) | instskip(NEXT) | instid1(VALU_DEP_2)
	v_fma_f64 v[9:10], v[3:4], v[7:8], -v[11:12]
	v_fma_f64 v[11:12], v[1:2], v[7:8], v[15:16]
	scratch_store_b128 off, v[9:12], off offset:64
.LBB59_31:
	s_or_b32 exec_lo, exec_lo, s2
	s_waitcnt_vscnt null, 0x0
	s_barrier
	buffer_gl0_inv
	scratch_load_b128 v[1:4], v205, off
	s_mov_b32 s2, exec_lo
	s_waitcnt vmcnt(0)
	ds_store_b128 v5, v[1:4]
	s_waitcnt lgkmcnt(0)
	s_barrier
	buffer_gl0_inv
	v_cmpx_gt_u32_e32 5, v166
	s_cbranch_execz .LBB59_35
; %bb.32:
	v_dual_mov_b32 v1, 0 :: v_dual_add_nc_u32 v8, 0x3c0, v13
	v_dual_mov_b32 v2, 0 :: v_dual_add_nc_u32 v7, -1, v166
	v_or_b32_e32 v9, 8, v14
	s_mov_b32 s3, 0
	s_delay_alu instid0(VALU_DEP_2)
	v_dual_mov_b32 v4, v2 :: v_dual_mov_b32 v3, v1
	.p2align	6
.LBB59_33:                              ; =>This Inner Loop Header: Depth=1
	scratch_load_b128 v[15:18], v9, off offset:-8
	ds_load_b128 v[19:22], v8
	v_add_nc_u32_e32 v7, 1, v7
	v_add_nc_u32_e32 v8, 16, v8
	;; [unrolled: 1-line block ×3, first 2 shown]
	s_delay_alu instid0(VALU_DEP_3) | instskip(SKIP_4) | instid1(VALU_DEP_2)
	v_cmp_lt_u32_e32 vcc_lo, 3, v7
	s_or_b32 s3, vcc_lo, s3
	s_waitcnt vmcnt(0) lgkmcnt(0)
	v_mul_f64 v[10:11], v[21:22], v[17:18]
	v_mul_f64 v[17:18], v[19:20], v[17:18]
	v_fma_f64 v[10:11], v[19:20], v[15:16], -v[10:11]
	s_delay_alu instid0(VALU_DEP_2) | instskip(NEXT) | instid1(VALU_DEP_2)
	v_fma_f64 v[15:16], v[21:22], v[15:16], v[17:18]
	v_add_f64 v[3:4], v[3:4], v[10:11]
	s_delay_alu instid0(VALU_DEP_2)
	v_add_f64 v[1:2], v[1:2], v[15:16]
	s_and_not1_b32 exec_lo, exec_lo, s3
	s_cbranch_execnz .LBB59_33
; %bb.34:
	s_or_b32 exec_lo, exec_lo, s3
	v_mov_b32_e32 v7, 0
	ds_load_b128 v[7:10], v7 offset:80
	s_waitcnt lgkmcnt(0)
	v_mul_f64 v[11:12], v[1:2], v[9:10]
	v_mul_f64 v[15:16], v[3:4], v[9:10]
	s_delay_alu instid0(VALU_DEP_2) | instskip(NEXT) | instid1(VALU_DEP_2)
	v_fma_f64 v[9:10], v[3:4], v[7:8], -v[11:12]
	v_fma_f64 v[11:12], v[1:2], v[7:8], v[15:16]
	scratch_store_b128 off, v[9:12], off offset:80
.LBB59_35:
	s_or_b32 exec_lo, exec_lo, s2
	s_waitcnt_vscnt null, 0x0
	s_barrier
	buffer_gl0_inv
	scratch_load_b128 v[1:4], v210, off
	s_mov_b32 s2, exec_lo
	s_waitcnt vmcnt(0)
	ds_store_b128 v5, v[1:4]
	s_waitcnt lgkmcnt(0)
	s_barrier
	buffer_gl0_inv
	v_cmpx_gt_u32_e32 6, v166
	s_cbranch_execz .LBB59_39
; %bb.36:
	v_dual_mov_b32 v1, 0 :: v_dual_add_nc_u32 v8, 0x3c0, v13
	v_dual_mov_b32 v2, 0 :: v_dual_add_nc_u32 v7, -1, v166
	v_or_b32_e32 v9, 8, v14
	s_mov_b32 s3, 0
	s_delay_alu instid0(VALU_DEP_2)
	v_dual_mov_b32 v4, v2 :: v_dual_mov_b32 v3, v1
	.p2align	6
.LBB59_37:                              ; =>This Inner Loop Header: Depth=1
	scratch_load_b128 v[15:18], v9, off offset:-8
	ds_load_b128 v[19:22], v8
	v_add_nc_u32_e32 v7, 1, v7
	v_add_nc_u32_e32 v8, 16, v8
	;; [unrolled: 1-line block ×3, first 2 shown]
	s_delay_alu instid0(VALU_DEP_3) | instskip(SKIP_4) | instid1(VALU_DEP_2)
	v_cmp_lt_u32_e32 vcc_lo, 4, v7
	s_or_b32 s3, vcc_lo, s3
	s_waitcnt vmcnt(0) lgkmcnt(0)
	v_mul_f64 v[10:11], v[21:22], v[17:18]
	v_mul_f64 v[17:18], v[19:20], v[17:18]
	v_fma_f64 v[10:11], v[19:20], v[15:16], -v[10:11]
	s_delay_alu instid0(VALU_DEP_2) | instskip(NEXT) | instid1(VALU_DEP_2)
	v_fma_f64 v[15:16], v[21:22], v[15:16], v[17:18]
	v_add_f64 v[3:4], v[3:4], v[10:11]
	s_delay_alu instid0(VALU_DEP_2)
	v_add_f64 v[1:2], v[1:2], v[15:16]
	s_and_not1_b32 exec_lo, exec_lo, s3
	s_cbranch_execnz .LBB59_37
; %bb.38:
	s_or_b32 exec_lo, exec_lo, s3
	v_mov_b32_e32 v7, 0
	ds_load_b128 v[7:10], v7 offset:96
	s_waitcnt lgkmcnt(0)
	v_mul_f64 v[11:12], v[1:2], v[9:10]
	v_mul_f64 v[15:16], v[3:4], v[9:10]
	s_delay_alu instid0(VALU_DEP_2) | instskip(NEXT) | instid1(VALU_DEP_2)
	v_fma_f64 v[9:10], v[3:4], v[7:8], -v[11:12]
	v_fma_f64 v[11:12], v[1:2], v[7:8], v[15:16]
	scratch_store_b128 off, v[9:12], off offset:96
.LBB59_39:
	s_or_b32 exec_lo, exec_lo, s2
	s_waitcnt_vscnt null, 0x0
	s_barrier
	buffer_gl0_inv
	scratch_load_b128 v[1:4], v209, off
	s_mov_b32 s2, exec_lo
	s_waitcnt vmcnt(0)
	ds_store_b128 v5, v[1:4]
	s_waitcnt lgkmcnt(0)
	s_barrier
	buffer_gl0_inv
	v_cmpx_gt_u32_e32 7, v166
	s_cbranch_execz .LBB59_43
; %bb.40:
	v_dual_mov_b32 v1, 0 :: v_dual_add_nc_u32 v8, 0x3c0, v13
	v_dual_mov_b32 v2, 0 :: v_dual_add_nc_u32 v7, -1, v166
	v_or_b32_e32 v9, 8, v14
	s_mov_b32 s3, 0
	s_delay_alu instid0(VALU_DEP_2)
	v_dual_mov_b32 v4, v2 :: v_dual_mov_b32 v3, v1
	.p2align	6
.LBB59_41:                              ; =>This Inner Loop Header: Depth=1
	scratch_load_b128 v[15:18], v9, off offset:-8
	ds_load_b128 v[19:22], v8
	v_add_nc_u32_e32 v7, 1, v7
	v_add_nc_u32_e32 v8, 16, v8
	;; [unrolled: 1-line block ×3, first 2 shown]
	s_delay_alu instid0(VALU_DEP_3) | instskip(SKIP_4) | instid1(VALU_DEP_2)
	v_cmp_lt_u32_e32 vcc_lo, 5, v7
	s_or_b32 s3, vcc_lo, s3
	s_waitcnt vmcnt(0) lgkmcnt(0)
	v_mul_f64 v[10:11], v[21:22], v[17:18]
	v_mul_f64 v[17:18], v[19:20], v[17:18]
	v_fma_f64 v[10:11], v[19:20], v[15:16], -v[10:11]
	s_delay_alu instid0(VALU_DEP_2) | instskip(NEXT) | instid1(VALU_DEP_2)
	v_fma_f64 v[15:16], v[21:22], v[15:16], v[17:18]
	v_add_f64 v[3:4], v[3:4], v[10:11]
	s_delay_alu instid0(VALU_DEP_2)
	v_add_f64 v[1:2], v[1:2], v[15:16]
	s_and_not1_b32 exec_lo, exec_lo, s3
	s_cbranch_execnz .LBB59_41
; %bb.42:
	s_or_b32 exec_lo, exec_lo, s3
	v_mov_b32_e32 v7, 0
	ds_load_b128 v[7:10], v7 offset:112
	s_waitcnt lgkmcnt(0)
	v_mul_f64 v[11:12], v[1:2], v[9:10]
	v_mul_f64 v[15:16], v[3:4], v[9:10]
	s_delay_alu instid0(VALU_DEP_2) | instskip(NEXT) | instid1(VALU_DEP_2)
	v_fma_f64 v[9:10], v[3:4], v[7:8], -v[11:12]
	v_fma_f64 v[11:12], v[1:2], v[7:8], v[15:16]
	scratch_store_b128 off, v[9:12], off offset:112
.LBB59_43:
	s_or_b32 exec_lo, exec_lo, s2
	s_waitcnt_vscnt null, 0x0
	s_barrier
	buffer_gl0_inv
	scratch_load_b128 v[1:4], v207, off
	s_mov_b32 s2, exec_lo
	s_waitcnt vmcnt(0)
	ds_store_b128 v5, v[1:4]
	s_waitcnt lgkmcnt(0)
	s_barrier
	buffer_gl0_inv
	v_cmpx_gt_u32_e32 8, v166
	s_cbranch_execz .LBB59_47
; %bb.44:
	v_dual_mov_b32 v1, 0 :: v_dual_add_nc_u32 v8, 0x3c0, v13
	v_dual_mov_b32 v2, 0 :: v_dual_add_nc_u32 v7, -1, v166
	v_or_b32_e32 v9, 8, v14
	s_mov_b32 s3, 0
	s_delay_alu instid0(VALU_DEP_2)
	v_dual_mov_b32 v4, v2 :: v_dual_mov_b32 v3, v1
	.p2align	6
.LBB59_45:                              ; =>This Inner Loop Header: Depth=1
	scratch_load_b128 v[15:18], v9, off offset:-8
	ds_load_b128 v[19:22], v8
	v_add_nc_u32_e32 v7, 1, v7
	v_add_nc_u32_e32 v8, 16, v8
	;; [unrolled: 1-line block ×3, first 2 shown]
	s_delay_alu instid0(VALU_DEP_3) | instskip(SKIP_4) | instid1(VALU_DEP_2)
	v_cmp_lt_u32_e32 vcc_lo, 6, v7
	s_or_b32 s3, vcc_lo, s3
	s_waitcnt vmcnt(0) lgkmcnt(0)
	v_mul_f64 v[10:11], v[21:22], v[17:18]
	v_mul_f64 v[17:18], v[19:20], v[17:18]
	v_fma_f64 v[10:11], v[19:20], v[15:16], -v[10:11]
	s_delay_alu instid0(VALU_DEP_2) | instskip(NEXT) | instid1(VALU_DEP_2)
	v_fma_f64 v[15:16], v[21:22], v[15:16], v[17:18]
	v_add_f64 v[3:4], v[3:4], v[10:11]
	s_delay_alu instid0(VALU_DEP_2)
	v_add_f64 v[1:2], v[1:2], v[15:16]
	s_and_not1_b32 exec_lo, exec_lo, s3
	s_cbranch_execnz .LBB59_45
; %bb.46:
	s_or_b32 exec_lo, exec_lo, s3
	v_mov_b32_e32 v7, 0
	ds_load_b128 v[7:10], v7 offset:128
	s_waitcnt lgkmcnt(0)
	v_mul_f64 v[11:12], v[1:2], v[9:10]
	v_mul_f64 v[15:16], v[3:4], v[9:10]
	s_delay_alu instid0(VALU_DEP_2) | instskip(NEXT) | instid1(VALU_DEP_2)
	v_fma_f64 v[9:10], v[3:4], v[7:8], -v[11:12]
	v_fma_f64 v[11:12], v[1:2], v[7:8], v[15:16]
	scratch_store_b128 off, v[9:12], off offset:128
.LBB59_47:
	s_or_b32 exec_lo, exec_lo, s2
	s_waitcnt_vscnt null, 0x0
	s_barrier
	buffer_gl0_inv
	scratch_load_b128 v[1:4], v211, off
	s_mov_b32 s2, exec_lo
	s_waitcnt vmcnt(0)
	ds_store_b128 v5, v[1:4]
	s_waitcnt lgkmcnt(0)
	s_barrier
	buffer_gl0_inv
	v_cmpx_gt_u32_e32 9, v166
	s_cbranch_execz .LBB59_51
; %bb.48:
	v_dual_mov_b32 v1, 0 :: v_dual_add_nc_u32 v8, 0x3c0, v13
	v_dual_mov_b32 v2, 0 :: v_dual_add_nc_u32 v7, -1, v166
	v_or_b32_e32 v9, 8, v14
	s_mov_b32 s3, 0
	s_delay_alu instid0(VALU_DEP_2)
	v_dual_mov_b32 v4, v2 :: v_dual_mov_b32 v3, v1
	.p2align	6
.LBB59_49:                              ; =>This Inner Loop Header: Depth=1
	scratch_load_b128 v[15:18], v9, off offset:-8
	ds_load_b128 v[19:22], v8
	v_add_nc_u32_e32 v7, 1, v7
	v_add_nc_u32_e32 v8, 16, v8
	v_add_nc_u32_e32 v9, 16, v9
	s_delay_alu instid0(VALU_DEP_3) | instskip(SKIP_4) | instid1(VALU_DEP_2)
	v_cmp_lt_u32_e32 vcc_lo, 7, v7
	s_or_b32 s3, vcc_lo, s3
	s_waitcnt vmcnt(0) lgkmcnt(0)
	v_mul_f64 v[10:11], v[21:22], v[17:18]
	v_mul_f64 v[17:18], v[19:20], v[17:18]
	v_fma_f64 v[10:11], v[19:20], v[15:16], -v[10:11]
	s_delay_alu instid0(VALU_DEP_2) | instskip(NEXT) | instid1(VALU_DEP_2)
	v_fma_f64 v[15:16], v[21:22], v[15:16], v[17:18]
	v_add_f64 v[3:4], v[3:4], v[10:11]
	s_delay_alu instid0(VALU_DEP_2)
	v_add_f64 v[1:2], v[1:2], v[15:16]
	s_and_not1_b32 exec_lo, exec_lo, s3
	s_cbranch_execnz .LBB59_49
; %bb.50:
	s_or_b32 exec_lo, exec_lo, s3
	v_mov_b32_e32 v7, 0
	ds_load_b128 v[7:10], v7 offset:144
	s_waitcnt lgkmcnt(0)
	v_mul_f64 v[11:12], v[1:2], v[9:10]
	v_mul_f64 v[15:16], v[3:4], v[9:10]
	s_delay_alu instid0(VALU_DEP_2) | instskip(NEXT) | instid1(VALU_DEP_2)
	v_fma_f64 v[9:10], v[3:4], v[7:8], -v[11:12]
	v_fma_f64 v[11:12], v[1:2], v[7:8], v[15:16]
	scratch_store_b128 off, v[9:12], off offset:144
.LBB59_51:
	s_or_b32 exec_lo, exec_lo, s2
	s_waitcnt_vscnt null, 0x0
	s_barrier
	buffer_gl0_inv
	scratch_load_b128 v[1:4], v208, off
	s_mov_b32 s2, exec_lo
	s_waitcnt vmcnt(0)
	ds_store_b128 v5, v[1:4]
	s_waitcnt lgkmcnt(0)
	s_barrier
	buffer_gl0_inv
	v_cmpx_gt_u32_e32 10, v166
	s_cbranch_execz .LBB59_55
; %bb.52:
	v_dual_mov_b32 v1, 0 :: v_dual_add_nc_u32 v8, 0x3c0, v13
	v_dual_mov_b32 v2, 0 :: v_dual_add_nc_u32 v7, -1, v166
	v_or_b32_e32 v9, 8, v14
	s_mov_b32 s3, 0
	s_delay_alu instid0(VALU_DEP_2)
	v_dual_mov_b32 v4, v2 :: v_dual_mov_b32 v3, v1
	.p2align	6
.LBB59_53:                              ; =>This Inner Loop Header: Depth=1
	scratch_load_b128 v[15:18], v9, off offset:-8
	ds_load_b128 v[19:22], v8
	v_add_nc_u32_e32 v7, 1, v7
	v_add_nc_u32_e32 v8, 16, v8
	;; [unrolled: 1-line block ×3, first 2 shown]
	s_delay_alu instid0(VALU_DEP_3) | instskip(SKIP_4) | instid1(VALU_DEP_2)
	v_cmp_lt_u32_e32 vcc_lo, 8, v7
	s_or_b32 s3, vcc_lo, s3
	s_waitcnt vmcnt(0) lgkmcnt(0)
	v_mul_f64 v[10:11], v[21:22], v[17:18]
	v_mul_f64 v[17:18], v[19:20], v[17:18]
	v_fma_f64 v[10:11], v[19:20], v[15:16], -v[10:11]
	s_delay_alu instid0(VALU_DEP_2) | instskip(NEXT) | instid1(VALU_DEP_2)
	v_fma_f64 v[15:16], v[21:22], v[15:16], v[17:18]
	v_add_f64 v[3:4], v[3:4], v[10:11]
	s_delay_alu instid0(VALU_DEP_2)
	v_add_f64 v[1:2], v[1:2], v[15:16]
	s_and_not1_b32 exec_lo, exec_lo, s3
	s_cbranch_execnz .LBB59_53
; %bb.54:
	s_or_b32 exec_lo, exec_lo, s3
	v_mov_b32_e32 v7, 0
	ds_load_b128 v[7:10], v7 offset:160
	s_waitcnt lgkmcnt(0)
	v_mul_f64 v[11:12], v[1:2], v[9:10]
	v_mul_f64 v[15:16], v[3:4], v[9:10]
	s_delay_alu instid0(VALU_DEP_2) | instskip(NEXT) | instid1(VALU_DEP_2)
	v_fma_f64 v[9:10], v[3:4], v[7:8], -v[11:12]
	v_fma_f64 v[11:12], v[1:2], v[7:8], v[15:16]
	scratch_store_b128 off, v[9:12], off offset:160
.LBB59_55:
	s_or_b32 exec_lo, exec_lo, s2
	s_waitcnt_vscnt null, 0x0
	s_barrier
	buffer_gl0_inv
	scratch_load_b128 v[1:4], v214, off
	s_mov_b32 s2, exec_lo
	s_waitcnt vmcnt(0)
	ds_store_b128 v5, v[1:4]
	s_waitcnt lgkmcnt(0)
	s_barrier
	buffer_gl0_inv
	v_cmpx_gt_u32_e32 11, v166
	s_cbranch_execz .LBB59_59
; %bb.56:
	v_dual_mov_b32 v1, 0 :: v_dual_add_nc_u32 v8, 0x3c0, v13
	v_dual_mov_b32 v2, 0 :: v_dual_add_nc_u32 v7, -1, v166
	v_or_b32_e32 v9, 8, v14
	s_mov_b32 s3, 0
	s_delay_alu instid0(VALU_DEP_2)
	v_dual_mov_b32 v4, v2 :: v_dual_mov_b32 v3, v1
	.p2align	6
.LBB59_57:                              ; =>This Inner Loop Header: Depth=1
	scratch_load_b128 v[15:18], v9, off offset:-8
	ds_load_b128 v[19:22], v8
	v_add_nc_u32_e32 v7, 1, v7
	v_add_nc_u32_e32 v8, 16, v8
	;; [unrolled: 1-line block ×3, first 2 shown]
	s_delay_alu instid0(VALU_DEP_3) | instskip(SKIP_4) | instid1(VALU_DEP_2)
	v_cmp_lt_u32_e32 vcc_lo, 9, v7
	s_or_b32 s3, vcc_lo, s3
	s_waitcnt vmcnt(0) lgkmcnt(0)
	v_mul_f64 v[10:11], v[21:22], v[17:18]
	v_mul_f64 v[17:18], v[19:20], v[17:18]
	v_fma_f64 v[10:11], v[19:20], v[15:16], -v[10:11]
	s_delay_alu instid0(VALU_DEP_2) | instskip(NEXT) | instid1(VALU_DEP_2)
	v_fma_f64 v[15:16], v[21:22], v[15:16], v[17:18]
	v_add_f64 v[3:4], v[3:4], v[10:11]
	s_delay_alu instid0(VALU_DEP_2)
	v_add_f64 v[1:2], v[1:2], v[15:16]
	s_and_not1_b32 exec_lo, exec_lo, s3
	s_cbranch_execnz .LBB59_57
; %bb.58:
	s_or_b32 exec_lo, exec_lo, s3
	v_mov_b32_e32 v7, 0
	ds_load_b128 v[7:10], v7 offset:176
	s_waitcnt lgkmcnt(0)
	v_mul_f64 v[11:12], v[1:2], v[9:10]
	v_mul_f64 v[15:16], v[3:4], v[9:10]
	s_delay_alu instid0(VALU_DEP_2) | instskip(NEXT) | instid1(VALU_DEP_2)
	v_fma_f64 v[9:10], v[3:4], v[7:8], -v[11:12]
	v_fma_f64 v[11:12], v[1:2], v[7:8], v[15:16]
	scratch_store_b128 off, v[9:12], off offset:176
.LBB59_59:
	s_or_b32 exec_lo, exec_lo, s2
	s_waitcnt_vscnt null, 0x0
	s_barrier
	buffer_gl0_inv
	scratch_load_b128 v[1:4], v212, off
	s_mov_b32 s2, exec_lo
	s_waitcnt vmcnt(0)
	ds_store_b128 v5, v[1:4]
	s_waitcnt lgkmcnt(0)
	s_barrier
	buffer_gl0_inv
	v_cmpx_gt_u32_e32 12, v166
	s_cbranch_execz .LBB59_63
; %bb.60:
	v_dual_mov_b32 v1, 0 :: v_dual_add_nc_u32 v8, 0x3c0, v13
	v_dual_mov_b32 v2, 0 :: v_dual_add_nc_u32 v7, -1, v166
	v_or_b32_e32 v9, 8, v14
	s_mov_b32 s3, 0
	s_delay_alu instid0(VALU_DEP_2)
	v_dual_mov_b32 v4, v2 :: v_dual_mov_b32 v3, v1
	.p2align	6
.LBB59_61:                              ; =>This Inner Loop Header: Depth=1
	scratch_load_b128 v[15:18], v9, off offset:-8
	ds_load_b128 v[19:22], v8
	v_add_nc_u32_e32 v7, 1, v7
	v_add_nc_u32_e32 v8, 16, v8
	;; [unrolled: 1-line block ×3, first 2 shown]
	s_delay_alu instid0(VALU_DEP_3) | instskip(SKIP_4) | instid1(VALU_DEP_2)
	v_cmp_lt_u32_e32 vcc_lo, 10, v7
	s_or_b32 s3, vcc_lo, s3
	s_waitcnt vmcnt(0) lgkmcnt(0)
	v_mul_f64 v[10:11], v[21:22], v[17:18]
	v_mul_f64 v[17:18], v[19:20], v[17:18]
	v_fma_f64 v[10:11], v[19:20], v[15:16], -v[10:11]
	s_delay_alu instid0(VALU_DEP_2) | instskip(NEXT) | instid1(VALU_DEP_2)
	v_fma_f64 v[15:16], v[21:22], v[15:16], v[17:18]
	v_add_f64 v[3:4], v[3:4], v[10:11]
	s_delay_alu instid0(VALU_DEP_2)
	v_add_f64 v[1:2], v[1:2], v[15:16]
	s_and_not1_b32 exec_lo, exec_lo, s3
	s_cbranch_execnz .LBB59_61
; %bb.62:
	s_or_b32 exec_lo, exec_lo, s3
	v_mov_b32_e32 v7, 0
	ds_load_b128 v[7:10], v7 offset:192
	s_waitcnt lgkmcnt(0)
	v_mul_f64 v[11:12], v[1:2], v[9:10]
	v_mul_f64 v[15:16], v[3:4], v[9:10]
	s_delay_alu instid0(VALU_DEP_2) | instskip(NEXT) | instid1(VALU_DEP_2)
	v_fma_f64 v[9:10], v[3:4], v[7:8], -v[11:12]
	v_fma_f64 v[11:12], v[1:2], v[7:8], v[15:16]
	scratch_store_b128 off, v[9:12], off offset:192
.LBB59_63:
	s_or_b32 exec_lo, exec_lo, s2
	s_waitcnt_vscnt null, 0x0
	s_barrier
	buffer_gl0_inv
	scratch_load_b128 v[1:4], v228, off
	s_mov_b32 s2, exec_lo
	s_waitcnt vmcnt(0)
	ds_store_b128 v5, v[1:4]
	s_waitcnt lgkmcnt(0)
	s_barrier
	buffer_gl0_inv
	v_cmpx_gt_u32_e32 13, v166
	s_cbranch_execz .LBB59_67
; %bb.64:
	v_dual_mov_b32 v1, 0 :: v_dual_add_nc_u32 v8, 0x3c0, v13
	v_dual_mov_b32 v2, 0 :: v_dual_add_nc_u32 v7, -1, v166
	v_or_b32_e32 v9, 8, v14
	s_mov_b32 s3, 0
	s_delay_alu instid0(VALU_DEP_2)
	v_dual_mov_b32 v4, v2 :: v_dual_mov_b32 v3, v1
	.p2align	6
.LBB59_65:                              ; =>This Inner Loop Header: Depth=1
	scratch_load_b128 v[15:18], v9, off offset:-8
	ds_load_b128 v[19:22], v8
	v_add_nc_u32_e32 v7, 1, v7
	v_add_nc_u32_e32 v8, 16, v8
	v_add_nc_u32_e32 v9, 16, v9
	s_delay_alu instid0(VALU_DEP_3) | instskip(SKIP_4) | instid1(VALU_DEP_2)
	v_cmp_lt_u32_e32 vcc_lo, 11, v7
	s_or_b32 s3, vcc_lo, s3
	s_waitcnt vmcnt(0) lgkmcnt(0)
	v_mul_f64 v[10:11], v[21:22], v[17:18]
	v_mul_f64 v[17:18], v[19:20], v[17:18]
	v_fma_f64 v[10:11], v[19:20], v[15:16], -v[10:11]
	s_delay_alu instid0(VALU_DEP_2) | instskip(NEXT) | instid1(VALU_DEP_2)
	v_fma_f64 v[15:16], v[21:22], v[15:16], v[17:18]
	v_add_f64 v[3:4], v[3:4], v[10:11]
	s_delay_alu instid0(VALU_DEP_2)
	v_add_f64 v[1:2], v[1:2], v[15:16]
	s_and_not1_b32 exec_lo, exec_lo, s3
	s_cbranch_execnz .LBB59_65
; %bb.66:
	s_or_b32 exec_lo, exec_lo, s3
	v_mov_b32_e32 v7, 0
	ds_load_b128 v[7:10], v7 offset:208
	s_waitcnt lgkmcnt(0)
	v_mul_f64 v[11:12], v[1:2], v[9:10]
	v_mul_f64 v[15:16], v[3:4], v[9:10]
	s_delay_alu instid0(VALU_DEP_2) | instskip(NEXT) | instid1(VALU_DEP_2)
	v_fma_f64 v[9:10], v[3:4], v[7:8], -v[11:12]
	v_fma_f64 v[11:12], v[1:2], v[7:8], v[15:16]
	scratch_store_b128 off, v[9:12], off offset:208
.LBB59_67:
	s_or_b32 exec_lo, exec_lo, s2
	s_waitcnt_vscnt null, 0x0
	s_barrier
	buffer_gl0_inv
	scratch_load_b128 v[1:4], v227, off
	s_mov_b32 s2, exec_lo
	s_waitcnt vmcnt(0)
	ds_store_b128 v5, v[1:4]
	s_waitcnt lgkmcnt(0)
	s_barrier
	buffer_gl0_inv
	v_cmpx_gt_u32_e32 14, v166
	s_cbranch_execz .LBB59_71
; %bb.68:
	v_dual_mov_b32 v1, 0 :: v_dual_add_nc_u32 v8, 0x3c0, v13
	v_dual_mov_b32 v2, 0 :: v_dual_add_nc_u32 v7, -1, v166
	v_or_b32_e32 v9, 8, v14
	s_mov_b32 s3, 0
	s_delay_alu instid0(VALU_DEP_2)
	v_dual_mov_b32 v4, v2 :: v_dual_mov_b32 v3, v1
	.p2align	6
.LBB59_69:                              ; =>This Inner Loop Header: Depth=1
	scratch_load_b128 v[15:18], v9, off offset:-8
	ds_load_b128 v[19:22], v8
	v_add_nc_u32_e32 v7, 1, v7
	v_add_nc_u32_e32 v8, 16, v8
	;; [unrolled: 1-line block ×3, first 2 shown]
	s_delay_alu instid0(VALU_DEP_3) | instskip(SKIP_4) | instid1(VALU_DEP_2)
	v_cmp_lt_u32_e32 vcc_lo, 12, v7
	s_or_b32 s3, vcc_lo, s3
	s_waitcnt vmcnt(0) lgkmcnt(0)
	v_mul_f64 v[10:11], v[21:22], v[17:18]
	v_mul_f64 v[17:18], v[19:20], v[17:18]
	v_fma_f64 v[10:11], v[19:20], v[15:16], -v[10:11]
	s_delay_alu instid0(VALU_DEP_2) | instskip(NEXT) | instid1(VALU_DEP_2)
	v_fma_f64 v[15:16], v[21:22], v[15:16], v[17:18]
	v_add_f64 v[3:4], v[3:4], v[10:11]
	s_delay_alu instid0(VALU_DEP_2)
	v_add_f64 v[1:2], v[1:2], v[15:16]
	s_and_not1_b32 exec_lo, exec_lo, s3
	s_cbranch_execnz .LBB59_69
; %bb.70:
	s_or_b32 exec_lo, exec_lo, s3
	v_mov_b32_e32 v7, 0
	ds_load_b128 v[7:10], v7 offset:224
	s_waitcnt lgkmcnt(0)
	v_mul_f64 v[11:12], v[1:2], v[9:10]
	v_mul_f64 v[15:16], v[3:4], v[9:10]
	s_delay_alu instid0(VALU_DEP_2) | instskip(NEXT) | instid1(VALU_DEP_2)
	v_fma_f64 v[9:10], v[3:4], v[7:8], -v[11:12]
	v_fma_f64 v[11:12], v[1:2], v[7:8], v[15:16]
	scratch_store_b128 off, v[9:12], off offset:224
.LBB59_71:
	s_or_b32 exec_lo, exec_lo, s2
	s_waitcnt_vscnt null, 0x0
	s_barrier
	buffer_gl0_inv
	scratch_load_b128 v[1:4], v229, off
	s_mov_b32 s2, exec_lo
	s_waitcnt vmcnt(0)
	ds_store_b128 v5, v[1:4]
	s_waitcnt lgkmcnt(0)
	s_barrier
	buffer_gl0_inv
	v_cmpx_gt_u32_e32 15, v166
	s_cbranch_execz .LBB59_75
; %bb.72:
	v_dual_mov_b32 v1, 0 :: v_dual_add_nc_u32 v8, 0x3c0, v13
	v_dual_mov_b32 v2, 0 :: v_dual_add_nc_u32 v7, -1, v166
	v_or_b32_e32 v9, 8, v14
	s_mov_b32 s3, 0
	s_delay_alu instid0(VALU_DEP_2)
	v_dual_mov_b32 v4, v2 :: v_dual_mov_b32 v3, v1
	.p2align	6
.LBB59_73:                              ; =>This Inner Loop Header: Depth=1
	scratch_load_b128 v[15:18], v9, off offset:-8
	ds_load_b128 v[19:22], v8
	v_add_nc_u32_e32 v7, 1, v7
	v_add_nc_u32_e32 v8, 16, v8
	;; [unrolled: 1-line block ×3, first 2 shown]
	s_delay_alu instid0(VALU_DEP_3) | instskip(SKIP_4) | instid1(VALU_DEP_2)
	v_cmp_lt_u32_e32 vcc_lo, 13, v7
	s_or_b32 s3, vcc_lo, s3
	s_waitcnt vmcnt(0) lgkmcnt(0)
	v_mul_f64 v[10:11], v[21:22], v[17:18]
	v_mul_f64 v[17:18], v[19:20], v[17:18]
	v_fma_f64 v[10:11], v[19:20], v[15:16], -v[10:11]
	s_delay_alu instid0(VALU_DEP_2) | instskip(NEXT) | instid1(VALU_DEP_2)
	v_fma_f64 v[15:16], v[21:22], v[15:16], v[17:18]
	v_add_f64 v[3:4], v[3:4], v[10:11]
	s_delay_alu instid0(VALU_DEP_2)
	v_add_f64 v[1:2], v[1:2], v[15:16]
	s_and_not1_b32 exec_lo, exec_lo, s3
	s_cbranch_execnz .LBB59_73
; %bb.74:
	s_or_b32 exec_lo, exec_lo, s3
	v_mov_b32_e32 v7, 0
	ds_load_b128 v[7:10], v7 offset:240
	s_waitcnt lgkmcnt(0)
	v_mul_f64 v[11:12], v[1:2], v[9:10]
	v_mul_f64 v[15:16], v[3:4], v[9:10]
	s_delay_alu instid0(VALU_DEP_2) | instskip(NEXT) | instid1(VALU_DEP_2)
	v_fma_f64 v[9:10], v[3:4], v[7:8], -v[11:12]
	v_fma_f64 v[11:12], v[1:2], v[7:8], v[15:16]
	scratch_store_b128 off, v[9:12], off offset:240
.LBB59_75:
	s_or_b32 exec_lo, exec_lo, s2
	s_waitcnt_vscnt null, 0x0
	s_barrier
	buffer_gl0_inv
	scratch_load_b32 v1, off, off offset:960 ; 4-byte Folded Reload
	s_mov_b32 s2, exec_lo
	s_waitcnt vmcnt(0)
	scratch_load_b128 v[1:4], v1, off
	s_waitcnt vmcnt(0)
	ds_store_b128 v5, v[1:4]
	s_waitcnt lgkmcnt(0)
	s_barrier
	buffer_gl0_inv
	v_cmpx_gt_u32_e32 16, v166
	s_cbranch_execz .LBB59_79
; %bb.76:
	v_dual_mov_b32 v1, 0 :: v_dual_add_nc_u32 v8, 0x3c0, v13
	v_dual_mov_b32 v2, 0 :: v_dual_add_nc_u32 v7, -1, v166
	v_or_b32_e32 v9, 8, v14
	s_mov_b32 s3, 0
	s_delay_alu instid0(VALU_DEP_2)
	v_dual_mov_b32 v4, v2 :: v_dual_mov_b32 v3, v1
	.p2align	6
.LBB59_77:                              ; =>This Inner Loop Header: Depth=1
	scratch_load_b128 v[15:18], v9, off offset:-8
	ds_load_b128 v[19:22], v8
	v_add_nc_u32_e32 v7, 1, v7
	v_add_nc_u32_e32 v8, 16, v8
	;; [unrolled: 1-line block ×3, first 2 shown]
	s_delay_alu instid0(VALU_DEP_3) | instskip(SKIP_4) | instid1(VALU_DEP_2)
	v_cmp_lt_u32_e32 vcc_lo, 14, v7
	s_or_b32 s3, vcc_lo, s3
	s_waitcnt vmcnt(0) lgkmcnt(0)
	v_mul_f64 v[10:11], v[21:22], v[17:18]
	v_mul_f64 v[17:18], v[19:20], v[17:18]
	v_fma_f64 v[10:11], v[19:20], v[15:16], -v[10:11]
	s_delay_alu instid0(VALU_DEP_2) | instskip(NEXT) | instid1(VALU_DEP_2)
	v_fma_f64 v[15:16], v[21:22], v[15:16], v[17:18]
	v_add_f64 v[3:4], v[3:4], v[10:11]
	s_delay_alu instid0(VALU_DEP_2)
	v_add_f64 v[1:2], v[1:2], v[15:16]
	s_and_not1_b32 exec_lo, exec_lo, s3
	s_cbranch_execnz .LBB59_77
; %bb.78:
	s_or_b32 exec_lo, exec_lo, s3
	v_mov_b32_e32 v7, 0
	ds_load_b128 v[7:10], v7 offset:256
	s_waitcnt lgkmcnt(0)
	v_mul_f64 v[11:12], v[1:2], v[9:10]
	v_mul_f64 v[15:16], v[3:4], v[9:10]
	s_delay_alu instid0(VALU_DEP_2) | instskip(NEXT) | instid1(VALU_DEP_2)
	v_fma_f64 v[9:10], v[3:4], v[7:8], -v[11:12]
	v_fma_f64 v[11:12], v[1:2], v[7:8], v[15:16]
	scratch_store_b128 off, v[9:12], off offset:256
.LBB59_79:
	s_or_b32 exec_lo, exec_lo, s2
	s_waitcnt_vscnt null, 0x0
	s_barrier
	buffer_gl0_inv
	scratch_load_b128 v[1:4], v64, off
	s_mov_b32 s2, exec_lo
	s_waitcnt vmcnt(0)
	ds_store_b128 v5, v[1:4]
	s_waitcnt lgkmcnt(0)
	s_barrier
	buffer_gl0_inv
	v_cmpx_gt_u32_e32 17, v166
	s_cbranch_execz .LBB59_83
; %bb.80:
	v_dual_mov_b32 v1, 0 :: v_dual_add_nc_u32 v8, 0x3c0, v13
	v_dual_mov_b32 v2, 0 :: v_dual_add_nc_u32 v7, -1, v166
	v_or_b32_e32 v9, 8, v14
	s_mov_b32 s3, 0
	s_delay_alu instid0(VALU_DEP_2)
	v_dual_mov_b32 v4, v2 :: v_dual_mov_b32 v3, v1
	.p2align	6
.LBB59_81:                              ; =>This Inner Loop Header: Depth=1
	scratch_load_b128 v[15:18], v9, off offset:-8
	ds_load_b128 v[19:22], v8
	v_add_nc_u32_e32 v7, 1, v7
	v_add_nc_u32_e32 v8, 16, v8
	;; [unrolled: 1-line block ×3, first 2 shown]
	s_delay_alu instid0(VALU_DEP_3) | instskip(SKIP_4) | instid1(VALU_DEP_2)
	v_cmp_lt_u32_e32 vcc_lo, 15, v7
	s_or_b32 s3, vcc_lo, s3
	s_waitcnt vmcnt(0) lgkmcnt(0)
	v_mul_f64 v[10:11], v[21:22], v[17:18]
	v_mul_f64 v[17:18], v[19:20], v[17:18]
	v_fma_f64 v[10:11], v[19:20], v[15:16], -v[10:11]
	s_delay_alu instid0(VALU_DEP_2) | instskip(NEXT) | instid1(VALU_DEP_2)
	v_fma_f64 v[15:16], v[21:22], v[15:16], v[17:18]
	v_add_f64 v[3:4], v[3:4], v[10:11]
	s_delay_alu instid0(VALU_DEP_2)
	v_add_f64 v[1:2], v[1:2], v[15:16]
	s_and_not1_b32 exec_lo, exec_lo, s3
	s_cbranch_execnz .LBB59_81
; %bb.82:
	s_or_b32 exec_lo, exec_lo, s3
	v_mov_b32_e32 v7, 0
	ds_load_b128 v[7:10], v7 offset:272
	s_waitcnt lgkmcnt(0)
	v_mul_f64 v[11:12], v[1:2], v[9:10]
	v_mul_f64 v[15:16], v[3:4], v[9:10]
	s_delay_alu instid0(VALU_DEP_2) | instskip(NEXT) | instid1(VALU_DEP_2)
	v_fma_f64 v[9:10], v[3:4], v[7:8], -v[11:12]
	v_fma_f64 v[11:12], v[1:2], v[7:8], v[15:16]
	scratch_store_b128 off, v[9:12], off offset:272
.LBB59_83:
	s_or_b32 exec_lo, exec_lo, s2
	s_waitcnt_vscnt null, 0x0
	s_barrier
	buffer_gl0_inv
	scratch_load_b128 v[1:4], v63, off
	s_mov_b32 s2, exec_lo
	s_waitcnt vmcnt(0)
	ds_store_b128 v5, v[1:4]
	s_waitcnt lgkmcnt(0)
	s_barrier
	buffer_gl0_inv
	v_cmpx_gt_u32_e32 18, v166
	s_cbranch_execz .LBB59_87
; %bb.84:
	v_dual_mov_b32 v1, 0 :: v_dual_add_nc_u32 v8, 0x3c0, v13
	v_dual_mov_b32 v2, 0 :: v_dual_add_nc_u32 v7, -1, v166
	v_or_b32_e32 v9, 8, v14
	s_mov_b32 s3, 0
	s_delay_alu instid0(VALU_DEP_2)
	v_dual_mov_b32 v4, v2 :: v_dual_mov_b32 v3, v1
	.p2align	6
.LBB59_85:                              ; =>This Inner Loop Header: Depth=1
	scratch_load_b128 v[15:18], v9, off offset:-8
	ds_load_b128 v[19:22], v8
	v_add_nc_u32_e32 v7, 1, v7
	v_add_nc_u32_e32 v8, 16, v8
	;; [unrolled: 1-line block ×3, first 2 shown]
	s_delay_alu instid0(VALU_DEP_3) | instskip(SKIP_4) | instid1(VALU_DEP_2)
	v_cmp_lt_u32_e32 vcc_lo, 16, v7
	s_or_b32 s3, vcc_lo, s3
	s_waitcnt vmcnt(0) lgkmcnt(0)
	v_mul_f64 v[10:11], v[21:22], v[17:18]
	v_mul_f64 v[17:18], v[19:20], v[17:18]
	v_fma_f64 v[10:11], v[19:20], v[15:16], -v[10:11]
	s_delay_alu instid0(VALU_DEP_2) | instskip(NEXT) | instid1(VALU_DEP_2)
	v_fma_f64 v[15:16], v[21:22], v[15:16], v[17:18]
	v_add_f64 v[3:4], v[3:4], v[10:11]
	s_delay_alu instid0(VALU_DEP_2)
	v_add_f64 v[1:2], v[1:2], v[15:16]
	s_and_not1_b32 exec_lo, exec_lo, s3
	s_cbranch_execnz .LBB59_85
; %bb.86:
	s_or_b32 exec_lo, exec_lo, s3
	v_mov_b32_e32 v7, 0
	ds_load_b128 v[7:10], v7 offset:288
	s_waitcnt lgkmcnt(0)
	v_mul_f64 v[11:12], v[1:2], v[9:10]
	v_mul_f64 v[15:16], v[3:4], v[9:10]
	s_delay_alu instid0(VALU_DEP_2) | instskip(NEXT) | instid1(VALU_DEP_2)
	v_fma_f64 v[9:10], v[3:4], v[7:8], -v[11:12]
	v_fma_f64 v[11:12], v[1:2], v[7:8], v[15:16]
	scratch_store_b128 off, v[9:12], off offset:288
.LBB59_87:
	s_or_b32 exec_lo, exec_lo, s2
	s_waitcnt_vscnt null, 0x0
	s_barrier
	buffer_gl0_inv
	scratch_load_b128 v[1:4], v62, off
	s_mov_b32 s2, exec_lo
	s_waitcnt vmcnt(0)
	ds_store_b128 v5, v[1:4]
	s_waitcnt lgkmcnt(0)
	s_barrier
	buffer_gl0_inv
	v_cmpx_gt_u32_e32 19, v166
	s_cbranch_execz .LBB59_91
; %bb.88:
	v_dual_mov_b32 v1, 0 :: v_dual_add_nc_u32 v8, 0x3c0, v13
	v_dual_mov_b32 v2, 0 :: v_dual_add_nc_u32 v7, -1, v166
	v_or_b32_e32 v9, 8, v14
	s_mov_b32 s3, 0
	s_delay_alu instid0(VALU_DEP_2)
	v_dual_mov_b32 v4, v2 :: v_dual_mov_b32 v3, v1
	.p2align	6
.LBB59_89:                              ; =>This Inner Loop Header: Depth=1
	scratch_load_b128 v[15:18], v9, off offset:-8
	ds_load_b128 v[19:22], v8
	v_add_nc_u32_e32 v7, 1, v7
	v_add_nc_u32_e32 v8, 16, v8
	;; [unrolled: 1-line block ×3, first 2 shown]
	s_delay_alu instid0(VALU_DEP_3) | instskip(SKIP_4) | instid1(VALU_DEP_2)
	v_cmp_lt_u32_e32 vcc_lo, 17, v7
	s_or_b32 s3, vcc_lo, s3
	s_waitcnt vmcnt(0) lgkmcnt(0)
	v_mul_f64 v[10:11], v[21:22], v[17:18]
	v_mul_f64 v[17:18], v[19:20], v[17:18]
	v_fma_f64 v[10:11], v[19:20], v[15:16], -v[10:11]
	s_delay_alu instid0(VALU_DEP_2) | instskip(NEXT) | instid1(VALU_DEP_2)
	v_fma_f64 v[15:16], v[21:22], v[15:16], v[17:18]
	v_add_f64 v[3:4], v[3:4], v[10:11]
	s_delay_alu instid0(VALU_DEP_2)
	v_add_f64 v[1:2], v[1:2], v[15:16]
	s_and_not1_b32 exec_lo, exec_lo, s3
	s_cbranch_execnz .LBB59_89
; %bb.90:
	s_or_b32 exec_lo, exec_lo, s3
	v_mov_b32_e32 v7, 0
	ds_load_b128 v[7:10], v7 offset:304
	s_waitcnt lgkmcnt(0)
	v_mul_f64 v[11:12], v[1:2], v[9:10]
	v_mul_f64 v[15:16], v[3:4], v[9:10]
	s_delay_alu instid0(VALU_DEP_2) | instskip(NEXT) | instid1(VALU_DEP_2)
	v_fma_f64 v[9:10], v[3:4], v[7:8], -v[11:12]
	v_fma_f64 v[11:12], v[1:2], v[7:8], v[15:16]
	scratch_store_b128 off, v[9:12], off offset:304
.LBB59_91:
	s_or_b32 exec_lo, exec_lo, s2
	s_waitcnt_vscnt null, 0x0
	s_barrier
	buffer_gl0_inv
	scratch_load_b128 v[1:4], v61, off
	s_mov_b32 s2, exec_lo
	s_waitcnt vmcnt(0)
	ds_store_b128 v5, v[1:4]
	s_waitcnt lgkmcnt(0)
	s_barrier
	buffer_gl0_inv
	v_cmpx_gt_u32_e32 20, v166
	s_cbranch_execz .LBB59_95
; %bb.92:
	v_dual_mov_b32 v1, 0 :: v_dual_add_nc_u32 v8, 0x3c0, v13
	v_dual_mov_b32 v2, 0 :: v_dual_add_nc_u32 v7, -1, v166
	v_or_b32_e32 v9, 8, v14
	s_mov_b32 s3, 0
	s_delay_alu instid0(VALU_DEP_2)
	v_dual_mov_b32 v4, v2 :: v_dual_mov_b32 v3, v1
	.p2align	6
.LBB59_93:                              ; =>This Inner Loop Header: Depth=1
	scratch_load_b128 v[15:18], v9, off offset:-8
	ds_load_b128 v[19:22], v8
	v_add_nc_u32_e32 v7, 1, v7
	v_add_nc_u32_e32 v8, 16, v8
	;; [unrolled: 1-line block ×3, first 2 shown]
	s_delay_alu instid0(VALU_DEP_3) | instskip(SKIP_4) | instid1(VALU_DEP_2)
	v_cmp_lt_u32_e32 vcc_lo, 18, v7
	s_or_b32 s3, vcc_lo, s3
	s_waitcnt vmcnt(0) lgkmcnt(0)
	v_mul_f64 v[10:11], v[21:22], v[17:18]
	v_mul_f64 v[17:18], v[19:20], v[17:18]
	v_fma_f64 v[10:11], v[19:20], v[15:16], -v[10:11]
	s_delay_alu instid0(VALU_DEP_2) | instskip(NEXT) | instid1(VALU_DEP_2)
	v_fma_f64 v[15:16], v[21:22], v[15:16], v[17:18]
	v_add_f64 v[3:4], v[3:4], v[10:11]
	s_delay_alu instid0(VALU_DEP_2)
	v_add_f64 v[1:2], v[1:2], v[15:16]
	s_and_not1_b32 exec_lo, exec_lo, s3
	s_cbranch_execnz .LBB59_93
; %bb.94:
	s_or_b32 exec_lo, exec_lo, s3
	v_mov_b32_e32 v7, 0
	ds_load_b128 v[7:10], v7 offset:320
	s_waitcnt lgkmcnt(0)
	v_mul_f64 v[11:12], v[1:2], v[9:10]
	v_mul_f64 v[15:16], v[3:4], v[9:10]
	s_delay_alu instid0(VALU_DEP_2) | instskip(NEXT) | instid1(VALU_DEP_2)
	v_fma_f64 v[9:10], v[3:4], v[7:8], -v[11:12]
	v_fma_f64 v[11:12], v[1:2], v[7:8], v[15:16]
	scratch_store_b128 off, v[9:12], off offset:320
.LBB59_95:
	s_or_b32 exec_lo, exec_lo, s2
	s_waitcnt_vscnt null, 0x0
	s_barrier
	buffer_gl0_inv
	scratch_load_b128 v[1:4], v60, off
	s_mov_b32 s2, exec_lo
	s_waitcnt vmcnt(0)
	ds_store_b128 v5, v[1:4]
	s_waitcnt lgkmcnt(0)
	s_barrier
	buffer_gl0_inv
	v_cmpx_gt_u32_e32 21, v166
	s_cbranch_execz .LBB59_99
; %bb.96:
	v_dual_mov_b32 v1, 0 :: v_dual_add_nc_u32 v8, 0x3c0, v13
	v_dual_mov_b32 v2, 0 :: v_dual_add_nc_u32 v7, -1, v166
	v_or_b32_e32 v9, 8, v14
	s_mov_b32 s3, 0
	s_delay_alu instid0(VALU_DEP_2)
	v_dual_mov_b32 v4, v2 :: v_dual_mov_b32 v3, v1
	.p2align	6
.LBB59_97:                              ; =>This Inner Loop Header: Depth=1
	scratch_load_b128 v[15:18], v9, off offset:-8
	ds_load_b128 v[19:22], v8
	v_add_nc_u32_e32 v7, 1, v7
	v_add_nc_u32_e32 v8, 16, v8
	;; [unrolled: 1-line block ×3, first 2 shown]
	s_delay_alu instid0(VALU_DEP_3) | instskip(SKIP_4) | instid1(VALU_DEP_2)
	v_cmp_lt_u32_e32 vcc_lo, 19, v7
	s_or_b32 s3, vcc_lo, s3
	s_waitcnt vmcnt(0) lgkmcnt(0)
	v_mul_f64 v[10:11], v[21:22], v[17:18]
	v_mul_f64 v[17:18], v[19:20], v[17:18]
	v_fma_f64 v[10:11], v[19:20], v[15:16], -v[10:11]
	s_delay_alu instid0(VALU_DEP_2) | instskip(NEXT) | instid1(VALU_DEP_2)
	v_fma_f64 v[15:16], v[21:22], v[15:16], v[17:18]
	v_add_f64 v[3:4], v[3:4], v[10:11]
	s_delay_alu instid0(VALU_DEP_2)
	v_add_f64 v[1:2], v[1:2], v[15:16]
	s_and_not1_b32 exec_lo, exec_lo, s3
	s_cbranch_execnz .LBB59_97
; %bb.98:
	s_or_b32 exec_lo, exec_lo, s3
	v_mov_b32_e32 v7, 0
	ds_load_b128 v[7:10], v7 offset:336
	s_waitcnt lgkmcnt(0)
	v_mul_f64 v[11:12], v[1:2], v[9:10]
	v_mul_f64 v[15:16], v[3:4], v[9:10]
	s_delay_alu instid0(VALU_DEP_2) | instskip(NEXT) | instid1(VALU_DEP_2)
	v_fma_f64 v[9:10], v[3:4], v[7:8], -v[11:12]
	v_fma_f64 v[11:12], v[1:2], v[7:8], v[15:16]
	scratch_store_b128 off, v[9:12], off offset:336
.LBB59_99:
	s_or_b32 exec_lo, exec_lo, s2
	s_waitcnt_vscnt null, 0x0
	s_barrier
	buffer_gl0_inv
	scratch_load_b128 v[1:4], v59, off
	s_mov_b32 s2, exec_lo
	s_waitcnt vmcnt(0)
	ds_store_b128 v5, v[1:4]
	s_waitcnt lgkmcnt(0)
	s_barrier
	buffer_gl0_inv
	v_cmpx_gt_u32_e32 22, v166
	s_cbranch_execz .LBB59_103
; %bb.100:
	v_dual_mov_b32 v1, 0 :: v_dual_add_nc_u32 v8, 0x3c0, v13
	v_dual_mov_b32 v2, 0 :: v_dual_add_nc_u32 v7, -1, v166
	v_or_b32_e32 v9, 8, v14
	s_mov_b32 s3, 0
	s_delay_alu instid0(VALU_DEP_2)
	v_dual_mov_b32 v4, v2 :: v_dual_mov_b32 v3, v1
	.p2align	6
.LBB59_101:                             ; =>This Inner Loop Header: Depth=1
	scratch_load_b128 v[15:18], v9, off offset:-8
	ds_load_b128 v[19:22], v8
	v_add_nc_u32_e32 v7, 1, v7
	v_add_nc_u32_e32 v8, 16, v8
	;; [unrolled: 1-line block ×3, first 2 shown]
	s_delay_alu instid0(VALU_DEP_3) | instskip(SKIP_4) | instid1(VALU_DEP_2)
	v_cmp_lt_u32_e32 vcc_lo, 20, v7
	s_or_b32 s3, vcc_lo, s3
	s_waitcnt vmcnt(0) lgkmcnt(0)
	v_mul_f64 v[10:11], v[21:22], v[17:18]
	v_mul_f64 v[17:18], v[19:20], v[17:18]
	v_fma_f64 v[10:11], v[19:20], v[15:16], -v[10:11]
	s_delay_alu instid0(VALU_DEP_2) | instskip(NEXT) | instid1(VALU_DEP_2)
	v_fma_f64 v[15:16], v[21:22], v[15:16], v[17:18]
	v_add_f64 v[3:4], v[3:4], v[10:11]
	s_delay_alu instid0(VALU_DEP_2)
	v_add_f64 v[1:2], v[1:2], v[15:16]
	s_and_not1_b32 exec_lo, exec_lo, s3
	s_cbranch_execnz .LBB59_101
; %bb.102:
	s_or_b32 exec_lo, exec_lo, s3
	v_mov_b32_e32 v7, 0
	ds_load_b128 v[7:10], v7 offset:352
	s_waitcnt lgkmcnt(0)
	v_mul_f64 v[11:12], v[1:2], v[9:10]
	v_mul_f64 v[15:16], v[3:4], v[9:10]
	s_delay_alu instid0(VALU_DEP_2) | instskip(NEXT) | instid1(VALU_DEP_2)
	v_fma_f64 v[9:10], v[3:4], v[7:8], -v[11:12]
	v_fma_f64 v[11:12], v[1:2], v[7:8], v[15:16]
	scratch_store_b128 off, v[9:12], off offset:352
.LBB59_103:
	s_or_b32 exec_lo, exec_lo, s2
	s_waitcnt_vscnt null, 0x0
	s_barrier
	buffer_gl0_inv
	scratch_load_b128 v[1:4], v58, off
	s_mov_b32 s2, exec_lo
	s_waitcnt vmcnt(0)
	ds_store_b128 v5, v[1:4]
	s_waitcnt lgkmcnt(0)
	s_barrier
	buffer_gl0_inv
	v_cmpx_gt_u32_e32 23, v166
	s_cbranch_execz .LBB59_107
; %bb.104:
	v_dual_mov_b32 v1, 0 :: v_dual_add_nc_u32 v8, 0x3c0, v13
	v_dual_mov_b32 v2, 0 :: v_dual_add_nc_u32 v7, -1, v166
	v_or_b32_e32 v9, 8, v14
	s_mov_b32 s3, 0
	s_delay_alu instid0(VALU_DEP_2)
	v_dual_mov_b32 v4, v2 :: v_dual_mov_b32 v3, v1
	.p2align	6
.LBB59_105:                             ; =>This Inner Loop Header: Depth=1
	scratch_load_b128 v[15:18], v9, off offset:-8
	ds_load_b128 v[19:22], v8
	v_add_nc_u32_e32 v7, 1, v7
	v_add_nc_u32_e32 v8, 16, v8
	v_add_nc_u32_e32 v9, 16, v9
	s_delay_alu instid0(VALU_DEP_3) | instskip(SKIP_4) | instid1(VALU_DEP_2)
	v_cmp_lt_u32_e32 vcc_lo, 21, v7
	s_or_b32 s3, vcc_lo, s3
	s_waitcnt vmcnt(0) lgkmcnt(0)
	v_mul_f64 v[10:11], v[21:22], v[17:18]
	v_mul_f64 v[17:18], v[19:20], v[17:18]
	v_fma_f64 v[10:11], v[19:20], v[15:16], -v[10:11]
	s_delay_alu instid0(VALU_DEP_2) | instskip(NEXT) | instid1(VALU_DEP_2)
	v_fma_f64 v[15:16], v[21:22], v[15:16], v[17:18]
	v_add_f64 v[3:4], v[3:4], v[10:11]
	s_delay_alu instid0(VALU_DEP_2)
	v_add_f64 v[1:2], v[1:2], v[15:16]
	s_and_not1_b32 exec_lo, exec_lo, s3
	s_cbranch_execnz .LBB59_105
; %bb.106:
	s_or_b32 exec_lo, exec_lo, s3
	v_mov_b32_e32 v7, 0
	ds_load_b128 v[7:10], v7 offset:368
	s_waitcnt lgkmcnt(0)
	v_mul_f64 v[11:12], v[1:2], v[9:10]
	v_mul_f64 v[15:16], v[3:4], v[9:10]
	s_delay_alu instid0(VALU_DEP_2) | instskip(NEXT) | instid1(VALU_DEP_2)
	v_fma_f64 v[9:10], v[3:4], v[7:8], -v[11:12]
	v_fma_f64 v[11:12], v[1:2], v[7:8], v[15:16]
	scratch_store_b128 off, v[9:12], off offset:368
.LBB59_107:
	s_or_b32 exec_lo, exec_lo, s2
	s_waitcnt_vscnt null, 0x0
	s_barrier
	buffer_gl0_inv
	scratch_load_b128 v[1:4], v57, off
	s_mov_b32 s2, exec_lo
	s_waitcnt vmcnt(0)
	ds_store_b128 v5, v[1:4]
	s_waitcnt lgkmcnt(0)
	s_barrier
	buffer_gl0_inv
	v_cmpx_gt_u32_e32 24, v166
	s_cbranch_execz .LBB59_111
; %bb.108:
	v_dual_mov_b32 v1, 0 :: v_dual_add_nc_u32 v8, 0x3c0, v13
	v_dual_mov_b32 v2, 0 :: v_dual_add_nc_u32 v7, -1, v166
	v_or_b32_e32 v9, 8, v14
	s_mov_b32 s3, 0
	s_delay_alu instid0(VALU_DEP_2)
	v_dual_mov_b32 v4, v2 :: v_dual_mov_b32 v3, v1
	.p2align	6
.LBB59_109:                             ; =>This Inner Loop Header: Depth=1
	scratch_load_b128 v[15:18], v9, off offset:-8
	ds_load_b128 v[19:22], v8
	v_add_nc_u32_e32 v7, 1, v7
	v_add_nc_u32_e32 v8, 16, v8
	;; [unrolled: 1-line block ×3, first 2 shown]
	s_delay_alu instid0(VALU_DEP_3) | instskip(SKIP_4) | instid1(VALU_DEP_2)
	v_cmp_lt_u32_e32 vcc_lo, 22, v7
	s_or_b32 s3, vcc_lo, s3
	s_waitcnt vmcnt(0) lgkmcnt(0)
	v_mul_f64 v[10:11], v[21:22], v[17:18]
	v_mul_f64 v[17:18], v[19:20], v[17:18]
	v_fma_f64 v[10:11], v[19:20], v[15:16], -v[10:11]
	s_delay_alu instid0(VALU_DEP_2) | instskip(NEXT) | instid1(VALU_DEP_2)
	v_fma_f64 v[15:16], v[21:22], v[15:16], v[17:18]
	v_add_f64 v[3:4], v[3:4], v[10:11]
	s_delay_alu instid0(VALU_DEP_2)
	v_add_f64 v[1:2], v[1:2], v[15:16]
	s_and_not1_b32 exec_lo, exec_lo, s3
	s_cbranch_execnz .LBB59_109
; %bb.110:
	s_or_b32 exec_lo, exec_lo, s3
	v_mov_b32_e32 v7, 0
	ds_load_b128 v[7:10], v7 offset:384
	s_waitcnt lgkmcnt(0)
	v_mul_f64 v[11:12], v[1:2], v[9:10]
	v_mul_f64 v[15:16], v[3:4], v[9:10]
	s_delay_alu instid0(VALU_DEP_2) | instskip(NEXT) | instid1(VALU_DEP_2)
	v_fma_f64 v[9:10], v[3:4], v[7:8], -v[11:12]
	v_fma_f64 v[11:12], v[1:2], v[7:8], v[15:16]
	scratch_store_b128 off, v[9:12], off offset:384
.LBB59_111:
	s_or_b32 exec_lo, exec_lo, s2
	s_waitcnt_vscnt null, 0x0
	s_barrier
	buffer_gl0_inv
	scratch_load_b128 v[1:4], v56, off
	s_mov_b32 s2, exec_lo
	s_waitcnt vmcnt(0)
	ds_store_b128 v5, v[1:4]
	s_waitcnt lgkmcnt(0)
	s_barrier
	buffer_gl0_inv
	v_cmpx_gt_u32_e32 25, v166
	s_cbranch_execz .LBB59_115
; %bb.112:
	v_dual_mov_b32 v1, 0 :: v_dual_add_nc_u32 v8, 0x3c0, v13
	v_dual_mov_b32 v2, 0 :: v_dual_add_nc_u32 v7, -1, v166
	v_or_b32_e32 v9, 8, v14
	s_mov_b32 s3, 0
	s_delay_alu instid0(VALU_DEP_2)
	v_dual_mov_b32 v4, v2 :: v_dual_mov_b32 v3, v1
	.p2align	6
.LBB59_113:                             ; =>This Inner Loop Header: Depth=1
	scratch_load_b128 v[15:18], v9, off offset:-8
	ds_load_b128 v[19:22], v8
	v_add_nc_u32_e32 v7, 1, v7
	v_add_nc_u32_e32 v8, 16, v8
	;; [unrolled: 1-line block ×3, first 2 shown]
	s_delay_alu instid0(VALU_DEP_3) | instskip(SKIP_4) | instid1(VALU_DEP_2)
	v_cmp_lt_u32_e32 vcc_lo, 23, v7
	s_or_b32 s3, vcc_lo, s3
	s_waitcnt vmcnt(0) lgkmcnt(0)
	v_mul_f64 v[10:11], v[21:22], v[17:18]
	v_mul_f64 v[17:18], v[19:20], v[17:18]
	v_fma_f64 v[10:11], v[19:20], v[15:16], -v[10:11]
	s_delay_alu instid0(VALU_DEP_2) | instskip(NEXT) | instid1(VALU_DEP_2)
	v_fma_f64 v[15:16], v[21:22], v[15:16], v[17:18]
	v_add_f64 v[3:4], v[3:4], v[10:11]
	s_delay_alu instid0(VALU_DEP_2)
	v_add_f64 v[1:2], v[1:2], v[15:16]
	s_and_not1_b32 exec_lo, exec_lo, s3
	s_cbranch_execnz .LBB59_113
; %bb.114:
	s_or_b32 exec_lo, exec_lo, s3
	v_mov_b32_e32 v7, 0
	ds_load_b128 v[7:10], v7 offset:400
	s_waitcnt lgkmcnt(0)
	v_mul_f64 v[11:12], v[1:2], v[9:10]
	v_mul_f64 v[15:16], v[3:4], v[9:10]
	s_delay_alu instid0(VALU_DEP_2) | instskip(NEXT) | instid1(VALU_DEP_2)
	v_fma_f64 v[9:10], v[3:4], v[7:8], -v[11:12]
	v_fma_f64 v[11:12], v[1:2], v[7:8], v[15:16]
	scratch_store_b128 off, v[9:12], off offset:400
.LBB59_115:
	s_or_b32 exec_lo, exec_lo, s2
	s_waitcnt_vscnt null, 0x0
	s_barrier
	buffer_gl0_inv
	scratch_load_b128 v[1:4], v55, off
	s_mov_b32 s2, exec_lo
	s_waitcnt vmcnt(0)
	ds_store_b128 v5, v[1:4]
	s_waitcnt lgkmcnt(0)
	s_barrier
	buffer_gl0_inv
	v_cmpx_gt_u32_e32 26, v166
	s_cbranch_execz .LBB59_119
; %bb.116:
	v_dual_mov_b32 v1, 0 :: v_dual_add_nc_u32 v8, 0x3c0, v13
	v_dual_mov_b32 v2, 0 :: v_dual_add_nc_u32 v7, -1, v166
	v_or_b32_e32 v9, 8, v14
	s_mov_b32 s3, 0
	s_delay_alu instid0(VALU_DEP_2)
	v_dual_mov_b32 v4, v2 :: v_dual_mov_b32 v3, v1
	.p2align	6
.LBB59_117:                             ; =>This Inner Loop Header: Depth=1
	scratch_load_b128 v[15:18], v9, off offset:-8
	ds_load_b128 v[19:22], v8
	v_add_nc_u32_e32 v7, 1, v7
	v_add_nc_u32_e32 v8, 16, v8
	v_add_nc_u32_e32 v9, 16, v9
	s_delay_alu instid0(VALU_DEP_3) | instskip(SKIP_4) | instid1(VALU_DEP_2)
	v_cmp_lt_u32_e32 vcc_lo, 24, v7
	s_or_b32 s3, vcc_lo, s3
	s_waitcnt vmcnt(0) lgkmcnt(0)
	v_mul_f64 v[10:11], v[21:22], v[17:18]
	v_mul_f64 v[17:18], v[19:20], v[17:18]
	v_fma_f64 v[10:11], v[19:20], v[15:16], -v[10:11]
	s_delay_alu instid0(VALU_DEP_2) | instskip(NEXT) | instid1(VALU_DEP_2)
	v_fma_f64 v[15:16], v[21:22], v[15:16], v[17:18]
	v_add_f64 v[3:4], v[3:4], v[10:11]
	s_delay_alu instid0(VALU_DEP_2)
	v_add_f64 v[1:2], v[1:2], v[15:16]
	s_and_not1_b32 exec_lo, exec_lo, s3
	s_cbranch_execnz .LBB59_117
; %bb.118:
	s_or_b32 exec_lo, exec_lo, s3
	v_mov_b32_e32 v7, 0
	ds_load_b128 v[7:10], v7 offset:416
	s_waitcnt lgkmcnt(0)
	v_mul_f64 v[11:12], v[1:2], v[9:10]
	v_mul_f64 v[15:16], v[3:4], v[9:10]
	s_delay_alu instid0(VALU_DEP_2) | instskip(NEXT) | instid1(VALU_DEP_2)
	v_fma_f64 v[9:10], v[3:4], v[7:8], -v[11:12]
	v_fma_f64 v[11:12], v[1:2], v[7:8], v[15:16]
	scratch_store_b128 off, v[9:12], off offset:416
.LBB59_119:
	s_or_b32 exec_lo, exec_lo, s2
	s_waitcnt_vscnt null, 0x0
	s_barrier
	buffer_gl0_inv
	scratch_load_b128 v[1:4], v54, off
	s_mov_b32 s2, exec_lo
	s_waitcnt vmcnt(0)
	ds_store_b128 v5, v[1:4]
	s_waitcnt lgkmcnt(0)
	s_barrier
	buffer_gl0_inv
	v_cmpx_gt_u32_e32 27, v166
	s_cbranch_execz .LBB59_123
; %bb.120:
	v_dual_mov_b32 v1, 0 :: v_dual_add_nc_u32 v8, 0x3c0, v13
	v_dual_mov_b32 v2, 0 :: v_dual_add_nc_u32 v7, -1, v166
	v_or_b32_e32 v9, 8, v14
	s_mov_b32 s3, 0
	s_delay_alu instid0(VALU_DEP_2)
	v_dual_mov_b32 v4, v2 :: v_dual_mov_b32 v3, v1
	.p2align	6
.LBB59_121:                             ; =>This Inner Loop Header: Depth=1
	scratch_load_b128 v[15:18], v9, off offset:-8
	ds_load_b128 v[19:22], v8
	v_add_nc_u32_e32 v7, 1, v7
	v_add_nc_u32_e32 v8, 16, v8
	;; [unrolled: 1-line block ×3, first 2 shown]
	s_delay_alu instid0(VALU_DEP_3) | instskip(SKIP_4) | instid1(VALU_DEP_2)
	v_cmp_lt_u32_e32 vcc_lo, 25, v7
	s_or_b32 s3, vcc_lo, s3
	s_waitcnt vmcnt(0) lgkmcnt(0)
	v_mul_f64 v[10:11], v[21:22], v[17:18]
	v_mul_f64 v[17:18], v[19:20], v[17:18]
	v_fma_f64 v[10:11], v[19:20], v[15:16], -v[10:11]
	s_delay_alu instid0(VALU_DEP_2) | instskip(NEXT) | instid1(VALU_DEP_2)
	v_fma_f64 v[15:16], v[21:22], v[15:16], v[17:18]
	v_add_f64 v[3:4], v[3:4], v[10:11]
	s_delay_alu instid0(VALU_DEP_2)
	v_add_f64 v[1:2], v[1:2], v[15:16]
	s_and_not1_b32 exec_lo, exec_lo, s3
	s_cbranch_execnz .LBB59_121
; %bb.122:
	s_or_b32 exec_lo, exec_lo, s3
	v_mov_b32_e32 v7, 0
	ds_load_b128 v[7:10], v7 offset:432
	s_waitcnt lgkmcnt(0)
	v_mul_f64 v[11:12], v[1:2], v[9:10]
	v_mul_f64 v[15:16], v[3:4], v[9:10]
	s_delay_alu instid0(VALU_DEP_2) | instskip(NEXT) | instid1(VALU_DEP_2)
	v_fma_f64 v[9:10], v[3:4], v[7:8], -v[11:12]
	v_fma_f64 v[11:12], v[1:2], v[7:8], v[15:16]
	scratch_store_b128 off, v[9:12], off offset:432
.LBB59_123:
	s_or_b32 exec_lo, exec_lo, s2
	s_waitcnt_vscnt null, 0x0
	s_barrier
	buffer_gl0_inv
	scratch_load_b128 v[1:4], v53, off
	s_mov_b32 s2, exec_lo
	s_waitcnt vmcnt(0)
	ds_store_b128 v5, v[1:4]
	s_waitcnt lgkmcnt(0)
	s_barrier
	buffer_gl0_inv
	v_cmpx_gt_u32_e32 28, v166
	s_cbranch_execz .LBB59_127
; %bb.124:
	v_dual_mov_b32 v1, 0 :: v_dual_add_nc_u32 v8, 0x3c0, v13
	v_dual_mov_b32 v2, 0 :: v_dual_add_nc_u32 v7, -1, v166
	v_or_b32_e32 v9, 8, v14
	s_mov_b32 s3, 0
	s_delay_alu instid0(VALU_DEP_2)
	v_dual_mov_b32 v4, v2 :: v_dual_mov_b32 v3, v1
	.p2align	6
.LBB59_125:                             ; =>This Inner Loop Header: Depth=1
	scratch_load_b128 v[15:18], v9, off offset:-8
	ds_load_b128 v[19:22], v8
	v_add_nc_u32_e32 v7, 1, v7
	v_add_nc_u32_e32 v8, 16, v8
	v_add_nc_u32_e32 v9, 16, v9
	s_delay_alu instid0(VALU_DEP_3) | instskip(SKIP_4) | instid1(VALU_DEP_2)
	v_cmp_lt_u32_e32 vcc_lo, 26, v7
	s_or_b32 s3, vcc_lo, s3
	s_waitcnt vmcnt(0) lgkmcnt(0)
	v_mul_f64 v[10:11], v[21:22], v[17:18]
	v_mul_f64 v[17:18], v[19:20], v[17:18]
	v_fma_f64 v[10:11], v[19:20], v[15:16], -v[10:11]
	s_delay_alu instid0(VALU_DEP_2) | instskip(NEXT) | instid1(VALU_DEP_2)
	v_fma_f64 v[15:16], v[21:22], v[15:16], v[17:18]
	v_add_f64 v[3:4], v[3:4], v[10:11]
	s_delay_alu instid0(VALU_DEP_2)
	v_add_f64 v[1:2], v[1:2], v[15:16]
	s_and_not1_b32 exec_lo, exec_lo, s3
	s_cbranch_execnz .LBB59_125
; %bb.126:
	s_or_b32 exec_lo, exec_lo, s3
	v_mov_b32_e32 v7, 0
	ds_load_b128 v[7:10], v7 offset:448
	s_waitcnt lgkmcnt(0)
	v_mul_f64 v[11:12], v[1:2], v[9:10]
	v_mul_f64 v[15:16], v[3:4], v[9:10]
	s_delay_alu instid0(VALU_DEP_2) | instskip(NEXT) | instid1(VALU_DEP_2)
	v_fma_f64 v[9:10], v[3:4], v[7:8], -v[11:12]
	v_fma_f64 v[11:12], v[1:2], v[7:8], v[15:16]
	scratch_store_b128 off, v[9:12], off offset:448
.LBB59_127:
	s_or_b32 exec_lo, exec_lo, s2
	s_waitcnt_vscnt null, 0x0
	s_barrier
	buffer_gl0_inv
	scratch_load_b128 v[1:4], v52, off
	s_mov_b32 s2, exec_lo
	s_waitcnt vmcnt(0)
	ds_store_b128 v5, v[1:4]
	s_waitcnt lgkmcnt(0)
	s_barrier
	buffer_gl0_inv
	v_cmpx_gt_u32_e32 29, v166
	s_cbranch_execz .LBB59_131
; %bb.128:
	v_dual_mov_b32 v1, 0 :: v_dual_add_nc_u32 v8, 0x3c0, v13
	v_dual_mov_b32 v2, 0 :: v_dual_add_nc_u32 v7, -1, v166
	v_or_b32_e32 v9, 8, v14
	s_mov_b32 s3, 0
	s_delay_alu instid0(VALU_DEP_2)
	v_dual_mov_b32 v4, v2 :: v_dual_mov_b32 v3, v1
	.p2align	6
.LBB59_129:                             ; =>This Inner Loop Header: Depth=1
	scratch_load_b128 v[15:18], v9, off offset:-8
	ds_load_b128 v[19:22], v8
	v_add_nc_u32_e32 v7, 1, v7
	v_add_nc_u32_e32 v8, 16, v8
	;; [unrolled: 1-line block ×3, first 2 shown]
	s_delay_alu instid0(VALU_DEP_3) | instskip(SKIP_4) | instid1(VALU_DEP_2)
	v_cmp_lt_u32_e32 vcc_lo, 27, v7
	s_or_b32 s3, vcc_lo, s3
	s_waitcnt vmcnt(0) lgkmcnt(0)
	v_mul_f64 v[10:11], v[21:22], v[17:18]
	v_mul_f64 v[17:18], v[19:20], v[17:18]
	v_fma_f64 v[10:11], v[19:20], v[15:16], -v[10:11]
	s_delay_alu instid0(VALU_DEP_2) | instskip(NEXT) | instid1(VALU_DEP_2)
	v_fma_f64 v[15:16], v[21:22], v[15:16], v[17:18]
	v_add_f64 v[3:4], v[3:4], v[10:11]
	s_delay_alu instid0(VALU_DEP_2)
	v_add_f64 v[1:2], v[1:2], v[15:16]
	s_and_not1_b32 exec_lo, exec_lo, s3
	s_cbranch_execnz .LBB59_129
; %bb.130:
	s_or_b32 exec_lo, exec_lo, s3
	v_mov_b32_e32 v7, 0
	ds_load_b128 v[7:10], v7 offset:464
	s_waitcnt lgkmcnt(0)
	v_mul_f64 v[11:12], v[1:2], v[9:10]
	v_mul_f64 v[15:16], v[3:4], v[9:10]
	s_delay_alu instid0(VALU_DEP_2) | instskip(NEXT) | instid1(VALU_DEP_2)
	v_fma_f64 v[9:10], v[3:4], v[7:8], -v[11:12]
	v_fma_f64 v[11:12], v[1:2], v[7:8], v[15:16]
	scratch_store_b128 off, v[9:12], off offset:464
.LBB59_131:
	s_or_b32 exec_lo, exec_lo, s2
	s_waitcnt_vscnt null, 0x0
	s_barrier
	buffer_gl0_inv
	scratch_load_b128 v[1:4], v224, off
	s_mov_b32 s2, exec_lo
	s_waitcnt vmcnt(0)
	ds_store_b128 v5, v[1:4]
	s_waitcnt lgkmcnt(0)
	s_barrier
	buffer_gl0_inv
	v_cmpx_gt_u32_e32 30, v166
	s_cbranch_execz .LBB59_135
; %bb.132:
	v_dual_mov_b32 v1, 0 :: v_dual_add_nc_u32 v8, 0x3c0, v13
	v_dual_mov_b32 v2, 0 :: v_dual_add_nc_u32 v7, -1, v166
	v_or_b32_e32 v9, 8, v14
	s_mov_b32 s3, 0
	s_delay_alu instid0(VALU_DEP_2)
	v_dual_mov_b32 v4, v2 :: v_dual_mov_b32 v3, v1
	.p2align	6
.LBB59_133:                             ; =>This Inner Loop Header: Depth=1
	scratch_load_b128 v[15:18], v9, off offset:-8
	ds_load_b128 v[19:22], v8
	v_add_nc_u32_e32 v7, 1, v7
	v_add_nc_u32_e32 v8, 16, v8
	;; [unrolled: 1-line block ×3, first 2 shown]
	s_delay_alu instid0(VALU_DEP_3) | instskip(SKIP_4) | instid1(VALU_DEP_2)
	v_cmp_lt_u32_e32 vcc_lo, 28, v7
	s_or_b32 s3, vcc_lo, s3
	s_waitcnt vmcnt(0) lgkmcnt(0)
	v_mul_f64 v[10:11], v[21:22], v[17:18]
	v_mul_f64 v[17:18], v[19:20], v[17:18]
	v_fma_f64 v[10:11], v[19:20], v[15:16], -v[10:11]
	s_delay_alu instid0(VALU_DEP_2) | instskip(NEXT) | instid1(VALU_DEP_2)
	v_fma_f64 v[15:16], v[21:22], v[15:16], v[17:18]
	v_add_f64 v[3:4], v[3:4], v[10:11]
	s_delay_alu instid0(VALU_DEP_2)
	v_add_f64 v[1:2], v[1:2], v[15:16]
	s_and_not1_b32 exec_lo, exec_lo, s3
	s_cbranch_execnz .LBB59_133
; %bb.134:
	s_or_b32 exec_lo, exec_lo, s3
	v_mov_b32_e32 v7, 0
	ds_load_b128 v[7:10], v7 offset:480
	s_waitcnt lgkmcnt(0)
	v_mul_f64 v[11:12], v[1:2], v[9:10]
	v_mul_f64 v[15:16], v[3:4], v[9:10]
	s_delay_alu instid0(VALU_DEP_2) | instskip(NEXT) | instid1(VALU_DEP_2)
	v_fma_f64 v[9:10], v[3:4], v[7:8], -v[11:12]
	v_fma_f64 v[11:12], v[1:2], v[7:8], v[15:16]
	scratch_store_b128 off, v[9:12], off offset:480
.LBB59_135:
	s_or_b32 exec_lo, exec_lo, s2
	s_waitcnt_vscnt null, 0x0
	s_barrier
	buffer_gl0_inv
	scratch_load_b128 v[1:4], v223, off
	s_mov_b32 s2, exec_lo
	s_waitcnt vmcnt(0)
	ds_store_b128 v5, v[1:4]
	s_waitcnt lgkmcnt(0)
	s_barrier
	buffer_gl0_inv
	v_cmpx_gt_u32_e32 31, v166
	s_cbranch_execz .LBB59_139
; %bb.136:
	v_dual_mov_b32 v1, 0 :: v_dual_add_nc_u32 v8, 0x3c0, v13
	v_dual_mov_b32 v2, 0 :: v_dual_add_nc_u32 v7, -1, v166
	v_or_b32_e32 v9, 8, v14
	s_mov_b32 s3, 0
	s_delay_alu instid0(VALU_DEP_2)
	v_dual_mov_b32 v4, v2 :: v_dual_mov_b32 v3, v1
	.p2align	6
.LBB59_137:                             ; =>This Inner Loop Header: Depth=1
	scratch_load_b128 v[15:18], v9, off offset:-8
	ds_load_b128 v[19:22], v8
	v_add_nc_u32_e32 v7, 1, v7
	v_add_nc_u32_e32 v8, 16, v8
	;; [unrolled: 1-line block ×3, first 2 shown]
	s_delay_alu instid0(VALU_DEP_3) | instskip(SKIP_4) | instid1(VALU_DEP_2)
	v_cmp_lt_u32_e32 vcc_lo, 29, v7
	s_or_b32 s3, vcc_lo, s3
	s_waitcnt vmcnt(0) lgkmcnt(0)
	v_mul_f64 v[10:11], v[21:22], v[17:18]
	v_mul_f64 v[17:18], v[19:20], v[17:18]
	v_fma_f64 v[10:11], v[19:20], v[15:16], -v[10:11]
	s_delay_alu instid0(VALU_DEP_2) | instskip(NEXT) | instid1(VALU_DEP_2)
	v_fma_f64 v[15:16], v[21:22], v[15:16], v[17:18]
	v_add_f64 v[3:4], v[3:4], v[10:11]
	s_delay_alu instid0(VALU_DEP_2)
	v_add_f64 v[1:2], v[1:2], v[15:16]
	s_and_not1_b32 exec_lo, exec_lo, s3
	s_cbranch_execnz .LBB59_137
; %bb.138:
	s_or_b32 exec_lo, exec_lo, s3
	v_mov_b32_e32 v7, 0
	ds_load_b128 v[7:10], v7 offset:496
	s_waitcnt lgkmcnt(0)
	v_mul_f64 v[11:12], v[1:2], v[9:10]
	v_mul_f64 v[15:16], v[3:4], v[9:10]
	s_delay_alu instid0(VALU_DEP_2) | instskip(NEXT) | instid1(VALU_DEP_2)
	v_fma_f64 v[9:10], v[3:4], v[7:8], -v[11:12]
	v_fma_f64 v[11:12], v[1:2], v[7:8], v[15:16]
	scratch_store_b128 off, v[9:12], off offset:496
.LBB59_139:
	s_or_b32 exec_lo, exec_lo, s2
	s_waitcnt_vscnt null, 0x0
	s_barrier
	buffer_gl0_inv
	scratch_load_b128 v[1:4], v216, off
	s_mov_b32 s2, exec_lo
	s_waitcnt vmcnt(0)
	ds_store_b128 v5, v[1:4]
	s_waitcnt lgkmcnt(0)
	s_barrier
	buffer_gl0_inv
	v_cmpx_gt_u32_e32 32, v166
	s_cbranch_execz .LBB59_143
; %bb.140:
	v_dual_mov_b32 v1, 0 :: v_dual_add_nc_u32 v8, 0x3c0, v13
	v_dual_mov_b32 v2, 0 :: v_dual_add_nc_u32 v7, -1, v166
	v_or_b32_e32 v9, 8, v14
	s_mov_b32 s3, 0
	s_delay_alu instid0(VALU_DEP_2)
	v_dual_mov_b32 v4, v2 :: v_dual_mov_b32 v3, v1
	.p2align	6
.LBB59_141:                             ; =>This Inner Loop Header: Depth=1
	scratch_load_b128 v[15:18], v9, off offset:-8
	ds_load_b128 v[19:22], v8
	v_add_nc_u32_e32 v7, 1, v7
	v_add_nc_u32_e32 v8, 16, v8
	;; [unrolled: 1-line block ×3, first 2 shown]
	s_delay_alu instid0(VALU_DEP_3) | instskip(SKIP_4) | instid1(VALU_DEP_2)
	v_cmp_lt_u32_e32 vcc_lo, 30, v7
	s_or_b32 s3, vcc_lo, s3
	s_waitcnt vmcnt(0) lgkmcnt(0)
	v_mul_f64 v[10:11], v[21:22], v[17:18]
	v_mul_f64 v[17:18], v[19:20], v[17:18]
	v_fma_f64 v[10:11], v[19:20], v[15:16], -v[10:11]
	s_delay_alu instid0(VALU_DEP_2) | instskip(NEXT) | instid1(VALU_DEP_2)
	v_fma_f64 v[15:16], v[21:22], v[15:16], v[17:18]
	v_add_f64 v[3:4], v[3:4], v[10:11]
	s_delay_alu instid0(VALU_DEP_2)
	v_add_f64 v[1:2], v[1:2], v[15:16]
	s_and_not1_b32 exec_lo, exec_lo, s3
	s_cbranch_execnz .LBB59_141
; %bb.142:
	s_or_b32 exec_lo, exec_lo, s3
	v_mov_b32_e32 v7, 0
	ds_load_b128 v[7:10], v7 offset:512
	s_waitcnt lgkmcnt(0)
	v_mul_f64 v[11:12], v[1:2], v[9:10]
	v_mul_f64 v[15:16], v[3:4], v[9:10]
	s_delay_alu instid0(VALU_DEP_2) | instskip(NEXT) | instid1(VALU_DEP_2)
	v_fma_f64 v[9:10], v[3:4], v[7:8], -v[11:12]
	v_fma_f64 v[11:12], v[1:2], v[7:8], v[15:16]
	scratch_store_b128 off, v[9:12], off offset:512
.LBB59_143:
	s_or_b32 exec_lo, exec_lo, s2
	s_waitcnt_vscnt null, 0x0
	s_barrier
	buffer_gl0_inv
	scratch_load_b128 v[1:4], v213, off
	s_mov_b32 s2, exec_lo
	s_waitcnt vmcnt(0)
	ds_store_b128 v5, v[1:4]
	s_waitcnt lgkmcnt(0)
	s_barrier
	buffer_gl0_inv
	v_cmpx_gt_u32_e32 33, v166
	s_cbranch_execz .LBB59_147
; %bb.144:
	v_dual_mov_b32 v1, 0 :: v_dual_add_nc_u32 v8, 0x3c0, v13
	v_dual_mov_b32 v2, 0 :: v_dual_add_nc_u32 v7, -1, v166
	v_or_b32_e32 v9, 8, v14
	s_mov_b32 s3, 0
	s_delay_alu instid0(VALU_DEP_2)
	v_dual_mov_b32 v4, v2 :: v_dual_mov_b32 v3, v1
	.p2align	6
.LBB59_145:                             ; =>This Inner Loop Header: Depth=1
	scratch_load_b128 v[15:18], v9, off offset:-8
	ds_load_b128 v[19:22], v8
	v_add_nc_u32_e32 v7, 1, v7
	v_add_nc_u32_e32 v8, 16, v8
	;; [unrolled: 1-line block ×3, first 2 shown]
	s_delay_alu instid0(VALU_DEP_3) | instskip(SKIP_4) | instid1(VALU_DEP_2)
	v_cmp_lt_u32_e32 vcc_lo, 31, v7
	s_or_b32 s3, vcc_lo, s3
	s_waitcnt vmcnt(0) lgkmcnt(0)
	v_mul_f64 v[10:11], v[21:22], v[17:18]
	v_mul_f64 v[17:18], v[19:20], v[17:18]
	v_fma_f64 v[10:11], v[19:20], v[15:16], -v[10:11]
	s_delay_alu instid0(VALU_DEP_2) | instskip(NEXT) | instid1(VALU_DEP_2)
	v_fma_f64 v[15:16], v[21:22], v[15:16], v[17:18]
	v_add_f64 v[3:4], v[3:4], v[10:11]
	s_delay_alu instid0(VALU_DEP_2)
	v_add_f64 v[1:2], v[1:2], v[15:16]
	s_and_not1_b32 exec_lo, exec_lo, s3
	s_cbranch_execnz .LBB59_145
; %bb.146:
	s_or_b32 exec_lo, exec_lo, s3
	v_mov_b32_e32 v7, 0
	ds_load_b128 v[7:10], v7 offset:528
	s_waitcnt lgkmcnt(0)
	v_mul_f64 v[11:12], v[1:2], v[9:10]
	v_mul_f64 v[15:16], v[3:4], v[9:10]
	s_delay_alu instid0(VALU_DEP_2) | instskip(NEXT) | instid1(VALU_DEP_2)
	v_fma_f64 v[9:10], v[3:4], v[7:8], -v[11:12]
	v_fma_f64 v[11:12], v[1:2], v[7:8], v[15:16]
	scratch_store_b128 off, v[9:12], off offset:528
.LBB59_147:
	s_or_b32 exec_lo, exec_lo, s2
	s_waitcnt_vscnt null, 0x0
	s_barrier
	buffer_gl0_inv
	scratch_load_b128 v[1:4], v50, off
	s_mov_b32 s2, exec_lo
	s_waitcnt vmcnt(0)
	ds_store_b128 v5, v[1:4]
	s_waitcnt lgkmcnt(0)
	s_barrier
	buffer_gl0_inv
	v_cmpx_gt_u32_e32 34, v166
	s_cbranch_execz .LBB59_151
; %bb.148:
	v_dual_mov_b32 v1, 0 :: v_dual_add_nc_u32 v8, 0x3c0, v13
	v_dual_mov_b32 v2, 0 :: v_dual_add_nc_u32 v7, -1, v166
	v_or_b32_e32 v9, 8, v14
	s_mov_b32 s3, 0
	s_delay_alu instid0(VALU_DEP_2)
	v_dual_mov_b32 v4, v2 :: v_dual_mov_b32 v3, v1
	.p2align	6
.LBB59_149:                             ; =>This Inner Loop Header: Depth=1
	scratch_load_b128 v[15:18], v9, off offset:-8
	ds_load_b128 v[19:22], v8
	v_add_nc_u32_e32 v7, 1, v7
	v_add_nc_u32_e32 v8, 16, v8
	;; [unrolled: 1-line block ×3, first 2 shown]
	s_delay_alu instid0(VALU_DEP_3) | instskip(SKIP_4) | instid1(VALU_DEP_2)
	v_cmp_lt_u32_e32 vcc_lo, 32, v7
	s_or_b32 s3, vcc_lo, s3
	s_waitcnt vmcnt(0) lgkmcnt(0)
	v_mul_f64 v[10:11], v[21:22], v[17:18]
	v_mul_f64 v[17:18], v[19:20], v[17:18]
	v_fma_f64 v[10:11], v[19:20], v[15:16], -v[10:11]
	s_delay_alu instid0(VALU_DEP_2) | instskip(NEXT) | instid1(VALU_DEP_2)
	v_fma_f64 v[15:16], v[21:22], v[15:16], v[17:18]
	v_add_f64 v[3:4], v[3:4], v[10:11]
	s_delay_alu instid0(VALU_DEP_2)
	v_add_f64 v[1:2], v[1:2], v[15:16]
	s_and_not1_b32 exec_lo, exec_lo, s3
	s_cbranch_execnz .LBB59_149
; %bb.150:
	s_or_b32 exec_lo, exec_lo, s3
	v_mov_b32_e32 v7, 0
	ds_load_b128 v[7:10], v7 offset:544
	s_waitcnt lgkmcnt(0)
	v_mul_f64 v[11:12], v[1:2], v[9:10]
	v_mul_f64 v[15:16], v[3:4], v[9:10]
	s_delay_alu instid0(VALU_DEP_2) | instskip(NEXT) | instid1(VALU_DEP_2)
	v_fma_f64 v[9:10], v[3:4], v[7:8], -v[11:12]
	v_fma_f64 v[11:12], v[1:2], v[7:8], v[15:16]
	scratch_store_b128 off, v[9:12], off offset:544
.LBB59_151:
	s_or_b32 exec_lo, exec_lo, s2
	s_waitcnt_vscnt null, 0x0
	s_barrier
	buffer_gl0_inv
	scratch_load_b128 v[1:4], v49, off
	s_mov_b32 s2, exec_lo
	s_waitcnt vmcnt(0)
	ds_store_b128 v5, v[1:4]
	s_waitcnt lgkmcnt(0)
	s_barrier
	buffer_gl0_inv
	v_cmpx_gt_u32_e32 35, v166
	s_cbranch_execz .LBB59_155
; %bb.152:
	v_dual_mov_b32 v1, 0 :: v_dual_add_nc_u32 v8, 0x3c0, v13
	v_dual_mov_b32 v2, 0 :: v_dual_add_nc_u32 v7, -1, v166
	v_or_b32_e32 v9, 8, v14
	s_mov_b32 s3, 0
	s_delay_alu instid0(VALU_DEP_2)
	v_dual_mov_b32 v4, v2 :: v_dual_mov_b32 v3, v1
	.p2align	6
.LBB59_153:                             ; =>This Inner Loop Header: Depth=1
	scratch_load_b128 v[15:18], v9, off offset:-8
	ds_load_b128 v[19:22], v8
	v_add_nc_u32_e32 v7, 1, v7
	v_add_nc_u32_e32 v8, 16, v8
	;; [unrolled: 1-line block ×3, first 2 shown]
	s_delay_alu instid0(VALU_DEP_3) | instskip(SKIP_4) | instid1(VALU_DEP_2)
	v_cmp_lt_u32_e32 vcc_lo, 33, v7
	s_or_b32 s3, vcc_lo, s3
	s_waitcnt vmcnt(0) lgkmcnt(0)
	v_mul_f64 v[10:11], v[21:22], v[17:18]
	v_mul_f64 v[17:18], v[19:20], v[17:18]
	v_fma_f64 v[10:11], v[19:20], v[15:16], -v[10:11]
	s_delay_alu instid0(VALU_DEP_2) | instskip(NEXT) | instid1(VALU_DEP_2)
	v_fma_f64 v[15:16], v[21:22], v[15:16], v[17:18]
	v_add_f64 v[3:4], v[3:4], v[10:11]
	s_delay_alu instid0(VALU_DEP_2)
	v_add_f64 v[1:2], v[1:2], v[15:16]
	s_and_not1_b32 exec_lo, exec_lo, s3
	s_cbranch_execnz .LBB59_153
; %bb.154:
	s_or_b32 exec_lo, exec_lo, s3
	v_mov_b32_e32 v7, 0
	ds_load_b128 v[7:10], v7 offset:560
	s_waitcnt lgkmcnt(0)
	v_mul_f64 v[11:12], v[1:2], v[9:10]
	v_mul_f64 v[15:16], v[3:4], v[9:10]
	s_delay_alu instid0(VALU_DEP_2) | instskip(NEXT) | instid1(VALU_DEP_2)
	v_fma_f64 v[9:10], v[3:4], v[7:8], -v[11:12]
	v_fma_f64 v[11:12], v[1:2], v[7:8], v[15:16]
	scratch_store_b128 off, v[9:12], off offset:560
.LBB59_155:
	s_or_b32 exec_lo, exec_lo, s2
	s_waitcnt_vscnt null, 0x0
	s_barrier
	buffer_gl0_inv
	scratch_load_b128 v[1:4], v48, off
	s_mov_b32 s2, exec_lo
	s_waitcnt vmcnt(0)
	ds_store_b128 v5, v[1:4]
	s_waitcnt lgkmcnt(0)
	s_barrier
	buffer_gl0_inv
	v_cmpx_gt_u32_e32 36, v166
	s_cbranch_execz .LBB59_159
; %bb.156:
	v_dual_mov_b32 v1, 0 :: v_dual_add_nc_u32 v8, 0x3c0, v13
	v_dual_mov_b32 v2, 0 :: v_dual_add_nc_u32 v7, -1, v166
	v_or_b32_e32 v9, 8, v14
	s_mov_b32 s3, 0
	s_delay_alu instid0(VALU_DEP_2)
	v_dual_mov_b32 v4, v2 :: v_dual_mov_b32 v3, v1
	.p2align	6
.LBB59_157:                             ; =>This Inner Loop Header: Depth=1
	scratch_load_b128 v[15:18], v9, off offset:-8
	ds_load_b128 v[19:22], v8
	v_add_nc_u32_e32 v7, 1, v7
	v_add_nc_u32_e32 v8, 16, v8
	;; [unrolled: 1-line block ×3, first 2 shown]
	s_delay_alu instid0(VALU_DEP_3) | instskip(SKIP_4) | instid1(VALU_DEP_2)
	v_cmp_lt_u32_e32 vcc_lo, 34, v7
	s_or_b32 s3, vcc_lo, s3
	s_waitcnt vmcnt(0) lgkmcnt(0)
	v_mul_f64 v[10:11], v[21:22], v[17:18]
	v_mul_f64 v[17:18], v[19:20], v[17:18]
	v_fma_f64 v[10:11], v[19:20], v[15:16], -v[10:11]
	s_delay_alu instid0(VALU_DEP_2) | instskip(NEXT) | instid1(VALU_DEP_2)
	v_fma_f64 v[15:16], v[21:22], v[15:16], v[17:18]
	v_add_f64 v[3:4], v[3:4], v[10:11]
	s_delay_alu instid0(VALU_DEP_2)
	v_add_f64 v[1:2], v[1:2], v[15:16]
	s_and_not1_b32 exec_lo, exec_lo, s3
	s_cbranch_execnz .LBB59_157
; %bb.158:
	s_or_b32 exec_lo, exec_lo, s3
	v_mov_b32_e32 v7, 0
	ds_load_b128 v[7:10], v7 offset:576
	s_waitcnt lgkmcnt(0)
	v_mul_f64 v[11:12], v[1:2], v[9:10]
	v_mul_f64 v[15:16], v[3:4], v[9:10]
	s_delay_alu instid0(VALU_DEP_2) | instskip(NEXT) | instid1(VALU_DEP_2)
	v_fma_f64 v[9:10], v[3:4], v[7:8], -v[11:12]
	v_fma_f64 v[11:12], v[1:2], v[7:8], v[15:16]
	scratch_store_b128 off, v[9:12], off offset:576
.LBB59_159:
	s_or_b32 exec_lo, exec_lo, s2
	s_waitcnt_vscnt null, 0x0
	s_barrier
	buffer_gl0_inv
	scratch_load_b128 v[1:4], v179, off
	s_mov_b32 s2, exec_lo
	s_waitcnt vmcnt(0)
	ds_store_b128 v5, v[1:4]
	s_waitcnt lgkmcnt(0)
	s_barrier
	buffer_gl0_inv
	v_cmpx_gt_u32_e32 37, v166
	s_cbranch_execz .LBB59_163
; %bb.160:
	v_dual_mov_b32 v1, 0 :: v_dual_add_nc_u32 v8, 0x3c0, v13
	v_dual_mov_b32 v2, 0 :: v_dual_add_nc_u32 v7, -1, v166
	v_or_b32_e32 v9, 8, v14
	s_mov_b32 s3, 0
	s_delay_alu instid0(VALU_DEP_2)
	v_dual_mov_b32 v4, v2 :: v_dual_mov_b32 v3, v1
	.p2align	6
.LBB59_161:                             ; =>This Inner Loop Header: Depth=1
	scratch_load_b128 v[15:18], v9, off offset:-8
	ds_load_b128 v[19:22], v8
	v_add_nc_u32_e32 v7, 1, v7
	v_add_nc_u32_e32 v8, 16, v8
	;; [unrolled: 1-line block ×3, first 2 shown]
	s_delay_alu instid0(VALU_DEP_3) | instskip(SKIP_4) | instid1(VALU_DEP_2)
	v_cmp_lt_u32_e32 vcc_lo, 35, v7
	s_or_b32 s3, vcc_lo, s3
	s_waitcnt vmcnt(0) lgkmcnt(0)
	v_mul_f64 v[10:11], v[21:22], v[17:18]
	v_mul_f64 v[17:18], v[19:20], v[17:18]
	v_fma_f64 v[10:11], v[19:20], v[15:16], -v[10:11]
	s_delay_alu instid0(VALU_DEP_2) | instskip(NEXT) | instid1(VALU_DEP_2)
	v_fma_f64 v[15:16], v[21:22], v[15:16], v[17:18]
	v_add_f64 v[3:4], v[3:4], v[10:11]
	s_delay_alu instid0(VALU_DEP_2)
	v_add_f64 v[1:2], v[1:2], v[15:16]
	s_and_not1_b32 exec_lo, exec_lo, s3
	s_cbranch_execnz .LBB59_161
; %bb.162:
	s_or_b32 exec_lo, exec_lo, s3
	v_mov_b32_e32 v7, 0
	ds_load_b128 v[7:10], v7 offset:592
	s_waitcnt lgkmcnt(0)
	v_mul_f64 v[11:12], v[1:2], v[9:10]
	v_mul_f64 v[15:16], v[3:4], v[9:10]
	s_delay_alu instid0(VALU_DEP_2) | instskip(NEXT) | instid1(VALU_DEP_2)
	v_fma_f64 v[9:10], v[3:4], v[7:8], -v[11:12]
	v_fma_f64 v[11:12], v[1:2], v[7:8], v[15:16]
	scratch_store_b128 off, v[9:12], off offset:592
.LBB59_163:
	s_or_b32 exec_lo, exec_lo, s2
	s_waitcnt_vscnt null, 0x0
	s_barrier
	buffer_gl0_inv
	scratch_load_b128 v[1:4], v192, off
	s_mov_b32 s2, exec_lo
	s_waitcnt vmcnt(0)
	ds_store_b128 v5, v[1:4]
	s_waitcnt lgkmcnt(0)
	s_barrier
	buffer_gl0_inv
	v_cmpx_gt_u32_e32 38, v166
	s_cbranch_execz .LBB59_167
; %bb.164:
	v_dual_mov_b32 v1, 0 :: v_dual_add_nc_u32 v8, 0x3c0, v13
	v_dual_mov_b32 v2, 0 :: v_dual_add_nc_u32 v7, -1, v166
	v_or_b32_e32 v9, 8, v14
	s_mov_b32 s3, 0
	s_delay_alu instid0(VALU_DEP_2)
	v_dual_mov_b32 v4, v2 :: v_dual_mov_b32 v3, v1
	.p2align	6
.LBB59_165:                             ; =>This Inner Loop Header: Depth=1
	scratch_load_b128 v[15:18], v9, off offset:-8
	ds_load_b128 v[19:22], v8
	v_add_nc_u32_e32 v7, 1, v7
	v_add_nc_u32_e32 v8, 16, v8
	;; [unrolled: 1-line block ×3, first 2 shown]
	s_delay_alu instid0(VALU_DEP_3) | instskip(SKIP_4) | instid1(VALU_DEP_2)
	v_cmp_lt_u32_e32 vcc_lo, 36, v7
	s_or_b32 s3, vcc_lo, s3
	s_waitcnt vmcnt(0) lgkmcnt(0)
	v_mul_f64 v[10:11], v[21:22], v[17:18]
	v_mul_f64 v[17:18], v[19:20], v[17:18]
	v_fma_f64 v[10:11], v[19:20], v[15:16], -v[10:11]
	s_delay_alu instid0(VALU_DEP_2) | instskip(NEXT) | instid1(VALU_DEP_2)
	v_fma_f64 v[15:16], v[21:22], v[15:16], v[17:18]
	v_add_f64 v[3:4], v[3:4], v[10:11]
	s_delay_alu instid0(VALU_DEP_2)
	v_add_f64 v[1:2], v[1:2], v[15:16]
	s_and_not1_b32 exec_lo, exec_lo, s3
	s_cbranch_execnz .LBB59_165
; %bb.166:
	s_or_b32 exec_lo, exec_lo, s3
	v_mov_b32_e32 v7, 0
	ds_load_b128 v[7:10], v7 offset:608
	s_waitcnt lgkmcnt(0)
	v_mul_f64 v[11:12], v[1:2], v[9:10]
	v_mul_f64 v[15:16], v[3:4], v[9:10]
	s_delay_alu instid0(VALU_DEP_2) | instskip(NEXT) | instid1(VALU_DEP_2)
	v_fma_f64 v[9:10], v[3:4], v[7:8], -v[11:12]
	v_fma_f64 v[11:12], v[1:2], v[7:8], v[15:16]
	scratch_store_b128 off, v[9:12], off offset:608
.LBB59_167:
	s_or_b32 exec_lo, exec_lo, s2
	s_waitcnt_vscnt null, 0x0
	s_barrier
	buffer_gl0_inv
	scratch_load_b128 v[1:4], v195, off
	s_mov_b32 s2, exec_lo
	s_waitcnt vmcnt(0)
	ds_store_b128 v5, v[1:4]
	s_waitcnt lgkmcnt(0)
	s_barrier
	buffer_gl0_inv
	v_cmpx_gt_u32_e32 39, v166
	s_cbranch_execz .LBB59_171
; %bb.168:
	v_dual_mov_b32 v1, 0 :: v_dual_add_nc_u32 v8, 0x3c0, v13
	v_dual_mov_b32 v2, 0 :: v_dual_add_nc_u32 v7, -1, v166
	v_or_b32_e32 v9, 8, v14
	s_mov_b32 s3, 0
	s_delay_alu instid0(VALU_DEP_2)
	v_dual_mov_b32 v4, v2 :: v_dual_mov_b32 v3, v1
	.p2align	6
.LBB59_169:                             ; =>This Inner Loop Header: Depth=1
	scratch_load_b128 v[15:18], v9, off offset:-8
	ds_load_b128 v[19:22], v8
	v_add_nc_u32_e32 v7, 1, v7
	v_add_nc_u32_e32 v8, 16, v8
	;; [unrolled: 1-line block ×3, first 2 shown]
	s_delay_alu instid0(VALU_DEP_3) | instskip(SKIP_4) | instid1(VALU_DEP_2)
	v_cmp_lt_u32_e32 vcc_lo, 37, v7
	s_or_b32 s3, vcc_lo, s3
	s_waitcnt vmcnt(0) lgkmcnt(0)
	v_mul_f64 v[10:11], v[21:22], v[17:18]
	v_mul_f64 v[17:18], v[19:20], v[17:18]
	v_fma_f64 v[10:11], v[19:20], v[15:16], -v[10:11]
	s_delay_alu instid0(VALU_DEP_2) | instskip(NEXT) | instid1(VALU_DEP_2)
	v_fma_f64 v[15:16], v[21:22], v[15:16], v[17:18]
	v_add_f64 v[3:4], v[3:4], v[10:11]
	s_delay_alu instid0(VALU_DEP_2)
	v_add_f64 v[1:2], v[1:2], v[15:16]
	s_and_not1_b32 exec_lo, exec_lo, s3
	s_cbranch_execnz .LBB59_169
; %bb.170:
	s_or_b32 exec_lo, exec_lo, s3
	v_mov_b32_e32 v7, 0
	ds_load_b128 v[7:10], v7 offset:624
	s_waitcnt lgkmcnt(0)
	v_mul_f64 v[11:12], v[1:2], v[9:10]
	v_mul_f64 v[15:16], v[3:4], v[9:10]
	s_delay_alu instid0(VALU_DEP_2) | instskip(NEXT) | instid1(VALU_DEP_2)
	v_fma_f64 v[9:10], v[3:4], v[7:8], -v[11:12]
	v_fma_f64 v[11:12], v[1:2], v[7:8], v[15:16]
	scratch_store_b128 off, v[9:12], off offset:624
.LBB59_171:
	s_or_b32 exec_lo, exec_lo, s2
	s_waitcnt_vscnt null, 0x0
	s_barrier
	buffer_gl0_inv
	scratch_load_b128 v[1:4], v193, off
	s_mov_b32 s2, exec_lo
	s_waitcnt vmcnt(0)
	ds_store_b128 v5, v[1:4]
	s_waitcnt lgkmcnt(0)
	s_barrier
	buffer_gl0_inv
	v_cmpx_gt_u32_e32 40, v166
	s_cbranch_execz .LBB59_175
; %bb.172:
	v_dual_mov_b32 v1, 0 :: v_dual_add_nc_u32 v8, 0x3c0, v13
	v_dual_mov_b32 v2, 0 :: v_dual_add_nc_u32 v7, -1, v166
	v_or_b32_e32 v9, 8, v14
	s_mov_b32 s3, 0
	s_delay_alu instid0(VALU_DEP_2)
	v_dual_mov_b32 v4, v2 :: v_dual_mov_b32 v3, v1
	.p2align	6
.LBB59_173:                             ; =>This Inner Loop Header: Depth=1
	scratch_load_b128 v[15:18], v9, off offset:-8
	ds_load_b128 v[19:22], v8
	v_add_nc_u32_e32 v7, 1, v7
	v_add_nc_u32_e32 v8, 16, v8
	v_add_nc_u32_e32 v9, 16, v9
	s_delay_alu instid0(VALU_DEP_3) | instskip(SKIP_4) | instid1(VALU_DEP_2)
	v_cmp_lt_u32_e32 vcc_lo, 38, v7
	s_or_b32 s3, vcc_lo, s3
	s_waitcnt vmcnt(0) lgkmcnt(0)
	v_mul_f64 v[10:11], v[21:22], v[17:18]
	v_mul_f64 v[17:18], v[19:20], v[17:18]
	v_fma_f64 v[10:11], v[19:20], v[15:16], -v[10:11]
	s_delay_alu instid0(VALU_DEP_2) | instskip(NEXT) | instid1(VALU_DEP_2)
	v_fma_f64 v[15:16], v[21:22], v[15:16], v[17:18]
	v_add_f64 v[3:4], v[3:4], v[10:11]
	s_delay_alu instid0(VALU_DEP_2)
	v_add_f64 v[1:2], v[1:2], v[15:16]
	s_and_not1_b32 exec_lo, exec_lo, s3
	s_cbranch_execnz .LBB59_173
; %bb.174:
	s_or_b32 exec_lo, exec_lo, s3
	v_mov_b32_e32 v7, 0
	ds_load_b128 v[7:10], v7 offset:640
	s_waitcnt lgkmcnt(0)
	v_mul_f64 v[11:12], v[1:2], v[9:10]
	v_mul_f64 v[15:16], v[3:4], v[9:10]
	s_delay_alu instid0(VALU_DEP_2) | instskip(NEXT) | instid1(VALU_DEP_2)
	v_fma_f64 v[9:10], v[3:4], v[7:8], -v[11:12]
	v_fma_f64 v[11:12], v[1:2], v[7:8], v[15:16]
	scratch_store_b128 off, v[9:12], off offset:640
.LBB59_175:
	s_or_b32 exec_lo, exec_lo, s2
	s_waitcnt_vscnt null, 0x0
	s_barrier
	buffer_gl0_inv
	scratch_load_b128 v[1:4], v191, off
	s_mov_b32 s2, exec_lo
	s_waitcnt vmcnt(0)
	ds_store_b128 v5, v[1:4]
	s_waitcnt lgkmcnt(0)
	s_barrier
	buffer_gl0_inv
	v_cmpx_gt_u32_e32 41, v166
	s_cbranch_execz .LBB59_179
; %bb.176:
	v_dual_mov_b32 v1, 0 :: v_dual_add_nc_u32 v8, 0x3c0, v13
	v_dual_mov_b32 v2, 0 :: v_dual_add_nc_u32 v7, -1, v166
	v_or_b32_e32 v9, 8, v14
	s_mov_b32 s3, 0
	s_delay_alu instid0(VALU_DEP_2)
	v_dual_mov_b32 v4, v2 :: v_dual_mov_b32 v3, v1
	.p2align	6
.LBB59_177:                             ; =>This Inner Loop Header: Depth=1
	scratch_load_b128 v[15:18], v9, off offset:-8
	ds_load_b128 v[19:22], v8
	v_add_nc_u32_e32 v7, 1, v7
	v_add_nc_u32_e32 v8, 16, v8
	;; [unrolled: 1-line block ×3, first 2 shown]
	s_delay_alu instid0(VALU_DEP_3) | instskip(SKIP_4) | instid1(VALU_DEP_2)
	v_cmp_lt_u32_e32 vcc_lo, 39, v7
	s_or_b32 s3, vcc_lo, s3
	s_waitcnt vmcnt(0) lgkmcnt(0)
	v_mul_f64 v[10:11], v[21:22], v[17:18]
	v_mul_f64 v[17:18], v[19:20], v[17:18]
	v_fma_f64 v[10:11], v[19:20], v[15:16], -v[10:11]
	s_delay_alu instid0(VALU_DEP_2) | instskip(NEXT) | instid1(VALU_DEP_2)
	v_fma_f64 v[15:16], v[21:22], v[15:16], v[17:18]
	v_add_f64 v[3:4], v[3:4], v[10:11]
	s_delay_alu instid0(VALU_DEP_2)
	v_add_f64 v[1:2], v[1:2], v[15:16]
	s_and_not1_b32 exec_lo, exec_lo, s3
	s_cbranch_execnz .LBB59_177
; %bb.178:
	s_or_b32 exec_lo, exec_lo, s3
	v_mov_b32_e32 v7, 0
	ds_load_b128 v[7:10], v7 offset:656
	s_waitcnt lgkmcnt(0)
	v_mul_f64 v[11:12], v[1:2], v[9:10]
	v_mul_f64 v[15:16], v[3:4], v[9:10]
	s_delay_alu instid0(VALU_DEP_2) | instskip(NEXT) | instid1(VALU_DEP_2)
	v_fma_f64 v[9:10], v[3:4], v[7:8], -v[11:12]
	v_fma_f64 v[11:12], v[1:2], v[7:8], v[15:16]
	scratch_store_b128 off, v[9:12], off offset:656
.LBB59_179:
	s_or_b32 exec_lo, exec_lo, s2
	s_waitcnt_vscnt null, 0x0
	s_barrier
	buffer_gl0_inv
	scratch_load_b128 v[1:4], v190, off
	s_mov_b32 s2, exec_lo
	s_waitcnt vmcnt(0)
	ds_store_b128 v5, v[1:4]
	s_waitcnt lgkmcnt(0)
	s_barrier
	buffer_gl0_inv
	v_cmpx_gt_u32_e32 42, v166
	s_cbranch_execz .LBB59_183
; %bb.180:
	v_dual_mov_b32 v1, 0 :: v_dual_add_nc_u32 v8, 0x3c0, v13
	v_dual_mov_b32 v2, 0 :: v_dual_add_nc_u32 v7, -1, v166
	v_or_b32_e32 v9, 8, v14
	s_mov_b32 s3, 0
	s_delay_alu instid0(VALU_DEP_2)
	v_dual_mov_b32 v4, v2 :: v_dual_mov_b32 v3, v1
	.p2align	6
.LBB59_181:                             ; =>This Inner Loop Header: Depth=1
	scratch_load_b128 v[15:18], v9, off offset:-8
	ds_load_b128 v[19:22], v8
	v_add_nc_u32_e32 v7, 1, v7
	v_add_nc_u32_e32 v8, 16, v8
	v_add_nc_u32_e32 v9, 16, v9
	s_delay_alu instid0(VALU_DEP_3) | instskip(SKIP_4) | instid1(VALU_DEP_2)
	v_cmp_lt_u32_e32 vcc_lo, 40, v7
	s_or_b32 s3, vcc_lo, s3
	s_waitcnt vmcnt(0) lgkmcnt(0)
	v_mul_f64 v[10:11], v[21:22], v[17:18]
	v_mul_f64 v[17:18], v[19:20], v[17:18]
	v_fma_f64 v[10:11], v[19:20], v[15:16], -v[10:11]
	s_delay_alu instid0(VALU_DEP_2) | instskip(NEXT) | instid1(VALU_DEP_2)
	v_fma_f64 v[15:16], v[21:22], v[15:16], v[17:18]
	v_add_f64 v[3:4], v[3:4], v[10:11]
	s_delay_alu instid0(VALU_DEP_2)
	v_add_f64 v[1:2], v[1:2], v[15:16]
	s_and_not1_b32 exec_lo, exec_lo, s3
	s_cbranch_execnz .LBB59_181
; %bb.182:
	s_or_b32 exec_lo, exec_lo, s3
	v_mov_b32_e32 v7, 0
	ds_load_b128 v[7:10], v7 offset:672
	s_waitcnt lgkmcnt(0)
	v_mul_f64 v[11:12], v[1:2], v[9:10]
	v_mul_f64 v[15:16], v[3:4], v[9:10]
	s_delay_alu instid0(VALU_DEP_2) | instskip(NEXT) | instid1(VALU_DEP_2)
	v_fma_f64 v[9:10], v[3:4], v[7:8], -v[11:12]
	v_fma_f64 v[11:12], v[1:2], v[7:8], v[15:16]
	scratch_store_b128 off, v[9:12], off offset:672
.LBB59_183:
	s_or_b32 exec_lo, exec_lo, s2
	s_waitcnt_vscnt null, 0x0
	s_barrier
	buffer_gl0_inv
	scratch_load_b128 v[1:4], v178, off
	s_mov_b32 s2, exec_lo
	s_waitcnt vmcnt(0)
	ds_store_b128 v5, v[1:4]
	s_waitcnt lgkmcnt(0)
	s_barrier
	buffer_gl0_inv
	v_cmpx_gt_u32_e32 43, v166
	s_cbranch_execz .LBB59_187
; %bb.184:
	v_dual_mov_b32 v1, 0 :: v_dual_add_nc_u32 v8, 0x3c0, v13
	v_dual_mov_b32 v2, 0 :: v_dual_add_nc_u32 v7, -1, v166
	v_or_b32_e32 v9, 8, v14
	s_mov_b32 s3, 0
	s_delay_alu instid0(VALU_DEP_2)
	v_dual_mov_b32 v4, v2 :: v_dual_mov_b32 v3, v1
	.p2align	6
.LBB59_185:                             ; =>This Inner Loop Header: Depth=1
	scratch_load_b128 v[15:18], v9, off offset:-8
	ds_load_b128 v[19:22], v8
	v_add_nc_u32_e32 v7, 1, v7
	v_add_nc_u32_e32 v8, 16, v8
	;; [unrolled: 1-line block ×3, first 2 shown]
	s_delay_alu instid0(VALU_DEP_3) | instskip(SKIP_4) | instid1(VALU_DEP_2)
	v_cmp_lt_u32_e32 vcc_lo, 41, v7
	s_or_b32 s3, vcc_lo, s3
	s_waitcnt vmcnt(0) lgkmcnt(0)
	v_mul_f64 v[10:11], v[21:22], v[17:18]
	v_mul_f64 v[17:18], v[19:20], v[17:18]
	v_fma_f64 v[10:11], v[19:20], v[15:16], -v[10:11]
	s_delay_alu instid0(VALU_DEP_2) | instskip(NEXT) | instid1(VALU_DEP_2)
	v_fma_f64 v[15:16], v[21:22], v[15:16], v[17:18]
	v_add_f64 v[3:4], v[3:4], v[10:11]
	s_delay_alu instid0(VALU_DEP_2)
	v_add_f64 v[1:2], v[1:2], v[15:16]
	s_and_not1_b32 exec_lo, exec_lo, s3
	s_cbranch_execnz .LBB59_185
; %bb.186:
	s_or_b32 exec_lo, exec_lo, s3
	v_mov_b32_e32 v7, 0
	ds_load_b128 v[7:10], v7 offset:688
	s_waitcnt lgkmcnt(0)
	v_mul_f64 v[11:12], v[1:2], v[9:10]
	v_mul_f64 v[15:16], v[3:4], v[9:10]
	s_delay_alu instid0(VALU_DEP_2) | instskip(NEXT) | instid1(VALU_DEP_2)
	v_fma_f64 v[9:10], v[3:4], v[7:8], -v[11:12]
	v_fma_f64 v[11:12], v[1:2], v[7:8], v[15:16]
	scratch_store_b128 off, v[9:12], off offset:688
.LBB59_187:
	s_or_b32 exec_lo, exec_lo, s2
	s_waitcnt_vscnt null, 0x0
	s_barrier
	buffer_gl0_inv
	scratch_load_b128 v[1:4], v177, off
	s_mov_b32 s2, exec_lo
	s_waitcnt vmcnt(0)
	ds_store_b128 v5, v[1:4]
	s_waitcnt lgkmcnt(0)
	s_barrier
	buffer_gl0_inv
	v_cmpx_gt_u32_e32 44, v166
	s_cbranch_execz .LBB59_191
; %bb.188:
	v_dual_mov_b32 v1, 0 :: v_dual_add_nc_u32 v8, 0x3c0, v13
	v_dual_mov_b32 v2, 0 :: v_dual_add_nc_u32 v7, -1, v166
	v_or_b32_e32 v9, 8, v14
	s_mov_b32 s3, 0
	s_delay_alu instid0(VALU_DEP_2)
	v_dual_mov_b32 v4, v2 :: v_dual_mov_b32 v3, v1
	.p2align	6
.LBB59_189:                             ; =>This Inner Loop Header: Depth=1
	scratch_load_b128 v[15:18], v9, off offset:-8
	ds_load_b128 v[19:22], v8
	v_add_nc_u32_e32 v7, 1, v7
	v_add_nc_u32_e32 v8, 16, v8
	;; [unrolled: 1-line block ×3, first 2 shown]
	s_delay_alu instid0(VALU_DEP_3) | instskip(SKIP_4) | instid1(VALU_DEP_2)
	v_cmp_lt_u32_e32 vcc_lo, 42, v7
	s_or_b32 s3, vcc_lo, s3
	s_waitcnt vmcnt(0) lgkmcnt(0)
	v_mul_f64 v[10:11], v[21:22], v[17:18]
	v_mul_f64 v[17:18], v[19:20], v[17:18]
	v_fma_f64 v[10:11], v[19:20], v[15:16], -v[10:11]
	s_delay_alu instid0(VALU_DEP_2) | instskip(NEXT) | instid1(VALU_DEP_2)
	v_fma_f64 v[15:16], v[21:22], v[15:16], v[17:18]
	v_add_f64 v[3:4], v[3:4], v[10:11]
	s_delay_alu instid0(VALU_DEP_2)
	v_add_f64 v[1:2], v[1:2], v[15:16]
	s_and_not1_b32 exec_lo, exec_lo, s3
	s_cbranch_execnz .LBB59_189
; %bb.190:
	s_or_b32 exec_lo, exec_lo, s3
	v_mov_b32_e32 v7, 0
	ds_load_b128 v[7:10], v7 offset:704
	s_waitcnt lgkmcnt(0)
	v_mul_f64 v[11:12], v[1:2], v[9:10]
	v_mul_f64 v[15:16], v[3:4], v[9:10]
	s_delay_alu instid0(VALU_DEP_2) | instskip(NEXT) | instid1(VALU_DEP_2)
	v_fma_f64 v[9:10], v[3:4], v[7:8], -v[11:12]
	v_fma_f64 v[11:12], v[1:2], v[7:8], v[15:16]
	scratch_store_b128 off, v[9:12], off offset:704
.LBB59_191:
	s_or_b32 exec_lo, exec_lo, s2
	s_waitcnt_vscnt null, 0x0
	s_barrier
	buffer_gl0_inv
	scratch_load_b128 v[1:4], v176, off
	s_mov_b32 s2, exec_lo
	s_waitcnt vmcnt(0)
	ds_store_b128 v5, v[1:4]
	s_waitcnt lgkmcnt(0)
	s_barrier
	buffer_gl0_inv
	v_cmpx_gt_u32_e32 45, v166
	s_cbranch_execz .LBB59_195
; %bb.192:
	v_dual_mov_b32 v1, 0 :: v_dual_add_nc_u32 v8, 0x3c0, v13
	v_dual_mov_b32 v2, 0 :: v_dual_add_nc_u32 v7, -1, v166
	v_or_b32_e32 v9, 8, v14
	s_mov_b32 s3, 0
	s_delay_alu instid0(VALU_DEP_2)
	v_dual_mov_b32 v4, v2 :: v_dual_mov_b32 v3, v1
	.p2align	6
.LBB59_193:                             ; =>This Inner Loop Header: Depth=1
	scratch_load_b128 v[15:18], v9, off offset:-8
	ds_load_b128 v[19:22], v8
	v_add_nc_u32_e32 v7, 1, v7
	v_add_nc_u32_e32 v8, 16, v8
	;; [unrolled: 1-line block ×3, first 2 shown]
	s_delay_alu instid0(VALU_DEP_3) | instskip(SKIP_4) | instid1(VALU_DEP_2)
	v_cmp_lt_u32_e32 vcc_lo, 43, v7
	s_or_b32 s3, vcc_lo, s3
	s_waitcnt vmcnt(0) lgkmcnt(0)
	v_mul_f64 v[10:11], v[21:22], v[17:18]
	v_mul_f64 v[17:18], v[19:20], v[17:18]
	v_fma_f64 v[10:11], v[19:20], v[15:16], -v[10:11]
	s_delay_alu instid0(VALU_DEP_2) | instskip(NEXT) | instid1(VALU_DEP_2)
	v_fma_f64 v[15:16], v[21:22], v[15:16], v[17:18]
	v_add_f64 v[3:4], v[3:4], v[10:11]
	s_delay_alu instid0(VALU_DEP_2)
	v_add_f64 v[1:2], v[1:2], v[15:16]
	s_and_not1_b32 exec_lo, exec_lo, s3
	s_cbranch_execnz .LBB59_193
; %bb.194:
	s_or_b32 exec_lo, exec_lo, s3
	v_mov_b32_e32 v7, 0
	ds_load_b128 v[7:10], v7 offset:720
	s_waitcnt lgkmcnt(0)
	v_mul_f64 v[11:12], v[1:2], v[9:10]
	v_mul_f64 v[15:16], v[3:4], v[9:10]
	s_delay_alu instid0(VALU_DEP_2) | instskip(NEXT) | instid1(VALU_DEP_2)
	v_fma_f64 v[9:10], v[3:4], v[7:8], -v[11:12]
	v_fma_f64 v[11:12], v[1:2], v[7:8], v[15:16]
	scratch_store_b128 off, v[9:12], off offset:720
.LBB59_195:
	s_or_b32 exec_lo, exec_lo, s2
	s_waitcnt_vscnt null, 0x0
	s_barrier
	buffer_gl0_inv
	scratch_load_b128 v[1:4], v175, off
	s_mov_b32 s2, exec_lo
	s_waitcnt vmcnt(0)
	ds_store_b128 v5, v[1:4]
	s_waitcnt lgkmcnt(0)
	s_barrier
	buffer_gl0_inv
	v_cmpx_gt_u32_e32 46, v166
	s_cbranch_execz .LBB59_199
; %bb.196:
	v_dual_mov_b32 v1, 0 :: v_dual_add_nc_u32 v8, 0x3c0, v13
	v_dual_mov_b32 v2, 0 :: v_dual_add_nc_u32 v7, -1, v166
	v_or_b32_e32 v9, 8, v14
	s_mov_b32 s3, 0
	s_delay_alu instid0(VALU_DEP_2)
	v_dual_mov_b32 v4, v2 :: v_dual_mov_b32 v3, v1
	.p2align	6
.LBB59_197:                             ; =>This Inner Loop Header: Depth=1
	scratch_load_b128 v[15:18], v9, off offset:-8
	ds_load_b128 v[19:22], v8
	v_add_nc_u32_e32 v7, 1, v7
	v_add_nc_u32_e32 v8, 16, v8
	;; [unrolled: 1-line block ×3, first 2 shown]
	s_delay_alu instid0(VALU_DEP_3) | instskip(SKIP_4) | instid1(VALU_DEP_2)
	v_cmp_lt_u32_e32 vcc_lo, 44, v7
	s_or_b32 s3, vcc_lo, s3
	s_waitcnt vmcnt(0) lgkmcnt(0)
	v_mul_f64 v[10:11], v[21:22], v[17:18]
	v_mul_f64 v[17:18], v[19:20], v[17:18]
	v_fma_f64 v[10:11], v[19:20], v[15:16], -v[10:11]
	s_delay_alu instid0(VALU_DEP_2) | instskip(NEXT) | instid1(VALU_DEP_2)
	v_fma_f64 v[15:16], v[21:22], v[15:16], v[17:18]
	v_add_f64 v[3:4], v[3:4], v[10:11]
	s_delay_alu instid0(VALU_DEP_2)
	v_add_f64 v[1:2], v[1:2], v[15:16]
	s_and_not1_b32 exec_lo, exec_lo, s3
	s_cbranch_execnz .LBB59_197
; %bb.198:
	s_or_b32 exec_lo, exec_lo, s3
	v_mov_b32_e32 v7, 0
	ds_load_b128 v[7:10], v7 offset:736
	s_waitcnt lgkmcnt(0)
	v_mul_f64 v[11:12], v[1:2], v[9:10]
	v_mul_f64 v[15:16], v[3:4], v[9:10]
	s_delay_alu instid0(VALU_DEP_2) | instskip(NEXT) | instid1(VALU_DEP_2)
	v_fma_f64 v[9:10], v[3:4], v[7:8], -v[11:12]
	v_fma_f64 v[11:12], v[1:2], v[7:8], v[15:16]
	scratch_store_b128 off, v[9:12], off offset:736
.LBB59_199:
	s_or_b32 exec_lo, exec_lo, s2
	s_waitcnt_vscnt null, 0x0
	s_barrier
	buffer_gl0_inv
	scratch_load_b128 v[1:4], v198, off
	s_mov_b32 s2, exec_lo
	s_waitcnt vmcnt(0)
	ds_store_b128 v5, v[1:4]
	s_waitcnt lgkmcnt(0)
	s_barrier
	buffer_gl0_inv
	v_cmpx_gt_u32_e32 47, v166
	s_cbranch_execz .LBB59_203
; %bb.200:
	v_dual_mov_b32 v1, 0 :: v_dual_add_nc_u32 v8, 0x3c0, v13
	v_dual_mov_b32 v2, 0 :: v_dual_add_nc_u32 v7, -1, v166
	v_or_b32_e32 v9, 8, v14
	s_mov_b32 s3, 0
	s_delay_alu instid0(VALU_DEP_2)
	v_dual_mov_b32 v4, v2 :: v_dual_mov_b32 v3, v1
	.p2align	6
.LBB59_201:                             ; =>This Inner Loop Header: Depth=1
	scratch_load_b128 v[15:18], v9, off offset:-8
	ds_load_b128 v[19:22], v8
	v_add_nc_u32_e32 v7, 1, v7
	v_add_nc_u32_e32 v8, 16, v8
	;; [unrolled: 1-line block ×3, first 2 shown]
	s_delay_alu instid0(VALU_DEP_3) | instskip(SKIP_4) | instid1(VALU_DEP_2)
	v_cmp_lt_u32_e32 vcc_lo, 45, v7
	s_or_b32 s3, vcc_lo, s3
	s_waitcnt vmcnt(0) lgkmcnt(0)
	v_mul_f64 v[10:11], v[21:22], v[17:18]
	v_mul_f64 v[17:18], v[19:20], v[17:18]
	v_fma_f64 v[10:11], v[19:20], v[15:16], -v[10:11]
	s_delay_alu instid0(VALU_DEP_2) | instskip(NEXT) | instid1(VALU_DEP_2)
	v_fma_f64 v[15:16], v[21:22], v[15:16], v[17:18]
	v_add_f64 v[3:4], v[3:4], v[10:11]
	s_delay_alu instid0(VALU_DEP_2)
	v_add_f64 v[1:2], v[1:2], v[15:16]
	s_and_not1_b32 exec_lo, exec_lo, s3
	s_cbranch_execnz .LBB59_201
; %bb.202:
	s_or_b32 exec_lo, exec_lo, s3
	v_mov_b32_e32 v7, 0
	ds_load_b128 v[7:10], v7 offset:752
	s_waitcnt lgkmcnt(0)
	v_mul_f64 v[11:12], v[1:2], v[9:10]
	v_mul_f64 v[15:16], v[3:4], v[9:10]
	s_delay_alu instid0(VALU_DEP_2) | instskip(NEXT) | instid1(VALU_DEP_2)
	v_fma_f64 v[9:10], v[3:4], v[7:8], -v[11:12]
	v_fma_f64 v[11:12], v[1:2], v[7:8], v[15:16]
	scratch_store_b128 off, v[9:12], off offset:752
.LBB59_203:
	s_or_b32 exec_lo, exec_lo, s2
	s_waitcnt_vscnt null, 0x0
	s_barrier
	buffer_gl0_inv
	scratch_load_b128 v[1:4], v172, off
	s_mov_b32 s2, exec_lo
	s_waitcnt vmcnt(0)
	ds_store_b128 v5, v[1:4]
	s_waitcnt lgkmcnt(0)
	s_barrier
	buffer_gl0_inv
	v_cmpx_gt_u32_e32 48, v166
	s_cbranch_execz .LBB59_207
; %bb.204:
	v_dual_mov_b32 v1, 0 :: v_dual_add_nc_u32 v8, 0x3c0, v13
	v_dual_mov_b32 v2, 0 :: v_dual_add_nc_u32 v7, -1, v166
	v_or_b32_e32 v9, 8, v14
	s_mov_b32 s3, 0
	s_delay_alu instid0(VALU_DEP_2)
	v_dual_mov_b32 v4, v2 :: v_dual_mov_b32 v3, v1
	.p2align	6
.LBB59_205:                             ; =>This Inner Loop Header: Depth=1
	scratch_load_b128 v[15:18], v9, off offset:-8
	ds_load_b128 v[19:22], v8
	v_add_nc_u32_e32 v7, 1, v7
	v_add_nc_u32_e32 v8, 16, v8
	;; [unrolled: 1-line block ×3, first 2 shown]
	s_delay_alu instid0(VALU_DEP_3) | instskip(SKIP_4) | instid1(VALU_DEP_2)
	v_cmp_lt_u32_e32 vcc_lo, 46, v7
	s_or_b32 s3, vcc_lo, s3
	s_waitcnt vmcnt(0) lgkmcnt(0)
	v_mul_f64 v[10:11], v[21:22], v[17:18]
	v_mul_f64 v[17:18], v[19:20], v[17:18]
	v_fma_f64 v[10:11], v[19:20], v[15:16], -v[10:11]
	s_delay_alu instid0(VALU_DEP_2) | instskip(NEXT) | instid1(VALU_DEP_2)
	v_fma_f64 v[15:16], v[21:22], v[15:16], v[17:18]
	v_add_f64 v[3:4], v[3:4], v[10:11]
	s_delay_alu instid0(VALU_DEP_2)
	v_add_f64 v[1:2], v[1:2], v[15:16]
	s_and_not1_b32 exec_lo, exec_lo, s3
	s_cbranch_execnz .LBB59_205
; %bb.206:
	s_or_b32 exec_lo, exec_lo, s3
	v_mov_b32_e32 v7, 0
	ds_load_b128 v[7:10], v7 offset:768
	s_waitcnt lgkmcnt(0)
	v_mul_f64 v[11:12], v[1:2], v[9:10]
	v_mul_f64 v[15:16], v[3:4], v[9:10]
	s_delay_alu instid0(VALU_DEP_2) | instskip(NEXT) | instid1(VALU_DEP_2)
	v_fma_f64 v[9:10], v[3:4], v[7:8], -v[11:12]
	v_fma_f64 v[11:12], v[1:2], v[7:8], v[15:16]
	scratch_store_b128 off, v[9:12], off offset:768
.LBB59_207:
	s_or_b32 exec_lo, exec_lo, s2
	s_waitcnt_vscnt null, 0x0
	s_barrier
	buffer_gl0_inv
	scratch_load_b128 v[1:4], v82, off
	s_mov_b32 s2, exec_lo
	s_waitcnt vmcnt(0)
	ds_store_b128 v5, v[1:4]
	s_waitcnt lgkmcnt(0)
	s_barrier
	buffer_gl0_inv
	v_cmpx_gt_u32_e32 49, v166
	s_cbranch_execz .LBB59_211
; %bb.208:
	v_dual_mov_b32 v1, 0 :: v_dual_add_nc_u32 v8, 0x3c0, v13
	v_dual_mov_b32 v2, 0 :: v_dual_add_nc_u32 v7, -1, v166
	v_or_b32_e32 v9, 8, v14
	s_mov_b32 s3, 0
	s_delay_alu instid0(VALU_DEP_2)
	v_dual_mov_b32 v4, v2 :: v_dual_mov_b32 v3, v1
	.p2align	6
.LBB59_209:                             ; =>This Inner Loop Header: Depth=1
	scratch_load_b128 v[15:18], v9, off offset:-8
	ds_load_b128 v[19:22], v8
	v_add_nc_u32_e32 v7, 1, v7
	v_add_nc_u32_e32 v8, 16, v8
	;; [unrolled: 1-line block ×3, first 2 shown]
	s_delay_alu instid0(VALU_DEP_3) | instskip(SKIP_4) | instid1(VALU_DEP_2)
	v_cmp_lt_u32_e32 vcc_lo, 47, v7
	s_or_b32 s3, vcc_lo, s3
	s_waitcnt vmcnt(0) lgkmcnt(0)
	v_mul_f64 v[10:11], v[21:22], v[17:18]
	v_mul_f64 v[17:18], v[19:20], v[17:18]
	v_fma_f64 v[10:11], v[19:20], v[15:16], -v[10:11]
	s_delay_alu instid0(VALU_DEP_2) | instskip(NEXT) | instid1(VALU_DEP_2)
	v_fma_f64 v[15:16], v[21:22], v[15:16], v[17:18]
	v_add_f64 v[3:4], v[3:4], v[10:11]
	s_delay_alu instid0(VALU_DEP_2)
	v_add_f64 v[1:2], v[1:2], v[15:16]
	s_and_not1_b32 exec_lo, exec_lo, s3
	s_cbranch_execnz .LBB59_209
; %bb.210:
	s_or_b32 exec_lo, exec_lo, s3
	v_mov_b32_e32 v7, 0
	ds_load_b128 v[7:10], v7 offset:784
	s_waitcnt lgkmcnt(0)
	v_mul_f64 v[11:12], v[1:2], v[9:10]
	v_mul_f64 v[15:16], v[3:4], v[9:10]
	s_delay_alu instid0(VALU_DEP_2) | instskip(NEXT) | instid1(VALU_DEP_2)
	v_fma_f64 v[9:10], v[3:4], v[7:8], -v[11:12]
	v_fma_f64 v[11:12], v[1:2], v[7:8], v[15:16]
	scratch_store_b128 off, v[9:12], off offset:784
.LBB59_211:
	s_or_b32 exec_lo, exec_lo, s2
	s_waitcnt_vscnt null, 0x0
	s_barrier
	buffer_gl0_inv
	scratch_load_b128 v[1:4], v174, off
	s_mov_b32 s2, exec_lo
	s_waitcnt vmcnt(0)
	ds_store_b128 v5, v[1:4]
	s_waitcnt lgkmcnt(0)
	s_barrier
	buffer_gl0_inv
	v_cmpx_gt_u32_e32 50, v166
	s_cbranch_execz .LBB59_215
; %bb.212:
	v_dual_mov_b32 v1, 0 :: v_dual_add_nc_u32 v8, 0x3c0, v13
	v_dual_mov_b32 v2, 0 :: v_dual_add_nc_u32 v7, -1, v166
	v_or_b32_e32 v9, 8, v14
	s_mov_b32 s3, 0
	s_delay_alu instid0(VALU_DEP_2)
	v_dual_mov_b32 v4, v2 :: v_dual_mov_b32 v3, v1
	.p2align	6
.LBB59_213:                             ; =>This Inner Loop Header: Depth=1
	scratch_load_b128 v[15:18], v9, off offset:-8
	ds_load_b128 v[19:22], v8
	v_add_nc_u32_e32 v7, 1, v7
	v_add_nc_u32_e32 v8, 16, v8
	;; [unrolled: 1-line block ×3, first 2 shown]
	s_delay_alu instid0(VALU_DEP_3) | instskip(SKIP_4) | instid1(VALU_DEP_2)
	v_cmp_lt_u32_e32 vcc_lo, 48, v7
	s_or_b32 s3, vcc_lo, s3
	s_waitcnt vmcnt(0) lgkmcnt(0)
	v_mul_f64 v[10:11], v[21:22], v[17:18]
	v_mul_f64 v[17:18], v[19:20], v[17:18]
	v_fma_f64 v[10:11], v[19:20], v[15:16], -v[10:11]
	s_delay_alu instid0(VALU_DEP_2) | instskip(NEXT) | instid1(VALU_DEP_2)
	v_fma_f64 v[15:16], v[21:22], v[15:16], v[17:18]
	v_add_f64 v[3:4], v[3:4], v[10:11]
	s_delay_alu instid0(VALU_DEP_2)
	v_add_f64 v[1:2], v[1:2], v[15:16]
	s_and_not1_b32 exec_lo, exec_lo, s3
	s_cbranch_execnz .LBB59_213
; %bb.214:
	s_or_b32 exec_lo, exec_lo, s3
	v_mov_b32_e32 v7, 0
	ds_load_b128 v[7:10], v7 offset:800
	s_waitcnt lgkmcnt(0)
	v_mul_f64 v[11:12], v[1:2], v[9:10]
	v_mul_f64 v[15:16], v[3:4], v[9:10]
	s_delay_alu instid0(VALU_DEP_2) | instskip(NEXT) | instid1(VALU_DEP_2)
	v_fma_f64 v[9:10], v[3:4], v[7:8], -v[11:12]
	v_fma_f64 v[11:12], v[1:2], v[7:8], v[15:16]
	scratch_store_b128 off, v[9:12], off offset:800
.LBB59_215:
	s_or_b32 exec_lo, exec_lo, s2
	s_waitcnt_vscnt null, 0x0
	s_barrier
	buffer_gl0_inv
	scratch_load_b128 v[1:4], v189, off
	s_mov_b32 s2, exec_lo
	s_waitcnt vmcnt(0)
	ds_store_b128 v5, v[1:4]
	s_waitcnt lgkmcnt(0)
	s_barrier
	buffer_gl0_inv
	v_cmpx_gt_u32_e32 51, v166
	s_cbranch_execz .LBB59_219
; %bb.216:
	v_dual_mov_b32 v1, 0 :: v_dual_add_nc_u32 v8, 0x3c0, v13
	v_dual_mov_b32 v2, 0 :: v_dual_add_nc_u32 v7, -1, v166
	v_or_b32_e32 v9, 8, v14
	s_mov_b32 s3, 0
	s_delay_alu instid0(VALU_DEP_2)
	v_dual_mov_b32 v4, v2 :: v_dual_mov_b32 v3, v1
	.p2align	6
.LBB59_217:                             ; =>This Inner Loop Header: Depth=1
	scratch_load_b128 v[15:18], v9, off offset:-8
	ds_load_b128 v[19:22], v8
	v_add_nc_u32_e32 v7, 1, v7
	v_add_nc_u32_e32 v8, 16, v8
	;; [unrolled: 1-line block ×3, first 2 shown]
	s_delay_alu instid0(VALU_DEP_3) | instskip(SKIP_4) | instid1(VALU_DEP_2)
	v_cmp_lt_u32_e32 vcc_lo, 49, v7
	s_or_b32 s3, vcc_lo, s3
	s_waitcnt vmcnt(0) lgkmcnt(0)
	v_mul_f64 v[10:11], v[21:22], v[17:18]
	v_mul_f64 v[17:18], v[19:20], v[17:18]
	v_fma_f64 v[10:11], v[19:20], v[15:16], -v[10:11]
	s_delay_alu instid0(VALU_DEP_2) | instskip(NEXT) | instid1(VALU_DEP_2)
	v_fma_f64 v[15:16], v[21:22], v[15:16], v[17:18]
	v_add_f64 v[3:4], v[3:4], v[10:11]
	s_delay_alu instid0(VALU_DEP_2)
	v_add_f64 v[1:2], v[1:2], v[15:16]
	s_and_not1_b32 exec_lo, exec_lo, s3
	s_cbranch_execnz .LBB59_217
; %bb.218:
	s_or_b32 exec_lo, exec_lo, s3
	v_mov_b32_e32 v7, 0
	ds_load_b128 v[7:10], v7 offset:816
	s_waitcnt lgkmcnt(0)
	v_mul_f64 v[11:12], v[1:2], v[9:10]
	v_mul_f64 v[15:16], v[3:4], v[9:10]
	s_delay_alu instid0(VALU_DEP_2) | instskip(NEXT) | instid1(VALU_DEP_2)
	v_fma_f64 v[9:10], v[3:4], v[7:8], -v[11:12]
	v_fma_f64 v[11:12], v[1:2], v[7:8], v[15:16]
	scratch_store_b128 off, v[9:12], off offset:816
.LBB59_219:
	s_or_b32 exec_lo, exec_lo, s2
	s_waitcnt_vscnt null, 0x0
	s_barrier
	buffer_gl0_inv
	scratch_load_b128 v[1:4], v79, off
	s_mov_b32 s2, exec_lo
	s_waitcnt vmcnt(0)
	ds_store_b128 v5, v[1:4]
	s_waitcnt lgkmcnt(0)
	s_barrier
	buffer_gl0_inv
	v_cmpx_gt_u32_e32 52, v166
	s_cbranch_execz .LBB59_223
; %bb.220:
	v_dual_mov_b32 v1, 0 :: v_dual_add_nc_u32 v8, 0x3c0, v13
	v_dual_mov_b32 v2, 0 :: v_dual_add_nc_u32 v7, -1, v166
	v_or_b32_e32 v9, 8, v14
	s_mov_b32 s3, 0
	s_delay_alu instid0(VALU_DEP_2)
	v_dual_mov_b32 v4, v2 :: v_dual_mov_b32 v3, v1
	.p2align	6
.LBB59_221:                             ; =>This Inner Loop Header: Depth=1
	scratch_load_b128 v[15:18], v9, off offset:-8
	ds_load_b128 v[19:22], v8
	v_add_nc_u32_e32 v7, 1, v7
	v_add_nc_u32_e32 v8, 16, v8
	;; [unrolled: 1-line block ×3, first 2 shown]
	s_delay_alu instid0(VALU_DEP_3) | instskip(SKIP_4) | instid1(VALU_DEP_2)
	v_cmp_lt_u32_e32 vcc_lo, 50, v7
	s_or_b32 s3, vcc_lo, s3
	s_waitcnt vmcnt(0) lgkmcnt(0)
	v_mul_f64 v[10:11], v[21:22], v[17:18]
	v_mul_f64 v[17:18], v[19:20], v[17:18]
	v_fma_f64 v[10:11], v[19:20], v[15:16], -v[10:11]
	s_delay_alu instid0(VALU_DEP_2) | instskip(NEXT) | instid1(VALU_DEP_2)
	v_fma_f64 v[15:16], v[21:22], v[15:16], v[17:18]
	v_add_f64 v[3:4], v[3:4], v[10:11]
	s_delay_alu instid0(VALU_DEP_2)
	v_add_f64 v[1:2], v[1:2], v[15:16]
	s_and_not1_b32 exec_lo, exec_lo, s3
	s_cbranch_execnz .LBB59_221
; %bb.222:
	s_or_b32 exec_lo, exec_lo, s3
	v_mov_b32_e32 v7, 0
	ds_load_b128 v[7:10], v7 offset:832
	s_waitcnt lgkmcnt(0)
	v_mul_f64 v[11:12], v[1:2], v[9:10]
	v_mul_f64 v[15:16], v[3:4], v[9:10]
	s_delay_alu instid0(VALU_DEP_2) | instskip(NEXT) | instid1(VALU_DEP_2)
	v_fma_f64 v[9:10], v[3:4], v[7:8], -v[11:12]
	v_fma_f64 v[11:12], v[1:2], v[7:8], v[15:16]
	scratch_store_b128 off, v[9:12], off offset:832
.LBB59_223:
	s_or_b32 exec_lo, exec_lo, s2
	s_waitcnt_vscnt null, 0x0
	s_barrier
	buffer_gl0_inv
	scratch_load_b128 v[1:4], v167, off
	s_mov_b32 s2, exec_lo
	s_waitcnt vmcnt(0)
	ds_store_b128 v5, v[1:4]
	s_waitcnt lgkmcnt(0)
	s_barrier
	buffer_gl0_inv
	v_cmpx_gt_u32_e32 53, v166
	s_cbranch_execz .LBB59_227
; %bb.224:
	v_dual_mov_b32 v1, 0 :: v_dual_add_nc_u32 v8, 0x3c0, v13
	v_dual_mov_b32 v2, 0 :: v_dual_add_nc_u32 v7, -1, v166
	v_or_b32_e32 v9, 8, v14
	s_mov_b32 s3, 0
	s_delay_alu instid0(VALU_DEP_2)
	v_dual_mov_b32 v4, v2 :: v_dual_mov_b32 v3, v1
	.p2align	6
.LBB59_225:                             ; =>This Inner Loop Header: Depth=1
	scratch_load_b128 v[15:18], v9, off offset:-8
	ds_load_b128 v[19:22], v8
	v_add_nc_u32_e32 v7, 1, v7
	v_add_nc_u32_e32 v8, 16, v8
	;; [unrolled: 1-line block ×3, first 2 shown]
	s_delay_alu instid0(VALU_DEP_3) | instskip(SKIP_4) | instid1(VALU_DEP_2)
	v_cmp_lt_u32_e32 vcc_lo, 51, v7
	s_or_b32 s3, vcc_lo, s3
	s_waitcnt vmcnt(0) lgkmcnt(0)
	v_mul_f64 v[10:11], v[21:22], v[17:18]
	v_mul_f64 v[17:18], v[19:20], v[17:18]
	v_fma_f64 v[10:11], v[19:20], v[15:16], -v[10:11]
	s_delay_alu instid0(VALU_DEP_2) | instskip(NEXT) | instid1(VALU_DEP_2)
	v_fma_f64 v[15:16], v[21:22], v[15:16], v[17:18]
	v_add_f64 v[3:4], v[3:4], v[10:11]
	s_delay_alu instid0(VALU_DEP_2)
	v_add_f64 v[1:2], v[1:2], v[15:16]
	s_and_not1_b32 exec_lo, exec_lo, s3
	s_cbranch_execnz .LBB59_225
; %bb.226:
	s_or_b32 exec_lo, exec_lo, s3
	v_mov_b32_e32 v7, 0
	ds_load_b128 v[7:10], v7 offset:848
	s_waitcnt lgkmcnt(0)
	v_mul_f64 v[11:12], v[1:2], v[9:10]
	v_mul_f64 v[15:16], v[3:4], v[9:10]
	s_delay_alu instid0(VALU_DEP_2) | instskip(NEXT) | instid1(VALU_DEP_2)
	v_fma_f64 v[9:10], v[3:4], v[7:8], -v[11:12]
	v_fma_f64 v[11:12], v[1:2], v[7:8], v[15:16]
	scratch_store_b128 off, v[9:12], off offset:848
.LBB59_227:
	s_or_b32 exec_lo, exec_lo, s2
	s_waitcnt_vscnt null, 0x0
	s_barrier
	buffer_gl0_inv
	scratch_load_b128 v[1:4], v170, off
	s_mov_b32 s2, exec_lo
	s_waitcnt vmcnt(0)
	ds_store_b128 v5, v[1:4]
	s_waitcnt lgkmcnt(0)
	s_barrier
	buffer_gl0_inv
	v_cmpx_gt_u32_e32 54, v166
	s_cbranch_execz .LBB59_231
; %bb.228:
	v_dual_mov_b32 v1, 0 :: v_dual_add_nc_u32 v8, 0x3c0, v13
	v_dual_mov_b32 v2, 0 :: v_dual_add_nc_u32 v7, -1, v166
	v_or_b32_e32 v9, 8, v14
	s_mov_b32 s3, 0
	s_delay_alu instid0(VALU_DEP_2)
	v_dual_mov_b32 v4, v2 :: v_dual_mov_b32 v3, v1
	.p2align	6
.LBB59_229:                             ; =>This Inner Loop Header: Depth=1
	scratch_load_b128 v[15:18], v9, off offset:-8
	ds_load_b128 v[19:22], v8
	v_add_nc_u32_e32 v7, 1, v7
	v_add_nc_u32_e32 v8, 16, v8
	;; [unrolled: 1-line block ×3, first 2 shown]
	s_delay_alu instid0(VALU_DEP_3) | instskip(SKIP_4) | instid1(VALU_DEP_2)
	v_cmp_lt_u32_e32 vcc_lo, 52, v7
	s_or_b32 s3, vcc_lo, s3
	s_waitcnt vmcnt(0) lgkmcnt(0)
	v_mul_f64 v[10:11], v[21:22], v[17:18]
	v_mul_f64 v[17:18], v[19:20], v[17:18]
	v_fma_f64 v[10:11], v[19:20], v[15:16], -v[10:11]
	s_delay_alu instid0(VALU_DEP_2) | instskip(NEXT) | instid1(VALU_DEP_2)
	v_fma_f64 v[15:16], v[21:22], v[15:16], v[17:18]
	v_add_f64 v[3:4], v[3:4], v[10:11]
	s_delay_alu instid0(VALU_DEP_2)
	v_add_f64 v[1:2], v[1:2], v[15:16]
	s_and_not1_b32 exec_lo, exec_lo, s3
	s_cbranch_execnz .LBB59_229
; %bb.230:
	s_or_b32 exec_lo, exec_lo, s3
	v_mov_b32_e32 v7, 0
	ds_load_b128 v[7:10], v7 offset:864
	s_waitcnt lgkmcnt(0)
	v_mul_f64 v[11:12], v[1:2], v[9:10]
	v_mul_f64 v[15:16], v[3:4], v[9:10]
	s_delay_alu instid0(VALU_DEP_2) | instskip(NEXT) | instid1(VALU_DEP_2)
	v_fma_f64 v[9:10], v[3:4], v[7:8], -v[11:12]
	v_fma_f64 v[11:12], v[1:2], v[7:8], v[15:16]
	scratch_store_b128 off, v[9:12], off offset:864
.LBB59_231:
	s_or_b32 exec_lo, exec_lo, s2
	s_waitcnt_vscnt null, 0x0
	s_barrier
	buffer_gl0_inv
	scratch_load_b128 v[1:4], v83, off
	s_mov_b32 s2, exec_lo
	s_waitcnt vmcnt(0)
	ds_store_b128 v5, v[1:4]
	s_waitcnt lgkmcnt(0)
	s_barrier
	buffer_gl0_inv
	v_cmpx_gt_u32_e32 55, v166
	s_cbranch_execz .LBB59_235
; %bb.232:
	v_dual_mov_b32 v1, 0 :: v_dual_add_nc_u32 v8, 0x3c0, v13
	v_dual_mov_b32 v2, 0 :: v_dual_add_nc_u32 v7, -1, v166
	v_or_b32_e32 v9, 8, v14
	s_mov_b32 s3, 0
	s_delay_alu instid0(VALU_DEP_2)
	v_dual_mov_b32 v4, v2 :: v_dual_mov_b32 v3, v1
	.p2align	6
.LBB59_233:                             ; =>This Inner Loop Header: Depth=1
	scratch_load_b128 v[15:18], v9, off offset:-8
	ds_load_b128 v[19:22], v8
	v_add_nc_u32_e32 v7, 1, v7
	v_add_nc_u32_e32 v8, 16, v8
	;; [unrolled: 1-line block ×3, first 2 shown]
	s_delay_alu instid0(VALU_DEP_3) | instskip(SKIP_4) | instid1(VALU_DEP_2)
	v_cmp_lt_u32_e32 vcc_lo, 53, v7
	s_or_b32 s3, vcc_lo, s3
	s_waitcnt vmcnt(0) lgkmcnt(0)
	v_mul_f64 v[10:11], v[21:22], v[17:18]
	v_mul_f64 v[17:18], v[19:20], v[17:18]
	v_fma_f64 v[10:11], v[19:20], v[15:16], -v[10:11]
	s_delay_alu instid0(VALU_DEP_2) | instskip(NEXT) | instid1(VALU_DEP_2)
	v_fma_f64 v[15:16], v[21:22], v[15:16], v[17:18]
	v_add_f64 v[3:4], v[3:4], v[10:11]
	s_delay_alu instid0(VALU_DEP_2)
	v_add_f64 v[1:2], v[1:2], v[15:16]
	s_and_not1_b32 exec_lo, exec_lo, s3
	s_cbranch_execnz .LBB59_233
; %bb.234:
	s_or_b32 exec_lo, exec_lo, s3
	v_mov_b32_e32 v7, 0
	ds_load_b128 v[7:10], v7 offset:880
	s_waitcnt lgkmcnt(0)
	v_mul_f64 v[11:12], v[1:2], v[9:10]
	v_mul_f64 v[15:16], v[3:4], v[9:10]
	s_delay_alu instid0(VALU_DEP_2) | instskip(NEXT) | instid1(VALU_DEP_2)
	v_fma_f64 v[9:10], v[3:4], v[7:8], -v[11:12]
	v_fma_f64 v[11:12], v[1:2], v[7:8], v[15:16]
	scratch_store_b128 off, v[9:12], off offset:880
.LBB59_235:
	s_or_b32 exec_lo, exec_lo, s2
	s_waitcnt_vscnt null, 0x0
	s_barrier
	buffer_gl0_inv
	scratch_load_b128 v[1:4], v87, off
	s_mov_b32 s2, exec_lo
	s_waitcnt vmcnt(0)
	ds_store_b128 v5, v[1:4]
	s_waitcnt lgkmcnt(0)
	s_barrier
	buffer_gl0_inv
	v_cmpx_gt_u32_e32 56, v166
	s_cbranch_execz .LBB59_239
; %bb.236:
	v_dual_mov_b32 v1, 0 :: v_dual_add_nc_u32 v8, 0x3c0, v13
	v_dual_mov_b32 v2, 0 :: v_dual_add_nc_u32 v7, -1, v166
	v_or_b32_e32 v9, 8, v14
	s_mov_b32 s3, 0
	s_delay_alu instid0(VALU_DEP_2)
	v_dual_mov_b32 v4, v2 :: v_dual_mov_b32 v3, v1
	.p2align	6
.LBB59_237:                             ; =>This Inner Loop Header: Depth=1
	scratch_load_b128 v[15:18], v9, off offset:-8
	ds_load_b128 v[19:22], v8
	v_add_nc_u32_e32 v7, 1, v7
	v_add_nc_u32_e32 v8, 16, v8
	;; [unrolled: 1-line block ×3, first 2 shown]
	s_delay_alu instid0(VALU_DEP_3) | instskip(SKIP_4) | instid1(VALU_DEP_2)
	v_cmp_lt_u32_e32 vcc_lo, 54, v7
	s_or_b32 s3, vcc_lo, s3
	s_waitcnt vmcnt(0) lgkmcnt(0)
	v_mul_f64 v[10:11], v[21:22], v[17:18]
	v_mul_f64 v[17:18], v[19:20], v[17:18]
	v_fma_f64 v[10:11], v[19:20], v[15:16], -v[10:11]
	s_delay_alu instid0(VALU_DEP_2) | instskip(NEXT) | instid1(VALU_DEP_2)
	v_fma_f64 v[15:16], v[21:22], v[15:16], v[17:18]
	v_add_f64 v[3:4], v[3:4], v[10:11]
	s_delay_alu instid0(VALU_DEP_2)
	v_add_f64 v[1:2], v[1:2], v[15:16]
	s_and_not1_b32 exec_lo, exec_lo, s3
	s_cbranch_execnz .LBB59_237
; %bb.238:
	s_or_b32 exec_lo, exec_lo, s3
	v_mov_b32_e32 v7, 0
	ds_load_b128 v[7:10], v7 offset:896
	s_waitcnt lgkmcnt(0)
	v_mul_f64 v[11:12], v[1:2], v[9:10]
	v_mul_f64 v[15:16], v[3:4], v[9:10]
	s_delay_alu instid0(VALU_DEP_2) | instskip(NEXT) | instid1(VALU_DEP_2)
	v_fma_f64 v[9:10], v[3:4], v[7:8], -v[11:12]
	v_fma_f64 v[11:12], v[1:2], v[7:8], v[15:16]
	scratch_store_b128 off, v[9:12], off offset:896
.LBB59_239:
	s_or_b32 exec_lo, exec_lo, s2
	s_waitcnt_vscnt null, 0x0
	s_barrier
	buffer_gl0_inv
	scratch_load_b128 v[1:4], v188, off
	s_mov_b32 s2, exec_lo
	s_waitcnt vmcnt(0)
	ds_store_b128 v5, v[1:4]
	s_waitcnt lgkmcnt(0)
	s_barrier
	buffer_gl0_inv
	v_cmpx_gt_u32_e32 57, v166
	s_cbranch_execz .LBB59_243
; %bb.240:
	v_dual_mov_b32 v1, 0 :: v_dual_add_nc_u32 v8, 0x3c0, v13
	v_dual_mov_b32 v2, 0 :: v_dual_add_nc_u32 v7, -1, v166
	v_or_b32_e32 v9, 8, v14
	s_mov_b32 s3, 0
	s_delay_alu instid0(VALU_DEP_2)
	v_dual_mov_b32 v4, v2 :: v_dual_mov_b32 v3, v1
	.p2align	6
.LBB59_241:                             ; =>This Inner Loop Header: Depth=1
	scratch_load_b128 v[15:18], v9, off offset:-8
	ds_load_b128 v[19:22], v8
	v_add_nc_u32_e32 v7, 1, v7
	v_add_nc_u32_e32 v8, 16, v8
	;; [unrolled: 1-line block ×3, first 2 shown]
	s_delay_alu instid0(VALU_DEP_3) | instskip(SKIP_4) | instid1(VALU_DEP_2)
	v_cmp_lt_u32_e32 vcc_lo, 55, v7
	s_or_b32 s3, vcc_lo, s3
	s_waitcnt vmcnt(0) lgkmcnt(0)
	v_mul_f64 v[10:11], v[21:22], v[17:18]
	v_mul_f64 v[17:18], v[19:20], v[17:18]
	v_fma_f64 v[10:11], v[19:20], v[15:16], -v[10:11]
	s_delay_alu instid0(VALU_DEP_2) | instskip(NEXT) | instid1(VALU_DEP_2)
	v_fma_f64 v[15:16], v[21:22], v[15:16], v[17:18]
	v_add_f64 v[3:4], v[3:4], v[10:11]
	s_delay_alu instid0(VALU_DEP_2)
	v_add_f64 v[1:2], v[1:2], v[15:16]
	s_and_not1_b32 exec_lo, exec_lo, s3
	s_cbranch_execnz .LBB59_241
; %bb.242:
	s_or_b32 exec_lo, exec_lo, s3
	v_mov_b32_e32 v7, 0
	ds_load_b128 v[7:10], v7 offset:912
	s_waitcnt lgkmcnt(0)
	v_mul_f64 v[11:12], v[1:2], v[9:10]
	v_mul_f64 v[15:16], v[3:4], v[9:10]
	s_delay_alu instid0(VALU_DEP_2) | instskip(NEXT) | instid1(VALU_DEP_2)
	v_fma_f64 v[9:10], v[3:4], v[7:8], -v[11:12]
	v_fma_f64 v[11:12], v[1:2], v[7:8], v[15:16]
	scratch_store_b128 off, v[9:12], off offset:912
.LBB59_243:
	s_or_b32 exec_lo, exec_lo, s2
	s_waitcnt_vscnt null, 0x0
	s_barrier
	buffer_gl0_inv
	scratch_load_b128 v[1:4], v169, off
	s_mov_b32 s2, exec_lo
	s_waitcnt vmcnt(0)
	ds_store_b128 v5, v[1:4]
	s_waitcnt lgkmcnt(0)
	s_barrier
	buffer_gl0_inv
	v_cmpx_gt_u32_e32 58, v166
	s_cbranch_execz .LBB59_247
; %bb.244:
	v_dual_mov_b32 v1, 0 :: v_dual_add_nc_u32 v8, 0x3c0, v13
	v_dual_mov_b32 v2, 0 :: v_dual_add_nc_u32 v7, -1, v166
	v_or_b32_e32 v9, 8, v14
	s_mov_b32 s3, 0
	s_delay_alu instid0(VALU_DEP_2)
	v_dual_mov_b32 v4, v2 :: v_dual_mov_b32 v3, v1
	.p2align	6
.LBB59_245:                             ; =>This Inner Loop Header: Depth=1
	scratch_load_b128 v[10:13], v9, off offset:-8
	ds_load_b128 v[15:18], v8
	v_add_nc_u32_e32 v7, 1, v7
	v_add_nc_u32_e32 v8, 16, v8
	;; [unrolled: 1-line block ×3, first 2 shown]
	s_delay_alu instid0(VALU_DEP_3) | instskip(SKIP_4) | instid1(VALU_DEP_2)
	v_cmp_lt_u32_e32 vcc_lo, 56, v7
	s_or_b32 s3, vcc_lo, s3
	s_waitcnt vmcnt(0) lgkmcnt(0)
	v_mul_f64 v[19:20], v[17:18], v[12:13]
	v_mul_f64 v[12:13], v[15:16], v[12:13]
	v_fma_f64 v[15:16], v[15:16], v[10:11], -v[19:20]
	s_delay_alu instid0(VALU_DEP_2) | instskip(NEXT) | instid1(VALU_DEP_2)
	v_fma_f64 v[10:11], v[17:18], v[10:11], v[12:13]
	v_add_f64 v[3:4], v[3:4], v[15:16]
	s_delay_alu instid0(VALU_DEP_2)
	v_add_f64 v[1:2], v[1:2], v[10:11]
	s_and_not1_b32 exec_lo, exec_lo, s3
	s_cbranch_execnz .LBB59_245
; %bb.246:
	s_or_b32 exec_lo, exec_lo, s3
	v_mov_b32_e32 v7, 0
	ds_load_b128 v[7:10], v7 offset:928
	s_waitcnt lgkmcnt(0)
	v_mul_f64 v[11:12], v[1:2], v[9:10]
	v_mul_f64 v[15:16], v[3:4], v[9:10]
	s_delay_alu instid0(VALU_DEP_2) | instskip(NEXT) | instid1(VALU_DEP_2)
	v_fma_f64 v[9:10], v[3:4], v[7:8], -v[11:12]
	v_fma_f64 v[11:12], v[1:2], v[7:8], v[15:16]
	scratch_store_b128 off, v[9:12], off offset:928
.LBB59_247:
	s_or_b32 exec_lo, exec_lo, s2
	s_waitcnt_vscnt null, 0x0
	s_barrier
	buffer_gl0_inv
	scratch_load_b128 v[1:4], v215, off
	s_mov_b32 s2, exec_lo
	s_waitcnt vmcnt(0)
	ds_store_b128 v5, v[1:4]
	s_waitcnt lgkmcnt(0)
	s_barrier
	buffer_gl0_inv
	v_cmpx_ne_u32_e32 59, v166
	s_cbranch_execz .LBB59_251
; %bb.248:
	v_mov_b32_e32 v1, 0
	v_mov_b32_e32 v2, 0
	v_or_b32_e32 v7, 8, v14
	s_mov_b32 s3, 0
	s_delay_alu instid0(VALU_DEP_2)
	v_dual_mov_b32 v4, v2 :: v_dual_mov_b32 v3, v1
	.p2align	6
.LBB59_249:                             ; =>This Inner Loop Header: Depth=1
	scratch_load_b128 v[8:11], v7, off offset:-8
	ds_load_b128 v[12:15], v5
	v_add_nc_u32_e32 v6, 1, v6
	v_add_nc_u32_e32 v5, 16, v5
	;; [unrolled: 1-line block ×3, first 2 shown]
	s_delay_alu instid0(VALU_DEP_3) | instskip(SKIP_4) | instid1(VALU_DEP_2)
	v_cmp_lt_u32_e32 vcc_lo, 57, v6
	s_or_b32 s3, vcc_lo, s3
	s_waitcnt vmcnt(0) lgkmcnt(0)
	v_mul_f64 v[16:17], v[14:15], v[10:11]
	v_mul_f64 v[10:11], v[12:13], v[10:11]
	v_fma_f64 v[12:13], v[12:13], v[8:9], -v[16:17]
	s_delay_alu instid0(VALU_DEP_2) | instskip(NEXT) | instid1(VALU_DEP_2)
	v_fma_f64 v[8:9], v[14:15], v[8:9], v[10:11]
	v_add_f64 v[3:4], v[3:4], v[12:13]
	s_delay_alu instid0(VALU_DEP_2)
	v_add_f64 v[1:2], v[1:2], v[8:9]
	s_and_not1_b32 exec_lo, exec_lo, s3
	s_cbranch_execnz .LBB59_249
; %bb.250:
	s_or_b32 exec_lo, exec_lo, s3
	v_mov_b32_e32 v5, 0
	ds_load_b128 v[5:8], v5 offset:944
	s_waitcnt lgkmcnt(0)
	v_mul_f64 v[9:10], v[1:2], v[7:8]
	v_mul_f64 v[7:8], v[3:4], v[7:8]
	s_delay_alu instid0(VALU_DEP_2) | instskip(NEXT) | instid1(VALU_DEP_2)
	v_fma_f64 v[3:4], v[3:4], v[5:6], -v[9:10]
	v_fma_f64 v[5:6], v[1:2], v[5:6], v[7:8]
	scratch_store_b128 off, v[3:6], off offset:944
.LBB59_251:
	s_or_b32 exec_lo, exec_lo, s2
	s_mov_b32 s3, -1
	s_waitcnt_vscnt null, 0x0
	s_barrier
	buffer_gl0_inv
.LBB59_252:
	s_and_b32 vcc_lo, exec_lo, s3
	s_cbranch_vccz .LBB59_254
; %bb.253:
	s_lshl_b64 s[2:3], s[18:19], 2
	v_mov_b32_e32 v1, 0
	s_add_u32 s2, s6, s2
	s_addc_u32 s3, s7, s3
	global_load_b32 v1, v1, s[2:3]
	s_waitcnt vmcnt(0)
	v_cmp_ne_u32_e32 vcc_lo, 0, v1
	s_cbranch_vccz .LBB59_255
.LBB59_254:
	s_endpgm
.LBB59_255:
	v_dual_mov_b32 v240, v64 :: v_dual_mov_b32 v239, v63
	v_dual_mov_b32 v238, v62 :: v_dual_mov_b32 v219, v60
	;; [unrolled: 1-line block ×6, first 2 shown]
	v_lshl_add_u32 v226, v166, 4, 0x3c0
	s_mov_b32 s2, exec_lo
	scratch_store_b32 off, v52, off offset:1060 ; 4-byte Folded Spill
	v_cmpx_eq_u32_e32 59, v166
	s_cbranch_execz .LBB59_257
; %bb.256:
	scratch_load_b128 v[1:4], v169, off
	v_mov_b32_e32 v5, 0
	s_delay_alu instid0(VALU_DEP_1)
	v_mov_b32_e32 v6, v5
	v_mov_b32_e32 v7, v5
	;; [unrolled: 1-line block ×3, first 2 shown]
	scratch_store_b128 off, v[5:8], off offset:928
	s_waitcnt vmcnt(0)
	ds_store_b128 v226, v[1:4]
.LBB59_257:
	s_or_b32 exec_lo, exec_lo, s2
	s_waitcnt lgkmcnt(0)
	s_waitcnt_vscnt null, 0x0
	s_barrier
	buffer_gl0_inv
	s_clause 0x1
	scratch_load_b128 v[2:5], off, off offset:944
	scratch_load_b128 v[6:9], off, off offset:928
	v_mov_b32_e32 v1, 0
	s_mov_b32 s2, exec_lo
	ds_load_b128 v[10:13], v1 offset:1904
	s_waitcnt vmcnt(1) lgkmcnt(0)
	v_mul_f64 v[14:15], v[12:13], v[4:5]
	v_mul_f64 v[4:5], v[10:11], v[4:5]
	s_delay_alu instid0(VALU_DEP_2) | instskip(NEXT) | instid1(VALU_DEP_2)
	v_fma_f64 v[10:11], v[10:11], v[2:3], -v[14:15]
	v_fma_f64 v[2:3], v[12:13], v[2:3], v[4:5]
	s_delay_alu instid0(VALU_DEP_2) | instskip(NEXT) | instid1(VALU_DEP_2)
	v_add_f64 v[4:5], v[10:11], 0
	v_add_f64 v[10:11], v[2:3], 0
	s_waitcnt vmcnt(0)
	s_delay_alu instid0(VALU_DEP_2) | instskip(NEXT) | instid1(VALU_DEP_2)
	v_add_f64 v[2:3], v[6:7], -v[4:5]
	v_add_f64 v[4:5], v[8:9], -v[10:11]
	scratch_store_b128 off, v[2:5], off offset:928
	v_cmpx_lt_u32_e32 57, v166
	s_cbranch_execz .LBB59_259
; %bb.258:
	scratch_load_b128 v[5:8], v188, off
	v_mov_b32_e32 v2, v1
	v_mov_b32_e32 v3, v1
	;; [unrolled: 1-line block ×3, first 2 shown]
	scratch_store_b128 off, v[1:4], off offset:912
	s_waitcnt vmcnt(0)
	ds_store_b128 v226, v[5:8]
.LBB59_259:
	s_or_b32 exec_lo, exec_lo, s2
	s_waitcnt lgkmcnt(0)
	s_waitcnt_vscnt null, 0x0
	s_barrier
	buffer_gl0_inv
	s_clause 0x2
	scratch_load_b128 v[2:5], off, off offset:928
	scratch_load_b128 v[6:9], off, off offset:944
	;; [unrolled: 1-line block ×3, first 2 shown]
	ds_load_b128 v[14:17], v1 offset:1888
	ds_load_b128 v[18:21], v1 offset:1904
	s_mov_b32 s2, exec_lo
	s_waitcnt vmcnt(2) lgkmcnt(1)
	v_mul_f64 v[22:23], v[16:17], v[4:5]
	v_mul_f64 v[4:5], v[14:15], v[4:5]
	s_waitcnt vmcnt(1) lgkmcnt(0)
	v_mul_f64 v[24:25], v[18:19], v[8:9]
	v_mul_f64 v[8:9], v[20:21], v[8:9]
	s_delay_alu instid0(VALU_DEP_4) | instskip(NEXT) | instid1(VALU_DEP_4)
	v_fma_f64 v[14:15], v[14:15], v[2:3], -v[22:23]
	v_fma_f64 v[1:2], v[16:17], v[2:3], v[4:5]
	s_delay_alu instid0(VALU_DEP_4) | instskip(NEXT) | instid1(VALU_DEP_4)
	v_fma_f64 v[3:4], v[20:21], v[6:7], v[24:25]
	v_fma_f64 v[5:6], v[18:19], v[6:7], -v[8:9]
	s_delay_alu instid0(VALU_DEP_4) | instskip(NEXT) | instid1(VALU_DEP_4)
	v_add_f64 v[7:8], v[14:15], 0
	v_add_f64 v[1:2], v[1:2], 0
	s_delay_alu instid0(VALU_DEP_2) | instskip(NEXT) | instid1(VALU_DEP_2)
	v_add_f64 v[5:6], v[7:8], v[5:6]
	v_add_f64 v[3:4], v[1:2], v[3:4]
	s_waitcnt vmcnt(0)
	s_delay_alu instid0(VALU_DEP_2) | instskip(NEXT) | instid1(VALU_DEP_2)
	v_add_f64 v[1:2], v[10:11], -v[5:6]
	v_add_f64 v[3:4], v[12:13], -v[3:4]
	scratch_store_b128 off, v[1:4], off offset:912
	v_cmpx_lt_u32_e32 56, v166
	s_cbranch_execz .LBB59_261
; %bb.260:
	scratch_load_b128 v[1:4], v87, off
	v_mov_b32_e32 v5, 0
	s_delay_alu instid0(VALU_DEP_1)
	v_mov_b32_e32 v6, v5
	v_mov_b32_e32 v7, v5
	;; [unrolled: 1-line block ×3, first 2 shown]
	scratch_store_b128 off, v[5:8], off offset:896
	s_waitcnt vmcnt(0)
	ds_store_b128 v226, v[1:4]
.LBB59_261:
	s_or_b32 exec_lo, exec_lo, s2
	s_waitcnt lgkmcnt(0)
	s_waitcnt_vscnt null, 0x0
	s_barrier
	buffer_gl0_inv
	s_clause 0x3
	scratch_load_b128 v[2:5], off, off offset:912
	scratch_load_b128 v[6:9], off, off offset:928
	;; [unrolled: 1-line block ×4, first 2 shown]
	v_mov_b32_e32 v1, 0
	ds_load_b128 v[18:21], v1 offset:1872
	ds_load_b128 v[22:25], v1 offset:1888
	s_mov_b32 s2, exec_lo
	s_waitcnt vmcnt(3) lgkmcnt(1)
	v_mul_f64 v[26:27], v[20:21], v[4:5]
	v_mul_f64 v[4:5], v[18:19], v[4:5]
	s_waitcnt vmcnt(2) lgkmcnt(0)
	v_mul_f64 v[28:29], v[22:23], v[8:9]
	v_mul_f64 v[8:9], v[24:25], v[8:9]
	s_delay_alu instid0(VALU_DEP_4) | instskip(NEXT) | instid1(VALU_DEP_4)
	v_fma_f64 v[18:19], v[18:19], v[2:3], -v[26:27]
	v_fma_f64 v[20:21], v[20:21], v[2:3], v[4:5]
	ds_load_b128 v[2:5], v1 offset:1904
	v_fma_f64 v[24:25], v[24:25], v[6:7], v[28:29]
	v_fma_f64 v[6:7], v[22:23], v[6:7], -v[8:9]
	s_waitcnt vmcnt(1) lgkmcnt(0)
	v_mul_f64 v[26:27], v[2:3], v[12:13]
	v_mul_f64 v[12:13], v[4:5], v[12:13]
	v_add_f64 v[8:9], v[18:19], 0
	v_add_f64 v[18:19], v[20:21], 0
	s_delay_alu instid0(VALU_DEP_4) | instskip(NEXT) | instid1(VALU_DEP_4)
	v_fma_f64 v[4:5], v[4:5], v[10:11], v[26:27]
	v_fma_f64 v[2:3], v[2:3], v[10:11], -v[12:13]
	s_delay_alu instid0(VALU_DEP_4) | instskip(NEXT) | instid1(VALU_DEP_4)
	v_add_f64 v[6:7], v[8:9], v[6:7]
	v_add_f64 v[8:9], v[18:19], v[24:25]
	s_delay_alu instid0(VALU_DEP_2) | instskip(NEXT) | instid1(VALU_DEP_2)
	v_add_f64 v[2:3], v[6:7], v[2:3]
	v_add_f64 v[4:5], v[8:9], v[4:5]
	s_waitcnt vmcnt(0)
	s_delay_alu instid0(VALU_DEP_2) | instskip(NEXT) | instid1(VALU_DEP_2)
	v_add_f64 v[2:3], v[14:15], -v[2:3]
	v_add_f64 v[4:5], v[16:17], -v[4:5]
	scratch_store_b128 off, v[2:5], off offset:896
	v_cmpx_lt_u32_e32 55, v166
	s_cbranch_execz .LBB59_263
; %bb.262:
	scratch_load_b128 v[5:8], v83, off
	v_mov_b32_e32 v2, v1
	v_mov_b32_e32 v3, v1
	;; [unrolled: 1-line block ×3, first 2 shown]
	scratch_store_b128 off, v[1:4], off offset:880
	s_waitcnt vmcnt(0)
	ds_store_b128 v226, v[5:8]
.LBB59_263:
	s_or_b32 exec_lo, exec_lo, s2
	s_waitcnt lgkmcnt(0)
	s_waitcnt_vscnt null, 0x0
	s_barrier
	buffer_gl0_inv
	s_clause 0x4
	scratch_load_b128 v[2:5], off, off offset:896
	scratch_load_b128 v[6:9], off, off offset:912
	scratch_load_b128 v[10:13], off, off offset:928
	scratch_load_b128 v[14:17], off, off offset:944
	scratch_load_b128 v[18:21], off, off offset:880
	ds_load_b128 v[22:25], v1 offset:1856
	ds_load_b128 v[26:29], v1 offset:1872
	s_mov_b32 s2, exec_lo
	s_waitcnt vmcnt(4) lgkmcnt(1)
	v_mul_f64 v[30:31], v[24:25], v[4:5]
	v_mul_f64 v[4:5], v[22:23], v[4:5]
	s_waitcnt vmcnt(3) lgkmcnt(0)
	v_mul_f64 v[32:33], v[26:27], v[8:9]
	v_mul_f64 v[8:9], v[28:29], v[8:9]
	s_delay_alu instid0(VALU_DEP_4) | instskip(NEXT) | instid1(VALU_DEP_4)
	v_fma_f64 v[30:31], v[22:23], v[2:3], -v[30:31]
	v_fma_f64 v[34:35], v[24:25], v[2:3], v[4:5]
	ds_load_b128 v[2:5], v1 offset:1888
	ds_load_b128 v[22:25], v1 offset:1904
	v_fma_f64 v[28:29], v[28:29], v[6:7], v[32:33]
	v_fma_f64 v[6:7], v[26:27], v[6:7], -v[8:9]
	s_waitcnt vmcnt(2) lgkmcnt(1)
	v_mul_f64 v[36:37], v[2:3], v[12:13]
	v_mul_f64 v[12:13], v[4:5], v[12:13]
	v_add_f64 v[8:9], v[30:31], 0
	v_add_f64 v[26:27], v[34:35], 0
	s_waitcnt vmcnt(1) lgkmcnt(0)
	v_mul_f64 v[30:31], v[22:23], v[16:17]
	v_mul_f64 v[16:17], v[24:25], v[16:17]
	v_fma_f64 v[4:5], v[4:5], v[10:11], v[36:37]
	v_fma_f64 v[1:2], v[2:3], v[10:11], -v[12:13]
	v_add_f64 v[6:7], v[8:9], v[6:7]
	v_add_f64 v[8:9], v[26:27], v[28:29]
	v_fma_f64 v[10:11], v[24:25], v[14:15], v[30:31]
	v_fma_f64 v[12:13], v[22:23], v[14:15], -v[16:17]
	s_delay_alu instid0(VALU_DEP_4) | instskip(NEXT) | instid1(VALU_DEP_4)
	v_add_f64 v[1:2], v[6:7], v[1:2]
	v_add_f64 v[3:4], v[8:9], v[4:5]
	s_delay_alu instid0(VALU_DEP_2) | instskip(NEXT) | instid1(VALU_DEP_2)
	v_add_f64 v[1:2], v[1:2], v[12:13]
	v_add_f64 v[3:4], v[3:4], v[10:11]
	s_waitcnt vmcnt(0)
	s_delay_alu instid0(VALU_DEP_2) | instskip(NEXT) | instid1(VALU_DEP_2)
	v_add_f64 v[1:2], v[18:19], -v[1:2]
	v_add_f64 v[3:4], v[20:21], -v[3:4]
	scratch_store_b128 off, v[1:4], off offset:880
	v_cmpx_lt_u32_e32 54, v166
	s_cbranch_execz .LBB59_265
; %bb.264:
	scratch_load_b128 v[1:4], v170, off
	v_mov_b32_e32 v5, 0
	s_delay_alu instid0(VALU_DEP_1)
	v_mov_b32_e32 v6, v5
	v_mov_b32_e32 v7, v5
	;; [unrolled: 1-line block ×3, first 2 shown]
	scratch_store_b128 off, v[5:8], off offset:864
	s_waitcnt vmcnt(0)
	ds_store_b128 v226, v[1:4]
.LBB59_265:
	s_or_b32 exec_lo, exec_lo, s2
	s_waitcnt lgkmcnt(0)
	s_waitcnt_vscnt null, 0x0
	s_barrier
	buffer_gl0_inv
	s_clause 0x5
	scratch_load_b128 v[2:5], off, off offset:880
	scratch_load_b128 v[6:9], off, off offset:896
	;; [unrolled: 1-line block ×6, first 2 shown]
	v_mov_b32_e32 v1, 0
	ds_load_b128 v[26:29], v1 offset:1840
	ds_load_b128 v[30:33], v1 offset:1856
	s_mov_b32 s2, exec_lo
	s_waitcnt vmcnt(5) lgkmcnt(1)
	v_mul_f64 v[34:35], v[28:29], v[4:5]
	v_mul_f64 v[4:5], v[26:27], v[4:5]
	s_waitcnt vmcnt(4) lgkmcnt(0)
	v_mul_f64 v[36:37], v[30:31], v[8:9]
	v_mul_f64 v[8:9], v[32:33], v[8:9]
	s_delay_alu instid0(VALU_DEP_4) | instskip(NEXT) | instid1(VALU_DEP_4)
	v_fma_f64 v[34:35], v[26:27], v[2:3], -v[34:35]
	v_fma_f64 v[38:39], v[28:29], v[2:3], v[4:5]
	ds_load_b128 v[2:5], v1 offset:1872
	ds_load_b128 v[26:29], v1 offset:1888
	v_fma_f64 v[32:33], v[32:33], v[6:7], v[36:37]
	v_fma_f64 v[6:7], v[30:31], v[6:7], -v[8:9]
	s_waitcnt vmcnt(3) lgkmcnt(1)
	v_mul_f64 v[40:41], v[2:3], v[12:13]
	v_mul_f64 v[12:13], v[4:5], v[12:13]
	v_add_f64 v[8:9], v[34:35], 0
	v_add_f64 v[30:31], v[38:39], 0
	s_waitcnt vmcnt(2) lgkmcnt(0)
	v_mul_f64 v[34:35], v[26:27], v[16:17]
	v_mul_f64 v[16:17], v[28:29], v[16:17]
	v_fma_f64 v[36:37], v[4:5], v[10:11], v[40:41]
	v_fma_f64 v[10:11], v[2:3], v[10:11], -v[12:13]
	ds_load_b128 v[2:5], v1 offset:1904
	v_add_f64 v[6:7], v[8:9], v[6:7]
	v_add_f64 v[8:9], v[30:31], v[32:33]
	v_fma_f64 v[28:29], v[28:29], v[14:15], v[34:35]
	v_fma_f64 v[14:15], v[26:27], v[14:15], -v[16:17]
	s_waitcnt vmcnt(1) lgkmcnt(0)
	v_mul_f64 v[12:13], v[2:3], v[20:21]
	v_mul_f64 v[20:21], v[4:5], v[20:21]
	v_add_f64 v[6:7], v[6:7], v[10:11]
	v_add_f64 v[8:9], v[8:9], v[36:37]
	s_delay_alu instid0(VALU_DEP_4) | instskip(NEXT) | instid1(VALU_DEP_4)
	v_fma_f64 v[4:5], v[4:5], v[18:19], v[12:13]
	v_fma_f64 v[2:3], v[2:3], v[18:19], -v[20:21]
	s_delay_alu instid0(VALU_DEP_4) | instskip(NEXT) | instid1(VALU_DEP_4)
	v_add_f64 v[6:7], v[6:7], v[14:15]
	v_add_f64 v[8:9], v[8:9], v[28:29]
	s_delay_alu instid0(VALU_DEP_2) | instskip(NEXT) | instid1(VALU_DEP_2)
	v_add_f64 v[2:3], v[6:7], v[2:3]
	v_add_f64 v[4:5], v[8:9], v[4:5]
	s_waitcnt vmcnt(0)
	s_delay_alu instid0(VALU_DEP_2) | instskip(NEXT) | instid1(VALU_DEP_2)
	v_add_f64 v[2:3], v[22:23], -v[2:3]
	v_add_f64 v[4:5], v[24:25], -v[4:5]
	scratch_store_b128 off, v[2:5], off offset:864
	v_cmpx_lt_u32_e32 53, v166
	s_cbranch_execz .LBB59_267
; %bb.266:
	scratch_load_b128 v[5:8], v167, off
	v_mov_b32_e32 v2, v1
	v_mov_b32_e32 v3, v1
	;; [unrolled: 1-line block ×3, first 2 shown]
	scratch_store_b128 off, v[1:4], off offset:848
	s_waitcnt vmcnt(0)
	ds_store_b128 v226, v[5:8]
.LBB59_267:
	s_or_b32 exec_lo, exec_lo, s2
	s_waitcnt lgkmcnt(0)
	s_waitcnt_vscnt null, 0x0
	s_barrier
	buffer_gl0_inv
	s_clause 0x5
	scratch_load_b128 v[2:5], off, off offset:864
	scratch_load_b128 v[6:9], off, off offset:880
	scratch_load_b128 v[10:13], off, off offset:896
	scratch_load_b128 v[14:17], off, off offset:912
	scratch_load_b128 v[18:21], off, off offset:928
	scratch_load_b128 v[22:25], off, off offset:944
	ds_load_b128 v[26:29], v1 offset:1824
	ds_load_b128 v[34:37], v1 offset:1840
	scratch_load_b128 v[30:33], off, off offset:848
	s_mov_b32 s2, exec_lo
	s_waitcnt vmcnt(6) lgkmcnt(1)
	v_mul_f64 v[38:39], v[28:29], v[4:5]
	v_mul_f64 v[4:5], v[26:27], v[4:5]
	s_waitcnt vmcnt(5) lgkmcnt(0)
	v_mul_f64 v[40:41], v[34:35], v[8:9]
	v_mul_f64 v[8:9], v[36:37], v[8:9]
	s_delay_alu instid0(VALU_DEP_4) | instskip(NEXT) | instid1(VALU_DEP_4)
	v_fma_f64 v[38:39], v[26:27], v[2:3], -v[38:39]
	v_fma_f64 v[42:43], v[28:29], v[2:3], v[4:5]
	ds_load_b128 v[2:5], v1 offset:1856
	ds_load_b128 v[26:29], v1 offset:1872
	v_fma_f64 v[36:37], v[36:37], v[6:7], v[40:41]
	v_fma_f64 v[6:7], v[34:35], v[6:7], -v[8:9]
	s_waitcnt vmcnt(4) lgkmcnt(1)
	v_mul_f64 v[44:45], v[2:3], v[12:13]
	v_mul_f64 v[12:13], v[4:5], v[12:13]
	v_add_f64 v[8:9], v[38:39], 0
	v_add_f64 v[34:35], v[42:43], 0
	s_waitcnt vmcnt(3) lgkmcnt(0)
	v_mul_f64 v[38:39], v[26:27], v[16:17]
	v_mul_f64 v[16:17], v[28:29], v[16:17]
	v_fma_f64 v[40:41], v[4:5], v[10:11], v[44:45]
	v_fma_f64 v[10:11], v[2:3], v[10:11], -v[12:13]
	v_add_f64 v[12:13], v[8:9], v[6:7]
	v_add_f64 v[34:35], v[34:35], v[36:37]
	ds_load_b128 v[2:5], v1 offset:1888
	ds_load_b128 v[6:9], v1 offset:1904
	v_fma_f64 v[28:29], v[28:29], v[14:15], v[38:39]
	v_fma_f64 v[14:15], v[26:27], v[14:15], -v[16:17]
	s_waitcnt vmcnt(2) lgkmcnt(1)
	v_mul_f64 v[36:37], v[2:3], v[20:21]
	v_mul_f64 v[20:21], v[4:5], v[20:21]
	s_waitcnt vmcnt(1) lgkmcnt(0)
	v_mul_f64 v[16:17], v[6:7], v[24:25]
	v_mul_f64 v[24:25], v[8:9], v[24:25]
	v_add_f64 v[10:11], v[12:13], v[10:11]
	v_add_f64 v[12:13], v[34:35], v[40:41]
	v_fma_f64 v[4:5], v[4:5], v[18:19], v[36:37]
	v_fma_f64 v[1:2], v[2:3], v[18:19], -v[20:21]
	v_fma_f64 v[8:9], v[8:9], v[22:23], v[16:17]
	v_fma_f64 v[6:7], v[6:7], v[22:23], -v[24:25]
	v_add_f64 v[10:11], v[10:11], v[14:15]
	v_add_f64 v[12:13], v[12:13], v[28:29]
	s_delay_alu instid0(VALU_DEP_2) | instskip(NEXT) | instid1(VALU_DEP_2)
	v_add_f64 v[1:2], v[10:11], v[1:2]
	v_add_f64 v[3:4], v[12:13], v[4:5]
	s_delay_alu instid0(VALU_DEP_2) | instskip(NEXT) | instid1(VALU_DEP_2)
	v_add_f64 v[1:2], v[1:2], v[6:7]
	v_add_f64 v[3:4], v[3:4], v[8:9]
	s_waitcnt vmcnt(0)
	s_delay_alu instid0(VALU_DEP_2) | instskip(NEXT) | instid1(VALU_DEP_2)
	v_add_f64 v[1:2], v[30:31], -v[1:2]
	v_add_f64 v[3:4], v[32:33], -v[3:4]
	scratch_store_b128 off, v[1:4], off offset:848
	v_cmpx_lt_u32_e32 52, v166
	s_cbranch_execz .LBB59_269
; %bb.268:
	scratch_load_b128 v[1:4], v79, off
	v_mov_b32_e32 v5, 0
	s_delay_alu instid0(VALU_DEP_1)
	v_mov_b32_e32 v6, v5
	v_mov_b32_e32 v7, v5
	;; [unrolled: 1-line block ×3, first 2 shown]
	scratch_store_b128 off, v[5:8], off offset:832
	s_waitcnt vmcnt(0)
	ds_store_b128 v226, v[1:4]
.LBB59_269:
	s_or_b32 exec_lo, exec_lo, s2
	s_waitcnt lgkmcnt(0)
	s_waitcnt_vscnt null, 0x0
	s_barrier
	buffer_gl0_inv
	s_clause 0x6
	scratch_load_b128 v[2:5], off, off offset:848
	scratch_load_b128 v[6:9], off, off offset:864
	;; [unrolled: 1-line block ×7, first 2 shown]
	v_mov_b32_e32 v1, 0
	scratch_load_b128 v[34:37], off, off offset:832
	s_mov_b32 s2, exec_lo
	ds_load_b128 v[30:33], v1 offset:1808
	ds_load_b128 v[38:41], v1 offset:1824
	s_waitcnt vmcnt(7) lgkmcnt(1)
	v_mul_f64 v[42:43], v[32:33], v[4:5]
	v_mul_f64 v[4:5], v[30:31], v[4:5]
	s_waitcnt vmcnt(6) lgkmcnt(0)
	v_mul_f64 v[44:45], v[38:39], v[8:9]
	v_mul_f64 v[8:9], v[40:41], v[8:9]
	s_delay_alu instid0(VALU_DEP_4) | instskip(NEXT) | instid1(VALU_DEP_4)
	v_fma_f64 v[42:43], v[30:31], v[2:3], -v[42:43]
	v_fma_f64 v[52:53], v[32:33], v[2:3], v[4:5]
	ds_load_b128 v[2:5], v1 offset:1840
	ds_load_b128 v[30:33], v1 offset:1856
	v_fma_f64 v[40:41], v[40:41], v[6:7], v[44:45]
	v_fma_f64 v[6:7], v[38:39], v[6:7], -v[8:9]
	s_waitcnt vmcnt(5) lgkmcnt(1)
	v_mul_f64 v[54:55], v[2:3], v[12:13]
	v_mul_f64 v[12:13], v[4:5], v[12:13]
	v_add_f64 v[8:9], v[42:43], 0
	v_add_f64 v[38:39], v[52:53], 0
	s_waitcnt vmcnt(4) lgkmcnt(0)
	v_mul_f64 v[42:43], v[30:31], v[16:17]
	v_mul_f64 v[16:17], v[32:33], v[16:17]
	v_fma_f64 v[44:45], v[4:5], v[10:11], v[54:55]
	v_fma_f64 v[10:11], v[2:3], v[10:11], -v[12:13]
	v_add_f64 v[12:13], v[8:9], v[6:7]
	v_add_f64 v[38:39], v[38:39], v[40:41]
	ds_load_b128 v[2:5], v1 offset:1872
	ds_load_b128 v[6:9], v1 offset:1888
	v_fma_f64 v[32:33], v[32:33], v[14:15], v[42:43]
	v_fma_f64 v[14:15], v[30:31], v[14:15], -v[16:17]
	s_waitcnt vmcnt(3) lgkmcnt(1)
	v_mul_f64 v[40:41], v[2:3], v[20:21]
	v_mul_f64 v[20:21], v[4:5], v[20:21]
	s_waitcnt vmcnt(2) lgkmcnt(0)
	v_mul_f64 v[16:17], v[6:7], v[24:25]
	v_mul_f64 v[24:25], v[8:9], v[24:25]
	v_add_f64 v[10:11], v[12:13], v[10:11]
	v_add_f64 v[12:13], v[38:39], v[44:45]
	v_fma_f64 v[30:31], v[4:5], v[18:19], v[40:41]
	v_fma_f64 v[18:19], v[2:3], v[18:19], -v[20:21]
	ds_load_b128 v[2:5], v1 offset:1904
	v_fma_f64 v[8:9], v[8:9], v[22:23], v[16:17]
	v_fma_f64 v[6:7], v[6:7], v[22:23], -v[24:25]
	v_add_f64 v[10:11], v[10:11], v[14:15]
	v_add_f64 v[12:13], v[12:13], v[32:33]
	s_waitcnt vmcnt(1) lgkmcnt(0)
	v_mul_f64 v[14:15], v[2:3], v[28:29]
	v_mul_f64 v[20:21], v[4:5], v[28:29]
	s_delay_alu instid0(VALU_DEP_4) | instskip(NEXT) | instid1(VALU_DEP_4)
	v_add_f64 v[10:11], v[10:11], v[18:19]
	v_add_f64 v[12:13], v[12:13], v[30:31]
	s_delay_alu instid0(VALU_DEP_4) | instskip(NEXT) | instid1(VALU_DEP_4)
	v_fma_f64 v[4:5], v[4:5], v[26:27], v[14:15]
	v_fma_f64 v[2:3], v[2:3], v[26:27], -v[20:21]
	s_delay_alu instid0(VALU_DEP_4) | instskip(NEXT) | instid1(VALU_DEP_4)
	v_add_f64 v[6:7], v[10:11], v[6:7]
	v_add_f64 v[8:9], v[12:13], v[8:9]
	s_delay_alu instid0(VALU_DEP_2) | instskip(NEXT) | instid1(VALU_DEP_2)
	v_add_f64 v[2:3], v[6:7], v[2:3]
	v_add_f64 v[4:5], v[8:9], v[4:5]
	s_waitcnt vmcnt(0)
	s_delay_alu instid0(VALU_DEP_2) | instskip(NEXT) | instid1(VALU_DEP_2)
	v_add_f64 v[2:3], v[34:35], -v[2:3]
	v_add_f64 v[4:5], v[36:37], -v[4:5]
	scratch_store_b128 off, v[2:5], off offset:832
	v_cmpx_lt_u32_e32 51, v166
	s_cbranch_execz .LBB59_271
; %bb.270:
	scratch_load_b128 v[5:8], v189, off
	v_mov_b32_e32 v2, v1
	v_mov_b32_e32 v3, v1
	;; [unrolled: 1-line block ×3, first 2 shown]
	scratch_store_b128 off, v[1:4], off offset:816
	s_waitcnt vmcnt(0)
	ds_store_b128 v226, v[5:8]
.LBB59_271:
	s_or_b32 exec_lo, exec_lo, s2
	s_waitcnt lgkmcnt(0)
	s_waitcnt_vscnt null, 0x0
	s_barrier
	buffer_gl0_inv
	s_clause 0x7
	scratch_load_b128 v[2:5], off, off offset:832
	scratch_load_b128 v[6:9], off, off offset:848
	;; [unrolled: 1-line block ×8, first 2 shown]
	ds_load_b128 v[34:37], v1 offset:1792
	ds_load_b128 v[38:41], v1 offset:1808
	scratch_load_b128 v[42:45], off, off offset:816
	s_mov_b32 s2, exec_lo
	s_waitcnt vmcnt(8) lgkmcnt(1)
	v_mul_f64 v[52:53], v[36:37], v[4:5]
	v_mul_f64 v[4:5], v[34:35], v[4:5]
	s_waitcnt vmcnt(7) lgkmcnt(0)
	v_mul_f64 v[54:55], v[38:39], v[8:9]
	v_mul_f64 v[8:9], v[40:41], v[8:9]
	s_delay_alu instid0(VALU_DEP_4) | instskip(NEXT) | instid1(VALU_DEP_4)
	v_fma_f64 v[52:53], v[34:35], v[2:3], -v[52:53]
	v_fma_f64 v[56:57], v[36:37], v[2:3], v[4:5]
	ds_load_b128 v[2:5], v1 offset:1824
	ds_load_b128 v[34:37], v1 offset:1840
	v_fma_f64 v[40:41], v[40:41], v[6:7], v[54:55]
	v_fma_f64 v[6:7], v[38:39], v[6:7], -v[8:9]
	s_waitcnt vmcnt(6) lgkmcnt(1)
	v_mul_f64 v[58:59], v[2:3], v[12:13]
	v_mul_f64 v[12:13], v[4:5], v[12:13]
	v_add_f64 v[8:9], v[52:53], 0
	v_add_f64 v[38:39], v[56:57], 0
	s_waitcnt vmcnt(5) lgkmcnt(0)
	v_mul_f64 v[52:53], v[34:35], v[16:17]
	v_mul_f64 v[16:17], v[36:37], v[16:17]
	v_fma_f64 v[54:55], v[4:5], v[10:11], v[58:59]
	v_fma_f64 v[10:11], v[2:3], v[10:11], -v[12:13]
	v_add_f64 v[12:13], v[8:9], v[6:7]
	v_add_f64 v[38:39], v[38:39], v[40:41]
	ds_load_b128 v[2:5], v1 offset:1856
	ds_load_b128 v[6:9], v1 offset:1872
	v_fma_f64 v[36:37], v[36:37], v[14:15], v[52:53]
	v_fma_f64 v[14:15], v[34:35], v[14:15], -v[16:17]
	s_waitcnt vmcnt(4) lgkmcnt(1)
	v_mul_f64 v[40:41], v[2:3], v[20:21]
	v_mul_f64 v[20:21], v[4:5], v[20:21]
	s_waitcnt vmcnt(3) lgkmcnt(0)
	v_mul_f64 v[16:17], v[6:7], v[24:25]
	v_mul_f64 v[24:25], v[8:9], v[24:25]
	v_add_f64 v[10:11], v[12:13], v[10:11]
	v_add_f64 v[12:13], v[38:39], v[54:55]
	v_fma_f64 v[34:35], v[4:5], v[18:19], v[40:41]
	v_fma_f64 v[18:19], v[2:3], v[18:19], -v[20:21]
	v_fma_f64 v[8:9], v[8:9], v[22:23], v[16:17]
	v_fma_f64 v[6:7], v[6:7], v[22:23], -v[24:25]
	v_add_f64 v[14:15], v[10:11], v[14:15]
	v_add_f64 v[20:21], v[12:13], v[36:37]
	ds_load_b128 v[2:5], v1 offset:1888
	ds_load_b128 v[10:13], v1 offset:1904
	s_waitcnt vmcnt(2) lgkmcnt(1)
	v_mul_f64 v[36:37], v[2:3], v[28:29]
	v_mul_f64 v[28:29], v[4:5], v[28:29]
	v_add_f64 v[14:15], v[14:15], v[18:19]
	v_add_f64 v[16:17], v[20:21], v[34:35]
	s_waitcnt vmcnt(1) lgkmcnt(0)
	v_mul_f64 v[18:19], v[10:11], v[32:33]
	v_mul_f64 v[20:21], v[12:13], v[32:33]
	v_fma_f64 v[4:5], v[4:5], v[26:27], v[36:37]
	v_fma_f64 v[1:2], v[2:3], v[26:27], -v[28:29]
	v_add_f64 v[6:7], v[14:15], v[6:7]
	v_add_f64 v[8:9], v[16:17], v[8:9]
	v_fma_f64 v[12:13], v[12:13], v[30:31], v[18:19]
	v_fma_f64 v[10:11], v[10:11], v[30:31], -v[20:21]
	s_delay_alu instid0(VALU_DEP_4) | instskip(NEXT) | instid1(VALU_DEP_4)
	v_add_f64 v[1:2], v[6:7], v[1:2]
	v_add_f64 v[3:4], v[8:9], v[4:5]
	s_delay_alu instid0(VALU_DEP_2) | instskip(NEXT) | instid1(VALU_DEP_2)
	v_add_f64 v[1:2], v[1:2], v[10:11]
	v_add_f64 v[3:4], v[3:4], v[12:13]
	s_waitcnt vmcnt(0)
	s_delay_alu instid0(VALU_DEP_2) | instskip(NEXT) | instid1(VALU_DEP_2)
	v_add_f64 v[1:2], v[42:43], -v[1:2]
	v_add_f64 v[3:4], v[44:45], -v[3:4]
	scratch_store_b128 off, v[1:4], off offset:816
	v_cmpx_lt_u32_e32 50, v166
	s_cbranch_execz .LBB59_273
; %bb.272:
	scratch_load_b128 v[1:4], v174, off
	v_mov_b32_e32 v5, 0
	s_delay_alu instid0(VALU_DEP_1)
	v_mov_b32_e32 v6, v5
	v_mov_b32_e32 v7, v5
	;; [unrolled: 1-line block ×3, first 2 shown]
	scratch_store_b128 off, v[5:8], off offset:800
	s_waitcnt vmcnt(0)
	ds_store_b128 v226, v[1:4]
.LBB59_273:
	s_or_b32 exec_lo, exec_lo, s2
	s_waitcnt lgkmcnt(0)
	s_waitcnt_vscnt null, 0x0
	s_barrier
	buffer_gl0_inv
	s_clause 0x7
	scratch_load_b128 v[2:5], off, off offset:816
	scratch_load_b128 v[6:9], off, off offset:832
	;; [unrolled: 1-line block ×8, first 2 shown]
	v_mov_b32_e32 v1, 0
	scratch_load_b128 v[38:41], off, off offset:944
	s_mov_b32 s2, exec_lo
	ds_load_b128 v[34:37], v1 offset:1776
	ds_load_b128 v[42:45], v1 offset:1792
	s_waitcnt vmcnt(8) lgkmcnt(1)
	v_mul_f64 v[52:53], v[36:37], v[4:5]
	v_mul_f64 v[4:5], v[34:35], v[4:5]
	s_waitcnt vmcnt(7) lgkmcnt(0)
	v_mul_f64 v[54:55], v[42:43], v[8:9]
	v_mul_f64 v[8:9], v[44:45], v[8:9]
	s_delay_alu instid0(VALU_DEP_4) | instskip(NEXT) | instid1(VALU_DEP_4)
	v_fma_f64 v[34:35], v[34:35], v[2:3], -v[52:53]
	v_fma_f64 v[36:37], v[36:37], v[2:3], v[4:5]
	ds_load_b128 v[2:5], v1 offset:1808
	v_fma_f64 v[44:45], v[44:45], v[6:7], v[54:55]
	v_fma_f64 v[42:43], v[42:43], v[6:7], -v[8:9]
	ds_load_b128 v[6:9], v1 offset:1824
	s_waitcnt vmcnt(6) lgkmcnt(1)
	v_mul_f64 v[52:53], v[2:3], v[12:13]
	v_mul_f64 v[12:13], v[4:5], v[12:13]
	s_waitcnt vmcnt(5) lgkmcnt(0)
	v_mul_f64 v[58:59], v[6:7], v[16:17]
	v_mul_f64 v[16:17], v[8:9], v[16:17]
	v_add_f64 v[54:55], v[34:35], 0
	v_add_f64 v[56:57], v[36:37], 0
	scratch_load_b128 v[34:37], off, off offset:800
	v_fma_f64 v[52:53], v[4:5], v[10:11], v[52:53]
	v_fma_f64 v[10:11], v[2:3], v[10:11], -v[12:13]
	ds_load_b128 v[2:5], v1 offset:1840
	v_add_f64 v[12:13], v[54:55], v[42:43]
	v_add_f64 v[42:43], v[56:57], v[44:45]
	v_fma_f64 v[54:55], v[8:9], v[14:15], v[58:59]
	v_fma_f64 v[14:15], v[6:7], v[14:15], -v[16:17]
	ds_load_b128 v[6:9], v1 offset:1856
	s_waitcnt vmcnt(5) lgkmcnt(1)
	v_mul_f64 v[44:45], v[2:3], v[20:21]
	v_mul_f64 v[20:21], v[4:5], v[20:21]
	s_waitcnt vmcnt(4) lgkmcnt(0)
	v_mul_f64 v[16:17], v[6:7], v[24:25]
	v_mul_f64 v[24:25], v[8:9], v[24:25]
	v_add_f64 v[10:11], v[12:13], v[10:11]
	v_add_f64 v[12:13], v[42:43], v[52:53]
	v_fma_f64 v[42:43], v[4:5], v[18:19], v[44:45]
	v_fma_f64 v[18:19], v[2:3], v[18:19], -v[20:21]
	ds_load_b128 v[2:5], v1 offset:1872
	v_fma_f64 v[16:17], v[8:9], v[22:23], v[16:17]
	v_fma_f64 v[22:23], v[6:7], v[22:23], -v[24:25]
	ds_load_b128 v[6:9], v1 offset:1888
	s_waitcnt vmcnt(3) lgkmcnt(1)
	v_mul_f64 v[20:21], v[4:5], v[28:29]
	v_add_f64 v[10:11], v[10:11], v[14:15]
	v_add_f64 v[12:13], v[12:13], v[54:55]
	v_mul_f64 v[14:15], v[2:3], v[28:29]
	s_waitcnt vmcnt(2) lgkmcnt(0)
	v_mul_f64 v[24:25], v[8:9], v[32:33]
	v_fma_f64 v[20:21], v[2:3], v[26:27], -v[20:21]
	v_add_f64 v[10:11], v[10:11], v[18:19]
	v_add_f64 v[12:13], v[12:13], v[42:43]
	v_mul_f64 v[18:19], v[6:7], v[32:33]
	v_fma_f64 v[14:15], v[4:5], v[26:27], v[14:15]
	ds_load_b128 v[2:5], v1 offset:1904
	v_fma_f64 v[6:7], v[6:7], v[30:31], -v[24:25]
	v_add_f64 v[10:11], v[10:11], v[22:23]
	v_add_f64 v[12:13], v[12:13], v[16:17]
	s_waitcnt vmcnt(1) lgkmcnt(0)
	v_mul_f64 v[16:17], v[2:3], v[40:41]
	v_mul_f64 v[22:23], v[4:5], v[40:41]
	v_fma_f64 v[8:9], v[8:9], v[30:31], v[18:19]
	v_add_f64 v[10:11], v[10:11], v[20:21]
	v_add_f64 v[12:13], v[12:13], v[14:15]
	v_fma_f64 v[4:5], v[4:5], v[38:39], v[16:17]
	v_fma_f64 v[2:3], v[2:3], v[38:39], -v[22:23]
	s_delay_alu instid0(VALU_DEP_4) | instskip(NEXT) | instid1(VALU_DEP_4)
	v_add_f64 v[6:7], v[10:11], v[6:7]
	v_add_f64 v[8:9], v[12:13], v[8:9]
	s_delay_alu instid0(VALU_DEP_2) | instskip(NEXT) | instid1(VALU_DEP_2)
	v_add_f64 v[2:3], v[6:7], v[2:3]
	v_add_f64 v[4:5], v[8:9], v[4:5]
	s_waitcnt vmcnt(0)
	s_delay_alu instid0(VALU_DEP_2) | instskip(NEXT) | instid1(VALU_DEP_2)
	v_add_f64 v[2:3], v[34:35], -v[2:3]
	v_add_f64 v[4:5], v[36:37], -v[4:5]
	scratch_store_b128 off, v[2:5], off offset:800
	v_cmpx_lt_u32_e32 49, v166
	s_cbranch_execz .LBB59_275
; %bb.274:
	scratch_load_b128 v[5:8], v82, off
	v_mov_b32_e32 v2, v1
	v_mov_b32_e32 v3, v1
	;; [unrolled: 1-line block ×3, first 2 shown]
	scratch_store_b128 off, v[1:4], off offset:784
	s_waitcnt vmcnt(0)
	ds_store_b128 v226, v[5:8]
.LBB59_275:
	s_or_b32 exec_lo, exec_lo, s2
	s_waitcnt lgkmcnt(0)
	s_waitcnt_vscnt null, 0x0
	s_barrier
	buffer_gl0_inv
	s_clause 0x7
	scratch_load_b128 v[2:5], off, off offset:800
	scratch_load_b128 v[6:9], off, off offset:816
	;; [unrolled: 1-line block ×8, first 2 shown]
	ds_load_b128 v[34:37], v1 offset:1760
	ds_load_b128 v[42:45], v1 offset:1776
	s_clause 0x1
	scratch_load_b128 v[38:41], off, off offset:928
	scratch_load_b128 v[180:183], off, off offset:944
	s_mov_b32 s2, exec_lo
	s_waitcnt vmcnt(9) lgkmcnt(1)
	v_mul_f64 v[52:53], v[36:37], v[4:5]
	v_mul_f64 v[4:5], v[34:35], v[4:5]
	s_waitcnt vmcnt(8) lgkmcnt(0)
	v_mul_f64 v[54:55], v[42:43], v[8:9]
	v_mul_f64 v[8:9], v[44:45], v[8:9]
	s_delay_alu instid0(VALU_DEP_4) | instskip(NEXT) | instid1(VALU_DEP_4)
	v_fma_f64 v[34:35], v[34:35], v[2:3], -v[52:53]
	v_fma_f64 v[36:37], v[36:37], v[2:3], v[4:5]
	ds_load_b128 v[2:5], v1 offset:1792
	v_fma_f64 v[44:45], v[44:45], v[6:7], v[54:55]
	v_fma_f64 v[42:43], v[42:43], v[6:7], -v[8:9]
	ds_load_b128 v[6:9], v1 offset:1808
	s_waitcnt vmcnt(7) lgkmcnt(1)
	v_mul_f64 v[52:53], v[2:3], v[12:13]
	v_mul_f64 v[12:13], v[4:5], v[12:13]
	s_waitcnt vmcnt(6) lgkmcnt(0)
	v_mul_f64 v[54:55], v[6:7], v[16:17]
	v_mul_f64 v[16:17], v[8:9], v[16:17]
	v_add_f64 v[34:35], v[34:35], 0
	v_add_f64 v[36:37], v[36:37], 0
	v_fma_f64 v[52:53], v[4:5], v[10:11], v[52:53]
	v_fma_f64 v[56:57], v[2:3], v[10:11], -v[12:13]
	ds_load_b128 v[2:5], v1 offset:1824
	scratch_load_b128 v[10:13], off, off offset:784
	v_add_f64 v[34:35], v[34:35], v[42:43]
	v_add_f64 v[36:37], v[36:37], v[44:45]
	v_fma_f64 v[44:45], v[8:9], v[14:15], v[54:55]
	v_fma_f64 v[14:15], v[6:7], v[14:15], -v[16:17]
	ds_load_b128 v[6:9], v1 offset:1840
	s_waitcnt vmcnt(6) lgkmcnt(1)
	v_mul_f64 v[42:43], v[2:3], v[20:21]
	v_mul_f64 v[20:21], v[4:5], v[20:21]
	v_add_f64 v[16:17], v[34:35], v[56:57]
	v_add_f64 v[34:35], v[36:37], v[52:53]
	s_waitcnt vmcnt(5) lgkmcnt(0)
	v_mul_f64 v[36:37], v[6:7], v[24:25]
	v_mul_f64 v[24:25], v[8:9], v[24:25]
	v_fma_f64 v[42:43], v[4:5], v[18:19], v[42:43]
	v_fma_f64 v[18:19], v[2:3], v[18:19], -v[20:21]
	ds_load_b128 v[2:5], v1 offset:1856
	v_add_f64 v[14:15], v[16:17], v[14:15]
	v_add_f64 v[16:17], v[34:35], v[44:45]
	v_fma_f64 v[34:35], v[8:9], v[22:23], v[36:37]
	v_fma_f64 v[22:23], v[6:7], v[22:23], -v[24:25]
	ds_load_b128 v[6:9], v1 offset:1872
	s_waitcnt vmcnt(4) lgkmcnt(1)
	v_mul_f64 v[20:21], v[2:3], v[28:29]
	v_mul_f64 v[28:29], v[4:5], v[28:29]
	s_waitcnt vmcnt(3) lgkmcnt(0)
	v_mul_f64 v[24:25], v[8:9], v[32:33]
	v_add_f64 v[14:15], v[14:15], v[18:19]
	v_add_f64 v[16:17], v[16:17], v[42:43]
	v_mul_f64 v[18:19], v[6:7], v[32:33]
	v_fma_f64 v[20:21], v[4:5], v[26:27], v[20:21]
	v_fma_f64 v[26:27], v[2:3], v[26:27], -v[28:29]
	ds_load_b128 v[2:5], v1 offset:1888
	v_fma_f64 v[24:25], v[6:7], v[30:31], -v[24:25]
	v_add_f64 v[14:15], v[14:15], v[22:23]
	v_add_f64 v[16:17], v[16:17], v[34:35]
	v_fma_f64 v[18:19], v[8:9], v[30:31], v[18:19]
	ds_load_b128 v[6:9], v1 offset:1904
	s_waitcnt vmcnt(2) lgkmcnt(1)
	v_mul_f64 v[22:23], v[2:3], v[40:41]
	v_mul_f64 v[28:29], v[4:5], v[40:41]
	v_add_f64 v[14:15], v[14:15], v[26:27]
	v_add_f64 v[16:17], v[16:17], v[20:21]
	s_waitcnt vmcnt(1) lgkmcnt(0)
	v_mul_f64 v[20:21], v[6:7], v[182:183]
	v_mul_f64 v[26:27], v[8:9], v[182:183]
	v_fma_f64 v[4:5], v[4:5], v[38:39], v[22:23]
	v_fma_f64 v[1:2], v[2:3], v[38:39], -v[28:29]
	v_add_f64 v[14:15], v[14:15], v[24:25]
	v_add_f64 v[16:17], v[16:17], v[18:19]
	v_fma_f64 v[8:9], v[8:9], v[180:181], v[20:21]
	v_fma_f64 v[6:7], v[6:7], v[180:181], -v[26:27]
	s_delay_alu instid0(VALU_DEP_4) | instskip(NEXT) | instid1(VALU_DEP_4)
	v_add_f64 v[1:2], v[14:15], v[1:2]
	v_add_f64 v[3:4], v[16:17], v[4:5]
	s_delay_alu instid0(VALU_DEP_2) | instskip(NEXT) | instid1(VALU_DEP_2)
	v_add_f64 v[1:2], v[1:2], v[6:7]
	v_add_f64 v[3:4], v[3:4], v[8:9]
	s_waitcnt vmcnt(0)
	s_delay_alu instid0(VALU_DEP_2) | instskip(NEXT) | instid1(VALU_DEP_2)
	v_add_f64 v[1:2], v[10:11], -v[1:2]
	v_add_f64 v[3:4], v[12:13], -v[3:4]
	scratch_store_b128 off, v[1:4], off offset:784
	v_cmpx_lt_u32_e32 48, v166
	s_cbranch_execz .LBB59_277
; %bb.276:
	scratch_load_b128 v[1:4], v172, off
	v_mov_b32_e32 v5, 0
	s_delay_alu instid0(VALU_DEP_1)
	v_mov_b32_e32 v6, v5
	v_mov_b32_e32 v7, v5
	;; [unrolled: 1-line block ×3, first 2 shown]
	scratch_store_b128 off, v[5:8], off offset:768
	s_waitcnt vmcnt(0)
	ds_store_b128 v226, v[1:4]
.LBB59_277:
	s_or_b32 exec_lo, exec_lo, s2
	s_waitcnt lgkmcnt(0)
	s_waitcnt_vscnt null, 0x0
	s_barrier
	buffer_gl0_inv
	s_clause 0x7
	scratch_load_b128 v[2:5], off, off offset:784
	scratch_load_b128 v[6:9], off, off offset:800
	;; [unrolled: 1-line block ×8, first 2 shown]
	v_mov_b32_e32 v1, 0
	s_clause 0x1
	scratch_load_b128 v[38:41], off, off offset:912
	scratch_load_b128 v[180:183], off, off offset:928
	s_mov_b32 s2, exec_lo
	ds_load_b128 v[34:37], v1 offset:1744
	ds_load_b128 v[42:45], v1 offset:1760
	s_waitcnt vmcnt(9) lgkmcnt(1)
	v_mul_f64 v[52:53], v[36:37], v[4:5]
	v_mul_f64 v[4:5], v[34:35], v[4:5]
	s_waitcnt vmcnt(8) lgkmcnt(0)
	v_mul_f64 v[54:55], v[42:43], v[8:9]
	v_mul_f64 v[8:9], v[44:45], v[8:9]
	s_delay_alu instid0(VALU_DEP_4) | instskip(NEXT) | instid1(VALU_DEP_4)
	v_fma_f64 v[52:53], v[34:35], v[2:3], -v[52:53]
	v_fma_f64 v[56:57], v[36:37], v[2:3], v[4:5]
	ds_load_b128 v[2:5], v1 offset:1776
	scratch_load_b128 v[34:37], off, off offset:944
	v_fma_f64 v[44:45], v[44:45], v[6:7], v[54:55]
	v_fma_f64 v[42:43], v[42:43], v[6:7], -v[8:9]
	ds_load_b128 v[6:9], v1 offset:1792
	s_waitcnt vmcnt(8) lgkmcnt(1)
	v_mul_f64 v[58:59], v[2:3], v[12:13]
	v_mul_f64 v[12:13], v[4:5], v[12:13]
	v_add_f64 v[52:53], v[52:53], 0
	v_add_f64 v[54:55], v[56:57], 0
	s_waitcnt vmcnt(7) lgkmcnt(0)
	v_mul_f64 v[56:57], v[6:7], v[16:17]
	v_mul_f64 v[16:17], v[8:9], v[16:17]
	v_fma_f64 v[58:59], v[4:5], v[10:11], v[58:59]
	v_fma_f64 v[10:11], v[2:3], v[10:11], -v[12:13]
	ds_load_b128 v[2:5], v1 offset:1808
	v_add_f64 v[12:13], v[52:53], v[42:43]
	v_add_f64 v[42:43], v[54:55], v[44:45]
	v_fma_f64 v[52:53], v[8:9], v[14:15], v[56:57]
	v_fma_f64 v[14:15], v[6:7], v[14:15], -v[16:17]
	ds_load_b128 v[6:9], v1 offset:1824
	s_waitcnt vmcnt(6) lgkmcnt(1)
	v_mul_f64 v[44:45], v[2:3], v[20:21]
	v_mul_f64 v[20:21], v[4:5], v[20:21]
	s_waitcnt vmcnt(5) lgkmcnt(0)
	v_mul_f64 v[54:55], v[6:7], v[24:25]
	v_mul_f64 v[24:25], v[8:9], v[24:25]
	v_add_f64 v[16:17], v[12:13], v[10:11]
	v_add_f64 v[42:43], v[42:43], v[58:59]
	scratch_load_b128 v[10:13], off, off offset:768
	v_fma_f64 v[44:45], v[4:5], v[18:19], v[44:45]
	v_fma_f64 v[18:19], v[2:3], v[18:19], -v[20:21]
	ds_load_b128 v[2:5], v1 offset:1840
	v_add_f64 v[14:15], v[16:17], v[14:15]
	v_add_f64 v[16:17], v[42:43], v[52:53]
	v_fma_f64 v[42:43], v[8:9], v[22:23], v[54:55]
	v_fma_f64 v[22:23], v[6:7], v[22:23], -v[24:25]
	ds_load_b128 v[6:9], v1 offset:1856
	s_waitcnt vmcnt(5) lgkmcnt(1)
	v_mul_f64 v[20:21], v[2:3], v[28:29]
	v_mul_f64 v[28:29], v[4:5], v[28:29]
	s_waitcnt vmcnt(4) lgkmcnt(0)
	v_mul_f64 v[24:25], v[8:9], v[32:33]
	v_add_f64 v[14:15], v[14:15], v[18:19]
	v_add_f64 v[16:17], v[16:17], v[44:45]
	v_mul_f64 v[18:19], v[6:7], v[32:33]
	v_fma_f64 v[20:21], v[4:5], v[26:27], v[20:21]
	v_fma_f64 v[26:27], v[2:3], v[26:27], -v[28:29]
	ds_load_b128 v[2:5], v1 offset:1872
	v_fma_f64 v[24:25], v[6:7], v[30:31], -v[24:25]
	v_add_f64 v[14:15], v[14:15], v[22:23]
	v_add_f64 v[16:17], v[16:17], v[42:43]
	v_fma_f64 v[18:19], v[8:9], v[30:31], v[18:19]
	ds_load_b128 v[6:9], v1 offset:1888
	s_waitcnt vmcnt(3) lgkmcnt(1)
	v_mul_f64 v[22:23], v[2:3], v[40:41]
	v_mul_f64 v[28:29], v[4:5], v[40:41]
	v_add_f64 v[14:15], v[14:15], v[26:27]
	v_add_f64 v[16:17], v[16:17], v[20:21]
	s_waitcnt vmcnt(2) lgkmcnt(0)
	v_mul_f64 v[20:21], v[6:7], v[182:183]
	v_mul_f64 v[26:27], v[8:9], v[182:183]
	v_fma_f64 v[22:23], v[4:5], v[38:39], v[22:23]
	v_fma_f64 v[28:29], v[2:3], v[38:39], -v[28:29]
	ds_load_b128 v[2:5], v1 offset:1904
	v_add_f64 v[14:15], v[14:15], v[24:25]
	v_add_f64 v[16:17], v[16:17], v[18:19]
	v_fma_f64 v[8:9], v[8:9], v[180:181], v[20:21]
	v_fma_f64 v[6:7], v[6:7], v[180:181], -v[26:27]
	s_waitcnt vmcnt(1) lgkmcnt(0)
	v_mul_f64 v[18:19], v[2:3], v[36:37]
	v_mul_f64 v[24:25], v[4:5], v[36:37]
	v_add_f64 v[14:15], v[14:15], v[28:29]
	v_add_f64 v[16:17], v[16:17], v[22:23]
	s_delay_alu instid0(VALU_DEP_4) | instskip(NEXT) | instid1(VALU_DEP_4)
	v_fma_f64 v[4:5], v[4:5], v[34:35], v[18:19]
	v_fma_f64 v[2:3], v[2:3], v[34:35], -v[24:25]
	s_delay_alu instid0(VALU_DEP_4) | instskip(NEXT) | instid1(VALU_DEP_4)
	v_add_f64 v[6:7], v[14:15], v[6:7]
	v_add_f64 v[8:9], v[16:17], v[8:9]
	s_delay_alu instid0(VALU_DEP_2) | instskip(NEXT) | instid1(VALU_DEP_2)
	v_add_f64 v[2:3], v[6:7], v[2:3]
	v_add_f64 v[4:5], v[8:9], v[4:5]
	s_waitcnt vmcnt(0)
	s_delay_alu instid0(VALU_DEP_2) | instskip(NEXT) | instid1(VALU_DEP_2)
	v_add_f64 v[2:3], v[10:11], -v[2:3]
	v_add_f64 v[4:5], v[12:13], -v[4:5]
	scratch_store_b128 off, v[2:5], off offset:768
	v_cmpx_lt_u32_e32 47, v166
	s_cbranch_execz .LBB59_279
; %bb.278:
	scratch_load_b128 v[5:8], v198, off
	v_mov_b32_e32 v2, v1
	v_mov_b32_e32 v3, v1
	;; [unrolled: 1-line block ×3, first 2 shown]
	scratch_store_b128 off, v[1:4], off offset:752
	s_waitcnt vmcnt(0)
	ds_store_b128 v226, v[5:8]
.LBB59_279:
	s_or_b32 exec_lo, exec_lo, s2
	s_waitcnt lgkmcnt(0)
	s_waitcnt_vscnt null, 0x0
	s_barrier
	buffer_gl0_inv
	s_clause 0x8
	scratch_load_b128 v[2:5], off, off offset:768
	scratch_load_b128 v[6:9], off, off offset:784
	;; [unrolled: 1-line block ×9, first 2 shown]
	ds_load_b128 v[38:41], v1 offset:1728
	ds_load_b128 v[42:45], v1 offset:1744
	s_clause 0x1
	scratch_load_b128 v[180:183], off, off offset:752
	scratch_load_b128 v[201:204], off, off offset:912
	s_mov_b32 s2, exec_lo
	ds_load_b128 v[230:233], v1 offset:1776
	s_waitcnt vmcnt(10) lgkmcnt(2)
	v_mul_f64 v[52:53], v[40:41], v[4:5]
	v_mul_f64 v[4:5], v[38:39], v[4:5]
	s_waitcnt vmcnt(9) lgkmcnt(1)
	v_mul_f64 v[54:55], v[42:43], v[8:9]
	v_mul_f64 v[8:9], v[44:45], v[8:9]
	s_delay_alu instid0(VALU_DEP_4) | instskip(NEXT) | instid1(VALU_DEP_4)
	v_fma_f64 v[52:53], v[38:39], v[2:3], -v[52:53]
	v_fma_f64 v[56:57], v[40:41], v[2:3], v[4:5]
	ds_load_b128 v[2:5], v1 offset:1760
	scratch_load_b128 v[38:41], off, off offset:928
	v_fma_f64 v[44:45], v[44:45], v[6:7], v[54:55]
	v_fma_f64 v[42:43], v[42:43], v[6:7], -v[8:9]
	scratch_load_b128 v[6:9], off, off offset:944
	s_waitcnt vmcnt(10) lgkmcnt(0)
	v_mul_f64 v[58:59], v[2:3], v[12:13]
	v_mul_f64 v[12:13], v[4:5], v[12:13]
	v_add_f64 v[52:53], v[52:53], 0
	v_add_f64 v[54:55], v[56:57], 0
	s_waitcnt vmcnt(9)
	v_mul_f64 v[56:57], v[230:231], v[16:17]
	v_mul_f64 v[16:17], v[232:233], v[16:17]
	v_fma_f64 v[58:59], v[4:5], v[10:11], v[58:59]
	v_fma_f64 v[60:61], v[2:3], v[10:11], -v[12:13]
	ds_load_b128 v[2:5], v1 offset:1792
	ds_load_b128 v[10:13], v1 offset:1808
	v_add_f64 v[42:43], v[52:53], v[42:43]
	v_add_f64 v[44:45], v[54:55], v[44:45]
	v_fma_f64 v[54:55], v[232:233], v[14:15], v[56:57]
	v_fma_f64 v[14:15], v[230:231], v[14:15], -v[16:17]
	s_waitcnt vmcnt(8) lgkmcnt(1)
	v_mul_f64 v[52:53], v[2:3], v[20:21]
	v_mul_f64 v[20:21], v[4:5], v[20:21]
	v_add_f64 v[16:17], v[42:43], v[60:61]
	v_add_f64 v[42:43], v[44:45], v[58:59]
	s_waitcnt vmcnt(7) lgkmcnt(0)
	v_mul_f64 v[44:45], v[10:11], v[24:25]
	v_mul_f64 v[24:25], v[12:13], v[24:25]
	v_fma_f64 v[52:53], v[4:5], v[18:19], v[52:53]
	v_fma_f64 v[18:19], v[2:3], v[18:19], -v[20:21]
	v_add_f64 v[20:21], v[16:17], v[14:15]
	v_add_f64 v[42:43], v[42:43], v[54:55]
	ds_load_b128 v[2:5], v1 offset:1824
	ds_load_b128 v[14:17], v1 offset:1840
	v_fma_f64 v[12:13], v[12:13], v[22:23], v[44:45]
	v_fma_f64 v[10:11], v[10:11], v[22:23], -v[24:25]
	s_waitcnt vmcnt(6) lgkmcnt(1)
	v_mul_f64 v[54:55], v[2:3], v[28:29]
	v_mul_f64 v[28:29], v[4:5], v[28:29]
	s_waitcnt vmcnt(5) lgkmcnt(0)
	v_mul_f64 v[22:23], v[14:15], v[32:33]
	v_mul_f64 v[24:25], v[16:17], v[32:33]
	v_add_f64 v[18:19], v[20:21], v[18:19]
	v_add_f64 v[20:21], v[42:43], v[52:53]
	v_fma_f64 v[32:33], v[4:5], v[26:27], v[54:55]
	v_fma_f64 v[26:27], v[2:3], v[26:27], -v[28:29]
	v_fma_f64 v[16:17], v[16:17], v[30:31], v[22:23]
	v_fma_f64 v[14:15], v[14:15], v[30:31], -v[24:25]
	v_add_f64 v[18:19], v[18:19], v[10:11]
	v_add_f64 v[20:21], v[20:21], v[12:13]
	ds_load_b128 v[2:5], v1 offset:1856
	ds_load_b128 v[10:13], v1 offset:1872
	s_waitcnt vmcnt(4) lgkmcnt(1)
	v_mul_f64 v[28:29], v[2:3], v[36:37]
	v_mul_f64 v[36:37], v[4:5], v[36:37]
	s_waitcnt vmcnt(2) lgkmcnt(0)
	v_mul_f64 v[22:23], v[10:11], v[203:204]
	v_mul_f64 v[24:25], v[12:13], v[203:204]
	v_add_f64 v[18:19], v[18:19], v[26:27]
	v_add_f64 v[20:21], v[20:21], v[32:33]
	v_fma_f64 v[26:27], v[4:5], v[34:35], v[28:29]
	v_fma_f64 v[28:29], v[2:3], v[34:35], -v[36:37]
	v_fma_f64 v[12:13], v[12:13], v[201:202], v[22:23]
	v_fma_f64 v[10:11], v[10:11], v[201:202], -v[24:25]
	v_add_f64 v[18:19], v[18:19], v[14:15]
	v_add_f64 v[20:21], v[20:21], v[16:17]
	ds_load_b128 v[2:5], v1 offset:1888
	ds_load_b128 v[14:17], v1 offset:1904
	s_waitcnt vmcnt(1) lgkmcnt(1)
	v_mul_f64 v[30:31], v[2:3], v[40:41]
	v_mul_f64 v[32:33], v[4:5], v[40:41]
	s_waitcnt vmcnt(0) lgkmcnt(0)
	v_mul_f64 v[22:23], v[14:15], v[8:9]
	v_mul_f64 v[8:9], v[16:17], v[8:9]
	v_add_f64 v[18:19], v[18:19], v[28:29]
	v_add_f64 v[20:21], v[20:21], v[26:27]
	v_fma_f64 v[4:5], v[4:5], v[38:39], v[30:31]
	v_fma_f64 v[1:2], v[2:3], v[38:39], -v[32:33]
	v_fma_f64 v[16:17], v[16:17], v[6:7], v[22:23]
	v_fma_f64 v[6:7], v[14:15], v[6:7], -v[8:9]
	v_add_f64 v[10:11], v[18:19], v[10:11]
	v_add_f64 v[12:13], v[20:21], v[12:13]
	s_delay_alu instid0(VALU_DEP_2) | instskip(NEXT) | instid1(VALU_DEP_2)
	v_add_f64 v[1:2], v[10:11], v[1:2]
	v_add_f64 v[3:4], v[12:13], v[4:5]
	s_delay_alu instid0(VALU_DEP_2) | instskip(NEXT) | instid1(VALU_DEP_2)
	;; [unrolled: 3-line block ×3, first 2 shown]
	v_add_f64 v[1:2], v[180:181], -v[1:2]
	v_add_f64 v[3:4], v[182:183], -v[3:4]
	scratch_store_b128 off, v[1:4], off offset:752
	v_cmpx_lt_u32_e32 46, v166
	s_cbranch_execz .LBB59_281
; %bb.280:
	scratch_load_b128 v[1:4], v175, off
	v_mov_b32_e32 v5, 0
	s_delay_alu instid0(VALU_DEP_1)
	v_mov_b32_e32 v6, v5
	v_mov_b32_e32 v7, v5
	;; [unrolled: 1-line block ×3, first 2 shown]
	scratch_store_b128 off, v[5:8], off offset:736
	s_waitcnt vmcnt(0)
	ds_store_b128 v226, v[1:4]
.LBB59_281:
	s_or_b32 exec_lo, exec_lo, s2
	s_waitcnt lgkmcnt(0)
	s_waitcnt_vscnt null, 0x0
	s_barrier
	buffer_gl0_inv
	s_clause 0x7
	scratch_load_b128 v[2:5], off, off offset:752
	scratch_load_b128 v[6:9], off, off offset:768
	;; [unrolled: 1-line block ×8, first 2 shown]
	v_mov_b32_e32 v1, 0
	s_mov_b32 s2, exec_lo
	ds_load_b128 v[34:37], v1 offset:1712
	s_clause 0x1
	scratch_load_b128 v[38:41], off, off offset:880
	scratch_load_b128 v[42:45], off, off offset:736
	ds_load_b128 v[180:183], v1 offset:1728
	scratch_load_b128 v[201:204], off, off offset:896
	ds_load_b128 v[230:233], v1 offset:1760
	s_waitcnt vmcnt(10) lgkmcnt(2)
	v_mul_f64 v[52:53], v[36:37], v[4:5]
	v_mul_f64 v[4:5], v[34:35], v[4:5]
	s_delay_alu instid0(VALU_DEP_2) | instskip(NEXT) | instid1(VALU_DEP_2)
	v_fma_f64 v[52:53], v[34:35], v[2:3], -v[52:53]
	v_fma_f64 v[56:57], v[36:37], v[2:3], v[4:5]
	ds_load_b128 v[2:5], v1 offset:1744
	s_waitcnt vmcnt(9) lgkmcnt(2)
	v_mul_f64 v[54:55], v[180:181], v[8:9]
	v_mul_f64 v[8:9], v[182:183], v[8:9]
	scratch_load_b128 v[34:37], off, off offset:912
	s_waitcnt vmcnt(9) lgkmcnt(0)
	v_mul_f64 v[58:59], v[2:3], v[12:13]
	v_mul_f64 v[12:13], v[4:5], v[12:13]
	v_add_f64 v[52:53], v[52:53], 0
	v_add_f64 v[56:57], v[56:57], 0
	v_fma_f64 v[54:55], v[182:183], v[6:7], v[54:55]
	v_fma_f64 v[60:61], v[180:181], v[6:7], -v[8:9]
	scratch_load_b128 v[6:9], off, off offset:928
	ds_load_b128 v[180:183], v1 offset:1792
	v_fma_f64 v[58:59], v[4:5], v[10:11], v[58:59]
	v_fma_f64 v[64:65], v[2:3], v[10:11], -v[12:13]
	scratch_load_b128 v[10:13], off, off offset:944
	ds_load_b128 v[2:5], v1 offset:1776
	s_waitcnt vmcnt(10)
	v_mul_f64 v[62:63], v[230:231], v[16:17]
	v_mul_f64 v[16:17], v[232:233], v[16:17]
	v_add_f64 v[54:55], v[56:57], v[54:55]
	v_add_f64 v[52:53], v[52:53], v[60:61]
	s_waitcnt vmcnt(9) lgkmcnt(0)
	v_mul_f64 v[56:57], v[2:3], v[20:21]
	v_mul_f64 v[20:21], v[4:5], v[20:21]
	v_fma_f64 v[60:61], v[232:233], v[14:15], v[62:63]
	v_fma_f64 v[14:15], v[230:231], v[14:15], -v[16:17]
	v_add_f64 v[16:17], v[52:53], v[64:65]
	v_add_f64 v[52:53], v[54:55], v[58:59]
	s_waitcnt vmcnt(8)
	v_mul_f64 v[54:55], v[180:181], v[24:25]
	v_mul_f64 v[24:25], v[182:183], v[24:25]
	v_fma_f64 v[56:57], v[4:5], v[18:19], v[56:57]
	v_fma_f64 v[18:19], v[2:3], v[18:19], -v[20:21]
	v_add_f64 v[20:21], v[16:17], v[14:15]
	v_add_f64 v[52:53], v[52:53], v[60:61]
	ds_load_b128 v[2:5], v1 offset:1808
	ds_load_b128 v[14:17], v1 offset:1824
	v_fma_f64 v[54:55], v[182:183], v[22:23], v[54:55]
	v_fma_f64 v[22:23], v[180:181], v[22:23], -v[24:25]
	s_waitcnt vmcnt(7) lgkmcnt(1)
	v_mul_f64 v[58:59], v[2:3], v[28:29]
	v_mul_f64 v[28:29], v[4:5], v[28:29]
	s_waitcnt vmcnt(6) lgkmcnt(0)
	v_mul_f64 v[24:25], v[14:15], v[32:33]
	v_mul_f64 v[32:33], v[16:17], v[32:33]
	v_add_f64 v[18:19], v[20:21], v[18:19]
	v_add_f64 v[20:21], v[52:53], v[56:57]
	v_fma_f64 v[52:53], v[4:5], v[26:27], v[58:59]
	v_fma_f64 v[26:27], v[2:3], v[26:27], -v[28:29]
	v_fma_f64 v[16:17], v[16:17], v[30:31], v[24:25]
	v_fma_f64 v[14:15], v[14:15], v[30:31], -v[32:33]
	v_add_f64 v[22:23], v[18:19], v[22:23]
	v_add_f64 v[28:29], v[20:21], v[54:55]
	ds_load_b128 v[2:5], v1 offset:1840
	ds_load_b128 v[18:21], v1 offset:1856
	s_waitcnt vmcnt(5) lgkmcnt(1)
	v_mul_f64 v[54:55], v[2:3], v[40:41]
	v_mul_f64 v[40:41], v[4:5], v[40:41]
	v_add_f64 v[22:23], v[22:23], v[26:27]
	v_add_f64 v[24:25], v[28:29], v[52:53]
	s_waitcnt vmcnt(3) lgkmcnt(0)
	v_mul_f64 v[26:27], v[18:19], v[203:204]
	v_mul_f64 v[28:29], v[20:21], v[203:204]
	v_fma_f64 v[30:31], v[4:5], v[38:39], v[54:55]
	v_fma_f64 v[32:33], v[2:3], v[38:39], -v[40:41]
	v_add_f64 v[22:23], v[22:23], v[14:15]
	v_add_f64 v[24:25], v[24:25], v[16:17]
	ds_load_b128 v[2:5], v1 offset:1872
	ds_load_b128 v[14:17], v1 offset:1888
	v_fma_f64 v[20:21], v[20:21], v[201:202], v[26:27]
	v_fma_f64 v[18:19], v[18:19], v[201:202], -v[28:29]
	s_waitcnt vmcnt(2) lgkmcnt(1)
	v_mul_f64 v[38:39], v[2:3], v[36:37]
	v_mul_f64 v[36:37], v[4:5], v[36:37]
	v_add_f64 v[22:23], v[22:23], v[32:33]
	v_add_f64 v[24:25], v[24:25], v[30:31]
	s_waitcnt vmcnt(1) lgkmcnt(0)
	v_mul_f64 v[26:27], v[14:15], v[8:9]
	v_mul_f64 v[8:9], v[16:17], v[8:9]
	v_fma_f64 v[28:29], v[4:5], v[34:35], v[38:39]
	v_fma_f64 v[30:31], v[2:3], v[34:35], -v[36:37]
	ds_load_b128 v[2:5], v1 offset:1904
	v_add_f64 v[18:19], v[22:23], v[18:19]
	v_add_f64 v[20:21], v[24:25], v[20:21]
	s_waitcnt vmcnt(0) lgkmcnt(0)
	v_mul_f64 v[22:23], v[2:3], v[12:13]
	v_mul_f64 v[12:13], v[4:5], v[12:13]
	v_fma_f64 v[16:17], v[16:17], v[6:7], v[26:27]
	v_fma_f64 v[6:7], v[14:15], v[6:7], -v[8:9]
	v_add_f64 v[8:9], v[18:19], v[30:31]
	v_add_f64 v[14:15], v[20:21], v[28:29]
	v_fma_f64 v[4:5], v[4:5], v[10:11], v[22:23]
	v_fma_f64 v[2:3], v[2:3], v[10:11], -v[12:13]
	s_delay_alu instid0(VALU_DEP_4) | instskip(NEXT) | instid1(VALU_DEP_4)
	v_add_f64 v[6:7], v[8:9], v[6:7]
	v_add_f64 v[8:9], v[14:15], v[16:17]
	s_delay_alu instid0(VALU_DEP_2) | instskip(NEXT) | instid1(VALU_DEP_2)
	v_add_f64 v[2:3], v[6:7], v[2:3]
	v_add_f64 v[4:5], v[8:9], v[4:5]
	s_delay_alu instid0(VALU_DEP_2) | instskip(NEXT) | instid1(VALU_DEP_2)
	v_add_f64 v[2:3], v[42:43], -v[2:3]
	v_add_f64 v[4:5], v[44:45], -v[4:5]
	scratch_store_b128 off, v[2:5], off offset:736
	v_cmpx_lt_u32_e32 45, v166
	s_cbranch_execz .LBB59_283
; %bb.282:
	scratch_load_b128 v[5:8], v176, off
	v_mov_b32_e32 v2, v1
	v_mov_b32_e32 v3, v1
	;; [unrolled: 1-line block ×3, first 2 shown]
	scratch_store_b128 off, v[1:4], off offset:720
	s_waitcnt vmcnt(0)
	ds_store_b128 v226, v[5:8]
.LBB59_283:
	s_or_b32 exec_lo, exec_lo, s2
	s_waitcnt lgkmcnt(0)
	s_waitcnt_vscnt null, 0x0
	s_barrier
	buffer_gl0_inv
	s_clause 0x8
	scratch_load_b128 v[2:5], off, off offset:736
	scratch_load_b128 v[6:9], off, off offset:752
	;; [unrolled: 1-line block ×9, first 2 shown]
	ds_load_b128 v[38:41], v1 offset:1696
	ds_load_b128 v[42:45], v1 offset:1712
	s_clause 0x1
	scratch_load_b128 v[180:183], off, off offset:720
	scratch_load_b128 v[201:204], off, off offset:880
	s_mov_b32 s2, exec_lo
	ds_load_b128 v[230:233], v1 offset:1744
	s_waitcnt vmcnt(10) lgkmcnt(2)
	v_mul_f64 v[52:53], v[40:41], v[4:5]
	v_mul_f64 v[4:5], v[38:39], v[4:5]
	s_waitcnt vmcnt(9) lgkmcnt(1)
	v_mul_f64 v[54:55], v[42:43], v[8:9]
	v_mul_f64 v[8:9], v[44:45], v[8:9]
	s_delay_alu instid0(VALU_DEP_4) | instskip(NEXT) | instid1(VALU_DEP_4)
	v_fma_f64 v[52:53], v[38:39], v[2:3], -v[52:53]
	v_fma_f64 v[56:57], v[40:41], v[2:3], v[4:5]
	ds_load_b128 v[2:5], v1 offset:1728
	scratch_load_b128 v[38:41], off, off offset:896
	v_fma_f64 v[44:45], v[44:45], v[6:7], v[54:55]
	v_fma_f64 v[42:43], v[42:43], v[6:7], -v[8:9]
	scratch_load_b128 v[6:9], off, off offset:912
	s_waitcnt vmcnt(10) lgkmcnt(0)
	v_mul_f64 v[58:59], v[2:3], v[12:13]
	v_mul_f64 v[12:13], v[4:5], v[12:13]
	v_add_f64 v[52:53], v[52:53], 0
	v_add_f64 v[54:55], v[56:57], 0
	s_waitcnt vmcnt(9)
	v_mul_f64 v[56:57], v[230:231], v[16:17]
	v_mul_f64 v[16:17], v[232:233], v[16:17]
	v_fma_f64 v[58:59], v[4:5], v[10:11], v[58:59]
	v_fma_f64 v[60:61], v[2:3], v[10:11], -v[12:13]
	ds_load_b128 v[2:5], v1 offset:1760
	scratch_load_b128 v[10:13], off, off offset:928
	v_add_f64 v[52:53], v[52:53], v[42:43]
	v_add_f64 v[54:55], v[54:55], v[44:45]
	ds_load_b128 v[42:45], v1 offset:1776
	v_fma_f64 v[56:57], v[232:233], v[14:15], v[56:57]
	v_fma_f64 v[64:65], v[230:231], v[14:15], -v[16:17]
	scratch_load_b128 v[14:17], off, off offset:944
	s_waitcnt vmcnt(10) lgkmcnt(1)
	v_mul_f64 v[62:63], v[2:3], v[20:21]
	v_mul_f64 v[20:21], v[4:5], v[20:21]
	v_add_f64 v[52:53], v[52:53], v[60:61]
	v_add_f64 v[54:55], v[54:55], v[58:59]
	s_waitcnt vmcnt(9) lgkmcnt(0)
	v_mul_f64 v[58:59], v[42:43], v[24:25]
	v_mul_f64 v[24:25], v[44:45], v[24:25]
	v_fma_f64 v[60:61], v[4:5], v[18:19], v[62:63]
	v_fma_f64 v[62:63], v[2:3], v[18:19], -v[20:21]
	ds_load_b128 v[2:5], v1 offset:1792
	ds_load_b128 v[18:21], v1 offset:1808
	v_add_f64 v[52:53], v[52:53], v[64:65]
	v_add_f64 v[54:55], v[54:55], v[56:57]
	s_waitcnt vmcnt(8) lgkmcnt(1)
	v_mul_f64 v[56:57], v[2:3], v[28:29]
	v_mul_f64 v[28:29], v[4:5], v[28:29]
	v_fma_f64 v[44:45], v[44:45], v[22:23], v[58:59]
	v_fma_f64 v[22:23], v[42:43], v[22:23], -v[24:25]
	v_add_f64 v[24:25], v[52:53], v[62:63]
	v_add_f64 v[42:43], v[54:55], v[60:61]
	s_waitcnt vmcnt(7) lgkmcnt(0)
	v_mul_f64 v[52:53], v[18:19], v[32:33]
	v_mul_f64 v[32:33], v[20:21], v[32:33]
	v_fma_f64 v[54:55], v[4:5], v[26:27], v[56:57]
	v_fma_f64 v[26:27], v[2:3], v[26:27], -v[28:29]
	v_add_f64 v[28:29], v[24:25], v[22:23]
	v_add_f64 v[42:43], v[42:43], v[44:45]
	ds_load_b128 v[2:5], v1 offset:1824
	ds_load_b128 v[22:25], v1 offset:1840
	v_fma_f64 v[20:21], v[20:21], v[30:31], v[52:53]
	v_fma_f64 v[18:19], v[18:19], v[30:31], -v[32:33]
	s_waitcnt vmcnt(6) lgkmcnt(1)
	v_mul_f64 v[44:45], v[2:3], v[36:37]
	v_mul_f64 v[36:37], v[4:5], v[36:37]
	s_waitcnt vmcnt(4) lgkmcnt(0)
	v_mul_f64 v[30:31], v[22:23], v[203:204]
	v_mul_f64 v[32:33], v[24:25], v[203:204]
	v_add_f64 v[26:27], v[28:29], v[26:27]
	v_add_f64 v[28:29], v[42:43], v[54:55]
	v_fma_f64 v[42:43], v[4:5], v[34:35], v[44:45]
	v_fma_f64 v[34:35], v[2:3], v[34:35], -v[36:37]
	v_fma_f64 v[24:25], v[24:25], v[201:202], v[30:31]
	v_fma_f64 v[22:23], v[22:23], v[201:202], -v[32:33]
	v_add_f64 v[26:27], v[26:27], v[18:19]
	v_add_f64 v[28:29], v[28:29], v[20:21]
	ds_load_b128 v[2:5], v1 offset:1856
	ds_load_b128 v[18:21], v1 offset:1872
	s_waitcnt vmcnt(3) lgkmcnt(1)
	v_mul_f64 v[36:37], v[2:3], v[40:41]
	v_mul_f64 v[40:41], v[4:5], v[40:41]
	s_waitcnt vmcnt(2) lgkmcnt(0)
	v_mul_f64 v[30:31], v[18:19], v[8:9]
	v_mul_f64 v[8:9], v[20:21], v[8:9]
	v_add_f64 v[26:27], v[26:27], v[34:35]
	v_add_f64 v[28:29], v[28:29], v[42:43]
	v_fma_f64 v[32:33], v[4:5], v[38:39], v[36:37]
	v_fma_f64 v[34:35], v[2:3], v[38:39], -v[40:41]
	v_fma_f64 v[20:21], v[20:21], v[6:7], v[30:31]
	v_fma_f64 v[6:7], v[18:19], v[6:7], -v[8:9]
	v_add_f64 v[26:27], v[26:27], v[22:23]
	v_add_f64 v[28:29], v[28:29], v[24:25]
	ds_load_b128 v[2:5], v1 offset:1888
	ds_load_b128 v[22:25], v1 offset:1904
	s_waitcnt vmcnt(1) lgkmcnt(1)
	v_mul_f64 v[36:37], v[2:3], v[12:13]
	v_mul_f64 v[12:13], v[4:5], v[12:13]
	v_add_f64 v[8:9], v[26:27], v[34:35]
	v_add_f64 v[18:19], v[28:29], v[32:33]
	s_waitcnt vmcnt(0) lgkmcnt(0)
	v_mul_f64 v[26:27], v[22:23], v[16:17]
	v_mul_f64 v[16:17], v[24:25], v[16:17]
	v_fma_f64 v[4:5], v[4:5], v[10:11], v[36:37]
	v_fma_f64 v[1:2], v[2:3], v[10:11], -v[12:13]
	v_add_f64 v[6:7], v[8:9], v[6:7]
	v_add_f64 v[8:9], v[18:19], v[20:21]
	v_fma_f64 v[10:11], v[24:25], v[14:15], v[26:27]
	v_fma_f64 v[12:13], v[22:23], v[14:15], -v[16:17]
	s_delay_alu instid0(VALU_DEP_4) | instskip(NEXT) | instid1(VALU_DEP_4)
	v_add_f64 v[1:2], v[6:7], v[1:2]
	v_add_f64 v[3:4], v[8:9], v[4:5]
	s_delay_alu instid0(VALU_DEP_2) | instskip(NEXT) | instid1(VALU_DEP_2)
	v_add_f64 v[1:2], v[1:2], v[12:13]
	v_add_f64 v[3:4], v[3:4], v[10:11]
	s_delay_alu instid0(VALU_DEP_2) | instskip(NEXT) | instid1(VALU_DEP_2)
	v_add_f64 v[1:2], v[180:181], -v[1:2]
	v_add_f64 v[3:4], v[182:183], -v[3:4]
	scratch_store_b128 off, v[1:4], off offset:720
	v_cmpx_lt_u32_e32 44, v166
	s_cbranch_execz .LBB59_285
; %bb.284:
	scratch_load_b128 v[1:4], v177, off
	v_mov_b32_e32 v5, 0
	s_delay_alu instid0(VALU_DEP_1)
	v_mov_b32_e32 v6, v5
	v_mov_b32_e32 v7, v5
	;; [unrolled: 1-line block ×3, first 2 shown]
	scratch_store_b128 off, v[5:8], off offset:704
	s_waitcnt vmcnt(0)
	ds_store_b128 v226, v[1:4]
.LBB59_285:
	s_or_b32 exec_lo, exec_lo, s2
	s_waitcnt lgkmcnt(0)
	s_waitcnt_vscnt null, 0x0
	s_barrier
	buffer_gl0_inv
	s_clause 0x7
	scratch_load_b128 v[2:5], off, off offset:720
	scratch_load_b128 v[6:9], off, off offset:736
	;; [unrolled: 1-line block ×8, first 2 shown]
	v_mov_b32_e32 v1, 0
	s_mov_b32 s2, exec_lo
	ds_load_b128 v[34:37], v1 offset:1680
	s_clause 0x1
	scratch_load_b128 v[38:41], off, off offset:848
	scratch_load_b128 v[42:45], off, off offset:704
	ds_load_b128 v[180:183], v1 offset:1696
	scratch_load_b128 v[201:204], off, off offset:864
	ds_load_b128 v[230:233], v1 offset:1728
	s_waitcnt vmcnt(10) lgkmcnt(2)
	v_mul_f64 v[52:53], v[36:37], v[4:5]
	v_mul_f64 v[4:5], v[34:35], v[4:5]
	s_delay_alu instid0(VALU_DEP_2) | instskip(NEXT) | instid1(VALU_DEP_2)
	v_fma_f64 v[52:53], v[34:35], v[2:3], -v[52:53]
	v_fma_f64 v[56:57], v[36:37], v[2:3], v[4:5]
	ds_load_b128 v[2:5], v1 offset:1712
	s_waitcnt vmcnt(9) lgkmcnt(2)
	v_mul_f64 v[54:55], v[180:181], v[8:9]
	v_mul_f64 v[8:9], v[182:183], v[8:9]
	scratch_load_b128 v[34:37], off, off offset:880
	s_waitcnt vmcnt(9) lgkmcnt(0)
	v_mul_f64 v[58:59], v[2:3], v[12:13]
	v_mul_f64 v[12:13], v[4:5], v[12:13]
	v_add_f64 v[52:53], v[52:53], 0
	v_add_f64 v[56:57], v[56:57], 0
	v_fma_f64 v[54:55], v[182:183], v[6:7], v[54:55]
	v_fma_f64 v[60:61], v[180:181], v[6:7], -v[8:9]
	scratch_load_b128 v[6:9], off, off offset:896
	ds_load_b128 v[180:183], v1 offset:1760
	v_fma_f64 v[58:59], v[4:5], v[10:11], v[58:59]
	v_fma_f64 v[64:65], v[2:3], v[10:11], -v[12:13]
	ds_load_b128 v[2:5], v1 offset:1744
	s_waitcnt vmcnt(9)
	v_mul_f64 v[62:63], v[230:231], v[16:17]
	v_mul_f64 v[16:17], v[232:233], v[16:17]
	scratch_load_b128 v[10:13], off, off offset:912
	v_add_f64 v[54:55], v[56:57], v[54:55]
	v_add_f64 v[52:53], v[52:53], v[60:61]
	s_waitcnt vmcnt(9) lgkmcnt(0)
	v_mul_f64 v[56:57], v[2:3], v[20:21]
	v_mul_f64 v[20:21], v[4:5], v[20:21]
	v_fma_f64 v[60:61], v[232:233], v[14:15], v[62:63]
	v_fma_f64 v[62:63], v[230:231], v[14:15], -v[16:17]
	scratch_load_b128 v[14:17], off, off offset:928
	ds_load_b128 v[230:233], v1 offset:1792
	v_add_f64 v[54:55], v[54:55], v[58:59]
	v_add_f64 v[52:53], v[52:53], v[64:65]
	v_fma_f64 v[56:57], v[4:5], v[18:19], v[56:57]
	v_fma_f64 v[64:65], v[2:3], v[18:19], -v[20:21]
	scratch_load_b128 v[18:21], off, off offset:944
	ds_load_b128 v[2:5], v1 offset:1776
	s_waitcnt vmcnt(10)
	v_mul_f64 v[58:59], v[180:181], v[24:25]
	v_mul_f64 v[24:25], v[182:183], v[24:25]
	v_add_f64 v[54:55], v[54:55], v[60:61]
	v_add_f64 v[52:53], v[52:53], v[62:63]
	s_waitcnt vmcnt(9) lgkmcnt(0)
	v_mul_f64 v[60:61], v[2:3], v[28:29]
	v_mul_f64 v[28:29], v[4:5], v[28:29]
	v_fma_f64 v[58:59], v[182:183], v[22:23], v[58:59]
	v_fma_f64 v[22:23], v[180:181], v[22:23], -v[24:25]
	v_add_f64 v[24:25], v[52:53], v[64:65]
	v_add_f64 v[52:53], v[54:55], v[56:57]
	s_waitcnt vmcnt(8)
	v_mul_f64 v[54:55], v[230:231], v[32:33]
	v_mul_f64 v[32:33], v[232:233], v[32:33]
	v_fma_f64 v[56:57], v[4:5], v[26:27], v[60:61]
	v_fma_f64 v[26:27], v[2:3], v[26:27], -v[28:29]
	v_add_f64 v[28:29], v[24:25], v[22:23]
	v_add_f64 v[52:53], v[52:53], v[58:59]
	ds_load_b128 v[2:5], v1 offset:1808
	ds_load_b128 v[22:25], v1 offset:1824
	v_fma_f64 v[54:55], v[232:233], v[30:31], v[54:55]
	v_fma_f64 v[30:31], v[230:231], v[30:31], -v[32:33]
	s_waitcnt vmcnt(7) lgkmcnt(1)
	v_mul_f64 v[58:59], v[2:3], v[40:41]
	v_mul_f64 v[40:41], v[4:5], v[40:41]
	s_waitcnt vmcnt(5) lgkmcnt(0)
	v_mul_f64 v[32:33], v[22:23], v[203:204]
	v_add_f64 v[26:27], v[28:29], v[26:27]
	v_add_f64 v[28:29], v[52:53], v[56:57]
	v_mul_f64 v[52:53], v[24:25], v[203:204]
	v_fma_f64 v[56:57], v[4:5], v[38:39], v[58:59]
	v_fma_f64 v[38:39], v[2:3], v[38:39], -v[40:41]
	v_fma_f64 v[24:25], v[24:25], v[201:202], v[32:33]
	v_add_f64 v[30:31], v[26:27], v[30:31]
	v_add_f64 v[40:41], v[28:29], v[54:55]
	ds_load_b128 v[2:5], v1 offset:1840
	ds_load_b128 v[26:29], v1 offset:1856
	v_fma_f64 v[22:23], v[22:23], v[201:202], -v[52:53]
	s_waitcnt vmcnt(4) lgkmcnt(1)
	v_mul_f64 v[54:55], v[2:3], v[36:37]
	v_mul_f64 v[36:37], v[4:5], v[36:37]
	v_add_f64 v[30:31], v[30:31], v[38:39]
	v_add_f64 v[32:33], v[40:41], v[56:57]
	s_waitcnt vmcnt(3) lgkmcnt(0)
	v_mul_f64 v[38:39], v[26:27], v[8:9]
	v_mul_f64 v[8:9], v[28:29], v[8:9]
	v_fma_f64 v[40:41], v[4:5], v[34:35], v[54:55]
	v_fma_f64 v[34:35], v[2:3], v[34:35], -v[36:37]
	v_add_f64 v[30:31], v[30:31], v[22:23]
	v_add_f64 v[32:33], v[32:33], v[24:25]
	ds_load_b128 v[2:5], v1 offset:1872
	ds_load_b128 v[22:25], v1 offset:1888
	v_fma_f64 v[28:29], v[28:29], v[6:7], v[38:39]
	v_fma_f64 v[6:7], v[26:27], v[6:7], -v[8:9]
	s_waitcnt vmcnt(2) lgkmcnt(1)
	v_mul_f64 v[36:37], v[2:3], v[12:13]
	v_mul_f64 v[12:13], v[4:5], v[12:13]
	v_add_f64 v[8:9], v[30:31], v[34:35]
	v_add_f64 v[26:27], v[32:33], v[40:41]
	s_waitcnt vmcnt(1) lgkmcnt(0)
	v_mul_f64 v[30:31], v[22:23], v[16:17]
	v_mul_f64 v[16:17], v[24:25], v[16:17]
	v_fma_f64 v[32:33], v[4:5], v[10:11], v[36:37]
	v_fma_f64 v[10:11], v[2:3], v[10:11], -v[12:13]
	ds_load_b128 v[2:5], v1 offset:1904
	v_add_f64 v[6:7], v[8:9], v[6:7]
	v_add_f64 v[8:9], v[26:27], v[28:29]
	v_fma_f64 v[24:25], v[24:25], v[14:15], v[30:31]
	v_fma_f64 v[14:15], v[22:23], v[14:15], -v[16:17]
	s_waitcnt vmcnt(0) lgkmcnt(0)
	v_mul_f64 v[12:13], v[2:3], v[20:21]
	v_mul_f64 v[20:21], v[4:5], v[20:21]
	v_add_f64 v[6:7], v[6:7], v[10:11]
	v_add_f64 v[8:9], v[8:9], v[32:33]
	s_delay_alu instid0(VALU_DEP_4) | instskip(NEXT) | instid1(VALU_DEP_4)
	v_fma_f64 v[4:5], v[4:5], v[18:19], v[12:13]
	v_fma_f64 v[2:3], v[2:3], v[18:19], -v[20:21]
	s_delay_alu instid0(VALU_DEP_4) | instskip(NEXT) | instid1(VALU_DEP_4)
	v_add_f64 v[6:7], v[6:7], v[14:15]
	v_add_f64 v[8:9], v[8:9], v[24:25]
	s_delay_alu instid0(VALU_DEP_2) | instskip(NEXT) | instid1(VALU_DEP_2)
	v_add_f64 v[2:3], v[6:7], v[2:3]
	v_add_f64 v[4:5], v[8:9], v[4:5]
	s_delay_alu instid0(VALU_DEP_2) | instskip(NEXT) | instid1(VALU_DEP_2)
	v_add_f64 v[2:3], v[42:43], -v[2:3]
	v_add_f64 v[4:5], v[44:45], -v[4:5]
	scratch_store_b128 off, v[2:5], off offset:704
	v_cmpx_lt_u32_e32 43, v166
	s_cbranch_execz .LBB59_287
; %bb.286:
	scratch_load_b128 v[5:8], v178, off
	v_mov_b32_e32 v2, v1
	v_mov_b32_e32 v3, v1
	;; [unrolled: 1-line block ×3, first 2 shown]
	scratch_store_b128 off, v[1:4], off offset:688
	s_waitcnt vmcnt(0)
	ds_store_b128 v226, v[5:8]
.LBB59_287:
	s_or_b32 exec_lo, exec_lo, s2
	s_waitcnt lgkmcnt(0)
	s_waitcnt_vscnt null, 0x0
	s_barrier
	buffer_gl0_inv
	s_clause 0x8
	scratch_load_b128 v[2:5], off, off offset:704
	scratch_load_b128 v[6:9], off, off offset:720
	;; [unrolled: 1-line block ×9, first 2 shown]
	ds_load_b128 v[38:41], v1 offset:1664
	ds_load_b128 v[42:45], v1 offset:1680
	s_clause 0x1
	scratch_load_b128 v[180:183], off, off offset:688
	scratch_load_b128 v[201:204], off, off offset:848
	s_mov_b32 s2, exec_lo
	ds_load_b128 v[230:233], v1 offset:1712
	s_waitcnt vmcnt(10) lgkmcnt(2)
	v_mul_f64 v[52:53], v[40:41], v[4:5]
	v_mul_f64 v[4:5], v[38:39], v[4:5]
	s_waitcnt vmcnt(9) lgkmcnt(1)
	v_mul_f64 v[54:55], v[42:43], v[8:9]
	v_mul_f64 v[8:9], v[44:45], v[8:9]
	s_delay_alu instid0(VALU_DEP_4) | instskip(NEXT) | instid1(VALU_DEP_4)
	v_fma_f64 v[52:53], v[38:39], v[2:3], -v[52:53]
	v_fma_f64 v[56:57], v[40:41], v[2:3], v[4:5]
	ds_load_b128 v[2:5], v1 offset:1696
	scratch_load_b128 v[38:41], off, off offset:864
	v_fma_f64 v[44:45], v[44:45], v[6:7], v[54:55]
	v_fma_f64 v[42:43], v[42:43], v[6:7], -v[8:9]
	scratch_load_b128 v[6:9], off, off offset:880
	s_waitcnt vmcnt(10) lgkmcnt(0)
	v_mul_f64 v[58:59], v[2:3], v[12:13]
	v_mul_f64 v[12:13], v[4:5], v[12:13]
	v_add_f64 v[52:53], v[52:53], 0
	v_add_f64 v[54:55], v[56:57], 0
	s_waitcnt vmcnt(9)
	v_mul_f64 v[56:57], v[230:231], v[16:17]
	v_mul_f64 v[16:17], v[232:233], v[16:17]
	v_fma_f64 v[58:59], v[4:5], v[10:11], v[58:59]
	v_fma_f64 v[60:61], v[2:3], v[10:11], -v[12:13]
	ds_load_b128 v[2:5], v1 offset:1728
	scratch_load_b128 v[10:13], off, off offset:896
	v_add_f64 v[52:53], v[52:53], v[42:43]
	v_add_f64 v[54:55], v[54:55], v[44:45]
	ds_load_b128 v[42:45], v1 offset:1744
	v_fma_f64 v[56:57], v[232:233], v[14:15], v[56:57]
	v_fma_f64 v[64:65], v[230:231], v[14:15], -v[16:17]
	scratch_load_b128 v[14:17], off, off offset:912
	s_waitcnt vmcnt(10) lgkmcnt(1)
	v_mul_f64 v[62:63], v[2:3], v[20:21]
	v_mul_f64 v[20:21], v[4:5], v[20:21]
	ds_load_b128 v[230:233], v1 offset:1776
	v_add_f64 v[52:53], v[52:53], v[60:61]
	v_add_f64 v[54:55], v[54:55], v[58:59]
	s_waitcnt vmcnt(9) lgkmcnt(1)
	v_mul_f64 v[58:59], v[42:43], v[24:25]
	v_mul_f64 v[24:25], v[44:45], v[24:25]
	v_fma_f64 v[60:61], v[4:5], v[18:19], v[62:63]
	v_fma_f64 v[62:63], v[2:3], v[18:19], -v[20:21]
	ds_load_b128 v[2:5], v1 offset:1760
	scratch_load_b128 v[18:21], off, off offset:928
	v_add_f64 v[52:53], v[52:53], v[64:65]
	v_add_f64 v[54:55], v[54:55], v[56:57]
	s_waitcnt vmcnt(9) lgkmcnt(0)
	v_mul_f64 v[56:57], v[2:3], v[28:29]
	v_mul_f64 v[28:29], v[4:5], v[28:29]
	v_fma_f64 v[44:45], v[44:45], v[22:23], v[58:59]
	v_fma_f64 v[42:43], v[42:43], v[22:23], -v[24:25]
	scratch_load_b128 v[22:25], off, off offset:944
	s_waitcnt vmcnt(9)
	v_mul_f64 v[58:59], v[230:231], v[32:33]
	v_mul_f64 v[32:33], v[232:233], v[32:33]
	v_add_f64 v[52:53], v[52:53], v[62:63]
	v_add_f64 v[54:55], v[54:55], v[60:61]
	v_fma_f64 v[56:57], v[4:5], v[26:27], v[56:57]
	v_fma_f64 v[60:61], v[2:3], v[26:27], -v[28:29]
	ds_load_b128 v[2:5], v1 offset:1792
	ds_load_b128 v[26:29], v1 offset:1808
	v_add_f64 v[42:43], v[52:53], v[42:43]
	v_add_f64 v[44:45], v[54:55], v[44:45]
	s_waitcnt vmcnt(8) lgkmcnt(1)
	v_mul_f64 v[52:53], v[2:3], v[36:37]
	v_mul_f64 v[36:37], v[4:5], v[36:37]
	v_fma_f64 v[54:55], v[232:233], v[30:31], v[58:59]
	v_fma_f64 v[30:31], v[230:231], v[30:31], -v[32:33]
	v_add_f64 v[32:33], v[42:43], v[60:61]
	v_add_f64 v[42:43], v[44:45], v[56:57]
	s_waitcnt vmcnt(6) lgkmcnt(0)
	v_mul_f64 v[44:45], v[26:27], v[203:204]
	v_mul_f64 v[56:57], v[28:29], v[203:204]
	v_fma_f64 v[52:53], v[4:5], v[34:35], v[52:53]
	v_fma_f64 v[34:35], v[2:3], v[34:35], -v[36:37]
	v_add_f64 v[36:37], v[32:33], v[30:31]
	v_add_f64 v[42:43], v[42:43], v[54:55]
	ds_load_b128 v[2:5], v1 offset:1824
	ds_load_b128 v[30:33], v1 offset:1840
	v_fma_f64 v[28:29], v[28:29], v[201:202], v[44:45]
	v_fma_f64 v[26:27], v[26:27], v[201:202], -v[56:57]
	s_waitcnt vmcnt(5) lgkmcnt(1)
	v_mul_f64 v[54:55], v[2:3], v[40:41]
	v_mul_f64 v[40:41], v[4:5], v[40:41]
	v_add_f64 v[34:35], v[36:37], v[34:35]
	v_add_f64 v[36:37], v[42:43], v[52:53]
	s_waitcnt vmcnt(4) lgkmcnt(0)
	v_mul_f64 v[42:43], v[30:31], v[8:9]
	v_mul_f64 v[8:9], v[32:33], v[8:9]
	v_fma_f64 v[44:45], v[4:5], v[38:39], v[54:55]
	v_fma_f64 v[38:39], v[2:3], v[38:39], -v[40:41]
	v_add_f64 v[34:35], v[34:35], v[26:27]
	v_add_f64 v[36:37], v[36:37], v[28:29]
	ds_load_b128 v[2:5], v1 offset:1856
	ds_load_b128 v[26:29], v1 offset:1872
	v_fma_f64 v[32:33], v[32:33], v[6:7], v[42:43]
	v_fma_f64 v[6:7], v[30:31], v[6:7], -v[8:9]
	s_waitcnt vmcnt(3) lgkmcnt(1)
	v_mul_f64 v[40:41], v[2:3], v[12:13]
	v_mul_f64 v[12:13], v[4:5], v[12:13]
	;; [unrolled: 16-line block ×3, first 2 shown]
	s_waitcnt vmcnt(0) lgkmcnt(0)
	v_mul_f64 v[16:17], v[6:7], v[24:25]
	v_mul_f64 v[24:25], v[8:9], v[24:25]
	v_add_f64 v[10:11], v[12:13], v[10:11]
	v_add_f64 v[12:13], v[30:31], v[36:37]
	v_fma_f64 v[4:5], v[4:5], v[18:19], v[32:33]
	v_fma_f64 v[1:2], v[2:3], v[18:19], -v[20:21]
	v_fma_f64 v[8:9], v[8:9], v[22:23], v[16:17]
	v_fma_f64 v[6:7], v[6:7], v[22:23], -v[24:25]
	v_add_f64 v[10:11], v[10:11], v[14:15]
	v_add_f64 v[12:13], v[12:13], v[28:29]
	s_delay_alu instid0(VALU_DEP_2) | instskip(NEXT) | instid1(VALU_DEP_2)
	v_add_f64 v[1:2], v[10:11], v[1:2]
	v_add_f64 v[3:4], v[12:13], v[4:5]
	s_delay_alu instid0(VALU_DEP_2) | instskip(NEXT) | instid1(VALU_DEP_2)
	v_add_f64 v[1:2], v[1:2], v[6:7]
	v_add_f64 v[3:4], v[3:4], v[8:9]
	s_delay_alu instid0(VALU_DEP_2) | instskip(NEXT) | instid1(VALU_DEP_2)
	v_add_f64 v[1:2], v[180:181], -v[1:2]
	v_add_f64 v[3:4], v[182:183], -v[3:4]
	scratch_store_b128 off, v[1:4], off offset:688
	v_cmpx_lt_u32_e32 42, v166
	s_cbranch_execz .LBB59_289
; %bb.288:
	scratch_load_b128 v[1:4], v190, off
	v_mov_b32_e32 v5, 0
	s_delay_alu instid0(VALU_DEP_1)
	v_mov_b32_e32 v6, v5
	v_mov_b32_e32 v7, v5
	;; [unrolled: 1-line block ×3, first 2 shown]
	scratch_store_b128 off, v[5:8], off offset:672
	s_waitcnt vmcnt(0)
	ds_store_b128 v226, v[1:4]
.LBB59_289:
	s_or_b32 exec_lo, exec_lo, s2
	s_waitcnt lgkmcnt(0)
	s_waitcnt_vscnt null, 0x0
	s_barrier
	buffer_gl0_inv
	s_clause 0x7
	scratch_load_b128 v[2:5], off, off offset:688
	scratch_load_b128 v[6:9], off, off offset:704
	;; [unrolled: 1-line block ×8, first 2 shown]
	v_mov_b32_e32 v1, 0
	s_mov_b32 s2, exec_lo
	ds_load_b128 v[34:37], v1 offset:1648
	s_clause 0x1
	scratch_load_b128 v[38:41], off, off offset:816
	scratch_load_b128 v[42:45], off, off offset:672
	ds_load_b128 v[180:183], v1 offset:1664
	scratch_load_b128 v[201:204], off, off offset:832
	ds_load_b128 v[230:233], v1 offset:1696
	s_waitcnt vmcnt(10) lgkmcnt(2)
	v_mul_f64 v[52:53], v[36:37], v[4:5]
	v_mul_f64 v[4:5], v[34:35], v[4:5]
	s_delay_alu instid0(VALU_DEP_2) | instskip(NEXT) | instid1(VALU_DEP_2)
	v_fma_f64 v[52:53], v[34:35], v[2:3], -v[52:53]
	v_fma_f64 v[56:57], v[36:37], v[2:3], v[4:5]
	ds_load_b128 v[2:5], v1 offset:1680
	s_waitcnt vmcnt(9) lgkmcnt(2)
	v_mul_f64 v[54:55], v[180:181], v[8:9]
	v_mul_f64 v[8:9], v[182:183], v[8:9]
	scratch_load_b128 v[34:37], off, off offset:848
	s_waitcnt vmcnt(9) lgkmcnt(0)
	v_mul_f64 v[58:59], v[2:3], v[12:13]
	v_mul_f64 v[12:13], v[4:5], v[12:13]
	v_add_f64 v[52:53], v[52:53], 0
	v_add_f64 v[56:57], v[56:57], 0
	v_fma_f64 v[54:55], v[182:183], v[6:7], v[54:55]
	v_fma_f64 v[60:61], v[180:181], v[6:7], -v[8:9]
	scratch_load_b128 v[6:9], off, off offset:864
	ds_load_b128 v[180:183], v1 offset:1728
	v_fma_f64 v[58:59], v[4:5], v[10:11], v[58:59]
	v_fma_f64 v[64:65], v[2:3], v[10:11], -v[12:13]
	ds_load_b128 v[2:5], v1 offset:1712
	s_waitcnt vmcnt(9)
	v_mul_f64 v[62:63], v[230:231], v[16:17]
	v_mul_f64 v[16:17], v[232:233], v[16:17]
	scratch_load_b128 v[10:13], off, off offset:880
	v_add_f64 v[54:55], v[56:57], v[54:55]
	v_add_f64 v[52:53], v[52:53], v[60:61]
	s_waitcnt vmcnt(9) lgkmcnt(0)
	v_mul_f64 v[56:57], v[2:3], v[20:21]
	v_mul_f64 v[20:21], v[4:5], v[20:21]
	v_fma_f64 v[60:61], v[232:233], v[14:15], v[62:63]
	v_fma_f64 v[62:63], v[230:231], v[14:15], -v[16:17]
	scratch_load_b128 v[14:17], off, off offset:896
	ds_load_b128 v[230:233], v1 offset:1760
	v_add_f64 v[54:55], v[54:55], v[58:59]
	v_add_f64 v[52:53], v[52:53], v[64:65]
	v_fma_f64 v[56:57], v[4:5], v[18:19], v[56:57]
	v_fma_f64 v[64:65], v[2:3], v[18:19], -v[20:21]
	ds_load_b128 v[2:5], v1 offset:1744
	s_waitcnt vmcnt(9)
	v_mul_f64 v[58:59], v[180:181], v[24:25]
	v_mul_f64 v[24:25], v[182:183], v[24:25]
	scratch_load_b128 v[18:21], off, off offset:912
	v_add_f64 v[54:55], v[54:55], v[60:61]
	v_add_f64 v[52:53], v[52:53], v[62:63]
	s_waitcnt vmcnt(9) lgkmcnt(0)
	v_mul_f64 v[60:61], v[2:3], v[28:29]
	v_mul_f64 v[28:29], v[4:5], v[28:29]
	v_fma_f64 v[58:59], v[182:183], v[22:23], v[58:59]
	v_fma_f64 v[62:63], v[180:181], v[22:23], -v[24:25]
	scratch_load_b128 v[22:25], off, off offset:928
	ds_load_b128 v[180:183], v1 offset:1792
	v_add_f64 v[54:55], v[54:55], v[56:57]
	v_add_f64 v[52:53], v[52:53], v[64:65]
	v_fma_f64 v[60:61], v[4:5], v[26:27], v[60:61]
	v_fma_f64 v[64:65], v[2:3], v[26:27], -v[28:29]
	scratch_load_b128 v[26:29], off, off offset:944
	ds_load_b128 v[2:5], v1 offset:1776
	s_waitcnt vmcnt(10)
	v_mul_f64 v[56:57], v[230:231], v[32:33]
	v_mul_f64 v[32:33], v[232:233], v[32:33]
	v_add_f64 v[54:55], v[54:55], v[58:59]
	v_add_f64 v[52:53], v[52:53], v[62:63]
	s_waitcnt vmcnt(9) lgkmcnt(0)
	v_mul_f64 v[58:59], v[2:3], v[40:41]
	v_mul_f64 v[40:41], v[4:5], v[40:41]
	v_fma_f64 v[56:57], v[232:233], v[30:31], v[56:57]
	v_fma_f64 v[30:31], v[230:231], v[30:31], -v[32:33]
	v_add_f64 v[32:33], v[52:53], v[64:65]
	v_add_f64 v[52:53], v[54:55], v[60:61]
	s_waitcnt vmcnt(7)
	v_mul_f64 v[54:55], v[180:181], v[203:204]
	v_mul_f64 v[60:61], v[182:183], v[203:204]
	v_fma_f64 v[58:59], v[4:5], v[38:39], v[58:59]
	v_fma_f64 v[38:39], v[2:3], v[38:39], -v[40:41]
	v_add_f64 v[40:41], v[32:33], v[30:31]
	v_add_f64 v[52:53], v[52:53], v[56:57]
	ds_load_b128 v[2:5], v1 offset:1808
	ds_load_b128 v[30:33], v1 offset:1824
	v_fma_f64 v[54:55], v[182:183], v[201:202], v[54:55]
	v_fma_f64 v[60:61], v[180:181], v[201:202], -v[60:61]
	s_waitcnt vmcnt(6) lgkmcnt(1)
	v_mul_f64 v[56:57], v[2:3], v[36:37]
	v_mul_f64 v[36:37], v[4:5], v[36:37]
	v_add_f64 v[38:39], v[40:41], v[38:39]
	v_add_f64 v[40:41], v[52:53], v[58:59]
	s_waitcnt vmcnt(5) lgkmcnt(0)
	v_mul_f64 v[52:53], v[30:31], v[8:9]
	v_mul_f64 v[8:9], v[32:33], v[8:9]
	v_fma_f64 v[56:57], v[4:5], v[34:35], v[56:57]
	v_fma_f64 v[58:59], v[2:3], v[34:35], -v[36:37]
	ds_load_b128 v[2:5], v1 offset:1840
	ds_load_b128 v[34:37], v1 offset:1856
	v_add_f64 v[38:39], v[38:39], v[60:61]
	v_add_f64 v[40:41], v[40:41], v[54:55]
	s_waitcnt vmcnt(4) lgkmcnt(1)
	v_mul_f64 v[54:55], v[2:3], v[12:13]
	v_mul_f64 v[12:13], v[4:5], v[12:13]
	v_fma_f64 v[32:33], v[32:33], v[6:7], v[52:53]
	v_fma_f64 v[6:7], v[30:31], v[6:7], -v[8:9]
	v_add_f64 v[8:9], v[38:39], v[58:59]
	v_add_f64 v[30:31], v[40:41], v[56:57]
	s_waitcnt vmcnt(3) lgkmcnt(0)
	v_mul_f64 v[38:39], v[34:35], v[16:17]
	v_mul_f64 v[16:17], v[36:37], v[16:17]
	v_fma_f64 v[40:41], v[4:5], v[10:11], v[54:55]
	v_fma_f64 v[10:11], v[2:3], v[10:11], -v[12:13]
	v_add_f64 v[12:13], v[8:9], v[6:7]
	v_add_f64 v[30:31], v[30:31], v[32:33]
	ds_load_b128 v[2:5], v1 offset:1872
	ds_load_b128 v[6:9], v1 offset:1888
	v_fma_f64 v[36:37], v[36:37], v[14:15], v[38:39]
	v_fma_f64 v[14:15], v[34:35], v[14:15], -v[16:17]
	s_waitcnt vmcnt(2) lgkmcnt(1)
	v_mul_f64 v[32:33], v[2:3], v[20:21]
	v_mul_f64 v[20:21], v[4:5], v[20:21]
	s_waitcnt vmcnt(1) lgkmcnt(0)
	v_mul_f64 v[16:17], v[6:7], v[24:25]
	v_mul_f64 v[24:25], v[8:9], v[24:25]
	v_add_f64 v[10:11], v[12:13], v[10:11]
	v_add_f64 v[12:13], v[30:31], v[40:41]
	v_fma_f64 v[30:31], v[4:5], v[18:19], v[32:33]
	v_fma_f64 v[18:19], v[2:3], v[18:19], -v[20:21]
	ds_load_b128 v[2:5], v1 offset:1904
	v_fma_f64 v[8:9], v[8:9], v[22:23], v[16:17]
	v_fma_f64 v[6:7], v[6:7], v[22:23], -v[24:25]
	v_add_f64 v[10:11], v[10:11], v[14:15]
	v_add_f64 v[12:13], v[12:13], v[36:37]
	s_waitcnt vmcnt(0) lgkmcnt(0)
	v_mul_f64 v[14:15], v[2:3], v[28:29]
	v_mul_f64 v[20:21], v[4:5], v[28:29]
	s_delay_alu instid0(VALU_DEP_4) | instskip(NEXT) | instid1(VALU_DEP_4)
	v_add_f64 v[10:11], v[10:11], v[18:19]
	v_add_f64 v[12:13], v[12:13], v[30:31]
	s_delay_alu instid0(VALU_DEP_4) | instskip(NEXT) | instid1(VALU_DEP_4)
	v_fma_f64 v[4:5], v[4:5], v[26:27], v[14:15]
	v_fma_f64 v[2:3], v[2:3], v[26:27], -v[20:21]
	s_delay_alu instid0(VALU_DEP_4) | instskip(NEXT) | instid1(VALU_DEP_4)
	v_add_f64 v[6:7], v[10:11], v[6:7]
	v_add_f64 v[8:9], v[12:13], v[8:9]
	s_delay_alu instid0(VALU_DEP_2) | instskip(NEXT) | instid1(VALU_DEP_2)
	v_add_f64 v[2:3], v[6:7], v[2:3]
	v_add_f64 v[4:5], v[8:9], v[4:5]
	s_delay_alu instid0(VALU_DEP_2) | instskip(NEXT) | instid1(VALU_DEP_2)
	v_add_f64 v[2:3], v[42:43], -v[2:3]
	v_add_f64 v[4:5], v[44:45], -v[4:5]
	scratch_store_b128 off, v[2:5], off offset:672
	v_cmpx_lt_u32_e32 41, v166
	s_cbranch_execz .LBB59_291
; %bb.290:
	scratch_load_b128 v[5:8], v191, off
	v_mov_b32_e32 v2, v1
	v_mov_b32_e32 v3, v1
	;; [unrolled: 1-line block ×3, first 2 shown]
	scratch_store_b128 off, v[1:4], off offset:656
	s_waitcnt vmcnt(0)
	ds_store_b128 v226, v[5:8]
.LBB59_291:
	s_or_b32 exec_lo, exec_lo, s2
	s_waitcnt lgkmcnt(0)
	s_waitcnt_vscnt null, 0x0
	s_barrier
	buffer_gl0_inv
	s_clause 0x8
	scratch_load_b128 v[2:5], off, off offset:672
	scratch_load_b128 v[6:9], off, off offset:688
	;; [unrolled: 1-line block ×9, first 2 shown]
	ds_load_b128 v[38:41], v1 offset:1632
	ds_load_b128 v[42:45], v1 offset:1648
	s_clause 0x1
	scratch_load_b128 v[180:183], off, off offset:656
	scratch_load_b128 v[201:204], off, off offset:816
	s_mov_b32 s2, exec_lo
	ds_load_b128 v[230:233], v1 offset:1680
	s_waitcnt vmcnt(10) lgkmcnt(2)
	v_mul_f64 v[52:53], v[40:41], v[4:5]
	v_mul_f64 v[4:5], v[38:39], v[4:5]
	s_waitcnt vmcnt(9) lgkmcnt(1)
	v_mul_f64 v[54:55], v[42:43], v[8:9]
	v_mul_f64 v[8:9], v[44:45], v[8:9]
	s_delay_alu instid0(VALU_DEP_4) | instskip(NEXT) | instid1(VALU_DEP_4)
	v_fma_f64 v[52:53], v[38:39], v[2:3], -v[52:53]
	v_fma_f64 v[56:57], v[40:41], v[2:3], v[4:5]
	ds_load_b128 v[2:5], v1 offset:1664
	scratch_load_b128 v[38:41], off, off offset:832
	v_fma_f64 v[44:45], v[44:45], v[6:7], v[54:55]
	v_fma_f64 v[42:43], v[42:43], v[6:7], -v[8:9]
	scratch_load_b128 v[6:9], off, off offset:848
	s_waitcnt vmcnt(10) lgkmcnt(0)
	v_mul_f64 v[58:59], v[2:3], v[12:13]
	v_mul_f64 v[12:13], v[4:5], v[12:13]
	v_add_f64 v[52:53], v[52:53], 0
	v_add_f64 v[54:55], v[56:57], 0
	s_waitcnt vmcnt(9)
	v_mul_f64 v[56:57], v[230:231], v[16:17]
	v_mul_f64 v[16:17], v[232:233], v[16:17]
	v_fma_f64 v[58:59], v[4:5], v[10:11], v[58:59]
	v_fma_f64 v[60:61], v[2:3], v[10:11], -v[12:13]
	ds_load_b128 v[2:5], v1 offset:1696
	scratch_load_b128 v[10:13], off, off offset:864
	v_add_f64 v[52:53], v[52:53], v[42:43]
	v_add_f64 v[54:55], v[54:55], v[44:45]
	ds_load_b128 v[42:45], v1 offset:1712
	v_fma_f64 v[56:57], v[232:233], v[14:15], v[56:57]
	v_fma_f64 v[64:65], v[230:231], v[14:15], -v[16:17]
	scratch_load_b128 v[14:17], off, off offset:880
	s_waitcnt vmcnt(10) lgkmcnt(1)
	v_mul_f64 v[62:63], v[2:3], v[20:21]
	v_mul_f64 v[20:21], v[4:5], v[20:21]
	ds_load_b128 v[230:233], v1 offset:1744
	v_add_f64 v[52:53], v[52:53], v[60:61]
	v_add_f64 v[54:55], v[54:55], v[58:59]
	s_waitcnt vmcnt(9) lgkmcnt(1)
	v_mul_f64 v[58:59], v[42:43], v[24:25]
	v_mul_f64 v[24:25], v[44:45], v[24:25]
	v_fma_f64 v[60:61], v[4:5], v[18:19], v[62:63]
	v_fma_f64 v[62:63], v[2:3], v[18:19], -v[20:21]
	ds_load_b128 v[2:5], v1 offset:1728
	scratch_load_b128 v[18:21], off, off offset:896
	v_add_f64 v[52:53], v[52:53], v[64:65]
	v_add_f64 v[54:55], v[54:55], v[56:57]
	s_waitcnt vmcnt(9) lgkmcnt(0)
	v_mul_f64 v[56:57], v[2:3], v[28:29]
	v_mul_f64 v[28:29], v[4:5], v[28:29]
	v_fma_f64 v[44:45], v[44:45], v[22:23], v[58:59]
	v_fma_f64 v[42:43], v[42:43], v[22:23], -v[24:25]
	scratch_load_b128 v[22:25], off, off offset:912
	s_waitcnt vmcnt(9)
	v_mul_f64 v[58:59], v[230:231], v[32:33]
	v_mul_f64 v[32:33], v[232:233], v[32:33]
	v_add_f64 v[52:53], v[52:53], v[62:63]
	v_add_f64 v[54:55], v[54:55], v[60:61]
	v_fma_f64 v[56:57], v[4:5], v[26:27], v[56:57]
	v_fma_f64 v[60:61], v[2:3], v[26:27], -v[28:29]
	ds_load_b128 v[2:5], v1 offset:1760
	scratch_load_b128 v[26:29], off, off offset:928
	v_fma_f64 v[58:59], v[232:233], v[30:31], v[58:59]
	v_fma_f64 v[64:65], v[230:231], v[30:31], -v[32:33]
	scratch_load_b128 v[30:33], off, off offset:944
	v_add_f64 v[52:53], v[52:53], v[42:43]
	v_add_f64 v[54:55], v[54:55], v[44:45]
	ds_load_b128 v[42:45], v1 offset:1776
	s_waitcnt vmcnt(10) lgkmcnt(1)
	v_mul_f64 v[62:63], v[2:3], v[36:37]
	v_mul_f64 v[36:37], v[4:5], v[36:37]
	v_add_f64 v[52:53], v[52:53], v[60:61]
	v_add_f64 v[54:55], v[54:55], v[56:57]
	s_waitcnt vmcnt(8) lgkmcnt(0)
	v_mul_f64 v[56:57], v[42:43], v[203:204]
	v_mul_f64 v[60:61], v[44:45], v[203:204]
	v_fma_f64 v[62:63], v[4:5], v[34:35], v[62:63]
	v_fma_f64 v[66:67], v[2:3], v[34:35], -v[36:37]
	ds_load_b128 v[2:5], v1 offset:1792
	ds_load_b128 v[34:37], v1 offset:1808
	v_add_f64 v[52:53], v[52:53], v[64:65]
	v_add_f64 v[54:55], v[54:55], v[58:59]
	v_fma_f64 v[44:45], v[44:45], v[201:202], v[56:57]
	v_fma_f64 v[42:43], v[42:43], v[201:202], -v[60:61]
	s_waitcnt vmcnt(7) lgkmcnt(1)
	v_mul_f64 v[58:59], v[2:3], v[40:41]
	v_mul_f64 v[40:41], v[4:5], v[40:41]
	s_waitcnt vmcnt(6) lgkmcnt(0)
	v_mul_f64 v[56:57], v[34:35], v[8:9]
	v_mul_f64 v[8:9], v[36:37], v[8:9]
	v_add_f64 v[52:53], v[52:53], v[66:67]
	v_add_f64 v[54:55], v[54:55], v[62:63]
	v_fma_f64 v[58:59], v[4:5], v[38:39], v[58:59]
	v_fma_f64 v[60:61], v[2:3], v[38:39], -v[40:41]
	ds_load_b128 v[2:5], v1 offset:1824
	ds_load_b128 v[38:41], v1 offset:1840
	v_fma_f64 v[36:37], v[36:37], v[6:7], v[56:57]
	v_fma_f64 v[6:7], v[34:35], v[6:7], -v[8:9]
	v_add_f64 v[42:43], v[52:53], v[42:43]
	v_add_f64 v[44:45], v[54:55], v[44:45]
	s_waitcnt vmcnt(5) lgkmcnt(1)
	v_mul_f64 v[52:53], v[2:3], v[12:13]
	v_mul_f64 v[12:13], v[4:5], v[12:13]
	s_delay_alu instid0(VALU_DEP_4) | instskip(NEXT) | instid1(VALU_DEP_4)
	v_add_f64 v[8:9], v[42:43], v[60:61]
	v_add_f64 v[34:35], v[44:45], v[58:59]
	s_waitcnt vmcnt(4) lgkmcnt(0)
	v_mul_f64 v[42:43], v[38:39], v[16:17]
	v_mul_f64 v[16:17], v[40:41], v[16:17]
	v_fma_f64 v[44:45], v[4:5], v[10:11], v[52:53]
	v_fma_f64 v[10:11], v[2:3], v[10:11], -v[12:13]
	v_add_f64 v[12:13], v[8:9], v[6:7]
	v_add_f64 v[34:35], v[34:35], v[36:37]
	ds_load_b128 v[2:5], v1 offset:1856
	ds_load_b128 v[6:9], v1 offset:1872
	v_fma_f64 v[40:41], v[40:41], v[14:15], v[42:43]
	v_fma_f64 v[14:15], v[38:39], v[14:15], -v[16:17]
	s_waitcnt vmcnt(3) lgkmcnt(1)
	v_mul_f64 v[36:37], v[2:3], v[20:21]
	v_mul_f64 v[20:21], v[4:5], v[20:21]
	s_waitcnt vmcnt(2) lgkmcnt(0)
	v_mul_f64 v[16:17], v[6:7], v[24:25]
	v_mul_f64 v[24:25], v[8:9], v[24:25]
	v_add_f64 v[10:11], v[12:13], v[10:11]
	v_add_f64 v[12:13], v[34:35], v[44:45]
	v_fma_f64 v[34:35], v[4:5], v[18:19], v[36:37]
	v_fma_f64 v[18:19], v[2:3], v[18:19], -v[20:21]
	v_fma_f64 v[8:9], v[8:9], v[22:23], v[16:17]
	v_fma_f64 v[6:7], v[6:7], v[22:23], -v[24:25]
	v_add_f64 v[14:15], v[10:11], v[14:15]
	v_add_f64 v[20:21], v[12:13], v[40:41]
	ds_load_b128 v[2:5], v1 offset:1888
	ds_load_b128 v[10:13], v1 offset:1904
	s_waitcnt vmcnt(1) lgkmcnt(1)
	v_mul_f64 v[36:37], v[2:3], v[28:29]
	v_mul_f64 v[28:29], v[4:5], v[28:29]
	v_add_f64 v[14:15], v[14:15], v[18:19]
	v_add_f64 v[16:17], v[20:21], v[34:35]
	s_waitcnt vmcnt(0) lgkmcnt(0)
	v_mul_f64 v[18:19], v[10:11], v[32:33]
	v_mul_f64 v[20:21], v[12:13], v[32:33]
	v_fma_f64 v[4:5], v[4:5], v[26:27], v[36:37]
	v_fma_f64 v[1:2], v[2:3], v[26:27], -v[28:29]
	v_add_f64 v[6:7], v[14:15], v[6:7]
	v_add_f64 v[8:9], v[16:17], v[8:9]
	v_fma_f64 v[12:13], v[12:13], v[30:31], v[18:19]
	v_fma_f64 v[10:11], v[10:11], v[30:31], -v[20:21]
	s_delay_alu instid0(VALU_DEP_4) | instskip(NEXT) | instid1(VALU_DEP_4)
	v_add_f64 v[1:2], v[6:7], v[1:2]
	v_add_f64 v[3:4], v[8:9], v[4:5]
	s_delay_alu instid0(VALU_DEP_2) | instskip(NEXT) | instid1(VALU_DEP_2)
	v_add_f64 v[1:2], v[1:2], v[10:11]
	v_add_f64 v[3:4], v[3:4], v[12:13]
	s_delay_alu instid0(VALU_DEP_2) | instskip(NEXT) | instid1(VALU_DEP_2)
	v_add_f64 v[1:2], v[180:181], -v[1:2]
	v_add_f64 v[3:4], v[182:183], -v[3:4]
	scratch_store_b128 off, v[1:4], off offset:656
	v_cmpx_lt_u32_e32 40, v166
	s_cbranch_execz .LBB59_293
; %bb.292:
	scratch_load_b128 v[1:4], v193, off
	v_mov_b32_e32 v5, 0
	s_delay_alu instid0(VALU_DEP_1)
	v_mov_b32_e32 v6, v5
	v_mov_b32_e32 v7, v5
	;; [unrolled: 1-line block ×3, first 2 shown]
	scratch_store_b128 off, v[5:8], off offset:640
	s_waitcnt vmcnt(0)
	ds_store_b128 v226, v[1:4]
.LBB59_293:
	s_or_b32 exec_lo, exec_lo, s2
	s_waitcnt lgkmcnt(0)
	s_waitcnt_vscnt null, 0x0
	s_barrier
	buffer_gl0_inv
	s_clause 0x7
	scratch_load_b128 v[2:5], off, off offset:656
	scratch_load_b128 v[6:9], off, off offset:672
	;; [unrolled: 1-line block ×8, first 2 shown]
	v_mov_b32_e32 v1, 0
	s_mov_b32 s2, exec_lo
	ds_load_b128 v[34:37], v1 offset:1616
	s_clause 0x1
	scratch_load_b128 v[38:41], off, off offset:784
	scratch_load_b128 v[42:45], off, off offset:640
	ds_load_b128 v[180:183], v1 offset:1632
	scratch_load_b128 v[201:204], off, off offset:800
	ds_load_b128 v[230:233], v1 offset:1664
	s_waitcnt vmcnt(10) lgkmcnt(2)
	v_mul_f64 v[52:53], v[36:37], v[4:5]
	v_mul_f64 v[4:5], v[34:35], v[4:5]
	s_delay_alu instid0(VALU_DEP_2) | instskip(NEXT) | instid1(VALU_DEP_2)
	v_fma_f64 v[52:53], v[34:35], v[2:3], -v[52:53]
	v_fma_f64 v[56:57], v[36:37], v[2:3], v[4:5]
	ds_load_b128 v[2:5], v1 offset:1648
	s_waitcnt vmcnt(9) lgkmcnt(2)
	v_mul_f64 v[54:55], v[180:181], v[8:9]
	v_mul_f64 v[8:9], v[182:183], v[8:9]
	scratch_load_b128 v[34:37], off, off offset:816
	s_waitcnt vmcnt(9) lgkmcnt(0)
	v_mul_f64 v[58:59], v[2:3], v[12:13]
	v_mul_f64 v[12:13], v[4:5], v[12:13]
	v_add_f64 v[52:53], v[52:53], 0
	v_add_f64 v[56:57], v[56:57], 0
	v_fma_f64 v[54:55], v[182:183], v[6:7], v[54:55]
	v_fma_f64 v[60:61], v[180:181], v[6:7], -v[8:9]
	scratch_load_b128 v[6:9], off, off offset:832
	ds_load_b128 v[180:183], v1 offset:1696
	v_fma_f64 v[58:59], v[4:5], v[10:11], v[58:59]
	v_fma_f64 v[64:65], v[2:3], v[10:11], -v[12:13]
	ds_load_b128 v[2:5], v1 offset:1680
	s_waitcnt vmcnt(9)
	v_mul_f64 v[62:63], v[230:231], v[16:17]
	v_mul_f64 v[16:17], v[232:233], v[16:17]
	scratch_load_b128 v[10:13], off, off offset:848
	v_add_f64 v[54:55], v[56:57], v[54:55]
	v_add_f64 v[52:53], v[52:53], v[60:61]
	s_waitcnt vmcnt(9) lgkmcnt(0)
	v_mul_f64 v[56:57], v[2:3], v[20:21]
	v_mul_f64 v[20:21], v[4:5], v[20:21]
	v_fma_f64 v[60:61], v[232:233], v[14:15], v[62:63]
	v_fma_f64 v[62:63], v[230:231], v[14:15], -v[16:17]
	scratch_load_b128 v[14:17], off, off offset:864
	ds_load_b128 v[230:233], v1 offset:1728
	v_add_f64 v[54:55], v[54:55], v[58:59]
	v_add_f64 v[52:53], v[52:53], v[64:65]
	v_fma_f64 v[56:57], v[4:5], v[18:19], v[56:57]
	v_fma_f64 v[64:65], v[2:3], v[18:19], -v[20:21]
	ds_load_b128 v[2:5], v1 offset:1712
	s_waitcnt vmcnt(9)
	v_mul_f64 v[58:59], v[180:181], v[24:25]
	v_mul_f64 v[24:25], v[182:183], v[24:25]
	scratch_load_b128 v[18:21], off, off offset:880
	v_add_f64 v[54:55], v[54:55], v[60:61]
	v_add_f64 v[52:53], v[52:53], v[62:63]
	s_waitcnt vmcnt(9) lgkmcnt(0)
	v_mul_f64 v[60:61], v[2:3], v[28:29]
	v_mul_f64 v[28:29], v[4:5], v[28:29]
	v_fma_f64 v[58:59], v[182:183], v[22:23], v[58:59]
	v_fma_f64 v[62:63], v[180:181], v[22:23], -v[24:25]
	scratch_load_b128 v[22:25], off, off offset:896
	ds_load_b128 v[180:183], v1 offset:1760
	v_add_f64 v[54:55], v[54:55], v[56:57]
	v_add_f64 v[52:53], v[52:53], v[64:65]
	;; [unrolled: 18-line block ×3, first 2 shown]
	v_fma_f64 v[58:59], v[4:5], v[38:39], v[58:59]
	v_fma_f64 v[66:67], v[2:3], v[38:39], -v[40:41]
	scratch_load_b128 v[38:41], off, off offset:944
	ds_load_b128 v[2:5], v1 offset:1776
	s_waitcnt vmcnt(9)
	v_mul_f64 v[60:61], v[180:181], v[203:204]
	v_mul_f64 v[64:65], v[182:183], v[203:204]
	v_add_f64 v[54:55], v[54:55], v[56:57]
	v_add_f64 v[52:53], v[52:53], v[62:63]
	s_delay_alu instid0(VALU_DEP_4) | instskip(NEXT) | instid1(VALU_DEP_4)
	v_fma_f64 v[60:61], v[182:183], v[201:202], v[60:61]
	v_fma_f64 v[62:63], v[180:181], v[201:202], -v[64:65]
	s_waitcnt vmcnt(8) lgkmcnt(0)
	v_mul_f64 v[56:57], v[2:3], v[36:37]
	v_mul_f64 v[36:37], v[4:5], v[36:37]
	v_add_f64 v[54:55], v[54:55], v[58:59]
	v_add_f64 v[52:53], v[52:53], v[66:67]
	s_waitcnt vmcnt(7)
	v_mul_f64 v[58:59], v[230:231], v[8:9]
	v_mul_f64 v[8:9], v[232:233], v[8:9]
	v_fma_f64 v[56:57], v[4:5], v[34:35], v[56:57]
	v_fma_f64 v[64:65], v[2:3], v[34:35], -v[36:37]
	ds_load_b128 v[2:5], v1 offset:1808
	ds_load_b128 v[34:37], v1 offset:1824
	v_add_f64 v[54:55], v[54:55], v[60:61]
	v_add_f64 v[52:53], v[52:53], v[62:63]
	s_waitcnt vmcnt(6) lgkmcnt(1)
	v_mul_f64 v[60:61], v[2:3], v[12:13]
	v_mul_f64 v[12:13], v[4:5], v[12:13]
	v_fma_f64 v[58:59], v[232:233], v[6:7], v[58:59]
	v_fma_f64 v[6:7], v[230:231], v[6:7], -v[8:9]
	v_add_f64 v[8:9], v[52:53], v[64:65]
	v_add_f64 v[52:53], v[54:55], v[56:57]
	s_waitcnt vmcnt(5) lgkmcnt(0)
	v_mul_f64 v[54:55], v[34:35], v[16:17]
	v_mul_f64 v[16:17], v[36:37], v[16:17]
	v_fma_f64 v[56:57], v[4:5], v[10:11], v[60:61]
	v_fma_f64 v[10:11], v[2:3], v[10:11], -v[12:13]
	v_add_f64 v[12:13], v[8:9], v[6:7]
	v_add_f64 v[52:53], v[52:53], v[58:59]
	ds_load_b128 v[2:5], v1 offset:1840
	ds_load_b128 v[6:9], v1 offset:1856
	v_fma_f64 v[36:37], v[36:37], v[14:15], v[54:55]
	v_fma_f64 v[14:15], v[34:35], v[14:15], -v[16:17]
	s_waitcnt vmcnt(4) lgkmcnt(1)
	v_mul_f64 v[58:59], v[2:3], v[20:21]
	v_mul_f64 v[20:21], v[4:5], v[20:21]
	s_waitcnt vmcnt(3) lgkmcnt(0)
	v_mul_f64 v[16:17], v[6:7], v[24:25]
	v_mul_f64 v[24:25], v[8:9], v[24:25]
	v_add_f64 v[10:11], v[12:13], v[10:11]
	v_add_f64 v[12:13], v[52:53], v[56:57]
	v_fma_f64 v[34:35], v[4:5], v[18:19], v[58:59]
	v_fma_f64 v[18:19], v[2:3], v[18:19], -v[20:21]
	v_fma_f64 v[8:9], v[8:9], v[22:23], v[16:17]
	v_fma_f64 v[6:7], v[6:7], v[22:23], -v[24:25]
	v_add_f64 v[14:15], v[10:11], v[14:15]
	v_add_f64 v[20:21], v[12:13], v[36:37]
	ds_load_b128 v[2:5], v1 offset:1872
	ds_load_b128 v[10:13], v1 offset:1888
	s_waitcnt vmcnt(2) lgkmcnt(1)
	v_mul_f64 v[36:37], v[2:3], v[28:29]
	v_mul_f64 v[28:29], v[4:5], v[28:29]
	v_add_f64 v[14:15], v[14:15], v[18:19]
	v_add_f64 v[16:17], v[20:21], v[34:35]
	s_waitcnt vmcnt(1) lgkmcnt(0)
	v_mul_f64 v[18:19], v[10:11], v[32:33]
	v_mul_f64 v[20:21], v[12:13], v[32:33]
	v_fma_f64 v[22:23], v[4:5], v[26:27], v[36:37]
	v_fma_f64 v[24:25], v[2:3], v[26:27], -v[28:29]
	ds_load_b128 v[2:5], v1 offset:1904
	v_add_f64 v[6:7], v[14:15], v[6:7]
	v_add_f64 v[8:9], v[16:17], v[8:9]
	v_fma_f64 v[12:13], v[12:13], v[30:31], v[18:19]
	v_fma_f64 v[10:11], v[10:11], v[30:31], -v[20:21]
	s_waitcnt vmcnt(0) lgkmcnt(0)
	v_mul_f64 v[14:15], v[2:3], v[40:41]
	v_mul_f64 v[16:17], v[4:5], v[40:41]
	v_add_f64 v[6:7], v[6:7], v[24:25]
	v_add_f64 v[8:9], v[8:9], v[22:23]
	s_delay_alu instid0(VALU_DEP_4) | instskip(NEXT) | instid1(VALU_DEP_4)
	v_fma_f64 v[4:5], v[4:5], v[38:39], v[14:15]
	v_fma_f64 v[2:3], v[2:3], v[38:39], -v[16:17]
	s_delay_alu instid0(VALU_DEP_4) | instskip(NEXT) | instid1(VALU_DEP_4)
	v_add_f64 v[6:7], v[6:7], v[10:11]
	v_add_f64 v[8:9], v[8:9], v[12:13]
	s_delay_alu instid0(VALU_DEP_2) | instskip(NEXT) | instid1(VALU_DEP_2)
	v_add_f64 v[2:3], v[6:7], v[2:3]
	v_add_f64 v[4:5], v[8:9], v[4:5]
	s_delay_alu instid0(VALU_DEP_2) | instskip(NEXT) | instid1(VALU_DEP_2)
	v_add_f64 v[2:3], v[42:43], -v[2:3]
	v_add_f64 v[4:5], v[44:45], -v[4:5]
	scratch_store_b128 off, v[2:5], off offset:640
	v_cmpx_lt_u32_e32 39, v166
	s_cbranch_execz .LBB59_295
; %bb.294:
	scratch_load_b128 v[5:8], v195, off
	v_mov_b32_e32 v2, v1
	v_mov_b32_e32 v3, v1
	;; [unrolled: 1-line block ×3, first 2 shown]
	scratch_store_b128 off, v[1:4], off offset:624
	s_waitcnt vmcnt(0)
	ds_store_b128 v226, v[5:8]
.LBB59_295:
	s_or_b32 exec_lo, exec_lo, s2
	s_waitcnt lgkmcnt(0)
	s_waitcnt_vscnt null, 0x0
	s_barrier
	buffer_gl0_inv
	s_clause 0x8
	scratch_load_b128 v[2:5], off, off offset:640
	scratch_load_b128 v[6:9], off, off offset:656
	;; [unrolled: 1-line block ×9, first 2 shown]
	ds_load_b128 v[38:41], v1 offset:1600
	ds_load_b128 v[42:45], v1 offset:1616
	s_clause 0x1
	scratch_load_b128 v[180:183], off, off offset:624
	scratch_load_b128 v[201:204], off, off offset:784
	s_mov_b32 s2, exec_lo
	ds_load_b128 v[230:233], v1 offset:1648
	s_waitcnt vmcnt(10) lgkmcnt(2)
	v_mul_f64 v[52:53], v[40:41], v[4:5]
	v_mul_f64 v[4:5], v[38:39], v[4:5]
	s_waitcnt vmcnt(9) lgkmcnt(1)
	v_mul_f64 v[54:55], v[42:43], v[8:9]
	v_mul_f64 v[8:9], v[44:45], v[8:9]
	s_delay_alu instid0(VALU_DEP_4) | instskip(NEXT) | instid1(VALU_DEP_4)
	v_fma_f64 v[52:53], v[38:39], v[2:3], -v[52:53]
	v_fma_f64 v[56:57], v[40:41], v[2:3], v[4:5]
	ds_load_b128 v[2:5], v1 offset:1632
	scratch_load_b128 v[38:41], off, off offset:800
	v_fma_f64 v[44:45], v[44:45], v[6:7], v[54:55]
	v_fma_f64 v[42:43], v[42:43], v[6:7], -v[8:9]
	scratch_load_b128 v[6:9], off, off offset:816
	s_waitcnt vmcnt(10) lgkmcnt(0)
	v_mul_f64 v[58:59], v[2:3], v[12:13]
	v_mul_f64 v[12:13], v[4:5], v[12:13]
	v_add_f64 v[52:53], v[52:53], 0
	v_add_f64 v[54:55], v[56:57], 0
	s_waitcnt vmcnt(9)
	v_mul_f64 v[56:57], v[230:231], v[16:17]
	v_mul_f64 v[16:17], v[232:233], v[16:17]
	v_fma_f64 v[58:59], v[4:5], v[10:11], v[58:59]
	v_fma_f64 v[60:61], v[2:3], v[10:11], -v[12:13]
	ds_load_b128 v[2:5], v1 offset:1664
	scratch_load_b128 v[10:13], off, off offset:832
	v_add_f64 v[52:53], v[52:53], v[42:43]
	v_add_f64 v[54:55], v[54:55], v[44:45]
	ds_load_b128 v[42:45], v1 offset:1680
	v_fma_f64 v[56:57], v[232:233], v[14:15], v[56:57]
	v_fma_f64 v[64:65], v[230:231], v[14:15], -v[16:17]
	scratch_load_b128 v[14:17], off, off offset:848
	s_waitcnt vmcnt(10) lgkmcnt(1)
	v_mul_f64 v[62:63], v[2:3], v[20:21]
	v_mul_f64 v[20:21], v[4:5], v[20:21]
	ds_load_b128 v[230:233], v1 offset:1712
	v_add_f64 v[52:53], v[52:53], v[60:61]
	v_add_f64 v[54:55], v[54:55], v[58:59]
	s_waitcnt vmcnt(9) lgkmcnt(1)
	v_mul_f64 v[58:59], v[42:43], v[24:25]
	v_mul_f64 v[24:25], v[44:45], v[24:25]
	v_fma_f64 v[60:61], v[4:5], v[18:19], v[62:63]
	v_fma_f64 v[62:63], v[2:3], v[18:19], -v[20:21]
	ds_load_b128 v[2:5], v1 offset:1696
	scratch_load_b128 v[18:21], off, off offset:864
	v_add_f64 v[52:53], v[52:53], v[64:65]
	v_add_f64 v[54:55], v[54:55], v[56:57]
	s_waitcnt vmcnt(9) lgkmcnt(0)
	v_mul_f64 v[56:57], v[2:3], v[28:29]
	v_mul_f64 v[28:29], v[4:5], v[28:29]
	v_fma_f64 v[44:45], v[44:45], v[22:23], v[58:59]
	v_fma_f64 v[42:43], v[42:43], v[22:23], -v[24:25]
	scratch_load_b128 v[22:25], off, off offset:880
	s_waitcnt vmcnt(9)
	v_mul_f64 v[58:59], v[230:231], v[32:33]
	v_mul_f64 v[32:33], v[232:233], v[32:33]
	v_add_f64 v[52:53], v[52:53], v[62:63]
	v_add_f64 v[54:55], v[54:55], v[60:61]
	v_fma_f64 v[56:57], v[4:5], v[26:27], v[56:57]
	v_fma_f64 v[60:61], v[2:3], v[26:27], -v[28:29]
	ds_load_b128 v[2:5], v1 offset:1728
	scratch_load_b128 v[26:29], off, off offset:896
	v_fma_f64 v[58:59], v[232:233], v[30:31], v[58:59]
	v_fma_f64 v[64:65], v[230:231], v[30:31], -v[32:33]
	scratch_load_b128 v[30:33], off, off offset:912
	ds_load_b128 v[230:233], v1 offset:1776
	v_add_f64 v[52:53], v[52:53], v[42:43]
	v_add_f64 v[54:55], v[54:55], v[44:45]
	ds_load_b128 v[42:45], v1 offset:1744
	s_waitcnt vmcnt(10) lgkmcnt(2)
	v_mul_f64 v[62:63], v[2:3], v[36:37]
	v_mul_f64 v[36:37], v[4:5], v[36:37]
	v_add_f64 v[52:53], v[52:53], v[60:61]
	v_add_f64 v[54:55], v[54:55], v[56:57]
	s_waitcnt vmcnt(8) lgkmcnt(0)
	v_mul_f64 v[56:57], v[42:43], v[203:204]
	v_mul_f64 v[60:61], v[44:45], v[203:204]
	v_fma_f64 v[62:63], v[4:5], v[34:35], v[62:63]
	v_fma_f64 v[66:67], v[2:3], v[34:35], -v[36:37]
	ds_load_b128 v[2:5], v1 offset:1760
	scratch_load_b128 v[34:37], off, off offset:928
	v_add_f64 v[52:53], v[52:53], v[64:65]
	v_add_f64 v[54:55], v[54:55], v[58:59]
	v_fma_f64 v[44:45], v[44:45], v[201:202], v[56:57]
	v_fma_f64 v[56:57], v[42:43], v[201:202], -v[60:61]
	s_waitcnt vmcnt(8) lgkmcnt(0)
	v_mul_f64 v[58:59], v[2:3], v[40:41]
	v_mul_f64 v[64:65], v[4:5], v[40:41]
	scratch_load_b128 v[40:43], off, off offset:944
	s_waitcnt vmcnt(8)
	v_mul_f64 v[60:61], v[230:231], v[8:9]
	v_mul_f64 v[8:9], v[232:233], v[8:9]
	v_add_f64 v[52:53], v[52:53], v[66:67]
	v_add_f64 v[54:55], v[54:55], v[62:63]
	v_fma_f64 v[58:59], v[4:5], v[38:39], v[58:59]
	v_fma_f64 v[38:39], v[2:3], v[38:39], -v[64:65]
	ds_load_b128 v[2:5], v1 offset:1792
	ds_load_b128 v[201:204], v1 offset:1808
	v_add_f64 v[52:53], v[52:53], v[56:57]
	v_add_f64 v[44:45], v[54:55], v[44:45]
	v_fma_f64 v[56:57], v[232:233], v[6:7], v[60:61]
	s_waitcnt vmcnt(7) lgkmcnt(1)
	v_mul_f64 v[54:55], v[2:3], v[12:13]
	v_mul_f64 v[12:13], v[4:5], v[12:13]
	v_fma_f64 v[6:7], v[230:231], v[6:7], -v[8:9]
	v_add_f64 v[8:9], v[52:53], v[38:39]
	v_add_f64 v[38:39], v[44:45], v[58:59]
	s_waitcnt vmcnt(6) lgkmcnt(0)
	v_mul_f64 v[44:45], v[201:202], v[16:17]
	v_mul_f64 v[16:17], v[203:204], v[16:17]
	v_fma_f64 v[52:53], v[4:5], v[10:11], v[54:55]
	v_fma_f64 v[10:11], v[2:3], v[10:11], -v[12:13]
	v_add_f64 v[12:13], v[8:9], v[6:7]
	v_add_f64 v[38:39], v[38:39], v[56:57]
	ds_load_b128 v[2:5], v1 offset:1824
	ds_load_b128 v[6:9], v1 offset:1840
	v_fma_f64 v[44:45], v[203:204], v[14:15], v[44:45]
	v_fma_f64 v[14:15], v[201:202], v[14:15], -v[16:17]
	s_waitcnt vmcnt(5) lgkmcnt(1)
	v_mul_f64 v[54:55], v[2:3], v[20:21]
	v_mul_f64 v[20:21], v[4:5], v[20:21]
	s_waitcnt vmcnt(4) lgkmcnt(0)
	v_mul_f64 v[16:17], v[6:7], v[24:25]
	v_mul_f64 v[24:25], v[8:9], v[24:25]
	v_add_f64 v[10:11], v[12:13], v[10:11]
	v_add_f64 v[12:13], v[38:39], v[52:53]
	v_fma_f64 v[38:39], v[4:5], v[18:19], v[54:55]
	v_fma_f64 v[18:19], v[2:3], v[18:19], -v[20:21]
	v_fma_f64 v[8:9], v[8:9], v[22:23], v[16:17]
	v_fma_f64 v[6:7], v[6:7], v[22:23], -v[24:25]
	v_add_f64 v[14:15], v[10:11], v[14:15]
	v_add_f64 v[20:21], v[12:13], v[44:45]
	ds_load_b128 v[2:5], v1 offset:1856
	ds_load_b128 v[10:13], v1 offset:1872
	s_waitcnt vmcnt(3) lgkmcnt(1)
	v_mul_f64 v[44:45], v[2:3], v[28:29]
	v_mul_f64 v[28:29], v[4:5], v[28:29]
	v_add_f64 v[14:15], v[14:15], v[18:19]
	v_add_f64 v[16:17], v[20:21], v[38:39]
	s_waitcnt vmcnt(2) lgkmcnt(0)
	v_mul_f64 v[18:19], v[10:11], v[32:33]
	v_mul_f64 v[20:21], v[12:13], v[32:33]
	v_fma_f64 v[22:23], v[4:5], v[26:27], v[44:45]
	v_fma_f64 v[24:25], v[2:3], v[26:27], -v[28:29]
	v_add_f64 v[14:15], v[14:15], v[6:7]
	v_add_f64 v[16:17], v[16:17], v[8:9]
	ds_load_b128 v[2:5], v1 offset:1888
	ds_load_b128 v[6:9], v1 offset:1904
	v_fma_f64 v[12:13], v[12:13], v[30:31], v[18:19]
	v_fma_f64 v[10:11], v[10:11], v[30:31], -v[20:21]
	s_waitcnt vmcnt(1) lgkmcnt(1)
	v_mul_f64 v[26:27], v[2:3], v[36:37]
	v_mul_f64 v[28:29], v[4:5], v[36:37]
	s_waitcnt vmcnt(0) lgkmcnt(0)
	v_mul_f64 v[18:19], v[6:7], v[42:43]
	v_add_f64 v[14:15], v[14:15], v[24:25]
	v_add_f64 v[16:17], v[16:17], v[22:23]
	v_mul_f64 v[20:21], v[8:9], v[42:43]
	v_fma_f64 v[4:5], v[4:5], v[34:35], v[26:27]
	v_fma_f64 v[1:2], v[2:3], v[34:35], -v[28:29]
	v_fma_f64 v[8:9], v[8:9], v[40:41], v[18:19]
	v_add_f64 v[10:11], v[14:15], v[10:11]
	v_add_f64 v[12:13], v[16:17], v[12:13]
	v_fma_f64 v[6:7], v[6:7], v[40:41], -v[20:21]
	s_delay_alu instid0(VALU_DEP_3) | instskip(NEXT) | instid1(VALU_DEP_3)
	v_add_f64 v[1:2], v[10:11], v[1:2]
	v_add_f64 v[3:4], v[12:13], v[4:5]
	s_delay_alu instid0(VALU_DEP_2) | instskip(NEXT) | instid1(VALU_DEP_2)
	v_add_f64 v[1:2], v[1:2], v[6:7]
	v_add_f64 v[3:4], v[3:4], v[8:9]
	s_delay_alu instid0(VALU_DEP_2) | instskip(NEXT) | instid1(VALU_DEP_2)
	v_add_f64 v[1:2], v[180:181], -v[1:2]
	v_add_f64 v[3:4], v[182:183], -v[3:4]
	scratch_store_b128 off, v[1:4], off offset:624
	v_cmpx_lt_u32_e32 38, v166
	s_cbranch_execz .LBB59_297
; %bb.296:
	scratch_load_b128 v[1:4], v192, off
	v_mov_b32_e32 v5, 0
	s_delay_alu instid0(VALU_DEP_1)
	v_mov_b32_e32 v6, v5
	v_mov_b32_e32 v7, v5
	;; [unrolled: 1-line block ×3, first 2 shown]
	scratch_store_b128 off, v[5:8], off offset:608
	s_waitcnt vmcnt(0)
	ds_store_b128 v226, v[1:4]
.LBB59_297:
	s_or_b32 exec_lo, exec_lo, s2
	s_waitcnt lgkmcnt(0)
	s_waitcnt_vscnt null, 0x0
	s_barrier
	buffer_gl0_inv
	s_clause 0x7
	scratch_load_b128 v[2:5], off, off offset:624
	scratch_load_b128 v[6:9], off, off offset:640
	;; [unrolled: 1-line block ×8, first 2 shown]
	v_mov_b32_e32 v1, 0
	s_mov_b32 s2, exec_lo
	ds_load_b128 v[34:37], v1 offset:1584
	s_clause 0x1
	scratch_load_b128 v[38:41], off, off offset:752
	scratch_load_b128 v[42:45], off, off offset:608
	ds_load_b128 v[180:183], v1 offset:1600
	scratch_load_b128 v[201:204], off, off offset:768
	ds_load_b128 v[230:233], v1 offset:1632
	s_waitcnt vmcnt(10) lgkmcnt(2)
	v_mul_f64 v[52:53], v[36:37], v[4:5]
	v_mul_f64 v[4:5], v[34:35], v[4:5]
	s_delay_alu instid0(VALU_DEP_2) | instskip(NEXT) | instid1(VALU_DEP_2)
	v_fma_f64 v[52:53], v[34:35], v[2:3], -v[52:53]
	v_fma_f64 v[56:57], v[36:37], v[2:3], v[4:5]
	ds_load_b128 v[2:5], v1 offset:1616
	s_waitcnt vmcnt(9) lgkmcnt(2)
	v_mul_f64 v[54:55], v[180:181], v[8:9]
	v_mul_f64 v[8:9], v[182:183], v[8:9]
	scratch_load_b128 v[34:37], off, off offset:784
	s_waitcnt vmcnt(9) lgkmcnt(0)
	v_mul_f64 v[58:59], v[2:3], v[12:13]
	v_mul_f64 v[12:13], v[4:5], v[12:13]
	v_add_f64 v[52:53], v[52:53], 0
	v_add_f64 v[56:57], v[56:57], 0
	v_fma_f64 v[54:55], v[182:183], v[6:7], v[54:55]
	v_fma_f64 v[60:61], v[180:181], v[6:7], -v[8:9]
	scratch_load_b128 v[6:9], off, off offset:800
	ds_load_b128 v[180:183], v1 offset:1664
	v_fma_f64 v[58:59], v[4:5], v[10:11], v[58:59]
	v_fma_f64 v[64:65], v[2:3], v[10:11], -v[12:13]
	ds_load_b128 v[2:5], v1 offset:1648
	s_waitcnt vmcnt(9)
	v_mul_f64 v[62:63], v[230:231], v[16:17]
	v_mul_f64 v[16:17], v[232:233], v[16:17]
	scratch_load_b128 v[10:13], off, off offset:816
	v_add_f64 v[54:55], v[56:57], v[54:55]
	v_add_f64 v[52:53], v[52:53], v[60:61]
	s_waitcnt vmcnt(9) lgkmcnt(0)
	v_mul_f64 v[56:57], v[2:3], v[20:21]
	v_mul_f64 v[20:21], v[4:5], v[20:21]
	v_fma_f64 v[60:61], v[232:233], v[14:15], v[62:63]
	v_fma_f64 v[62:63], v[230:231], v[14:15], -v[16:17]
	scratch_load_b128 v[14:17], off, off offset:832
	ds_load_b128 v[230:233], v1 offset:1696
	v_add_f64 v[54:55], v[54:55], v[58:59]
	v_add_f64 v[52:53], v[52:53], v[64:65]
	v_fma_f64 v[56:57], v[4:5], v[18:19], v[56:57]
	v_fma_f64 v[64:65], v[2:3], v[18:19], -v[20:21]
	ds_load_b128 v[2:5], v1 offset:1680
	s_waitcnt vmcnt(9)
	v_mul_f64 v[58:59], v[180:181], v[24:25]
	v_mul_f64 v[24:25], v[182:183], v[24:25]
	scratch_load_b128 v[18:21], off, off offset:848
	v_add_f64 v[54:55], v[54:55], v[60:61]
	v_add_f64 v[52:53], v[52:53], v[62:63]
	s_waitcnt vmcnt(9) lgkmcnt(0)
	v_mul_f64 v[60:61], v[2:3], v[28:29]
	v_mul_f64 v[28:29], v[4:5], v[28:29]
	v_fma_f64 v[58:59], v[182:183], v[22:23], v[58:59]
	v_fma_f64 v[62:63], v[180:181], v[22:23], -v[24:25]
	scratch_load_b128 v[22:25], off, off offset:864
	ds_load_b128 v[180:183], v1 offset:1728
	v_add_f64 v[54:55], v[54:55], v[56:57]
	v_add_f64 v[52:53], v[52:53], v[64:65]
	;; [unrolled: 18-line block ×3, first 2 shown]
	v_fma_f64 v[58:59], v[4:5], v[38:39], v[58:59]
	v_fma_f64 v[66:67], v[2:3], v[38:39], -v[40:41]
	ds_load_b128 v[2:5], v1 offset:1744
	s_waitcnt vmcnt(8)
	v_mul_f64 v[60:61], v[180:181], v[203:204]
	v_mul_f64 v[64:65], v[182:183], v[203:204]
	scratch_load_b128 v[38:41], off, off offset:912
	v_add_f64 v[54:55], v[54:55], v[56:57]
	v_add_f64 v[52:53], v[52:53], v[62:63]
	v_fma_f64 v[60:61], v[182:183], v[201:202], v[60:61]
	v_fma_f64 v[62:63], v[180:181], v[201:202], -v[64:65]
	scratch_load_b128 v[180:183], off, off offset:928
	ds_load_b128 v[201:204], v1 offset:1792
	s_waitcnt vmcnt(9) lgkmcnt(1)
	v_mul_f64 v[56:57], v[2:3], v[36:37]
	v_mul_f64 v[36:37], v[4:5], v[36:37]
	v_add_f64 v[54:55], v[54:55], v[58:59]
	v_add_f64 v[52:53], v[52:53], v[66:67]
	s_delay_alu instid0(VALU_DEP_4) | instskip(NEXT) | instid1(VALU_DEP_4)
	v_fma_f64 v[56:57], v[4:5], v[34:35], v[56:57]
	v_fma_f64 v[64:65], v[2:3], v[34:35], -v[36:37]
	scratch_load_b128 v[34:37], off, off offset:944
	ds_load_b128 v[2:5], v1 offset:1776
	s_waitcnt vmcnt(9)
	v_mul_f64 v[58:59], v[230:231], v[8:9]
	v_mul_f64 v[8:9], v[232:233], v[8:9]
	v_add_f64 v[54:55], v[54:55], v[60:61]
	v_add_f64 v[52:53], v[52:53], v[62:63]
	s_waitcnt vmcnt(8) lgkmcnt(0)
	v_mul_f64 v[60:61], v[2:3], v[12:13]
	v_mul_f64 v[12:13], v[4:5], v[12:13]
	v_fma_f64 v[58:59], v[232:233], v[6:7], v[58:59]
	v_fma_f64 v[6:7], v[230:231], v[6:7], -v[8:9]
	v_add_f64 v[8:9], v[52:53], v[64:65]
	v_add_f64 v[52:53], v[54:55], v[56:57]
	s_waitcnt vmcnt(7)
	v_mul_f64 v[54:55], v[201:202], v[16:17]
	v_mul_f64 v[16:17], v[203:204], v[16:17]
	v_fma_f64 v[56:57], v[4:5], v[10:11], v[60:61]
	v_fma_f64 v[10:11], v[2:3], v[10:11], -v[12:13]
	v_add_f64 v[12:13], v[8:9], v[6:7]
	v_add_f64 v[52:53], v[52:53], v[58:59]
	ds_load_b128 v[2:5], v1 offset:1808
	ds_load_b128 v[6:9], v1 offset:1824
	v_fma_f64 v[54:55], v[203:204], v[14:15], v[54:55]
	v_fma_f64 v[14:15], v[201:202], v[14:15], -v[16:17]
	s_waitcnt vmcnt(6) lgkmcnt(1)
	v_mul_f64 v[58:59], v[2:3], v[20:21]
	v_mul_f64 v[20:21], v[4:5], v[20:21]
	s_waitcnt vmcnt(5) lgkmcnt(0)
	v_mul_f64 v[16:17], v[6:7], v[24:25]
	v_mul_f64 v[24:25], v[8:9], v[24:25]
	v_add_f64 v[10:11], v[12:13], v[10:11]
	v_add_f64 v[12:13], v[52:53], v[56:57]
	v_fma_f64 v[52:53], v[4:5], v[18:19], v[58:59]
	v_fma_f64 v[18:19], v[2:3], v[18:19], -v[20:21]
	v_fma_f64 v[8:9], v[8:9], v[22:23], v[16:17]
	v_fma_f64 v[6:7], v[6:7], v[22:23], -v[24:25]
	v_add_f64 v[14:15], v[10:11], v[14:15]
	v_add_f64 v[20:21], v[12:13], v[54:55]
	ds_load_b128 v[2:5], v1 offset:1840
	ds_load_b128 v[10:13], v1 offset:1856
	s_waitcnt vmcnt(4) lgkmcnt(1)
	v_mul_f64 v[54:55], v[2:3], v[28:29]
	v_mul_f64 v[28:29], v[4:5], v[28:29]
	v_add_f64 v[14:15], v[14:15], v[18:19]
	v_add_f64 v[16:17], v[20:21], v[52:53]
	s_waitcnt vmcnt(3) lgkmcnt(0)
	v_mul_f64 v[18:19], v[10:11], v[32:33]
	v_mul_f64 v[20:21], v[12:13], v[32:33]
	v_fma_f64 v[22:23], v[4:5], v[26:27], v[54:55]
	v_fma_f64 v[24:25], v[2:3], v[26:27], -v[28:29]
	v_add_f64 v[14:15], v[14:15], v[6:7]
	v_add_f64 v[16:17], v[16:17], v[8:9]
	ds_load_b128 v[2:5], v1 offset:1872
	ds_load_b128 v[6:9], v1 offset:1888
	v_fma_f64 v[12:13], v[12:13], v[30:31], v[18:19]
	v_fma_f64 v[10:11], v[10:11], v[30:31], -v[20:21]
	s_waitcnt vmcnt(2) lgkmcnt(1)
	v_mul_f64 v[26:27], v[2:3], v[40:41]
	v_mul_f64 v[28:29], v[4:5], v[40:41]
	s_waitcnt vmcnt(1) lgkmcnt(0)
	v_mul_f64 v[18:19], v[6:7], v[182:183]
	v_mul_f64 v[20:21], v[8:9], v[182:183]
	v_add_f64 v[14:15], v[14:15], v[24:25]
	v_add_f64 v[16:17], v[16:17], v[22:23]
	v_fma_f64 v[22:23], v[4:5], v[38:39], v[26:27]
	v_fma_f64 v[24:25], v[2:3], v[38:39], -v[28:29]
	ds_load_b128 v[2:5], v1 offset:1904
	v_fma_f64 v[8:9], v[8:9], v[180:181], v[18:19]
	v_fma_f64 v[6:7], v[6:7], v[180:181], -v[20:21]
	v_add_f64 v[10:11], v[14:15], v[10:11]
	v_add_f64 v[12:13], v[16:17], v[12:13]
	s_waitcnt vmcnt(0) lgkmcnt(0)
	v_mul_f64 v[14:15], v[2:3], v[36:37]
	v_mul_f64 v[16:17], v[4:5], v[36:37]
	s_delay_alu instid0(VALU_DEP_4) | instskip(NEXT) | instid1(VALU_DEP_4)
	v_add_f64 v[10:11], v[10:11], v[24:25]
	v_add_f64 v[12:13], v[12:13], v[22:23]
	s_delay_alu instid0(VALU_DEP_4) | instskip(NEXT) | instid1(VALU_DEP_4)
	v_fma_f64 v[4:5], v[4:5], v[34:35], v[14:15]
	v_fma_f64 v[2:3], v[2:3], v[34:35], -v[16:17]
	s_delay_alu instid0(VALU_DEP_4) | instskip(NEXT) | instid1(VALU_DEP_4)
	v_add_f64 v[6:7], v[10:11], v[6:7]
	v_add_f64 v[8:9], v[12:13], v[8:9]
	s_delay_alu instid0(VALU_DEP_2) | instskip(NEXT) | instid1(VALU_DEP_2)
	v_add_f64 v[2:3], v[6:7], v[2:3]
	v_add_f64 v[4:5], v[8:9], v[4:5]
	s_delay_alu instid0(VALU_DEP_2) | instskip(NEXT) | instid1(VALU_DEP_2)
	v_add_f64 v[2:3], v[42:43], -v[2:3]
	v_add_f64 v[4:5], v[44:45], -v[4:5]
	scratch_store_b128 off, v[2:5], off offset:608
	v_cmpx_lt_u32_e32 37, v166
	s_cbranch_execz .LBB59_299
; %bb.298:
	scratch_load_b128 v[5:8], v179, off
	v_mov_b32_e32 v2, v1
	v_mov_b32_e32 v3, v1
	;; [unrolled: 1-line block ×3, first 2 shown]
	scratch_store_b128 off, v[1:4], off offset:592
	s_waitcnt vmcnt(0)
	ds_store_b128 v226, v[5:8]
.LBB59_299:
	s_or_b32 exec_lo, exec_lo, s2
	s_waitcnt lgkmcnt(0)
	s_waitcnt_vscnt null, 0x0
	s_barrier
	buffer_gl0_inv
	s_clause 0x8
	scratch_load_b128 v[2:5], off, off offset:608
	scratch_load_b128 v[6:9], off, off offset:624
	;; [unrolled: 1-line block ×9, first 2 shown]
	ds_load_b128 v[38:41], v1 offset:1568
	ds_load_b128 v[42:45], v1 offset:1584
	s_clause 0x1
	scratch_load_b128 v[180:183], off, off offset:592
	scratch_load_b128 v[201:204], off, off offset:752
	s_mov_b32 s2, exec_lo
	ds_load_b128 v[230:233], v1 offset:1616
	ds_load_b128 v[234:237], v1 offset:1776
	s_waitcnt vmcnt(10) lgkmcnt(3)
	v_mul_f64 v[52:53], v[40:41], v[4:5]
	v_mul_f64 v[4:5], v[38:39], v[4:5]
	s_waitcnt vmcnt(9) lgkmcnt(2)
	v_mul_f64 v[54:55], v[42:43], v[8:9]
	v_mul_f64 v[8:9], v[44:45], v[8:9]
	s_delay_alu instid0(VALU_DEP_4) | instskip(NEXT) | instid1(VALU_DEP_4)
	v_fma_f64 v[52:53], v[38:39], v[2:3], -v[52:53]
	v_fma_f64 v[56:57], v[40:41], v[2:3], v[4:5]
	ds_load_b128 v[2:5], v1 offset:1600
	scratch_load_b128 v[38:41], off, off offset:768
	v_fma_f64 v[44:45], v[44:45], v[6:7], v[54:55]
	v_fma_f64 v[42:43], v[42:43], v[6:7], -v[8:9]
	scratch_load_b128 v[6:9], off, off offset:784
	s_waitcnt vmcnt(10) lgkmcnt(0)
	v_mul_f64 v[58:59], v[2:3], v[12:13]
	v_mul_f64 v[12:13], v[4:5], v[12:13]
	v_add_f64 v[52:53], v[52:53], 0
	v_add_f64 v[54:55], v[56:57], 0
	s_waitcnt vmcnt(9)
	v_mul_f64 v[56:57], v[230:231], v[16:17]
	v_mul_f64 v[16:17], v[232:233], v[16:17]
	v_fma_f64 v[58:59], v[4:5], v[10:11], v[58:59]
	v_fma_f64 v[60:61], v[2:3], v[10:11], -v[12:13]
	ds_load_b128 v[2:5], v1 offset:1632
	scratch_load_b128 v[10:13], off, off offset:800
	v_add_f64 v[52:53], v[52:53], v[42:43]
	v_add_f64 v[54:55], v[54:55], v[44:45]
	ds_load_b128 v[42:45], v1 offset:1648
	v_fma_f64 v[56:57], v[232:233], v[14:15], v[56:57]
	v_fma_f64 v[64:65], v[230:231], v[14:15], -v[16:17]
	scratch_load_b128 v[14:17], off, off offset:816
	s_waitcnt vmcnt(10) lgkmcnt(1)
	v_mul_f64 v[62:63], v[2:3], v[20:21]
	v_mul_f64 v[20:21], v[4:5], v[20:21]
	ds_load_b128 v[230:233], v1 offset:1680
	v_add_f64 v[52:53], v[52:53], v[60:61]
	v_add_f64 v[54:55], v[54:55], v[58:59]
	s_waitcnt vmcnt(9) lgkmcnt(1)
	v_mul_f64 v[58:59], v[42:43], v[24:25]
	v_mul_f64 v[24:25], v[44:45], v[24:25]
	v_fma_f64 v[60:61], v[4:5], v[18:19], v[62:63]
	v_fma_f64 v[62:63], v[2:3], v[18:19], -v[20:21]
	ds_load_b128 v[2:5], v1 offset:1664
	scratch_load_b128 v[18:21], off, off offset:832
	v_add_f64 v[52:53], v[52:53], v[64:65]
	v_add_f64 v[54:55], v[54:55], v[56:57]
	s_waitcnt vmcnt(9) lgkmcnt(0)
	v_mul_f64 v[56:57], v[2:3], v[28:29]
	v_mul_f64 v[28:29], v[4:5], v[28:29]
	v_fma_f64 v[44:45], v[44:45], v[22:23], v[58:59]
	v_fma_f64 v[42:43], v[42:43], v[22:23], -v[24:25]
	scratch_load_b128 v[22:25], off, off offset:848
	s_waitcnt vmcnt(9)
	v_mul_f64 v[58:59], v[230:231], v[32:33]
	v_mul_f64 v[32:33], v[232:233], v[32:33]
	v_add_f64 v[52:53], v[52:53], v[62:63]
	v_add_f64 v[54:55], v[54:55], v[60:61]
	v_fma_f64 v[56:57], v[4:5], v[26:27], v[56:57]
	v_fma_f64 v[60:61], v[2:3], v[26:27], -v[28:29]
	ds_load_b128 v[2:5], v1 offset:1696
	scratch_load_b128 v[26:29], off, off offset:864
	v_fma_f64 v[58:59], v[232:233], v[30:31], v[58:59]
	v_fma_f64 v[64:65], v[230:231], v[30:31], -v[32:33]
	scratch_load_b128 v[30:33], off, off offset:880
	ds_load_b128 v[230:233], v1 offset:1744
	v_add_f64 v[52:53], v[52:53], v[42:43]
	v_add_f64 v[54:55], v[54:55], v[44:45]
	ds_load_b128 v[42:45], v1 offset:1712
	s_waitcnt vmcnt(10) lgkmcnt(2)
	v_mul_f64 v[62:63], v[2:3], v[36:37]
	v_mul_f64 v[36:37], v[4:5], v[36:37]
	v_add_f64 v[52:53], v[52:53], v[60:61]
	v_add_f64 v[54:55], v[54:55], v[56:57]
	s_waitcnt vmcnt(8) lgkmcnt(0)
	v_mul_f64 v[56:57], v[42:43], v[203:204]
	v_mul_f64 v[60:61], v[44:45], v[203:204]
	v_fma_f64 v[62:63], v[4:5], v[34:35], v[62:63]
	v_fma_f64 v[66:67], v[2:3], v[34:35], -v[36:37]
	ds_load_b128 v[2:5], v1 offset:1728
	scratch_load_b128 v[34:37], off, off offset:896
	v_add_f64 v[52:53], v[52:53], v[64:65]
	v_add_f64 v[54:55], v[54:55], v[58:59]
	v_fma_f64 v[44:45], v[44:45], v[201:202], v[56:57]
	v_fma_f64 v[56:57], v[42:43], v[201:202], -v[60:61]
	scratch_load_b128 v[201:204], off, off offset:928
	s_waitcnt vmcnt(9) lgkmcnt(0)
	v_mul_f64 v[58:59], v[2:3], v[40:41]
	v_mul_f64 v[64:65], v[4:5], v[40:41]
	scratch_load_b128 v[40:43], off, off offset:912
	s_waitcnt vmcnt(9)
	v_mul_f64 v[60:61], v[230:231], v[8:9]
	v_mul_f64 v[8:9], v[232:233], v[8:9]
	v_add_f64 v[52:53], v[52:53], v[66:67]
	v_add_f64 v[54:55], v[54:55], v[62:63]
	v_fma_f64 v[58:59], v[4:5], v[38:39], v[58:59]
	v_fma_f64 v[38:39], v[2:3], v[38:39], -v[64:65]
	ds_load_b128 v[2:5], v1 offset:1760
	v_add_f64 v[52:53], v[52:53], v[56:57]
	v_add_f64 v[44:45], v[54:55], v[44:45]
	v_fma_f64 v[56:57], v[232:233], v[6:7], v[60:61]
	s_waitcnt vmcnt(8) lgkmcnt(0)
	v_mul_f64 v[54:55], v[2:3], v[12:13]
	v_mul_f64 v[12:13], v[4:5], v[12:13]
	v_fma_f64 v[60:61], v[230:231], v[6:7], -v[8:9]
	scratch_load_b128 v[6:9], off, off offset:944
	v_add_f64 v[38:39], v[52:53], v[38:39]
	v_add_f64 v[44:45], v[44:45], v[58:59]
	s_waitcnt vmcnt(8)
	v_mul_f64 v[52:53], v[234:235], v[16:17]
	v_mul_f64 v[16:17], v[236:237], v[16:17]
	v_fma_f64 v[54:55], v[4:5], v[10:11], v[54:55]
	v_fma_f64 v[58:59], v[2:3], v[10:11], -v[12:13]
	ds_load_b128 v[2:5], v1 offset:1792
	ds_load_b128 v[10:13], v1 offset:1808
	v_add_f64 v[38:39], v[38:39], v[60:61]
	v_add_f64 v[44:45], v[44:45], v[56:57]
	s_waitcnt vmcnt(7) lgkmcnt(1)
	v_mul_f64 v[56:57], v[2:3], v[20:21]
	v_mul_f64 v[20:21], v[4:5], v[20:21]
	v_fma_f64 v[52:53], v[236:237], v[14:15], v[52:53]
	v_fma_f64 v[14:15], v[234:235], v[14:15], -v[16:17]
	v_add_f64 v[16:17], v[38:39], v[58:59]
	v_add_f64 v[38:39], v[44:45], v[54:55]
	s_waitcnt vmcnt(6) lgkmcnt(0)
	v_mul_f64 v[44:45], v[10:11], v[24:25]
	v_mul_f64 v[24:25], v[12:13], v[24:25]
	v_fma_f64 v[54:55], v[4:5], v[18:19], v[56:57]
	v_fma_f64 v[18:19], v[2:3], v[18:19], -v[20:21]
	v_add_f64 v[20:21], v[16:17], v[14:15]
	v_add_f64 v[38:39], v[38:39], v[52:53]
	ds_load_b128 v[2:5], v1 offset:1824
	ds_load_b128 v[14:17], v1 offset:1840
	v_fma_f64 v[12:13], v[12:13], v[22:23], v[44:45]
	v_fma_f64 v[10:11], v[10:11], v[22:23], -v[24:25]
	s_waitcnt vmcnt(5) lgkmcnt(1)
	v_mul_f64 v[52:53], v[2:3], v[28:29]
	v_mul_f64 v[28:29], v[4:5], v[28:29]
	s_waitcnt vmcnt(4) lgkmcnt(0)
	v_mul_f64 v[22:23], v[14:15], v[32:33]
	v_mul_f64 v[24:25], v[16:17], v[32:33]
	v_add_f64 v[18:19], v[20:21], v[18:19]
	v_add_f64 v[20:21], v[38:39], v[54:55]
	v_fma_f64 v[32:33], v[4:5], v[26:27], v[52:53]
	v_fma_f64 v[26:27], v[2:3], v[26:27], -v[28:29]
	v_fma_f64 v[16:17], v[16:17], v[30:31], v[22:23]
	v_fma_f64 v[14:15], v[14:15], v[30:31], -v[24:25]
	v_add_f64 v[18:19], v[18:19], v[10:11]
	v_add_f64 v[20:21], v[20:21], v[12:13]
	ds_load_b128 v[2:5], v1 offset:1856
	ds_load_b128 v[10:13], v1 offset:1872
	s_waitcnt vmcnt(3) lgkmcnt(1)
	v_mul_f64 v[28:29], v[2:3], v[36:37]
	v_mul_f64 v[36:37], v[4:5], v[36:37]
	s_waitcnt vmcnt(1) lgkmcnt(0)
	v_mul_f64 v[22:23], v[10:11], v[42:43]
	v_add_f64 v[18:19], v[18:19], v[26:27]
	v_add_f64 v[20:21], v[20:21], v[32:33]
	v_mul_f64 v[24:25], v[12:13], v[42:43]
	v_fma_f64 v[26:27], v[4:5], v[34:35], v[28:29]
	v_fma_f64 v[28:29], v[2:3], v[34:35], -v[36:37]
	v_fma_f64 v[12:13], v[12:13], v[40:41], v[22:23]
	v_add_f64 v[18:19], v[18:19], v[14:15]
	v_add_f64 v[20:21], v[20:21], v[16:17]
	ds_load_b128 v[2:5], v1 offset:1888
	ds_load_b128 v[14:17], v1 offset:1904
	v_fma_f64 v[10:11], v[10:11], v[40:41], -v[24:25]
	s_waitcnt lgkmcnt(1)
	v_mul_f64 v[30:31], v[2:3], v[203:204]
	v_mul_f64 v[32:33], v[4:5], v[203:204]
	s_waitcnt vmcnt(0) lgkmcnt(0)
	v_mul_f64 v[22:23], v[14:15], v[8:9]
	v_mul_f64 v[8:9], v[16:17], v[8:9]
	v_add_f64 v[18:19], v[18:19], v[28:29]
	v_add_f64 v[20:21], v[20:21], v[26:27]
	v_fma_f64 v[4:5], v[4:5], v[201:202], v[30:31]
	v_fma_f64 v[1:2], v[2:3], v[201:202], -v[32:33]
	v_fma_f64 v[16:17], v[16:17], v[6:7], v[22:23]
	v_fma_f64 v[6:7], v[14:15], v[6:7], -v[8:9]
	v_add_f64 v[10:11], v[18:19], v[10:11]
	v_add_f64 v[12:13], v[20:21], v[12:13]
	s_delay_alu instid0(VALU_DEP_2) | instskip(NEXT) | instid1(VALU_DEP_2)
	v_add_f64 v[1:2], v[10:11], v[1:2]
	v_add_f64 v[3:4], v[12:13], v[4:5]
	s_delay_alu instid0(VALU_DEP_2) | instskip(NEXT) | instid1(VALU_DEP_2)
	;; [unrolled: 3-line block ×3, first 2 shown]
	v_add_f64 v[1:2], v[180:181], -v[1:2]
	v_add_f64 v[3:4], v[182:183], -v[3:4]
	scratch_store_b128 off, v[1:4], off offset:592
	v_cmpx_lt_u32_e32 36, v166
	s_cbranch_execz .LBB59_301
; %bb.300:
	scratch_load_b128 v[1:4], v48, off
	v_mov_b32_e32 v5, 0
	s_delay_alu instid0(VALU_DEP_1)
	v_mov_b32_e32 v6, v5
	v_mov_b32_e32 v7, v5
	;; [unrolled: 1-line block ×3, first 2 shown]
	scratch_store_b128 off, v[5:8], off offset:576
	s_waitcnt vmcnt(0)
	ds_store_b128 v226, v[1:4]
.LBB59_301:
	s_or_b32 exec_lo, exec_lo, s2
	s_waitcnt lgkmcnt(0)
	s_waitcnt_vscnt null, 0x0
	s_barrier
	buffer_gl0_inv
	s_clause 0x7
	scratch_load_b128 v[2:5], off, off offset:592
	scratch_load_b128 v[6:9], off, off offset:608
	;; [unrolled: 1-line block ×8, first 2 shown]
	v_mov_b32_e32 v1, 0
	s_mov_b32 s2, exec_lo
	ds_load_b128 v[34:37], v1 offset:1552
	s_clause 0x1
	scratch_load_b128 v[38:41], off, off offset:720
	scratch_load_b128 v[42:45], off, off offset:576
	ds_load_b128 v[180:183], v1 offset:1568
	scratch_load_b128 v[201:204], off, off offset:736
	ds_load_b128 v[230:233], v1 offset:1600
	s_waitcnt vmcnt(10) lgkmcnt(2)
	v_mul_f64 v[52:53], v[36:37], v[4:5]
	v_mul_f64 v[4:5], v[34:35], v[4:5]
	s_delay_alu instid0(VALU_DEP_2) | instskip(NEXT) | instid1(VALU_DEP_2)
	v_fma_f64 v[52:53], v[34:35], v[2:3], -v[52:53]
	v_fma_f64 v[56:57], v[36:37], v[2:3], v[4:5]
	ds_load_b128 v[2:5], v1 offset:1584
	s_waitcnt vmcnt(9) lgkmcnt(2)
	v_mul_f64 v[54:55], v[180:181], v[8:9]
	v_mul_f64 v[8:9], v[182:183], v[8:9]
	scratch_load_b128 v[34:37], off, off offset:752
	s_waitcnt vmcnt(9) lgkmcnt(0)
	v_mul_f64 v[58:59], v[2:3], v[12:13]
	v_mul_f64 v[12:13], v[4:5], v[12:13]
	v_add_f64 v[52:53], v[52:53], 0
	v_add_f64 v[56:57], v[56:57], 0
	v_fma_f64 v[54:55], v[182:183], v[6:7], v[54:55]
	v_fma_f64 v[60:61], v[180:181], v[6:7], -v[8:9]
	scratch_load_b128 v[6:9], off, off offset:768
	ds_load_b128 v[180:183], v1 offset:1632
	v_fma_f64 v[58:59], v[4:5], v[10:11], v[58:59]
	v_fma_f64 v[64:65], v[2:3], v[10:11], -v[12:13]
	ds_load_b128 v[2:5], v1 offset:1616
	s_waitcnt vmcnt(9)
	v_mul_f64 v[62:63], v[230:231], v[16:17]
	v_mul_f64 v[16:17], v[232:233], v[16:17]
	scratch_load_b128 v[10:13], off, off offset:784
	v_add_f64 v[54:55], v[56:57], v[54:55]
	v_add_f64 v[52:53], v[52:53], v[60:61]
	s_waitcnt vmcnt(9) lgkmcnt(0)
	v_mul_f64 v[56:57], v[2:3], v[20:21]
	v_mul_f64 v[20:21], v[4:5], v[20:21]
	v_fma_f64 v[60:61], v[232:233], v[14:15], v[62:63]
	v_fma_f64 v[62:63], v[230:231], v[14:15], -v[16:17]
	scratch_load_b128 v[14:17], off, off offset:800
	ds_load_b128 v[230:233], v1 offset:1664
	v_add_f64 v[54:55], v[54:55], v[58:59]
	v_add_f64 v[52:53], v[52:53], v[64:65]
	v_fma_f64 v[56:57], v[4:5], v[18:19], v[56:57]
	v_fma_f64 v[64:65], v[2:3], v[18:19], -v[20:21]
	ds_load_b128 v[2:5], v1 offset:1648
	s_waitcnt vmcnt(9)
	v_mul_f64 v[58:59], v[180:181], v[24:25]
	v_mul_f64 v[24:25], v[182:183], v[24:25]
	scratch_load_b128 v[18:21], off, off offset:816
	v_add_f64 v[54:55], v[54:55], v[60:61]
	v_add_f64 v[52:53], v[52:53], v[62:63]
	s_waitcnt vmcnt(9) lgkmcnt(0)
	v_mul_f64 v[60:61], v[2:3], v[28:29]
	v_mul_f64 v[28:29], v[4:5], v[28:29]
	v_fma_f64 v[58:59], v[182:183], v[22:23], v[58:59]
	v_fma_f64 v[62:63], v[180:181], v[22:23], -v[24:25]
	scratch_load_b128 v[22:25], off, off offset:832
	ds_load_b128 v[180:183], v1 offset:1696
	v_add_f64 v[54:55], v[54:55], v[56:57]
	v_add_f64 v[52:53], v[52:53], v[64:65]
	;; [unrolled: 18-line block ×3, first 2 shown]
	v_fma_f64 v[58:59], v[4:5], v[38:39], v[58:59]
	v_fma_f64 v[66:67], v[2:3], v[38:39], -v[40:41]
	ds_load_b128 v[2:5], v1 offset:1712
	s_waitcnt vmcnt(8)
	v_mul_f64 v[60:61], v[180:181], v[203:204]
	v_mul_f64 v[64:65], v[182:183], v[203:204]
	scratch_load_b128 v[38:41], off, off offset:880
	v_add_f64 v[54:55], v[54:55], v[56:57]
	v_add_f64 v[52:53], v[52:53], v[62:63]
	v_fma_f64 v[60:61], v[182:183], v[201:202], v[60:61]
	v_fma_f64 v[62:63], v[180:181], v[201:202], -v[64:65]
	scratch_load_b128 v[180:183], off, off offset:896
	ds_load_b128 v[201:204], v1 offset:1760
	s_waitcnt vmcnt(9) lgkmcnt(1)
	v_mul_f64 v[56:57], v[2:3], v[36:37]
	v_mul_f64 v[36:37], v[4:5], v[36:37]
	v_add_f64 v[54:55], v[54:55], v[58:59]
	v_add_f64 v[52:53], v[52:53], v[66:67]
	s_delay_alu instid0(VALU_DEP_4) | instskip(NEXT) | instid1(VALU_DEP_4)
	v_fma_f64 v[56:57], v[4:5], v[34:35], v[56:57]
	v_fma_f64 v[64:65], v[2:3], v[34:35], -v[36:37]
	ds_load_b128 v[2:5], v1 offset:1744
	s_waitcnt vmcnt(8)
	v_mul_f64 v[58:59], v[230:231], v[8:9]
	v_mul_f64 v[8:9], v[232:233], v[8:9]
	scratch_load_b128 v[34:37], off, off offset:912
	v_add_f64 v[54:55], v[54:55], v[60:61]
	v_add_f64 v[52:53], v[52:53], v[62:63]
	s_waitcnt vmcnt(8) lgkmcnt(0)
	v_mul_f64 v[60:61], v[2:3], v[12:13]
	v_mul_f64 v[12:13], v[4:5], v[12:13]
	v_fma_f64 v[58:59], v[232:233], v[6:7], v[58:59]
	v_fma_f64 v[62:63], v[230:231], v[6:7], -v[8:9]
	scratch_load_b128 v[6:9], off, off offset:928
	ds_load_b128 v[230:233], v1 offset:1792
	v_add_f64 v[54:55], v[54:55], v[56:57]
	v_add_f64 v[52:53], v[52:53], v[64:65]
	v_fma_f64 v[60:61], v[4:5], v[10:11], v[60:61]
	v_fma_f64 v[64:65], v[2:3], v[10:11], -v[12:13]
	scratch_load_b128 v[10:13], off, off offset:944
	ds_load_b128 v[2:5], v1 offset:1776
	s_waitcnt vmcnt(9)
	v_mul_f64 v[56:57], v[201:202], v[16:17]
	v_mul_f64 v[16:17], v[203:204], v[16:17]
	v_add_f64 v[54:55], v[54:55], v[58:59]
	v_add_f64 v[52:53], v[52:53], v[62:63]
	s_waitcnt vmcnt(8) lgkmcnt(0)
	v_mul_f64 v[58:59], v[2:3], v[20:21]
	v_mul_f64 v[20:21], v[4:5], v[20:21]
	v_fma_f64 v[56:57], v[203:204], v[14:15], v[56:57]
	v_fma_f64 v[14:15], v[201:202], v[14:15], -v[16:17]
	v_add_f64 v[16:17], v[52:53], v[64:65]
	v_add_f64 v[52:53], v[54:55], v[60:61]
	s_waitcnt vmcnt(7)
	v_mul_f64 v[54:55], v[230:231], v[24:25]
	v_mul_f64 v[24:25], v[232:233], v[24:25]
	v_fma_f64 v[58:59], v[4:5], v[18:19], v[58:59]
	v_fma_f64 v[18:19], v[2:3], v[18:19], -v[20:21]
	v_add_f64 v[20:21], v[16:17], v[14:15]
	v_add_f64 v[52:53], v[52:53], v[56:57]
	ds_load_b128 v[2:5], v1 offset:1808
	ds_load_b128 v[14:17], v1 offset:1824
	v_fma_f64 v[54:55], v[232:233], v[22:23], v[54:55]
	v_fma_f64 v[22:23], v[230:231], v[22:23], -v[24:25]
	s_waitcnt vmcnt(6) lgkmcnt(1)
	v_mul_f64 v[56:57], v[2:3], v[28:29]
	v_mul_f64 v[28:29], v[4:5], v[28:29]
	s_waitcnt vmcnt(5) lgkmcnt(0)
	v_mul_f64 v[24:25], v[14:15], v[32:33]
	v_mul_f64 v[32:33], v[16:17], v[32:33]
	v_add_f64 v[18:19], v[20:21], v[18:19]
	v_add_f64 v[20:21], v[52:53], v[58:59]
	v_fma_f64 v[52:53], v[4:5], v[26:27], v[56:57]
	v_fma_f64 v[26:27], v[2:3], v[26:27], -v[28:29]
	v_fma_f64 v[16:17], v[16:17], v[30:31], v[24:25]
	v_fma_f64 v[14:15], v[14:15], v[30:31], -v[32:33]
	v_add_f64 v[22:23], v[18:19], v[22:23]
	v_add_f64 v[28:29], v[20:21], v[54:55]
	ds_load_b128 v[2:5], v1 offset:1840
	ds_load_b128 v[18:21], v1 offset:1856
	s_waitcnt vmcnt(4) lgkmcnt(1)
	v_mul_f64 v[54:55], v[2:3], v[40:41]
	v_mul_f64 v[40:41], v[4:5], v[40:41]
	v_add_f64 v[22:23], v[22:23], v[26:27]
	v_add_f64 v[24:25], v[28:29], v[52:53]
	s_waitcnt vmcnt(3) lgkmcnt(0)
	v_mul_f64 v[26:27], v[18:19], v[182:183]
	v_mul_f64 v[28:29], v[20:21], v[182:183]
	v_fma_f64 v[30:31], v[4:5], v[38:39], v[54:55]
	v_fma_f64 v[32:33], v[2:3], v[38:39], -v[40:41]
	v_add_f64 v[22:23], v[22:23], v[14:15]
	v_add_f64 v[24:25], v[24:25], v[16:17]
	ds_load_b128 v[2:5], v1 offset:1872
	ds_load_b128 v[14:17], v1 offset:1888
	v_fma_f64 v[20:21], v[20:21], v[180:181], v[26:27]
	v_fma_f64 v[18:19], v[18:19], v[180:181], -v[28:29]
	s_waitcnt vmcnt(2) lgkmcnt(1)
	v_mul_f64 v[38:39], v[2:3], v[36:37]
	v_mul_f64 v[36:37], v[4:5], v[36:37]
	s_waitcnt vmcnt(1) lgkmcnt(0)
	v_mul_f64 v[26:27], v[14:15], v[8:9]
	v_add_f64 v[22:23], v[22:23], v[32:33]
	v_add_f64 v[24:25], v[24:25], v[30:31]
	v_mul_f64 v[8:9], v[16:17], v[8:9]
	v_fma_f64 v[28:29], v[4:5], v[34:35], v[38:39]
	v_fma_f64 v[30:31], v[2:3], v[34:35], -v[36:37]
	ds_load_b128 v[2:5], v1 offset:1904
	v_fma_f64 v[16:17], v[16:17], v[6:7], v[26:27]
	v_add_f64 v[18:19], v[22:23], v[18:19]
	v_add_f64 v[20:21], v[24:25], v[20:21]
	v_fma_f64 v[6:7], v[14:15], v[6:7], -v[8:9]
	s_waitcnt vmcnt(0) lgkmcnt(0)
	v_mul_f64 v[22:23], v[2:3], v[12:13]
	v_mul_f64 v[12:13], v[4:5], v[12:13]
	v_add_f64 v[8:9], v[18:19], v[30:31]
	v_add_f64 v[14:15], v[20:21], v[28:29]
	s_delay_alu instid0(VALU_DEP_4) | instskip(NEXT) | instid1(VALU_DEP_4)
	v_fma_f64 v[4:5], v[4:5], v[10:11], v[22:23]
	v_fma_f64 v[2:3], v[2:3], v[10:11], -v[12:13]
	s_delay_alu instid0(VALU_DEP_4) | instskip(NEXT) | instid1(VALU_DEP_4)
	v_add_f64 v[6:7], v[8:9], v[6:7]
	v_add_f64 v[8:9], v[14:15], v[16:17]
	s_delay_alu instid0(VALU_DEP_2) | instskip(NEXT) | instid1(VALU_DEP_2)
	v_add_f64 v[2:3], v[6:7], v[2:3]
	v_add_f64 v[4:5], v[8:9], v[4:5]
	s_delay_alu instid0(VALU_DEP_2) | instskip(NEXT) | instid1(VALU_DEP_2)
	v_add_f64 v[2:3], v[42:43], -v[2:3]
	v_add_f64 v[4:5], v[44:45], -v[4:5]
	scratch_store_b128 off, v[2:5], off offset:576
	v_cmpx_lt_u32_e32 35, v166
	s_cbranch_execz .LBB59_303
; %bb.302:
	scratch_load_b128 v[5:8], v49, off
	v_mov_b32_e32 v2, v1
	v_mov_b32_e32 v3, v1
	;; [unrolled: 1-line block ×3, first 2 shown]
	scratch_store_b128 off, v[1:4], off offset:560
	s_waitcnt vmcnt(0)
	ds_store_b128 v226, v[5:8]
.LBB59_303:
	s_or_b32 exec_lo, exec_lo, s2
	s_waitcnt lgkmcnt(0)
	s_waitcnt_vscnt null, 0x0
	s_barrier
	buffer_gl0_inv
	s_clause 0x8
	scratch_load_b128 v[2:5], off, off offset:576
	scratch_load_b128 v[6:9], off, off offset:592
	;; [unrolled: 1-line block ×9, first 2 shown]
	ds_load_b128 v[38:41], v1 offset:1536
	ds_load_b128 v[42:45], v1 offset:1552
	s_clause 0x1
	scratch_load_b128 v[180:183], off, off offset:560
	scratch_load_b128 v[201:204], off, off offset:720
	s_mov_b32 s2, exec_lo
	ds_load_b128 v[230:233], v1 offset:1584
	ds_load_b128 v[234:237], v1 offset:1744
	s_waitcnt vmcnt(10) lgkmcnt(3)
	v_mul_f64 v[52:53], v[40:41], v[4:5]
	v_mul_f64 v[4:5], v[38:39], v[4:5]
	s_waitcnt vmcnt(9) lgkmcnt(2)
	v_mul_f64 v[54:55], v[42:43], v[8:9]
	v_mul_f64 v[8:9], v[44:45], v[8:9]
	s_delay_alu instid0(VALU_DEP_4) | instskip(NEXT) | instid1(VALU_DEP_4)
	v_fma_f64 v[52:53], v[38:39], v[2:3], -v[52:53]
	v_fma_f64 v[56:57], v[40:41], v[2:3], v[4:5]
	ds_load_b128 v[2:5], v1 offset:1568
	scratch_load_b128 v[38:41], off, off offset:736
	v_fma_f64 v[44:45], v[44:45], v[6:7], v[54:55]
	v_fma_f64 v[42:43], v[42:43], v[6:7], -v[8:9]
	scratch_load_b128 v[6:9], off, off offset:752
	s_waitcnt vmcnt(10) lgkmcnt(0)
	v_mul_f64 v[58:59], v[2:3], v[12:13]
	v_mul_f64 v[12:13], v[4:5], v[12:13]
	v_add_f64 v[52:53], v[52:53], 0
	v_add_f64 v[54:55], v[56:57], 0
	s_waitcnt vmcnt(9)
	v_mul_f64 v[56:57], v[230:231], v[16:17]
	v_mul_f64 v[16:17], v[232:233], v[16:17]
	v_fma_f64 v[58:59], v[4:5], v[10:11], v[58:59]
	v_fma_f64 v[60:61], v[2:3], v[10:11], -v[12:13]
	ds_load_b128 v[2:5], v1 offset:1600
	scratch_load_b128 v[10:13], off, off offset:768
	v_add_f64 v[52:53], v[52:53], v[42:43]
	v_add_f64 v[54:55], v[54:55], v[44:45]
	ds_load_b128 v[42:45], v1 offset:1616
	v_fma_f64 v[56:57], v[232:233], v[14:15], v[56:57]
	v_fma_f64 v[64:65], v[230:231], v[14:15], -v[16:17]
	scratch_load_b128 v[14:17], off, off offset:784
	s_waitcnt vmcnt(10) lgkmcnt(1)
	v_mul_f64 v[62:63], v[2:3], v[20:21]
	v_mul_f64 v[20:21], v[4:5], v[20:21]
	ds_load_b128 v[230:233], v1 offset:1648
	v_add_f64 v[52:53], v[52:53], v[60:61]
	v_add_f64 v[54:55], v[54:55], v[58:59]
	s_waitcnt vmcnt(9) lgkmcnt(1)
	v_mul_f64 v[58:59], v[42:43], v[24:25]
	v_mul_f64 v[24:25], v[44:45], v[24:25]
	v_fma_f64 v[60:61], v[4:5], v[18:19], v[62:63]
	v_fma_f64 v[62:63], v[2:3], v[18:19], -v[20:21]
	ds_load_b128 v[2:5], v1 offset:1632
	scratch_load_b128 v[18:21], off, off offset:800
	v_add_f64 v[52:53], v[52:53], v[64:65]
	v_add_f64 v[54:55], v[54:55], v[56:57]
	s_waitcnt vmcnt(9) lgkmcnt(0)
	v_mul_f64 v[56:57], v[2:3], v[28:29]
	v_mul_f64 v[28:29], v[4:5], v[28:29]
	v_fma_f64 v[44:45], v[44:45], v[22:23], v[58:59]
	v_fma_f64 v[42:43], v[42:43], v[22:23], -v[24:25]
	scratch_load_b128 v[22:25], off, off offset:816
	s_waitcnt vmcnt(9)
	v_mul_f64 v[58:59], v[230:231], v[32:33]
	v_mul_f64 v[32:33], v[232:233], v[32:33]
	v_add_f64 v[52:53], v[52:53], v[62:63]
	v_add_f64 v[54:55], v[54:55], v[60:61]
	v_fma_f64 v[56:57], v[4:5], v[26:27], v[56:57]
	v_fma_f64 v[60:61], v[2:3], v[26:27], -v[28:29]
	ds_load_b128 v[2:5], v1 offset:1664
	scratch_load_b128 v[26:29], off, off offset:832
	v_fma_f64 v[58:59], v[232:233], v[30:31], v[58:59]
	v_fma_f64 v[64:65], v[230:231], v[30:31], -v[32:33]
	scratch_load_b128 v[30:33], off, off offset:848
	ds_load_b128 v[230:233], v1 offset:1712
	v_add_f64 v[52:53], v[52:53], v[42:43]
	v_add_f64 v[54:55], v[54:55], v[44:45]
	ds_load_b128 v[42:45], v1 offset:1680
	s_waitcnt vmcnt(10) lgkmcnt(2)
	v_mul_f64 v[62:63], v[2:3], v[36:37]
	v_mul_f64 v[36:37], v[4:5], v[36:37]
	v_add_f64 v[52:53], v[52:53], v[60:61]
	v_add_f64 v[54:55], v[54:55], v[56:57]
	s_waitcnt vmcnt(8) lgkmcnt(0)
	v_mul_f64 v[56:57], v[42:43], v[203:204]
	v_mul_f64 v[60:61], v[44:45], v[203:204]
	v_fma_f64 v[62:63], v[4:5], v[34:35], v[62:63]
	v_fma_f64 v[66:67], v[2:3], v[34:35], -v[36:37]
	ds_load_b128 v[2:5], v1 offset:1696
	scratch_load_b128 v[34:37], off, off offset:864
	v_add_f64 v[52:53], v[52:53], v[64:65]
	v_add_f64 v[54:55], v[54:55], v[58:59]
	v_fma_f64 v[44:45], v[44:45], v[201:202], v[56:57]
	v_fma_f64 v[56:57], v[42:43], v[201:202], -v[60:61]
	scratch_load_b128 v[201:204], off, off offset:896
	s_waitcnt vmcnt(9) lgkmcnt(0)
	v_mul_f64 v[58:59], v[2:3], v[40:41]
	v_mul_f64 v[64:65], v[4:5], v[40:41]
	scratch_load_b128 v[40:43], off, off offset:880
	s_waitcnt vmcnt(9)
	v_mul_f64 v[60:61], v[230:231], v[8:9]
	v_mul_f64 v[8:9], v[232:233], v[8:9]
	v_add_f64 v[52:53], v[52:53], v[66:67]
	v_add_f64 v[54:55], v[54:55], v[62:63]
	v_fma_f64 v[58:59], v[4:5], v[38:39], v[58:59]
	v_fma_f64 v[38:39], v[2:3], v[38:39], -v[64:65]
	ds_load_b128 v[2:5], v1 offset:1728
	v_add_f64 v[52:53], v[52:53], v[56:57]
	v_add_f64 v[44:45], v[54:55], v[44:45]
	v_fma_f64 v[56:57], v[232:233], v[6:7], v[60:61]
	s_waitcnt vmcnt(8) lgkmcnt(0)
	v_mul_f64 v[54:55], v[2:3], v[12:13]
	v_mul_f64 v[12:13], v[4:5], v[12:13]
	v_fma_f64 v[60:61], v[230:231], v[6:7], -v[8:9]
	scratch_load_b128 v[6:9], off, off offset:912
	ds_load_b128 v[230:233], v1 offset:1776
	v_add_f64 v[38:39], v[52:53], v[38:39]
	v_add_f64 v[44:45], v[44:45], v[58:59]
	s_waitcnt vmcnt(8)
	v_mul_f64 v[52:53], v[234:235], v[16:17]
	v_mul_f64 v[16:17], v[236:237], v[16:17]
	v_fma_f64 v[54:55], v[4:5], v[10:11], v[54:55]
	v_fma_f64 v[58:59], v[2:3], v[10:11], -v[12:13]
	ds_load_b128 v[2:5], v1 offset:1760
	scratch_load_b128 v[10:13], off, off offset:928
	v_add_f64 v[38:39], v[38:39], v[60:61]
	v_add_f64 v[44:45], v[44:45], v[56:57]
	s_waitcnt vmcnt(8) lgkmcnt(0)
	v_mul_f64 v[56:57], v[2:3], v[20:21]
	v_mul_f64 v[20:21], v[4:5], v[20:21]
	v_fma_f64 v[52:53], v[236:237], v[14:15], v[52:53]
	v_fma_f64 v[60:61], v[234:235], v[14:15], -v[16:17]
	scratch_load_b128 v[14:17], off, off offset:944
	v_add_f64 v[38:39], v[38:39], v[58:59]
	v_add_f64 v[44:45], v[44:45], v[54:55]
	s_waitcnt vmcnt(8)
	v_mul_f64 v[54:55], v[230:231], v[24:25]
	v_mul_f64 v[24:25], v[232:233], v[24:25]
	v_fma_f64 v[56:57], v[4:5], v[18:19], v[56:57]
	v_fma_f64 v[58:59], v[2:3], v[18:19], -v[20:21]
	ds_load_b128 v[2:5], v1 offset:1792
	ds_load_b128 v[18:21], v1 offset:1808
	v_add_f64 v[38:39], v[38:39], v[60:61]
	v_add_f64 v[44:45], v[44:45], v[52:53]
	s_waitcnt vmcnt(7) lgkmcnt(1)
	v_mul_f64 v[52:53], v[2:3], v[28:29]
	v_mul_f64 v[28:29], v[4:5], v[28:29]
	v_fma_f64 v[54:55], v[232:233], v[22:23], v[54:55]
	v_fma_f64 v[22:23], v[230:231], v[22:23], -v[24:25]
	v_add_f64 v[24:25], v[38:39], v[58:59]
	v_add_f64 v[38:39], v[44:45], v[56:57]
	s_waitcnt vmcnt(6) lgkmcnt(0)
	v_mul_f64 v[44:45], v[18:19], v[32:33]
	v_mul_f64 v[32:33], v[20:21], v[32:33]
	v_fma_f64 v[52:53], v[4:5], v[26:27], v[52:53]
	v_fma_f64 v[26:27], v[2:3], v[26:27], -v[28:29]
	v_add_f64 v[28:29], v[24:25], v[22:23]
	v_add_f64 v[38:39], v[38:39], v[54:55]
	ds_load_b128 v[2:5], v1 offset:1824
	ds_load_b128 v[22:25], v1 offset:1840
	v_fma_f64 v[20:21], v[20:21], v[30:31], v[44:45]
	v_fma_f64 v[18:19], v[18:19], v[30:31], -v[32:33]
	s_waitcnt vmcnt(5) lgkmcnt(1)
	v_mul_f64 v[54:55], v[2:3], v[36:37]
	v_mul_f64 v[36:37], v[4:5], v[36:37]
	s_waitcnt vmcnt(3) lgkmcnt(0)
	v_mul_f64 v[30:31], v[22:23], v[42:43]
	v_add_f64 v[26:27], v[28:29], v[26:27]
	v_add_f64 v[28:29], v[38:39], v[52:53]
	v_mul_f64 v[32:33], v[24:25], v[42:43]
	v_fma_f64 v[38:39], v[4:5], v[34:35], v[54:55]
	v_fma_f64 v[34:35], v[2:3], v[34:35], -v[36:37]
	v_fma_f64 v[24:25], v[24:25], v[40:41], v[30:31]
	v_add_f64 v[26:27], v[26:27], v[18:19]
	v_add_f64 v[28:29], v[28:29], v[20:21]
	ds_load_b128 v[2:5], v1 offset:1856
	ds_load_b128 v[18:21], v1 offset:1872
	v_fma_f64 v[22:23], v[22:23], v[40:41], -v[32:33]
	s_waitcnt lgkmcnt(1)
	v_mul_f64 v[36:37], v[2:3], v[203:204]
	v_mul_f64 v[42:43], v[4:5], v[203:204]
	s_waitcnt vmcnt(2) lgkmcnt(0)
	v_mul_f64 v[30:31], v[18:19], v[8:9]
	v_mul_f64 v[8:9], v[20:21], v[8:9]
	v_add_f64 v[26:27], v[26:27], v[34:35]
	v_add_f64 v[28:29], v[28:29], v[38:39]
	v_fma_f64 v[32:33], v[4:5], v[201:202], v[36:37]
	v_fma_f64 v[34:35], v[2:3], v[201:202], -v[42:43]
	v_fma_f64 v[20:21], v[20:21], v[6:7], v[30:31]
	v_fma_f64 v[6:7], v[18:19], v[6:7], -v[8:9]
	v_add_f64 v[26:27], v[26:27], v[22:23]
	v_add_f64 v[28:29], v[28:29], v[24:25]
	ds_load_b128 v[2:5], v1 offset:1888
	ds_load_b128 v[22:25], v1 offset:1904
	s_waitcnt vmcnt(1) lgkmcnt(1)
	v_mul_f64 v[36:37], v[2:3], v[12:13]
	v_mul_f64 v[12:13], v[4:5], v[12:13]
	v_add_f64 v[8:9], v[26:27], v[34:35]
	v_add_f64 v[18:19], v[28:29], v[32:33]
	s_waitcnt vmcnt(0) lgkmcnt(0)
	v_mul_f64 v[26:27], v[22:23], v[16:17]
	v_mul_f64 v[16:17], v[24:25], v[16:17]
	v_fma_f64 v[4:5], v[4:5], v[10:11], v[36:37]
	v_fma_f64 v[1:2], v[2:3], v[10:11], -v[12:13]
	v_add_f64 v[6:7], v[8:9], v[6:7]
	v_add_f64 v[8:9], v[18:19], v[20:21]
	v_fma_f64 v[10:11], v[24:25], v[14:15], v[26:27]
	v_fma_f64 v[12:13], v[22:23], v[14:15], -v[16:17]
	s_delay_alu instid0(VALU_DEP_4) | instskip(NEXT) | instid1(VALU_DEP_4)
	v_add_f64 v[1:2], v[6:7], v[1:2]
	v_add_f64 v[3:4], v[8:9], v[4:5]
	s_delay_alu instid0(VALU_DEP_2) | instskip(NEXT) | instid1(VALU_DEP_2)
	v_add_f64 v[1:2], v[1:2], v[12:13]
	v_add_f64 v[3:4], v[3:4], v[10:11]
	s_delay_alu instid0(VALU_DEP_2) | instskip(NEXT) | instid1(VALU_DEP_2)
	v_add_f64 v[1:2], v[180:181], -v[1:2]
	v_add_f64 v[3:4], v[182:183], -v[3:4]
	scratch_store_b128 off, v[1:4], off offset:560
	v_cmpx_lt_u32_e32 34, v166
	s_cbranch_execz .LBB59_305
; %bb.304:
	scratch_load_b128 v[1:4], v50, off
	v_mov_b32_e32 v5, 0
	s_delay_alu instid0(VALU_DEP_1)
	v_mov_b32_e32 v6, v5
	v_mov_b32_e32 v7, v5
	;; [unrolled: 1-line block ×3, first 2 shown]
	scratch_store_b128 off, v[5:8], off offset:544
	s_waitcnt vmcnt(0)
	ds_store_b128 v226, v[1:4]
.LBB59_305:
	s_or_b32 exec_lo, exec_lo, s2
	s_waitcnt lgkmcnt(0)
	s_waitcnt_vscnt null, 0x0
	s_barrier
	buffer_gl0_inv
	s_clause 0x7
	scratch_load_b128 v[2:5], off, off offset:560
	scratch_load_b128 v[6:9], off, off offset:576
	;; [unrolled: 1-line block ×8, first 2 shown]
	v_mov_b32_e32 v1, 0
	s_mov_b32 s2, exec_lo
	ds_load_b128 v[34:37], v1 offset:1520
	s_clause 0x1
	scratch_load_b128 v[38:41], off, off offset:688
	scratch_load_b128 v[42:45], off, off offset:544
	ds_load_b128 v[180:183], v1 offset:1536
	scratch_load_b128 v[201:204], off, off offset:704
	ds_load_b128 v[230:233], v1 offset:1568
	s_waitcnt vmcnt(10) lgkmcnt(2)
	v_mul_f64 v[52:53], v[36:37], v[4:5]
	v_mul_f64 v[4:5], v[34:35], v[4:5]
	s_delay_alu instid0(VALU_DEP_2) | instskip(NEXT) | instid1(VALU_DEP_2)
	v_fma_f64 v[52:53], v[34:35], v[2:3], -v[52:53]
	v_fma_f64 v[56:57], v[36:37], v[2:3], v[4:5]
	ds_load_b128 v[2:5], v1 offset:1552
	s_waitcnt vmcnt(9) lgkmcnt(2)
	v_mul_f64 v[54:55], v[180:181], v[8:9]
	v_mul_f64 v[8:9], v[182:183], v[8:9]
	scratch_load_b128 v[34:37], off, off offset:720
	s_waitcnt vmcnt(9) lgkmcnt(0)
	v_mul_f64 v[58:59], v[2:3], v[12:13]
	v_mul_f64 v[12:13], v[4:5], v[12:13]
	v_add_f64 v[52:53], v[52:53], 0
	v_add_f64 v[56:57], v[56:57], 0
	v_fma_f64 v[54:55], v[182:183], v[6:7], v[54:55]
	v_fma_f64 v[60:61], v[180:181], v[6:7], -v[8:9]
	scratch_load_b128 v[6:9], off, off offset:736
	ds_load_b128 v[180:183], v1 offset:1600
	v_fma_f64 v[58:59], v[4:5], v[10:11], v[58:59]
	v_fma_f64 v[64:65], v[2:3], v[10:11], -v[12:13]
	ds_load_b128 v[2:5], v1 offset:1584
	s_waitcnt vmcnt(9)
	v_mul_f64 v[62:63], v[230:231], v[16:17]
	v_mul_f64 v[16:17], v[232:233], v[16:17]
	scratch_load_b128 v[10:13], off, off offset:752
	v_add_f64 v[54:55], v[56:57], v[54:55]
	v_add_f64 v[52:53], v[52:53], v[60:61]
	s_waitcnt vmcnt(9) lgkmcnt(0)
	v_mul_f64 v[56:57], v[2:3], v[20:21]
	v_mul_f64 v[20:21], v[4:5], v[20:21]
	v_fma_f64 v[60:61], v[232:233], v[14:15], v[62:63]
	v_fma_f64 v[62:63], v[230:231], v[14:15], -v[16:17]
	scratch_load_b128 v[14:17], off, off offset:768
	ds_load_b128 v[230:233], v1 offset:1632
	v_add_f64 v[54:55], v[54:55], v[58:59]
	v_add_f64 v[52:53], v[52:53], v[64:65]
	v_fma_f64 v[56:57], v[4:5], v[18:19], v[56:57]
	v_fma_f64 v[64:65], v[2:3], v[18:19], -v[20:21]
	ds_load_b128 v[2:5], v1 offset:1616
	s_waitcnt vmcnt(9)
	v_mul_f64 v[58:59], v[180:181], v[24:25]
	v_mul_f64 v[24:25], v[182:183], v[24:25]
	scratch_load_b128 v[18:21], off, off offset:784
	v_add_f64 v[54:55], v[54:55], v[60:61]
	v_add_f64 v[52:53], v[52:53], v[62:63]
	s_waitcnt vmcnt(9) lgkmcnt(0)
	v_mul_f64 v[60:61], v[2:3], v[28:29]
	v_mul_f64 v[28:29], v[4:5], v[28:29]
	v_fma_f64 v[58:59], v[182:183], v[22:23], v[58:59]
	v_fma_f64 v[62:63], v[180:181], v[22:23], -v[24:25]
	scratch_load_b128 v[22:25], off, off offset:800
	ds_load_b128 v[180:183], v1 offset:1664
	v_add_f64 v[54:55], v[54:55], v[56:57]
	v_add_f64 v[52:53], v[52:53], v[64:65]
	;; [unrolled: 18-line block ×3, first 2 shown]
	v_fma_f64 v[58:59], v[4:5], v[38:39], v[58:59]
	v_fma_f64 v[66:67], v[2:3], v[38:39], -v[40:41]
	ds_load_b128 v[2:5], v1 offset:1680
	s_waitcnt vmcnt(8)
	v_mul_f64 v[60:61], v[180:181], v[203:204]
	v_mul_f64 v[64:65], v[182:183], v[203:204]
	scratch_load_b128 v[38:41], off, off offset:848
	v_add_f64 v[54:55], v[54:55], v[56:57]
	v_add_f64 v[52:53], v[52:53], v[62:63]
	v_fma_f64 v[60:61], v[182:183], v[201:202], v[60:61]
	v_fma_f64 v[62:63], v[180:181], v[201:202], -v[64:65]
	scratch_load_b128 v[180:183], off, off offset:864
	ds_load_b128 v[201:204], v1 offset:1728
	s_waitcnt vmcnt(9) lgkmcnt(1)
	v_mul_f64 v[56:57], v[2:3], v[36:37]
	v_mul_f64 v[36:37], v[4:5], v[36:37]
	v_add_f64 v[54:55], v[54:55], v[58:59]
	v_add_f64 v[52:53], v[52:53], v[66:67]
	s_delay_alu instid0(VALU_DEP_4) | instskip(NEXT) | instid1(VALU_DEP_4)
	v_fma_f64 v[56:57], v[4:5], v[34:35], v[56:57]
	v_fma_f64 v[64:65], v[2:3], v[34:35], -v[36:37]
	ds_load_b128 v[2:5], v1 offset:1712
	s_waitcnt vmcnt(8)
	v_mul_f64 v[58:59], v[230:231], v[8:9]
	v_mul_f64 v[8:9], v[232:233], v[8:9]
	scratch_load_b128 v[34:37], off, off offset:880
	v_add_f64 v[54:55], v[54:55], v[60:61]
	v_add_f64 v[52:53], v[52:53], v[62:63]
	s_waitcnt vmcnt(8) lgkmcnt(0)
	v_mul_f64 v[60:61], v[2:3], v[12:13]
	v_mul_f64 v[12:13], v[4:5], v[12:13]
	v_fma_f64 v[58:59], v[232:233], v[6:7], v[58:59]
	v_fma_f64 v[62:63], v[230:231], v[6:7], -v[8:9]
	scratch_load_b128 v[6:9], off, off offset:896
	ds_load_b128 v[230:233], v1 offset:1760
	v_add_f64 v[54:55], v[54:55], v[56:57]
	v_add_f64 v[52:53], v[52:53], v[64:65]
	v_fma_f64 v[60:61], v[4:5], v[10:11], v[60:61]
	v_fma_f64 v[64:65], v[2:3], v[10:11], -v[12:13]
	ds_load_b128 v[2:5], v1 offset:1744
	s_waitcnt vmcnt(8)
	v_mul_f64 v[56:57], v[201:202], v[16:17]
	v_mul_f64 v[16:17], v[203:204], v[16:17]
	scratch_load_b128 v[10:13], off, off offset:912
	v_add_f64 v[54:55], v[54:55], v[58:59]
	v_add_f64 v[52:53], v[52:53], v[62:63]
	s_waitcnt vmcnt(8) lgkmcnt(0)
	v_mul_f64 v[58:59], v[2:3], v[20:21]
	v_mul_f64 v[20:21], v[4:5], v[20:21]
	v_fma_f64 v[56:57], v[203:204], v[14:15], v[56:57]
	v_fma_f64 v[62:63], v[201:202], v[14:15], -v[16:17]
	scratch_load_b128 v[14:17], off, off offset:928
	ds_load_b128 v[201:204], v1 offset:1792
	v_add_f64 v[54:55], v[54:55], v[60:61]
	v_add_f64 v[52:53], v[52:53], v[64:65]
	v_fma_f64 v[58:59], v[4:5], v[18:19], v[58:59]
	v_fma_f64 v[64:65], v[2:3], v[18:19], -v[20:21]
	scratch_load_b128 v[18:21], off, off offset:944
	ds_load_b128 v[2:5], v1 offset:1776
	s_waitcnt vmcnt(9)
	v_mul_f64 v[60:61], v[230:231], v[24:25]
	v_mul_f64 v[24:25], v[232:233], v[24:25]
	v_add_f64 v[54:55], v[54:55], v[56:57]
	v_add_f64 v[52:53], v[52:53], v[62:63]
	s_waitcnt vmcnt(8) lgkmcnt(0)
	v_mul_f64 v[56:57], v[2:3], v[28:29]
	v_mul_f64 v[28:29], v[4:5], v[28:29]
	v_fma_f64 v[60:61], v[232:233], v[22:23], v[60:61]
	v_fma_f64 v[22:23], v[230:231], v[22:23], -v[24:25]
	v_add_f64 v[24:25], v[52:53], v[64:65]
	v_add_f64 v[52:53], v[54:55], v[58:59]
	s_waitcnt vmcnt(7)
	v_mul_f64 v[54:55], v[201:202], v[32:33]
	v_mul_f64 v[32:33], v[203:204], v[32:33]
	v_fma_f64 v[56:57], v[4:5], v[26:27], v[56:57]
	v_fma_f64 v[26:27], v[2:3], v[26:27], -v[28:29]
	v_add_f64 v[28:29], v[24:25], v[22:23]
	v_add_f64 v[52:53], v[52:53], v[60:61]
	ds_load_b128 v[2:5], v1 offset:1808
	ds_load_b128 v[22:25], v1 offset:1824
	v_fma_f64 v[54:55], v[203:204], v[30:31], v[54:55]
	v_fma_f64 v[30:31], v[201:202], v[30:31], -v[32:33]
	s_waitcnt vmcnt(6) lgkmcnt(1)
	v_mul_f64 v[58:59], v[2:3], v[40:41]
	v_mul_f64 v[40:41], v[4:5], v[40:41]
	s_waitcnt vmcnt(5) lgkmcnt(0)
	v_mul_f64 v[32:33], v[22:23], v[182:183]
	v_add_f64 v[26:27], v[28:29], v[26:27]
	v_add_f64 v[28:29], v[52:53], v[56:57]
	v_mul_f64 v[52:53], v[24:25], v[182:183]
	v_fma_f64 v[56:57], v[4:5], v[38:39], v[58:59]
	v_fma_f64 v[38:39], v[2:3], v[38:39], -v[40:41]
	v_fma_f64 v[24:25], v[24:25], v[180:181], v[32:33]
	v_add_f64 v[30:31], v[26:27], v[30:31]
	v_add_f64 v[40:41], v[28:29], v[54:55]
	ds_load_b128 v[2:5], v1 offset:1840
	ds_load_b128 v[26:29], v1 offset:1856
	v_fma_f64 v[22:23], v[22:23], v[180:181], -v[52:53]
	s_waitcnt vmcnt(4) lgkmcnt(1)
	v_mul_f64 v[54:55], v[2:3], v[36:37]
	v_mul_f64 v[36:37], v[4:5], v[36:37]
	v_add_f64 v[30:31], v[30:31], v[38:39]
	v_add_f64 v[32:33], v[40:41], v[56:57]
	s_waitcnt vmcnt(3) lgkmcnt(0)
	v_mul_f64 v[38:39], v[26:27], v[8:9]
	v_mul_f64 v[8:9], v[28:29], v[8:9]
	v_fma_f64 v[40:41], v[4:5], v[34:35], v[54:55]
	v_fma_f64 v[34:35], v[2:3], v[34:35], -v[36:37]
	v_add_f64 v[30:31], v[30:31], v[22:23]
	v_add_f64 v[32:33], v[32:33], v[24:25]
	ds_load_b128 v[2:5], v1 offset:1872
	ds_load_b128 v[22:25], v1 offset:1888
	v_fma_f64 v[28:29], v[28:29], v[6:7], v[38:39]
	v_fma_f64 v[6:7], v[26:27], v[6:7], -v[8:9]
	s_waitcnt vmcnt(2) lgkmcnt(1)
	v_mul_f64 v[36:37], v[2:3], v[12:13]
	v_mul_f64 v[12:13], v[4:5], v[12:13]
	v_add_f64 v[8:9], v[30:31], v[34:35]
	v_add_f64 v[26:27], v[32:33], v[40:41]
	s_waitcnt vmcnt(1) lgkmcnt(0)
	v_mul_f64 v[30:31], v[22:23], v[16:17]
	v_mul_f64 v[16:17], v[24:25], v[16:17]
	v_fma_f64 v[32:33], v[4:5], v[10:11], v[36:37]
	v_fma_f64 v[10:11], v[2:3], v[10:11], -v[12:13]
	ds_load_b128 v[2:5], v1 offset:1904
	v_add_f64 v[6:7], v[8:9], v[6:7]
	v_add_f64 v[8:9], v[26:27], v[28:29]
	v_fma_f64 v[24:25], v[24:25], v[14:15], v[30:31]
	v_fma_f64 v[14:15], v[22:23], v[14:15], -v[16:17]
	s_waitcnt vmcnt(0) lgkmcnt(0)
	v_mul_f64 v[12:13], v[2:3], v[20:21]
	v_mul_f64 v[20:21], v[4:5], v[20:21]
	v_add_f64 v[6:7], v[6:7], v[10:11]
	v_add_f64 v[8:9], v[8:9], v[32:33]
	s_delay_alu instid0(VALU_DEP_4) | instskip(NEXT) | instid1(VALU_DEP_4)
	v_fma_f64 v[4:5], v[4:5], v[18:19], v[12:13]
	v_fma_f64 v[2:3], v[2:3], v[18:19], -v[20:21]
	s_delay_alu instid0(VALU_DEP_4) | instskip(NEXT) | instid1(VALU_DEP_4)
	v_add_f64 v[6:7], v[6:7], v[14:15]
	v_add_f64 v[8:9], v[8:9], v[24:25]
	s_delay_alu instid0(VALU_DEP_2) | instskip(NEXT) | instid1(VALU_DEP_2)
	v_add_f64 v[2:3], v[6:7], v[2:3]
	v_add_f64 v[4:5], v[8:9], v[4:5]
	s_delay_alu instid0(VALU_DEP_2) | instskip(NEXT) | instid1(VALU_DEP_2)
	v_add_f64 v[2:3], v[42:43], -v[2:3]
	v_add_f64 v[4:5], v[44:45], -v[4:5]
	scratch_store_b128 off, v[2:5], off offset:544
	v_cmpx_lt_u32_e32 33, v166
	s_cbranch_execz .LBB59_307
; %bb.306:
	scratch_load_b128 v[5:8], v213, off
	v_mov_b32_e32 v2, v1
	v_mov_b32_e32 v3, v1
	;; [unrolled: 1-line block ×3, first 2 shown]
	scratch_store_b128 off, v[1:4], off offset:528
	s_waitcnt vmcnt(0)
	ds_store_b128 v226, v[5:8]
.LBB59_307:
	s_or_b32 exec_lo, exec_lo, s2
	s_waitcnt lgkmcnt(0)
	s_waitcnt_vscnt null, 0x0
	s_barrier
	buffer_gl0_inv
	s_clause 0x8
	scratch_load_b128 v[2:5], off, off offset:544
	scratch_load_b128 v[6:9], off, off offset:560
	;; [unrolled: 1-line block ×9, first 2 shown]
	ds_load_b128 v[38:41], v1 offset:1504
	ds_load_b128 v[42:45], v1 offset:1520
	s_clause 0x1
	scratch_load_b128 v[180:183], off, off offset:528
	scratch_load_b128 v[201:204], off, off offset:688
	s_mov_b32 s2, exec_lo
	ds_load_b128 v[230:233], v1 offset:1552
	ds_load_b128 v[234:237], v1 offset:1712
	s_waitcnt vmcnt(10) lgkmcnt(3)
	v_mul_f64 v[52:53], v[40:41], v[4:5]
	v_mul_f64 v[4:5], v[38:39], v[4:5]
	s_waitcnt vmcnt(9) lgkmcnt(2)
	v_mul_f64 v[54:55], v[42:43], v[8:9]
	v_mul_f64 v[8:9], v[44:45], v[8:9]
	s_delay_alu instid0(VALU_DEP_4) | instskip(NEXT) | instid1(VALU_DEP_4)
	v_fma_f64 v[52:53], v[38:39], v[2:3], -v[52:53]
	v_fma_f64 v[56:57], v[40:41], v[2:3], v[4:5]
	ds_load_b128 v[2:5], v1 offset:1536
	scratch_load_b128 v[38:41], off, off offset:704
	v_fma_f64 v[44:45], v[44:45], v[6:7], v[54:55]
	v_fma_f64 v[42:43], v[42:43], v[6:7], -v[8:9]
	scratch_load_b128 v[6:9], off, off offset:720
	s_waitcnt vmcnt(10) lgkmcnt(0)
	v_mul_f64 v[58:59], v[2:3], v[12:13]
	v_mul_f64 v[12:13], v[4:5], v[12:13]
	v_add_f64 v[52:53], v[52:53], 0
	v_add_f64 v[54:55], v[56:57], 0
	s_waitcnt vmcnt(9)
	v_mul_f64 v[56:57], v[230:231], v[16:17]
	v_mul_f64 v[16:17], v[232:233], v[16:17]
	v_fma_f64 v[58:59], v[4:5], v[10:11], v[58:59]
	v_fma_f64 v[60:61], v[2:3], v[10:11], -v[12:13]
	ds_load_b128 v[2:5], v1 offset:1568
	scratch_load_b128 v[10:13], off, off offset:736
	v_add_f64 v[52:53], v[52:53], v[42:43]
	v_add_f64 v[54:55], v[54:55], v[44:45]
	ds_load_b128 v[42:45], v1 offset:1584
	v_fma_f64 v[56:57], v[232:233], v[14:15], v[56:57]
	v_fma_f64 v[64:65], v[230:231], v[14:15], -v[16:17]
	scratch_load_b128 v[14:17], off, off offset:752
	s_waitcnt vmcnt(10) lgkmcnt(1)
	v_mul_f64 v[62:63], v[2:3], v[20:21]
	v_mul_f64 v[20:21], v[4:5], v[20:21]
	ds_load_b128 v[230:233], v1 offset:1616
	v_add_f64 v[52:53], v[52:53], v[60:61]
	v_add_f64 v[54:55], v[54:55], v[58:59]
	s_waitcnt vmcnt(9) lgkmcnt(1)
	v_mul_f64 v[58:59], v[42:43], v[24:25]
	v_mul_f64 v[24:25], v[44:45], v[24:25]
	v_fma_f64 v[60:61], v[4:5], v[18:19], v[62:63]
	v_fma_f64 v[62:63], v[2:3], v[18:19], -v[20:21]
	ds_load_b128 v[2:5], v1 offset:1600
	scratch_load_b128 v[18:21], off, off offset:768
	v_add_f64 v[52:53], v[52:53], v[64:65]
	v_add_f64 v[54:55], v[54:55], v[56:57]
	s_waitcnt vmcnt(9) lgkmcnt(0)
	v_mul_f64 v[56:57], v[2:3], v[28:29]
	v_mul_f64 v[28:29], v[4:5], v[28:29]
	v_fma_f64 v[44:45], v[44:45], v[22:23], v[58:59]
	v_fma_f64 v[42:43], v[42:43], v[22:23], -v[24:25]
	scratch_load_b128 v[22:25], off, off offset:784
	s_waitcnt vmcnt(9)
	v_mul_f64 v[58:59], v[230:231], v[32:33]
	v_mul_f64 v[32:33], v[232:233], v[32:33]
	v_add_f64 v[52:53], v[52:53], v[62:63]
	v_add_f64 v[54:55], v[54:55], v[60:61]
	v_fma_f64 v[56:57], v[4:5], v[26:27], v[56:57]
	v_fma_f64 v[60:61], v[2:3], v[26:27], -v[28:29]
	ds_load_b128 v[2:5], v1 offset:1632
	scratch_load_b128 v[26:29], off, off offset:800
	v_fma_f64 v[58:59], v[232:233], v[30:31], v[58:59]
	v_fma_f64 v[64:65], v[230:231], v[30:31], -v[32:33]
	scratch_load_b128 v[30:33], off, off offset:816
	ds_load_b128 v[230:233], v1 offset:1680
	v_add_f64 v[52:53], v[52:53], v[42:43]
	v_add_f64 v[54:55], v[54:55], v[44:45]
	ds_load_b128 v[42:45], v1 offset:1648
	s_waitcnt vmcnt(10) lgkmcnt(2)
	v_mul_f64 v[62:63], v[2:3], v[36:37]
	v_mul_f64 v[36:37], v[4:5], v[36:37]
	v_add_f64 v[52:53], v[52:53], v[60:61]
	v_add_f64 v[54:55], v[54:55], v[56:57]
	s_waitcnt vmcnt(8) lgkmcnt(0)
	v_mul_f64 v[56:57], v[42:43], v[203:204]
	v_mul_f64 v[60:61], v[44:45], v[203:204]
	v_fma_f64 v[62:63], v[4:5], v[34:35], v[62:63]
	v_fma_f64 v[66:67], v[2:3], v[34:35], -v[36:37]
	ds_load_b128 v[2:5], v1 offset:1664
	scratch_load_b128 v[34:37], off, off offset:832
	v_add_f64 v[52:53], v[52:53], v[64:65]
	v_add_f64 v[54:55], v[54:55], v[58:59]
	v_fma_f64 v[44:45], v[44:45], v[201:202], v[56:57]
	v_fma_f64 v[56:57], v[42:43], v[201:202], -v[60:61]
	scratch_load_b128 v[201:204], off, off offset:864
	s_waitcnt vmcnt(9) lgkmcnt(0)
	v_mul_f64 v[58:59], v[2:3], v[40:41]
	v_mul_f64 v[64:65], v[4:5], v[40:41]
	scratch_load_b128 v[40:43], off, off offset:848
	s_waitcnt vmcnt(9)
	v_mul_f64 v[60:61], v[230:231], v[8:9]
	v_mul_f64 v[8:9], v[232:233], v[8:9]
	v_add_f64 v[52:53], v[52:53], v[66:67]
	v_add_f64 v[54:55], v[54:55], v[62:63]
	v_fma_f64 v[58:59], v[4:5], v[38:39], v[58:59]
	v_fma_f64 v[38:39], v[2:3], v[38:39], -v[64:65]
	ds_load_b128 v[2:5], v1 offset:1696
	v_add_f64 v[52:53], v[52:53], v[56:57]
	v_add_f64 v[44:45], v[54:55], v[44:45]
	v_fma_f64 v[56:57], v[232:233], v[6:7], v[60:61]
	s_waitcnt vmcnt(8) lgkmcnt(0)
	v_mul_f64 v[54:55], v[2:3], v[12:13]
	v_mul_f64 v[12:13], v[4:5], v[12:13]
	v_fma_f64 v[60:61], v[230:231], v[6:7], -v[8:9]
	scratch_load_b128 v[6:9], off, off offset:880
	ds_load_b128 v[230:233], v1 offset:1744
	v_add_f64 v[38:39], v[52:53], v[38:39]
	v_add_f64 v[44:45], v[44:45], v[58:59]
	s_waitcnt vmcnt(8)
	v_mul_f64 v[52:53], v[234:235], v[16:17]
	v_mul_f64 v[16:17], v[236:237], v[16:17]
	v_fma_f64 v[54:55], v[4:5], v[10:11], v[54:55]
	v_fma_f64 v[58:59], v[2:3], v[10:11], -v[12:13]
	ds_load_b128 v[2:5], v1 offset:1728
	scratch_load_b128 v[10:13], off, off offset:896
	v_add_f64 v[38:39], v[38:39], v[60:61]
	v_add_f64 v[44:45], v[44:45], v[56:57]
	s_waitcnt vmcnt(8) lgkmcnt(0)
	v_mul_f64 v[56:57], v[2:3], v[20:21]
	v_mul_f64 v[20:21], v[4:5], v[20:21]
	v_fma_f64 v[52:53], v[236:237], v[14:15], v[52:53]
	v_fma_f64 v[60:61], v[234:235], v[14:15], -v[16:17]
	scratch_load_b128 v[14:17], off, off offset:912
	ds_load_b128 v[234:237], v1 offset:1776
	v_add_f64 v[38:39], v[38:39], v[58:59]
	v_add_f64 v[44:45], v[44:45], v[54:55]
	s_waitcnt vmcnt(8)
	v_mul_f64 v[54:55], v[230:231], v[24:25]
	v_mul_f64 v[24:25], v[232:233], v[24:25]
	v_fma_f64 v[56:57], v[4:5], v[18:19], v[56:57]
	v_fma_f64 v[58:59], v[2:3], v[18:19], -v[20:21]
	ds_load_b128 v[2:5], v1 offset:1760
	scratch_load_b128 v[18:21], off, off offset:928
	v_add_f64 v[38:39], v[38:39], v[60:61]
	v_add_f64 v[44:45], v[44:45], v[52:53]
	s_waitcnt vmcnt(8) lgkmcnt(0)
	v_mul_f64 v[52:53], v[2:3], v[28:29]
	v_mul_f64 v[28:29], v[4:5], v[28:29]
	v_fma_f64 v[54:55], v[232:233], v[22:23], v[54:55]
	v_fma_f64 v[60:61], v[230:231], v[22:23], -v[24:25]
	scratch_load_b128 v[22:25], off, off offset:944
	v_add_f64 v[38:39], v[38:39], v[58:59]
	v_add_f64 v[44:45], v[44:45], v[56:57]
	s_waitcnt vmcnt(8)
	v_mul_f64 v[56:57], v[234:235], v[32:33]
	v_mul_f64 v[32:33], v[236:237], v[32:33]
	v_fma_f64 v[52:53], v[4:5], v[26:27], v[52:53]
	v_fma_f64 v[58:59], v[2:3], v[26:27], -v[28:29]
	ds_load_b128 v[2:5], v1 offset:1792
	ds_load_b128 v[26:29], v1 offset:1808
	v_add_f64 v[38:39], v[38:39], v[60:61]
	v_add_f64 v[44:45], v[44:45], v[54:55]
	s_waitcnt vmcnt(7) lgkmcnt(1)
	v_mul_f64 v[54:55], v[2:3], v[36:37]
	v_mul_f64 v[36:37], v[4:5], v[36:37]
	v_fma_f64 v[56:57], v[236:237], v[30:31], v[56:57]
	v_fma_f64 v[30:31], v[234:235], v[30:31], -v[32:33]
	v_add_f64 v[32:33], v[38:39], v[58:59]
	v_add_f64 v[38:39], v[44:45], v[52:53]
	s_waitcnt vmcnt(5) lgkmcnt(0)
	v_mul_f64 v[44:45], v[26:27], v[42:43]
	v_mul_f64 v[42:43], v[28:29], v[42:43]
	v_fma_f64 v[52:53], v[4:5], v[34:35], v[54:55]
	v_fma_f64 v[34:35], v[2:3], v[34:35], -v[36:37]
	v_add_f64 v[36:37], v[32:33], v[30:31]
	v_add_f64 v[38:39], v[38:39], v[56:57]
	ds_load_b128 v[2:5], v1 offset:1824
	ds_load_b128 v[30:33], v1 offset:1840
	v_fma_f64 v[28:29], v[28:29], v[40:41], v[44:45]
	v_fma_f64 v[26:27], v[26:27], v[40:41], -v[42:43]
	s_waitcnt lgkmcnt(1)
	v_mul_f64 v[54:55], v[2:3], v[203:204]
	v_mul_f64 v[56:57], v[4:5], v[203:204]
	v_add_f64 v[34:35], v[36:37], v[34:35]
	v_add_f64 v[36:37], v[38:39], v[52:53]
	s_waitcnt vmcnt(4) lgkmcnt(0)
	v_mul_f64 v[38:39], v[30:31], v[8:9]
	v_mul_f64 v[8:9], v[32:33], v[8:9]
	v_fma_f64 v[40:41], v[4:5], v[201:202], v[54:55]
	v_fma_f64 v[42:43], v[2:3], v[201:202], -v[56:57]
	v_add_f64 v[34:35], v[34:35], v[26:27]
	v_add_f64 v[36:37], v[36:37], v[28:29]
	ds_load_b128 v[2:5], v1 offset:1856
	ds_load_b128 v[26:29], v1 offset:1872
	v_fma_f64 v[32:33], v[32:33], v[6:7], v[38:39]
	v_fma_f64 v[6:7], v[30:31], v[6:7], -v[8:9]
	s_waitcnt vmcnt(3) lgkmcnt(1)
	v_mul_f64 v[44:45], v[2:3], v[12:13]
	v_mul_f64 v[12:13], v[4:5], v[12:13]
	v_add_f64 v[8:9], v[34:35], v[42:43]
	v_add_f64 v[30:31], v[36:37], v[40:41]
	s_waitcnt vmcnt(2) lgkmcnt(0)
	v_mul_f64 v[34:35], v[26:27], v[16:17]
	v_mul_f64 v[16:17], v[28:29], v[16:17]
	v_fma_f64 v[36:37], v[4:5], v[10:11], v[44:45]
	v_fma_f64 v[10:11], v[2:3], v[10:11], -v[12:13]
	v_add_f64 v[12:13], v[8:9], v[6:7]
	v_add_f64 v[30:31], v[30:31], v[32:33]
	ds_load_b128 v[2:5], v1 offset:1888
	ds_load_b128 v[6:9], v1 offset:1904
	v_fma_f64 v[28:29], v[28:29], v[14:15], v[34:35]
	v_fma_f64 v[14:15], v[26:27], v[14:15], -v[16:17]
	s_waitcnt vmcnt(1) lgkmcnt(1)
	v_mul_f64 v[32:33], v[2:3], v[20:21]
	v_mul_f64 v[20:21], v[4:5], v[20:21]
	s_waitcnt vmcnt(0) lgkmcnt(0)
	v_mul_f64 v[16:17], v[6:7], v[24:25]
	v_mul_f64 v[24:25], v[8:9], v[24:25]
	v_add_f64 v[10:11], v[12:13], v[10:11]
	v_add_f64 v[12:13], v[30:31], v[36:37]
	v_fma_f64 v[4:5], v[4:5], v[18:19], v[32:33]
	v_fma_f64 v[1:2], v[2:3], v[18:19], -v[20:21]
	v_fma_f64 v[8:9], v[8:9], v[22:23], v[16:17]
	v_fma_f64 v[6:7], v[6:7], v[22:23], -v[24:25]
	v_add_f64 v[10:11], v[10:11], v[14:15]
	v_add_f64 v[12:13], v[12:13], v[28:29]
	s_delay_alu instid0(VALU_DEP_2) | instskip(NEXT) | instid1(VALU_DEP_2)
	v_add_f64 v[1:2], v[10:11], v[1:2]
	v_add_f64 v[3:4], v[12:13], v[4:5]
	s_delay_alu instid0(VALU_DEP_2) | instskip(NEXT) | instid1(VALU_DEP_2)
	;; [unrolled: 3-line block ×3, first 2 shown]
	v_add_f64 v[1:2], v[180:181], -v[1:2]
	v_add_f64 v[3:4], v[182:183], -v[3:4]
	scratch_store_b128 off, v[1:4], off offset:528
	v_cmpx_lt_u32_e32 32, v166
	s_cbranch_execz .LBB59_309
; %bb.308:
	scratch_load_b128 v[1:4], v216, off
	v_mov_b32_e32 v5, 0
	s_delay_alu instid0(VALU_DEP_1)
	v_mov_b32_e32 v6, v5
	v_mov_b32_e32 v7, v5
	v_mov_b32_e32 v8, v5
	scratch_store_b128 off, v[5:8], off offset:512
	s_waitcnt vmcnt(0)
	ds_store_b128 v226, v[1:4]
.LBB59_309:
	s_or_b32 exec_lo, exec_lo, s2
	s_waitcnt lgkmcnt(0)
	s_waitcnt_vscnt null, 0x0
	s_barrier
	buffer_gl0_inv
	s_clause 0x7
	scratch_load_b128 v[2:5], off, off offset:528
	scratch_load_b128 v[6:9], off, off offset:544
	;; [unrolled: 1-line block ×8, first 2 shown]
	v_mov_b32_e32 v1, 0
	s_mov_b32 s2, exec_lo
	ds_load_b128 v[38:41], v1 offset:1488
	s_clause 0x1
	scratch_load_b128 v[34:37], off, off offset:656
	scratch_load_b128 v[42:45], off, off offset:512
	ds_load_b128 v[180:183], v1 offset:1504
	scratch_load_b128 v[201:204], off, off offset:672
	ds_load_b128 v[230:233], v1 offset:1536
	s_waitcnt vmcnt(10) lgkmcnt(2)
	v_mul_f64 v[52:53], v[40:41], v[4:5]
	v_mul_f64 v[4:5], v[38:39], v[4:5]
	s_delay_alu instid0(VALU_DEP_2) | instskip(NEXT) | instid1(VALU_DEP_2)
	v_fma_f64 v[52:53], v[38:39], v[2:3], -v[52:53]
	v_fma_f64 v[56:57], v[40:41], v[2:3], v[4:5]
	ds_load_b128 v[2:5], v1 offset:1520
	s_waitcnt vmcnt(9) lgkmcnt(2)
	v_mul_f64 v[54:55], v[180:181], v[8:9]
	v_mul_f64 v[8:9], v[182:183], v[8:9]
	scratch_load_b128 v[38:41], off, off offset:688
	s_waitcnt vmcnt(9) lgkmcnt(0)
	v_mul_f64 v[58:59], v[2:3], v[12:13]
	v_mul_f64 v[12:13], v[4:5], v[12:13]
	v_add_f64 v[52:53], v[52:53], 0
	v_add_f64 v[56:57], v[56:57], 0
	v_fma_f64 v[54:55], v[182:183], v[6:7], v[54:55]
	v_fma_f64 v[60:61], v[180:181], v[6:7], -v[8:9]
	scratch_load_b128 v[6:9], off, off offset:704
	ds_load_b128 v[180:183], v1 offset:1568
	v_fma_f64 v[58:59], v[4:5], v[10:11], v[58:59]
	v_fma_f64 v[64:65], v[2:3], v[10:11], -v[12:13]
	ds_load_b128 v[2:5], v1 offset:1552
	s_waitcnt vmcnt(9)
	v_mul_f64 v[62:63], v[230:231], v[16:17]
	v_mul_f64 v[16:17], v[232:233], v[16:17]
	scratch_load_b128 v[10:13], off, off offset:720
	v_add_f64 v[54:55], v[56:57], v[54:55]
	v_add_f64 v[52:53], v[52:53], v[60:61]
	s_waitcnt vmcnt(9) lgkmcnt(0)
	v_mul_f64 v[56:57], v[2:3], v[20:21]
	v_mul_f64 v[20:21], v[4:5], v[20:21]
	v_fma_f64 v[60:61], v[232:233], v[14:15], v[62:63]
	v_fma_f64 v[62:63], v[230:231], v[14:15], -v[16:17]
	scratch_load_b128 v[14:17], off, off offset:736
	ds_load_b128 v[230:233], v1 offset:1600
	v_add_f64 v[54:55], v[54:55], v[58:59]
	v_add_f64 v[52:53], v[52:53], v[64:65]
	v_fma_f64 v[56:57], v[4:5], v[18:19], v[56:57]
	v_fma_f64 v[64:65], v[2:3], v[18:19], -v[20:21]
	ds_load_b128 v[2:5], v1 offset:1584
	s_waitcnt vmcnt(9)
	v_mul_f64 v[58:59], v[180:181], v[24:25]
	v_mul_f64 v[24:25], v[182:183], v[24:25]
	scratch_load_b128 v[18:21], off, off offset:752
	v_add_f64 v[54:55], v[54:55], v[60:61]
	v_add_f64 v[52:53], v[52:53], v[62:63]
	s_waitcnt vmcnt(9) lgkmcnt(0)
	v_mul_f64 v[60:61], v[2:3], v[28:29]
	v_mul_f64 v[28:29], v[4:5], v[28:29]
	v_fma_f64 v[58:59], v[182:183], v[22:23], v[58:59]
	v_fma_f64 v[62:63], v[180:181], v[22:23], -v[24:25]
	scratch_load_b128 v[22:25], off, off offset:768
	ds_load_b128 v[180:183], v1 offset:1632
	v_add_f64 v[54:55], v[54:55], v[56:57]
	v_add_f64 v[52:53], v[52:53], v[64:65]
	;; [unrolled: 18-line block ×3, first 2 shown]
	v_fma_f64 v[58:59], v[4:5], v[34:35], v[58:59]
	v_fma_f64 v[66:67], v[2:3], v[34:35], -v[36:37]
	ds_load_b128 v[2:5], v1 offset:1648
	s_waitcnt vmcnt(8)
	v_mul_f64 v[60:61], v[180:181], v[203:204]
	v_mul_f64 v[64:65], v[182:183], v[203:204]
	scratch_load_b128 v[34:37], off, off offset:816
	v_add_f64 v[54:55], v[54:55], v[56:57]
	v_add_f64 v[52:53], v[52:53], v[62:63]
	v_fma_f64 v[60:61], v[182:183], v[201:202], v[60:61]
	v_fma_f64 v[62:63], v[180:181], v[201:202], -v[64:65]
	scratch_load_b128 v[180:183], off, off offset:832
	ds_load_b128 v[201:204], v1 offset:1696
	s_waitcnt vmcnt(9) lgkmcnt(1)
	v_mul_f64 v[56:57], v[2:3], v[40:41]
	v_mul_f64 v[40:41], v[4:5], v[40:41]
	v_add_f64 v[54:55], v[54:55], v[58:59]
	v_add_f64 v[52:53], v[52:53], v[66:67]
	s_delay_alu instid0(VALU_DEP_4) | instskip(NEXT) | instid1(VALU_DEP_4)
	v_fma_f64 v[56:57], v[4:5], v[38:39], v[56:57]
	v_fma_f64 v[64:65], v[2:3], v[38:39], -v[40:41]
	ds_load_b128 v[2:5], v1 offset:1680
	s_waitcnt vmcnt(8)
	v_mul_f64 v[58:59], v[230:231], v[8:9]
	v_mul_f64 v[8:9], v[232:233], v[8:9]
	scratch_load_b128 v[38:41], off, off offset:848
	v_add_f64 v[54:55], v[54:55], v[60:61]
	v_add_f64 v[52:53], v[52:53], v[62:63]
	s_waitcnt vmcnt(8) lgkmcnt(0)
	v_mul_f64 v[60:61], v[2:3], v[12:13]
	v_mul_f64 v[12:13], v[4:5], v[12:13]
	v_fma_f64 v[58:59], v[232:233], v[6:7], v[58:59]
	v_fma_f64 v[62:63], v[230:231], v[6:7], -v[8:9]
	scratch_load_b128 v[6:9], off, off offset:864
	ds_load_b128 v[230:233], v1 offset:1728
	v_add_f64 v[54:55], v[54:55], v[56:57]
	v_add_f64 v[52:53], v[52:53], v[64:65]
	v_fma_f64 v[60:61], v[4:5], v[10:11], v[60:61]
	v_fma_f64 v[64:65], v[2:3], v[10:11], -v[12:13]
	ds_load_b128 v[2:5], v1 offset:1712
	s_waitcnt vmcnt(8)
	v_mul_f64 v[56:57], v[201:202], v[16:17]
	v_mul_f64 v[16:17], v[203:204], v[16:17]
	scratch_load_b128 v[10:13], off, off offset:880
	v_add_f64 v[54:55], v[54:55], v[58:59]
	v_add_f64 v[52:53], v[52:53], v[62:63]
	s_waitcnt vmcnt(8) lgkmcnt(0)
	v_mul_f64 v[58:59], v[2:3], v[20:21]
	v_mul_f64 v[20:21], v[4:5], v[20:21]
	v_fma_f64 v[56:57], v[203:204], v[14:15], v[56:57]
	v_fma_f64 v[62:63], v[201:202], v[14:15], -v[16:17]
	scratch_load_b128 v[14:17], off, off offset:896
	ds_load_b128 v[201:204], v1 offset:1760
	v_add_f64 v[54:55], v[54:55], v[60:61]
	v_add_f64 v[52:53], v[52:53], v[64:65]
	v_fma_f64 v[58:59], v[4:5], v[18:19], v[58:59]
	v_fma_f64 v[64:65], v[2:3], v[18:19], -v[20:21]
	ds_load_b128 v[2:5], v1 offset:1744
	s_waitcnt vmcnt(8)
	v_mul_f64 v[60:61], v[230:231], v[24:25]
	v_mul_f64 v[24:25], v[232:233], v[24:25]
	scratch_load_b128 v[18:21], off, off offset:912
	v_add_f64 v[54:55], v[54:55], v[56:57]
	v_add_f64 v[52:53], v[52:53], v[62:63]
	s_waitcnt vmcnt(8) lgkmcnt(0)
	v_mul_f64 v[56:57], v[2:3], v[28:29]
	v_mul_f64 v[28:29], v[4:5], v[28:29]
	v_fma_f64 v[60:61], v[232:233], v[22:23], v[60:61]
	v_fma_f64 v[62:63], v[230:231], v[22:23], -v[24:25]
	scratch_load_b128 v[22:25], off, off offset:928
	ds_load_b128 v[230:233], v1 offset:1792
	v_add_f64 v[54:55], v[54:55], v[58:59]
	v_add_f64 v[52:53], v[52:53], v[64:65]
	v_fma_f64 v[56:57], v[4:5], v[26:27], v[56:57]
	v_fma_f64 v[64:65], v[2:3], v[26:27], -v[28:29]
	scratch_load_b128 v[26:29], off, off offset:944
	ds_load_b128 v[2:5], v1 offset:1776
	s_waitcnt vmcnt(9)
	v_mul_f64 v[58:59], v[201:202], v[32:33]
	v_mul_f64 v[32:33], v[203:204], v[32:33]
	v_add_f64 v[54:55], v[54:55], v[60:61]
	v_add_f64 v[52:53], v[52:53], v[62:63]
	s_waitcnt vmcnt(8) lgkmcnt(0)
	v_mul_f64 v[60:61], v[2:3], v[36:37]
	v_mul_f64 v[36:37], v[4:5], v[36:37]
	v_fma_f64 v[58:59], v[203:204], v[30:31], v[58:59]
	v_fma_f64 v[30:31], v[201:202], v[30:31], -v[32:33]
	v_add_f64 v[32:33], v[52:53], v[64:65]
	v_add_f64 v[52:53], v[54:55], v[56:57]
	s_waitcnt vmcnt(7)
	v_mul_f64 v[54:55], v[230:231], v[182:183]
	v_mul_f64 v[56:57], v[232:233], v[182:183]
	v_fma_f64 v[60:61], v[4:5], v[34:35], v[60:61]
	v_fma_f64 v[34:35], v[2:3], v[34:35], -v[36:37]
	v_add_f64 v[36:37], v[32:33], v[30:31]
	v_add_f64 v[52:53], v[52:53], v[58:59]
	ds_load_b128 v[2:5], v1 offset:1808
	ds_load_b128 v[30:33], v1 offset:1824
	v_fma_f64 v[54:55], v[232:233], v[180:181], v[54:55]
	v_fma_f64 v[56:57], v[230:231], v[180:181], -v[56:57]
	s_waitcnt vmcnt(6) lgkmcnt(1)
	v_mul_f64 v[58:59], v[2:3], v[40:41]
	v_mul_f64 v[40:41], v[4:5], v[40:41]
	v_add_f64 v[34:35], v[36:37], v[34:35]
	v_add_f64 v[36:37], v[52:53], v[60:61]
	s_waitcnt vmcnt(5) lgkmcnt(0)
	v_mul_f64 v[52:53], v[30:31], v[8:9]
	v_mul_f64 v[8:9], v[32:33], v[8:9]
	v_fma_f64 v[58:59], v[4:5], v[38:39], v[58:59]
	v_fma_f64 v[38:39], v[2:3], v[38:39], -v[40:41]
	v_add_f64 v[40:41], v[34:35], v[56:57]
	v_add_f64 v[54:55], v[36:37], v[54:55]
	ds_load_b128 v[2:5], v1 offset:1840
	ds_load_b128 v[34:37], v1 offset:1856
	v_fma_f64 v[32:33], v[32:33], v[6:7], v[52:53]
	v_fma_f64 v[6:7], v[30:31], v[6:7], -v[8:9]
	s_waitcnt vmcnt(4) lgkmcnt(1)
	v_mul_f64 v[56:57], v[2:3], v[12:13]
	v_mul_f64 v[12:13], v[4:5], v[12:13]
	v_add_f64 v[8:9], v[40:41], v[38:39]
	v_add_f64 v[30:31], v[54:55], v[58:59]
	s_waitcnt vmcnt(3) lgkmcnt(0)
	v_mul_f64 v[38:39], v[34:35], v[16:17]
	v_mul_f64 v[16:17], v[36:37], v[16:17]
	v_fma_f64 v[40:41], v[4:5], v[10:11], v[56:57]
	v_fma_f64 v[10:11], v[2:3], v[10:11], -v[12:13]
	v_add_f64 v[12:13], v[8:9], v[6:7]
	v_add_f64 v[30:31], v[30:31], v[32:33]
	ds_load_b128 v[2:5], v1 offset:1872
	ds_load_b128 v[6:9], v1 offset:1888
	v_fma_f64 v[36:37], v[36:37], v[14:15], v[38:39]
	v_fma_f64 v[14:15], v[34:35], v[14:15], -v[16:17]
	s_waitcnt vmcnt(2) lgkmcnt(1)
	v_mul_f64 v[32:33], v[2:3], v[20:21]
	v_mul_f64 v[20:21], v[4:5], v[20:21]
	s_waitcnt vmcnt(1) lgkmcnt(0)
	v_mul_f64 v[16:17], v[6:7], v[24:25]
	v_mul_f64 v[24:25], v[8:9], v[24:25]
	v_add_f64 v[10:11], v[12:13], v[10:11]
	v_add_f64 v[12:13], v[30:31], v[40:41]
	v_fma_f64 v[30:31], v[4:5], v[18:19], v[32:33]
	v_fma_f64 v[18:19], v[2:3], v[18:19], -v[20:21]
	ds_load_b128 v[2:5], v1 offset:1904
	v_fma_f64 v[8:9], v[8:9], v[22:23], v[16:17]
	v_fma_f64 v[6:7], v[6:7], v[22:23], -v[24:25]
	v_add_f64 v[10:11], v[10:11], v[14:15]
	v_add_f64 v[12:13], v[12:13], v[36:37]
	s_waitcnt vmcnt(0) lgkmcnt(0)
	v_mul_f64 v[14:15], v[2:3], v[28:29]
	v_mul_f64 v[20:21], v[4:5], v[28:29]
	s_delay_alu instid0(VALU_DEP_4) | instskip(NEXT) | instid1(VALU_DEP_4)
	v_add_f64 v[10:11], v[10:11], v[18:19]
	v_add_f64 v[12:13], v[12:13], v[30:31]
	s_delay_alu instid0(VALU_DEP_4) | instskip(NEXT) | instid1(VALU_DEP_4)
	v_fma_f64 v[4:5], v[4:5], v[26:27], v[14:15]
	v_fma_f64 v[2:3], v[2:3], v[26:27], -v[20:21]
	s_delay_alu instid0(VALU_DEP_4) | instskip(NEXT) | instid1(VALU_DEP_4)
	v_add_f64 v[6:7], v[10:11], v[6:7]
	v_add_f64 v[8:9], v[12:13], v[8:9]
	s_delay_alu instid0(VALU_DEP_2) | instskip(NEXT) | instid1(VALU_DEP_2)
	v_add_f64 v[2:3], v[6:7], v[2:3]
	v_add_f64 v[4:5], v[8:9], v[4:5]
	s_delay_alu instid0(VALU_DEP_2) | instskip(NEXT) | instid1(VALU_DEP_2)
	v_add_f64 v[2:3], v[42:43], -v[2:3]
	v_add_f64 v[4:5], v[44:45], -v[4:5]
	scratch_store_b128 off, v[2:5], off offset:512
	v_cmpx_lt_u32_e32 31, v166
	s_cbranch_execz .LBB59_311
; %bb.310:
	scratch_load_b128 v[5:8], v223, off
	v_mov_b32_e32 v2, v1
	v_mov_b32_e32 v3, v1
	;; [unrolled: 1-line block ×3, first 2 shown]
	scratch_store_b128 off, v[1:4], off offset:496
	s_waitcnt vmcnt(0)
	ds_store_b128 v226, v[5:8]
.LBB59_311:
	s_or_b32 exec_lo, exec_lo, s2
	s_waitcnt lgkmcnt(0)
	s_waitcnt_vscnt null, 0x0
	s_barrier
	buffer_gl0_inv
	s_clause 0x8
	scratch_load_b128 v[2:5], off, off offset:512
	scratch_load_b128 v[6:9], off, off offset:528
	;; [unrolled: 1-line block ×9, first 2 shown]
	ds_load_b128 v[42:45], v1 offset:1472
	ds_load_b128 v[38:41], v1 offset:1488
	s_clause 0x1
	scratch_load_b128 v[180:183], off, off offset:496
	scratch_load_b128 v[201:204], off, off offset:656
	s_mov_b32 s2, exec_lo
	ds_load_b128 v[230:233], v1 offset:1520
	s_waitcnt vmcnt(10) lgkmcnt(2)
	v_mul_f64 v[52:53], v[44:45], v[4:5]
	v_mul_f64 v[4:5], v[42:43], v[4:5]
	s_waitcnt vmcnt(9) lgkmcnt(1)
	v_mul_f64 v[54:55], v[38:39], v[8:9]
	v_mul_f64 v[8:9], v[40:41], v[8:9]
	s_delay_alu instid0(VALU_DEP_4) | instskip(NEXT) | instid1(VALU_DEP_4)
	v_fma_f64 v[52:53], v[42:43], v[2:3], -v[52:53]
	v_fma_f64 v[56:57], v[44:45], v[2:3], v[4:5]
	ds_load_b128 v[2:5], v1 offset:1504
	scratch_load_b128 v[42:45], off, off offset:672
	v_fma_f64 v[40:41], v[40:41], v[6:7], v[54:55]
	v_fma_f64 v[38:39], v[38:39], v[6:7], -v[8:9]
	scratch_load_b128 v[6:9], off, off offset:688
	s_waitcnt vmcnt(10) lgkmcnt(0)
	v_mul_f64 v[58:59], v[2:3], v[12:13]
	v_mul_f64 v[12:13], v[4:5], v[12:13]
	v_add_f64 v[52:53], v[52:53], 0
	v_add_f64 v[54:55], v[56:57], 0
	s_waitcnt vmcnt(9)
	v_mul_f64 v[56:57], v[230:231], v[16:17]
	v_mul_f64 v[16:17], v[232:233], v[16:17]
	v_fma_f64 v[58:59], v[4:5], v[10:11], v[58:59]
	v_fma_f64 v[60:61], v[2:3], v[10:11], -v[12:13]
	ds_load_b128 v[2:5], v1 offset:1536
	scratch_load_b128 v[10:13], off, off offset:704
	v_add_f64 v[52:53], v[52:53], v[38:39]
	v_add_f64 v[54:55], v[54:55], v[40:41]
	ds_load_b128 v[38:41], v1 offset:1552
	v_fma_f64 v[56:57], v[232:233], v[14:15], v[56:57]
	v_fma_f64 v[64:65], v[230:231], v[14:15], -v[16:17]
	scratch_load_b128 v[14:17], off, off offset:720
	s_waitcnt vmcnt(10) lgkmcnt(1)
	v_mul_f64 v[62:63], v[2:3], v[20:21]
	v_mul_f64 v[20:21], v[4:5], v[20:21]
	ds_load_b128 v[230:233], v1 offset:1584
	v_add_f64 v[52:53], v[52:53], v[60:61]
	v_add_f64 v[54:55], v[54:55], v[58:59]
	s_waitcnt vmcnt(9) lgkmcnt(1)
	v_mul_f64 v[58:59], v[38:39], v[24:25]
	v_mul_f64 v[24:25], v[40:41], v[24:25]
	v_fma_f64 v[60:61], v[4:5], v[18:19], v[62:63]
	v_fma_f64 v[62:63], v[2:3], v[18:19], -v[20:21]
	ds_load_b128 v[2:5], v1 offset:1568
	scratch_load_b128 v[18:21], off, off offset:736
	v_add_f64 v[52:53], v[52:53], v[64:65]
	v_add_f64 v[54:55], v[54:55], v[56:57]
	s_waitcnt vmcnt(9) lgkmcnt(0)
	v_mul_f64 v[56:57], v[2:3], v[28:29]
	v_mul_f64 v[28:29], v[4:5], v[28:29]
	v_fma_f64 v[40:41], v[40:41], v[22:23], v[58:59]
	v_fma_f64 v[38:39], v[38:39], v[22:23], -v[24:25]
	scratch_load_b128 v[22:25], off, off offset:752
	s_waitcnt vmcnt(9)
	v_mul_f64 v[58:59], v[230:231], v[32:33]
	v_mul_f64 v[32:33], v[232:233], v[32:33]
	v_add_f64 v[52:53], v[52:53], v[62:63]
	v_add_f64 v[54:55], v[54:55], v[60:61]
	v_fma_f64 v[56:57], v[4:5], v[26:27], v[56:57]
	v_fma_f64 v[60:61], v[2:3], v[26:27], -v[28:29]
	ds_load_b128 v[2:5], v1 offset:1600
	scratch_load_b128 v[26:29], off, off offset:768
	v_fma_f64 v[58:59], v[232:233], v[30:31], v[58:59]
	v_fma_f64 v[64:65], v[230:231], v[30:31], -v[32:33]
	scratch_load_b128 v[30:33], off, off offset:784
	ds_load_b128 v[230:233], v1 offset:1648
	v_add_f64 v[52:53], v[52:53], v[38:39]
	v_add_f64 v[54:55], v[54:55], v[40:41]
	ds_load_b128 v[38:41], v1 offset:1616
	s_waitcnt vmcnt(10) lgkmcnt(2)
	v_mul_f64 v[62:63], v[2:3], v[36:37]
	v_mul_f64 v[36:37], v[4:5], v[36:37]
	v_add_f64 v[52:53], v[52:53], v[60:61]
	v_add_f64 v[54:55], v[54:55], v[56:57]
	s_waitcnt vmcnt(8) lgkmcnt(0)
	v_mul_f64 v[56:57], v[38:39], v[203:204]
	v_mul_f64 v[60:61], v[40:41], v[203:204]
	v_fma_f64 v[62:63], v[4:5], v[34:35], v[62:63]
	v_fma_f64 v[66:67], v[2:3], v[34:35], -v[36:37]
	ds_load_b128 v[2:5], v1 offset:1632
	scratch_load_b128 v[34:37], off, off offset:800
	v_add_f64 v[52:53], v[52:53], v[64:65]
	v_add_f64 v[54:55], v[54:55], v[58:59]
	v_fma_f64 v[56:57], v[40:41], v[201:202], v[56:57]
	v_fma_f64 v[60:61], v[38:39], v[201:202], -v[60:61]
	scratch_load_b128 v[38:41], off, off offset:816
	ds_load_b128 v[201:204], v1 offset:1680
	s_waitcnt vmcnt(9) lgkmcnt(1)
	v_mul_f64 v[58:59], v[2:3], v[44:45]
	v_mul_f64 v[44:45], v[4:5], v[44:45]
	v_add_f64 v[52:53], v[52:53], v[66:67]
	v_add_f64 v[54:55], v[54:55], v[62:63]
	s_waitcnt vmcnt(8)
	v_mul_f64 v[62:63], v[230:231], v[8:9]
	v_mul_f64 v[8:9], v[232:233], v[8:9]
	v_fma_f64 v[58:59], v[4:5], v[42:43], v[58:59]
	v_fma_f64 v[64:65], v[2:3], v[42:43], -v[44:45]
	ds_load_b128 v[2:5], v1 offset:1664
	scratch_load_b128 v[42:45], off, off offset:832
	v_add_f64 v[52:53], v[52:53], v[60:61]
	v_add_f64 v[54:55], v[54:55], v[56:57]
	v_fma_f64 v[60:61], v[232:233], v[6:7], v[62:63]
	s_waitcnt vmcnt(8) lgkmcnt(0)
	v_mul_f64 v[56:57], v[2:3], v[12:13]
	v_mul_f64 v[12:13], v[4:5], v[12:13]
	v_fma_f64 v[62:63], v[230:231], v[6:7], -v[8:9]
	scratch_load_b128 v[6:9], off, off offset:848
	ds_load_b128 v[230:233], v1 offset:1712
	v_add_f64 v[52:53], v[52:53], v[64:65]
	v_add_f64 v[54:55], v[54:55], v[58:59]
	s_waitcnt vmcnt(8)
	v_mul_f64 v[58:59], v[201:202], v[16:17]
	v_mul_f64 v[16:17], v[203:204], v[16:17]
	v_fma_f64 v[56:57], v[4:5], v[10:11], v[56:57]
	v_fma_f64 v[64:65], v[2:3], v[10:11], -v[12:13]
	ds_load_b128 v[2:5], v1 offset:1696
	scratch_load_b128 v[10:13], off, off offset:864
	v_add_f64 v[52:53], v[52:53], v[62:63]
	v_add_f64 v[54:55], v[54:55], v[60:61]
	s_waitcnt vmcnt(8) lgkmcnt(0)
	v_mul_f64 v[60:61], v[2:3], v[20:21]
	v_mul_f64 v[20:21], v[4:5], v[20:21]
	v_fma_f64 v[58:59], v[203:204], v[14:15], v[58:59]
	v_fma_f64 v[62:63], v[201:202], v[14:15], -v[16:17]
	scratch_load_b128 v[14:17], off, off offset:880
	ds_load_b128 v[201:204], v1 offset:1744
	v_add_f64 v[52:53], v[52:53], v[64:65]
	v_add_f64 v[54:55], v[54:55], v[56:57]
	s_waitcnt vmcnt(8)
	v_mul_f64 v[56:57], v[230:231], v[24:25]
	v_mul_f64 v[24:25], v[232:233], v[24:25]
	v_fma_f64 v[60:61], v[4:5], v[18:19], v[60:61]
	v_fma_f64 v[64:65], v[2:3], v[18:19], -v[20:21]
	ds_load_b128 v[2:5], v1 offset:1728
	scratch_load_b128 v[18:21], off, off offset:896
	v_add_f64 v[52:53], v[52:53], v[62:63]
	v_add_f64 v[54:55], v[54:55], v[58:59]
	s_waitcnt vmcnt(8) lgkmcnt(0)
	v_mul_f64 v[58:59], v[2:3], v[28:29]
	v_mul_f64 v[28:29], v[4:5], v[28:29]
	v_fma_f64 v[56:57], v[232:233], v[22:23], v[56:57]
	;; [unrolled: 18-line block ×3, first 2 shown]
	v_fma_f64 v[62:63], v[201:202], v[30:31], -v[32:33]
	scratch_load_b128 v[30:33], off, off offset:944
	v_add_f64 v[52:53], v[52:53], v[64:65]
	v_add_f64 v[54:55], v[54:55], v[58:59]
	s_waitcnt vmcnt(8)
	v_mul_f64 v[58:59], v[230:231], v[40:41]
	v_mul_f64 v[40:41], v[232:233], v[40:41]
	v_fma_f64 v[56:57], v[4:5], v[34:35], v[56:57]
	v_fma_f64 v[64:65], v[2:3], v[34:35], -v[36:37]
	ds_load_b128 v[2:5], v1 offset:1792
	ds_load_b128 v[34:37], v1 offset:1808
	v_add_f64 v[52:53], v[52:53], v[62:63]
	v_add_f64 v[54:55], v[54:55], v[60:61]
	s_waitcnt vmcnt(7) lgkmcnt(1)
	v_mul_f64 v[60:61], v[2:3], v[44:45]
	v_mul_f64 v[44:45], v[4:5], v[44:45]
	v_fma_f64 v[58:59], v[232:233], v[38:39], v[58:59]
	v_fma_f64 v[38:39], v[230:231], v[38:39], -v[40:41]
	v_add_f64 v[40:41], v[52:53], v[64:65]
	v_add_f64 v[52:53], v[54:55], v[56:57]
	s_waitcnt vmcnt(6) lgkmcnt(0)
	v_mul_f64 v[54:55], v[34:35], v[8:9]
	v_mul_f64 v[8:9], v[36:37], v[8:9]
	v_fma_f64 v[56:57], v[4:5], v[42:43], v[60:61]
	v_fma_f64 v[42:43], v[2:3], v[42:43], -v[44:45]
	v_add_f64 v[44:45], v[40:41], v[38:39]
	v_add_f64 v[52:53], v[52:53], v[58:59]
	ds_load_b128 v[2:5], v1 offset:1824
	ds_load_b128 v[38:41], v1 offset:1840
	v_fma_f64 v[36:37], v[36:37], v[6:7], v[54:55]
	v_fma_f64 v[6:7], v[34:35], v[6:7], -v[8:9]
	s_waitcnt vmcnt(5) lgkmcnt(1)
	v_mul_f64 v[58:59], v[2:3], v[12:13]
	v_mul_f64 v[12:13], v[4:5], v[12:13]
	v_add_f64 v[8:9], v[44:45], v[42:43]
	v_add_f64 v[34:35], v[52:53], v[56:57]
	s_waitcnt vmcnt(4) lgkmcnt(0)
	v_mul_f64 v[42:43], v[38:39], v[16:17]
	v_mul_f64 v[16:17], v[40:41], v[16:17]
	v_fma_f64 v[44:45], v[4:5], v[10:11], v[58:59]
	v_fma_f64 v[10:11], v[2:3], v[10:11], -v[12:13]
	v_add_f64 v[12:13], v[8:9], v[6:7]
	v_add_f64 v[34:35], v[34:35], v[36:37]
	ds_load_b128 v[2:5], v1 offset:1856
	ds_load_b128 v[6:9], v1 offset:1872
	v_fma_f64 v[40:41], v[40:41], v[14:15], v[42:43]
	v_fma_f64 v[14:15], v[38:39], v[14:15], -v[16:17]
	s_waitcnt vmcnt(3) lgkmcnt(1)
	v_mul_f64 v[36:37], v[2:3], v[20:21]
	v_mul_f64 v[20:21], v[4:5], v[20:21]
	s_waitcnt vmcnt(2) lgkmcnt(0)
	v_mul_f64 v[16:17], v[6:7], v[24:25]
	v_mul_f64 v[24:25], v[8:9], v[24:25]
	v_add_f64 v[10:11], v[12:13], v[10:11]
	v_add_f64 v[12:13], v[34:35], v[44:45]
	v_fma_f64 v[34:35], v[4:5], v[18:19], v[36:37]
	v_fma_f64 v[18:19], v[2:3], v[18:19], -v[20:21]
	v_fma_f64 v[8:9], v[8:9], v[22:23], v[16:17]
	v_fma_f64 v[6:7], v[6:7], v[22:23], -v[24:25]
	v_add_f64 v[14:15], v[10:11], v[14:15]
	v_add_f64 v[20:21], v[12:13], v[40:41]
	ds_load_b128 v[2:5], v1 offset:1888
	ds_load_b128 v[10:13], v1 offset:1904
	s_waitcnt vmcnt(1) lgkmcnt(1)
	v_mul_f64 v[36:37], v[2:3], v[28:29]
	v_mul_f64 v[28:29], v[4:5], v[28:29]
	v_add_f64 v[14:15], v[14:15], v[18:19]
	v_add_f64 v[16:17], v[20:21], v[34:35]
	s_waitcnt vmcnt(0) lgkmcnt(0)
	v_mul_f64 v[18:19], v[10:11], v[32:33]
	v_mul_f64 v[20:21], v[12:13], v[32:33]
	v_fma_f64 v[4:5], v[4:5], v[26:27], v[36:37]
	v_fma_f64 v[1:2], v[2:3], v[26:27], -v[28:29]
	v_add_f64 v[6:7], v[14:15], v[6:7]
	v_add_f64 v[8:9], v[16:17], v[8:9]
	v_fma_f64 v[12:13], v[12:13], v[30:31], v[18:19]
	v_fma_f64 v[10:11], v[10:11], v[30:31], -v[20:21]
	s_delay_alu instid0(VALU_DEP_4) | instskip(NEXT) | instid1(VALU_DEP_4)
	v_add_f64 v[1:2], v[6:7], v[1:2]
	v_add_f64 v[3:4], v[8:9], v[4:5]
	s_delay_alu instid0(VALU_DEP_2) | instskip(NEXT) | instid1(VALU_DEP_2)
	v_add_f64 v[1:2], v[1:2], v[10:11]
	v_add_f64 v[3:4], v[3:4], v[12:13]
	s_delay_alu instid0(VALU_DEP_2) | instskip(NEXT) | instid1(VALU_DEP_2)
	v_add_f64 v[1:2], v[180:181], -v[1:2]
	v_add_f64 v[3:4], v[182:183], -v[3:4]
	scratch_store_b128 off, v[1:4], off offset:496
	v_cmpx_lt_u32_e32 30, v166
	s_cbranch_execz .LBB59_313
; %bb.312:
	scratch_load_b128 v[1:4], v224, off
	v_mov_b32_e32 v5, 0
	s_delay_alu instid0(VALU_DEP_1)
	v_mov_b32_e32 v6, v5
	v_mov_b32_e32 v7, v5
	;; [unrolled: 1-line block ×3, first 2 shown]
	scratch_store_b128 off, v[5:8], off offset:480
	s_waitcnt vmcnt(0)
	ds_store_b128 v226, v[1:4]
.LBB59_313:
	s_or_b32 exec_lo, exec_lo, s2
	s_waitcnt lgkmcnt(0)
	s_waitcnt_vscnt null, 0x0
	s_barrier
	buffer_gl0_inv
	s_clause 0x7
	scratch_load_b128 v[2:5], off, off offset:496
	scratch_load_b128 v[6:9], off, off offset:512
	;; [unrolled: 1-line block ×8, first 2 shown]
	v_mov_b32_e32 v1, 0
	s_mov_b32 s2, exec_lo
	ds_load_b128 v[38:41], v1 offset:1456
	s_clause 0x1
	scratch_load_b128 v[34:37], off, off offset:624
	scratch_load_b128 v[42:45], off, off offset:480
	ds_load_b128 v[180:183], v1 offset:1472
	scratch_load_b128 v[201:204], off, off offset:640
	ds_load_b128 v[230:233], v1 offset:1504
	s_waitcnt vmcnt(10) lgkmcnt(2)
	v_mul_f64 v[52:53], v[40:41], v[4:5]
	v_mul_f64 v[4:5], v[38:39], v[4:5]
	s_delay_alu instid0(VALU_DEP_2) | instskip(NEXT) | instid1(VALU_DEP_2)
	v_fma_f64 v[52:53], v[38:39], v[2:3], -v[52:53]
	v_fma_f64 v[56:57], v[40:41], v[2:3], v[4:5]
	ds_load_b128 v[2:5], v1 offset:1488
	s_waitcnt vmcnt(9) lgkmcnt(2)
	v_mul_f64 v[54:55], v[180:181], v[8:9]
	v_mul_f64 v[8:9], v[182:183], v[8:9]
	scratch_load_b128 v[38:41], off, off offset:656
	s_waitcnt vmcnt(9) lgkmcnt(0)
	v_mul_f64 v[58:59], v[2:3], v[12:13]
	v_mul_f64 v[12:13], v[4:5], v[12:13]
	v_add_f64 v[52:53], v[52:53], 0
	v_add_f64 v[56:57], v[56:57], 0
	v_fma_f64 v[54:55], v[182:183], v[6:7], v[54:55]
	v_fma_f64 v[60:61], v[180:181], v[6:7], -v[8:9]
	scratch_load_b128 v[6:9], off, off offset:672
	ds_load_b128 v[180:183], v1 offset:1536
	v_fma_f64 v[58:59], v[4:5], v[10:11], v[58:59]
	v_fma_f64 v[64:65], v[2:3], v[10:11], -v[12:13]
	ds_load_b128 v[2:5], v1 offset:1520
	s_waitcnt vmcnt(9)
	v_mul_f64 v[62:63], v[230:231], v[16:17]
	v_mul_f64 v[16:17], v[232:233], v[16:17]
	scratch_load_b128 v[10:13], off, off offset:688
	v_add_f64 v[54:55], v[56:57], v[54:55]
	v_add_f64 v[52:53], v[52:53], v[60:61]
	s_waitcnt vmcnt(9) lgkmcnt(0)
	v_mul_f64 v[56:57], v[2:3], v[20:21]
	v_mul_f64 v[20:21], v[4:5], v[20:21]
	v_fma_f64 v[60:61], v[232:233], v[14:15], v[62:63]
	v_fma_f64 v[62:63], v[230:231], v[14:15], -v[16:17]
	scratch_load_b128 v[14:17], off, off offset:704
	ds_load_b128 v[230:233], v1 offset:1568
	v_add_f64 v[54:55], v[54:55], v[58:59]
	v_add_f64 v[52:53], v[52:53], v[64:65]
	v_fma_f64 v[56:57], v[4:5], v[18:19], v[56:57]
	v_fma_f64 v[64:65], v[2:3], v[18:19], -v[20:21]
	ds_load_b128 v[2:5], v1 offset:1552
	s_waitcnt vmcnt(9)
	v_mul_f64 v[58:59], v[180:181], v[24:25]
	v_mul_f64 v[24:25], v[182:183], v[24:25]
	scratch_load_b128 v[18:21], off, off offset:720
	v_add_f64 v[54:55], v[54:55], v[60:61]
	v_add_f64 v[52:53], v[52:53], v[62:63]
	s_waitcnt vmcnt(9) lgkmcnt(0)
	v_mul_f64 v[60:61], v[2:3], v[28:29]
	v_mul_f64 v[28:29], v[4:5], v[28:29]
	v_fma_f64 v[58:59], v[182:183], v[22:23], v[58:59]
	v_fma_f64 v[62:63], v[180:181], v[22:23], -v[24:25]
	scratch_load_b128 v[22:25], off, off offset:736
	ds_load_b128 v[180:183], v1 offset:1600
	v_add_f64 v[54:55], v[54:55], v[56:57]
	v_add_f64 v[52:53], v[52:53], v[64:65]
	;; [unrolled: 18-line block ×3, first 2 shown]
	v_fma_f64 v[58:59], v[4:5], v[34:35], v[58:59]
	v_fma_f64 v[66:67], v[2:3], v[34:35], -v[36:37]
	ds_load_b128 v[2:5], v1 offset:1616
	s_waitcnt vmcnt(8)
	v_mul_f64 v[60:61], v[180:181], v[203:204]
	v_mul_f64 v[64:65], v[182:183], v[203:204]
	scratch_load_b128 v[34:37], off, off offset:784
	v_add_f64 v[54:55], v[54:55], v[56:57]
	v_add_f64 v[52:53], v[52:53], v[62:63]
	v_fma_f64 v[60:61], v[182:183], v[201:202], v[60:61]
	v_fma_f64 v[62:63], v[180:181], v[201:202], -v[64:65]
	scratch_load_b128 v[180:183], off, off offset:800
	ds_load_b128 v[201:204], v1 offset:1664
	s_waitcnt vmcnt(9) lgkmcnt(1)
	v_mul_f64 v[56:57], v[2:3], v[40:41]
	v_mul_f64 v[40:41], v[4:5], v[40:41]
	v_add_f64 v[54:55], v[54:55], v[58:59]
	v_add_f64 v[52:53], v[52:53], v[66:67]
	s_delay_alu instid0(VALU_DEP_4) | instskip(NEXT) | instid1(VALU_DEP_4)
	v_fma_f64 v[56:57], v[4:5], v[38:39], v[56:57]
	v_fma_f64 v[64:65], v[2:3], v[38:39], -v[40:41]
	ds_load_b128 v[2:5], v1 offset:1648
	s_waitcnt vmcnt(8)
	v_mul_f64 v[58:59], v[230:231], v[8:9]
	v_mul_f64 v[8:9], v[232:233], v[8:9]
	scratch_load_b128 v[38:41], off, off offset:816
	v_add_f64 v[54:55], v[54:55], v[60:61]
	v_add_f64 v[52:53], v[52:53], v[62:63]
	s_waitcnt vmcnt(8) lgkmcnt(0)
	v_mul_f64 v[60:61], v[2:3], v[12:13]
	v_mul_f64 v[12:13], v[4:5], v[12:13]
	v_fma_f64 v[58:59], v[232:233], v[6:7], v[58:59]
	v_fma_f64 v[62:63], v[230:231], v[6:7], -v[8:9]
	scratch_load_b128 v[6:9], off, off offset:832
	ds_load_b128 v[230:233], v1 offset:1696
	v_add_f64 v[54:55], v[54:55], v[56:57]
	v_add_f64 v[52:53], v[52:53], v[64:65]
	v_fma_f64 v[60:61], v[4:5], v[10:11], v[60:61]
	v_fma_f64 v[64:65], v[2:3], v[10:11], -v[12:13]
	ds_load_b128 v[2:5], v1 offset:1680
	s_waitcnt vmcnt(8)
	v_mul_f64 v[56:57], v[201:202], v[16:17]
	v_mul_f64 v[16:17], v[203:204], v[16:17]
	scratch_load_b128 v[10:13], off, off offset:848
	v_add_f64 v[54:55], v[54:55], v[58:59]
	v_add_f64 v[52:53], v[52:53], v[62:63]
	s_waitcnt vmcnt(8) lgkmcnt(0)
	v_mul_f64 v[58:59], v[2:3], v[20:21]
	v_mul_f64 v[20:21], v[4:5], v[20:21]
	v_fma_f64 v[56:57], v[203:204], v[14:15], v[56:57]
	v_fma_f64 v[62:63], v[201:202], v[14:15], -v[16:17]
	scratch_load_b128 v[14:17], off, off offset:864
	ds_load_b128 v[201:204], v1 offset:1728
	v_add_f64 v[54:55], v[54:55], v[60:61]
	v_add_f64 v[52:53], v[52:53], v[64:65]
	;; [unrolled: 18-line block ×3, first 2 shown]
	v_fma_f64 v[56:57], v[4:5], v[26:27], v[56:57]
	v_fma_f64 v[64:65], v[2:3], v[26:27], -v[28:29]
	ds_load_b128 v[2:5], v1 offset:1744
	s_waitcnt vmcnt(8)
	v_mul_f64 v[58:59], v[201:202], v[32:33]
	v_mul_f64 v[32:33], v[203:204], v[32:33]
	scratch_load_b128 v[26:29], off, off offset:912
	v_add_f64 v[54:55], v[54:55], v[60:61]
	v_add_f64 v[52:53], v[52:53], v[62:63]
	s_waitcnt vmcnt(8) lgkmcnt(0)
	v_mul_f64 v[60:61], v[2:3], v[36:37]
	v_mul_f64 v[36:37], v[4:5], v[36:37]
	v_fma_f64 v[58:59], v[203:204], v[30:31], v[58:59]
	v_fma_f64 v[62:63], v[201:202], v[30:31], -v[32:33]
	scratch_load_b128 v[30:33], off, off offset:928
	v_add_f64 v[54:55], v[54:55], v[56:57]
	v_add_f64 v[52:53], v[52:53], v[64:65]
	v_fma_f64 v[60:61], v[4:5], v[34:35], v[60:61]
	v_fma_f64 v[66:67], v[2:3], v[34:35], -v[36:37]
	scratch_load_b128 v[34:37], off, off offset:944
	ds_load_b128 v[2:5], v1 offset:1776
	s_waitcnt vmcnt(9)
	v_mul_f64 v[56:57], v[230:231], v[182:183]
	v_mul_f64 v[64:65], v[232:233], v[182:183]
	ds_load_b128 v[182:185], v1 offset:1792
	v_add_f64 v[54:55], v[54:55], v[58:59]
	v_add_f64 v[52:53], v[52:53], v[62:63]
	s_waitcnt vmcnt(8) lgkmcnt(1)
	v_mul_f64 v[58:59], v[2:3], v[40:41]
	v_mul_f64 v[40:41], v[4:5], v[40:41]
	v_fma_f64 v[56:57], v[232:233], v[180:181], v[56:57]
	v_fma_f64 v[62:63], v[230:231], v[180:181], -v[64:65]
	v_add_f64 v[54:55], v[54:55], v[60:61]
	v_add_f64 v[52:53], v[52:53], v[66:67]
	s_waitcnt vmcnt(7) lgkmcnt(0)
	v_mul_f64 v[60:61], v[182:183], v[8:9]
	v_mul_f64 v[8:9], v[184:185], v[8:9]
	v_fma_f64 v[58:59], v[4:5], v[38:39], v[58:59]
	v_fma_f64 v[64:65], v[2:3], v[38:39], -v[40:41]
	ds_load_b128 v[2:5], v1 offset:1808
	ds_load_b128 v[38:41], v1 offset:1824
	v_add_f64 v[54:55], v[54:55], v[56:57]
	v_add_f64 v[52:53], v[52:53], v[62:63]
	s_waitcnt vmcnt(6) lgkmcnt(1)
	v_mul_f64 v[56:57], v[2:3], v[12:13]
	v_mul_f64 v[12:13], v[4:5], v[12:13]
	v_fma_f64 v[60:61], v[184:185], v[6:7], v[60:61]
	v_fma_f64 v[6:7], v[182:183], v[6:7], -v[8:9]
	v_add_f64 v[8:9], v[52:53], v[64:65]
	v_add_f64 v[52:53], v[54:55], v[58:59]
	s_waitcnt vmcnt(5) lgkmcnt(0)
	v_mul_f64 v[54:55], v[38:39], v[16:17]
	v_mul_f64 v[16:17], v[40:41], v[16:17]
	v_fma_f64 v[56:57], v[4:5], v[10:11], v[56:57]
	v_fma_f64 v[10:11], v[2:3], v[10:11], -v[12:13]
	v_add_f64 v[12:13], v[8:9], v[6:7]
	v_add_f64 v[52:53], v[52:53], v[60:61]
	ds_load_b128 v[2:5], v1 offset:1840
	ds_load_b128 v[6:9], v1 offset:1856
	v_fma_f64 v[40:41], v[40:41], v[14:15], v[54:55]
	v_fma_f64 v[14:15], v[38:39], v[14:15], -v[16:17]
	s_waitcnt vmcnt(4) lgkmcnt(1)
	v_mul_f64 v[58:59], v[2:3], v[20:21]
	v_mul_f64 v[20:21], v[4:5], v[20:21]
	s_waitcnt vmcnt(3) lgkmcnt(0)
	v_mul_f64 v[16:17], v[6:7], v[24:25]
	v_mul_f64 v[24:25], v[8:9], v[24:25]
	v_add_f64 v[10:11], v[12:13], v[10:11]
	v_add_f64 v[12:13], v[52:53], v[56:57]
	v_fma_f64 v[38:39], v[4:5], v[18:19], v[58:59]
	v_fma_f64 v[18:19], v[2:3], v[18:19], -v[20:21]
	v_fma_f64 v[8:9], v[8:9], v[22:23], v[16:17]
	v_fma_f64 v[6:7], v[6:7], v[22:23], -v[24:25]
	v_add_f64 v[14:15], v[10:11], v[14:15]
	v_add_f64 v[20:21], v[12:13], v[40:41]
	ds_load_b128 v[2:5], v1 offset:1872
	ds_load_b128 v[10:13], v1 offset:1888
	s_waitcnt vmcnt(2) lgkmcnt(1)
	v_mul_f64 v[40:41], v[2:3], v[28:29]
	v_mul_f64 v[28:29], v[4:5], v[28:29]
	v_add_f64 v[14:15], v[14:15], v[18:19]
	v_add_f64 v[16:17], v[20:21], v[38:39]
	s_waitcnt vmcnt(1) lgkmcnt(0)
	v_mul_f64 v[18:19], v[10:11], v[32:33]
	v_mul_f64 v[20:21], v[12:13], v[32:33]
	v_fma_f64 v[22:23], v[4:5], v[26:27], v[40:41]
	v_fma_f64 v[24:25], v[2:3], v[26:27], -v[28:29]
	ds_load_b128 v[2:5], v1 offset:1904
	v_add_f64 v[6:7], v[14:15], v[6:7]
	v_add_f64 v[8:9], v[16:17], v[8:9]
	v_fma_f64 v[12:13], v[12:13], v[30:31], v[18:19]
	v_fma_f64 v[10:11], v[10:11], v[30:31], -v[20:21]
	s_waitcnt vmcnt(0) lgkmcnt(0)
	v_mul_f64 v[14:15], v[2:3], v[36:37]
	v_mul_f64 v[16:17], v[4:5], v[36:37]
	v_add_f64 v[6:7], v[6:7], v[24:25]
	v_add_f64 v[8:9], v[8:9], v[22:23]
	s_delay_alu instid0(VALU_DEP_4) | instskip(NEXT) | instid1(VALU_DEP_4)
	v_fma_f64 v[4:5], v[4:5], v[34:35], v[14:15]
	v_fma_f64 v[2:3], v[2:3], v[34:35], -v[16:17]
	s_delay_alu instid0(VALU_DEP_4) | instskip(NEXT) | instid1(VALU_DEP_4)
	v_add_f64 v[6:7], v[6:7], v[10:11]
	v_add_f64 v[8:9], v[8:9], v[12:13]
	s_delay_alu instid0(VALU_DEP_2) | instskip(NEXT) | instid1(VALU_DEP_2)
	v_add_f64 v[2:3], v[6:7], v[2:3]
	v_add_f64 v[4:5], v[8:9], v[4:5]
	s_delay_alu instid0(VALU_DEP_2) | instskip(NEXT) | instid1(VALU_DEP_2)
	v_add_f64 v[2:3], v[42:43], -v[2:3]
	v_add_f64 v[4:5], v[44:45], -v[4:5]
	scratch_store_b128 off, v[2:5], off offset:480
	v_cmpx_lt_u32_e32 29, v166
	s_cbranch_execz .LBB59_315
; %bb.314:
	scratch_load_b32 v2, off, off offset:1060 ; 4-byte Folded Reload
	v_mov_b32_e32 v3, v1
	v_mov_b32_e32 v4, v1
	s_waitcnt vmcnt(0)
	scratch_load_b128 v[5:8], v2, off
	v_mov_b32_e32 v2, v1
	scratch_store_b128 off, v[1:4], off offset:464
	s_waitcnt vmcnt(0)
	ds_store_b128 v226, v[5:8]
.LBB59_315:
	s_or_b32 exec_lo, exec_lo, s2
	s_waitcnt lgkmcnt(0)
	s_waitcnt_vscnt null, 0x0
	s_barrier
	buffer_gl0_inv
	s_clause 0x8
	scratch_load_b128 v[2:5], off, off offset:480
	scratch_load_b128 v[6:9], off, off offset:496
	;; [unrolled: 1-line block ×9, first 2 shown]
	ds_load_b128 v[42:45], v1 offset:1440
	ds_load_b128 v[38:41], v1 offset:1456
	s_clause 0x1
	scratch_load_b128 v[180:183], off, off offset:464
	scratch_load_b128 v[201:204], off, off offset:624
	s_mov_b32 s2, exec_lo
	ds_load_b128 v[230:233], v1 offset:1488
	s_waitcnt vmcnt(10) lgkmcnt(2)
	v_mul_f64 v[52:53], v[44:45], v[4:5]
	v_mul_f64 v[4:5], v[42:43], v[4:5]
	s_waitcnt vmcnt(9) lgkmcnt(1)
	v_mul_f64 v[54:55], v[38:39], v[8:9]
	v_mul_f64 v[8:9], v[40:41], v[8:9]
	s_delay_alu instid0(VALU_DEP_4) | instskip(NEXT) | instid1(VALU_DEP_4)
	v_fma_f64 v[52:53], v[42:43], v[2:3], -v[52:53]
	v_fma_f64 v[56:57], v[44:45], v[2:3], v[4:5]
	ds_load_b128 v[2:5], v1 offset:1472
	scratch_load_b128 v[42:45], off, off offset:640
	v_fma_f64 v[40:41], v[40:41], v[6:7], v[54:55]
	v_fma_f64 v[38:39], v[38:39], v[6:7], -v[8:9]
	scratch_load_b128 v[6:9], off, off offset:656
	s_waitcnt vmcnt(10) lgkmcnt(0)
	v_mul_f64 v[58:59], v[2:3], v[12:13]
	v_mul_f64 v[12:13], v[4:5], v[12:13]
	v_add_f64 v[52:53], v[52:53], 0
	v_add_f64 v[54:55], v[56:57], 0
	s_waitcnt vmcnt(9)
	v_mul_f64 v[56:57], v[230:231], v[16:17]
	v_mul_f64 v[16:17], v[232:233], v[16:17]
	v_fma_f64 v[58:59], v[4:5], v[10:11], v[58:59]
	v_fma_f64 v[60:61], v[2:3], v[10:11], -v[12:13]
	ds_load_b128 v[2:5], v1 offset:1504
	scratch_load_b128 v[10:13], off, off offset:672
	v_add_f64 v[52:53], v[52:53], v[38:39]
	v_add_f64 v[54:55], v[54:55], v[40:41]
	ds_load_b128 v[38:41], v1 offset:1520
	v_fma_f64 v[56:57], v[232:233], v[14:15], v[56:57]
	v_fma_f64 v[64:65], v[230:231], v[14:15], -v[16:17]
	scratch_load_b128 v[14:17], off, off offset:688
	s_waitcnt vmcnt(10) lgkmcnt(1)
	v_mul_f64 v[62:63], v[2:3], v[20:21]
	v_mul_f64 v[20:21], v[4:5], v[20:21]
	ds_load_b128 v[230:233], v1 offset:1552
	v_add_f64 v[52:53], v[52:53], v[60:61]
	v_add_f64 v[54:55], v[54:55], v[58:59]
	s_waitcnt vmcnt(9) lgkmcnt(1)
	v_mul_f64 v[58:59], v[38:39], v[24:25]
	v_mul_f64 v[24:25], v[40:41], v[24:25]
	v_fma_f64 v[60:61], v[4:5], v[18:19], v[62:63]
	v_fma_f64 v[62:63], v[2:3], v[18:19], -v[20:21]
	ds_load_b128 v[2:5], v1 offset:1536
	scratch_load_b128 v[18:21], off, off offset:704
	v_add_f64 v[52:53], v[52:53], v[64:65]
	v_add_f64 v[54:55], v[54:55], v[56:57]
	s_waitcnt vmcnt(9) lgkmcnt(0)
	v_mul_f64 v[56:57], v[2:3], v[28:29]
	v_mul_f64 v[28:29], v[4:5], v[28:29]
	v_fma_f64 v[40:41], v[40:41], v[22:23], v[58:59]
	v_fma_f64 v[38:39], v[38:39], v[22:23], -v[24:25]
	scratch_load_b128 v[22:25], off, off offset:720
	s_waitcnt vmcnt(9)
	v_mul_f64 v[58:59], v[230:231], v[32:33]
	v_mul_f64 v[32:33], v[232:233], v[32:33]
	v_add_f64 v[52:53], v[52:53], v[62:63]
	v_add_f64 v[54:55], v[54:55], v[60:61]
	v_fma_f64 v[56:57], v[4:5], v[26:27], v[56:57]
	v_fma_f64 v[60:61], v[2:3], v[26:27], -v[28:29]
	ds_load_b128 v[2:5], v1 offset:1568
	scratch_load_b128 v[26:29], off, off offset:736
	v_fma_f64 v[58:59], v[232:233], v[30:31], v[58:59]
	v_fma_f64 v[64:65], v[230:231], v[30:31], -v[32:33]
	scratch_load_b128 v[30:33], off, off offset:752
	ds_load_b128 v[230:233], v1 offset:1616
	v_add_f64 v[52:53], v[52:53], v[38:39]
	v_add_f64 v[54:55], v[54:55], v[40:41]
	ds_load_b128 v[38:41], v1 offset:1584
	s_waitcnt vmcnt(10) lgkmcnt(2)
	v_mul_f64 v[62:63], v[2:3], v[36:37]
	v_mul_f64 v[36:37], v[4:5], v[36:37]
	v_add_f64 v[52:53], v[52:53], v[60:61]
	v_add_f64 v[54:55], v[54:55], v[56:57]
	s_waitcnt vmcnt(8) lgkmcnt(0)
	v_mul_f64 v[56:57], v[38:39], v[203:204]
	v_mul_f64 v[60:61], v[40:41], v[203:204]
	v_fma_f64 v[62:63], v[4:5], v[34:35], v[62:63]
	v_fma_f64 v[66:67], v[2:3], v[34:35], -v[36:37]
	ds_load_b128 v[2:5], v1 offset:1600
	scratch_load_b128 v[34:37], off, off offset:768
	v_add_f64 v[52:53], v[52:53], v[64:65]
	v_add_f64 v[54:55], v[54:55], v[58:59]
	v_fma_f64 v[56:57], v[40:41], v[201:202], v[56:57]
	v_fma_f64 v[60:61], v[38:39], v[201:202], -v[60:61]
	scratch_load_b128 v[38:41], off, off offset:784
	ds_load_b128 v[201:204], v1 offset:1648
	s_waitcnt vmcnt(9) lgkmcnt(1)
	v_mul_f64 v[58:59], v[2:3], v[44:45]
	v_mul_f64 v[44:45], v[4:5], v[44:45]
	v_add_f64 v[52:53], v[52:53], v[66:67]
	v_add_f64 v[54:55], v[54:55], v[62:63]
	s_waitcnt vmcnt(8)
	v_mul_f64 v[62:63], v[230:231], v[8:9]
	v_mul_f64 v[8:9], v[232:233], v[8:9]
	v_fma_f64 v[58:59], v[4:5], v[42:43], v[58:59]
	v_fma_f64 v[64:65], v[2:3], v[42:43], -v[44:45]
	ds_load_b128 v[2:5], v1 offset:1632
	scratch_load_b128 v[42:45], off, off offset:800
	v_add_f64 v[52:53], v[52:53], v[60:61]
	v_add_f64 v[54:55], v[54:55], v[56:57]
	v_fma_f64 v[60:61], v[232:233], v[6:7], v[62:63]
	s_waitcnt vmcnt(8) lgkmcnt(0)
	v_mul_f64 v[56:57], v[2:3], v[12:13]
	v_mul_f64 v[12:13], v[4:5], v[12:13]
	v_fma_f64 v[62:63], v[230:231], v[6:7], -v[8:9]
	scratch_load_b128 v[6:9], off, off offset:816
	ds_load_b128 v[230:233], v1 offset:1680
	v_add_f64 v[52:53], v[52:53], v[64:65]
	v_add_f64 v[54:55], v[54:55], v[58:59]
	s_waitcnt vmcnt(8)
	v_mul_f64 v[58:59], v[201:202], v[16:17]
	v_mul_f64 v[16:17], v[203:204], v[16:17]
	v_fma_f64 v[56:57], v[4:5], v[10:11], v[56:57]
	v_fma_f64 v[64:65], v[2:3], v[10:11], -v[12:13]
	ds_load_b128 v[2:5], v1 offset:1664
	scratch_load_b128 v[10:13], off, off offset:832
	v_add_f64 v[52:53], v[52:53], v[62:63]
	v_add_f64 v[54:55], v[54:55], v[60:61]
	s_waitcnt vmcnt(8) lgkmcnt(0)
	v_mul_f64 v[60:61], v[2:3], v[20:21]
	v_mul_f64 v[20:21], v[4:5], v[20:21]
	v_fma_f64 v[58:59], v[203:204], v[14:15], v[58:59]
	v_fma_f64 v[62:63], v[201:202], v[14:15], -v[16:17]
	scratch_load_b128 v[14:17], off, off offset:848
	ds_load_b128 v[201:204], v1 offset:1712
	v_add_f64 v[52:53], v[52:53], v[64:65]
	v_add_f64 v[54:55], v[54:55], v[56:57]
	s_waitcnt vmcnt(8)
	v_mul_f64 v[56:57], v[230:231], v[24:25]
	v_mul_f64 v[24:25], v[232:233], v[24:25]
	v_fma_f64 v[60:61], v[4:5], v[18:19], v[60:61]
	v_fma_f64 v[64:65], v[2:3], v[18:19], -v[20:21]
	ds_load_b128 v[2:5], v1 offset:1696
	scratch_load_b128 v[18:21], off, off offset:864
	v_add_f64 v[52:53], v[52:53], v[62:63]
	v_add_f64 v[54:55], v[54:55], v[58:59]
	s_waitcnt vmcnt(8) lgkmcnt(0)
	v_mul_f64 v[58:59], v[2:3], v[28:29]
	v_mul_f64 v[28:29], v[4:5], v[28:29]
	v_fma_f64 v[56:57], v[232:233], v[22:23], v[56:57]
	;; [unrolled: 18-line block ×4, first 2 shown]
	v_fma_f64 v[62:63], v[230:231], v[38:39], -v[40:41]
	scratch_load_b128 v[38:41], off, off offset:944
	v_add_f64 v[52:53], v[52:53], v[64:65]
	v_add_f64 v[54:55], v[54:55], v[56:57]
	s_waitcnt vmcnt(8)
	v_mul_f64 v[56:57], v[201:202], v[8:9]
	v_mul_f64 v[8:9], v[203:204], v[8:9]
	v_fma_f64 v[60:61], v[4:5], v[42:43], v[60:61]
	v_fma_f64 v[64:65], v[2:3], v[42:43], -v[44:45]
	ds_load_b128 v[2:5], v1 offset:1792
	ds_load_b128 v[42:45], v1 offset:1808
	v_add_f64 v[52:53], v[52:53], v[62:63]
	v_add_f64 v[54:55], v[54:55], v[58:59]
	s_waitcnt vmcnt(7) lgkmcnt(1)
	v_mul_f64 v[58:59], v[2:3], v[12:13]
	v_mul_f64 v[12:13], v[4:5], v[12:13]
	v_fma_f64 v[56:57], v[203:204], v[6:7], v[56:57]
	v_fma_f64 v[6:7], v[201:202], v[6:7], -v[8:9]
	v_add_f64 v[8:9], v[52:53], v[64:65]
	v_add_f64 v[52:53], v[54:55], v[60:61]
	s_waitcnt vmcnt(6) lgkmcnt(0)
	v_mul_f64 v[54:55], v[42:43], v[16:17]
	v_mul_f64 v[16:17], v[44:45], v[16:17]
	v_fma_f64 v[58:59], v[4:5], v[10:11], v[58:59]
	v_fma_f64 v[10:11], v[2:3], v[10:11], -v[12:13]
	v_add_f64 v[12:13], v[8:9], v[6:7]
	v_add_f64 v[52:53], v[52:53], v[56:57]
	ds_load_b128 v[2:5], v1 offset:1824
	ds_load_b128 v[6:9], v1 offset:1840
	v_fma_f64 v[44:45], v[44:45], v[14:15], v[54:55]
	v_fma_f64 v[14:15], v[42:43], v[14:15], -v[16:17]
	s_waitcnt vmcnt(5) lgkmcnt(1)
	v_mul_f64 v[56:57], v[2:3], v[20:21]
	v_mul_f64 v[20:21], v[4:5], v[20:21]
	s_waitcnt vmcnt(4) lgkmcnt(0)
	v_mul_f64 v[16:17], v[6:7], v[24:25]
	v_mul_f64 v[24:25], v[8:9], v[24:25]
	v_add_f64 v[10:11], v[12:13], v[10:11]
	v_add_f64 v[12:13], v[52:53], v[58:59]
	v_fma_f64 v[42:43], v[4:5], v[18:19], v[56:57]
	v_fma_f64 v[18:19], v[2:3], v[18:19], -v[20:21]
	v_fma_f64 v[8:9], v[8:9], v[22:23], v[16:17]
	v_fma_f64 v[6:7], v[6:7], v[22:23], -v[24:25]
	v_add_f64 v[14:15], v[10:11], v[14:15]
	v_add_f64 v[20:21], v[12:13], v[44:45]
	ds_load_b128 v[2:5], v1 offset:1856
	ds_load_b128 v[10:13], v1 offset:1872
	s_waitcnt vmcnt(3) lgkmcnt(1)
	v_mul_f64 v[44:45], v[2:3], v[28:29]
	v_mul_f64 v[28:29], v[4:5], v[28:29]
	v_add_f64 v[14:15], v[14:15], v[18:19]
	v_add_f64 v[16:17], v[20:21], v[42:43]
	s_waitcnt vmcnt(2) lgkmcnt(0)
	v_mul_f64 v[18:19], v[10:11], v[32:33]
	v_mul_f64 v[20:21], v[12:13], v[32:33]
	v_fma_f64 v[22:23], v[4:5], v[26:27], v[44:45]
	v_fma_f64 v[24:25], v[2:3], v[26:27], -v[28:29]
	v_add_f64 v[14:15], v[14:15], v[6:7]
	v_add_f64 v[16:17], v[16:17], v[8:9]
	ds_load_b128 v[2:5], v1 offset:1888
	ds_load_b128 v[6:9], v1 offset:1904
	v_fma_f64 v[12:13], v[12:13], v[30:31], v[18:19]
	v_fma_f64 v[10:11], v[10:11], v[30:31], -v[20:21]
	s_waitcnt vmcnt(1) lgkmcnt(1)
	v_mul_f64 v[26:27], v[2:3], v[36:37]
	v_mul_f64 v[28:29], v[4:5], v[36:37]
	s_waitcnt vmcnt(0) lgkmcnt(0)
	v_mul_f64 v[18:19], v[6:7], v[40:41]
	v_mul_f64 v[20:21], v[8:9], v[40:41]
	v_add_f64 v[14:15], v[14:15], v[24:25]
	v_add_f64 v[16:17], v[16:17], v[22:23]
	v_fma_f64 v[4:5], v[4:5], v[34:35], v[26:27]
	v_fma_f64 v[1:2], v[2:3], v[34:35], -v[28:29]
	v_fma_f64 v[8:9], v[8:9], v[38:39], v[18:19]
	v_fma_f64 v[6:7], v[6:7], v[38:39], -v[20:21]
	v_add_f64 v[10:11], v[14:15], v[10:11]
	v_add_f64 v[12:13], v[16:17], v[12:13]
	s_delay_alu instid0(VALU_DEP_2) | instskip(NEXT) | instid1(VALU_DEP_2)
	v_add_f64 v[1:2], v[10:11], v[1:2]
	v_add_f64 v[3:4], v[12:13], v[4:5]
	s_delay_alu instid0(VALU_DEP_2) | instskip(NEXT) | instid1(VALU_DEP_2)
	;; [unrolled: 3-line block ×3, first 2 shown]
	v_add_f64 v[1:2], v[180:181], -v[1:2]
	v_add_f64 v[3:4], v[182:183], -v[3:4]
	scratch_store_b128 off, v[1:4], off offset:464
	v_cmpx_lt_u32_e32 28, v166
	s_cbranch_execz .LBB59_317
; %bb.316:
	scratch_load_b128 v[1:4], v197, off
	v_mov_b32_e32 v5, 0
	s_delay_alu instid0(VALU_DEP_1)
	v_mov_b32_e32 v6, v5
	v_mov_b32_e32 v7, v5
	;; [unrolled: 1-line block ×3, first 2 shown]
	scratch_store_b128 off, v[5:8], off offset:448
	s_waitcnt vmcnt(0)
	ds_store_b128 v226, v[1:4]
.LBB59_317:
	s_or_b32 exec_lo, exec_lo, s2
	s_waitcnt lgkmcnt(0)
	s_waitcnt_vscnt null, 0x0
	s_barrier
	buffer_gl0_inv
	s_clause 0x7
	scratch_load_b128 v[2:5], off, off offset:464
	scratch_load_b128 v[6:9], off, off offset:480
	;; [unrolled: 1-line block ×8, first 2 shown]
	v_mov_b32_e32 v1, 0
	s_mov_b32 s2, exec_lo
	ds_load_b128 v[38:41], v1 offset:1424
	s_clause 0x1
	scratch_load_b128 v[34:37], off, off offset:592
	scratch_load_b128 v[42:45], off, off offset:448
	ds_load_b128 v[180:183], v1 offset:1440
	scratch_load_b128 v[201:204], off, off offset:608
	ds_load_b128 v[230:233], v1 offset:1472
	s_waitcnt vmcnt(10) lgkmcnt(2)
	v_mul_f64 v[52:53], v[40:41], v[4:5]
	v_mul_f64 v[4:5], v[38:39], v[4:5]
	s_delay_alu instid0(VALU_DEP_2) | instskip(NEXT) | instid1(VALU_DEP_2)
	v_fma_f64 v[52:53], v[38:39], v[2:3], -v[52:53]
	v_fma_f64 v[56:57], v[40:41], v[2:3], v[4:5]
	ds_load_b128 v[2:5], v1 offset:1456
	s_waitcnt vmcnt(9) lgkmcnt(2)
	v_mul_f64 v[54:55], v[180:181], v[8:9]
	v_mul_f64 v[8:9], v[182:183], v[8:9]
	scratch_load_b128 v[38:41], off, off offset:624
	s_waitcnt vmcnt(9) lgkmcnt(0)
	v_mul_f64 v[58:59], v[2:3], v[12:13]
	v_mul_f64 v[12:13], v[4:5], v[12:13]
	v_add_f64 v[52:53], v[52:53], 0
	v_add_f64 v[56:57], v[56:57], 0
	v_fma_f64 v[54:55], v[182:183], v[6:7], v[54:55]
	v_fma_f64 v[60:61], v[180:181], v[6:7], -v[8:9]
	scratch_load_b128 v[6:9], off, off offset:640
	ds_load_b128 v[180:183], v1 offset:1504
	v_fma_f64 v[58:59], v[4:5], v[10:11], v[58:59]
	v_fma_f64 v[64:65], v[2:3], v[10:11], -v[12:13]
	ds_load_b128 v[2:5], v1 offset:1488
	s_waitcnt vmcnt(9)
	v_mul_f64 v[62:63], v[230:231], v[16:17]
	v_mul_f64 v[16:17], v[232:233], v[16:17]
	scratch_load_b128 v[10:13], off, off offset:656
	v_add_f64 v[54:55], v[56:57], v[54:55]
	v_add_f64 v[52:53], v[52:53], v[60:61]
	s_waitcnt vmcnt(9) lgkmcnt(0)
	v_mul_f64 v[56:57], v[2:3], v[20:21]
	v_mul_f64 v[20:21], v[4:5], v[20:21]
	v_fma_f64 v[60:61], v[232:233], v[14:15], v[62:63]
	v_fma_f64 v[62:63], v[230:231], v[14:15], -v[16:17]
	scratch_load_b128 v[14:17], off, off offset:672
	ds_load_b128 v[230:233], v1 offset:1536
	v_add_f64 v[54:55], v[54:55], v[58:59]
	v_add_f64 v[52:53], v[52:53], v[64:65]
	v_fma_f64 v[56:57], v[4:5], v[18:19], v[56:57]
	v_fma_f64 v[64:65], v[2:3], v[18:19], -v[20:21]
	ds_load_b128 v[2:5], v1 offset:1520
	s_waitcnt vmcnt(9)
	v_mul_f64 v[58:59], v[180:181], v[24:25]
	v_mul_f64 v[24:25], v[182:183], v[24:25]
	scratch_load_b128 v[18:21], off, off offset:688
	v_add_f64 v[54:55], v[54:55], v[60:61]
	v_add_f64 v[52:53], v[52:53], v[62:63]
	s_waitcnt vmcnt(9) lgkmcnt(0)
	v_mul_f64 v[60:61], v[2:3], v[28:29]
	v_mul_f64 v[28:29], v[4:5], v[28:29]
	v_fma_f64 v[58:59], v[182:183], v[22:23], v[58:59]
	v_fma_f64 v[62:63], v[180:181], v[22:23], -v[24:25]
	scratch_load_b128 v[22:25], off, off offset:704
	ds_load_b128 v[180:183], v1 offset:1568
	v_add_f64 v[54:55], v[54:55], v[56:57]
	v_add_f64 v[52:53], v[52:53], v[64:65]
	;; [unrolled: 18-line block ×3, first 2 shown]
	v_fma_f64 v[58:59], v[4:5], v[34:35], v[58:59]
	v_fma_f64 v[66:67], v[2:3], v[34:35], -v[36:37]
	ds_load_b128 v[2:5], v1 offset:1584
	s_waitcnt vmcnt(8)
	v_mul_f64 v[60:61], v[180:181], v[203:204]
	v_mul_f64 v[64:65], v[182:183], v[203:204]
	scratch_load_b128 v[34:37], off, off offset:752
	v_add_f64 v[54:55], v[54:55], v[56:57]
	v_add_f64 v[52:53], v[52:53], v[62:63]
	v_fma_f64 v[60:61], v[182:183], v[201:202], v[60:61]
	v_fma_f64 v[62:63], v[180:181], v[201:202], -v[64:65]
	scratch_load_b128 v[180:183], off, off offset:768
	ds_load_b128 v[201:204], v1 offset:1632
	s_waitcnt vmcnt(9) lgkmcnt(1)
	v_mul_f64 v[56:57], v[2:3], v[40:41]
	v_mul_f64 v[40:41], v[4:5], v[40:41]
	v_add_f64 v[54:55], v[54:55], v[58:59]
	v_add_f64 v[52:53], v[52:53], v[66:67]
	s_delay_alu instid0(VALU_DEP_4) | instskip(NEXT) | instid1(VALU_DEP_4)
	v_fma_f64 v[56:57], v[4:5], v[38:39], v[56:57]
	v_fma_f64 v[64:65], v[2:3], v[38:39], -v[40:41]
	ds_load_b128 v[2:5], v1 offset:1616
	s_waitcnt vmcnt(8)
	v_mul_f64 v[58:59], v[230:231], v[8:9]
	v_mul_f64 v[8:9], v[232:233], v[8:9]
	scratch_load_b128 v[38:41], off, off offset:784
	v_add_f64 v[54:55], v[54:55], v[60:61]
	v_add_f64 v[52:53], v[52:53], v[62:63]
	s_waitcnt vmcnt(8) lgkmcnt(0)
	v_mul_f64 v[60:61], v[2:3], v[12:13]
	v_mul_f64 v[12:13], v[4:5], v[12:13]
	v_fma_f64 v[58:59], v[232:233], v[6:7], v[58:59]
	v_fma_f64 v[62:63], v[230:231], v[6:7], -v[8:9]
	scratch_load_b128 v[6:9], off, off offset:800
	ds_load_b128 v[230:233], v1 offset:1664
	v_add_f64 v[54:55], v[54:55], v[56:57]
	v_add_f64 v[52:53], v[52:53], v[64:65]
	v_fma_f64 v[60:61], v[4:5], v[10:11], v[60:61]
	v_fma_f64 v[64:65], v[2:3], v[10:11], -v[12:13]
	ds_load_b128 v[2:5], v1 offset:1648
	s_waitcnt vmcnt(8)
	v_mul_f64 v[56:57], v[201:202], v[16:17]
	v_mul_f64 v[16:17], v[203:204], v[16:17]
	scratch_load_b128 v[10:13], off, off offset:816
	v_add_f64 v[54:55], v[54:55], v[58:59]
	v_add_f64 v[52:53], v[52:53], v[62:63]
	s_waitcnt vmcnt(8) lgkmcnt(0)
	v_mul_f64 v[58:59], v[2:3], v[20:21]
	v_mul_f64 v[20:21], v[4:5], v[20:21]
	v_fma_f64 v[56:57], v[203:204], v[14:15], v[56:57]
	v_fma_f64 v[62:63], v[201:202], v[14:15], -v[16:17]
	scratch_load_b128 v[14:17], off, off offset:832
	ds_load_b128 v[201:204], v1 offset:1696
	v_add_f64 v[54:55], v[54:55], v[60:61]
	v_add_f64 v[52:53], v[52:53], v[64:65]
	;; [unrolled: 18-line block ×3, first 2 shown]
	v_fma_f64 v[56:57], v[4:5], v[26:27], v[56:57]
	v_fma_f64 v[64:65], v[2:3], v[26:27], -v[28:29]
	ds_load_b128 v[2:5], v1 offset:1712
	s_waitcnt vmcnt(8)
	v_mul_f64 v[58:59], v[201:202], v[32:33]
	v_mul_f64 v[32:33], v[203:204], v[32:33]
	scratch_load_b128 v[26:29], off, off offset:880
	v_add_f64 v[54:55], v[54:55], v[60:61]
	v_add_f64 v[52:53], v[52:53], v[62:63]
	s_waitcnt vmcnt(8) lgkmcnt(0)
	v_mul_f64 v[60:61], v[2:3], v[36:37]
	v_mul_f64 v[36:37], v[4:5], v[36:37]
	v_fma_f64 v[58:59], v[203:204], v[30:31], v[58:59]
	v_fma_f64 v[62:63], v[201:202], v[30:31], -v[32:33]
	s_clause 0x1
	scratch_load_b128 v[30:33], off, off offset:896
	scratch_load_b128 v[201:204], off, off offset:928
	v_add_f64 v[54:55], v[54:55], v[56:57]
	v_add_f64 v[52:53], v[52:53], v[64:65]
	v_fma_f64 v[60:61], v[4:5], v[34:35], v[60:61]
	v_fma_f64 v[66:67], v[2:3], v[34:35], -v[36:37]
	ds_load_b128 v[2:5], v1 offset:1744
	s_waitcnt vmcnt(9)
	v_mul_f64 v[56:57], v[230:231], v[182:183]
	v_mul_f64 v[64:65], v[232:233], v[182:183]
	scratch_load_b128 v[34:37], off, off offset:912
	ds_load_b128 v[182:185], v1 offset:1760
	v_add_f64 v[54:55], v[54:55], v[58:59]
	v_add_f64 v[52:53], v[52:53], v[62:63]
	s_waitcnt vmcnt(9) lgkmcnt(1)
	v_mul_f64 v[58:59], v[2:3], v[40:41]
	v_mul_f64 v[40:41], v[4:5], v[40:41]
	v_fma_f64 v[56:57], v[232:233], v[180:181], v[56:57]
	v_fma_f64 v[62:63], v[230:231], v[180:181], -v[64:65]
	ds_load_b128 v[230:233], v1 offset:1792
	v_add_f64 v[54:55], v[54:55], v[60:61]
	v_add_f64 v[52:53], v[52:53], v[66:67]
	v_fma_f64 v[58:59], v[4:5], v[38:39], v[58:59]
	v_fma_f64 v[64:65], v[2:3], v[38:39], -v[40:41]
	ds_load_b128 v[2:5], v1 offset:1776
	s_waitcnt vmcnt(8) lgkmcnt(2)
	v_mul_f64 v[60:61], v[182:183], v[8:9]
	v_mul_f64 v[8:9], v[184:185], v[8:9]
	scratch_load_b128 v[38:41], off, off offset:944
	v_add_f64 v[54:55], v[54:55], v[56:57]
	v_add_f64 v[52:53], v[52:53], v[62:63]
	s_waitcnt vmcnt(8) lgkmcnt(0)
	v_mul_f64 v[56:57], v[2:3], v[12:13]
	v_mul_f64 v[12:13], v[4:5], v[12:13]
	v_fma_f64 v[60:61], v[184:185], v[6:7], v[60:61]
	v_fma_f64 v[6:7], v[182:183], v[6:7], -v[8:9]
	v_add_f64 v[8:9], v[52:53], v[64:65]
	v_add_f64 v[52:53], v[54:55], v[58:59]
	s_waitcnt vmcnt(7)
	v_mul_f64 v[54:55], v[230:231], v[16:17]
	v_mul_f64 v[16:17], v[232:233], v[16:17]
	v_fma_f64 v[56:57], v[4:5], v[10:11], v[56:57]
	v_fma_f64 v[10:11], v[2:3], v[10:11], -v[12:13]
	v_add_f64 v[12:13], v[8:9], v[6:7]
	v_add_f64 v[52:53], v[52:53], v[60:61]
	ds_load_b128 v[2:5], v1 offset:1808
	ds_load_b128 v[6:9], v1 offset:1824
	v_fma_f64 v[54:55], v[232:233], v[14:15], v[54:55]
	v_fma_f64 v[14:15], v[230:231], v[14:15], -v[16:17]
	s_waitcnt vmcnt(6) lgkmcnt(1)
	v_mul_f64 v[58:59], v[2:3], v[20:21]
	v_mul_f64 v[20:21], v[4:5], v[20:21]
	s_waitcnt vmcnt(5) lgkmcnt(0)
	v_mul_f64 v[16:17], v[6:7], v[24:25]
	v_mul_f64 v[24:25], v[8:9], v[24:25]
	v_add_f64 v[10:11], v[12:13], v[10:11]
	v_add_f64 v[12:13], v[52:53], v[56:57]
	v_fma_f64 v[52:53], v[4:5], v[18:19], v[58:59]
	v_fma_f64 v[18:19], v[2:3], v[18:19], -v[20:21]
	v_fma_f64 v[8:9], v[8:9], v[22:23], v[16:17]
	v_fma_f64 v[6:7], v[6:7], v[22:23], -v[24:25]
	v_add_f64 v[14:15], v[10:11], v[14:15]
	v_add_f64 v[20:21], v[12:13], v[54:55]
	ds_load_b128 v[2:5], v1 offset:1840
	ds_load_b128 v[10:13], v1 offset:1856
	s_waitcnt vmcnt(4) lgkmcnt(1)
	v_mul_f64 v[54:55], v[2:3], v[28:29]
	v_mul_f64 v[28:29], v[4:5], v[28:29]
	v_add_f64 v[14:15], v[14:15], v[18:19]
	v_add_f64 v[16:17], v[20:21], v[52:53]
	s_waitcnt vmcnt(3) lgkmcnt(0)
	v_mul_f64 v[18:19], v[10:11], v[32:33]
	v_mul_f64 v[20:21], v[12:13], v[32:33]
	v_fma_f64 v[22:23], v[4:5], v[26:27], v[54:55]
	v_fma_f64 v[24:25], v[2:3], v[26:27], -v[28:29]
	v_add_f64 v[14:15], v[14:15], v[6:7]
	v_add_f64 v[16:17], v[16:17], v[8:9]
	ds_load_b128 v[2:5], v1 offset:1872
	ds_load_b128 v[6:9], v1 offset:1888
	v_fma_f64 v[12:13], v[12:13], v[30:31], v[18:19]
	v_fma_f64 v[10:11], v[10:11], v[30:31], -v[20:21]
	s_waitcnt vmcnt(1) lgkmcnt(1)
	v_mul_f64 v[26:27], v[2:3], v[36:37]
	v_mul_f64 v[28:29], v[4:5], v[36:37]
	s_waitcnt lgkmcnt(0)
	v_mul_f64 v[18:19], v[6:7], v[203:204]
	v_mul_f64 v[20:21], v[8:9], v[203:204]
	v_add_f64 v[14:15], v[14:15], v[24:25]
	v_add_f64 v[16:17], v[16:17], v[22:23]
	v_fma_f64 v[22:23], v[4:5], v[34:35], v[26:27]
	v_fma_f64 v[24:25], v[2:3], v[34:35], -v[28:29]
	ds_load_b128 v[2:5], v1 offset:1904
	v_fma_f64 v[8:9], v[8:9], v[201:202], v[18:19]
	v_fma_f64 v[6:7], v[6:7], v[201:202], -v[20:21]
	v_add_f64 v[10:11], v[14:15], v[10:11]
	v_add_f64 v[12:13], v[16:17], v[12:13]
	s_waitcnt vmcnt(0) lgkmcnt(0)
	v_mul_f64 v[14:15], v[2:3], v[40:41]
	v_mul_f64 v[16:17], v[4:5], v[40:41]
	s_delay_alu instid0(VALU_DEP_4) | instskip(NEXT) | instid1(VALU_DEP_4)
	v_add_f64 v[10:11], v[10:11], v[24:25]
	v_add_f64 v[12:13], v[12:13], v[22:23]
	s_delay_alu instid0(VALU_DEP_4) | instskip(NEXT) | instid1(VALU_DEP_4)
	v_fma_f64 v[4:5], v[4:5], v[38:39], v[14:15]
	v_fma_f64 v[2:3], v[2:3], v[38:39], -v[16:17]
	s_delay_alu instid0(VALU_DEP_4) | instskip(NEXT) | instid1(VALU_DEP_4)
	v_add_f64 v[6:7], v[10:11], v[6:7]
	v_add_f64 v[8:9], v[12:13], v[8:9]
	s_delay_alu instid0(VALU_DEP_2) | instskip(NEXT) | instid1(VALU_DEP_2)
	v_add_f64 v[2:3], v[6:7], v[2:3]
	v_add_f64 v[4:5], v[8:9], v[4:5]
	s_delay_alu instid0(VALU_DEP_2) | instskip(NEXT) | instid1(VALU_DEP_2)
	v_add_f64 v[2:3], v[42:43], -v[2:3]
	v_add_f64 v[4:5], v[44:45], -v[4:5]
	scratch_store_b128 off, v[2:5], off offset:448
	v_cmpx_lt_u32_e32 27, v166
	s_cbranch_execz .LBB59_319
; %bb.318:
	scratch_load_b128 v[5:8], v221, off
	v_mov_b32_e32 v2, v1
	v_mov_b32_e32 v3, v1
	;; [unrolled: 1-line block ×3, first 2 shown]
	scratch_store_b128 off, v[1:4], off offset:432
	s_waitcnt vmcnt(0)
	ds_store_b128 v226, v[5:8]
.LBB59_319:
	s_or_b32 exec_lo, exec_lo, s2
	s_waitcnt lgkmcnt(0)
	s_waitcnt_vscnt null, 0x0
	s_barrier
	buffer_gl0_inv
	s_clause 0x8
	scratch_load_b128 v[2:5], off, off offset:448
	scratch_load_b128 v[6:9], off, off offset:464
	scratch_load_b128 v[10:13], off, off offset:480
	scratch_load_b128 v[14:17], off, off offset:496
	scratch_load_b128 v[18:21], off, off offset:512
	scratch_load_b128 v[22:25], off, off offset:528
	scratch_load_b128 v[26:29], off, off offset:544
	scratch_load_b128 v[30:33], off, off offset:560
	scratch_load_b128 v[34:37], off, off offset:576
	ds_load_b128 v[42:45], v1 offset:1408
	ds_load_b128 v[38:41], v1 offset:1424
	s_clause 0x1
	scratch_load_b128 v[180:183], off, off offset:432
	scratch_load_b128 v[201:204], off, off offset:592
	s_mov_b32 s2, exec_lo
	ds_load_b128 v[230:233], v1 offset:1456
	s_waitcnt vmcnt(10) lgkmcnt(2)
	v_mul_f64 v[52:53], v[44:45], v[4:5]
	v_mul_f64 v[4:5], v[42:43], v[4:5]
	s_waitcnt vmcnt(9) lgkmcnt(1)
	v_mul_f64 v[54:55], v[38:39], v[8:9]
	v_mul_f64 v[8:9], v[40:41], v[8:9]
	s_delay_alu instid0(VALU_DEP_4) | instskip(NEXT) | instid1(VALU_DEP_4)
	v_fma_f64 v[52:53], v[42:43], v[2:3], -v[52:53]
	v_fma_f64 v[56:57], v[44:45], v[2:3], v[4:5]
	ds_load_b128 v[2:5], v1 offset:1440
	scratch_load_b128 v[42:45], off, off offset:608
	v_fma_f64 v[40:41], v[40:41], v[6:7], v[54:55]
	v_fma_f64 v[38:39], v[38:39], v[6:7], -v[8:9]
	scratch_load_b128 v[6:9], off, off offset:624
	s_waitcnt vmcnt(10) lgkmcnt(0)
	v_mul_f64 v[58:59], v[2:3], v[12:13]
	v_mul_f64 v[12:13], v[4:5], v[12:13]
	v_add_f64 v[52:53], v[52:53], 0
	v_add_f64 v[54:55], v[56:57], 0
	s_waitcnt vmcnt(9)
	v_mul_f64 v[56:57], v[230:231], v[16:17]
	v_mul_f64 v[16:17], v[232:233], v[16:17]
	v_fma_f64 v[58:59], v[4:5], v[10:11], v[58:59]
	v_fma_f64 v[60:61], v[2:3], v[10:11], -v[12:13]
	ds_load_b128 v[2:5], v1 offset:1472
	scratch_load_b128 v[10:13], off, off offset:640
	v_add_f64 v[52:53], v[52:53], v[38:39]
	v_add_f64 v[54:55], v[54:55], v[40:41]
	ds_load_b128 v[38:41], v1 offset:1488
	v_fma_f64 v[56:57], v[232:233], v[14:15], v[56:57]
	v_fma_f64 v[64:65], v[230:231], v[14:15], -v[16:17]
	scratch_load_b128 v[14:17], off, off offset:656
	s_waitcnt vmcnt(10) lgkmcnt(1)
	v_mul_f64 v[62:63], v[2:3], v[20:21]
	v_mul_f64 v[20:21], v[4:5], v[20:21]
	ds_load_b128 v[230:233], v1 offset:1520
	v_add_f64 v[52:53], v[52:53], v[60:61]
	v_add_f64 v[54:55], v[54:55], v[58:59]
	s_waitcnt vmcnt(9) lgkmcnt(1)
	v_mul_f64 v[58:59], v[38:39], v[24:25]
	v_mul_f64 v[24:25], v[40:41], v[24:25]
	v_fma_f64 v[60:61], v[4:5], v[18:19], v[62:63]
	v_fma_f64 v[62:63], v[2:3], v[18:19], -v[20:21]
	ds_load_b128 v[2:5], v1 offset:1504
	scratch_load_b128 v[18:21], off, off offset:672
	v_add_f64 v[52:53], v[52:53], v[64:65]
	v_add_f64 v[54:55], v[54:55], v[56:57]
	s_waitcnt vmcnt(9) lgkmcnt(0)
	v_mul_f64 v[56:57], v[2:3], v[28:29]
	v_mul_f64 v[28:29], v[4:5], v[28:29]
	v_fma_f64 v[40:41], v[40:41], v[22:23], v[58:59]
	v_fma_f64 v[38:39], v[38:39], v[22:23], -v[24:25]
	scratch_load_b128 v[22:25], off, off offset:688
	s_waitcnt vmcnt(9)
	v_mul_f64 v[58:59], v[230:231], v[32:33]
	v_mul_f64 v[32:33], v[232:233], v[32:33]
	v_add_f64 v[52:53], v[52:53], v[62:63]
	v_add_f64 v[54:55], v[54:55], v[60:61]
	v_fma_f64 v[56:57], v[4:5], v[26:27], v[56:57]
	v_fma_f64 v[60:61], v[2:3], v[26:27], -v[28:29]
	ds_load_b128 v[2:5], v1 offset:1536
	scratch_load_b128 v[26:29], off, off offset:704
	v_fma_f64 v[58:59], v[232:233], v[30:31], v[58:59]
	v_fma_f64 v[64:65], v[230:231], v[30:31], -v[32:33]
	scratch_load_b128 v[30:33], off, off offset:720
	ds_load_b128 v[230:233], v1 offset:1584
	v_add_f64 v[52:53], v[52:53], v[38:39]
	v_add_f64 v[54:55], v[54:55], v[40:41]
	ds_load_b128 v[38:41], v1 offset:1552
	s_waitcnt vmcnt(10) lgkmcnt(2)
	v_mul_f64 v[62:63], v[2:3], v[36:37]
	v_mul_f64 v[36:37], v[4:5], v[36:37]
	v_add_f64 v[52:53], v[52:53], v[60:61]
	v_add_f64 v[54:55], v[54:55], v[56:57]
	s_waitcnt vmcnt(8) lgkmcnt(0)
	v_mul_f64 v[56:57], v[38:39], v[203:204]
	v_mul_f64 v[60:61], v[40:41], v[203:204]
	v_fma_f64 v[62:63], v[4:5], v[34:35], v[62:63]
	v_fma_f64 v[66:67], v[2:3], v[34:35], -v[36:37]
	ds_load_b128 v[2:5], v1 offset:1568
	scratch_load_b128 v[34:37], off, off offset:736
	v_add_f64 v[52:53], v[52:53], v[64:65]
	v_add_f64 v[54:55], v[54:55], v[58:59]
	v_fma_f64 v[56:57], v[40:41], v[201:202], v[56:57]
	v_fma_f64 v[60:61], v[38:39], v[201:202], -v[60:61]
	scratch_load_b128 v[38:41], off, off offset:752
	ds_load_b128 v[201:204], v1 offset:1616
	s_waitcnt vmcnt(9) lgkmcnt(1)
	v_mul_f64 v[58:59], v[2:3], v[44:45]
	v_mul_f64 v[44:45], v[4:5], v[44:45]
	v_add_f64 v[52:53], v[52:53], v[66:67]
	v_add_f64 v[54:55], v[54:55], v[62:63]
	s_waitcnt vmcnt(8)
	v_mul_f64 v[62:63], v[230:231], v[8:9]
	v_mul_f64 v[8:9], v[232:233], v[8:9]
	v_fma_f64 v[58:59], v[4:5], v[42:43], v[58:59]
	v_fma_f64 v[64:65], v[2:3], v[42:43], -v[44:45]
	ds_load_b128 v[2:5], v1 offset:1600
	scratch_load_b128 v[42:45], off, off offset:768
	v_add_f64 v[52:53], v[52:53], v[60:61]
	v_add_f64 v[54:55], v[54:55], v[56:57]
	v_fma_f64 v[60:61], v[232:233], v[6:7], v[62:63]
	s_waitcnt vmcnt(8) lgkmcnt(0)
	v_mul_f64 v[56:57], v[2:3], v[12:13]
	v_mul_f64 v[12:13], v[4:5], v[12:13]
	v_fma_f64 v[62:63], v[230:231], v[6:7], -v[8:9]
	scratch_load_b128 v[6:9], off, off offset:784
	ds_load_b128 v[230:233], v1 offset:1648
	v_add_f64 v[52:53], v[52:53], v[64:65]
	v_add_f64 v[54:55], v[54:55], v[58:59]
	s_waitcnt vmcnt(8)
	v_mul_f64 v[58:59], v[201:202], v[16:17]
	v_mul_f64 v[16:17], v[203:204], v[16:17]
	v_fma_f64 v[56:57], v[4:5], v[10:11], v[56:57]
	v_fma_f64 v[64:65], v[2:3], v[10:11], -v[12:13]
	ds_load_b128 v[2:5], v1 offset:1632
	scratch_load_b128 v[10:13], off, off offset:800
	v_add_f64 v[52:53], v[52:53], v[62:63]
	v_add_f64 v[54:55], v[54:55], v[60:61]
	s_waitcnt vmcnt(8) lgkmcnt(0)
	v_mul_f64 v[60:61], v[2:3], v[20:21]
	v_mul_f64 v[20:21], v[4:5], v[20:21]
	v_fma_f64 v[58:59], v[203:204], v[14:15], v[58:59]
	v_fma_f64 v[62:63], v[201:202], v[14:15], -v[16:17]
	scratch_load_b128 v[14:17], off, off offset:816
	ds_load_b128 v[201:204], v1 offset:1680
	v_add_f64 v[52:53], v[52:53], v[64:65]
	v_add_f64 v[54:55], v[54:55], v[56:57]
	s_waitcnt vmcnt(8)
	v_mul_f64 v[56:57], v[230:231], v[24:25]
	v_mul_f64 v[24:25], v[232:233], v[24:25]
	v_fma_f64 v[60:61], v[4:5], v[18:19], v[60:61]
	v_fma_f64 v[64:65], v[2:3], v[18:19], -v[20:21]
	ds_load_b128 v[2:5], v1 offset:1664
	scratch_load_b128 v[18:21], off, off offset:832
	v_add_f64 v[52:53], v[52:53], v[62:63]
	v_add_f64 v[54:55], v[54:55], v[58:59]
	s_waitcnt vmcnt(8) lgkmcnt(0)
	v_mul_f64 v[58:59], v[2:3], v[28:29]
	v_mul_f64 v[28:29], v[4:5], v[28:29]
	v_fma_f64 v[56:57], v[232:233], v[22:23], v[56:57]
	;; [unrolled: 18-line block ×5, first 2 shown]
	v_fma_f64 v[62:63], v[201:202], v[6:7], -v[8:9]
	scratch_load_b128 v[6:9], off, off offset:944
	v_add_f64 v[52:53], v[52:53], v[64:65]
	v_add_f64 v[54:55], v[54:55], v[60:61]
	s_waitcnt vmcnt(8)
	v_mul_f64 v[60:61], v[230:231], v[16:17]
	v_mul_f64 v[16:17], v[232:233], v[16:17]
	v_fma_f64 v[58:59], v[4:5], v[10:11], v[58:59]
	v_fma_f64 v[64:65], v[2:3], v[10:11], -v[12:13]
	ds_load_b128 v[2:5], v1 offset:1792
	ds_load_b128 v[10:13], v1 offset:1808
	v_add_f64 v[52:53], v[52:53], v[62:63]
	v_add_f64 v[54:55], v[54:55], v[56:57]
	s_waitcnt vmcnt(7) lgkmcnt(1)
	v_mul_f64 v[56:57], v[2:3], v[20:21]
	v_mul_f64 v[20:21], v[4:5], v[20:21]
	v_fma_f64 v[60:61], v[232:233], v[14:15], v[60:61]
	v_fma_f64 v[14:15], v[230:231], v[14:15], -v[16:17]
	v_add_f64 v[16:17], v[52:53], v[64:65]
	v_add_f64 v[52:53], v[54:55], v[58:59]
	s_waitcnt vmcnt(6) lgkmcnt(0)
	v_mul_f64 v[54:55], v[10:11], v[24:25]
	v_mul_f64 v[24:25], v[12:13], v[24:25]
	v_fma_f64 v[56:57], v[4:5], v[18:19], v[56:57]
	v_fma_f64 v[18:19], v[2:3], v[18:19], -v[20:21]
	v_add_f64 v[20:21], v[16:17], v[14:15]
	v_add_f64 v[52:53], v[52:53], v[60:61]
	ds_load_b128 v[2:5], v1 offset:1824
	ds_load_b128 v[14:17], v1 offset:1840
	v_fma_f64 v[12:13], v[12:13], v[22:23], v[54:55]
	v_fma_f64 v[10:11], v[10:11], v[22:23], -v[24:25]
	s_waitcnt vmcnt(5) lgkmcnt(1)
	v_mul_f64 v[58:59], v[2:3], v[28:29]
	v_mul_f64 v[28:29], v[4:5], v[28:29]
	s_waitcnt vmcnt(4) lgkmcnt(0)
	v_mul_f64 v[22:23], v[14:15], v[32:33]
	v_mul_f64 v[24:25], v[16:17], v[32:33]
	v_add_f64 v[18:19], v[20:21], v[18:19]
	v_add_f64 v[20:21], v[52:53], v[56:57]
	v_fma_f64 v[32:33], v[4:5], v[26:27], v[58:59]
	v_fma_f64 v[26:27], v[2:3], v[26:27], -v[28:29]
	v_fma_f64 v[16:17], v[16:17], v[30:31], v[22:23]
	v_fma_f64 v[14:15], v[14:15], v[30:31], -v[24:25]
	v_add_f64 v[18:19], v[18:19], v[10:11]
	v_add_f64 v[20:21], v[20:21], v[12:13]
	ds_load_b128 v[2:5], v1 offset:1856
	ds_load_b128 v[10:13], v1 offset:1872
	s_waitcnt vmcnt(3) lgkmcnt(1)
	v_mul_f64 v[28:29], v[2:3], v[36:37]
	v_mul_f64 v[36:37], v[4:5], v[36:37]
	s_waitcnt vmcnt(2) lgkmcnt(0)
	v_mul_f64 v[22:23], v[10:11], v[40:41]
	v_mul_f64 v[24:25], v[12:13], v[40:41]
	v_add_f64 v[18:19], v[18:19], v[26:27]
	v_add_f64 v[20:21], v[20:21], v[32:33]
	v_fma_f64 v[26:27], v[4:5], v[34:35], v[28:29]
	v_fma_f64 v[28:29], v[2:3], v[34:35], -v[36:37]
	v_fma_f64 v[12:13], v[12:13], v[38:39], v[22:23]
	v_fma_f64 v[10:11], v[10:11], v[38:39], -v[24:25]
	v_add_f64 v[18:19], v[18:19], v[14:15]
	v_add_f64 v[20:21], v[20:21], v[16:17]
	ds_load_b128 v[2:5], v1 offset:1888
	ds_load_b128 v[14:17], v1 offset:1904
	s_waitcnt vmcnt(1) lgkmcnt(1)
	v_mul_f64 v[30:31], v[2:3], v[44:45]
	v_mul_f64 v[32:33], v[4:5], v[44:45]
	s_waitcnt vmcnt(0) lgkmcnt(0)
	v_mul_f64 v[22:23], v[14:15], v[8:9]
	v_mul_f64 v[8:9], v[16:17], v[8:9]
	v_add_f64 v[18:19], v[18:19], v[28:29]
	v_add_f64 v[20:21], v[20:21], v[26:27]
	v_fma_f64 v[4:5], v[4:5], v[42:43], v[30:31]
	v_fma_f64 v[1:2], v[2:3], v[42:43], -v[32:33]
	v_fma_f64 v[16:17], v[16:17], v[6:7], v[22:23]
	v_fma_f64 v[6:7], v[14:15], v[6:7], -v[8:9]
	v_add_f64 v[10:11], v[18:19], v[10:11]
	v_add_f64 v[12:13], v[20:21], v[12:13]
	s_delay_alu instid0(VALU_DEP_2) | instskip(NEXT) | instid1(VALU_DEP_2)
	v_add_f64 v[1:2], v[10:11], v[1:2]
	v_add_f64 v[3:4], v[12:13], v[4:5]
	s_delay_alu instid0(VALU_DEP_2) | instskip(NEXT) | instid1(VALU_DEP_2)
	;; [unrolled: 3-line block ×3, first 2 shown]
	v_add_f64 v[1:2], v[180:181], -v[1:2]
	v_add_f64 v[3:4], v[182:183], -v[3:4]
	scratch_store_b128 off, v[1:4], off offset:432
	v_cmpx_lt_u32_e32 26, v166
	s_cbranch_execz .LBB59_321
; %bb.320:
	scratch_load_b128 v[1:4], v222, off
	v_mov_b32_e32 v5, 0
	s_delay_alu instid0(VALU_DEP_1)
	v_mov_b32_e32 v6, v5
	v_mov_b32_e32 v7, v5
	;; [unrolled: 1-line block ×3, first 2 shown]
	scratch_store_b128 off, v[5:8], off offset:416
	s_waitcnt vmcnt(0)
	ds_store_b128 v226, v[1:4]
.LBB59_321:
	s_or_b32 exec_lo, exec_lo, s2
	s_waitcnt lgkmcnt(0)
	s_waitcnt_vscnt null, 0x0
	s_barrier
	buffer_gl0_inv
	s_clause 0x7
	scratch_load_b128 v[2:5], off, off offset:432
	scratch_load_b128 v[6:9], off, off offset:448
	;; [unrolled: 1-line block ×8, first 2 shown]
	v_mov_b32_e32 v1, 0
	s_mov_b32 s2, exec_lo
	ds_load_b128 v[38:41], v1 offset:1392
	s_clause 0x1
	scratch_load_b128 v[34:37], off, off offset:560
	scratch_load_b128 v[42:45], off, off offset:416
	ds_load_b128 v[180:183], v1 offset:1408
	scratch_load_b128 v[201:204], off, off offset:576
	ds_load_b128 v[230:233], v1 offset:1440
	s_waitcnt vmcnt(10) lgkmcnt(2)
	v_mul_f64 v[52:53], v[40:41], v[4:5]
	v_mul_f64 v[4:5], v[38:39], v[4:5]
	s_delay_alu instid0(VALU_DEP_2) | instskip(NEXT) | instid1(VALU_DEP_2)
	v_fma_f64 v[52:53], v[38:39], v[2:3], -v[52:53]
	v_fma_f64 v[56:57], v[40:41], v[2:3], v[4:5]
	ds_load_b128 v[2:5], v1 offset:1424
	s_waitcnt vmcnt(9) lgkmcnt(2)
	v_mul_f64 v[54:55], v[180:181], v[8:9]
	v_mul_f64 v[8:9], v[182:183], v[8:9]
	scratch_load_b128 v[38:41], off, off offset:592
	s_waitcnt vmcnt(9) lgkmcnt(0)
	v_mul_f64 v[58:59], v[2:3], v[12:13]
	v_mul_f64 v[12:13], v[4:5], v[12:13]
	v_add_f64 v[52:53], v[52:53], 0
	v_add_f64 v[56:57], v[56:57], 0
	v_fma_f64 v[54:55], v[182:183], v[6:7], v[54:55]
	v_fma_f64 v[60:61], v[180:181], v[6:7], -v[8:9]
	scratch_load_b128 v[6:9], off, off offset:608
	ds_load_b128 v[180:183], v1 offset:1472
	v_fma_f64 v[58:59], v[4:5], v[10:11], v[58:59]
	v_fma_f64 v[64:65], v[2:3], v[10:11], -v[12:13]
	ds_load_b128 v[2:5], v1 offset:1456
	s_waitcnt vmcnt(9)
	v_mul_f64 v[62:63], v[230:231], v[16:17]
	v_mul_f64 v[16:17], v[232:233], v[16:17]
	scratch_load_b128 v[10:13], off, off offset:624
	v_add_f64 v[54:55], v[56:57], v[54:55]
	v_add_f64 v[52:53], v[52:53], v[60:61]
	s_waitcnt vmcnt(9) lgkmcnt(0)
	v_mul_f64 v[56:57], v[2:3], v[20:21]
	v_mul_f64 v[20:21], v[4:5], v[20:21]
	v_fma_f64 v[60:61], v[232:233], v[14:15], v[62:63]
	v_fma_f64 v[62:63], v[230:231], v[14:15], -v[16:17]
	scratch_load_b128 v[14:17], off, off offset:640
	ds_load_b128 v[230:233], v1 offset:1504
	v_add_f64 v[54:55], v[54:55], v[58:59]
	v_add_f64 v[52:53], v[52:53], v[64:65]
	v_fma_f64 v[56:57], v[4:5], v[18:19], v[56:57]
	v_fma_f64 v[64:65], v[2:3], v[18:19], -v[20:21]
	ds_load_b128 v[2:5], v1 offset:1488
	s_waitcnt vmcnt(9)
	v_mul_f64 v[58:59], v[180:181], v[24:25]
	v_mul_f64 v[24:25], v[182:183], v[24:25]
	scratch_load_b128 v[18:21], off, off offset:656
	v_add_f64 v[54:55], v[54:55], v[60:61]
	v_add_f64 v[52:53], v[52:53], v[62:63]
	s_waitcnt vmcnt(9) lgkmcnt(0)
	v_mul_f64 v[60:61], v[2:3], v[28:29]
	v_mul_f64 v[28:29], v[4:5], v[28:29]
	v_fma_f64 v[58:59], v[182:183], v[22:23], v[58:59]
	v_fma_f64 v[62:63], v[180:181], v[22:23], -v[24:25]
	scratch_load_b128 v[22:25], off, off offset:672
	ds_load_b128 v[180:183], v1 offset:1536
	v_add_f64 v[54:55], v[54:55], v[56:57]
	v_add_f64 v[52:53], v[52:53], v[64:65]
	;; [unrolled: 18-line block ×3, first 2 shown]
	v_fma_f64 v[58:59], v[4:5], v[34:35], v[58:59]
	v_fma_f64 v[66:67], v[2:3], v[34:35], -v[36:37]
	ds_load_b128 v[2:5], v1 offset:1552
	s_waitcnt vmcnt(8)
	v_mul_f64 v[60:61], v[180:181], v[203:204]
	v_mul_f64 v[64:65], v[182:183], v[203:204]
	scratch_load_b128 v[34:37], off, off offset:720
	v_add_f64 v[54:55], v[54:55], v[56:57]
	v_add_f64 v[52:53], v[52:53], v[62:63]
	v_fma_f64 v[60:61], v[182:183], v[201:202], v[60:61]
	v_fma_f64 v[62:63], v[180:181], v[201:202], -v[64:65]
	scratch_load_b128 v[180:183], off, off offset:736
	ds_load_b128 v[201:204], v1 offset:1600
	s_waitcnt vmcnt(9) lgkmcnt(1)
	v_mul_f64 v[56:57], v[2:3], v[40:41]
	v_mul_f64 v[40:41], v[4:5], v[40:41]
	v_add_f64 v[54:55], v[54:55], v[58:59]
	v_add_f64 v[52:53], v[52:53], v[66:67]
	s_delay_alu instid0(VALU_DEP_4) | instskip(NEXT) | instid1(VALU_DEP_4)
	v_fma_f64 v[56:57], v[4:5], v[38:39], v[56:57]
	v_fma_f64 v[64:65], v[2:3], v[38:39], -v[40:41]
	ds_load_b128 v[2:5], v1 offset:1584
	s_waitcnt vmcnt(8)
	v_mul_f64 v[58:59], v[230:231], v[8:9]
	v_mul_f64 v[8:9], v[232:233], v[8:9]
	scratch_load_b128 v[38:41], off, off offset:752
	v_add_f64 v[54:55], v[54:55], v[60:61]
	v_add_f64 v[52:53], v[52:53], v[62:63]
	s_waitcnt vmcnt(8) lgkmcnt(0)
	v_mul_f64 v[60:61], v[2:3], v[12:13]
	v_mul_f64 v[12:13], v[4:5], v[12:13]
	v_fma_f64 v[58:59], v[232:233], v[6:7], v[58:59]
	v_fma_f64 v[62:63], v[230:231], v[6:7], -v[8:9]
	scratch_load_b128 v[6:9], off, off offset:768
	ds_load_b128 v[230:233], v1 offset:1632
	v_add_f64 v[54:55], v[54:55], v[56:57]
	v_add_f64 v[52:53], v[52:53], v[64:65]
	v_fma_f64 v[60:61], v[4:5], v[10:11], v[60:61]
	v_fma_f64 v[64:65], v[2:3], v[10:11], -v[12:13]
	ds_load_b128 v[2:5], v1 offset:1616
	s_waitcnt vmcnt(8)
	v_mul_f64 v[56:57], v[201:202], v[16:17]
	v_mul_f64 v[16:17], v[203:204], v[16:17]
	scratch_load_b128 v[10:13], off, off offset:784
	v_add_f64 v[54:55], v[54:55], v[58:59]
	v_add_f64 v[52:53], v[52:53], v[62:63]
	s_waitcnt vmcnt(8) lgkmcnt(0)
	v_mul_f64 v[58:59], v[2:3], v[20:21]
	v_mul_f64 v[20:21], v[4:5], v[20:21]
	v_fma_f64 v[56:57], v[203:204], v[14:15], v[56:57]
	v_fma_f64 v[62:63], v[201:202], v[14:15], -v[16:17]
	scratch_load_b128 v[14:17], off, off offset:800
	ds_load_b128 v[201:204], v1 offset:1664
	v_add_f64 v[54:55], v[54:55], v[60:61]
	v_add_f64 v[52:53], v[52:53], v[64:65]
	;; [unrolled: 18-line block ×3, first 2 shown]
	v_fma_f64 v[56:57], v[4:5], v[26:27], v[56:57]
	v_fma_f64 v[64:65], v[2:3], v[26:27], -v[28:29]
	ds_load_b128 v[2:5], v1 offset:1680
	s_waitcnt vmcnt(8)
	v_mul_f64 v[58:59], v[201:202], v[32:33]
	v_mul_f64 v[32:33], v[203:204], v[32:33]
	scratch_load_b128 v[26:29], off, off offset:848
	v_add_f64 v[54:55], v[54:55], v[60:61]
	v_add_f64 v[52:53], v[52:53], v[62:63]
	s_waitcnt vmcnt(8) lgkmcnt(0)
	v_mul_f64 v[60:61], v[2:3], v[36:37]
	v_mul_f64 v[36:37], v[4:5], v[36:37]
	v_fma_f64 v[58:59], v[203:204], v[30:31], v[58:59]
	v_fma_f64 v[62:63], v[201:202], v[30:31], -v[32:33]
	s_clause 0x1
	scratch_load_b128 v[30:33], off, off offset:864
	scratch_load_b128 v[201:204], off, off offset:896
	v_add_f64 v[54:55], v[54:55], v[56:57]
	v_add_f64 v[52:53], v[52:53], v[64:65]
	v_fma_f64 v[60:61], v[4:5], v[34:35], v[60:61]
	v_fma_f64 v[66:67], v[2:3], v[34:35], -v[36:37]
	ds_load_b128 v[2:5], v1 offset:1712
	s_waitcnt vmcnt(9)
	v_mul_f64 v[56:57], v[230:231], v[182:183]
	v_mul_f64 v[64:65], v[232:233], v[182:183]
	scratch_load_b128 v[34:37], off, off offset:880
	ds_load_b128 v[182:185], v1 offset:1728
	v_add_f64 v[54:55], v[54:55], v[58:59]
	v_add_f64 v[52:53], v[52:53], v[62:63]
	s_waitcnt vmcnt(9) lgkmcnt(1)
	v_mul_f64 v[58:59], v[2:3], v[40:41]
	v_mul_f64 v[40:41], v[4:5], v[40:41]
	v_fma_f64 v[56:57], v[232:233], v[180:181], v[56:57]
	v_fma_f64 v[62:63], v[230:231], v[180:181], -v[64:65]
	ds_load_b128 v[230:233], v1 offset:1760
	v_add_f64 v[54:55], v[54:55], v[60:61]
	v_add_f64 v[52:53], v[52:53], v[66:67]
	v_fma_f64 v[58:59], v[4:5], v[38:39], v[58:59]
	v_fma_f64 v[64:65], v[2:3], v[38:39], -v[40:41]
	ds_load_b128 v[2:5], v1 offset:1744
	s_waitcnt vmcnt(8) lgkmcnt(2)
	v_mul_f64 v[60:61], v[182:183], v[8:9]
	v_mul_f64 v[8:9], v[184:185], v[8:9]
	scratch_load_b128 v[38:41], off, off offset:912
	v_add_f64 v[54:55], v[54:55], v[56:57]
	v_add_f64 v[52:53], v[52:53], v[62:63]
	s_waitcnt vmcnt(8) lgkmcnt(0)
	v_mul_f64 v[56:57], v[2:3], v[12:13]
	v_mul_f64 v[12:13], v[4:5], v[12:13]
	v_fma_f64 v[60:61], v[184:185], v[6:7], v[60:61]
	v_fma_f64 v[62:63], v[182:183], v[6:7], -v[8:9]
	scratch_load_b128 v[6:9], off, off offset:928
	ds_load_b128 v[180:183], v1 offset:1792
	v_add_f64 v[54:55], v[54:55], v[58:59]
	v_add_f64 v[52:53], v[52:53], v[64:65]
	v_fma_f64 v[56:57], v[4:5], v[10:11], v[56:57]
	v_fma_f64 v[64:65], v[2:3], v[10:11], -v[12:13]
	scratch_load_b128 v[10:13], off, off offset:944
	ds_load_b128 v[2:5], v1 offset:1776
	s_waitcnt vmcnt(9)
	v_mul_f64 v[58:59], v[230:231], v[16:17]
	v_mul_f64 v[16:17], v[232:233], v[16:17]
	v_add_f64 v[54:55], v[54:55], v[60:61]
	v_add_f64 v[52:53], v[52:53], v[62:63]
	s_waitcnt vmcnt(8) lgkmcnt(0)
	v_mul_f64 v[60:61], v[2:3], v[20:21]
	v_mul_f64 v[20:21], v[4:5], v[20:21]
	v_fma_f64 v[58:59], v[232:233], v[14:15], v[58:59]
	v_fma_f64 v[14:15], v[230:231], v[14:15], -v[16:17]
	v_add_f64 v[16:17], v[52:53], v[64:65]
	v_add_f64 v[52:53], v[54:55], v[56:57]
	s_waitcnt vmcnt(7)
	v_mul_f64 v[54:55], v[180:181], v[24:25]
	v_mul_f64 v[24:25], v[182:183], v[24:25]
	v_fma_f64 v[56:57], v[4:5], v[18:19], v[60:61]
	v_fma_f64 v[18:19], v[2:3], v[18:19], -v[20:21]
	v_add_f64 v[20:21], v[16:17], v[14:15]
	v_add_f64 v[52:53], v[52:53], v[58:59]
	ds_load_b128 v[2:5], v1 offset:1808
	ds_load_b128 v[14:17], v1 offset:1824
	v_fma_f64 v[54:55], v[182:183], v[22:23], v[54:55]
	v_fma_f64 v[22:23], v[180:181], v[22:23], -v[24:25]
	s_waitcnt vmcnt(6) lgkmcnt(1)
	v_mul_f64 v[58:59], v[2:3], v[28:29]
	v_mul_f64 v[28:29], v[4:5], v[28:29]
	s_waitcnt vmcnt(5) lgkmcnt(0)
	v_mul_f64 v[24:25], v[14:15], v[32:33]
	v_mul_f64 v[32:33], v[16:17], v[32:33]
	v_add_f64 v[18:19], v[20:21], v[18:19]
	v_add_f64 v[20:21], v[52:53], v[56:57]
	v_fma_f64 v[52:53], v[4:5], v[26:27], v[58:59]
	v_fma_f64 v[26:27], v[2:3], v[26:27], -v[28:29]
	v_fma_f64 v[16:17], v[16:17], v[30:31], v[24:25]
	v_fma_f64 v[14:15], v[14:15], v[30:31], -v[32:33]
	v_add_f64 v[22:23], v[18:19], v[22:23]
	v_add_f64 v[28:29], v[20:21], v[54:55]
	ds_load_b128 v[2:5], v1 offset:1840
	ds_load_b128 v[18:21], v1 offset:1856
	s_waitcnt vmcnt(3) lgkmcnt(1)
	v_mul_f64 v[54:55], v[2:3], v[36:37]
	v_mul_f64 v[36:37], v[4:5], v[36:37]
	v_add_f64 v[22:23], v[22:23], v[26:27]
	v_add_f64 v[24:25], v[28:29], v[52:53]
	s_waitcnt lgkmcnt(0)
	v_mul_f64 v[26:27], v[18:19], v[203:204]
	v_mul_f64 v[28:29], v[20:21], v[203:204]
	v_fma_f64 v[30:31], v[4:5], v[34:35], v[54:55]
	v_fma_f64 v[32:33], v[2:3], v[34:35], -v[36:37]
	v_add_f64 v[22:23], v[22:23], v[14:15]
	v_add_f64 v[24:25], v[24:25], v[16:17]
	ds_load_b128 v[2:5], v1 offset:1872
	ds_load_b128 v[14:17], v1 offset:1888
	v_fma_f64 v[20:21], v[20:21], v[201:202], v[26:27]
	v_fma_f64 v[18:19], v[18:19], v[201:202], -v[28:29]
	s_waitcnt vmcnt(2) lgkmcnt(1)
	v_mul_f64 v[34:35], v[2:3], v[40:41]
	v_mul_f64 v[36:37], v[4:5], v[40:41]
	s_waitcnt vmcnt(1) lgkmcnt(0)
	v_mul_f64 v[26:27], v[14:15], v[8:9]
	v_mul_f64 v[8:9], v[16:17], v[8:9]
	v_add_f64 v[22:23], v[22:23], v[32:33]
	v_add_f64 v[24:25], v[24:25], v[30:31]
	v_fma_f64 v[28:29], v[4:5], v[38:39], v[34:35]
	v_fma_f64 v[30:31], v[2:3], v[38:39], -v[36:37]
	ds_load_b128 v[2:5], v1 offset:1904
	v_fma_f64 v[16:17], v[16:17], v[6:7], v[26:27]
	v_fma_f64 v[6:7], v[14:15], v[6:7], -v[8:9]
	v_add_f64 v[18:19], v[22:23], v[18:19]
	v_add_f64 v[20:21], v[24:25], v[20:21]
	s_waitcnt vmcnt(0) lgkmcnt(0)
	v_mul_f64 v[22:23], v[2:3], v[12:13]
	v_mul_f64 v[12:13], v[4:5], v[12:13]
	s_delay_alu instid0(VALU_DEP_4) | instskip(NEXT) | instid1(VALU_DEP_4)
	v_add_f64 v[8:9], v[18:19], v[30:31]
	v_add_f64 v[14:15], v[20:21], v[28:29]
	s_delay_alu instid0(VALU_DEP_4) | instskip(NEXT) | instid1(VALU_DEP_4)
	v_fma_f64 v[4:5], v[4:5], v[10:11], v[22:23]
	v_fma_f64 v[2:3], v[2:3], v[10:11], -v[12:13]
	s_delay_alu instid0(VALU_DEP_4) | instskip(NEXT) | instid1(VALU_DEP_4)
	v_add_f64 v[6:7], v[8:9], v[6:7]
	v_add_f64 v[8:9], v[14:15], v[16:17]
	s_delay_alu instid0(VALU_DEP_2) | instskip(NEXT) | instid1(VALU_DEP_2)
	v_add_f64 v[2:3], v[6:7], v[2:3]
	v_add_f64 v[4:5], v[8:9], v[4:5]
	s_delay_alu instid0(VALU_DEP_2) | instskip(NEXT) | instid1(VALU_DEP_2)
	v_add_f64 v[2:3], v[42:43], -v[2:3]
	v_add_f64 v[4:5], v[44:45], -v[4:5]
	scratch_store_b128 off, v[2:5], off offset:416
	v_cmpx_lt_u32_e32 25, v166
	s_cbranch_execz .LBB59_323
; %bb.322:
	scratch_load_b128 v[5:8], v253, off
	v_mov_b32_e32 v2, v1
	v_mov_b32_e32 v3, v1
	;; [unrolled: 1-line block ×3, first 2 shown]
	scratch_store_b128 off, v[1:4], off offset:400
	s_waitcnt vmcnt(0)
	ds_store_b128 v226, v[5:8]
.LBB59_323:
	s_or_b32 exec_lo, exec_lo, s2
	s_waitcnt lgkmcnt(0)
	s_waitcnt_vscnt null, 0x0
	s_barrier
	buffer_gl0_inv
	s_clause 0x8
	scratch_load_b128 v[2:5], off, off offset:416
	scratch_load_b128 v[6:9], off, off offset:432
	;; [unrolled: 1-line block ×9, first 2 shown]
	ds_load_b128 v[42:45], v1 offset:1376
	ds_load_b128 v[38:41], v1 offset:1392
	s_clause 0x1
	scratch_load_b128 v[180:183], off, off offset:400
	scratch_load_b128 v[201:204], off, off offset:560
	s_mov_b32 s2, exec_lo
	ds_load_b128 v[230:233], v1 offset:1424
	s_waitcnt vmcnt(10) lgkmcnt(2)
	v_mul_f64 v[52:53], v[44:45], v[4:5]
	v_mul_f64 v[4:5], v[42:43], v[4:5]
	s_waitcnt vmcnt(9) lgkmcnt(1)
	v_mul_f64 v[54:55], v[38:39], v[8:9]
	v_mul_f64 v[8:9], v[40:41], v[8:9]
	s_delay_alu instid0(VALU_DEP_4) | instskip(NEXT) | instid1(VALU_DEP_4)
	v_fma_f64 v[52:53], v[42:43], v[2:3], -v[52:53]
	v_fma_f64 v[56:57], v[44:45], v[2:3], v[4:5]
	ds_load_b128 v[2:5], v1 offset:1408
	scratch_load_b128 v[42:45], off, off offset:576
	v_fma_f64 v[40:41], v[40:41], v[6:7], v[54:55]
	v_fma_f64 v[38:39], v[38:39], v[6:7], -v[8:9]
	scratch_load_b128 v[6:9], off, off offset:592
	s_waitcnt vmcnt(10) lgkmcnt(0)
	v_mul_f64 v[58:59], v[2:3], v[12:13]
	v_mul_f64 v[12:13], v[4:5], v[12:13]
	v_add_f64 v[52:53], v[52:53], 0
	v_add_f64 v[54:55], v[56:57], 0
	s_waitcnt vmcnt(9)
	v_mul_f64 v[56:57], v[230:231], v[16:17]
	v_mul_f64 v[16:17], v[232:233], v[16:17]
	v_fma_f64 v[58:59], v[4:5], v[10:11], v[58:59]
	v_fma_f64 v[60:61], v[2:3], v[10:11], -v[12:13]
	ds_load_b128 v[2:5], v1 offset:1440
	scratch_load_b128 v[10:13], off, off offset:608
	v_add_f64 v[52:53], v[52:53], v[38:39]
	v_add_f64 v[54:55], v[54:55], v[40:41]
	ds_load_b128 v[38:41], v1 offset:1456
	v_fma_f64 v[56:57], v[232:233], v[14:15], v[56:57]
	v_fma_f64 v[64:65], v[230:231], v[14:15], -v[16:17]
	scratch_load_b128 v[14:17], off, off offset:624
	s_waitcnt vmcnt(10) lgkmcnt(1)
	v_mul_f64 v[62:63], v[2:3], v[20:21]
	v_mul_f64 v[20:21], v[4:5], v[20:21]
	ds_load_b128 v[230:233], v1 offset:1488
	v_add_f64 v[52:53], v[52:53], v[60:61]
	v_add_f64 v[54:55], v[54:55], v[58:59]
	s_waitcnt vmcnt(9) lgkmcnt(1)
	v_mul_f64 v[58:59], v[38:39], v[24:25]
	v_mul_f64 v[24:25], v[40:41], v[24:25]
	v_fma_f64 v[60:61], v[4:5], v[18:19], v[62:63]
	v_fma_f64 v[62:63], v[2:3], v[18:19], -v[20:21]
	ds_load_b128 v[2:5], v1 offset:1472
	scratch_load_b128 v[18:21], off, off offset:640
	v_add_f64 v[52:53], v[52:53], v[64:65]
	v_add_f64 v[54:55], v[54:55], v[56:57]
	s_waitcnt vmcnt(9) lgkmcnt(0)
	v_mul_f64 v[56:57], v[2:3], v[28:29]
	v_mul_f64 v[28:29], v[4:5], v[28:29]
	v_fma_f64 v[40:41], v[40:41], v[22:23], v[58:59]
	v_fma_f64 v[38:39], v[38:39], v[22:23], -v[24:25]
	scratch_load_b128 v[22:25], off, off offset:656
	s_waitcnt vmcnt(9)
	v_mul_f64 v[58:59], v[230:231], v[32:33]
	v_mul_f64 v[32:33], v[232:233], v[32:33]
	v_add_f64 v[52:53], v[52:53], v[62:63]
	v_add_f64 v[54:55], v[54:55], v[60:61]
	v_fma_f64 v[56:57], v[4:5], v[26:27], v[56:57]
	v_fma_f64 v[60:61], v[2:3], v[26:27], -v[28:29]
	ds_load_b128 v[2:5], v1 offset:1504
	scratch_load_b128 v[26:29], off, off offset:672
	v_fma_f64 v[58:59], v[232:233], v[30:31], v[58:59]
	v_fma_f64 v[64:65], v[230:231], v[30:31], -v[32:33]
	scratch_load_b128 v[30:33], off, off offset:688
	ds_load_b128 v[230:233], v1 offset:1552
	v_add_f64 v[52:53], v[52:53], v[38:39]
	v_add_f64 v[54:55], v[54:55], v[40:41]
	ds_load_b128 v[38:41], v1 offset:1520
	s_waitcnt vmcnt(10) lgkmcnt(2)
	v_mul_f64 v[62:63], v[2:3], v[36:37]
	v_mul_f64 v[36:37], v[4:5], v[36:37]
	v_add_f64 v[52:53], v[52:53], v[60:61]
	v_add_f64 v[54:55], v[54:55], v[56:57]
	s_waitcnt vmcnt(8) lgkmcnt(0)
	v_mul_f64 v[56:57], v[38:39], v[203:204]
	v_mul_f64 v[60:61], v[40:41], v[203:204]
	v_fma_f64 v[62:63], v[4:5], v[34:35], v[62:63]
	v_fma_f64 v[66:67], v[2:3], v[34:35], -v[36:37]
	ds_load_b128 v[2:5], v1 offset:1536
	scratch_load_b128 v[34:37], off, off offset:704
	v_add_f64 v[52:53], v[52:53], v[64:65]
	v_add_f64 v[54:55], v[54:55], v[58:59]
	v_fma_f64 v[56:57], v[40:41], v[201:202], v[56:57]
	v_fma_f64 v[60:61], v[38:39], v[201:202], -v[60:61]
	scratch_load_b128 v[38:41], off, off offset:720
	ds_load_b128 v[201:204], v1 offset:1584
	s_waitcnt vmcnt(9) lgkmcnt(1)
	v_mul_f64 v[58:59], v[2:3], v[44:45]
	v_mul_f64 v[44:45], v[4:5], v[44:45]
	v_add_f64 v[52:53], v[52:53], v[66:67]
	v_add_f64 v[54:55], v[54:55], v[62:63]
	s_waitcnt vmcnt(8)
	v_mul_f64 v[62:63], v[230:231], v[8:9]
	v_mul_f64 v[8:9], v[232:233], v[8:9]
	v_fma_f64 v[58:59], v[4:5], v[42:43], v[58:59]
	v_fma_f64 v[64:65], v[2:3], v[42:43], -v[44:45]
	ds_load_b128 v[2:5], v1 offset:1568
	scratch_load_b128 v[42:45], off, off offset:736
	v_add_f64 v[52:53], v[52:53], v[60:61]
	v_add_f64 v[54:55], v[54:55], v[56:57]
	v_fma_f64 v[60:61], v[232:233], v[6:7], v[62:63]
	s_waitcnt vmcnt(8) lgkmcnt(0)
	v_mul_f64 v[56:57], v[2:3], v[12:13]
	v_mul_f64 v[12:13], v[4:5], v[12:13]
	v_fma_f64 v[62:63], v[230:231], v[6:7], -v[8:9]
	scratch_load_b128 v[6:9], off, off offset:752
	ds_load_b128 v[230:233], v1 offset:1616
	v_add_f64 v[52:53], v[52:53], v[64:65]
	v_add_f64 v[54:55], v[54:55], v[58:59]
	s_waitcnt vmcnt(8)
	v_mul_f64 v[58:59], v[201:202], v[16:17]
	v_mul_f64 v[16:17], v[203:204], v[16:17]
	v_fma_f64 v[56:57], v[4:5], v[10:11], v[56:57]
	v_fma_f64 v[64:65], v[2:3], v[10:11], -v[12:13]
	ds_load_b128 v[2:5], v1 offset:1600
	scratch_load_b128 v[10:13], off, off offset:768
	v_add_f64 v[52:53], v[52:53], v[62:63]
	v_add_f64 v[54:55], v[54:55], v[60:61]
	s_waitcnt vmcnt(8) lgkmcnt(0)
	v_mul_f64 v[60:61], v[2:3], v[20:21]
	v_mul_f64 v[20:21], v[4:5], v[20:21]
	v_fma_f64 v[58:59], v[203:204], v[14:15], v[58:59]
	v_fma_f64 v[62:63], v[201:202], v[14:15], -v[16:17]
	scratch_load_b128 v[14:17], off, off offset:784
	ds_load_b128 v[201:204], v1 offset:1648
	v_add_f64 v[52:53], v[52:53], v[64:65]
	v_add_f64 v[54:55], v[54:55], v[56:57]
	s_waitcnt vmcnt(8)
	v_mul_f64 v[56:57], v[230:231], v[24:25]
	v_mul_f64 v[24:25], v[232:233], v[24:25]
	v_fma_f64 v[60:61], v[4:5], v[18:19], v[60:61]
	v_fma_f64 v[64:65], v[2:3], v[18:19], -v[20:21]
	ds_load_b128 v[2:5], v1 offset:1632
	scratch_load_b128 v[18:21], off, off offset:800
	v_add_f64 v[52:53], v[52:53], v[62:63]
	v_add_f64 v[54:55], v[54:55], v[58:59]
	s_waitcnt vmcnt(8) lgkmcnt(0)
	v_mul_f64 v[58:59], v[2:3], v[28:29]
	v_mul_f64 v[28:29], v[4:5], v[28:29]
	v_fma_f64 v[56:57], v[232:233], v[22:23], v[56:57]
	;; [unrolled: 18-line block ×6, first 2 shown]
	v_fma_f64 v[62:63], v[230:231], v[14:15], -v[16:17]
	scratch_load_b128 v[14:17], off, off offset:944
	v_add_f64 v[52:53], v[52:53], v[64:65]
	v_add_f64 v[54:55], v[54:55], v[58:59]
	s_waitcnt vmcnt(8)
	v_mul_f64 v[58:59], v[201:202], v[24:25]
	v_mul_f64 v[24:25], v[203:204], v[24:25]
	v_fma_f64 v[56:57], v[4:5], v[18:19], v[56:57]
	v_fma_f64 v[64:65], v[2:3], v[18:19], -v[20:21]
	ds_load_b128 v[2:5], v1 offset:1792
	ds_load_b128 v[18:21], v1 offset:1808
	v_add_f64 v[52:53], v[52:53], v[62:63]
	v_add_f64 v[54:55], v[54:55], v[60:61]
	s_waitcnt vmcnt(7) lgkmcnt(1)
	v_mul_f64 v[60:61], v[2:3], v[28:29]
	v_mul_f64 v[28:29], v[4:5], v[28:29]
	v_fma_f64 v[58:59], v[203:204], v[22:23], v[58:59]
	v_fma_f64 v[22:23], v[201:202], v[22:23], -v[24:25]
	v_add_f64 v[24:25], v[52:53], v[64:65]
	v_add_f64 v[52:53], v[54:55], v[56:57]
	s_waitcnt vmcnt(6) lgkmcnt(0)
	v_mul_f64 v[54:55], v[18:19], v[32:33]
	v_mul_f64 v[32:33], v[20:21], v[32:33]
	v_fma_f64 v[56:57], v[4:5], v[26:27], v[60:61]
	v_fma_f64 v[26:27], v[2:3], v[26:27], -v[28:29]
	v_add_f64 v[28:29], v[24:25], v[22:23]
	v_add_f64 v[52:53], v[52:53], v[58:59]
	ds_load_b128 v[2:5], v1 offset:1824
	ds_load_b128 v[22:25], v1 offset:1840
	v_fma_f64 v[20:21], v[20:21], v[30:31], v[54:55]
	v_fma_f64 v[18:19], v[18:19], v[30:31], -v[32:33]
	s_waitcnt vmcnt(5) lgkmcnt(1)
	v_mul_f64 v[58:59], v[2:3], v[36:37]
	v_mul_f64 v[36:37], v[4:5], v[36:37]
	s_waitcnt vmcnt(4) lgkmcnt(0)
	v_mul_f64 v[30:31], v[22:23], v[40:41]
	v_mul_f64 v[32:33], v[24:25], v[40:41]
	v_add_f64 v[26:27], v[28:29], v[26:27]
	v_add_f64 v[28:29], v[52:53], v[56:57]
	v_fma_f64 v[40:41], v[4:5], v[34:35], v[58:59]
	v_fma_f64 v[34:35], v[2:3], v[34:35], -v[36:37]
	v_fma_f64 v[24:25], v[24:25], v[38:39], v[30:31]
	v_fma_f64 v[22:23], v[22:23], v[38:39], -v[32:33]
	v_add_f64 v[26:27], v[26:27], v[18:19]
	v_add_f64 v[28:29], v[28:29], v[20:21]
	ds_load_b128 v[2:5], v1 offset:1856
	ds_load_b128 v[18:21], v1 offset:1872
	s_waitcnt vmcnt(3) lgkmcnt(1)
	v_mul_f64 v[36:37], v[2:3], v[44:45]
	v_mul_f64 v[44:45], v[4:5], v[44:45]
	s_waitcnt vmcnt(2) lgkmcnt(0)
	v_mul_f64 v[30:31], v[18:19], v[8:9]
	v_mul_f64 v[8:9], v[20:21], v[8:9]
	v_add_f64 v[26:27], v[26:27], v[34:35]
	v_add_f64 v[28:29], v[28:29], v[40:41]
	v_fma_f64 v[32:33], v[4:5], v[42:43], v[36:37]
	v_fma_f64 v[34:35], v[2:3], v[42:43], -v[44:45]
	v_fma_f64 v[20:21], v[20:21], v[6:7], v[30:31]
	v_fma_f64 v[6:7], v[18:19], v[6:7], -v[8:9]
	v_add_f64 v[26:27], v[26:27], v[22:23]
	v_add_f64 v[28:29], v[28:29], v[24:25]
	ds_load_b128 v[2:5], v1 offset:1888
	ds_load_b128 v[22:25], v1 offset:1904
	s_waitcnt vmcnt(1) lgkmcnt(1)
	v_mul_f64 v[36:37], v[2:3], v[12:13]
	v_mul_f64 v[12:13], v[4:5], v[12:13]
	v_add_f64 v[8:9], v[26:27], v[34:35]
	v_add_f64 v[18:19], v[28:29], v[32:33]
	s_waitcnt vmcnt(0) lgkmcnt(0)
	v_mul_f64 v[26:27], v[22:23], v[16:17]
	v_mul_f64 v[16:17], v[24:25], v[16:17]
	v_fma_f64 v[4:5], v[4:5], v[10:11], v[36:37]
	v_fma_f64 v[1:2], v[2:3], v[10:11], -v[12:13]
	v_add_f64 v[6:7], v[8:9], v[6:7]
	v_add_f64 v[8:9], v[18:19], v[20:21]
	v_fma_f64 v[10:11], v[24:25], v[14:15], v[26:27]
	v_fma_f64 v[12:13], v[22:23], v[14:15], -v[16:17]
	s_delay_alu instid0(VALU_DEP_4) | instskip(NEXT) | instid1(VALU_DEP_4)
	v_add_f64 v[1:2], v[6:7], v[1:2]
	v_add_f64 v[3:4], v[8:9], v[4:5]
	s_delay_alu instid0(VALU_DEP_2) | instskip(NEXT) | instid1(VALU_DEP_2)
	v_add_f64 v[1:2], v[1:2], v[12:13]
	v_add_f64 v[3:4], v[3:4], v[10:11]
	s_delay_alu instid0(VALU_DEP_2) | instskip(NEXT) | instid1(VALU_DEP_2)
	v_add_f64 v[1:2], v[180:181], -v[1:2]
	v_add_f64 v[3:4], v[182:183], -v[3:4]
	scratch_store_b128 off, v[1:4], off offset:400
	v_cmpx_lt_u32_e32 24, v166
	s_cbranch_execz .LBB59_325
; %bb.324:
	scratch_load_b128 v[1:4], v196, off
	v_mov_b32_e32 v5, 0
	s_delay_alu instid0(VALU_DEP_1)
	v_mov_b32_e32 v6, v5
	v_mov_b32_e32 v7, v5
	;; [unrolled: 1-line block ×3, first 2 shown]
	scratch_store_b128 off, v[5:8], off offset:384
	s_waitcnt vmcnt(0)
	ds_store_b128 v226, v[1:4]
.LBB59_325:
	s_or_b32 exec_lo, exec_lo, s2
	s_waitcnt lgkmcnt(0)
	s_waitcnt_vscnt null, 0x0
	s_barrier
	buffer_gl0_inv
	s_clause 0x7
	scratch_load_b128 v[2:5], off, off offset:400
	scratch_load_b128 v[6:9], off, off offset:416
	;; [unrolled: 1-line block ×8, first 2 shown]
	v_mov_b32_e32 v1, 0
	s_mov_b32 s2, exec_lo
	ds_load_b128 v[38:41], v1 offset:1360
	s_clause 0x1
	scratch_load_b128 v[34:37], off, off offset:528
	scratch_load_b128 v[42:45], off, off offset:384
	ds_load_b128 v[180:183], v1 offset:1376
	scratch_load_b128 v[201:204], off, off offset:544
	ds_load_b128 v[230:233], v1 offset:1408
	s_waitcnt vmcnt(10) lgkmcnt(2)
	v_mul_f64 v[52:53], v[40:41], v[4:5]
	v_mul_f64 v[4:5], v[38:39], v[4:5]
	s_delay_alu instid0(VALU_DEP_2) | instskip(NEXT) | instid1(VALU_DEP_2)
	v_fma_f64 v[52:53], v[38:39], v[2:3], -v[52:53]
	v_fma_f64 v[56:57], v[40:41], v[2:3], v[4:5]
	ds_load_b128 v[2:5], v1 offset:1392
	s_waitcnt vmcnt(9) lgkmcnt(2)
	v_mul_f64 v[54:55], v[180:181], v[8:9]
	v_mul_f64 v[8:9], v[182:183], v[8:9]
	scratch_load_b128 v[38:41], off, off offset:560
	s_waitcnt vmcnt(9) lgkmcnt(0)
	v_mul_f64 v[58:59], v[2:3], v[12:13]
	v_mul_f64 v[12:13], v[4:5], v[12:13]
	v_add_f64 v[52:53], v[52:53], 0
	v_add_f64 v[56:57], v[56:57], 0
	v_fma_f64 v[54:55], v[182:183], v[6:7], v[54:55]
	v_fma_f64 v[60:61], v[180:181], v[6:7], -v[8:9]
	scratch_load_b128 v[6:9], off, off offset:576
	ds_load_b128 v[180:183], v1 offset:1440
	v_fma_f64 v[58:59], v[4:5], v[10:11], v[58:59]
	v_fma_f64 v[64:65], v[2:3], v[10:11], -v[12:13]
	ds_load_b128 v[2:5], v1 offset:1424
	s_waitcnt vmcnt(9)
	v_mul_f64 v[62:63], v[230:231], v[16:17]
	v_mul_f64 v[16:17], v[232:233], v[16:17]
	scratch_load_b128 v[10:13], off, off offset:592
	v_add_f64 v[54:55], v[56:57], v[54:55]
	v_add_f64 v[52:53], v[52:53], v[60:61]
	s_waitcnt vmcnt(9) lgkmcnt(0)
	v_mul_f64 v[56:57], v[2:3], v[20:21]
	v_mul_f64 v[20:21], v[4:5], v[20:21]
	v_fma_f64 v[60:61], v[232:233], v[14:15], v[62:63]
	v_fma_f64 v[62:63], v[230:231], v[14:15], -v[16:17]
	scratch_load_b128 v[14:17], off, off offset:608
	ds_load_b128 v[230:233], v1 offset:1472
	v_add_f64 v[54:55], v[54:55], v[58:59]
	v_add_f64 v[52:53], v[52:53], v[64:65]
	v_fma_f64 v[56:57], v[4:5], v[18:19], v[56:57]
	v_fma_f64 v[64:65], v[2:3], v[18:19], -v[20:21]
	ds_load_b128 v[2:5], v1 offset:1456
	s_waitcnt vmcnt(9)
	v_mul_f64 v[58:59], v[180:181], v[24:25]
	v_mul_f64 v[24:25], v[182:183], v[24:25]
	scratch_load_b128 v[18:21], off, off offset:624
	v_add_f64 v[54:55], v[54:55], v[60:61]
	v_add_f64 v[52:53], v[52:53], v[62:63]
	s_waitcnt vmcnt(9) lgkmcnt(0)
	v_mul_f64 v[60:61], v[2:3], v[28:29]
	v_mul_f64 v[28:29], v[4:5], v[28:29]
	v_fma_f64 v[58:59], v[182:183], v[22:23], v[58:59]
	v_fma_f64 v[62:63], v[180:181], v[22:23], -v[24:25]
	scratch_load_b128 v[22:25], off, off offset:640
	ds_load_b128 v[180:183], v1 offset:1504
	v_add_f64 v[54:55], v[54:55], v[56:57]
	v_add_f64 v[52:53], v[52:53], v[64:65]
	;; [unrolled: 18-line block ×3, first 2 shown]
	v_fma_f64 v[58:59], v[4:5], v[34:35], v[58:59]
	v_fma_f64 v[66:67], v[2:3], v[34:35], -v[36:37]
	ds_load_b128 v[2:5], v1 offset:1520
	s_waitcnt vmcnt(8)
	v_mul_f64 v[60:61], v[180:181], v[203:204]
	v_mul_f64 v[64:65], v[182:183], v[203:204]
	scratch_load_b128 v[34:37], off, off offset:688
	v_add_f64 v[54:55], v[54:55], v[56:57]
	v_add_f64 v[52:53], v[52:53], v[62:63]
	v_fma_f64 v[60:61], v[182:183], v[201:202], v[60:61]
	v_fma_f64 v[62:63], v[180:181], v[201:202], -v[64:65]
	scratch_load_b128 v[180:183], off, off offset:704
	ds_load_b128 v[201:204], v1 offset:1568
	s_waitcnt vmcnt(9) lgkmcnt(1)
	v_mul_f64 v[56:57], v[2:3], v[40:41]
	v_mul_f64 v[40:41], v[4:5], v[40:41]
	v_add_f64 v[54:55], v[54:55], v[58:59]
	v_add_f64 v[52:53], v[52:53], v[66:67]
	s_delay_alu instid0(VALU_DEP_4) | instskip(NEXT) | instid1(VALU_DEP_4)
	v_fma_f64 v[56:57], v[4:5], v[38:39], v[56:57]
	v_fma_f64 v[64:65], v[2:3], v[38:39], -v[40:41]
	ds_load_b128 v[2:5], v1 offset:1552
	s_waitcnt vmcnt(8)
	v_mul_f64 v[58:59], v[230:231], v[8:9]
	v_mul_f64 v[8:9], v[232:233], v[8:9]
	scratch_load_b128 v[38:41], off, off offset:720
	v_add_f64 v[54:55], v[54:55], v[60:61]
	v_add_f64 v[52:53], v[52:53], v[62:63]
	s_waitcnt vmcnt(8) lgkmcnt(0)
	v_mul_f64 v[60:61], v[2:3], v[12:13]
	v_mul_f64 v[12:13], v[4:5], v[12:13]
	v_fma_f64 v[58:59], v[232:233], v[6:7], v[58:59]
	v_fma_f64 v[62:63], v[230:231], v[6:7], -v[8:9]
	scratch_load_b128 v[6:9], off, off offset:736
	ds_load_b128 v[230:233], v1 offset:1600
	v_add_f64 v[54:55], v[54:55], v[56:57]
	v_add_f64 v[52:53], v[52:53], v[64:65]
	v_fma_f64 v[60:61], v[4:5], v[10:11], v[60:61]
	v_fma_f64 v[64:65], v[2:3], v[10:11], -v[12:13]
	ds_load_b128 v[2:5], v1 offset:1584
	s_waitcnt vmcnt(8)
	v_mul_f64 v[56:57], v[201:202], v[16:17]
	v_mul_f64 v[16:17], v[203:204], v[16:17]
	scratch_load_b128 v[10:13], off, off offset:752
	v_add_f64 v[54:55], v[54:55], v[58:59]
	v_add_f64 v[52:53], v[52:53], v[62:63]
	s_waitcnt vmcnt(8) lgkmcnt(0)
	v_mul_f64 v[58:59], v[2:3], v[20:21]
	v_mul_f64 v[20:21], v[4:5], v[20:21]
	v_fma_f64 v[56:57], v[203:204], v[14:15], v[56:57]
	v_fma_f64 v[62:63], v[201:202], v[14:15], -v[16:17]
	scratch_load_b128 v[14:17], off, off offset:768
	ds_load_b128 v[201:204], v1 offset:1632
	v_add_f64 v[54:55], v[54:55], v[60:61]
	v_add_f64 v[52:53], v[52:53], v[64:65]
	;; [unrolled: 18-line block ×3, first 2 shown]
	v_fma_f64 v[56:57], v[4:5], v[26:27], v[56:57]
	v_fma_f64 v[64:65], v[2:3], v[26:27], -v[28:29]
	ds_load_b128 v[2:5], v1 offset:1648
	s_waitcnt vmcnt(8)
	v_mul_f64 v[58:59], v[201:202], v[32:33]
	v_mul_f64 v[32:33], v[203:204], v[32:33]
	scratch_load_b128 v[26:29], off, off offset:816
	v_add_f64 v[54:55], v[54:55], v[60:61]
	v_add_f64 v[52:53], v[52:53], v[62:63]
	s_waitcnt vmcnt(8) lgkmcnt(0)
	v_mul_f64 v[60:61], v[2:3], v[36:37]
	v_mul_f64 v[36:37], v[4:5], v[36:37]
	v_fma_f64 v[58:59], v[203:204], v[30:31], v[58:59]
	v_fma_f64 v[62:63], v[201:202], v[30:31], -v[32:33]
	s_clause 0x1
	scratch_load_b128 v[30:33], off, off offset:832
	scratch_load_b128 v[201:204], off, off offset:864
	v_add_f64 v[54:55], v[54:55], v[56:57]
	v_add_f64 v[52:53], v[52:53], v[64:65]
	v_fma_f64 v[60:61], v[4:5], v[34:35], v[60:61]
	v_fma_f64 v[66:67], v[2:3], v[34:35], -v[36:37]
	ds_load_b128 v[2:5], v1 offset:1680
	s_waitcnt vmcnt(9)
	v_mul_f64 v[56:57], v[230:231], v[182:183]
	v_mul_f64 v[64:65], v[232:233], v[182:183]
	scratch_load_b128 v[34:37], off, off offset:848
	ds_load_b128 v[182:185], v1 offset:1696
	v_add_f64 v[54:55], v[54:55], v[58:59]
	v_add_f64 v[52:53], v[52:53], v[62:63]
	s_waitcnt vmcnt(9) lgkmcnt(1)
	v_mul_f64 v[58:59], v[2:3], v[40:41]
	v_mul_f64 v[40:41], v[4:5], v[40:41]
	v_fma_f64 v[56:57], v[232:233], v[180:181], v[56:57]
	v_fma_f64 v[62:63], v[230:231], v[180:181], -v[64:65]
	ds_load_b128 v[230:233], v1 offset:1728
	v_add_f64 v[54:55], v[54:55], v[60:61]
	v_add_f64 v[52:53], v[52:53], v[66:67]
	v_fma_f64 v[58:59], v[4:5], v[38:39], v[58:59]
	v_fma_f64 v[64:65], v[2:3], v[38:39], -v[40:41]
	ds_load_b128 v[2:5], v1 offset:1712
	s_waitcnt vmcnt(8) lgkmcnt(2)
	v_mul_f64 v[60:61], v[182:183], v[8:9]
	v_mul_f64 v[8:9], v[184:185], v[8:9]
	scratch_load_b128 v[38:41], off, off offset:880
	v_add_f64 v[54:55], v[54:55], v[56:57]
	v_add_f64 v[52:53], v[52:53], v[62:63]
	s_waitcnt vmcnt(8) lgkmcnt(0)
	v_mul_f64 v[56:57], v[2:3], v[12:13]
	v_mul_f64 v[12:13], v[4:5], v[12:13]
	v_fma_f64 v[60:61], v[184:185], v[6:7], v[60:61]
	v_fma_f64 v[62:63], v[182:183], v[6:7], -v[8:9]
	scratch_load_b128 v[6:9], off, off offset:896
	ds_load_b128 v[180:183], v1 offset:1760
	v_add_f64 v[54:55], v[54:55], v[58:59]
	v_add_f64 v[52:53], v[52:53], v[64:65]
	v_fma_f64 v[56:57], v[4:5], v[10:11], v[56:57]
	v_fma_f64 v[64:65], v[2:3], v[10:11], -v[12:13]
	ds_load_b128 v[2:5], v1 offset:1744
	s_waitcnt vmcnt(8)
	v_mul_f64 v[58:59], v[230:231], v[16:17]
	v_mul_f64 v[16:17], v[232:233], v[16:17]
	scratch_load_b128 v[10:13], off, off offset:912
	v_add_f64 v[54:55], v[54:55], v[60:61]
	v_add_f64 v[52:53], v[52:53], v[62:63]
	s_waitcnt vmcnt(8) lgkmcnt(0)
	v_mul_f64 v[60:61], v[2:3], v[20:21]
	v_mul_f64 v[20:21], v[4:5], v[20:21]
	v_fma_f64 v[58:59], v[232:233], v[14:15], v[58:59]
	v_fma_f64 v[62:63], v[230:231], v[14:15], -v[16:17]
	scratch_load_b128 v[14:17], off, off offset:928
	ds_load_b128 v[230:233], v1 offset:1792
	v_add_f64 v[54:55], v[54:55], v[56:57]
	v_add_f64 v[52:53], v[52:53], v[64:65]
	v_fma_f64 v[60:61], v[4:5], v[18:19], v[60:61]
	v_fma_f64 v[64:65], v[2:3], v[18:19], -v[20:21]
	scratch_load_b128 v[18:21], off, off offset:944
	ds_load_b128 v[2:5], v1 offset:1776
	s_waitcnt vmcnt(9)
	v_mul_f64 v[56:57], v[180:181], v[24:25]
	v_mul_f64 v[24:25], v[182:183], v[24:25]
	v_add_f64 v[54:55], v[54:55], v[58:59]
	v_add_f64 v[52:53], v[52:53], v[62:63]
	s_waitcnt vmcnt(8) lgkmcnt(0)
	v_mul_f64 v[58:59], v[2:3], v[28:29]
	v_mul_f64 v[28:29], v[4:5], v[28:29]
	v_fma_f64 v[56:57], v[182:183], v[22:23], v[56:57]
	v_fma_f64 v[22:23], v[180:181], v[22:23], -v[24:25]
	v_add_f64 v[24:25], v[52:53], v[64:65]
	v_add_f64 v[52:53], v[54:55], v[60:61]
	s_waitcnt vmcnt(7)
	v_mul_f64 v[54:55], v[230:231], v[32:33]
	v_mul_f64 v[32:33], v[232:233], v[32:33]
	v_fma_f64 v[58:59], v[4:5], v[26:27], v[58:59]
	v_fma_f64 v[26:27], v[2:3], v[26:27], -v[28:29]
	v_add_f64 v[28:29], v[24:25], v[22:23]
	v_add_f64 v[52:53], v[52:53], v[56:57]
	ds_load_b128 v[2:5], v1 offset:1808
	ds_load_b128 v[22:25], v1 offset:1824
	v_fma_f64 v[54:55], v[232:233], v[30:31], v[54:55]
	v_fma_f64 v[30:31], v[230:231], v[30:31], -v[32:33]
	s_waitcnt vmcnt(5) lgkmcnt(1)
	v_mul_f64 v[56:57], v[2:3], v[36:37]
	v_mul_f64 v[36:37], v[4:5], v[36:37]
	s_waitcnt lgkmcnt(0)
	v_mul_f64 v[32:33], v[22:23], v[203:204]
	v_add_f64 v[26:27], v[28:29], v[26:27]
	v_add_f64 v[28:29], v[52:53], v[58:59]
	v_mul_f64 v[52:53], v[24:25], v[203:204]
	v_fma_f64 v[56:57], v[4:5], v[34:35], v[56:57]
	v_fma_f64 v[34:35], v[2:3], v[34:35], -v[36:37]
	v_fma_f64 v[24:25], v[24:25], v[201:202], v[32:33]
	v_add_f64 v[30:31], v[26:27], v[30:31]
	v_add_f64 v[36:37], v[28:29], v[54:55]
	ds_load_b128 v[2:5], v1 offset:1840
	ds_load_b128 v[26:29], v1 offset:1856
	v_fma_f64 v[22:23], v[22:23], v[201:202], -v[52:53]
	s_waitcnt vmcnt(4) lgkmcnt(1)
	v_mul_f64 v[54:55], v[2:3], v[40:41]
	v_mul_f64 v[40:41], v[4:5], v[40:41]
	v_add_f64 v[30:31], v[30:31], v[34:35]
	v_add_f64 v[32:33], v[36:37], v[56:57]
	s_waitcnt vmcnt(3) lgkmcnt(0)
	v_mul_f64 v[34:35], v[26:27], v[8:9]
	v_mul_f64 v[8:9], v[28:29], v[8:9]
	v_fma_f64 v[36:37], v[4:5], v[38:39], v[54:55]
	v_fma_f64 v[38:39], v[2:3], v[38:39], -v[40:41]
	v_add_f64 v[30:31], v[30:31], v[22:23]
	v_add_f64 v[32:33], v[32:33], v[24:25]
	ds_load_b128 v[2:5], v1 offset:1872
	ds_load_b128 v[22:25], v1 offset:1888
	v_fma_f64 v[28:29], v[28:29], v[6:7], v[34:35]
	v_fma_f64 v[6:7], v[26:27], v[6:7], -v[8:9]
	s_waitcnt vmcnt(2) lgkmcnt(1)
	v_mul_f64 v[40:41], v[2:3], v[12:13]
	v_mul_f64 v[12:13], v[4:5], v[12:13]
	v_add_f64 v[8:9], v[30:31], v[38:39]
	v_add_f64 v[26:27], v[32:33], v[36:37]
	s_waitcnt vmcnt(1) lgkmcnt(0)
	v_mul_f64 v[30:31], v[22:23], v[16:17]
	v_mul_f64 v[16:17], v[24:25], v[16:17]
	v_fma_f64 v[32:33], v[4:5], v[10:11], v[40:41]
	v_fma_f64 v[10:11], v[2:3], v[10:11], -v[12:13]
	ds_load_b128 v[2:5], v1 offset:1904
	v_add_f64 v[6:7], v[8:9], v[6:7]
	v_add_f64 v[8:9], v[26:27], v[28:29]
	v_fma_f64 v[24:25], v[24:25], v[14:15], v[30:31]
	v_fma_f64 v[14:15], v[22:23], v[14:15], -v[16:17]
	s_waitcnt vmcnt(0) lgkmcnt(0)
	v_mul_f64 v[12:13], v[2:3], v[20:21]
	v_mul_f64 v[20:21], v[4:5], v[20:21]
	v_add_f64 v[6:7], v[6:7], v[10:11]
	v_add_f64 v[8:9], v[8:9], v[32:33]
	s_delay_alu instid0(VALU_DEP_4) | instskip(NEXT) | instid1(VALU_DEP_4)
	v_fma_f64 v[4:5], v[4:5], v[18:19], v[12:13]
	v_fma_f64 v[2:3], v[2:3], v[18:19], -v[20:21]
	s_delay_alu instid0(VALU_DEP_4) | instskip(NEXT) | instid1(VALU_DEP_4)
	v_add_f64 v[6:7], v[6:7], v[14:15]
	v_add_f64 v[8:9], v[8:9], v[24:25]
	s_delay_alu instid0(VALU_DEP_2) | instskip(NEXT) | instid1(VALU_DEP_2)
	v_add_f64 v[2:3], v[6:7], v[2:3]
	v_add_f64 v[4:5], v[8:9], v[4:5]
	s_delay_alu instid0(VALU_DEP_2) | instskip(NEXT) | instid1(VALU_DEP_2)
	v_add_f64 v[2:3], v[42:43], -v[2:3]
	v_add_f64 v[4:5], v[44:45], -v[4:5]
	scratch_store_b128 off, v[2:5], off offset:384
	v_cmpx_lt_u32_e32 23, v166
	s_cbranch_execz .LBB59_327
; %bb.326:
	scratch_load_b128 v[5:8], v217, off
	v_mov_b32_e32 v2, v1
	v_mov_b32_e32 v3, v1
	v_mov_b32_e32 v4, v1
	scratch_store_b128 off, v[1:4], off offset:368
	s_waitcnt vmcnt(0)
	ds_store_b128 v226, v[5:8]
.LBB59_327:
	s_or_b32 exec_lo, exec_lo, s2
	s_waitcnt lgkmcnt(0)
	s_waitcnt_vscnt null, 0x0
	s_barrier
	buffer_gl0_inv
	s_clause 0x8
	scratch_load_b128 v[2:5], off, off offset:384
	scratch_load_b128 v[6:9], off, off offset:400
	;; [unrolled: 1-line block ×9, first 2 shown]
	ds_load_b128 v[42:45], v1 offset:1344
	ds_load_b128 v[38:41], v1 offset:1360
	s_clause 0x1
	scratch_load_b128 v[180:183], off, off offset:368
	scratch_load_b128 v[201:204], off, off offset:528
	s_mov_b32 s2, exec_lo
	ds_load_b128 v[230:233], v1 offset:1392
	s_waitcnt vmcnt(10) lgkmcnt(2)
	v_mul_f64 v[52:53], v[44:45], v[4:5]
	v_mul_f64 v[4:5], v[42:43], v[4:5]
	s_waitcnt vmcnt(9) lgkmcnt(1)
	v_mul_f64 v[54:55], v[38:39], v[8:9]
	v_mul_f64 v[8:9], v[40:41], v[8:9]
	s_delay_alu instid0(VALU_DEP_4) | instskip(NEXT) | instid1(VALU_DEP_4)
	v_fma_f64 v[52:53], v[42:43], v[2:3], -v[52:53]
	v_fma_f64 v[56:57], v[44:45], v[2:3], v[4:5]
	ds_load_b128 v[2:5], v1 offset:1376
	scratch_load_b128 v[42:45], off, off offset:544
	v_fma_f64 v[40:41], v[40:41], v[6:7], v[54:55]
	v_fma_f64 v[38:39], v[38:39], v[6:7], -v[8:9]
	scratch_load_b128 v[6:9], off, off offset:560
	s_waitcnt vmcnt(10) lgkmcnt(0)
	v_mul_f64 v[58:59], v[2:3], v[12:13]
	v_mul_f64 v[12:13], v[4:5], v[12:13]
	v_add_f64 v[52:53], v[52:53], 0
	v_add_f64 v[54:55], v[56:57], 0
	s_waitcnt vmcnt(9)
	v_mul_f64 v[56:57], v[230:231], v[16:17]
	v_mul_f64 v[16:17], v[232:233], v[16:17]
	v_fma_f64 v[58:59], v[4:5], v[10:11], v[58:59]
	v_fma_f64 v[60:61], v[2:3], v[10:11], -v[12:13]
	ds_load_b128 v[2:5], v1 offset:1408
	scratch_load_b128 v[10:13], off, off offset:576
	v_add_f64 v[52:53], v[52:53], v[38:39]
	v_add_f64 v[54:55], v[54:55], v[40:41]
	ds_load_b128 v[38:41], v1 offset:1424
	v_fma_f64 v[56:57], v[232:233], v[14:15], v[56:57]
	v_fma_f64 v[64:65], v[230:231], v[14:15], -v[16:17]
	scratch_load_b128 v[14:17], off, off offset:592
	s_waitcnt vmcnt(10) lgkmcnt(1)
	v_mul_f64 v[62:63], v[2:3], v[20:21]
	v_mul_f64 v[20:21], v[4:5], v[20:21]
	ds_load_b128 v[230:233], v1 offset:1456
	v_add_f64 v[52:53], v[52:53], v[60:61]
	v_add_f64 v[54:55], v[54:55], v[58:59]
	s_waitcnt vmcnt(9) lgkmcnt(1)
	v_mul_f64 v[58:59], v[38:39], v[24:25]
	v_mul_f64 v[24:25], v[40:41], v[24:25]
	v_fma_f64 v[60:61], v[4:5], v[18:19], v[62:63]
	v_fma_f64 v[62:63], v[2:3], v[18:19], -v[20:21]
	ds_load_b128 v[2:5], v1 offset:1440
	scratch_load_b128 v[18:21], off, off offset:608
	v_add_f64 v[52:53], v[52:53], v[64:65]
	v_add_f64 v[54:55], v[54:55], v[56:57]
	s_waitcnt vmcnt(9) lgkmcnt(0)
	v_mul_f64 v[56:57], v[2:3], v[28:29]
	v_mul_f64 v[28:29], v[4:5], v[28:29]
	v_fma_f64 v[40:41], v[40:41], v[22:23], v[58:59]
	v_fma_f64 v[38:39], v[38:39], v[22:23], -v[24:25]
	scratch_load_b128 v[22:25], off, off offset:624
	s_waitcnt vmcnt(9)
	v_mul_f64 v[58:59], v[230:231], v[32:33]
	v_mul_f64 v[32:33], v[232:233], v[32:33]
	v_add_f64 v[52:53], v[52:53], v[62:63]
	v_add_f64 v[54:55], v[54:55], v[60:61]
	v_fma_f64 v[56:57], v[4:5], v[26:27], v[56:57]
	v_fma_f64 v[60:61], v[2:3], v[26:27], -v[28:29]
	ds_load_b128 v[2:5], v1 offset:1472
	scratch_load_b128 v[26:29], off, off offset:640
	v_fma_f64 v[58:59], v[232:233], v[30:31], v[58:59]
	v_fma_f64 v[64:65], v[230:231], v[30:31], -v[32:33]
	scratch_load_b128 v[30:33], off, off offset:656
	ds_load_b128 v[230:233], v1 offset:1520
	v_add_f64 v[52:53], v[52:53], v[38:39]
	v_add_f64 v[54:55], v[54:55], v[40:41]
	ds_load_b128 v[38:41], v1 offset:1488
	s_waitcnt vmcnt(10) lgkmcnt(2)
	v_mul_f64 v[62:63], v[2:3], v[36:37]
	v_mul_f64 v[36:37], v[4:5], v[36:37]
	v_add_f64 v[52:53], v[52:53], v[60:61]
	v_add_f64 v[54:55], v[54:55], v[56:57]
	s_waitcnt vmcnt(8) lgkmcnt(0)
	v_mul_f64 v[56:57], v[38:39], v[203:204]
	v_mul_f64 v[60:61], v[40:41], v[203:204]
	v_fma_f64 v[62:63], v[4:5], v[34:35], v[62:63]
	v_fma_f64 v[66:67], v[2:3], v[34:35], -v[36:37]
	ds_load_b128 v[2:5], v1 offset:1504
	scratch_load_b128 v[34:37], off, off offset:672
	v_add_f64 v[52:53], v[52:53], v[64:65]
	v_add_f64 v[54:55], v[54:55], v[58:59]
	v_fma_f64 v[56:57], v[40:41], v[201:202], v[56:57]
	v_fma_f64 v[60:61], v[38:39], v[201:202], -v[60:61]
	scratch_load_b128 v[38:41], off, off offset:688
	ds_load_b128 v[201:204], v1 offset:1552
	s_waitcnt vmcnt(9) lgkmcnt(1)
	v_mul_f64 v[58:59], v[2:3], v[44:45]
	v_mul_f64 v[44:45], v[4:5], v[44:45]
	v_add_f64 v[52:53], v[52:53], v[66:67]
	v_add_f64 v[54:55], v[54:55], v[62:63]
	s_waitcnt vmcnt(8)
	v_mul_f64 v[62:63], v[230:231], v[8:9]
	v_mul_f64 v[8:9], v[232:233], v[8:9]
	v_fma_f64 v[58:59], v[4:5], v[42:43], v[58:59]
	v_fma_f64 v[64:65], v[2:3], v[42:43], -v[44:45]
	ds_load_b128 v[2:5], v1 offset:1536
	scratch_load_b128 v[42:45], off, off offset:704
	v_add_f64 v[52:53], v[52:53], v[60:61]
	v_add_f64 v[54:55], v[54:55], v[56:57]
	v_fma_f64 v[60:61], v[232:233], v[6:7], v[62:63]
	s_waitcnt vmcnt(8) lgkmcnt(0)
	v_mul_f64 v[56:57], v[2:3], v[12:13]
	v_mul_f64 v[12:13], v[4:5], v[12:13]
	v_fma_f64 v[62:63], v[230:231], v[6:7], -v[8:9]
	scratch_load_b128 v[6:9], off, off offset:720
	ds_load_b128 v[230:233], v1 offset:1584
	v_add_f64 v[52:53], v[52:53], v[64:65]
	v_add_f64 v[54:55], v[54:55], v[58:59]
	s_waitcnt vmcnt(8)
	v_mul_f64 v[58:59], v[201:202], v[16:17]
	v_mul_f64 v[16:17], v[203:204], v[16:17]
	v_fma_f64 v[56:57], v[4:5], v[10:11], v[56:57]
	v_fma_f64 v[64:65], v[2:3], v[10:11], -v[12:13]
	ds_load_b128 v[2:5], v1 offset:1568
	scratch_load_b128 v[10:13], off, off offset:736
	v_add_f64 v[52:53], v[52:53], v[62:63]
	v_add_f64 v[54:55], v[54:55], v[60:61]
	s_waitcnt vmcnt(8) lgkmcnt(0)
	v_mul_f64 v[60:61], v[2:3], v[20:21]
	v_mul_f64 v[20:21], v[4:5], v[20:21]
	v_fma_f64 v[58:59], v[203:204], v[14:15], v[58:59]
	v_fma_f64 v[62:63], v[201:202], v[14:15], -v[16:17]
	scratch_load_b128 v[14:17], off, off offset:752
	ds_load_b128 v[201:204], v1 offset:1616
	v_add_f64 v[52:53], v[52:53], v[64:65]
	v_add_f64 v[54:55], v[54:55], v[56:57]
	s_waitcnt vmcnt(8)
	v_mul_f64 v[56:57], v[230:231], v[24:25]
	v_mul_f64 v[24:25], v[232:233], v[24:25]
	v_fma_f64 v[60:61], v[4:5], v[18:19], v[60:61]
	v_fma_f64 v[64:65], v[2:3], v[18:19], -v[20:21]
	ds_load_b128 v[2:5], v1 offset:1600
	scratch_load_b128 v[18:21], off, off offset:768
	v_add_f64 v[52:53], v[52:53], v[62:63]
	v_add_f64 v[54:55], v[54:55], v[58:59]
	s_waitcnt vmcnt(8) lgkmcnt(0)
	v_mul_f64 v[58:59], v[2:3], v[28:29]
	v_mul_f64 v[28:29], v[4:5], v[28:29]
	v_fma_f64 v[56:57], v[232:233], v[22:23], v[56:57]
	;; [unrolled: 18-line block ×7, first 2 shown]
	v_fma_f64 v[62:63], v[201:202], v[22:23], -v[24:25]
	scratch_load_b128 v[22:25], off, off offset:944
	v_add_f64 v[52:53], v[52:53], v[64:65]
	v_add_f64 v[54:55], v[54:55], v[56:57]
	s_waitcnt vmcnt(8)
	v_mul_f64 v[56:57], v[230:231], v[32:33]
	v_mul_f64 v[32:33], v[232:233], v[32:33]
	v_fma_f64 v[60:61], v[4:5], v[26:27], v[60:61]
	v_fma_f64 v[64:65], v[2:3], v[26:27], -v[28:29]
	ds_load_b128 v[2:5], v1 offset:1792
	ds_load_b128 v[26:29], v1 offset:1808
	v_add_f64 v[52:53], v[52:53], v[62:63]
	v_add_f64 v[54:55], v[54:55], v[58:59]
	s_waitcnt vmcnt(7) lgkmcnt(1)
	v_mul_f64 v[58:59], v[2:3], v[36:37]
	v_mul_f64 v[36:37], v[4:5], v[36:37]
	v_fma_f64 v[56:57], v[232:233], v[30:31], v[56:57]
	v_fma_f64 v[30:31], v[230:231], v[30:31], -v[32:33]
	v_add_f64 v[32:33], v[52:53], v[64:65]
	v_add_f64 v[52:53], v[54:55], v[60:61]
	s_waitcnt vmcnt(6) lgkmcnt(0)
	v_mul_f64 v[54:55], v[26:27], v[40:41]
	v_mul_f64 v[40:41], v[28:29], v[40:41]
	v_fma_f64 v[58:59], v[4:5], v[34:35], v[58:59]
	v_fma_f64 v[34:35], v[2:3], v[34:35], -v[36:37]
	v_add_f64 v[36:37], v[32:33], v[30:31]
	v_add_f64 v[52:53], v[52:53], v[56:57]
	ds_load_b128 v[2:5], v1 offset:1824
	ds_load_b128 v[30:33], v1 offset:1840
	v_fma_f64 v[28:29], v[28:29], v[38:39], v[54:55]
	v_fma_f64 v[26:27], v[26:27], v[38:39], -v[40:41]
	s_waitcnt vmcnt(5) lgkmcnt(1)
	v_mul_f64 v[56:57], v[2:3], v[44:45]
	v_mul_f64 v[44:45], v[4:5], v[44:45]
	s_waitcnt vmcnt(4) lgkmcnt(0)
	v_mul_f64 v[38:39], v[30:31], v[8:9]
	v_mul_f64 v[8:9], v[32:33], v[8:9]
	v_add_f64 v[34:35], v[36:37], v[34:35]
	v_add_f64 v[36:37], v[52:53], v[58:59]
	v_fma_f64 v[40:41], v[4:5], v[42:43], v[56:57]
	v_fma_f64 v[42:43], v[2:3], v[42:43], -v[44:45]
	v_fma_f64 v[32:33], v[32:33], v[6:7], v[38:39]
	v_fma_f64 v[6:7], v[30:31], v[6:7], -v[8:9]
	v_add_f64 v[34:35], v[34:35], v[26:27]
	v_add_f64 v[36:37], v[36:37], v[28:29]
	ds_load_b128 v[2:5], v1 offset:1856
	ds_load_b128 v[26:29], v1 offset:1872
	s_waitcnt vmcnt(3) lgkmcnt(1)
	v_mul_f64 v[44:45], v[2:3], v[12:13]
	v_mul_f64 v[12:13], v[4:5], v[12:13]
	v_add_f64 v[8:9], v[34:35], v[42:43]
	v_add_f64 v[30:31], v[36:37], v[40:41]
	s_waitcnt vmcnt(2) lgkmcnt(0)
	v_mul_f64 v[34:35], v[26:27], v[16:17]
	v_mul_f64 v[16:17], v[28:29], v[16:17]
	v_fma_f64 v[36:37], v[4:5], v[10:11], v[44:45]
	v_fma_f64 v[10:11], v[2:3], v[10:11], -v[12:13]
	v_add_f64 v[12:13], v[8:9], v[6:7]
	v_add_f64 v[30:31], v[30:31], v[32:33]
	ds_load_b128 v[2:5], v1 offset:1888
	ds_load_b128 v[6:9], v1 offset:1904
	v_fma_f64 v[28:29], v[28:29], v[14:15], v[34:35]
	v_fma_f64 v[14:15], v[26:27], v[14:15], -v[16:17]
	s_waitcnt vmcnt(1) lgkmcnt(1)
	v_mul_f64 v[32:33], v[2:3], v[20:21]
	v_mul_f64 v[20:21], v[4:5], v[20:21]
	s_waitcnt vmcnt(0) lgkmcnt(0)
	v_mul_f64 v[16:17], v[6:7], v[24:25]
	v_mul_f64 v[24:25], v[8:9], v[24:25]
	v_add_f64 v[10:11], v[12:13], v[10:11]
	v_add_f64 v[12:13], v[30:31], v[36:37]
	v_fma_f64 v[4:5], v[4:5], v[18:19], v[32:33]
	v_fma_f64 v[1:2], v[2:3], v[18:19], -v[20:21]
	v_fma_f64 v[8:9], v[8:9], v[22:23], v[16:17]
	v_fma_f64 v[6:7], v[6:7], v[22:23], -v[24:25]
	v_add_f64 v[10:11], v[10:11], v[14:15]
	v_add_f64 v[12:13], v[12:13], v[28:29]
	s_delay_alu instid0(VALU_DEP_2) | instskip(NEXT) | instid1(VALU_DEP_2)
	v_add_f64 v[1:2], v[10:11], v[1:2]
	v_add_f64 v[3:4], v[12:13], v[4:5]
	s_delay_alu instid0(VALU_DEP_2) | instskip(NEXT) | instid1(VALU_DEP_2)
	v_add_f64 v[1:2], v[1:2], v[6:7]
	v_add_f64 v[3:4], v[3:4], v[8:9]
	s_delay_alu instid0(VALU_DEP_2) | instskip(NEXT) | instid1(VALU_DEP_2)
	v_add_f64 v[1:2], v[180:181], -v[1:2]
	v_add_f64 v[3:4], v[182:183], -v[3:4]
	scratch_store_b128 off, v[1:4], off offset:368
	v_cmpx_lt_u32_e32 22, v166
	s_cbranch_execz .LBB59_329
; %bb.328:
	scratch_load_b128 v[1:4], v218, off
	v_mov_b32_e32 v5, 0
	s_delay_alu instid0(VALU_DEP_1)
	v_mov_b32_e32 v6, v5
	v_mov_b32_e32 v7, v5
	;; [unrolled: 1-line block ×3, first 2 shown]
	scratch_store_b128 off, v[5:8], off offset:352
	s_waitcnt vmcnt(0)
	ds_store_b128 v226, v[1:4]
.LBB59_329:
	s_or_b32 exec_lo, exec_lo, s2
	s_waitcnt lgkmcnt(0)
	s_waitcnt_vscnt null, 0x0
	s_barrier
	buffer_gl0_inv
	s_clause 0x7
	scratch_load_b128 v[2:5], off, off offset:368
	scratch_load_b128 v[6:9], off, off offset:384
	;; [unrolled: 1-line block ×8, first 2 shown]
	v_mov_b32_e32 v1, 0
	s_mov_b32 s2, exec_lo
	ds_load_b128 v[38:41], v1 offset:1328
	s_clause 0x1
	scratch_load_b128 v[34:37], off, off offset:496
	scratch_load_b128 v[42:45], off, off offset:352
	ds_load_b128 v[180:183], v1 offset:1344
	scratch_load_b128 v[201:204], off, off offset:512
	ds_load_b128 v[230:233], v1 offset:1376
	s_waitcnt vmcnt(10) lgkmcnt(2)
	v_mul_f64 v[52:53], v[40:41], v[4:5]
	v_mul_f64 v[4:5], v[38:39], v[4:5]
	s_delay_alu instid0(VALU_DEP_2) | instskip(NEXT) | instid1(VALU_DEP_2)
	v_fma_f64 v[52:53], v[38:39], v[2:3], -v[52:53]
	v_fma_f64 v[56:57], v[40:41], v[2:3], v[4:5]
	ds_load_b128 v[2:5], v1 offset:1360
	s_waitcnt vmcnt(9) lgkmcnt(2)
	v_mul_f64 v[54:55], v[180:181], v[8:9]
	v_mul_f64 v[8:9], v[182:183], v[8:9]
	scratch_load_b128 v[38:41], off, off offset:528
	s_waitcnt vmcnt(9) lgkmcnt(0)
	v_mul_f64 v[58:59], v[2:3], v[12:13]
	v_mul_f64 v[12:13], v[4:5], v[12:13]
	v_add_f64 v[52:53], v[52:53], 0
	v_add_f64 v[56:57], v[56:57], 0
	v_fma_f64 v[54:55], v[182:183], v[6:7], v[54:55]
	v_fma_f64 v[60:61], v[180:181], v[6:7], -v[8:9]
	scratch_load_b128 v[6:9], off, off offset:544
	ds_load_b128 v[180:183], v1 offset:1408
	v_fma_f64 v[58:59], v[4:5], v[10:11], v[58:59]
	v_fma_f64 v[64:65], v[2:3], v[10:11], -v[12:13]
	ds_load_b128 v[2:5], v1 offset:1392
	s_waitcnt vmcnt(9)
	v_mul_f64 v[62:63], v[230:231], v[16:17]
	v_mul_f64 v[16:17], v[232:233], v[16:17]
	scratch_load_b128 v[10:13], off, off offset:560
	v_add_f64 v[54:55], v[56:57], v[54:55]
	v_add_f64 v[52:53], v[52:53], v[60:61]
	s_waitcnt vmcnt(9) lgkmcnt(0)
	v_mul_f64 v[56:57], v[2:3], v[20:21]
	v_mul_f64 v[20:21], v[4:5], v[20:21]
	v_fma_f64 v[60:61], v[232:233], v[14:15], v[62:63]
	v_fma_f64 v[62:63], v[230:231], v[14:15], -v[16:17]
	scratch_load_b128 v[14:17], off, off offset:576
	ds_load_b128 v[230:233], v1 offset:1440
	v_add_f64 v[54:55], v[54:55], v[58:59]
	v_add_f64 v[52:53], v[52:53], v[64:65]
	v_fma_f64 v[56:57], v[4:5], v[18:19], v[56:57]
	v_fma_f64 v[64:65], v[2:3], v[18:19], -v[20:21]
	ds_load_b128 v[2:5], v1 offset:1424
	s_waitcnt vmcnt(9)
	v_mul_f64 v[58:59], v[180:181], v[24:25]
	v_mul_f64 v[24:25], v[182:183], v[24:25]
	scratch_load_b128 v[18:21], off, off offset:592
	v_add_f64 v[54:55], v[54:55], v[60:61]
	v_add_f64 v[52:53], v[52:53], v[62:63]
	s_waitcnt vmcnt(9) lgkmcnt(0)
	v_mul_f64 v[60:61], v[2:3], v[28:29]
	v_mul_f64 v[28:29], v[4:5], v[28:29]
	v_fma_f64 v[58:59], v[182:183], v[22:23], v[58:59]
	v_fma_f64 v[62:63], v[180:181], v[22:23], -v[24:25]
	scratch_load_b128 v[22:25], off, off offset:608
	ds_load_b128 v[180:183], v1 offset:1472
	v_add_f64 v[54:55], v[54:55], v[56:57]
	v_add_f64 v[52:53], v[52:53], v[64:65]
	;; [unrolled: 18-line block ×3, first 2 shown]
	v_fma_f64 v[58:59], v[4:5], v[34:35], v[58:59]
	v_fma_f64 v[66:67], v[2:3], v[34:35], -v[36:37]
	ds_load_b128 v[2:5], v1 offset:1488
	s_waitcnt vmcnt(8)
	v_mul_f64 v[60:61], v[180:181], v[203:204]
	v_mul_f64 v[64:65], v[182:183], v[203:204]
	scratch_load_b128 v[34:37], off, off offset:656
	v_add_f64 v[54:55], v[54:55], v[56:57]
	v_add_f64 v[52:53], v[52:53], v[62:63]
	v_fma_f64 v[60:61], v[182:183], v[201:202], v[60:61]
	v_fma_f64 v[62:63], v[180:181], v[201:202], -v[64:65]
	scratch_load_b128 v[180:183], off, off offset:672
	ds_load_b128 v[201:204], v1 offset:1536
	s_waitcnt vmcnt(9) lgkmcnt(1)
	v_mul_f64 v[56:57], v[2:3], v[40:41]
	v_mul_f64 v[40:41], v[4:5], v[40:41]
	v_add_f64 v[54:55], v[54:55], v[58:59]
	v_add_f64 v[52:53], v[52:53], v[66:67]
	s_delay_alu instid0(VALU_DEP_4) | instskip(NEXT) | instid1(VALU_DEP_4)
	v_fma_f64 v[56:57], v[4:5], v[38:39], v[56:57]
	v_fma_f64 v[64:65], v[2:3], v[38:39], -v[40:41]
	ds_load_b128 v[2:5], v1 offset:1520
	s_waitcnt vmcnt(8)
	v_mul_f64 v[58:59], v[230:231], v[8:9]
	v_mul_f64 v[8:9], v[232:233], v[8:9]
	scratch_load_b128 v[38:41], off, off offset:688
	v_add_f64 v[54:55], v[54:55], v[60:61]
	v_add_f64 v[52:53], v[52:53], v[62:63]
	s_waitcnt vmcnt(8) lgkmcnt(0)
	v_mul_f64 v[60:61], v[2:3], v[12:13]
	v_mul_f64 v[12:13], v[4:5], v[12:13]
	v_fma_f64 v[58:59], v[232:233], v[6:7], v[58:59]
	v_fma_f64 v[62:63], v[230:231], v[6:7], -v[8:9]
	scratch_load_b128 v[6:9], off, off offset:704
	ds_load_b128 v[230:233], v1 offset:1568
	v_add_f64 v[54:55], v[54:55], v[56:57]
	v_add_f64 v[52:53], v[52:53], v[64:65]
	v_fma_f64 v[60:61], v[4:5], v[10:11], v[60:61]
	v_fma_f64 v[64:65], v[2:3], v[10:11], -v[12:13]
	ds_load_b128 v[2:5], v1 offset:1552
	s_waitcnt vmcnt(8)
	v_mul_f64 v[56:57], v[201:202], v[16:17]
	v_mul_f64 v[16:17], v[203:204], v[16:17]
	scratch_load_b128 v[10:13], off, off offset:720
	v_add_f64 v[54:55], v[54:55], v[58:59]
	v_add_f64 v[52:53], v[52:53], v[62:63]
	s_waitcnt vmcnt(8) lgkmcnt(0)
	v_mul_f64 v[58:59], v[2:3], v[20:21]
	v_mul_f64 v[20:21], v[4:5], v[20:21]
	v_fma_f64 v[56:57], v[203:204], v[14:15], v[56:57]
	v_fma_f64 v[62:63], v[201:202], v[14:15], -v[16:17]
	scratch_load_b128 v[14:17], off, off offset:736
	ds_load_b128 v[201:204], v1 offset:1600
	v_add_f64 v[54:55], v[54:55], v[60:61]
	v_add_f64 v[52:53], v[52:53], v[64:65]
	v_fma_f64 v[58:59], v[4:5], v[18:19], v[58:59]
	v_fma_f64 v[64:65], v[2:3], v[18:19], -v[20:21]
	ds_load_b128 v[2:5], v1 offset:1584
	s_waitcnt vmcnt(8)
	v_mul_f64 v[60:61], v[230:231], v[24:25]
	v_mul_f64 v[24:25], v[232:233], v[24:25]
	scratch_load_b128 v[18:21], off, off offset:752
	v_add_f64 v[54:55], v[54:55], v[56:57]
	v_add_f64 v[52:53], v[52:53], v[62:63]
	s_waitcnt vmcnt(8) lgkmcnt(0)
	v_mul_f64 v[56:57], v[2:3], v[28:29]
	v_mul_f64 v[28:29], v[4:5], v[28:29]
	v_fma_f64 v[60:61], v[232:233], v[22:23], v[60:61]
	v_fma_f64 v[62:63], v[230:231], v[22:23], -v[24:25]
	scratch_load_b128 v[22:25], off, off offset:768
	ds_load_b128 v[230:233], v1 offset:1632
	v_add_f64 v[54:55], v[54:55], v[58:59]
	v_add_f64 v[52:53], v[52:53], v[64:65]
	v_fma_f64 v[56:57], v[4:5], v[26:27], v[56:57]
	v_fma_f64 v[64:65], v[2:3], v[26:27], -v[28:29]
	ds_load_b128 v[2:5], v1 offset:1616
	s_waitcnt vmcnt(8)
	v_mul_f64 v[58:59], v[201:202], v[32:33]
	v_mul_f64 v[32:33], v[203:204], v[32:33]
	scratch_load_b128 v[26:29], off, off offset:784
	v_add_f64 v[54:55], v[54:55], v[60:61]
	v_add_f64 v[52:53], v[52:53], v[62:63]
	s_waitcnt vmcnt(8) lgkmcnt(0)
	v_mul_f64 v[60:61], v[2:3], v[36:37]
	v_mul_f64 v[36:37], v[4:5], v[36:37]
	v_fma_f64 v[58:59], v[203:204], v[30:31], v[58:59]
	v_fma_f64 v[62:63], v[201:202], v[30:31], -v[32:33]
	s_clause 0x1
	scratch_load_b128 v[30:33], off, off offset:800
	scratch_load_b128 v[201:204], off, off offset:832
	v_add_f64 v[54:55], v[54:55], v[56:57]
	v_add_f64 v[52:53], v[52:53], v[64:65]
	v_fma_f64 v[60:61], v[4:5], v[34:35], v[60:61]
	v_fma_f64 v[66:67], v[2:3], v[34:35], -v[36:37]
	ds_load_b128 v[2:5], v1 offset:1648
	s_waitcnt vmcnt(9)
	v_mul_f64 v[56:57], v[230:231], v[182:183]
	v_mul_f64 v[64:65], v[232:233], v[182:183]
	scratch_load_b128 v[34:37], off, off offset:816
	ds_load_b128 v[182:185], v1 offset:1664
	v_add_f64 v[54:55], v[54:55], v[58:59]
	v_add_f64 v[52:53], v[52:53], v[62:63]
	s_waitcnt vmcnt(9) lgkmcnt(1)
	v_mul_f64 v[58:59], v[2:3], v[40:41]
	v_mul_f64 v[40:41], v[4:5], v[40:41]
	v_fma_f64 v[56:57], v[232:233], v[180:181], v[56:57]
	v_fma_f64 v[62:63], v[230:231], v[180:181], -v[64:65]
	ds_load_b128 v[230:233], v1 offset:1696
	v_add_f64 v[54:55], v[54:55], v[60:61]
	v_add_f64 v[52:53], v[52:53], v[66:67]
	v_fma_f64 v[58:59], v[4:5], v[38:39], v[58:59]
	v_fma_f64 v[64:65], v[2:3], v[38:39], -v[40:41]
	ds_load_b128 v[2:5], v1 offset:1680
	s_waitcnt vmcnt(8) lgkmcnt(2)
	v_mul_f64 v[60:61], v[182:183], v[8:9]
	v_mul_f64 v[8:9], v[184:185], v[8:9]
	scratch_load_b128 v[38:41], off, off offset:848
	v_add_f64 v[54:55], v[54:55], v[56:57]
	v_add_f64 v[52:53], v[52:53], v[62:63]
	s_waitcnt vmcnt(8) lgkmcnt(0)
	v_mul_f64 v[56:57], v[2:3], v[12:13]
	v_mul_f64 v[12:13], v[4:5], v[12:13]
	v_fma_f64 v[60:61], v[184:185], v[6:7], v[60:61]
	v_fma_f64 v[62:63], v[182:183], v[6:7], -v[8:9]
	scratch_load_b128 v[6:9], off, off offset:864
	ds_load_b128 v[180:183], v1 offset:1728
	v_add_f64 v[54:55], v[54:55], v[58:59]
	v_add_f64 v[52:53], v[52:53], v[64:65]
	v_fma_f64 v[56:57], v[4:5], v[10:11], v[56:57]
	v_fma_f64 v[64:65], v[2:3], v[10:11], -v[12:13]
	ds_load_b128 v[2:5], v1 offset:1712
	s_waitcnt vmcnt(8)
	v_mul_f64 v[58:59], v[230:231], v[16:17]
	v_mul_f64 v[16:17], v[232:233], v[16:17]
	scratch_load_b128 v[10:13], off, off offset:880
	v_add_f64 v[54:55], v[54:55], v[60:61]
	v_add_f64 v[52:53], v[52:53], v[62:63]
	s_waitcnt vmcnt(8) lgkmcnt(0)
	v_mul_f64 v[60:61], v[2:3], v[20:21]
	v_mul_f64 v[20:21], v[4:5], v[20:21]
	v_fma_f64 v[58:59], v[232:233], v[14:15], v[58:59]
	v_fma_f64 v[62:63], v[230:231], v[14:15], -v[16:17]
	scratch_load_b128 v[14:17], off, off offset:896
	ds_load_b128 v[230:233], v1 offset:1760
	v_add_f64 v[54:55], v[54:55], v[56:57]
	v_add_f64 v[52:53], v[52:53], v[64:65]
	v_fma_f64 v[60:61], v[4:5], v[18:19], v[60:61]
	v_fma_f64 v[64:65], v[2:3], v[18:19], -v[20:21]
	ds_load_b128 v[2:5], v1 offset:1744
	s_waitcnt vmcnt(8)
	v_mul_f64 v[56:57], v[180:181], v[24:25]
	v_mul_f64 v[24:25], v[182:183], v[24:25]
	scratch_load_b128 v[18:21], off, off offset:912
	v_add_f64 v[54:55], v[54:55], v[58:59]
	v_add_f64 v[52:53], v[52:53], v[62:63]
	s_waitcnt vmcnt(8) lgkmcnt(0)
	v_mul_f64 v[58:59], v[2:3], v[28:29]
	v_mul_f64 v[28:29], v[4:5], v[28:29]
	v_fma_f64 v[56:57], v[182:183], v[22:23], v[56:57]
	v_fma_f64 v[62:63], v[180:181], v[22:23], -v[24:25]
	scratch_load_b128 v[22:25], off, off offset:928
	ds_load_b128 v[180:183], v1 offset:1792
	v_add_f64 v[54:55], v[54:55], v[60:61]
	v_add_f64 v[52:53], v[52:53], v[64:65]
	v_fma_f64 v[58:59], v[4:5], v[26:27], v[58:59]
	v_fma_f64 v[64:65], v[2:3], v[26:27], -v[28:29]
	scratch_load_b128 v[26:29], off, off offset:944
	ds_load_b128 v[2:5], v1 offset:1776
	s_waitcnt vmcnt(9)
	v_mul_f64 v[60:61], v[230:231], v[32:33]
	v_mul_f64 v[32:33], v[232:233], v[32:33]
	v_add_f64 v[54:55], v[54:55], v[56:57]
	v_add_f64 v[52:53], v[52:53], v[62:63]
	s_waitcnt vmcnt(7) lgkmcnt(0)
	v_mul_f64 v[56:57], v[2:3], v[36:37]
	v_mul_f64 v[36:37], v[4:5], v[36:37]
	v_fma_f64 v[60:61], v[232:233], v[30:31], v[60:61]
	v_fma_f64 v[30:31], v[230:231], v[30:31], -v[32:33]
	v_add_f64 v[32:33], v[52:53], v[64:65]
	v_add_f64 v[52:53], v[54:55], v[58:59]
	v_mul_f64 v[54:55], v[180:181], v[203:204]
	v_mul_f64 v[58:59], v[182:183], v[203:204]
	v_fma_f64 v[56:57], v[4:5], v[34:35], v[56:57]
	v_fma_f64 v[34:35], v[2:3], v[34:35], -v[36:37]
	v_add_f64 v[36:37], v[32:33], v[30:31]
	v_add_f64 v[52:53], v[52:53], v[60:61]
	ds_load_b128 v[2:5], v1 offset:1808
	ds_load_b128 v[30:33], v1 offset:1824
	v_fma_f64 v[54:55], v[182:183], v[201:202], v[54:55]
	v_fma_f64 v[58:59], v[180:181], v[201:202], -v[58:59]
	s_waitcnt vmcnt(6) lgkmcnt(1)
	v_mul_f64 v[60:61], v[2:3], v[40:41]
	v_mul_f64 v[40:41], v[4:5], v[40:41]
	v_add_f64 v[34:35], v[36:37], v[34:35]
	v_add_f64 v[36:37], v[52:53], v[56:57]
	s_waitcnt vmcnt(5) lgkmcnt(0)
	v_mul_f64 v[52:53], v[30:31], v[8:9]
	v_mul_f64 v[8:9], v[32:33], v[8:9]
	v_fma_f64 v[56:57], v[4:5], v[38:39], v[60:61]
	v_fma_f64 v[38:39], v[2:3], v[38:39], -v[40:41]
	v_add_f64 v[40:41], v[34:35], v[58:59]
	v_add_f64 v[54:55], v[36:37], v[54:55]
	ds_load_b128 v[2:5], v1 offset:1840
	ds_load_b128 v[34:37], v1 offset:1856
	v_fma_f64 v[32:33], v[32:33], v[6:7], v[52:53]
	v_fma_f64 v[6:7], v[30:31], v[6:7], -v[8:9]
	s_waitcnt vmcnt(4) lgkmcnt(1)
	v_mul_f64 v[58:59], v[2:3], v[12:13]
	v_mul_f64 v[12:13], v[4:5], v[12:13]
	v_add_f64 v[8:9], v[40:41], v[38:39]
	v_add_f64 v[30:31], v[54:55], v[56:57]
	s_waitcnt vmcnt(3) lgkmcnt(0)
	v_mul_f64 v[38:39], v[34:35], v[16:17]
	v_mul_f64 v[16:17], v[36:37], v[16:17]
	v_fma_f64 v[40:41], v[4:5], v[10:11], v[58:59]
	v_fma_f64 v[10:11], v[2:3], v[10:11], -v[12:13]
	v_add_f64 v[12:13], v[8:9], v[6:7]
	v_add_f64 v[30:31], v[30:31], v[32:33]
	ds_load_b128 v[2:5], v1 offset:1872
	ds_load_b128 v[6:9], v1 offset:1888
	v_fma_f64 v[36:37], v[36:37], v[14:15], v[38:39]
	v_fma_f64 v[14:15], v[34:35], v[14:15], -v[16:17]
	s_waitcnt vmcnt(2) lgkmcnt(1)
	v_mul_f64 v[32:33], v[2:3], v[20:21]
	v_mul_f64 v[20:21], v[4:5], v[20:21]
	s_waitcnt vmcnt(1) lgkmcnt(0)
	v_mul_f64 v[16:17], v[6:7], v[24:25]
	v_mul_f64 v[24:25], v[8:9], v[24:25]
	v_add_f64 v[10:11], v[12:13], v[10:11]
	v_add_f64 v[12:13], v[30:31], v[40:41]
	v_fma_f64 v[30:31], v[4:5], v[18:19], v[32:33]
	v_fma_f64 v[18:19], v[2:3], v[18:19], -v[20:21]
	ds_load_b128 v[2:5], v1 offset:1904
	v_fma_f64 v[8:9], v[8:9], v[22:23], v[16:17]
	v_fma_f64 v[6:7], v[6:7], v[22:23], -v[24:25]
	v_add_f64 v[10:11], v[10:11], v[14:15]
	v_add_f64 v[12:13], v[12:13], v[36:37]
	s_waitcnt vmcnt(0) lgkmcnt(0)
	v_mul_f64 v[14:15], v[2:3], v[28:29]
	v_mul_f64 v[20:21], v[4:5], v[28:29]
	s_delay_alu instid0(VALU_DEP_4) | instskip(NEXT) | instid1(VALU_DEP_4)
	v_add_f64 v[10:11], v[10:11], v[18:19]
	v_add_f64 v[12:13], v[12:13], v[30:31]
	s_delay_alu instid0(VALU_DEP_4) | instskip(NEXT) | instid1(VALU_DEP_4)
	v_fma_f64 v[4:5], v[4:5], v[26:27], v[14:15]
	v_fma_f64 v[2:3], v[2:3], v[26:27], -v[20:21]
	s_delay_alu instid0(VALU_DEP_4) | instskip(NEXT) | instid1(VALU_DEP_4)
	v_add_f64 v[6:7], v[10:11], v[6:7]
	v_add_f64 v[8:9], v[12:13], v[8:9]
	s_delay_alu instid0(VALU_DEP_2) | instskip(NEXT) | instid1(VALU_DEP_2)
	v_add_f64 v[2:3], v[6:7], v[2:3]
	v_add_f64 v[4:5], v[8:9], v[4:5]
	s_delay_alu instid0(VALU_DEP_2) | instskip(NEXT) | instid1(VALU_DEP_2)
	v_add_f64 v[2:3], v[42:43], -v[2:3]
	v_add_f64 v[4:5], v[44:45], -v[4:5]
	scratch_store_b128 off, v[2:5], off offset:352
	v_cmpx_lt_u32_e32 21, v166
	s_cbranch_execz .LBB59_331
; %bb.330:
	scratch_load_b128 v[5:8], v219, off
	v_mov_b32_e32 v2, v1
	v_mov_b32_e32 v3, v1
	;; [unrolled: 1-line block ×3, first 2 shown]
	scratch_store_b128 off, v[1:4], off offset:336
	s_waitcnt vmcnt(0)
	ds_store_b128 v226, v[5:8]
.LBB59_331:
	s_or_b32 exec_lo, exec_lo, s2
	s_waitcnt lgkmcnt(0)
	s_waitcnt_vscnt null, 0x0
	s_barrier
	buffer_gl0_inv
	s_clause 0x8
	scratch_load_b128 v[2:5], off, off offset:352
	scratch_load_b128 v[6:9], off, off offset:368
	;; [unrolled: 1-line block ×9, first 2 shown]
	ds_load_b128 v[42:45], v1 offset:1312
	ds_load_b128 v[38:41], v1 offset:1328
	s_clause 0x1
	scratch_load_b128 v[180:183], off, off offset:336
	scratch_load_b128 v[201:204], off, off offset:496
	s_mov_b32 s2, exec_lo
	ds_load_b128 v[230:233], v1 offset:1360
	s_waitcnt vmcnt(10) lgkmcnt(2)
	v_mul_f64 v[52:53], v[44:45], v[4:5]
	v_mul_f64 v[4:5], v[42:43], v[4:5]
	s_waitcnt vmcnt(9) lgkmcnt(1)
	v_mul_f64 v[54:55], v[38:39], v[8:9]
	v_mul_f64 v[8:9], v[40:41], v[8:9]
	s_delay_alu instid0(VALU_DEP_4) | instskip(NEXT) | instid1(VALU_DEP_4)
	v_fma_f64 v[52:53], v[42:43], v[2:3], -v[52:53]
	v_fma_f64 v[56:57], v[44:45], v[2:3], v[4:5]
	ds_load_b128 v[2:5], v1 offset:1344
	scratch_load_b128 v[42:45], off, off offset:512
	v_fma_f64 v[40:41], v[40:41], v[6:7], v[54:55]
	v_fma_f64 v[38:39], v[38:39], v[6:7], -v[8:9]
	scratch_load_b128 v[6:9], off, off offset:528
	s_waitcnt vmcnt(10) lgkmcnt(0)
	v_mul_f64 v[58:59], v[2:3], v[12:13]
	v_mul_f64 v[12:13], v[4:5], v[12:13]
	v_add_f64 v[52:53], v[52:53], 0
	v_add_f64 v[54:55], v[56:57], 0
	s_waitcnt vmcnt(9)
	v_mul_f64 v[56:57], v[230:231], v[16:17]
	v_mul_f64 v[16:17], v[232:233], v[16:17]
	v_fma_f64 v[58:59], v[4:5], v[10:11], v[58:59]
	v_fma_f64 v[60:61], v[2:3], v[10:11], -v[12:13]
	ds_load_b128 v[2:5], v1 offset:1376
	scratch_load_b128 v[10:13], off, off offset:544
	v_add_f64 v[52:53], v[52:53], v[38:39]
	v_add_f64 v[54:55], v[54:55], v[40:41]
	ds_load_b128 v[38:41], v1 offset:1392
	v_fma_f64 v[56:57], v[232:233], v[14:15], v[56:57]
	v_fma_f64 v[64:65], v[230:231], v[14:15], -v[16:17]
	scratch_load_b128 v[14:17], off, off offset:560
	s_waitcnt vmcnt(10) lgkmcnt(1)
	v_mul_f64 v[62:63], v[2:3], v[20:21]
	v_mul_f64 v[20:21], v[4:5], v[20:21]
	ds_load_b128 v[230:233], v1 offset:1424
	v_add_f64 v[52:53], v[52:53], v[60:61]
	v_add_f64 v[54:55], v[54:55], v[58:59]
	s_waitcnt vmcnt(9) lgkmcnt(1)
	v_mul_f64 v[58:59], v[38:39], v[24:25]
	v_mul_f64 v[24:25], v[40:41], v[24:25]
	v_fma_f64 v[60:61], v[4:5], v[18:19], v[62:63]
	v_fma_f64 v[62:63], v[2:3], v[18:19], -v[20:21]
	ds_load_b128 v[2:5], v1 offset:1408
	scratch_load_b128 v[18:21], off, off offset:576
	v_add_f64 v[52:53], v[52:53], v[64:65]
	v_add_f64 v[54:55], v[54:55], v[56:57]
	s_waitcnt vmcnt(9) lgkmcnt(0)
	v_mul_f64 v[56:57], v[2:3], v[28:29]
	v_mul_f64 v[28:29], v[4:5], v[28:29]
	v_fma_f64 v[40:41], v[40:41], v[22:23], v[58:59]
	v_fma_f64 v[38:39], v[38:39], v[22:23], -v[24:25]
	scratch_load_b128 v[22:25], off, off offset:592
	s_waitcnt vmcnt(9)
	v_mul_f64 v[58:59], v[230:231], v[32:33]
	v_mul_f64 v[32:33], v[232:233], v[32:33]
	v_add_f64 v[52:53], v[52:53], v[62:63]
	v_add_f64 v[54:55], v[54:55], v[60:61]
	v_fma_f64 v[56:57], v[4:5], v[26:27], v[56:57]
	v_fma_f64 v[60:61], v[2:3], v[26:27], -v[28:29]
	ds_load_b128 v[2:5], v1 offset:1440
	scratch_load_b128 v[26:29], off, off offset:608
	v_fma_f64 v[58:59], v[232:233], v[30:31], v[58:59]
	v_fma_f64 v[64:65], v[230:231], v[30:31], -v[32:33]
	scratch_load_b128 v[30:33], off, off offset:624
	ds_load_b128 v[230:233], v1 offset:1488
	v_add_f64 v[52:53], v[52:53], v[38:39]
	v_add_f64 v[54:55], v[54:55], v[40:41]
	ds_load_b128 v[38:41], v1 offset:1456
	s_waitcnt vmcnt(10) lgkmcnt(2)
	v_mul_f64 v[62:63], v[2:3], v[36:37]
	v_mul_f64 v[36:37], v[4:5], v[36:37]
	v_add_f64 v[52:53], v[52:53], v[60:61]
	v_add_f64 v[54:55], v[54:55], v[56:57]
	s_waitcnt vmcnt(8) lgkmcnt(0)
	v_mul_f64 v[56:57], v[38:39], v[203:204]
	v_mul_f64 v[60:61], v[40:41], v[203:204]
	v_fma_f64 v[62:63], v[4:5], v[34:35], v[62:63]
	v_fma_f64 v[66:67], v[2:3], v[34:35], -v[36:37]
	ds_load_b128 v[2:5], v1 offset:1472
	scratch_load_b128 v[34:37], off, off offset:640
	v_add_f64 v[52:53], v[52:53], v[64:65]
	v_add_f64 v[54:55], v[54:55], v[58:59]
	v_fma_f64 v[56:57], v[40:41], v[201:202], v[56:57]
	v_fma_f64 v[60:61], v[38:39], v[201:202], -v[60:61]
	scratch_load_b128 v[38:41], off, off offset:656
	ds_load_b128 v[201:204], v1 offset:1520
	s_waitcnt vmcnt(9) lgkmcnt(1)
	v_mul_f64 v[58:59], v[2:3], v[44:45]
	v_mul_f64 v[44:45], v[4:5], v[44:45]
	v_add_f64 v[52:53], v[52:53], v[66:67]
	v_add_f64 v[54:55], v[54:55], v[62:63]
	s_waitcnt vmcnt(8)
	v_mul_f64 v[62:63], v[230:231], v[8:9]
	v_mul_f64 v[8:9], v[232:233], v[8:9]
	v_fma_f64 v[58:59], v[4:5], v[42:43], v[58:59]
	v_fma_f64 v[64:65], v[2:3], v[42:43], -v[44:45]
	ds_load_b128 v[2:5], v1 offset:1504
	scratch_load_b128 v[42:45], off, off offset:672
	v_add_f64 v[52:53], v[52:53], v[60:61]
	v_add_f64 v[54:55], v[54:55], v[56:57]
	v_fma_f64 v[60:61], v[232:233], v[6:7], v[62:63]
	s_waitcnt vmcnt(8) lgkmcnt(0)
	v_mul_f64 v[56:57], v[2:3], v[12:13]
	v_mul_f64 v[12:13], v[4:5], v[12:13]
	v_fma_f64 v[62:63], v[230:231], v[6:7], -v[8:9]
	scratch_load_b128 v[6:9], off, off offset:688
	ds_load_b128 v[230:233], v1 offset:1552
	v_add_f64 v[52:53], v[52:53], v[64:65]
	v_add_f64 v[54:55], v[54:55], v[58:59]
	s_waitcnt vmcnt(8)
	v_mul_f64 v[58:59], v[201:202], v[16:17]
	v_mul_f64 v[16:17], v[203:204], v[16:17]
	v_fma_f64 v[56:57], v[4:5], v[10:11], v[56:57]
	v_fma_f64 v[64:65], v[2:3], v[10:11], -v[12:13]
	ds_load_b128 v[2:5], v1 offset:1536
	scratch_load_b128 v[10:13], off, off offset:704
	v_add_f64 v[52:53], v[52:53], v[62:63]
	v_add_f64 v[54:55], v[54:55], v[60:61]
	s_waitcnt vmcnt(8) lgkmcnt(0)
	v_mul_f64 v[60:61], v[2:3], v[20:21]
	v_mul_f64 v[20:21], v[4:5], v[20:21]
	v_fma_f64 v[58:59], v[203:204], v[14:15], v[58:59]
	v_fma_f64 v[62:63], v[201:202], v[14:15], -v[16:17]
	scratch_load_b128 v[14:17], off, off offset:720
	ds_load_b128 v[201:204], v1 offset:1584
	v_add_f64 v[52:53], v[52:53], v[64:65]
	v_add_f64 v[54:55], v[54:55], v[56:57]
	s_waitcnt vmcnt(8)
	v_mul_f64 v[56:57], v[230:231], v[24:25]
	v_mul_f64 v[24:25], v[232:233], v[24:25]
	v_fma_f64 v[60:61], v[4:5], v[18:19], v[60:61]
	v_fma_f64 v[64:65], v[2:3], v[18:19], -v[20:21]
	ds_load_b128 v[2:5], v1 offset:1568
	scratch_load_b128 v[18:21], off, off offset:736
	v_add_f64 v[52:53], v[52:53], v[62:63]
	v_add_f64 v[54:55], v[54:55], v[58:59]
	s_waitcnt vmcnt(8) lgkmcnt(0)
	v_mul_f64 v[58:59], v[2:3], v[28:29]
	v_mul_f64 v[28:29], v[4:5], v[28:29]
	v_fma_f64 v[56:57], v[232:233], v[22:23], v[56:57]
	;; [unrolled: 18-line block ×8, first 2 shown]
	v_fma_f64 v[62:63], v[230:231], v[30:31], -v[32:33]
	scratch_load_b128 v[30:33], off, off offset:944
	v_add_f64 v[52:53], v[52:53], v[64:65]
	v_add_f64 v[54:55], v[54:55], v[60:61]
	s_waitcnt vmcnt(8)
	v_mul_f64 v[60:61], v[201:202], v[40:41]
	v_mul_f64 v[40:41], v[203:204], v[40:41]
	v_fma_f64 v[58:59], v[4:5], v[34:35], v[58:59]
	v_fma_f64 v[64:65], v[2:3], v[34:35], -v[36:37]
	ds_load_b128 v[2:5], v1 offset:1792
	ds_load_b128 v[34:37], v1 offset:1808
	v_add_f64 v[52:53], v[52:53], v[62:63]
	v_add_f64 v[54:55], v[54:55], v[56:57]
	s_waitcnt vmcnt(7) lgkmcnt(1)
	v_mul_f64 v[56:57], v[2:3], v[44:45]
	v_mul_f64 v[44:45], v[4:5], v[44:45]
	v_fma_f64 v[60:61], v[203:204], v[38:39], v[60:61]
	v_fma_f64 v[38:39], v[201:202], v[38:39], -v[40:41]
	v_add_f64 v[40:41], v[52:53], v[64:65]
	v_add_f64 v[52:53], v[54:55], v[58:59]
	s_waitcnt vmcnt(6) lgkmcnt(0)
	v_mul_f64 v[54:55], v[34:35], v[8:9]
	v_mul_f64 v[8:9], v[36:37], v[8:9]
	v_fma_f64 v[56:57], v[4:5], v[42:43], v[56:57]
	v_fma_f64 v[42:43], v[2:3], v[42:43], -v[44:45]
	v_add_f64 v[44:45], v[40:41], v[38:39]
	v_add_f64 v[52:53], v[52:53], v[60:61]
	ds_load_b128 v[2:5], v1 offset:1824
	ds_load_b128 v[38:41], v1 offset:1840
	v_fma_f64 v[36:37], v[36:37], v[6:7], v[54:55]
	v_fma_f64 v[6:7], v[34:35], v[6:7], -v[8:9]
	s_waitcnt vmcnt(5) lgkmcnt(1)
	v_mul_f64 v[58:59], v[2:3], v[12:13]
	v_mul_f64 v[12:13], v[4:5], v[12:13]
	v_add_f64 v[8:9], v[44:45], v[42:43]
	v_add_f64 v[34:35], v[52:53], v[56:57]
	s_waitcnt vmcnt(4) lgkmcnt(0)
	v_mul_f64 v[42:43], v[38:39], v[16:17]
	v_mul_f64 v[16:17], v[40:41], v[16:17]
	v_fma_f64 v[44:45], v[4:5], v[10:11], v[58:59]
	v_fma_f64 v[10:11], v[2:3], v[10:11], -v[12:13]
	v_add_f64 v[12:13], v[8:9], v[6:7]
	v_add_f64 v[34:35], v[34:35], v[36:37]
	ds_load_b128 v[2:5], v1 offset:1856
	ds_load_b128 v[6:9], v1 offset:1872
	v_fma_f64 v[40:41], v[40:41], v[14:15], v[42:43]
	v_fma_f64 v[14:15], v[38:39], v[14:15], -v[16:17]
	s_waitcnt vmcnt(3) lgkmcnt(1)
	v_mul_f64 v[36:37], v[2:3], v[20:21]
	v_mul_f64 v[20:21], v[4:5], v[20:21]
	s_waitcnt vmcnt(2) lgkmcnt(0)
	v_mul_f64 v[16:17], v[6:7], v[24:25]
	v_mul_f64 v[24:25], v[8:9], v[24:25]
	v_add_f64 v[10:11], v[12:13], v[10:11]
	v_add_f64 v[12:13], v[34:35], v[44:45]
	v_fma_f64 v[34:35], v[4:5], v[18:19], v[36:37]
	v_fma_f64 v[18:19], v[2:3], v[18:19], -v[20:21]
	v_fma_f64 v[8:9], v[8:9], v[22:23], v[16:17]
	v_fma_f64 v[6:7], v[6:7], v[22:23], -v[24:25]
	v_add_f64 v[14:15], v[10:11], v[14:15]
	v_add_f64 v[20:21], v[12:13], v[40:41]
	ds_load_b128 v[2:5], v1 offset:1888
	ds_load_b128 v[10:13], v1 offset:1904
	s_waitcnt vmcnt(1) lgkmcnt(1)
	v_mul_f64 v[36:37], v[2:3], v[28:29]
	v_mul_f64 v[28:29], v[4:5], v[28:29]
	v_add_f64 v[14:15], v[14:15], v[18:19]
	v_add_f64 v[16:17], v[20:21], v[34:35]
	s_waitcnt vmcnt(0) lgkmcnt(0)
	v_mul_f64 v[18:19], v[10:11], v[32:33]
	v_mul_f64 v[20:21], v[12:13], v[32:33]
	v_fma_f64 v[4:5], v[4:5], v[26:27], v[36:37]
	v_fma_f64 v[1:2], v[2:3], v[26:27], -v[28:29]
	v_add_f64 v[6:7], v[14:15], v[6:7]
	v_add_f64 v[8:9], v[16:17], v[8:9]
	v_fma_f64 v[12:13], v[12:13], v[30:31], v[18:19]
	v_fma_f64 v[10:11], v[10:11], v[30:31], -v[20:21]
	s_delay_alu instid0(VALU_DEP_4) | instskip(NEXT) | instid1(VALU_DEP_4)
	v_add_f64 v[1:2], v[6:7], v[1:2]
	v_add_f64 v[3:4], v[8:9], v[4:5]
	s_delay_alu instid0(VALU_DEP_2) | instskip(NEXT) | instid1(VALU_DEP_2)
	v_add_f64 v[1:2], v[1:2], v[10:11]
	v_add_f64 v[3:4], v[3:4], v[12:13]
	s_delay_alu instid0(VALU_DEP_2) | instskip(NEXT) | instid1(VALU_DEP_2)
	v_add_f64 v[1:2], v[180:181], -v[1:2]
	v_add_f64 v[3:4], v[182:183], -v[3:4]
	scratch_store_b128 off, v[1:4], off offset:336
	v_cmpx_lt_u32_e32 20, v166
	s_cbranch_execz .LBB59_333
; %bb.332:
	scratch_load_b128 v[1:4], v220, off
	v_mov_b32_e32 v5, 0
	s_delay_alu instid0(VALU_DEP_1)
	v_mov_b32_e32 v6, v5
	v_mov_b32_e32 v7, v5
	;; [unrolled: 1-line block ×3, first 2 shown]
	scratch_store_b128 off, v[5:8], off offset:320
	s_waitcnt vmcnt(0)
	ds_store_b128 v226, v[1:4]
.LBB59_333:
	s_or_b32 exec_lo, exec_lo, s2
	s_waitcnt lgkmcnt(0)
	s_waitcnt_vscnt null, 0x0
	s_barrier
	buffer_gl0_inv
	s_clause 0x7
	scratch_load_b128 v[2:5], off, off offset:336
	scratch_load_b128 v[6:9], off, off offset:352
	;; [unrolled: 1-line block ×8, first 2 shown]
	v_mov_b32_e32 v1, 0
	s_mov_b32 s2, exec_lo
	ds_load_b128 v[38:41], v1 offset:1296
	s_clause 0x1
	scratch_load_b128 v[34:37], off, off offset:464
	scratch_load_b128 v[42:45], off, off offset:320
	ds_load_b128 v[180:183], v1 offset:1312
	scratch_load_b128 v[201:204], off, off offset:480
	ds_load_b128 v[230:233], v1 offset:1344
	s_waitcnt vmcnt(10) lgkmcnt(2)
	v_mul_f64 v[52:53], v[40:41], v[4:5]
	v_mul_f64 v[4:5], v[38:39], v[4:5]
	s_delay_alu instid0(VALU_DEP_2) | instskip(NEXT) | instid1(VALU_DEP_2)
	v_fma_f64 v[52:53], v[38:39], v[2:3], -v[52:53]
	v_fma_f64 v[56:57], v[40:41], v[2:3], v[4:5]
	ds_load_b128 v[2:5], v1 offset:1328
	s_waitcnt vmcnt(9) lgkmcnt(2)
	v_mul_f64 v[54:55], v[180:181], v[8:9]
	v_mul_f64 v[8:9], v[182:183], v[8:9]
	scratch_load_b128 v[38:41], off, off offset:496
	s_waitcnt vmcnt(9) lgkmcnt(0)
	v_mul_f64 v[58:59], v[2:3], v[12:13]
	v_mul_f64 v[12:13], v[4:5], v[12:13]
	v_add_f64 v[52:53], v[52:53], 0
	v_add_f64 v[56:57], v[56:57], 0
	v_fma_f64 v[54:55], v[182:183], v[6:7], v[54:55]
	v_fma_f64 v[60:61], v[180:181], v[6:7], -v[8:9]
	scratch_load_b128 v[6:9], off, off offset:512
	ds_load_b128 v[180:183], v1 offset:1376
	v_fma_f64 v[58:59], v[4:5], v[10:11], v[58:59]
	v_fma_f64 v[64:65], v[2:3], v[10:11], -v[12:13]
	ds_load_b128 v[2:5], v1 offset:1360
	s_waitcnt vmcnt(9)
	v_mul_f64 v[62:63], v[230:231], v[16:17]
	v_mul_f64 v[16:17], v[232:233], v[16:17]
	scratch_load_b128 v[10:13], off, off offset:528
	v_add_f64 v[54:55], v[56:57], v[54:55]
	v_add_f64 v[52:53], v[52:53], v[60:61]
	s_waitcnt vmcnt(9) lgkmcnt(0)
	v_mul_f64 v[56:57], v[2:3], v[20:21]
	v_mul_f64 v[20:21], v[4:5], v[20:21]
	v_fma_f64 v[60:61], v[232:233], v[14:15], v[62:63]
	v_fma_f64 v[62:63], v[230:231], v[14:15], -v[16:17]
	scratch_load_b128 v[14:17], off, off offset:544
	ds_load_b128 v[230:233], v1 offset:1408
	v_add_f64 v[54:55], v[54:55], v[58:59]
	v_add_f64 v[52:53], v[52:53], v[64:65]
	v_fma_f64 v[56:57], v[4:5], v[18:19], v[56:57]
	v_fma_f64 v[64:65], v[2:3], v[18:19], -v[20:21]
	ds_load_b128 v[2:5], v1 offset:1392
	s_waitcnt vmcnt(9)
	v_mul_f64 v[58:59], v[180:181], v[24:25]
	v_mul_f64 v[24:25], v[182:183], v[24:25]
	scratch_load_b128 v[18:21], off, off offset:560
	v_add_f64 v[54:55], v[54:55], v[60:61]
	v_add_f64 v[52:53], v[52:53], v[62:63]
	s_waitcnt vmcnt(9) lgkmcnt(0)
	v_mul_f64 v[60:61], v[2:3], v[28:29]
	v_mul_f64 v[28:29], v[4:5], v[28:29]
	v_fma_f64 v[58:59], v[182:183], v[22:23], v[58:59]
	v_fma_f64 v[62:63], v[180:181], v[22:23], -v[24:25]
	scratch_load_b128 v[22:25], off, off offset:576
	ds_load_b128 v[180:183], v1 offset:1440
	v_add_f64 v[54:55], v[54:55], v[56:57]
	v_add_f64 v[52:53], v[52:53], v[64:65]
	;; [unrolled: 18-line block ×3, first 2 shown]
	v_fma_f64 v[58:59], v[4:5], v[34:35], v[58:59]
	v_fma_f64 v[66:67], v[2:3], v[34:35], -v[36:37]
	ds_load_b128 v[2:5], v1 offset:1456
	s_waitcnt vmcnt(8)
	v_mul_f64 v[60:61], v[180:181], v[203:204]
	v_mul_f64 v[64:65], v[182:183], v[203:204]
	scratch_load_b128 v[34:37], off, off offset:624
	v_add_f64 v[54:55], v[54:55], v[56:57]
	v_add_f64 v[52:53], v[52:53], v[62:63]
	v_fma_f64 v[60:61], v[182:183], v[201:202], v[60:61]
	v_fma_f64 v[62:63], v[180:181], v[201:202], -v[64:65]
	scratch_load_b128 v[180:183], off, off offset:640
	ds_load_b128 v[201:204], v1 offset:1504
	s_waitcnt vmcnt(9) lgkmcnt(1)
	v_mul_f64 v[56:57], v[2:3], v[40:41]
	v_mul_f64 v[40:41], v[4:5], v[40:41]
	v_add_f64 v[54:55], v[54:55], v[58:59]
	v_add_f64 v[52:53], v[52:53], v[66:67]
	s_delay_alu instid0(VALU_DEP_4) | instskip(NEXT) | instid1(VALU_DEP_4)
	v_fma_f64 v[56:57], v[4:5], v[38:39], v[56:57]
	v_fma_f64 v[64:65], v[2:3], v[38:39], -v[40:41]
	ds_load_b128 v[2:5], v1 offset:1488
	s_waitcnt vmcnt(8)
	v_mul_f64 v[58:59], v[230:231], v[8:9]
	v_mul_f64 v[8:9], v[232:233], v[8:9]
	scratch_load_b128 v[38:41], off, off offset:656
	v_add_f64 v[54:55], v[54:55], v[60:61]
	v_add_f64 v[52:53], v[52:53], v[62:63]
	s_waitcnt vmcnt(8) lgkmcnt(0)
	v_mul_f64 v[60:61], v[2:3], v[12:13]
	v_mul_f64 v[12:13], v[4:5], v[12:13]
	v_fma_f64 v[58:59], v[232:233], v[6:7], v[58:59]
	v_fma_f64 v[62:63], v[230:231], v[6:7], -v[8:9]
	scratch_load_b128 v[6:9], off, off offset:672
	ds_load_b128 v[230:233], v1 offset:1536
	v_add_f64 v[54:55], v[54:55], v[56:57]
	v_add_f64 v[52:53], v[52:53], v[64:65]
	v_fma_f64 v[60:61], v[4:5], v[10:11], v[60:61]
	v_fma_f64 v[64:65], v[2:3], v[10:11], -v[12:13]
	ds_load_b128 v[2:5], v1 offset:1520
	s_waitcnt vmcnt(8)
	v_mul_f64 v[56:57], v[201:202], v[16:17]
	v_mul_f64 v[16:17], v[203:204], v[16:17]
	scratch_load_b128 v[10:13], off, off offset:688
	v_add_f64 v[54:55], v[54:55], v[58:59]
	v_add_f64 v[52:53], v[52:53], v[62:63]
	s_waitcnt vmcnt(8) lgkmcnt(0)
	v_mul_f64 v[58:59], v[2:3], v[20:21]
	v_mul_f64 v[20:21], v[4:5], v[20:21]
	v_fma_f64 v[56:57], v[203:204], v[14:15], v[56:57]
	v_fma_f64 v[62:63], v[201:202], v[14:15], -v[16:17]
	scratch_load_b128 v[14:17], off, off offset:704
	ds_load_b128 v[201:204], v1 offset:1568
	v_add_f64 v[54:55], v[54:55], v[60:61]
	v_add_f64 v[52:53], v[52:53], v[64:65]
	;; [unrolled: 18-line block ×3, first 2 shown]
	v_fma_f64 v[56:57], v[4:5], v[26:27], v[56:57]
	v_fma_f64 v[64:65], v[2:3], v[26:27], -v[28:29]
	ds_load_b128 v[2:5], v1 offset:1584
	s_waitcnt vmcnt(8)
	v_mul_f64 v[58:59], v[201:202], v[32:33]
	v_mul_f64 v[32:33], v[203:204], v[32:33]
	scratch_load_b128 v[26:29], off, off offset:752
	v_add_f64 v[54:55], v[54:55], v[60:61]
	v_add_f64 v[52:53], v[52:53], v[62:63]
	s_waitcnt vmcnt(8) lgkmcnt(0)
	v_mul_f64 v[60:61], v[2:3], v[36:37]
	v_mul_f64 v[36:37], v[4:5], v[36:37]
	v_fma_f64 v[58:59], v[203:204], v[30:31], v[58:59]
	v_fma_f64 v[62:63], v[201:202], v[30:31], -v[32:33]
	s_clause 0x1
	scratch_load_b128 v[30:33], off, off offset:768
	scratch_load_b128 v[201:204], off, off offset:800
	v_add_f64 v[54:55], v[54:55], v[56:57]
	v_add_f64 v[52:53], v[52:53], v[64:65]
	v_fma_f64 v[60:61], v[4:5], v[34:35], v[60:61]
	v_fma_f64 v[66:67], v[2:3], v[34:35], -v[36:37]
	ds_load_b128 v[2:5], v1 offset:1616
	s_waitcnt vmcnt(9)
	v_mul_f64 v[56:57], v[230:231], v[182:183]
	v_mul_f64 v[64:65], v[232:233], v[182:183]
	scratch_load_b128 v[34:37], off, off offset:784
	ds_load_b128 v[182:185], v1 offset:1632
	v_add_f64 v[54:55], v[54:55], v[58:59]
	v_add_f64 v[52:53], v[52:53], v[62:63]
	s_waitcnt vmcnt(9) lgkmcnt(1)
	v_mul_f64 v[58:59], v[2:3], v[40:41]
	v_mul_f64 v[40:41], v[4:5], v[40:41]
	v_fma_f64 v[56:57], v[232:233], v[180:181], v[56:57]
	v_fma_f64 v[62:63], v[230:231], v[180:181], -v[64:65]
	ds_load_b128 v[230:233], v1 offset:1664
	v_add_f64 v[54:55], v[54:55], v[60:61]
	v_add_f64 v[52:53], v[52:53], v[66:67]
	v_fma_f64 v[58:59], v[4:5], v[38:39], v[58:59]
	v_fma_f64 v[64:65], v[2:3], v[38:39], -v[40:41]
	ds_load_b128 v[2:5], v1 offset:1648
	s_waitcnt vmcnt(8) lgkmcnt(2)
	v_mul_f64 v[60:61], v[182:183], v[8:9]
	v_mul_f64 v[8:9], v[184:185], v[8:9]
	scratch_load_b128 v[38:41], off, off offset:816
	v_add_f64 v[54:55], v[54:55], v[56:57]
	v_add_f64 v[52:53], v[52:53], v[62:63]
	s_waitcnt vmcnt(8) lgkmcnt(0)
	v_mul_f64 v[56:57], v[2:3], v[12:13]
	v_mul_f64 v[12:13], v[4:5], v[12:13]
	v_fma_f64 v[60:61], v[184:185], v[6:7], v[60:61]
	v_fma_f64 v[62:63], v[182:183], v[6:7], -v[8:9]
	scratch_load_b128 v[6:9], off, off offset:832
	ds_load_b128 v[180:183], v1 offset:1696
	v_add_f64 v[54:55], v[54:55], v[58:59]
	v_add_f64 v[52:53], v[52:53], v[64:65]
	v_fma_f64 v[56:57], v[4:5], v[10:11], v[56:57]
	v_fma_f64 v[64:65], v[2:3], v[10:11], -v[12:13]
	ds_load_b128 v[2:5], v1 offset:1680
	s_waitcnt vmcnt(8)
	v_mul_f64 v[58:59], v[230:231], v[16:17]
	v_mul_f64 v[16:17], v[232:233], v[16:17]
	scratch_load_b128 v[10:13], off, off offset:848
	v_add_f64 v[54:55], v[54:55], v[60:61]
	v_add_f64 v[52:53], v[52:53], v[62:63]
	s_waitcnt vmcnt(8) lgkmcnt(0)
	v_mul_f64 v[60:61], v[2:3], v[20:21]
	v_mul_f64 v[20:21], v[4:5], v[20:21]
	v_fma_f64 v[58:59], v[232:233], v[14:15], v[58:59]
	v_fma_f64 v[62:63], v[230:231], v[14:15], -v[16:17]
	scratch_load_b128 v[14:17], off, off offset:864
	ds_load_b128 v[230:233], v1 offset:1728
	v_add_f64 v[54:55], v[54:55], v[56:57]
	v_add_f64 v[52:53], v[52:53], v[64:65]
	v_fma_f64 v[60:61], v[4:5], v[18:19], v[60:61]
	v_fma_f64 v[64:65], v[2:3], v[18:19], -v[20:21]
	ds_load_b128 v[2:5], v1 offset:1712
	s_waitcnt vmcnt(8)
	;; [unrolled: 18-line block ×3, first 2 shown]
	v_mul_f64 v[60:61], v[230:231], v[32:33]
	v_mul_f64 v[32:33], v[232:233], v[32:33]
	scratch_load_b128 v[26:29], off, off offset:912
	v_add_f64 v[54:55], v[54:55], v[56:57]
	v_add_f64 v[52:53], v[52:53], v[62:63]
	s_waitcnt vmcnt(7) lgkmcnt(0)
	v_mul_f64 v[56:57], v[2:3], v[36:37]
	v_mul_f64 v[36:37], v[4:5], v[36:37]
	v_fma_f64 v[60:61], v[232:233], v[30:31], v[60:61]
	v_fma_f64 v[62:63], v[230:231], v[30:31], -v[32:33]
	scratch_load_b128 v[30:33], off, off offset:928
	ds_load_b128 v[230:233], v1 offset:1792
	v_add_f64 v[54:55], v[54:55], v[58:59]
	v_add_f64 v[52:53], v[52:53], v[64:65]
	v_fma_f64 v[56:57], v[4:5], v[34:35], v[56:57]
	v_fma_f64 v[66:67], v[2:3], v[34:35], -v[36:37]
	scratch_load_b128 v[34:37], off, off offset:944
	ds_load_b128 v[2:5], v1 offset:1776
	v_mul_f64 v[58:59], v[180:181], v[203:204]
	v_mul_f64 v[64:65], v[182:183], v[203:204]
	v_add_f64 v[54:55], v[54:55], v[60:61]
	v_add_f64 v[52:53], v[52:53], v[62:63]
	s_waitcnt vmcnt(8) lgkmcnt(0)
	v_mul_f64 v[60:61], v[2:3], v[40:41]
	v_mul_f64 v[40:41], v[4:5], v[40:41]
	v_fma_f64 v[58:59], v[182:183], v[201:202], v[58:59]
	v_fma_f64 v[62:63], v[180:181], v[201:202], -v[64:65]
	v_add_f64 v[54:55], v[54:55], v[56:57]
	v_add_f64 v[52:53], v[52:53], v[66:67]
	s_waitcnt vmcnt(7)
	v_mul_f64 v[56:57], v[230:231], v[8:9]
	v_mul_f64 v[8:9], v[232:233], v[8:9]
	v_fma_f64 v[60:61], v[4:5], v[38:39], v[60:61]
	v_fma_f64 v[64:65], v[2:3], v[38:39], -v[40:41]
	ds_load_b128 v[2:5], v1 offset:1808
	ds_load_b128 v[38:41], v1 offset:1824
	v_add_f64 v[54:55], v[54:55], v[58:59]
	v_add_f64 v[52:53], v[52:53], v[62:63]
	s_waitcnt vmcnt(6) lgkmcnt(1)
	v_mul_f64 v[58:59], v[2:3], v[12:13]
	v_mul_f64 v[12:13], v[4:5], v[12:13]
	v_fma_f64 v[56:57], v[232:233], v[6:7], v[56:57]
	v_fma_f64 v[6:7], v[230:231], v[6:7], -v[8:9]
	v_add_f64 v[8:9], v[52:53], v[64:65]
	v_add_f64 v[52:53], v[54:55], v[60:61]
	s_waitcnt vmcnt(5) lgkmcnt(0)
	v_mul_f64 v[54:55], v[38:39], v[16:17]
	v_mul_f64 v[16:17], v[40:41], v[16:17]
	v_fma_f64 v[58:59], v[4:5], v[10:11], v[58:59]
	v_fma_f64 v[10:11], v[2:3], v[10:11], -v[12:13]
	v_add_f64 v[12:13], v[8:9], v[6:7]
	v_add_f64 v[52:53], v[52:53], v[56:57]
	ds_load_b128 v[2:5], v1 offset:1840
	ds_load_b128 v[6:9], v1 offset:1856
	v_fma_f64 v[40:41], v[40:41], v[14:15], v[54:55]
	v_fma_f64 v[14:15], v[38:39], v[14:15], -v[16:17]
	s_waitcnt vmcnt(4) lgkmcnt(1)
	v_mul_f64 v[56:57], v[2:3], v[20:21]
	v_mul_f64 v[20:21], v[4:5], v[20:21]
	s_waitcnt vmcnt(3) lgkmcnt(0)
	v_mul_f64 v[16:17], v[6:7], v[24:25]
	v_mul_f64 v[24:25], v[8:9], v[24:25]
	v_add_f64 v[10:11], v[12:13], v[10:11]
	v_add_f64 v[12:13], v[52:53], v[58:59]
	v_fma_f64 v[38:39], v[4:5], v[18:19], v[56:57]
	v_fma_f64 v[18:19], v[2:3], v[18:19], -v[20:21]
	v_fma_f64 v[8:9], v[8:9], v[22:23], v[16:17]
	v_fma_f64 v[6:7], v[6:7], v[22:23], -v[24:25]
	v_add_f64 v[14:15], v[10:11], v[14:15]
	v_add_f64 v[20:21], v[12:13], v[40:41]
	ds_load_b128 v[2:5], v1 offset:1872
	ds_load_b128 v[10:13], v1 offset:1888
	s_waitcnt vmcnt(2) lgkmcnt(1)
	v_mul_f64 v[40:41], v[2:3], v[28:29]
	v_mul_f64 v[28:29], v[4:5], v[28:29]
	v_add_f64 v[14:15], v[14:15], v[18:19]
	v_add_f64 v[16:17], v[20:21], v[38:39]
	s_waitcnt vmcnt(1) lgkmcnt(0)
	v_mul_f64 v[18:19], v[10:11], v[32:33]
	v_mul_f64 v[20:21], v[12:13], v[32:33]
	v_fma_f64 v[22:23], v[4:5], v[26:27], v[40:41]
	v_fma_f64 v[24:25], v[2:3], v[26:27], -v[28:29]
	ds_load_b128 v[2:5], v1 offset:1904
	v_add_f64 v[6:7], v[14:15], v[6:7]
	v_add_f64 v[8:9], v[16:17], v[8:9]
	v_fma_f64 v[12:13], v[12:13], v[30:31], v[18:19]
	v_fma_f64 v[10:11], v[10:11], v[30:31], -v[20:21]
	s_waitcnt vmcnt(0) lgkmcnt(0)
	v_mul_f64 v[14:15], v[2:3], v[36:37]
	v_mul_f64 v[16:17], v[4:5], v[36:37]
	v_add_f64 v[6:7], v[6:7], v[24:25]
	v_add_f64 v[8:9], v[8:9], v[22:23]
	s_delay_alu instid0(VALU_DEP_4) | instskip(NEXT) | instid1(VALU_DEP_4)
	v_fma_f64 v[4:5], v[4:5], v[34:35], v[14:15]
	v_fma_f64 v[2:3], v[2:3], v[34:35], -v[16:17]
	s_delay_alu instid0(VALU_DEP_4) | instskip(NEXT) | instid1(VALU_DEP_4)
	v_add_f64 v[6:7], v[6:7], v[10:11]
	v_add_f64 v[8:9], v[8:9], v[12:13]
	s_delay_alu instid0(VALU_DEP_2) | instskip(NEXT) | instid1(VALU_DEP_2)
	v_add_f64 v[2:3], v[6:7], v[2:3]
	v_add_f64 v[4:5], v[8:9], v[4:5]
	s_delay_alu instid0(VALU_DEP_2) | instskip(NEXT) | instid1(VALU_DEP_2)
	v_add_f64 v[2:3], v[42:43], -v[2:3]
	v_add_f64 v[4:5], v[44:45], -v[4:5]
	scratch_store_b128 off, v[2:5], off offset:320
	v_cmpx_lt_u32_e32 19, v166
	s_cbranch_execz .LBB59_335
; %bb.334:
	scratch_load_b128 v[5:8], v238, off
	v_mov_b32_e32 v2, v1
	v_mov_b32_e32 v3, v1
	;; [unrolled: 1-line block ×3, first 2 shown]
	scratch_store_b128 off, v[1:4], off offset:304
	s_waitcnt vmcnt(0)
	ds_store_b128 v226, v[5:8]
.LBB59_335:
	s_or_b32 exec_lo, exec_lo, s2
	s_waitcnt lgkmcnt(0)
	s_waitcnt_vscnt null, 0x0
	s_barrier
	buffer_gl0_inv
	s_clause 0x8
	scratch_load_b128 v[2:5], off, off offset:320
	scratch_load_b128 v[6:9], off, off offset:336
	;; [unrolled: 1-line block ×9, first 2 shown]
	ds_load_b128 v[42:45], v1 offset:1280
	ds_load_b128 v[38:41], v1 offset:1296
	s_clause 0x1
	scratch_load_b128 v[180:183], off, off offset:304
	scratch_load_b128 v[201:204], off, off offset:464
	s_mov_b32 s2, exec_lo
	ds_load_b128 v[230:233], v1 offset:1328
	s_waitcnt vmcnt(10) lgkmcnt(2)
	v_mul_f64 v[52:53], v[44:45], v[4:5]
	v_mul_f64 v[4:5], v[42:43], v[4:5]
	s_waitcnt vmcnt(9) lgkmcnt(1)
	v_mul_f64 v[54:55], v[38:39], v[8:9]
	v_mul_f64 v[8:9], v[40:41], v[8:9]
	s_delay_alu instid0(VALU_DEP_4) | instskip(NEXT) | instid1(VALU_DEP_4)
	v_fma_f64 v[52:53], v[42:43], v[2:3], -v[52:53]
	v_fma_f64 v[56:57], v[44:45], v[2:3], v[4:5]
	ds_load_b128 v[2:5], v1 offset:1312
	scratch_load_b128 v[42:45], off, off offset:480
	v_fma_f64 v[40:41], v[40:41], v[6:7], v[54:55]
	v_fma_f64 v[38:39], v[38:39], v[6:7], -v[8:9]
	scratch_load_b128 v[6:9], off, off offset:496
	s_waitcnt vmcnt(10) lgkmcnt(0)
	v_mul_f64 v[58:59], v[2:3], v[12:13]
	v_mul_f64 v[12:13], v[4:5], v[12:13]
	v_add_f64 v[52:53], v[52:53], 0
	v_add_f64 v[54:55], v[56:57], 0
	s_waitcnt vmcnt(9)
	v_mul_f64 v[56:57], v[230:231], v[16:17]
	v_mul_f64 v[16:17], v[232:233], v[16:17]
	v_fma_f64 v[58:59], v[4:5], v[10:11], v[58:59]
	v_fma_f64 v[60:61], v[2:3], v[10:11], -v[12:13]
	ds_load_b128 v[2:5], v1 offset:1344
	scratch_load_b128 v[10:13], off, off offset:512
	v_add_f64 v[52:53], v[52:53], v[38:39]
	v_add_f64 v[54:55], v[54:55], v[40:41]
	ds_load_b128 v[38:41], v1 offset:1360
	v_fma_f64 v[56:57], v[232:233], v[14:15], v[56:57]
	v_fma_f64 v[64:65], v[230:231], v[14:15], -v[16:17]
	scratch_load_b128 v[14:17], off, off offset:528
	s_waitcnt vmcnt(10) lgkmcnt(1)
	v_mul_f64 v[62:63], v[2:3], v[20:21]
	v_mul_f64 v[20:21], v[4:5], v[20:21]
	ds_load_b128 v[230:233], v1 offset:1392
	v_add_f64 v[52:53], v[52:53], v[60:61]
	v_add_f64 v[54:55], v[54:55], v[58:59]
	s_waitcnt vmcnt(9) lgkmcnt(1)
	v_mul_f64 v[58:59], v[38:39], v[24:25]
	v_mul_f64 v[24:25], v[40:41], v[24:25]
	v_fma_f64 v[60:61], v[4:5], v[18:19], v[62:63]
	v_fma_f64 v[62:63], v[2:3], v[18:19], -v[20:21]
	ds_load_b128 v[2:5], v1 offset:1376
	scratch_load_b128 v[18:21], off, off offset:544
	v_add_f64 v[52:53], v[52:53], v[64:65]
	v_add_f64 v[54:55], v[54:55], v[56:57]
	s_waitcnt vmcnt(9) lgkmcnt(0)
	v_mul_f64 v[56:57], v[2:3], v[28:29]
	v_mul_f64 v[28:29], v[4:5], v[28:29]
	v_fma_f64 v[40:41], v[40:41], v[22:23], v[58:59]
	v_fma_f64 v[38:39], v[38:39], v[22:23], -v[24:25]
	scratch_load_b128 v[22:25], off, off offset:560
	s_waitcnt vmcnt(9)
	v_mul_f64 v[58:59], v[230:231], v[32:33]
	v_mul_f64 v[32:33], v[232:233], v[32:33]
	v_add_f64 v[52:53], v[52:53], v[62:63]
	v_add_f64 v[54:55], v[54:55], v[60:61]
	v_fma_f64 v[56:57], v[4:5], v[26:27], v[56:57]
	v_fma_f64 v[60:61], v[2:3], v[26:27], -v[28:29]
	ds_load_b128 v[2:5], v1 offset:1408
	scratch_load_b128 v[26:29], off, off offset:576
	v_fma_f64 v[58:59], v[232:233], v[30:31], v[58:59]
	v_fma_f64 v[64:65], v[230:231], v[30:31], -v[32:33]
	scratch_load_b128 v[30:33], off, off offset:592
	ds_load_b128 v[230:233], v1 offset:1456
	v_add_f64 v[52:53], v[52:53], v[38:39]
	v_add_f64 v[54:55], v[54:55], v[40:41]
	ds_load_b128 v[38:41], v1 offset:1424
	s_waitcnt vmcnt(10) lgkmcnt(2)
	v_mul_f64 v[62:63], v[2:3], v[36:37]
	v_mul_f64 v[36:37], v[4:5], v[36:37]
	v_add_f64 v[52:53], v[52:53], v[60:61]
	v_add_f64 v[54:55], v[54:55], v[56:57]
	s_waitcnt vmcnt(8) lgkmcnt(0)
	v_mul_f64 v[56:57], v[38:39], v[203:204]
	v_mul_f64 v[60:61], v[40:41], v[203:204]
	v_fma_f64 v[62:63], v[4:5], v[34:35], v[62:63]
	v_fma_f64 v[66:67], v[2:3], v[34:35], -v[36:37]
	ds_load_b128 v[2:5], v1 offset:1440
	scratch_load_b128 v[34:37], off, off offset:608
	v_add_f64 v[52:53], v[52:53], v[64:65]
	v_add_f64 v[54:55], v[54:55], v[58:59]
	v_fma_f64 v[56:57], v[40:41], v[201:202], v[56:57]
	v_fma_f64 v[60:61], v[38:39], v[201:202], -v[60:61]
	scratch_load_b128 v[38:41], off, off offset:624
	ds_load_b128 v[201:204], v1 offset:1488
	s_waitcnt vmcnt(9) lgkmcnt(1)
	v_mul_f64 v[58:59], v[2:3], v[44:45]
	v_mul_f64 v[44:45], v[4:5], v[44:45]
	v_add_f64 v[52:53], v[52:53], v[66:67]
	v_add_f64 v[54:55], v[54:55], v[62:63]
	s_waitcnt vmcnt(8)
	v_mul_f64 v[62:63], v[230:231], v[8:9]
	v_mul_f64 v[8:9], v[232:233], v[8:9]
	v_fma_f64 v[58:59], v[4:5], v[42:43], v[58:59]
	v_fma_f64 v[64:65], v[2:3], v[42:43], -v[44:45]
	ds_load_b128 v[2:5], v1 offset:1472
	scratch_load_b128 v[42:45], off, off offset:640
	v_add_f64 v[52:53], v[52:53], v[60:61]
	v_add_f64 v[54:55], v[54:55], v[56:57]
	v_fma_f64 v[60:61], v[232:233], v[6:7], v[62:63]
	s_waitcnt vmcnt(8) lgkmcnt(0)
	v_mul_f64 v[56:57], v[2:3], v[12:13]
	v_mul_f64 v[12:13], v[4:5], v[12:13]
	v_fma_f64 v[62:63], v[230:231], v[6:7], -v[8:9]
	scratch_load_b128 v[6:9], off, off offset:656
	ds_load_b128 v[230:233], v1 offset:1520
	v_add_f64 v[52:53], v[52:53], v[64:65]
	v_add_f64 v[54:55], v[54:55], v[58:59]
	s_waitcnt vmcnt(8)
	v_mul_f64 v[58:59], v[201:202], v[16:17]
	v_mul_f64 v[16:17], v[203:204], v[16:17]
	v_fma_f64 v[56:57], v[4:5], v[10:11], v[56:57]
	v_fma_f64 v[64:65], v[2:3], v[10:11], -v[12:13]
	ds_load_b128 v[2:5], v1 offset:1504
	scratch_load_b128 v[10:13], off, off offset:672
	v_add_f64 v[52:53], v[52:53], v[62:63]
	v_add_f64 v[54:55], v[54:55], v[60:61]
	s_waitcnt vmcnt(8) lgkmcnt(0)
	v_mul_f64 v[60:61], v[2:3], v[20:21]
	v_mul_f64 v[20:21], v[4:5], v[20:21]
	v_fma_f64 v[58:59], v[203:204], v[14:15], v[58:59]
	v_fma_f64 v[62:63], v[201:202], v[14:15], -v[16:17]
	scratch_load_b128 v[14:17], off, off offset:688
	ds_load_b128 v[201:204], v1 offset:1552
	v_add_f64 v[52:53], v[52:53], v[64:65]
	v_add_f64 v[54:55], v[54:55], v[56:57]
	s_waitcnt vmcnt(8)
	v_mul_f64 v[56:57], v[230:231], v[24:25]
	v_mul_f64 v[24:25], v[232:233], v[24:25]
	v_fma_f64 v[60:61], v[4:5], v[18:19], v[60:61]
	v_fma_f64 v[64:65], v[2:3], v[18:19], -v[20:21]
	ds_load_b128 v[2:5], v1 offset:1536
	scratch_load_b128 v[18:21], off, off offset:704
	v_add_f64 v[52:53], v[52:53], v[62:63]
	v_add_f64 v[54:55], v[54:55], v[58:59]
	s_waitcnt vmcnt(8) lgkmcnt(0)
	v_mul_f64 v[58:59], v[2:3], v[28:29]
	v_mul_f64 v[28:29], v[4:5], v[28:29]
	v_fma_f64 v[56:57], v[232:233], v[22:23], v[56:57]
	;; [unrolled: 18-line block ×9, first 2 shown]
	v_fma_f64 v[62:63], v[201:202], v[38:39], -v[40:41]
	scratch_load_b128 v[38:41], off, off offset:944
	v_add_f64 v[52:53], v[52:53], v[64:65]
	v_add_f64 v[54:55], v[54:55], v[58:59]
	s_waitcnt vmcnt(8)
	v_mul_f64 v[58:59], v[230:231], v[8:9]
	v_mul_f64 v[8:9], v[232:233], v[8:9]
	v_fma_f64 v[56:57], v[4:5], v[42:43], v[56:57]
	v_fma_f64 v[64:65], v[2:3], v[42:43], -v[44:45]
	ds_load_b128 v[2:5], v1 offset:1792
	ds_load_b128 v[42:45], v1 offset:1808
	v_add_f64 v[52:53], v[52:53], v[62:63]
	v_add_f64 v[54:55], v[54:55], v[60:61]
	s_waitcnt vmcnt(7) lgkmcnt(1)
	v_mul_f64 v[60:61], v[2:3], v[12:13]
	v_mul_f64 v[12:13], v[4:5], v[12:13]
	v_fma_f64 v[58:59], v[232:233], v[6:7], v[58:59]
	v_fma_f64 v[6:7], v[230:231], v[6:7], -v[8:9]
	v_add_f64 v[8:9], v[52:53], v[64:65]
	v_add_f64 v[52:53], v[54:55], v[56:57]
	s_waitcnt vmcnt(6) lgkmcnt(0)
	v_mul_f64 v[54:55], v[42:43], v[16:17]
	v_mul_f64 v[16:17], v[44:45], v[16:17]
	v_fma_f64 v[56:57], v[4:5], v[10:11], v[60:61]
	v_fma_f64 v[10:11], v[2:3], v[10:11], -v[12:13]
	v_add_f64 v[12:13], v[8:9], v[6:7]
	v_add_f64 v[52:53], v[52:53], v[58:59]
	ds_load_b128 v[2:5], v1 offset:1824
	ds_load_b128 v[6:9], v1 offset:1840
	v_fma_f64 v[44:45], v[44:45], v[14:15], v[54:55]
	v_fma_f64 v[14:15], v[42:43], v[14:15], -v[16:17]
	s_waitcnt vmcnt(5) lgkmcnt(1)
	v_mul_f64 v[58:59], v[2:3], v[20:21]
	v_mul_f64 v[20:21], v[4:5], v[20:21]
	s_waitcnt vmcnt(4) lgkmcnt(0)
	v_mul_f64 v[16:17], v[6:7], v[24:25]
	v_mul_f64 v[24:25], v[8:9], v[24:25]
	v_add_f64 v[10:11], v[12:13], v[10:11]
	v_add_f64 v[12:13], v[52:53], v[56:57]
	v_fma_f64 v[42:43], v[4:5], v[18:19], v[58:59]
	v_fma_f64 v[18:19], v[2:3], v[18:19], -v[20:21]
	v_fma_f64 v[8:9], v[8:9], v[22:23], v[16:17]
	v_fma_f64 v[6:7], v[6:7], v[22:23], -v[24:25]
	v_add_f64 v[14:15], v[10:11], v[14:15]
	v_add_f64 v[20:21], v[12:13], v[44:45]
	ds_load_b128 v[2:5], v1 offset:1856
	ds_load_b128 v[10:13], v1 offset:1872
	s_waitcnt vmcnt(3) lgkmcnt(1)
	v_mul_f64 v[44:45], v[2:3], v[28:29]
	v_mul_f64 v[28:29], v[4:5], v[28:29]
	v_add_f64 v[14:15], v[14:15], v[18:19]
	v_add_f64 v[16:17], v[20:21], v[42:43]
	s_waitcnt vmcnt(2) lgkmcnt(0)
	v_mul_f64 v[18:19], v[10:11], v[32:33]
	v_mul_f64 v[20:21], v[12:13], v[32:33]
	v_fma_f64 v[22:23], v[4:5], v[26:27], v[44:45]
	v_fma_f64 v[24:25], v[2:3], v[26:27], -v[28:29]
	v_add_f64 v[14:15], v[14:15], v[6:7]
	v_add_f64 v[16:17], v[16:17], v[8:9]
	ds_load_b128 v[2:5], v1 offset:1888
	ds_load_b128 v[6:9], v1 offset:1904
	v_fma_f64 v[12:13], v[12:13], v[30:31], v[18:19]
	v_fma_f64 v[10:11], v[10:11], v[30:31], -v[20:21]
	s_waitcnt vmcnt(1) lgkmcnt(1)
	v_mul_f64 v[26:27], v[2:3], v[36:37]
	v_mul_f64 v[28:29], v[4:5], v[36:37]
	s_waitcnt vmcnt(0) lgkmcnt(0)
	v_mul_f64 v[18:19], v[6:7], v[40:41]
	v_mul_f64 v[20:21], v[8:9], v[40:41]
	v_add_f64 v[14:15], v[14:15], v[24:25]
	v_add_f64 v[16:17], v[16:17], v[22:23]
	v_fma_f64 v[4:5], v[4:5], v[34:35], v[26:27]
	v_fma_f64 v[1:2], v[2:3], v[34:35], -v[28:29]
	v_fma_f64 v[8:9], v[8:9], v[38:39], v[18:19]
	v_fma_f64 v[6:7], v[6:7], v[38:39], -v[20:21]
	v_add_f64 v[10:11], v[14:15], v[10:11]
	v_add_f64 v[12:13], v[16:17], v[12:13]
	s_delay_alu instid0(VALU_DEP_2) | instskip(NEXT) | instid1(VALU_DEP_2)
	v_add_f64 v[1:2], v[10:11], v[1:2]
	v_add_f64 v[3:4], v[12:13], v[4:5]
	s_delay_alu instid0(VALU_DEP_2) | instskip(NEXT) | instid1(VALU_DEP_2)
	;; [unrolled: 3-line block ×3, first 2 shown]
	v_add_f64 v[1:2], v[180:181], -v[1:2]
	v_add_f64 v[3:4], v[182:183], -v[3:4]
	scratch_store_b128 off, v[1:4], off offset:304
	v_cmpx_lt_u32_e32 18, v166
	s_cbranch_execz .LBB59_337
; %bb.336:
	scratch_load_b128 v[1:4], v239, off
	v_mov_b32_e32 v5, 0
	s_delay_alu instid0(VALU_DEP_1)
	v_mov_b32_e32 v6, v5
	v_mov_b32_e32 v7, v5
	;; [unrolled: 1-line block ×3, first 2 shown]
	scratch_store_b128 off, v[5:8], off offset:288
	s_waitcnt vmcnt(0)
	ds_store_b128 v226, v[1:4]
.LBB59_337:
	s_or_b32 exec_lo, exec_lo, s2
	s_waitcnt lgkmcnt(0)
	s_waitcnt_vscnt null, 0x0
	s_barrier
	buffer_gl0_inv
	s_clause 0x7
	scratch_load_b128 v[2:5], off, off offset:304
	scratch_load_b128 v[6:9], off, off offset:320
	;; [unrolled: 1-line block ×8, first 2 shown]
	v_mov_b32_e32 v1, 0
	s_mov_b32 s2, exec_lo
	ds_load_b128 v[38:41], v1 offset:1264
	s_clause 0x1
	scratch_load_b128 v[34:37], off, off offset:432
	scratch_load_b128 v[42:45], off, off offset:288
	ds_load_b128 v[180:183], v1 offset:1280
	scratch_load_b128 v[201:204], off, off offset:448
	ds_load_b128 v[230:233], v1 offset:1312
	s_waitcnt vmcnt(10) lgkmcnt(2)
	v_mul_f64 v[52:53], v[40:41], v[4:5]
	v_mul_f64 v[4:5], v[38:39], v[4:5]
	s_delay_alu instid0(VALU_DEP_2) | instskip(NEXT) | instid1(VALU_DEP_2)
	v_fma_f64 v[52:53], v[38:39], v[2:3], -v[52:53]
	v_fma_f64 v[56:57], v[40:41], v[2:3], v[4:5]
	ds_load_b128 v[2:5], v1 offset:1296
	s_waitcnt vmcnt(9) lgkmcnt(2)
	v_mul_f64 v[54:55], v[180:181], v[8:9]
	v_mul_f64 v[8:9], v[182:183], v[8:9]
	scratch_load_b128 v[38:41], off, off offset:464
	s_waitcnt vmcnt(9) lgkmcnt(0)
	v_mul_f64 v[58:59], v[2:3], v[12:13]
	v_mul_f64 v[12:13], v[4:5], v[12:13]
	v_add_f64 v[52:53], v[52:53], 0
	v_add_f64 v[56:57], v[56:57], 0
	v_fma_f64 v[54:55], v[182:183], v[6:7], v[54:55]
	v_fma_f64 v[60:61], v[180:181], v[6:7], -v[8:9]
	scratch_load_b128 v[6:9], off, off offset:480
	ds_load_b128 v[180:183], v1 offset:1344
	v_fma_f64 v[58:59], v[4:5], v[10:11], v[58:59]
	v_fma_f64 v[64:65], v[2:3], v[10:11], -v[12:13]
	ds_load_b128 v[2:5], v1 offset:1328
	s_waitcnt vmcnt(9)
	v_mul_f64 v[62:63], v[230:231], v[16:17]
	v_mul_f64 v[16:17], v[232:233], v[16:17]
	scratch_load_b128 v[10:13], off, off offset:496
	v_add_f64 v[54:55], v[56:57], v[54:55]
	v_add_f64 v[52:53], v[52:53], v[60:61]
	s_waitcnt vmcnt(9) lgkmcnt(0)
	v_mul_f64 v[56:57], v[2:3], v[20:21]
	v_mul_f64 v[20:21], v[4:5], v[20:21]
	v_fma_f64 v[60:61], v[232:233], v[14:15], v[62:63]
	v_fma_f64 v[62:63], v[230:231], v[14:15], -v[16:17]
	scratch_load_b128 v[14:17], off, off offset:512
	ds_load_b128 v[230:233], v1 offset:1376
	v_add_f64 v[54:55], v[54:55], v[58:59]
	v_add_f64 v[52:53], v[52:53], v[64:65]
	v_fma_f64 v[56:57], v[4:5], v[18:19], v[56:57]
	v_fma_f64 v[64:65], v[2:3], v[18:19], -v[20:21]
	ds_load_b128 v[2:5], v1 offset:1360
	s_waitcnt vmcnt(9)
	v_mul_f64 v[58:59], v[180:181], v[24:25]
	v_mul_f64 v[24:25], v[182:183], v[24:25]
	scratch_load_b128 v[18:21], off, off offset:528
	v_add_f64 v[54:55], v[54:55], v[60:61]
	v_add_f64 v[52:53], v[52:53], v[62:63]
	s_waitcnt vmcnt(9) lgkmcnt(0)
	v_mul_f64 v[60:61], v[2:3], v[28:29]
	v_mul_f64 v[28:29], v[4:5], v[28:29]
	v_fma_f64 v[58:59], v[182:183], v[22:23], v[58:59]
	v_fma_f64 v[62:63], v[180:181], v[22:23], -v[24:25]
	scratch_load_b128 v[22:25], off, off offset:544
	ds_load_b128 v[180:183], v1 offset:1408
	v_add_f64 v[54:55], v[54:55], v[56:57]
	v_add_f64 v[52:53], v[52:53], v[64:65]
	;; [unrolled: 18-line block ×3, first 2 shown]
	v_fma_f64 v[58:59], v[4:5], v[34:35], v[58:59]
	v_fma_f64 v[66:67], v[2:3], v[34:35], -v[36:37]
	ds_load_b128 v[2:5], v1 offset:1424
	s_waitcnt vmcnt(8)
	v_mul_f64 v[60:61], v[180:181], v[203:204]
	v_mul_f64 v[64:65], v[182:183], v[203:204]
	scratch_load_b128 v[34:37], off, off offset:592
	v_add_f64 v[54:55], v[54:55], v[56:57]
	v_add_f64 v[52:53], v[52:53], v[62:63]
	v_fma_f64 v[60:61], v[182:183], v[201:202], v[60:61]
	v_fma_f64 v[62:63], v[180:181], v[201:202], -v[64:65]
	scratch_load_b128 v[180:183], off, off offset:608
	ds_load_b128 v[201:204], v1 offset:1472
	s_waitcnt vmcnt(9) lgkmcnt(1)
	v_mul_f64 v[56:57], v[2:3], v[40:41]
	v_mul_f64 v[40:41], v[4:5], v[40:41]
	v_add_f64 v[54:55], v[54:55], v[58:59]
	v_add_f64 v[52:53], v[52:53], v[66:67]
	s_delay_alu instid0(VALU_DEP_4) | instskip(NEXT) | instid1(VALU_DEP_4)
	v_fma_f64 v[56:57], v[4:5], v[38:39], v[56:57]
	v_fma_f64 v[64:65], v[2:3], v[38:39], -v[40:41]
	ds_load_b128 v[2:5], v1 offset:1456
	s_waitcnt vmcnt(8)
	v_mul_f64 v[58:59], v[230:231], v[8:9]
	v_mul_f64 v[8:9], v[232:233], v[8:9]
	scratch_load_b128 v[38:41], off, off offset:624
	v_add_f64 v[54:55], v[54:55], v[60:61]
	v_add_f64 v[52:53], v[52:53], v[62:63]
	s_waitcnt vmcnt(8) lgkmcnt(0)
	v_mul_f64 v[60:61], v[2:3], v[12:13]
	v_mul_f64 v[12:13], v[4:5], v[12:13]
	v_fma_f64 v[58:59], v[232:233], v[6:7], v[58:59]
	v_fma_f64 v[62:63], v[230:231], v[6:7], -v[8:9]
	scratch_load_b128 v[6:9], off, off offset:640
	ds_load_b128 v[230:233], v1 offset:1504
	v_add_f64 v[54:55], v[54:55], v[56:57]
	v_add_f64 v[52:53], v[52:53], v[64:65]
	v_fma_f64 v[60:61], v[4:5], v[10:11], v[60:61]
	v_fma_f64 v[64:65], v[2:3], v[10:11], -v[12:13]
	ds_load_b128 v[2:5], v1 offset:1488
	s_waitcnt vmcnt(8)
	v_mul_f64 v[56:57], v[201:202], v[16:17]
	v_mul_f64 v[16:17], v[203:204], v[16:17]
	scratch_load_b128 v[10:13], off, off offset:656
	v_add_f64 v[54:55], v[54:55], v[58:59]
	v_add_f64 v[52:53], v[52:53], v[62:63]
	s_waitcnt vmcnt(8) lgkmcnt(0)
	v_mul_f64 v[58:59], v[2:3], v[20:21]
	v_mul_f64 v[20:21], v[4:5], v[20:21]
	v_fma_f64 v[56:57], v[203:204], v[14:15], v[56:57]
	v_fma_f64 v[62:63], v[201:202], v[14:15], -v[16:17]
	scratch_load_b128 v[14:17], off, off offset:672
	ds_load_b128 v[201:204], v1 offset:1536
	v_add_f64 v[54:55], v[54:55], v[60:61]
	v_add_f64 v[52:53], v[52:53], v[64:65]
	v_fma_f64 v[58:59], v[4:5], v[18:19], v[58:59]
	v_fma_f64 v[64:65], v[2:3], v[18:19], -v[20:21]
	ds_load_b128 v[2:5], v1 offset:1520
	s_waitcnt vmcnt(8)
	v_mul_f64 v[60:61], v[230:231], v[24:25]
	v_mul_f64 v[24:25], v[232:233], v[24:25]
	scratch_load_b128 v[18:21], off, off offset:688
	v_add_f64 v[54:55], v[54:55], v[56:57]
	v_add_f64 v[52:53], v[52:53], v[62:63]
	s_waitcnt vmcnt(8) lgkmcnt(0)
	v_mul_f64 v[56:57], v[2:3], v[28:29]
	v_mul_f64 v[28:29], v[4:5], v[28:29]
	v_fma_f64 v[60:61], v[232:233], v[22:23], v[60:61]
	v_fma_f64 v[62:63], v[230:231], v[22:23], -v[24:25]
	scratch_load_b128 v[22:25], off, off offset:704
	ds_load_b128 v[230:233], v1 offset:1568
	v_add_f64 v[54:55], v[54:55], v[58:59]
	v_add_f64 v[52:53], v[52:53], v[64:65]
	v_fma_f64 v[56:57], v[4:5], v[26:27], v[56:57]
	v_fma_f64 v[64:65], v[2:3], v[26:27], -v[28:29]
	ds_load_b128 v[2:5], v1 offset:1552
	s_waitcnt vmcnt(8)
	v_mul_f64 v[58:59], v[201:202], v[32:33]
	v_mul_f64 v[32:33], v[203:204], v[32:33]
	scratch_load_b128 v[26:29], off, off offset:720
	v_add_f64 v[54:55], v[54:55], v[60:61]
	v_add_f64 v[52:53], v[52:53], v[62:63]
	s_waitcnt vmcnt(8) lgkmcnt(0)
	v_mul_f64 v[60:61], v[2:3], v[36:37]
	v_mul_f64 v[36:37], v[4:5], v[36:37]
	v_fma_f64 v[58:59], v[203:204], v[30:31], v[58:59]
	v_fma_f64 v[62:63], v[201:202], v[30:31], -v[32:33]
	s_clause 0x1
	scratch_load_b128 v[30:33], off, off offset:736
	scratch_load_b128 v[201:204], off, off offset:768
	v_add_f64 v[54:55], v[54:55], v[56:57]
	v_add_f64 v[52:53], v[52:53], v[64:65]
	v_fma_f64 v[60:61], v[4:5], v[34:35], v[60:61]
	v_fma_f64 v[66:67], v[2:3], v[34:35], -v[36:37]
	ds_load_b128 v[2:5], v1 offset:1584
	s_waitcnt vmcnt(9)
	v_mul_f64 v[56:57], v[230:231], v[182:183]
	v_mul_f64 v[64:65], v[232:233], v[182:183]
	scratch_load_b128 v[34:37], off, off offset:752
	ds_load_b128 v[182:185], v1 offset:1600
	v_add_f64 v[54:55], v[54:55], v[58:59]
	v_add_f64 v[52:53], v[52:53], v[62:63]
	s_waitcnt vmcnt(9) lgkmcnt(1)
	v_mul_f64 v[58:59], v[2:3], v[40:41]
	v_mul_f64 v[40:41], v[4:5], v[40:41]
	v_fma_f64 v[56:57], v[232:233], v[180:181], v[56:57]
	v_fma_f64 v[62:63], v[230:231], v[180:181], -v[64:65]
	ds_load_b128 v[230:233], v1 offset:1632
	v_add_f64 v[54:55], v[54:55], v[60:61]
	v_add_f64 v[52:53], v[52:53], v[66:67]
	v_fma_f64 v[58:59], v[4:5], v[38:39], v[58:59]
	v_fma_f64 v[64:65], v[2:3], v[38:39], -v[40:41]
	ds_load_b128 v[2:5], v1 offset:1616
	s_waitcnt vmcnt(8) lgkmcnt(2)
	v_mul_f64 v[60:61], v[182:183], v[8:9]
	v_mul_f64 v[8:9], v[184:185], v[8:9]
	scratch_load_b128 v[38:41], off, off offset:784
	v_add_f64 v[54:55], v[54:55], v[56:57]
	v_add_f64 v[52:53], v[52:53], v[62:63]
	s_waitcnt vmcnt(8) lgkmcnt(0)
	v_mul_f64 v[56:57], v[2:3], v[12:13]
	v_mul_f64 v[12:13], v[4:5], v[12:13]
	v_fma_f64 v[60:61], v[184:185], v[6:7], v[60:61]
	v_fma_f64 v[62:63], v[182:183], v[6:7], -v[8:9]
	scratch_load_b128 v[6:9], off, off offset:800
	ds_load_b128 v[180:183], v1 offset:1664
	v_add_f64 v[54:55], v[54:55], v[58:59]
	v_add_f64 v[52:53], v[52:53], v[64:65]
	v_fma_f64 v[56:57], v[4:5], v[10:11], v[56:57]
	v_fma_f64 v[64:65], v[2:3], v[10:11], -v[12:13]
	ds_load_b128 v[2:5], v1 offset:1648
	s_waitcnt vmcnt(8)
	v_mul_f64 v[58:59], v[230:231], v[16:17]
	v_mul_f64 v[16:17], v[232:233], v[16:17]
	scratch_load_b128 v[10:13], off, off offset:816
	v_add_f64 v[54:55], v[54:55], v[60:61]
	v_add_f64 v[52:53], v[52:53], v[62:63]
	s_waitcnt vmcnt(8) lgkmcnt(0)
	v_mul_f64 v[60:61], v[2:3], v[20:21]
	v_mul_f64 v[20:21], v[4:5], v[20:21]
	v_fma_f64 v[58:59], v[232:233], v[14:15], v[58:59]
	v_fma_f64 v[62:63], v[230:231], v[14:15], -v[16:17]
	scratch_load_b128 v[14:17], off, off offset:832
	ds_load_b128 v[230:233], v1 offset:1696
	v_add_f64 v[54:55], v[54:55], v[56:57]
	v_add_f64 v[52:53], v[52:53], v[64:65]
	v_fma_f64 v[60:61], v[4:5], v[18:19], v[60:61]
	v_fma_f64 v[64:65], v[2:3], v[18:19], -v[20:21]
	ds_load_b128 v[2:5], v1 offset:1680
	s_waitcnt vmcnt(8)
	;; [unrolled: 18-line block ×3, first 2 shown]
	v_mul_f64 v[60:61], v[230:231], v[32:33]
	v_mul_f64 v[32:33], v[232:233], v[32:33]
	scratch_load_b128 v[26:29], off, off offset:880
	v_add_f64 v[54:55], v[54:55], v[56:57]
	v_add_f64 v[52:53], v[52:53], v[62:63]
	s_waitcnt vmcnt(7) lgkmcnt(0)
	v_mul_f64 v[56:57], v[2:3], v[36:37]
	v_mul_f64 v[36:37], v[4:5], v[36:37]
	v_fma_f64 v[60:61], v[232:233], v[30:31], v[60:61]
	v_fma_f64 v[62:63], v[230:231], v[30:31], -v[32:33]
	scratch_load_b128 v[30:33], off, off offset:896
	ds_load_b128 v[230:233], v1 offset:1760
	v_add_f64 v[54:55], v[54:55], v[58:59]
	v_add_f64 v[52:53], v[52:53], v[64:65]
	v_fma_f64 v[56:57], v[4:5], v[34:35], v[56:57]
	v_fma_f64 v[66:67], v[2:3], v[34:35], -v[36:37]
	ds_load_b128 v[2:5], v1 offset:1744
	v_mul_f64 v[58:59], v[180:181], v[203:204]
	v_mul_f64 v[64:65], v[182:183], v[203:204]
	scratch_load_b128 v[34:37], off, off offset:912
	v_add_f64 v[54:55], v[54:55], v[60:61]
	v_add_f64 v[52:53], v[52:53], v[62:63]
	s_waitcnt vmcnt(8) lgkmcnt(0)
	v_mul_f64 v[60:61], v[2:3], v[40:41]
	v_mul_f64 v[40:41], v[4:5], v[40:41]
	v_fma_f64 v[58:59], v[182:183], v[201:202], v[58:59]
	v_fma_f64 v[62:63], v[180:181], v[201:202], -v[64:65]
	scratch_load_b128 v[180:183], off, off offset:928
	ds_load_b128 v[201:204], v1 offset:1792
	v_add_f64 v[54:55], v[54:55], v[56:57]
	v_add_f64 v[52:53], v[52:53], v[66:67]
	v_fma_f64 v[60:61], v[4:5], v[38:39], v[60:61]
	v_fma_f64 v[64:65], v[2:3], v[38:39], -v[40:41]
	scratch_load_b128 v[38:41], off, off offset:944
	ds_load_b128 v[2:5], v1 offset:1776
	s_waitcnt vmcnt(9)
	v_mul_f64 v[56:57], v[230:231], v[8:9]
	v_mul_f64 v[8:9], v[232:233], v[8:9]
	v_add_f64 v[54:55], v[54:55], v[58:59]
	v_add_f64 v[52:53], v[52:53], v[62:63]
	s_waitcnt vmcnt(8) lgkmcnt(0)
	v_mul_f64 v[58:59], v[2:3], v[12:13]
	v_mul_f64 v[12:13], v[4:5], v[12:13]
	v_fma_f64 v[56:57], v[232:233], v[6:7], v[56:57]
	v_fma_f64 v[6:7], v[230:231], v[6:7], -v[8:9]
	v_add_f64 v[8:9], v[52:53], v[64:65]
	v_add_f64 v[52:53], v[54:55], v[60:61]
	s_waitcnt vmcnt(7)
	v_mul_f64 v[54:55], v[201:202], v[16:17]
	v_mul_f64 v[16:17], v[203:204], v[16:17]
	v_fma_f64 v[58:59], v[4:5], v[10:11], v[58:59]
	v_fma_f64 v[10:11], v[2:3], v[10:11], -v[12:13]
	v_add_f64 v[12:13], v[8:9], v[6:7]
	v_add_f64 v[52:53], v[52:53], v[56:57]
	ds_load_b128 v[2:5], v1 offset:1808
	ds_load_b128 v[6:9], v1 offset:1824
	v_fma_f64 v[54:55], v[203:204], v[14:15], v[54:55]
	v_fma_f64 v[14:15], v[201:202], v[14:15], -v[16:17]
	s_waitcnt vmcnt(6) lgkmcnt(1)
	v_mul_f64 v[56:57], v[2:3], v[20:21]
	v_mul_f64 v[20:21], v[4:5], v[20:21]
	s_waitcnt vmcnt(5) lgkmcnt(0)
	v_mul_f64 v[16:17], v[6:7], v[24:25]
	v_mul_f64 v[24:25], v[8:9], v[24:25]
	v_add_f64 v[10:11], v[12:13], v[10:11]
	v_add_f64 v[12:13], v[52:53], v[58:59]
	v_fma_f64 v[52:53], v[4:5], v[18:19], v[56:57]
	v_fma_f64 v[18:19], v[2:3], v[18:19], -v[20:21]
	v_fma_f64 v[8:9], v[8:9], v[22:23], v[16:17]
	v_fma_f64 v[6:7], v[6:7], v[22:23], -v[24:25]
	v_add_f64 v[14:15], v[10:11], v[14:15]
	v_add_f64 v[20:21], v[12:13], v[54:55]
	ds_load_b128 v[2:5], v1 offset:1840
	ds_load_b128 v[10:13], v1 offset:1856
	s_waitcnt vmcnt(4) lgkmcnt(1)
	v_mul_f64 v[54:55], v[2:3], v[28:29]
	v_mul_f64 v[28:29], v[4:5], v[28:29]
	v_add_f64 v[14:15], v[14:15], v[18:19]
	v_add_f64 v[16:17], v[20:21], v[52:53]
	s_waitcnt vmcnt(3) lgkmcnt(0)
	v_mul_f64 v[18:19], v[10:11], v[32:33]
	v_mul_f64 v[20:21], v[12:13], v[32:33]
	v_fma_f64 v[22:23], v[4:5], v[26:27], v[54:55]
	v_fma_f64 v[24:25], v[2:3], v[26:27], -v[28:29]
	v_add_f64 v[14:15], v[14:15], v[6:7]
	v_add_f64 v[16:17], v[16:17], v[8:9]
	ds_load_b128 v[2:5], v1 offset:1872
	ds_load_b128 v[6:9], v1 offset:1888
	v_fma_f64 v[12:13], v[12:13], v[30:31], v[18:19]
	v_fma_f64 v[10:11], v[10:11], v[30:31], -v[20:21]
	s_waitcnt vmcnt(2) lgkmcnt(1)
	v_mul_f64 v[26:27], v[2:3], v[36:37]
	v_mul_f64 v[28:29], v[4:5], v[36:37]
	s_waitcnt vmcnt(1) lgkmcnt(0)
	v_mul_f64 v[18:19], v[6:7], v[182:183]
	v_mul_f64 v[20:21], v[8:9], v[182:183]
	v_add_f64 v[14:15], v[14:15], v[24:25]
	v_add_f64 v[16:17], v[16:17], v[22:23]
	v_fma_f64 v[22:23], v[4:5], v[34:35], v[26:27]
	v_fma_f64 v[24:25], v[2:3], v[34:35], -v[28:29]
	ds_load_b128 v[2:5], v1 offset:1904
	v_fma_f64 v[8:9], v[8:9], v[180:181], v[18:19]
	v_fma_f64 v[6:7], v[6:7], v[180:181], -v[20:21]
	v_add_f64 v[10:11], v[14:15], v[10:11]
	v_add_f64 v[12:13], v[16:17], v[12:13]
	s_waitcnt vmcnt(0) lgkmcnt(0)
	v_mul_f64 v[14:15], v[2:3], v[40:41]
	v_mul_f64 v[16:17], v[4:5], v[40:41]
	s_delay_alu instid0(VALU_DEP_4) | instskip(NEXT) | instid1(VALU_DEP_4)
	v_add_f64 v[10:11], v[10:11], v[24:25]
	v_add_f64 v[12:13], v[12:13], v[22:23]
	s_delay_alu instid0(VALU_DEP_4) | instskip(NEXT) | instid1(VALU_DEP_4)
	v_fma_f64 v[4:5], v[4:5], v[38:39], v[14:15]
	v_fma_f64 v[2:3], v[2:3], v[38:39], -v[16:17]
	s_delay_alu instid0(VALU_DEP_4) | instskip(NEXT) | instid1(VALU_DEP_4)
	v_add_f64 v[6:7], v[10:11], v[6:7]
	v_add_f64 v[8:9], v[12:13], v[8:9]
	s_delay_alu instid0(VALU_DEP_2) | instskip(NEXT) | instid1(VALU_DEP_2)
	v_add_f64 v[2:3], v[6:7], v[2:3]
	v_add_f64 v[4:5], v[8:9], v[4:5]
	s_delay_alu instid0(VALU_DEP_2) | instskip(NEXT) | instid1(VALU_DEP_2)
	v_add_f64 v[2:3], v[42:43], -v[2:3]
	v_add_f64 v[4:5], v[44:45], -v[4:5]
	scratch_store_b128 off, v[2:5], off offset:288
	v_cmpx_lt_u32_e32 17, v166
	s_cbranch_execz .LBB59_339
; %bb.338:
	scratch_load_b128 v[5:8], v240, off
	v_mov_b32_e32 v2, v1
	v_mov_b32_e32 v3, v1
	;; [unrolled: 1-line block ×3, first 2 shown]
	scratch_store_b128 off, v[1:4], off offset:272
	s_waitcnt vmcnt(0)
	ds_store_b128 v226, v[5:8]
.LBB59_339:
	s_or_b32 exec_lo, exec_lo, s2
	s_waitcnt lgkmcnt(0)
	s_waitcnt_vscnt null, 0x0
	s_barrier
	buffer_gl0_inv
	s_clause 0x8
	scratch_load_b128 v[2:5], off, off offset:288
	scratch_load_b128 v[6:9], off, off offset:304
	;; [unrolled: 1-line block ×9, first 2 shown]
	ds_load_b128 v[42:45], v1 offset:1248
	ds_load_b128 v[38:41], v1 offset:1264
	s_clause 0x1
	scratch_load_b128 v[180:183], off, off offset:272
	scratch_load_b128 v[201:204], off, off offset:432
	s_mov_b32 s2, exec_lo
	ds_load_b128 v[230:233], v1 offset:1296
	s_waitcnt vmcnt(10) lgkmcnt(2)
	v_mul_f64 v[52:53], v[44:45], v[4:5]
	v_mul_f64 v[4:5], v[42:43], v[4:5]
	s_waitcnt vmcnt(9) lgkmcnt(1)
	v_mul_f64 v[54:55], v[38:39], v[8:9]
	v_mul_f64 v[8:9], v[40:41], v[8:9]
	s_delay_alu instid0(VALU_DEP_4) | instskip(NEXT) | instid1(VALU_DEP_4)
	v_fma_f64 v[52:53], v[42:43], v[2:3], -v[52:53]
	v_fma_f64 v[56:57], v[44:45], v[2:3], v[4:5]
	ds_load_b128 v[2:5], v1 offset:1280
	scratch_load_b128 v[42:45], off, off offset:448
	v_fma_f64 v[40:41], v[40:41], v[6:7], v[54:55]
	v_fma_f64 v[38:39], v[38:39], v[6:7], -v[8:9]
	scratch_load_b128 v[6:9], off, off offset:464
	s_waitcnt vmcnt(10) lgkmcnt(0)
	v_mul_f64 v[58:59], v[2:3], v[12:13]
	v_mul_f64 v[12:13], v[4:5], v[12:13]
	v_add_f64 v[52:53], v[52:53], 0
	v_add_f64 v[54:55], v[56:57], 0
	s_waitcnt vmcnt(9)
	v_mul_f64 v[56:57], v[230:231], v[16:17]
	v_mul_f64 v[16:17], v[232:233], v[16:17]
	v_fma_f64 v[58:59], v[4:5], v[10:11], v[58:59]
	v_fma_f64 v[60:61], v[2:3], v[10:11], -v[12:13]
	ds_load_b128 v[2:5], v1 offset:1312
	scratch_load_b128 v[10:13], off, off offset:480
	v_add_f64 v[52:53], v[52:53], v[38:39]
	v_add_f64 v[54:55], v[54:55], v[40:41]
	ds_load_b128 v[38:41], v1 offset:1328
	v_fma_f64 v[56:57], v[232:233], v[14:15], v[56:57]
	v_fma_f64 v[64:65], v[230:231], v[14:15], -v[16:17]
	scratch_load_b128 v[14:17], off, off offset:496
	s_waitcnt vmcnt(10) lgkmcnt(1)
	v_mul_f64 v[62:63], v[2:3], v[20:21]
	v_mul_f64 v[20:21], v[4:5], v[20:21]
	ds_load_b128 v[230:233], v1 offset:1360
	v_add_f64 v[52:53], v[52:53], v[60:61]
	v_add_f64 v[54:55], v[54:55], v[58:59]
	s_waitcnt vmcnt(9) lgkmcnt(1)
	v_mul_f64 v[58:59], v[38:39], v[24:25]
	v_mul_f64 v[24:25], v[40:41], v[24:25]
	v_fma_f64 v[60:61], v[4:5], v[18:19], v[62:63]
	v_fma_f64 v[62:63], v[2:3], v[18:19], -v[20:21]
	ds_load_b128 v[2:5], v1 offset:1344
	scratch_load_b128 v[18:21], off, off offset:512
	v_add_f64 v[52:53], v[52:53], v[64:65]
	v_add_f64 v[54:55], v[54:55], v[56:57]
	s_waitcnt vmcnt(9) lgkmcnt(0)
	v_mul_f64 v[56:57], v[2:3], v[28:29]
	v_mul_f64 v[28:29], v[4:5], v[28:29]
	v_fma_f64 v[40:41], v[40:41], v[22:23], v[58:59]
	v_fma_f64 v[38:39], v[38:39], v[22:23], -v[24:25]
	scratch_load_b128 v[22:25], off, off offset:528
	s_waitcnt vmcnt(9)
	v_mul_f64 v[58:59], v[230:231], v[32:33]
	v_mul_f64 v[32:33], v[232:233], v[32:33]
	v_add_f64 v[52:53], v[52:53], v[62:63]
	v_add_f64 v[54:55], v[54:55], v[60:61]
	v_fma_f64 v[56:57], v[4:5], v[26:27], v[56:57]
	v_fma_f64 v[60:61], v[2:3], v[26:27], -v[28:29]
	ds_load_b128 v[2:5], v1 offset:1376
	scratch_load_b128 v[26:29], off, off offset:544
	v_fma_f64 v[58:59], v[232:233], v[30:31], v[58:59]
	v_fma_f64 v[64:65], v[230:231], v[30:31], -v[32:33]
	scratch_load_b128 v[30:33], off, off offset:560
	ds_load_b128 v[230:233], v1 offset:1424
	v_add_f64 v[52:53], v[52:53], v[38:39]
	v_add_f64 v[54:55], v[54:55], v[40:41]
	ds_load_b128 v[38:41], v1 offset:1392
	s_waitcnt vmcnt(10) lgkmcnt(2)
	v_mul_f64 v[62:63], v[2:3], v[36:37]
	v_mul_f64 v[36:37], v[4:5], v[36:37]
	v_add_f64 v[52:53], v[52:53], v[60:61]
	v_add_f64 v[54:55], v[54:55], v[56:57]
	s_waitcnt vmcnt(8) lgkmcnt(0)
	v_mul_f64 v[56:57], v[38:39], v[203:204]
	v_mul_f64 v[60:61], v[40:41], v[203:204]
	v_fma_f64 v[62:63], v[4:5], v[34:35], v[62:63]
	v_fma_f64 v[66:67], v[2:3], v[34:35], -v[36:37]
	ds_load_b128 v[2:5], v1 offset:1408
	scratch_load_b128 v[34:37], off, off offset:576
	v_add_f64 v[52:53], v[52:53], v[64:65]
	v_add_f64 v[54:55], v[54:55], v[58:59]
	v_fma_f64 v[56:57], v[40:41], v[201:202], v[56:57]
	v_fma_f64 v[60:61], v[38:39], v[201:202], -v[60:61]
	scratch_load_b128 v[38:41], off, off offset:592
	ds_load_b128 v[201:204], v1 offset:1456
	s_waitcnt vmcnt(9) lgkmcnt(1)
	v_mul_f64 v[58:59], v[2:3], v[44:45]
	v_mul_f64 v[44:45], v[4:5], v[44:45]
	v_add_f64 v[52:53], v[52:53], v[66:67]
	v_add_f64 v[54:55], v[54:55], v[62:63]
	s_waitcnt vmcnt(8)
	v_mul_f64 v[62:63], v[230:231], v[8:9]
	v_mul_f64 v[8:9], v[232:233], v[8:9]
	v_fma_f64 v[58:59], v[4:5], v[42:43], v[58:59]
	v_fma_f64 v[64:65], v[2:3], v[42:43], -v[44:45]
	ds_load_b128 v[2:5], v1 offset:1440
	scratch_load_b128 v[42:45], off, off offset:608
	v_add_f64 v[52:53], v[52:53], v[60:61]
	v_add_f64 v[54:55], v[54:55], v[56:57]
	v_fma_f64 v[60:61], v[232:233], v[6:7], v[62:63]
	s_waitcnt vmcnt(8) lgkmcnt(0)
	v_mul_f64 v[56:57], v[2:3], v[12:13]
	v_mul_f64 v[12:13], v[4:5], v[12:13]
	v_fma_f64 v[62:63], v[230:231], v[6:7], -v[8:9]
	scratch_load_b128 v[6:9], off, off offset:624
	ds_load_b128 v[230:233], v1 offset:1488
	v_add_f64 v[52:53], v[52:53], v[64:65]
	v_add_f64 v[54:55], v[54:55], v[58:59]
	s_waitcnt vmcnt(8)
	v_mul_f64 v[58:59], v[201:202], v[16:17]
	v_mul_f64 v[16:17], v[203:204], v[16:17]
	v_fma_f64 v[56:57], v[4:5], v[10:11], v[56:57]
	v_fma_f64 v[64:65], v[2:3], v[10:11], -v[12:13]
	ds_load_b128 v[2:5], v1 offset:1472
	scratch_load_b128 v[10:13], off, off offset:640
	v_add_f64 v[52:53], v[52:53], v[62:63]
	v_add_f64 v[54:55], v[54:55], v[60:61]
	s_waitcnt vmcnt(8) lgkmcnt(0)
	v_mul_f64 v[60:61], v[2:3], v[20:21]
	v_mul_f64 v[20:21], v[4:5], v[20:21]
	v_fma_f64 v[58:59], v[203:204], v[14:15], v[58:59]
	v_fma_f64 v[62:63], v[201:202], v[14:15], -v[16:17]
	scratch_load_b128 v[14:17], off, off offset:656
	ds_load_b128 v[201:204], v1 offset:1520
	v_add_f64 v[52:53], v[52:53], v[64:65]
	v_add_f64 v[54:55], v[54:55], v[56:57]
	s_waitcnt vmcnt(8)
	v_mul_f64 v[56:57], v[230:231], v[24:25]
	v_mul_f64 v[24:25], v[232:233], v[24:25]
	v_fma_f64 v[60:61], v[4:5], v[18:19], v[60:61]
	v_fma_f64 v[64:65], v[2:3], v[18:19], -v[20:21]
	ds_load_b128 v[2:5], v1 offset:1504
	scratch_load_b128 v[18:21], off, off offset:672
	v_add_f64 v[52:53], v[52:53], v[62:63]
	v_add_f64 v[54:55], v[54:55], v[58:59]
	s_waitcnt vmcnt(8) lgkmcnt(0)
	v_mul_f64 v[58:59], v[2:3], v[28:29]
	v_mul_f64 v[28:29], v[4:5], v[28:29]
	v_fma_f64 v[56:57], v[232:233], v[22:23], v[56:57]
	;; [unrolled: 18-line block ×10, first 2 shown]
	v_fma_f64 v[62:63], v[230:231], v[6:7], -v[8:9]
	scratch_load_b128 v[6:9], off, off offset:944
	v_add_f64 v[52:53], v[52:53], v[64:65]
	v_add_f64 v[54:55], v[54:55], v[56:57]
	s_waitcnt vmcnt(8)
	v_mul_f64 v[56:57], v[201:202], v[16:17]
	v_mul_f64 v[16:17], v[203:204], v[16:17]
	v_fma_f64 v[60:61], v[4:5], v[10:11], v[60:61]
	v_fma_f64 v[64:65], v[2:3], v[10:11], -v[12:13]
	ds_load_b128 v[2:5], v1 offset:1792
	ds_load_b128 v[10:13], v1 offset:1808
	v_add_f64 v[52:53], v[52:53], v[62:63]
	v_add_f64 v[54:55], v[54:55], v[58:59]
	s_waitcnt vmcnt(7) lgkmcnt(1)
	v_mul_f64 v[58:59], v[2:3], v[20:21]
	v_mul_f64 v[20:21], v[4:5], v[20:21]
	v_fma_f64 v[56:57], v[203:204], v[14:15], v[56:57]
	v_fma_f64 v[14:15], v[201:202], v[14:15], -v[16:17]
	v_add_f64 v[16:17], v[52:53], v[64:65]
	v_add_f64 v[52:53], v[54:55], v[60:61]
	s_waitcnt vmcnt(6) lgkmcnt(0)
	v_mul_f64 v[54:55], v[10:11], v[24:25]
	v_mul_f64 v[24:25], v[12:13], v[24:25]
	v_fma_f64 v[58:59], v[4:5], v[18:19], v[58:59]
	v_fma_f64 v[18:19], v[2:3], v[18:19], -v[20:21]
	v_add_f64 v[20:21], v[16:17], v[14:15]
	v_add_f64 v[52:53], v[52:53], v[56:57]
	ds_load_b128 v[2:5], v1 offset:1824
	ds_load_b128 v[14:17], v1 offset:1840
	v_fma_f64 v[12:13], v[12:13], v[22:23], v[54:55]
	v_fma_f64 v[10:11], v[10:11], v[22:23], -v[24:25]
	s_waitcnt vmcnt(5) lgkmcnt(1)
	v_mul_f64 v[56:57], v[2:3], v[28:29]
	v_mul_f64 v[28:29], v[4:5], v[28:29]
	s_waitcnt vmcnt(4) lgkmcnt(0)
	v_mul_f64 v[22:23], v[14:15], v[32:33]
	v_mul_f64 v[24:25], v[16:17], v[32:33]
	v_add_f64 v[18:19], v[20:21], v[18:19]
	v_add_f64 v[20:21], v[52:53], v[58:59]
	v_fma_f64 v[32:33], v[4:5], v[26:27], v[56:57]
	v_fma_f64 v[26:27], v[2:3], v[26:27], -v[28:29]
	v_fma_f64 v[16:17], v[16:17], v[30:31], v[22:23]
	v_fma_f64 v[14:15], v[14:15], v[30:31], -v[24:25]
	v_add_f64 v[18:19], v[18:19], v[10:11]
	v_add_f64 v[20:21], v[20:21], v[12:13]
	ds_load_b128 v[2:5], v1 offset:1856
	ds_load_b128 v[10:13], v1 offset:1872
	s_waitcnt vmcnt(3) lgkmcnt(1)
	v_mul_f64 v[28:29], v[2:3], v[36:37]
	v_mul_f64 v[36:37], v[4:5], v[36:37]
	s_waitcnt vmcnt(2) lgkmcnt(0)
	v_mul_f64 v[22:23], v[10:11], v[40:41]
	v_mul_f64 v[24:25], v[12:13], v[40:41]
	v_add_f64 v[18:19], v[18:19], v[26:27]
	v_add_f64 v[20:21], v[20:21], v[32:33]
	v_fma_f64 v[26:27], v[4:5], v[34:35], v[28:29]
	v_fma_f64 v[28:29], v[2:3], v[34:35], -v[36:37]
	v_fma_f64 v[12:13], v[12:13], v[38:39], v[22:23]
	v_fma_f64 v[10:11], v[10:11], v[38:39], -v[24:25]
	v_add_f64 v[18:19], v[18:19], v[14:15]
	v_add_f64 v[20:21], v[20:21], v[16:17]
	ds_load_b128 v[2:5], v1 offset:1888
	ds_load_b128 v[14:17], v1 offset:1904
	s_waitcnt vmcnt(1) lgkmcnt(1)
	v_mul_f64 v[30:31], v[2:3], v[44:45]
	v_mul_f64 v[32:33], v[4:5], v[44:45]
	s_waitcnt vmcnt(0) lgkmcnt(0)
	v_mul_f64 v[22:23], v[14:15], v[8:9]
	v_mul_f64 v[8:9], v[16:17], v[8:9]
	v_add_f64 v[18:19], v[18:19], v[28:29]
	v_add_f64 v[20:21], v[20:21], v[26:27]
	v_fma_f64 v[4:5], v[4:5], v[42:43], v[30:31]
	v_fma_f64 v[1:2], v[2:3], v[42:43], -v[32:33]
	v_fma_f64 v[16:17], v[16:17], v[6:7], v[22:23]
	v_fma_f64 v[6:7], v[14:15], v[6:7], -v[8:9]
	v_add_f64 v[10:11], v[18:19], v[10:11]
	v_add_f64 v[12:13], v[20:21], v[12:13]
	s_delay_alu instid0(VALU_DEP_2) | instskip(NEXT) | instid1(VALU_DEP_2)
	v_add_f64 v[1:2], v[10:11], v[1:2]
	v_add_f64 v[3:4], v[12:13], v[4:5]
	s_delay_alu instid0(VALU_DEP_2) | instskip(NEXT) | instid1(VALU_DEP_2)
	;; [unrolled: 3-line block ×3, first 2 shown]
	v_add_f64 v[1:2], v[180:181], -v[1:2]
	v_add_f64 v[3:4], v[182:183], -v[3:4]
	scratch_store_b128 off, v[1:4], off offset:272
	v_cmpx_lt_u32_e32 16, v166
	s_cbranch_execz .LBB59_341
; %bb.340:
	scratch_load_b32 v1, off, off offset:960 ; 4-byte Folded Reload
	v_mov_b32_e32 v5, 0
	s_delay_alu instid0(VALU_DEP_1)
	v_mov_b32_e32 v6, v5
	v_mov_b32_e32 v7, v5
	;; [unrolled: 1-line block ×3, first 2 shown]
	s_waitcnt vmcnt(0)
	scratch_load_b128 v[1:4], v1, off
	scratch_store_b128 off, v[5:8], off offset:256
	s_waitcnt vmcnt(0)
	ds_store_b128 v226, v[1:4]
.LBB59_341:
	s_or_b32 exec_lo, exec_lo, s2
	s_waitcnt lgkmcnt(0)
	s_waitcnt_vscnt null, 0x0
	s_barrier
	buffer_gl0_inv
	s_clause 0x7
	scratch_load_b128 v[2:5], off, off offset:272
	scratch_load_b128 v[6:9], off, off offset:288
	;; [unrolled: 1-line block ×8, first 2 shown]
	v_mov_b32_e32 v1, 0
	s_mov_b32 s2, exec_lo
	ds_load_b128 v[38:41], v1 offset:1232
	s_clause 0x1
	scratch_load_b128 v[34:37], off, off offset:400
	scratch_load_b128 v[42:45], off, off offset:256
	ds_load_b128 v[180:183], v1 offset:1248
	scratch_load_b128 v[201:204], off, off offset:416
	ds_load_b128 v[230:233], v1 offset:1280
	s_waitcnt vmcnt(10) lgkmcnt(2)
	v_mul_f64 v[52:53], v[40:41], v[4:5]
	v_mul_f64 v[4:5], v[38:39], v[4:5]
	s_delay_alu instid0(VALU_DEP_2) | instskip(NEXT) | instid1(VALU_DEP_2)
	v_fma_f64 v[52:53], v[38:39], v[2:3], -v[52:53]
	v_fma_f64 v[56:57], v[40:41], v[2:3], v[4:5]
	ds_load_b128 v[2:5], v1 offset:1264
	s_waitcnt vmcnt(9) lgkmcnt(2)
	v_mul_f64 v[54:55], v[180:181], v[8:9]
	v_mul_f64 v[8:9], v[182:183], v[8:9]
	scratch_load_b128 v[38:41], off, off offset:432
	s_waitcnt vmcnt(9) lgkmcnt(0)
	v_mul_f64 v[58:59], v[2:3], v[12:13]
	v_mul_f64 v[12:13], v[4:5], v[12:13]
	v_add_f64 v[52:53], v[52:53], 0
	v_add_f64 v[56:57], v[56:57], 0
	v_fma_f64 v[54:55], v[182:183], v[6:7], v[54:55]
	v_fma_f64 v[60:61], v[180:181], v[6:7], -v[8:9]
	scratch_load_b128 v[6:9], off, off offset:448
	ds_load_b128 v[180:183], v1 offset:1312
	v_fma_f64 v[58:59], v[4:5], v[10:11], v[58:59]
	v_fma_f64 v[64:65], v[2:3], v[10:11], -v[12:13]
	ds_load_b128 v[2:5], v1 offset:1296
	s_waitcnt vmcnt(9)
	v_mul_f64 v[62:63], v[230:231], v[16:17]
	v_mul_f64 v[16:17], v[232:233], v[16:17]
	scratch_load_b128 v[10:13], off, off offset:464
	v_add_f64 v[54:55], v[56:57], v[54:55]
	v_add_f64 v[52:53], v[52:53], v[60:61]
	s_waitcnt vmcnt(9) lgkmcnt(0)
	v_mul_f64 v[56:57], v[2:3], v[20:21]
	v_mul_f64 v[20:21], v[4:5], v[20:21]
	v_fma_f64 v[60:61], v[232:233], v[14:15], v[62:63]
	v_fma_f64 v[62:63], v[230:231], v[14:15], -v[16:17]
	scratch_load_b128 v[14:17], off, off offset:480
	ds_load_b128 v[230:233], v1 offset:1344
	v_add_f64 v[54:55], v[54:55], v[58:59]
	v_add_f64 v[52:53], v[52:53], v[64:65]
	v_fma_f64 v[56:57], v[4:5], v[18:19], v[56:57]
	v_fma_f64 v[64:65], v[2:3], v[18:19], -v[20:21]
	ds_load_b128 v[2:5], v1 offset:1328
	s_waitcnt vmcnt(9)
	v_mul_f64 v[58:59], v[180:181], v[24:25]
	v_mul_f64 v[24:25], v[182:183], v[24:25]
	scratch_load_b128 v[18:21], off, off offset:496
	v_add_f64 v[54:55], v[54:55], v[60:61]
	v_add_f64 v[52:53], v[52:53], v[62:63]
	s_waitcnt vmcnt(9) lgkmcnt(0)
	v_mul_f64 v[60:61], v[2:3], v[28:29]
	v_mul_f64 v[28:29], v[4:5], v[28:29]
	v_fma_f64 v[58:59], v[182:183], v[22:23], v[58:59]
	v_fma_f64 v[62:63], v[180:181], v[22:23], -v[24:25]
	scratch_load_b128 v[22:25], off, off offset:512
	ds_load_b128 v[180:183], v1 offset:1376
	v_add_f64 v[54:55], v[54:55], v[56:57]
	v_add_f64 v[52:53], v[52:53], v[64:65]
	;; [unrolled: 18-line block ×3, first 2 shown]
	v_fma_f64 v[58:59], v[4:5], v[34:35], v[58:59]
	v_fma_f64 v[66:67], v[2:3], v[34:35], -v[36:37]
	ds_load_b128 v[2:5], v1 offset:1392
	s_waitcnt vmcnt(8)
	v_mul_f64 v[60:61], v[180:181], v[203:204]
	v_mul_f64 v[64:65], v[182:183], v[203:204]
	scratch_load_b128 v[34:37], off, off offset:560
	v_add_f64 v[54:55], v[54:55], v[56:57]
	v_add_f64 v[52:53], v[52:53], v[62:63]
	v_fma_f64 v[60:61], v[182:183], v[201:202], v[60:61]
	v_fma_f64 v[62:63], v[180:181], v[201:202], -v[64:65]
	scratch_load_b128 v[180:183], off, off offset:576
	ds_load_b128 v[201:204], v1 offset:1440
	s_waitcnt vmcnt(9) lgkmcnt(1)
	v_mul_f64 v[56:57], v[2:3], v[40:41]
	v_mul_f64 v[40:41], v[4:5], v[40:41]
	v_add_f64 v[54:55], v[54:55], v[58:59]
	v_add_f64 v[52:53], v[52:53], v[66:67]
	s_delay_alu instid0(VALU_DEP_4) | instskip(NEXT) | instid1(VALU_DEP_4)
	v_fma_f64 v[56:57], v[4:5], v[38:39], v[56:57]
	v_fma_f64 v[64:65], v[2:3], v[38:39], -v[40:41]
	ds_load_b128 v[2:5], v1 offset:1424
	s_waitcnt vmcnt(8)
	v_mul_f64 v[58:59], v[230:231], v[8:9]
	v_mul_f64 v[8:9], v[232:233], v[8:9]
	scratch_load_b128 v[38:41], off, off offset:592
	v_add_f64 v[54:55], v[54:55], v[60:61]
	v_add_f64 v[52:53], v[52:53], v[62:63]
	s_waitcnt vmcnt(8) lgkmcnt(0)
	v_mul_f64 v[60:61], v[2:3], v[12:13]
	v_mul_f64 v[12:13], v[4:5], v[12:13]
	v_fma_f64 v[58:59], v[232:233], v[6:7], v[58:59]
	v_fma_f64 v[62:63], v[230:231], v[6:7], -v[8:9]
	scratch_load_b128 v[6:9], off, off offset:608
	ds_load_b128 v[230:233], v1 offset:1472
	v_add_f64 v[54:55], v[54:55], v[56:57]
	v_add_f64 v[52:53], v[52:53], v[64:65]
	v_fma_f64 v[60:61], v[4:5], v[10:11], v[60:61]
	v_fma_f64 v[64:65], v[2:3], v[10:11], -v[12:13]
	ds_load_b128 v[2:5], v1 offset:1456
	s_waitcnt vmcnt(8)
	v_mul_f64 v[56:57], v[201:202], v[16:17]
	v_mul_f64 v[16:17], v[203:204], v[16:17]
	scratch_load_b128 v[10:13], off, off offset:624
	v_add_f64 v[54:55], v[54:55], v[58:59]
	v_add_f64 v[52:53], v[52:53], v[62:63]
	s_waitcnt vmcnt(8) lgkmcnt(0)
	v_mul_f64 v[58:59], v[2:3], v[20:21]
	v_mul_f64 v[20:21], v[4:5], v[20:21]
	v_fma_f64 v[56:57], v[203:204], v[14:15], v[56:57]
	v_fma_f64 v[62:63], v[201:202], v[14:15], -v[16:17]
	scratch_load_b128 v[14:17], off, off offset:640
	ds_load_b128 v[201:204], v1 offset:1504
	v_add_f64 v[54:55], v[54:55], v[60:61]
	v_add_f64 v[52:53], v[52:53], v[64:65]
	;; [unrolled: 18-line block ×3, first 2 shown]
	v_fma_f64 v[56:57], v[4:5], v[26:27], v[56:57]
	v_fma_f64 v[64:65], v[2:3], v[26:27], -v[28:29]
	ds_load_b128 v[2:5], v1 offset:1520
	s_waitcnt vmcnt(8)
	v_mul_f64 v[58:59], v[201:202], v[32:33]
	v_mul_f64 v[32:33], v[203:204], v[32:33]
	scratch_load_b128 v[26:29], off, off offset:688
	v_add_f64 v[54:55], v[54:55], v[60:61]
	v_add_f64 v[52:53], v[52:53], v[62:63]
	s_waitcnt vmcnt(8) lgkmcnt(0)
	v_mul_f64 v[60:61], v[2:3], v[36:37]
	v_mul_f64 v[36:37], v[4:5], v[36:37]
	v_fma_f64 v[58:59], v[203:204], v[30:31], v[58:59]
	v_fma_f64 v[62:63], v[201:202], v[30:31], -v[32:33]
	s_clause 0x1
	scratch_load_b128 v[30:33], off, off offset:704
	scratch_load_b128 v[201:204], off, off offset:736
	v_add_f64 v[54:55], v[54:55], v[56:57]
	v_add_f64 v[52:53], v[52:53], v[64:65]
	v_fma_f64 v[60:61], v[4:5], v[34:35], v[60:61]
	v_fma_f64 v[66:67], v[2:3], v[34:35], -v[36:37]
	ds_load_b128 v[2:5], v1 offset:1552
	s_waitcnt vmcnt(9)
	v_mul_f64 v[56:57], v[230:231], v[182:183]
	v_mul_f64 v[64:65], v[232:233], v[182:183]
	scratch_load_b128 v[34:37], off, off offset:720
	ds_load_b128 v[182:185], v1 offset:1568
	v_add_f64 v[54:55], v[54:55], v[58:59]
	v_add_f64 v[52:53], v[52:53], v[62:63]
	s_waitcnt vmcnt(9) lgkmcnt(1)
	v_mul_f64 v[58:59], v[2:3], v[40:41]
	v_mul_f64 v[40:41], v[4:5], v[40:41]
	v_fma_f64 v[56:57], v[232:233], v[180:181], v[56:57]
	v_fma_f64 v[62:63], v[230:231], v[180:181], -v[64:65]
	ds_load_b128 v[230:233], v1 offset:1600
	v_add_f64 v[54:55], v[54:55], v[60:61]
	v_add_f64 v[52:53], v[52:53], v[66:67]
	v_fma_f64 v[58:59], v[4:5], v[38:39], v[58:59]
	v_fma_f64 v[64:65], v[2:3], v[38:39], -v[40:41]
	ds_load_b128 v[2:5], v1 offset:1584
	s_waitcnt vmcnt(8) lgkmcnt(2)
	v_mul_f64 v[60:61], v[182:183], v[8:9]
	v_mul_f64 v[8:9], v[184:185], v[8:9]
	scratch_load_b128 v[38:41], off, off offset:752
	v_add_f64 v[54:55], v[54:55], v[56:57]
	v_add_f64 v[52:53], v[52:53], v[62:63]
	s_waitcnt vmcnt(8) lgkmcnt(0)
	v_mul_f64 v[56:57], v[2:3], v[12:13]
	v_mul_f64 v[12:13], v[4:5], v[12:13]
	v_fma_f64 v[60:61], v[184:185], v[6:7], v[60:61]
	v_fma_f64 v[62:63], v[182:183], v[6:7], -v[8:9]
	scratch_load_b128 v[6:9], off, off offset:768
	ds_load_b128 v[180:183], v1 offset:1632
	v_add_f64 v[54:55], v[54:55], v[58:59]
	v_add_f64 v[52:53], v[52:53], v[64:65]
	v_fma_f64 v[56:57], v[4:5], v[10:11], v[56:57]
	v_fma_f64 v[64:65], v[2:3], v[10:11], -v[12:13]
	ds_load_b128 v[2:5], v1 offset:1616
	s_waitcnt vmcnt(8)
	v_mul_f64 v[58:59], v[230:231], v[16:17]
	v_mul_f64 v[16:17], v[232:233], v[16:17]
	scratch_load_b128 v[10:13], off, off offset:784
	v_add_f64 v[54:55], v[54:55], v[60:61]
	v_add_f64 v[52:53], v[52:53], v[62:63]
	s_waitcnt vmcnt(8) lgkmcnt(0)
	v_mul_f64 v[60:61], v[2:3], v[20:21]
	v_mul_f64 v[20:21], v[4:5], v[20:21]
	v_fma_f64 v[58:59], v[232:233], v[14:15], v[58:59]
	v_fma_f64 v[62:63], v[230:231], v[14:15], -v[16:17]
	scratch_load_b128 v[14:17], off, off offset:800
	ds_load_b128 v[230:233], v1 offset:1664
	v_add_f64 v[54:55], v[54:55], v[56:57]
	v_add_f64 v[52:53], v[52:53], v[64:65]
	v_fma_f64 v[60:61], v[4:5], v[18:19], v[60:61]
	v_fma_f64 v[64:65], v[2:3], v[18:19], -v[20:21]
	ds_load_b128 v[2:5], v1 offset:1648
	s_waitcnt vmcnt(8)
	;; [unrolled: 18-line block ×3, first 2 shown]
	v_mul_f64 v[60:61], v[230:231], v[32:33]
	v_mul_f64 v[32:33], v[232:233], v[32:33]
	scratch_load_b128 v[26:29], off, off offset:848
	v_add_f64 v[54:55], v[54:55], v[56:57]
	v_add_f64 v[52:53], v[52:53], v[62:63]
	s_waitcnt vmcnt(7) lgkmcnt(0)
	v_mul_f64 v[56:57], v[2:3], v[36:37]
	v_mul_f64 v[36:37], v[4:5], v[36:37]
	v_fma_f64 v[60:61], v[232:233], v[30:31], v[60:61]
	v_fma_f64 v[62:63], v[230:231], v[30:31], -v[32:33]
	scratch_load_b128 v[30:33], off, off offset:864
	ds_load_b128 v[230:233], v1 offset:1728
	v_add_f64 v[54:55], v[54:55], v[58:59]
	v_add_f64 v[52:53], v[52:53], v[64:65]
	v_fma_f64 v[56:57], v[4:5], v[34:35], v[56:57]
	v_fma_f64 v[66:67], v[2:3], v[34:35], -v[36:37]
	ds_load_b128 v[2:5], v1 offset:1712
	v_mul_f64 v[58:59], v[180:181], v[203:204]
	v_mul_f64 v[64:65], v[182:183], v[203:204]
	scratch_load_b128 v[34:37], off, off offset:880
	v_add_f64 v[54:55], v[54:55], v[60:61]
	v_add_f64 v[52:53], v[52:53], v[62:63]
	s_waitcnt vmcnt(8) lgkmcnt(0)
	v_mul_f64 v[60:61], v[2:3], v[40:41]
	v_mul_f64 v[40:41], v[4:5], v[40:41]
	v_fma_f64 v[58:59], v[182:183], v[201:202], v[58:59]
	v_fma_f64 v[62:63], v[180:181], v[201:202], -v[64:65]
	scratch_load_b128 v[180:183], off, off offset:896
	ds_load_b128 v[201:204], v1 offset:1760
	v_add_f64 v[54:55], v[54:55], v[56:57]
	v_add_f64 v[52:53], v[52:53], v[66:67]
	v_fma_f64 v[60:61], v[4:5], v[38:39], v[60:61]
	v_fma_f64 v[64:65], v[2:3], v[38:39], -v[40:41]
	ds_load_b128 v[2:5], v1 offset:1744
	s_waitcnt vmcnt(8)
	v_mul_f64 v[56:57], v[230:231], v[8:9]
	v_mul_f64 v[8:9], v[232:233], v[8:9]
	scratch_load_b128 v[38:41], off, off offset:912
	v_add_f64 v[54:55], v[54:55], v[58:59]
	v_add_f64 v[52:53], v[52:53], v[62:63]
	s_waitcnt vmcnt(8) lgkmcnt(0)
	v_mul_f64 v[58:59], v[2:3], v[12:13]
	v_mul_f64 v[12:13], v[4:5], v[12:13]
	v_fma_f64 v[56:57], v[232:233], v[6:7], v[56:57]
	v_fma_f64 v[62:63], v[230:231], v[6:7], -v[8:9]
	scratch_load_b128 v[6:9], off, off offset:928
	ds_load_b128 v[230:233], v1 offset:1792
	v_add_f64 v[54:55], v[54:55], v[60:61]
	v_add_f64 v[52:53], v[52:53], v[64:65]
	v_fma_f64 v[58:59], v[4:5], v[10:11], v[58:59]
	v_fma_f64 v[64:65], v[2:3], v[10:11], -v[12:13]
	scratch_load_b128 v[10:13], off, off offset:944
	ds_load_b128 v[2:5], v1 offset:1776
	s_waitcnt vmcnt(9)
	v_mul_f64 v[60:61], v[201:202], v[16:17]
	v_mul_f64 v[16:17], v[203:204], v[16:17]
	v_add_f64 v[54:55], v[54:55], v[56:57]
	v_add_f64 v[52:53], v[52:53], v[62:63]
	s_waitcnt vmcnt(8) lgkmcnt(0)
	v_mul_f64 v[56:57], v[2:3], v[20:21]
	v_mul_f64 v[20:21], v[4:5], v[20:21]
	v_fma_f64 v[60:61], v[203:204], v[14:15], v[60:61]
	v_fma_f64 v[14:15], v[201:202], v[14:15], -v[16:17]
	v_add_f64 v[16:17], v[52:53], v[64:65]
	v_add_f64 v[52:53], v[54:55], v[58:59]
	s_waitcnt vmcnt(7)
	v_mul_f64 v[54:55], v[230:231], v[24:25]
	v_mul_f64 v[24:25], v[232:233], v[24:25]
	v_fma_f64 v[56:57], v[4:5], v[18:19], v[56:57]
	v_fma_f64 v[18:19], v[2:3], v[18:19], -v[20:21]
	v_add_f64 v[20:21], v[16:17], v[14:15]
	v_add_f64 v[52:53], v[52:53], v[60:61]
	ds_load_b128 v[2:5], v1 offset:1808
	ds_load_b128 v[14:17], v1 offset:1824
	v_fma_f64 v[54:55], v[232:233], v[22:23], v[54:55]
	v_fma_f64 v[22:23], v[230:231], v[22:23], -v[24:25]
	s_waitcnt vmcnt(6) lgkmcnt(1)
	v_mul_f64 v[58:59], v[2:3], v[28:29]
	v_mul_f64 v[28:29], v[4:5], v[28:29]
	s_waitcnt vmcnt(5) lgkmcnt(0)
	v_mul_f64 v[24:25], v[14:15], v[32:33]
	v_mul_f64 v[32:33], v[16:17], v[32:33]
	v_add_f64 v[18:19], v[20:21], v[18:19]
	v_add_f64 v[20:21], v[52:53], v[56:57]
	v_fma_f64 v[52:53], v[4:5], v[26:27], v[58:59]
	v_fma_f64 v[26:27], v[2:3], v[26:27], -v[28:29]
	v_fma_f64 v[16:17], v[16:17], v[30:31], v[24:25]
	v_fma_f64 v[14:15], v[14:15], v[30:31], -v[32:33]
	v_add_f64 v[22:23], v[18:19], v[22:23]
	v_add_f64 v[28:29], v[20:21], v[54:55]
	ds_load_b128 v[2:5], v1 offset:1840
	ds_load_b128 v[18:21], v1 offset:1856
	s_waitcnt vmcnt(4) lgkmcnt(1)
	v_mul_f64 v[54:55], v[2:3], v[36:37]
	v_mul_f64 v[36:37], v[4:5], v[36:37]
	v_add_f64 v[22:23], v[22:23], v[26:27]
	v_add_f64 v[24:25], v[28:29], v[52:53]
	s_waitcnt vmcnt(3) lgkmcnt(0)
	v_mul_f64 v[26:27], v[18:19], v[182:183]
	v_mul_f64 v[28:29], v[20:21], v[182:183]
	v_fma_f64 v[30:31], v[4:5], v[34:35], v[54:55]
	v_fma_f64 v[32:33], v[2:3], v[34:35], -v[36:37]
	v_add_f64 v[22:23], v[22:23], v[14:15]
	v_add_f64 v[24:25], v[24:25], v[16:17]
	ds_load_b128 v[2:5], v1 offset:1872
	ds_load_b128 v[14:17], v1 offset:1888
	v_fma_f64 v[20:21], v[20:21], v[180:181], v[26:27]
	v_fma_f64 v[18:19], v[18:19], v[180:181], -v[28:29]
	s_waitcnt vmcnt(2) lgkmcnt(1)
	v_mul_f64 v[34:35], v[2:3], v[40:41]
	v_mul_f64 v[36:37], v[4:5], v[40:41]
	s_waitcnt vmcnt(1) lgkmcnt(0)
	v_mul_f64 v[26:27], v[14:15], v[8:9]
	v_mul_f64 v[8:9], v[16:17], v[8:9]
	v_add_f64 v[22:23], v[22:23], v[32:33]
	v_add_f64 v[24:25], v[24:25], v[30:31]
	v_fma_f64 v[28:29], v[4:5], v[38:39], v[34:35]
	v_fma_f64 v[30:31], v[2:3], v[38:39], -v[36:37]
	ds_load_b128 v[2:5], v1 offset:1904
	v_fma_f64 v[16:17], v[16:17], v[6:7], v[26:27]
	v_fma_f64 v[6:7], v[14:15], v[6:7], -v[8:9]
	v_add_f64 v[18:19], v[22:23], v[18:19]
	v_add_f64 v[20:21], v[24:25], v[20:21]
	s_waitcnt vmcnt(0) lgkmcnt(0)
	v_mul_f64 v[22:23], v[2:3], v[12:13]
	v_mul_f64 v[12:13], v[4:5], v[12:13]
	s_delay_alu instid0(VALU_DEP_4) | instskip(NEXT) | instid1(VALU_DEP_4)
	v_add_f64 v[8:9], v[18:19], v[30:31]
	v_add_f64 v[14:15], v[20:21], v[28:29]
	s_delay_alu instid0(VALU_DEP_4) | instskip(NEXT) | instid1(VALU_DEP_4)
	v_fma_f64 v[4:5], v[4:5], v[10:11], v[22:23]
	v_fma_f64 v[2:3], v[2:3], v[10:11], -v[12:13]
	s_delay_alu instid0(VALU_DEP_4) | instskip(NEXT) | instid1(VALU_DEP_4)
	v_add_f64 v[6:7], v[8:9], v[6:7]
	v_add_f64 v[8:9], v[14:15], v[16:17]
	s_delay_alu instid0(VALU_DEP_2) | instskip(NEXT) | instid1(VALU_DEP_2)
	v_add_f64 v[2:3], v[6:7], v[2:3]
	v_add_f64 v[4:5], v[8:9], v[4:5]
	s_delay_alu instid0(VALU_DEP_2) | instskip(NEXT) | instid1(VALU_DEP_2)
	v_add_f64 v[2:3], v[42:43], -v[2:3]
	v_add_f64 v[4:5], v[44:45], -v[4:5]
	scratch_store_b128 off, v[2:5], off offset:256
	v_cmpx_lt_u32_e32 15, v166
	s_cbranch_execz .LBB59_343
; %bb.342:
	scratch_load_b128 v[5:8], v229, off
	v_mov_b32_e32 v2, v1
	v_mov_b32_e32 v3, v1
	;; [unrolled: 1-line block ×3, first 2 shown]
	scratch_store_b128 off, v[1:4], off offset:240
	s_waitcnt vmcnt(0)
	ds_store_b128 v226, v[5:8]
.LBB59_343:
	s_or_b32 exec_lo, exec_lo, s2
	s_waitcnt lgkmcnt(0)
	s_waitcnt_vscnt null, 0x0
	s_barrier
	buffer_gl0_inv
	s_clause 0x8
	scratch_load_b128 v[2:5], off, off offset:256
	scratch_load_b128 v[6:9], off, off offset:272
	;; [unrolled: 1-line block ×9, first 2 shown]
	ds_load_b128 v[42:45], v1 offset:1216
	ds_load_b128 v[38:41], v1 offset:1232
	s_clause 0x1
	scratch_load_b128 v[180:183], off, off offset:240
	scratch_load_b128 v[201:204], off, off offset:400
	s_mov_b32 s2, exec_lo
	ds_load_b128 v[230:233], v1 offset:1264
	s_waitcnt vmcnt(10) lgkmcnt(2)
	v_mul_f64 v[52:53], v[44:45], v[4:5]
	v_mul_f64 v[4:5], v[42:43], v[4:5]
	s_waitcnt vmcnt(9) lgkmcnt(1)
	v_mul_f64 v[54:55], v[38:39], v[8:9]
	v_mul_f64 v[8:9], v[40:41], v[8:9]
	s_delay_alu instid0(VALU_DEP_4) | instskip(NEXT) | instid1(VALU_DEP_4)
	v_fma_f64 v[52:53], v[42:43], v[2:3], -v[52:53]
	v_fma_f64 v[56:57], v[44:45], v[2:3], v[4:5]
	ds_load_b128 v[2:5], v1 offset:1248
	scratch_load_b128 v[42:45], off, off offset:416
	v_fma_f64 v[40:41], v[40:41], v[6:7], v[54:55]
	v_fma_f64 v[38:39], v[38:39], v[6:7], -v[8:9]
	scratch_load_b128 v[6:9], off, off offset:432
	s_waitcnt vmcnt(10) lgkmcnt(0)
	v_mul_f64 v[58:59], v[2:3], v[12:13]
	v_mul_f64 v[12:13], v[4:5], v[12:13]
	v_add_f64 v[52:53], v[52:53], 0
	v_add_f64 v[54:55], v[56:57], 0
	s_waitcnt vmcnt(9)
	v_mul_f64 v[56:57], v[230:231], v[16:17]
	v_mul_f64 v[16:17], v[232:233], v[16:17]
	v_fma_f64 v[58:59], v[4:5], v[10:11], v[58:59]
	v_fma_f64 v[60:61], v[2:3], v[10:11], -v[12:13]
	ds_load_b128 v[2:5], v1 offset:1280
	scratch_load_b128 v[10:13], off, off offset:448
	v_add_f64 v[52:53], v[52:53], v[38:39]
	v_add_f64 v[54:55], v[54:55], v[40:41]
	ds_load_b128 v[38:41], v1 offset:1296
	v_fma_f64 v[56:57], v[232:233], v[14:15], v[56:57]
	v_fma_f64 v[64:65], v[230:231], v[14:15], -v[16:17]
	scratch_load_b128 v[14:17], off, off offset:464
	s_waitcnt vmcnt(10) lgkmcnt(1)
	v_mul_f64 v[62:63], v[2:3], v[20:21]
	v_mul_f64 v[20:21], v[4:5], v[20:21]
	ds_load_b128 v[230:233], v1 offset:1328
	v_add_f64 v[52:53], v[52:53], v[60:61]
	v_add_f64 v[54:55], v[54:55], v[58:59]
	s_waitcnt vmcnt(9) lgkmcnt(1)
	v_mul_f64 v[58:59], v[38:39], v[24:25]
	v_mul_f64 v[24:25], v[40:41], v[24:25]
	v_fma_f64 v[60:61], v[4:5], v[18:19], v[62:63]
	v_fma_f64 v[62:63], v[2:3], v[18:19], -v[20:21]
	ds_load_b128 v[2:5], v1 offset:1312
	scratch_load_b128 v[18:21], off, off offset:480
	v_add_f64 v[52:53], v[52:53], v[64:65]
	v_add_f64 v[54:55], v[54:55], v[56:57]
	s_waitcnt vmcnt(9) lgkmcnt(0)
	v_mul_f64 v[56:57], v[2:3], v[28:29]
	v_mul_f64 v[28:29], v[4:5], v[28:29]
	v_fma_f64 v[40:41], v[40:41], v[22:23], v[58:59]
	v_fma_f64 v[38:39], v[38:39], v[22:23], -v[24:25]
	scratch_load_b128 v[22:25], off, off offset:496
	s_waitcnt vmcnt(9)
	v_mul_f64 v[58:59], v[230:231], v[32:33]
	v_mul_f64 v[32:33], v[232:233], v[32:33]
	v_add_f64 v[52:53], v[52:53], v[62:63]
	v_add_f64 v[54:55], v[54:55], v[60:61]
	v_fma_f64 v[56:57], v[4:5], v[26:27], v[56:57]
	v_fma_f64 v[60:61], v[2:3], v[26:27], -v[28:29]
	ds_load_b128 v[2:5], v1 offset:1344
	scratch_load_b128 v[26:29], off, off offset:512
	v_fma_f64 v[58:59], v[232:233], v[30:31], v[58:59]
	v_fma_f64 v[64:65], v[230:231], v[30:31], -v[32:33]
	scratch_load_b128 v[30:33], off, off offset:528
	ds_load_b128 v[230:233], v1 offset:1392
	v_add_f64 v[52:53], v[52:53], v[38:39]
	v_add_f64 v[54:55], v[54:55], v[40:41]
	ds_load_b128 v[38:41], v1 offset:1360
	s_waitcnt vmcnt(10) lgkmcnt(2)
	v_mul_f64 v[62:63], v[2:3], v[36:37]
	v_mul_f64 v[36:37], v[4:5], v[36:37]
	v_add_f64 v[52:53], v[52:53], v[60:61]
	v_add_f64 v[54:55], v[54:55], v[56:57]
	s_waitcnt vmcnt(8) lgkmcnt(0)
	v_mul_f64 v[56:57], v[38:39], v[203:204]
	v_mul_f64 v[60:61], v[40:41], v[203:204]
	v_fma_f64 v[62:63], v[4:5], v[34:35], v[62:63]
	v_fma_f64 v[66:67], v[2:3], v[34:35], -v[36:37]
	ds_load_b128 v[2:5], v1 offset:1376
	scratch_load_b128 v[34:37], off, off offset:544
	v_add_f64 v[52:53], v[52:53], v[64:65]
	v_add_f64 v[54:55], v[54:55], v[58:59]
	v_fma_f64 v[56:57], v[40:41], v[201:202], v[56:57]
	v_fma_f64 v[60:61], v[38:39], v[201:202], -v[60:61]
	scratch_load_b128 v[38:41], off, off offset:560
	ds_load_b128 v[201:204], v1 offset:1424
	s_waitcnt vmcnt(9) lgkmcnt(1)
	v_mul_f64 v[58:59], v[2:3], v[44:45]
	v_mul_f64 v[44:45], v[4:5], v[44:45]
	v_add_f64 v[52:53], v[52:53], v[66:67]
	v_add_f64 v[54:55], v[54:55], v[62:63]
	s_waitcnt vmcnt(8)
	v_mul_f64 v[62:63], v[230:231], v[8:9]
	v_mul_f64 v[8:9], v[232:233], v[8:9]
	v_fma_f64 v[58:59], v[4:5], v[42:43], v[58:59]
	v_fma_f64 v[64:65], v[2:3], v[42:43], -v[44:45]
	ds_load_b128 v[2:5], v1 offset:1408
	scratch_load_b128 v[42:45], off, off offset:576
	v_add_f64 v[52:53], v[52:53], v[60:61]
	v_add_f64 v[54:55], v[54:55], v[56:57]
	v_fma_f64 v[60:61], v[232:233], v[6:7], v[62:63]
	s_waitcnt vmcnt(8) lgkmcnt(0)
	v_mul_f64 v[56:57], v[2:3], v[12:13]
	v_mul_f64 v[12:13], v[4:5], v[12:13]
	v_fma_f64 v[62:63], v[230:231], v[6:7], -v[8:9]
	scratch_load_b128 v[6:9], off, off offset:592
	ds_load_b128 v[230:233], v1 offset:1456
	v_add_f64 v[52:53], v[52:53], v[64:65]
	v_add_f64 v[54:55], v[54:55], v[58:59]
	s_waitcnt vmcnt(8)
	v_mul_f64 v[58:59], v[201:202], v[16:17]
	v_mul_f64 v[16:17], v[203:204], v[16:17]
	v_fma_f64 v[56:57], v[4:5], v[10:11], v[56:57]
	v_fma_f64 v[64:65], v[2:3], v[10:11], -v[12:13]
	ds_load_b128 v[2:5], v1 offset:1440
	scratch_load_b128 v[10:13], off, off offset:608
	v_add_f64 v[52:53], v[52:53], v[62:63]
	v_add_f64 v[54:55], v[54:55], v[60:61]
	s_waitcnt vmcnt(8) lgkmcnt(0)
	v_mul_f64 v[60:61], v[2:3], v[20:21]
	v_mul_f64 v[20:21], v[4:5], v[20:21]
	v_fma_f64 v[58:59], v[203:204], v[14:15], v[58:59]
	v_fma_f64 v[62:63], v[201:202], v[14:15], -v[16:17]
	scratch_load_b128 v[14:17], off, off offset:624
	ds_load_b128 v[201:204], v1 offset:1488
	v_add_f64 v[52:53], v[52:53], v[64:65]
	v_add_f64 v[54:55], v[54:55], v[56:57]
	s_waitcnt vmcnt(8)
	v_mul_f64 v[56:57], v[230:231], v[24:25]
	v_mul_f64 v[24:25], v[232:233], v[24:25]
	v_fma_f64 v[60:61], v[4:5], v[18:19], v[60:61]
	v_fma_f64 v[64:65], v[2:3], v[18:19], -v[20:21]
	ds_load_b128 v[2:5], v1 offset:1472
	scratch_load_b128 v[18:21], off, off offset:640
	v_add_f64 v[52:53], v[52:53], v[62:63]
	v_add_f64 v[54:55], v[54:55], v[58:59]
	s_waitcnt vmcnt(8) lgkmcnt(0)
	v_mul_f64 v[58:59], v[2:3], v[28:29]
	v_mul_f64 v[28:29], v[4:5], v[28:29]
	v_fma_f64 v[56:57], v[232:233], v[22:23], v[56:57]
	;; [unrolled: 18-line block ×11, first 2 shown]
	v_fma_f64 v[62:63], v[201:202], v[14:15], -v[16:17]
	scratch_load_b128 v[14:17], off, off offset:944
	v_add_f64 v[52:53], v[52:53], v[64:65]
	v_add_f64 v[54:55], v[54:55], v[60:61]
	s_waitcnt vmcnt(8)
	v_mul_f64 v[60:61], v[230:231], v[24:25]
	v_mul_f64 v[24:25], v[232:233], v[24:25]
	v_fma_f64 v[58:59], v[4:5], v[18:19], v[58:59]
	v_fma_f64 v[64:65], v[2:3], v[18:19], -v[20:21]
	ds_load_b128 v[2:5], v1 offset:1792
	ds_load_b128 v[18:21], v1 offset:1808
	v_add_f64 v[52:53], v[52:53], v[62:63]
	v_add_f64 v[54:55], v[54:55], v[56:57]
	s_waitcnt vmcnt(7) lgkmcnt(1)
	v_mul_f64 v[56:57], v[2:3], v[28:29]
	v_mul_f64 v[28:29], v[4:5], v[28:29]
	v_fma_f64 v[60:61], v[232:233], v[22:23], v[60:61]
	v_fma_f64 v[22:23], v[230:231], v[22:23], -v[24:25]
	v_add_f64 v[24:25], v[52:53], v[64:65]
	v_add_f64 v[52:53], v[54:55], v[58:59]
	s_waitcnt vmcnt(6) lgkmcnt(0)
	v_mul_f64 v[54:55], v[18:19], v[32:33]
	v_mul_f64 v[32:33], v[20:21], v[32:33]
	v_fma_f64 v[56:57], v[4:5], v[26:27], v[56:57]
	v_fma_f64 v[26:27], v[2:3], v[26:27], -v[28:29]
	v_add_f64 v[28:29], v[24:25], v[22:23]
	v_add_f64 v[52:53], v[52:53], v[60:61]
	ds_load_b128 v[2:5], v1 offset:1824
	ds_load_b128 v[22:25], v1 offset:1840
	v_fma_f64 v[20:21], v[20:21], v[30:31], v[54:55]
	v_fma_f64 v[18:19], v[18:19], v[30:31], -v[32:33]
	s_waitcnt vmcnt(5) lgkmcnt(1)
	v_mul_f64 v[58:59], v[2:3], v[36:37]
	v_mul_f64 v[36:37], v[4:5], v[36:37]
	s_waitcnt vmcnt(4) lgkmcnt(0)
	v_mul_f64 v[30:31], v[22:23], v[40:41]
	v_mul_f64 v[32:33], v[24:25], v[40:41]
	v_add_f64 v[26:27], v[28:29], v[26:27]
	v_add_f64 v[28:29], v[52:53], v[56:57]
	v_fma_f64 v[40:41], v[4:5], v[34:35], v[58:59]
	v_fma_f64 v[34:35], v[2:3], v[34:35], -v[36:37]
	v_fma_f64 v[24:25], v[24:25], v[38:39], v[30:31]
	v_fma_f64 v[22:23], v[22:23], v[38:39], -v[32:33]
	v_add_f64 v[26:27], v[26:27], v[18:19]
	v_add_f64 v[28:29], v[28:29], v[20:21]
	ds_load_b128 v[2:5], v1 offset:1856
	ds_load_b128 v[18:21], v1 offset:1872
	s_waitcnt vmcnt(3) lgkmcnt(1)
	v_mul_f64 v[36:37], v[2:3], v[44:45]
	v_mul_f64 v[44:45], v[4:5], v[44:45]
	s_waitcnt vmcnt(2) lgkmcnt(0)
	v_mul_f64 v[30:31], v[18:19], v[8:9]
	v_mul_f64 v[8:9], v[20:21], v[8:9]
	v_add_f64 v[26:27], v[26:27], v[34:35]
	v_add_f64 v[28:29], v[28:29], v[40:41]
	v_fma_f64 v[32:33], v[4:5], v[42:43], v[36:37]
	v_fma_f64 v[34:35], v[2:3], v[42:43], -v[44:45]
	v_fma_f64 v[20:21], v[20:21], v[6:7], v[30:31]
	v_fma_f64 v[6:7], v[18:19], v[6:7], -v[8:9]
	v_add_f64 v[26:27], v[26:27], v[22:23]
	v_add_f64 v[28:29], v[28:29], v[24:25]
	ds_load_b128 v[2:5], v1 offset:1888
	ds_load_b128 v[22:25], v1 offset:1904
	s_waitcnt vmcnt(1) lgkmcnt(1)
	v_mul_f64 v[36:37], v[2:3], v[12:13]
	v_mul_f64 v[12:13], v[4:5], v[12:13]
	v_add_f64 v[8:9], v[26:27], v[34:35]
	v_add_f64 v[18:19], v[28:29], v[32:33]
	s_waitcnt vmcnt(0) lgkmcnt(0)
	v_mul_f64 v[26:27], v[22:23], v[16:17]
	v_mul_f64 v[16:17], v[24:25], v[16:17]
	v_fma_f64 v[4:5], v[4:5], v[10:11], v[36:37]
	v_fma_f64 v[1:2], v[2:3], v[10:11], -v[12:13]
	v_add_f64 v[6:7], v[8:9], v[6:7]
	v_add_f64 v[8:9], v[18:19], v[20:21]
	v_fma_f64 v[10:11], v[24:25], v[14:15], v[26:27]
	v_fma_f64 v[12:13], v[22:23], v[14:15], -v[16:17]
	s_delay_alu instid0(VALU_DEP_4) | instskip(NEXT) | instid1(VALU_DEP_4)
	v_add_f64 v[1:2], v[6:7], v[1:2]
	v_add_f64 v[3:4], v[8:9], v[4:5]
	s_delay_alu instid0(VALU_DEP_2) | instskip(NEXT) | instid1(VALU_DEP_2)
	v_add_f64 v[1:2], v[1:2], v[12:13]
	v_add_f64 v[3:4], v[3:4], v[10:11]
	s_delay_alu instid0(VALU_DEP_2) | instskip(NEXT) | instid1(VALU_DEP_2)
	v_add_f64 v[1:2], v[180:181], -v[1:2]
	v_add_f64 v[3:4], v[182:183], -v[3:4]
	scratch_store_b128 off, v[1:4], off offset:240
	v_cmpx_lt_u32_e32 14, v166
	s_cbranch_execz .LBB59_345
; %bb.344:
	scratch_load_b128 v[1:4], v227, off
	v_mov_b32_e32 v5, 0
	s_delay_alu instid0(VALU_DEP_1)
	v_mov_b32_e32 v6, v5
	v_mov_b32_e32 v7, v5
	;; [unrolled: 1-line block ×3, first 2 shown]
	scratch_store_b128 off, v[5:8], off offset:224
	s_waitcnt vmcnt(0)
	ds_store_b128 v226, v[1:4]
.LBB59_345:
	s_or_b32 exec_lo, exec_lo, s2
	s_waitcnt lgkmcnt(0)
	s_waitcnt_vscnt null, 0x0
	s_barrier
	buffer_gl0_inv
	s_clause 0x7
	scratch_load_b128 v[2:5], off, off offset:240
	scratch_load_b128 v[6:9], off, off offset:256
	;; [unrolled: 1-line block ×8, first 2 shown]
	v_mov_b32_e32 v1, 0
	s_mov_b32 s2, exec_lo
	ds_load_b128 v[38:41], v1 offset:1200
	s_clause 0x1
	scratch_load_b128 v[34:37], off, off offset:368
	scratch_load_b128 v[42:45], off, off offset:224
	ds_load_b128 v[180:183], v1 offset:1216
	scratch_load_b128 v[201:204], off, off offset:384
	ds_load_b128 v[230:233], v1 offset:1248
	s_waitcnt vmcnt(10) lgkmcnt(2)
	v_mul_f64 v[52:53], v[40:41], v[4:5]
	v_mul_f64 v[4:5], v[38:39], v[4:5]
	s_delay_alu instid0(VALU_DEP_2) | instskip(NEXT) | instid1(VALU_DEP_2)
	v_fma_f64 v[52:53], v[38:39], v[2:3], -v[52:53]
	v_fma_f64 v[56:57], v[40:41], v[2:3], v[4:5]
	ds_load_b128 v[2:5], v1 offset:1232
	s_waitcnt vmcnt(9) lgkmcnt(2)
	v_mul_f64 v[54:55], v[180:181], v[8:9]
	v_mul_f64 v[8:9], v[182:183], v[8:9]
	scratch_load_b128 v[38:41], off, off offset:400
	s_waitcnt vmcnt(9) lgkmcnt(0)
	v_mul_f64 v[58:59], v[2:3], v[12:13]
	v_mul_f64 v[12:13], v[4:5], v[12:13]
	v_add_f64 v[52:53], v[52:53], 0
	v_add_f64 v[56:57], v[56:57], 0
	v_fma_f64 v[54:55], v[182:183], v[6:7], v[54:55]
	v_fma_f64 v[60:61], v[180:181], v[6:7], -v[8:9]
	scratch_load_b128 v[6:9], off, off offset:416
	ds_load_b128 v[180:183], v1 offset:1280
	v_fma_f64 v[58:59], v[4:5], v[10:11], v[58:59]
	v_fma_f64 v[64:65], v[2:3], v[10:11], -v[12:13]
	ds_load_b128 v[2:5], v1 offset:1264
	s_waitcnt vmcnt(9)
	v_mul_f64 v[62:63], v[230:231], v[16:17]
	v_mul_f64 v[16:17], v[232:233], v[16:17]
	scratch_load_b128 v[10:13], off, off offset:432
	v_add_f64 v[54:55], v[56:57], v[54:55]
	v_add_f64 v[52:53], v[52:53], v[60:61]
	s_waitcnt vmcnt(9) lgkmcnt(0)
	v_mul_f64 v[56:57], v[2:3], v[20:21]
	v_mul_f64 v[20:21], v[4:5], v[20:21]
	v_fma_f64 v[60:61], v[232:233], v[14:15], v[62:63]
	v_fma_f64 v[62:63], v[230:231], v[14:15], -v[16:17]
	scratch_load_b128 v[14:17], off, off offset:448
	ds_load_b128 v[230:233], v1 offset:1312
	v_add_f64 v[54:55], v[54:55], v[58:59]
	v_add_f64 v[52:53], v[52:53], v[64:65]
	v_fma_f64 v[56:57], v[4:5], v[18:19], v[56:57]
	v_fma_f64 v[64:65], v[2:3], v[18:19], -v[20:21]
	ds_load_b128 v[2:5], v1 offset:1296
	s_waitcnt vmcnt(9)
	v_mul_f64 v[58:59], v[180:181], v[24:25]
	v_mul_f64 v[24:25], v[182:183], v[24:25]
	scratch_load_b128 v[18:21], off, off offset:464
	v_add_f64 v[54:55], v[54:55], v[60:61]
	v_add_f64 v[52:53], v[52:53], v[62:63]
	s_waitcnt vmcnt(9) lgkmcnt(0)
	v_mul_f64 v[60:61], v[2:3], v[28:29]
	v_mul_f64 v[28:29], v[4:5], v[28:29]
	v_fma_f64 v[58:59], v[182:183], v[22:23], v[58:59]
	v_fma_f64 v[62:63], v[180:181], v[22:23], -v[24:25]
	scratch_load_b128 v[22:25], off, off offset:480
	ds_load_b128 v[180:183], v1 offset:1344
	v_add_f64 v[54:55], v[54:55], v[56:57]
	v_add_f64 v[52:53], v[52:53], v[64:65]
	;; [unrolled: 18-line block ×3, first 2 shown]
	v_fma_f64 v[58:59], v[4:5], v[34:35], v[58:59]
	v_fma_f64 v[66:67], v[2:3], v[34:35], -v[36:37]
	ds_load_b128 v[2:5], v1 offset:1360
	s_waitcnt vmcnt(8)
	v_mul_f64 v[60:61], v[180:181], v[203:204]
	v_mul_f64 v[64:65], v[182:183], v[203:204]
	scratch_load_b128 v[34:37], off, off offset:528
	v_add_f64 v[54:55], v[54:55], v[56:57]
	v_add_f64 v[52:53], v[52:53], v[62:63]
	v_fma_f64 v[60:61], v[182:183], v[201:202], v[60:61]
	v_fma_f64 v[62:63], v[180:181], v[201:202], -v[64:65]
	scratch_load_b128 v[180:183], off, off offset:544
	ds_load_b128 v[201:204], v1 offset:1408
	s_waitcnt vmcnt(9) lgkmcnt(1)
	v_mul_f64 v[56:57], v[2:3], v[40:41]
	v_mul_f64 v[40:41], v[4:5], v[40:41]
	v_add_f64 v[54:55], v[54:55], v[58:59]
	v_add_f64 v[52:53], v[52:53], v[66:67]
	s_delay_alu instid0(VALU_DEP_4) | instskip(NEXT) | instid1(VALU_DEP_4)
	v_fma_f64 v[56:57], v[4:5], v[38:39], v[56:57]
	v_fma_f64 v[64:65], v[2:3], v[38:39], -v[40:41]
	ds_load_b128 v[2:5], v1 offset:1392
	s_waitcnt vmcnt(8)
	v_mul_f64 v[58:59], v[230:231], v[8:9]
	v_mul_f64 v[8:9], v[232:233], v[8:9]
	scratch_load_b128 v[38:41], off, off offset:560
	v_add_f64 v[54:55], v[54:55], v[60:61]
	v_add_f64 v[52:53], v[52:53], v[62:63]
	s_waitcnt vmcnt(8) lgkmcnt(0)
	v_mul_f64 v[60:61], v[2:3], v[12:13]
	v_mul_f64 v[12:13], v[4:5], v[12:13]
	v_fma_f64 v[58:59], v[232:233], v[6:7], v[58:59]
	v_fma_f64 v[62:63], v[230:231], v[6:7], -v[8:9]
	scratch_load_b128 v[6:9], off, off offset:576
	ds_load_b128 v[230:233], v1 offset:1440
	v_add_f64 v[54:55], v[54:55], v[56:57]
	v_add_f64 v[52:53], v[52:53], v[64:65]
	v_fma_f64 v[60:61], v[4:5], v[10:11], v[60:61]
	v_fma_f64 v[64:65], v[2:3], v[10:11], -v[12:13]
	ds_load_b128 v[2:5], v1 offset:1424
	s_waitcnt vmcnt(8)
	v_mul_f64 v[56:57], v[201:202], v[16:17]
	v_mul_f64 v[16:17], v[203:204], v[16:17]
	scratch_load_b128 v[10:13], off, off offset:592
	v_add_f64 v[54:55], v[54:55], v[58:59]
	v_add_f64 v[52:53], v[52:53], v[62:63]
	s_waitcnt vmcnt(8) lgkmcnt(0)
	v_mul_f64 v[58:59], v[2:3], v[20:21]
	v_mul_f64 v[20:21], v[4:5], v[20:21]
	v_fma_f64 v[56:57], v[203:204], v[14:15], v[56:57]
	v_fma_f64 v[62:63], v[201:202], v[14:15], -v[16:17]
	scratch_load_b128 v[14:17], off, off offset:608
	ds_load_b128 v[201:204], v1 offset:1472
	v_add_f64 v[54:55], v[54:55], v[60:61]
	v_add_f64 v[52:53], v[52:53], v[64:65]
	;; [unrolled: 18-line block ×3, first 2 shown]
	v_fma_f64 v[56:57], v[4:5], v[26:27], v[56:57]
	v_fma_f64 v[64:65], v[2:3], v[26:27], -v[28:29]
	ds_load_b128 v[2:5], v1 offset:1488
	s_waitcnt vmcnt(8)
	v_mul_f64 v[58:59], v[201:202], v[32:33]
	v_mul_f64 v[32:33], v[203:204], v[32:33]
	scratch_load_b128 v[26:29], off, off offset:656
	v_add_f64 v[54:55], v[54:55], v[60:61]
	v_add_f64 v[52:53], v[52:53], v[62:63]
	s_waitcnt vmcnt(8) lgkmcnt(0)
	v_mul_f64 v[60:61], v[2:3], v[36:37]
	v_mul_f64 v[36:37], v[4:5], v[36:37]
	v_fma_f64 v[58:59], v[203:204], v[30:31], v[58:59]
	v_fma_f64 v[62:63], v[201:202], v[30:31], -v[32:33]
	s_clause 0x1
	scratch_load_b128 v[30:33], off, off offset:672
	scratch_load_b128 v[201:204], off, off offset:704
	v_add_f64 v[54:55], v[54:55], v[56:57]
	v_add_f64 v[52:53], v[52:53], v[64:65]
	v_fma_f64 v[60:61], v[4:5], v[34:35], v[60:61]
	v_fma_f64 v[66:67], v[2:3], v[34:35], -v[36:37]
	ds_load_b128 v[2:5], v1 offset:1520
	s_waitcnt vmcnt(9)
	v_mul_f64 v[56:57], v[230:231], v[182:183]
	v_mul_f64 v[64:65], v[232:233], v[182:183]
	scratch_load_b128 v[34:37], off, off offset:688
	ds_load_b128 v[182:185], v1 offset:1536
	v_add_f64 v[54:55], v[54:55], v[58:59]
	v_add_f64 v[52:53], v[52:53], v[62:63]
	s_waitcnt vmcnt(9) lgkmcnt(1)
	v_mul_f64 v[58:59], v[2:3], v[40:41]
	v_mul_f64 v[40:41], v[4:5], v[40:41]
	v_fma_f64 v[56:57], v[232:233], v[180:181], v[56:57]
	v_fma_f64 v[62:63], v[230:231], v[180:181], -v[64:65]
	ds_load_b128 v[230:233], v1 offset:1568
	v_add_f64 v[54:55], v[54:55], v[60:61]
	v_add_f64 v[52:53], v[52:53], v[66:67]
	v_fma_f64 v[58:59], v[4:5], v[38:39], v[58:59]
	v_fma_f64 v[64:65], v[2:3], v[38:39], -v[40:41]
	ds_load_b128 v[2:5], v1 offset:1552
	s_waitcnt vmcnt(8) lgkmcnt(2)
	v_mul_f64 v[60:61], v[182:183], v[8:9]
	v_mul_f64 v[8:9], v[184:185], v[8:9]
	scratch_load_b128 v[38:41], off, off offset:720
	v_add_f64 v[54:55], v[54:55], v[56:57]
	v_add_f64 v[52:53], v[52:53], v[62:63]
	s_waitcnt vmcnt(8) lgkmcnt(0)
	v_mul_f64 v[56:57], v[2:3], v[12:13]
	v_mul_f64 v[12:13], v[4:5], v[12:13]
	v_fma_f64 v[60:61], v[184:185], v[6:7], v[60:61]
	v_fma_f64 v[62:63], v[182:183], v[6:7], -v[8:9]
	scratch_load_b128 v[6:9], off, off offset:736
	ds_load_b128 v[180:183], v1 offset:1600
	v_add_f64 v[54:55], v[54:55], v[58:59]
	v_add_f64 v[52:53], v[52:53], v[64:65]
	v_fma_f64 v[56:57], v[4:5], v[10:11], v[56:57]
	v_fma_f64 v[64:65], v[2:3], v[10:11], -v[12:13]
	ds_load_b128 v[2:5], v1 offset:1584
	s_waitcnt vmcnt(8)
	v_mul_f64 v[58:59], v[230:231], v[16:17]
	v_mul_f64 v[16:17], v[232:233], v[16:17]
	scratch_load_b128 v[10:13], off, off offset:752
	v_add_f64 v[54:55], v[54:55], v[60:61]
	v_add_f64 v[52:53], v[52:53], v[62:63]
	s_waitcnt vmcnt(8) lgkmcnt(0)
	v_mul_f64 v[60:61], v[2:3], v[20:21]
	v_mul_f64 v[20:21], v[4:5], v[20:21]
	v_fma_f64 v[58:59], v[232:233], v[14:15], v[58:59]
	v_fma_f64 v[62:63], v[230:231], v[14:15], -v[16:17]
	scratch_load_b128 v[14:17], off, off offset:768
	ds_load_b128 v[230:233], v1 offset:1632
	v_add_f64 v[54:55], v[54:55], v[56:57]
	v_add_f64 v[52:53], v[52:53], v[64:65]
	v_fma_f64 v[60:61], v[4:5], v[18:19], v[60:61]
	v_fma_f64 v[64:65], v[2:3], v[18:19], -v[20:21]
	ds_load_b128 v[2:5], v1 offset:1616
	s_waitcnt vmcnt(8)
	;; [unrolled: 18-line block ×3, first 2 shown]
	v_mul_f64 v[60:61], v[230:231], v[32:33]
	v_mul_f64 v[32:33], v[232:233], v[32:33]
	scratch_load_b128 v[26:29], off, off offset:816
	v_add_f64 v[54:55], v[54:55], v[56:57]
	v_add_f64 v[52:53], v[52:53], v[62:63]
	s_waitcnt vmcnt(7) lgkmcnt(0)
	v_mul_f64 v[56:57], v[2:3], v[36:37]
	v_mul_f64 v[36:37], v[4:5], v[36:37]
	v_fma_f64 v[60:61], v[232:233], v[30:31], v[60:61]
	v_fma_f64 v[62:63], v[230:231], v[30:31], -v[32:33]
	scratch_load_b128 v[30:33], off, off offset:832
	ds_load_b128 v[230:233], v1 offset:1696
	v_add_f64 v[54:55], v[54:55], v[58:59]
	v_add_f64 v[52:53], v[52:53], v[64:65]
	v_fma_f64 v[56:57], v[4:5], v[34:35], v[56:57]
	v_fma_f64 v[66:67], v[2:3], v[34:35], -v[36:37]
	ds_load_b128 v[2:5], v1 offset:1680
	v_mul_f64 v[58:59], v[180:181], v[203:204]
	v_mul_f64 v[64:65], v[182:183], v[203:204]
	scratch_load_b128 v[34:37], off, off offset:848
	v_add_f64 v[54:55], v[54:55], v[60:61]
	v_add_f64 v[52:53], v[52:53], v[62:63]
	s_waitcnt vmcnt(8) lgkmcnt(0)
	v_mul_f64 v[60:61], v[2:3], v[40:41]
	v_mul_f64 v[40:41], v[4:5], v[40:41]
	v_fma_f64 v[58:59], v[182:183], v[201:202], v[58:59]
	v_fma_f64 v[62:63], v[180:181], v[201:202], -v[64:65]
	scratch_load_b128 v[180:183], off, off offset:864
	ds_load_b128 v[201:204], v1 offset:1728
	v_add_f64 v[54:55], v[54:55], v[56:57]
	v_add_f64 v[52:53], v[52:53], v[66:67]
	v_fma_f64 v[60:61], v[4:5], v[38:39], v[60:61]
	v_fma_f64 v[64:65], v[2:3], v[38:39], -v[40:41]
	ds_load_b128 v[2:5], v1 offset:1712
	s_waitcnt vmcnt(8)
	v_mul_f64 v[56:57], v[230:231], v[8:9]
	v_mul_f64 v[8:9], v[232:233], v[8:9]
	scratch_load_b128 v[38:41], off, off offset:880
	v_add_f64 v[54:55], v[54:55], v[58:59]
	v_add_f64 v[52:53], v[52:53], v[62:63]
	s_waitcnt vmcnt(8) lgkmcnt(0)
	v_mul_f64 v[58:59], v[2:3], v[12:13]
	v_mul_f64 v[12:13], v[4:5], v[12:13]
	v_fma_f64 v[56:57], v[232:233], v[6:7], v[56:57]
	v_fma_f64 v[62:63], v[230:231], v[6:7], -v[8:9]
	scratch_load_b128 v[6:9], off, off offset:896
	ds_load_b128 v[230:233], v1 offset:1760
	v_add_f64 v[54:55], v[54:55], v[60:61]
	v_add_f64 v[52:53], v[52:53], v[64:65]
	v_fma_f64 v[58:59], v[4:5], v[10:11], v[58:59]
	v_fma_f64 v[64:65], v[2:3], v[10:11], -v[12:13]
	ds_load_b128 v[2:5], v1 offset:1744
	s_waitcnt vmcnt(8)
	v_mul_f64 v[60:61], v[201:202], v[16:17]
	v_mul_f64 v[16:17], v[203:204], v[16:17]
	scratch_load_b128 v[10:13], off, off offset:912
	v_add_f64 v[54:55], v[54:55], v[56:57]
	v_add_f64 v[52:53], v[52:53], v[62:63]
	s_waitcnt vmcnt(8) lgkmcnt(0)
	v_mul_f64 v[56:57], v[2:3], v[20:21]
	v_mul_f64 v[20:21], v[4:5], v[20:21]
	v_fma_f64 v[60:61], v[203:204], v[14:15], v[60:61]
	v_fma_f64 v[62:63], v[201:202], v[14:15], -v[16:17]
	scratch_load_b128 v[14:17], off, off offset:928
	ds_load_b128 v[201:204], v1 offset:1792
	v_add_f64 v[54:55], v[54:55], v[58:59]
	v_add_f64 v[52:53], v[52:53], v[64:65]
	v_fma_f64 v[56:57], v[4:5], v[18:19], v[56:57]
	v_fma_f64 v[64:65], v[2:3], v[18:19], -v[20:21]
	scratch_load_b128 v[18:21], off, off offset:944
	ds_load_b128 v[2:5], v1 offset:1776
	s_waitcnt vmcnt(9)
	v_mul_f64 v[58:59], v[230:231], v[24:25]
	v_mul_f64 v[24:25], v[232:233], v[24:25]
	v_add_f64 v[54:55], v[54:55], v[60:61]
	v_add_f64 v[52:53], v[52:53], v[62:63]
	s_waitcnt vmcnt(8) lgkmcnt(0)
	v_mul_f64 v[60:61], v[2:3], v[28:29]
	v_mul_f64 v[28:29], v[4:5], v[28:29]
	v_fma_f64 v[58:59], v[232:233], v[22:23], v[58:59]
	v_fma_f64 v[22:23], v[230:231], v[22:23], -v[24:25]
	v_add_f64 v[24:25], v[52:53], v[64:65]
	v_add_f64 v[52:53], v[54:55], v[56:57]
	s_waitcnt vmcnt(7)
	v_mul_f64 v[54:55], v[201:202], v[32:33]
	v_mul_f64 v[32:33], v[203:204], v[32:33]
	v_fma_f64 v[56:57], v[4:5], v[26:27], v[60:61]
	v_fma_f64 v[26:27], v[2:3], v[26:27], -v[28:29]
	v_add_f64 v[28:29], v[24:25], v[22:23]
	v_add_f64 v[52:53], v[52:53], v[58:59]
	ds_load_b128 v[2:5], v1 offset:1808
	ds_load_b128 v[22:25], v1 offset:1824
	v_fma_f64 v[54:55], v[203:204], v[30:31], v[54:55]
	v_fma_f64 v[30:31], v[201:202], v[30:31], -v[32:33]
	s_waitcnt vmcnt(6) lgkmcnt(1)
	v_mul_f64 v[58:59], v[2:3], v[36:37]
	v_mul_f64 v[36:37], v[4:5], v[36:37]
	s_waitcnt vmcnt(5) lgkmcnt(0)
	v_mul_f64 v[32:33], v[22:23], v[182:183]
	v_add_f64 v[26:27], v[28:29], v[26:27]
	v_add_f64 v[28:29], v[52:53], v[56:57]
	v_mul_f64 v[52:53], v[24:25], v[182:183]
	v_fma_f64 v[56:57], v[4:5], v[34:35], v[58:59]
	v_fma_f64 v[34:35], v[2:3], v[34:35], -v[36:37]
	v_fma_f64 v[24:25], v[24:25], v[180:181], v[32:33]
	v_add_f64 v[30:31], v[26:27], v[30:31]
	v_add_f64 v[36:37], v[28:29], v[54:55]
	ds_load_b128 v[2:5], v1 offset:1840
	ds_load_b128 v[26:29], v1 offset:1856
	v_fma_f64 v[22:23], v[22:23], v[180:181], -v[52:53]
	s_waitcnt vmcnt(4) lgkmcnt(1)
	v_mul_f64 v[54:55], v[2:3], v[40:41]
	v_mul_f64 v[40:41], v[4:5], v[40:41]
	v_add_f64 v[30:31], v[30:31], v[34:35]
	v_add_f64 v[32:33], v[36:37], v[56:57]
	s_waitcnt vmcnt(3) lgkmcnt(0)
	v_mul_f64 v[34:35], v[26:27], v[8:9]
	v_mul_f64 v[8:9], v[28:29], v[8:9]
	v_fma_f64 v[36:37], v[4:5], v[38:39], v[54:55]
	v_fma_f64 v[38:39], v[2:3], v[38:39], -v[40:41]
	v_add_f64 v[30:31], v[30:31], v[22:23]
	v_add_f64 v[32:33], v[32:33], v[24:25]
	ds_load_b128 v[2:5], v1 offset:1872
	ds_load_b128 v[22:25], v1 offset:1888
	v_fma_f64 v[28:29], v[28:29], v[6:7], v[34:35]
	v_fma_f64 v[6:7], v[26:27], v[6:7], -v[8:9]
	s_waitcnt vmcnt(2) lgkmcnt(1)
	v_mul_f64 v[40:41], v[2:3], v[12:13]
	v_mul_f64 v[12:13], v[4:5], v[12:13]
	v_add_f64 v[8:9], v[30:31], v[38:39]
	v_add_f64 v[26:27], v[32:33], v[36:37]
	s_waitcnt vmcnt(1) lgkmcnt(0)
	v_mul_f64 v[30:31], v[22:23], v[16:17]
	v_mul_f64 v[16:17], v[24:25], v[16:17]
	v_fma_f64 v[32:33], v[4:5], v[10:11], v[40:41]
	v_fma_f64 v[10:11], v[2:3], v[10:11], -v[12:13]
	ds_load_b128 v[2:5], v1 offset:1904
	v_add_f64 v[6:7], v[8:9], v[6:7]
	v_add_f64 v[8:9], v[26:27], v[28:29]
	v_fma_f64 v[24:25], v[24:25], v[14:15], v[30:31]
	v_fma_f64 v[14:15], v[22:23], v[14:15], -v[16:17]
	s_waitcnt vmcnt(0) lgkmcnt(0)
	v_mul_f64 v[12:13], v[2:3], v[20:21]
	v_mul_f64 v[20:21], v[4:5], v[20:21]
	v_add_f64 v[6:7], v[6:7], v[10:11]
	v_add_f64 v[8:9], v[8:9], v[32:33]
	s_delay_alu instid0(VALU_DEP_4) | instskip(NEXT) | instid1(VALU_DEP_4)
	v_fma_f64 v[4:5], v[4:5], v[18:19], v[12:13]
	v_fma_f64 v[2:3], v[2:3], v[18:19], -v[20:21]
	s_delay_alu instid0(VALU_DEP_4) | instskip(NEXT) | instid1(VALU_DEP_4)
	v_add_f64 v[6:7], v[6:7], v[14:15]
	v_add_f64 v[8:9], v[8:9], v[24:25]
	s_delay_alu instid0(VALU_DEP_2) | instskip(NEXT) | instid1(VALU_DEP_2)
	v_add_f64 v[2:3], v[6:7], v[2:3]
	v_add_f64 v[4:5], v[8:9], v[4:5]
	s_delay_alu instid0(VALU_DEP_2) | instskip(NEXT) | instid1(VALU_DEP_2)
	v_add_f64 v[2:3], v[42:43], -v[2:3]
	v_add_f64 v[4:5], v[44:45], -v[4:5]
	scratch_store_b128 off, v[2:5], off offset:224
	v_cmpx_lt_u32_e32 13, v166
	s_cbranch_execz .LBB59_347
; %bb.346:
	scratch_load_b128 v[5:8], v228, off
	v_mov_b32_e32 v2, v1
	v_mov_b32_e32 v3, v1
	;; [unrolled: 1-line block ×3, first 2 shown]
	scratch_store_b128 off, v[1:4], off offset:208
	s_waitcnt vmcnt(0)
	ds_store_b128 v226, v[5:8]
.LBB59_347:
	s_or_b32 exec_lo, exec_lo, s2
	s_waitcnt lgkmcnt(0)
	s_waitcnt_vscnt null, 0x0
	s_barrier
	buffer_gl0_inv
	s_clause 0x8
	scratch_load_b128 v[2:5], off, off offset:224
	scratch_load_b128 v[6:9], off, off offset:240
	;; [unrolled: 1-line block ×9, first 2 shown]
	ds_load_b128 v[42:45], v1 offset:1184
	ds_load_b128 v[38:41], v1 offset:1200
	s_clause 0x1
	scratch_load_b128 v[180:183], off, off offset:208
	scratch_load_b128 v[201:204], off, off offset:368
	s_mov_b32 s2, exec_lo
	ds_load_b128 v[230:233], v1 offset:1232
	s_waitcnt vmcnt(10) lgkmcnt(2)
	v_mul_f64 v[52:53], v[44:45], v[4:5]
	v_mul_f64 v[4:5], v[42:43], v[4:5]
	s_waitcnt vmcnt(9) lgkmcnt(1)
	v_mul_f64 v[54:55], v[38:39], v[8:9]
	v_mul_f64 v[8:9], v[40:41], v[8:9]
	s_delay_alu instid0(VALU_DEP_4) | instskip(NEXT) | instid1(VALU_DEP_4)
	v_fma_f64 v[52:53], v[42:43], v[2:3], -v[52:53]
	v_fma_f64 v[56:57], v[44:45], v[2:3], v[4:5]
	ds_load_b128 v[2:5], v1 offset:1216
	scratch_load_b128 v[42:45], off, off offset:384
	v_fma_f64 v[40:41], v[40:41], v[6:7], v[54:55]
	v_fma_f64 v[38:39], v[38:39], v[6:7], -v[8:9]
	scratch_load_b128 v[6:9], off, off offset:400
	s_waitcnt vmcnt(10) lgkmcnt(0)
	v_mul_f64 v[58:59], v[2:3], v[12:13]
	v_mul_f64 v[12:13], v[4:5], v[12:13]
	v_add_f64 v[52:53], v[52:53], 0
	v_add_f64 v[54:55], v[56:57], 0
	s_waitcnt vmcnt(9)
	v_mul_f64 v[56:57], v[230:231], v[16:17]
	v_mul_f64 v[16:17], v[232:233], v[16:17]
	v_fma_f64 v[58:59], v[4:5], v[10:11], v[58:59]
	v_fma_f64 v[60:61], v[2:3], v[10:11], -v[12:13]
	ds_load_b128 v[2:5], v1 offset:1248
	scratch_load_b128 v[10:13], off, off offset:416
	v_add_f64 v[52:53], v[52:53], v[38:39]
	v_add_f64 v[54:55], v[54:55], v[40:41]
	ds_load_b128 v[38:41], v1 offset:1264
	v_fma_f64 v[56:57], v[232:233], v[14:15], v[56:57]
	v_fma_f64 v[64:65], v[230:231], v[14:15], -v[16:17]
	scratch_load_b128 v[14:17], off, off offset:432
	s_waitcnt vmcnt(10) lgkmcnt(1)
	v_mul_f64 v[62:63], v[2:3], v[20:21]
	v_mul_f64 v[20:21], v[4:5], v[20:21]
	ds_load_b128 v[230:233], v1 offset:1296
	v_add_f64 v[52:53], v[52:53], v[60:61]
	v_add_f64 v[54:55], v[54:55], v[58:59]
	s_waitcnt vmcnt(9) lgkmcnt(1)
	v_mul_f64 v[58:59], v[38:39], v[24:25]
	v_mul_f64 v[24:25], v[40:41], v[24:25]
	v_fma_f64 v[60:61], v[4:5], v[18:19], v[62:63]
	v_fma_f64 v[62:63], v[2:3], v[18:19], -v[20:21]
	ds_load_b128 v[2:5], v1 offset:1280
	scratch_load_b128 v[18:21], off, off offset:448
	v_add_f64 v[52:53], v[52:53], v[64:65]
	v_add_f64 v[54:55], v[54:55], v[56:57]
	s_waitcnt vmcnt(9) lgkmcnt(0)
	v_mul_f64 v[56:57], v[2:3], v[28:29]
	v_mul_f64 v[28:29], v[4:5], v[28:29]
	v_fma_f64 v[40:41], v[40:41], v[22:23], v[58:59]
	v_fma_f64 v[38:39], v[38:39], v[22:23], -v[24:25]
	scratch_load_b128 v[22:25], off, off offset:464
	s_waitcnt vmcnt(9)
	v_mul_f64 v[58:59], v[230:231], v[32:33]
	v_mul_f64 v[32:33], v[232:233], v[32:33]
	v_add_f64 v[52:53], v[52:53], v[62:63]
	v_add_f64 v[54:55], v[54:55], v[60:61]
	v_fma_f64 v[56:57], v[4:5], v[26:27], v[56:57]
	v_fma_f64 v[60:61], v[2:3], v[26:27], -v[28:29]
	ds_load_b128 v[2:5], v1 offset:1312
	scratch_load_b128 v[26:29], off, off offset:480
	v_fma_f64 v[58:59], v[232:233], v[30:31], v[58:59]
	v_fma_f64 v[64:65], v[230:231], v[30:31], -v[32:33]
	scratch_load_b128 v[30:33], off, off offset:496
	ds_load_b128 v[230:233], v1 offset:1360
	v_add_f64 v[52:53], v[52:53], v[38:39]
	v_add_f64 v[54:55], v[54:55], v[40:41]
	ds_load_b128 v[38:41], v1 offset:1328
	s_waitcnt vmcnt(10) lgkmcnt(2)
	v_mul_f64 v[62:63], v[2:3], v[36:37]
	v_mul_f64 v[36:37], v[4:5], v[36:37]
	v_add_f64 v[52:53], v[52:53], v[60:61]
	v_add_f64 v[54:55], v[54:55], v[56:57]
	s_waitcnt vmcnt(8) lgkmcnt(0)
	v_mul_f64 v[56:57], v[38:39], v[203:204]
	v_mul_f64 v[60:61], v[40:41], v[203:204]
	v_fma_f64 v[62:63], v[4:5], v[34:35], v[62:63]
	v_fma_f64 v[66:67], v[2:3], v[34:35], -v[36:37]
	ds_load_b128 v[2:5], v1 offset:1344
	scratch_load_b128 v[34:37], off, off offset:512
	v_add_f64 v[52:53], v[52:53], v[64:65]
	v_add_f64 v[54:55], v[54:55], v[58:59]
	v_fma_f64 v[56:57], v[40:41], v[201:202], v[56:57]
	v_fma_f64 v[60:61], v[38:39], v[201:202], -v[60:61]
	scratch_load_b128 v[38:41], off, off offset:528
	ds_load_b128 v[201:204], v1 offset:1392
	s_waitcnt vmcnt(9) lgkmcnt(1)
	v_mul_f64 v[58:59], v[2:3], v[44:45]
	v_mul_f64 v[44:45], v[4:5], v[44:45]
	v_add_f64 v[52:53], v[52:53], v[66:67]
	v_add_f64 v[54:55], v[54:55], v[62:63]
	s_waitcnt vmcnt(8)
	v_mul_f64 v[62:63], v[230:231], v[8:9]
	v_mul_f64 v[8:9], v[232:233], v[8:9]
	v_fma_f64 v[58:59], v[4:5], v[42:43], v[58:59]
	v_fma_f64 v[64:65], v[2:3], v[42:43], -v[44:45]
	ds_load_b128 v[2:5], v1 offset:1376
	scratch_load_b128 v[42:45], off, off offset:544
	v_add_f64 v[52:53], v[52:53], v[60:61]
	v_add_f64 v[54:55], v[54:55], v[56:57]
	v_fma_f64 v[60:61], v[232:233], v[6:7], v[62:63]
	s_waitcnt vmcnt(8) lgkmcnt(0)
	v_mul_f64 v[56:57], v[2:3], v[12:13]
	v_mul_f64 v[12:13], v[4:5], v[12:13]
	v_fma_f64 v[62:63], v[230:231], v[6:7], -v[8:9]
	scratch_load_b128 v[6:9], off, off offset:560
	ds_load_b128 v[230:233], v1 offset:1424
	v_add_f64 v[52:53], v[52:53], v[64:65]
	v_add_f64 v[54:55], v[54:55], v[58:59]
	s_waitcnt vmcnt(8)
	v_mul_f64 v[58:59], v[201:202], v[16:17]
	v_mul_f64 v[16:17], v[203:204], v[16:17]
	v_fma_f64 v[56:57], v[4:5], v[10:11], v[56:57]
	v_fma_f64 v[64:65], v[2:3], v[10:11], -v[12:13]
	ds_load_b128 v[2:5], v1 offset:1408
	scratch_load_b128 v[10:13], off, off offset:576
	v_add_f64 v[52:53], v[52:53], v[62:63]
	v_add_f64 v[54:55], v[54:55], v[60:61]
	s_waitcnt vmcnt(8) lgkmcnt(0)
	v_mul_f64 v[60:61], v[2:3], v[20:21]
	v_mul_f64 v[20:21], v[4:5], v[20:21]
	v_fma_f64 v[58:59], v[203:204], v[14:15], v[58:59]
	v_fma_f64 v[62:63], v[201:202], v[14:15], -v[16:17]
	scratch_load_b128 v[14:17], off, off offset:592
	ds_load_b128 v[201:204], v1 offset:1456
	v_add_f64 v[52:53], v[52:53], v[64:65]
	v_add_f64 v[54:55], v[54:55], v[56:57]
	s_waitcnt vmcnt(8)
	v_mul_f64 v[56:57], v[230:231], v[24:25]
	v_mul_f64 v[24:25], v[232:233], v[24:25]
	v_fma_f64 v[60:61], v[4:5], v[18:19], v[60:61]
	v_fma_f64 v[64:65], v[2:3], v[18:19], -v[20:21]
	ds_load_b128 v[2:5], v1 offset:1440
	scratch_load_b128 v[18:21], off, off offset:608
	v_add_f64 v[52:53], v[52:53], v[62:63]
	v_add_f64 v[54:55], v[54:55], v[58:59]
	s_waitcnt vmcnt(8) lgkmcnt(0)
	v_mul_f64 v[58:59], v[2:3], v[28:29]
	v_mul_f64 v[28:29], v[4:5], v[28:29]
	v_fma_f64 v[56:57], v[232:233], v[22:23], v[56:57]
	v_fma_f64 v[62:63], v[230:231], v[22:23], -v[24:25]
	scratch_load_b128 v[22:25], off, off offset:624
	ds_load_b128 v[230:233], v1 offset:1488
	v_add_f64 v[52:53], v[52:53], v[64:65]
	v_add_f64 v[54:55], v[54:55], v[60:61]
	s_waitcnt vmcnt(8)
	v_mul_f64 v[60:61], v[201:202], v[32:33]
	v_mul_f64 v[32:33], v[203:204], v[32:33]
	v_fma_f64 v[58:59], v[4:5], v[26:27], v[58:59]
	v_fma_f64 v[64:65], v[2:3], v[26:27], -v[28:29]
	ds_load_b128 v[2:5], v1 offset:1472
	scratch_load_b128 v[26:29], off, off offset:640
	v_add_f64 v[52:53], v[52:53], v[62:63]
	v_add_f64 v[54:55], v[54:55], v[56:57]
	s_waitcnt vmcnt(8) lgkmcnt(0)
	v_mul_f64 v[56:57], v[2:3], v[36:37]
	v_mul_f64 v[36:37], v[4:5], v[36:37]
	v_fma_f64 v[60:61], v[203:204], v[30:31], v[60:61]
	v_fma_f64 v[62:63], v[201:202], v[30:31], -v[32:33]
	scratch_load_b128 v[30:33], off, off offset:656
	ds_load_b128 v[201:204], v1 offset:1520
	v_add_f64 v[52:53], v[52:53], v[64:65]
	v_add_f64 v[54:55], v[54:55], v[58:59]
	s_waitcnt vmcnt(8)
	v_mul_f64 v[58:59], v[230:231], v[40:41]
	v_mul_f64 v[40:41], v[232:233], v[40:41]
	v_fma_f64 v[56:57], v[4:5], v[34:35], v[56:57]
	v_fma_f64 v[64:65], v[2:3], v[34:35], -v[36:37]
	ds_load_b128 v[2:5], v1 offset:1504
	scratch_load_b128 v[34:37], off, off offset:672
	v_add_f64 v[52:53], v[52:53], v[62:63]
	v_add_f64 v[54:55], v[54:55], v[60:61]
	s_waitcnt vmcnt(8) lgkmcnt(0)
	v_mul_f64 v[60:61], v[2:3], v[44:45]
	v_mul_f64 v[44:45], v[4:5], v[44:45]
	v_fma_f64 v[58:59], v[232:233], v[38:39], v[58:59]
	v_fma_f64 v[62:63], v[230:231], v[38:39], -v[40:41]
	scratch_load_b128 v[38:41], off, off offset:688
	ds_load_b128 v[230:233], v1 offset:1552
	v_add_f64 v[52:53], v[52:53], v[64:65]
	v_add_f64 v[54:55], v[54:55], v[56:57]
	s_waitcnt vmcnt(8)
	v_mul_f64 v[56:57], v[201:202], v[8:9]
	v_mul_f64 v[8:9], v[203:204], v[8:9]
	v_fma_f64 v[60:61], v[4:5], v[42:43], v[60:61]
	v_fma_f64 v[64:65], v[2:3], v[42:43], -v[44:45]
	ds_load_b128 v[2:5], v1 offset:1536
	scratch_load_b128 v[42:45], off, off offset:704
	v_add_f64 v[52:53], v[52:53], v[62:63]
	v_add_f64 v[54:55], v[54:55], v[58:59]
	s_waitcnt vmcnt(8) lgkmcnt(0)
	v_mul_f64 v[58:59], v[2:3], v[12:13]
	v_mul_f64 v[12:13], v[4:5], v[12:13]
	v_fma_f64 v[56:57], v[203:204], v[6:7], v[56:57]
	v_fma_f64 v[62:63], v[201:202], v[6:7], -v[8:9]
	scratch_load_b128 v[6:9], off, off offset:720
	ds_load_b128 v[201:204], v1 offset:1584
	v_add_f64 v[52:53], v[52:53], v[64:65]
	v_add_f64 v[54:55], v[54:55], v[60:61]
	s_waitcnt vmcnt(8)
	v_mul_f64 v[60:61], v[230:231], v[16:17]
	v_mul_f64 v[16:17], v[232:233], v[16:17]
	v_fma_f64 v[58:59], v[4:5], v[10:11], v[58:59]
	v_fma_f64 v[64:65], v[2:3], v[10:11], -v[12:13]
	ds_load_b128 v[2:5], v1 offset:1568
	scratch_load_b128 v[10:13], off, off offset:736
	v_add_f64 v[52:53], v[52:53], v[62:63]
	v_add_f64 v[54:55], v[54:55], v[56:57]
	s_waitcnt vmcnt(8) lgkmcnt(0)
	v_mul_f64 v[56:57], v[2:3], v[20:21]
	v_mul_f64 v[20:21], v[4:5], v[20:21]
	v_fma_f64 v[60:61], v[232:233], v[14:15], v[60:61]
	v_fma_f64 v[62:63], v[230:231], v[14:15], -v[16:17]
	scratch_load_b128 v[14:17], off, off offset:752
	ds_load_b128 v[230:233], v1 offset:1616
	v_add_f64 v[52:53], v[52:53], v[64:65]
	v_add_f64 v[54:55], v[54:55], v[58:59]
	s_waitcnt vmcnt(8)
	v_mul_f64 v[58:59], v[201:202], v[24:25]
	v_mul_f64 v[24:25], v[203:204], v[24:25]
	v_fma_f64 v[56:57], v[4:5], v[18:19], v[56:57]
	v_fma_f64 v[64:65], v[2:3], v[18:19], -v[20:21]
	ds_load_b128 v[2:5], v1 offset:1600
	scratch_load_b128 v[18:21], off, off offset:768
	v_add_f64 v[52:53], v[52:53], v[62:63]
	v_add_f64 v[54:55], v[54:55], v[60:61]
	s_waitcnt vmcnt(8) lgkmcnt(0)
	v_mul_f64 v[60:61], v[2:3], v[28:29]
	v_mul_f64 v[28:29], v[4:5], v[28:29]
	v_fma_f64 v[58:59], v[203:204], v[22:23], v[58:59]
	v_fma_f64 v[62:63], v[201:202], v[22:23], -v[24:25]
	scratch_load_b128 v[22:25], off, off offset:784
	ds_load_b128 v[201:204], v1 offset:1648
	v_add_f64 v[52:53], v[52:53], v[64:65]
	v_add_f64 v[54:55], v[54:55], v[56:57]
	s_waitcnt vmcnt(8)
	v_mul_f64 v[56:57], v[230:231], v[32:33]
	v_mul_f64 v[32:33], v[232:233], v[32:33]
	v_fma_f64 v[60:61], v[4:5], v[26:27], v[60:61]
	v_fma_f64 v[64:65], v[2:3], v[26:27], -v[28:29]
	ds_load_b128 v[2:5], v1 offset:1632
	scratch_load_b128 v[26:29], off, off offset:800
	v_add_f64 v[52:53], v[52:53], v[62:63]
	v_add_f64 v[54:55], v[54:55], v[58:59]
	s_waitcnt vmcnt(8) lgkmcnt(0)
	v_mul_f64 v[58:59], v[2:3], v[36:37]
	v_mul_f64 v[36:37], v[4:5], v[36:37]
	v_fma_f64 v[56:57], v[232:233], v[30:31], v[56:57]
	v_fma_f64 v[62:63], v[230:231], v[30:31], -v[32:33]
	scratch_load_b128 v[30:33], off, off offset:816
	ds_load_b128 v[230:233], v1 offset:1680
	v_add_f64 v[52:53], v[52:53], v[64:65]
	v_add_f64 v[54:55], v[54:55], v[60:61]
	s_waitcnt vmcnt(8)
	v_mul_f64 v[60:61], v[201:202], v[40:41]
	v_mul_f64 v[40:41], v[203:204], v[40:41]
	v_fma_f64 v[58:59], v[4:5], v[34:35], v[58:59]
	v_fma_f64 v[64:65], v[2:3], v[34:35], -v[36:37]
	ds_load_b128 v[2:5], v1 offset:1664
	scratch_load_b128 v[34:37], off, off offset:832
	v_add_f64 v[52:53], v[52:53], v[62:63]
	v_add_f64 v[54:55], v[54:55], v[56:57]
	s_waitcnt vmcnt(8) lgkmcnt(0)
	v_mul_f64 v[56:57], v[2:3], v[44:45]
	v_mul_f64 v[44:45], v[4:5], v[44:45]
	v_fma_f64 v[60:61], v[203:204], v[38:39], v[60:61]
	v_fma_f64 v[62:63], v[201:202], v[38:39], -v[40:41]
	scratch_load_b128 v[38:41], off, off offset:848
	ds_load_b128 v[201:204], v1 offset:1712
	v_add_f64 v[52:53], v[52:53], v[64:65]
	v_add_f64 v[54:55], v[54:55], v[58:59]
	s_waitcnt vmcnt(8)
	v_mul_f64 v[58:59], v[230:231], v[8:9]
	v_mul_f64 v[8:9], v[232:233], v[8:9]
	v_fma_f64 v[56:57], v[4:5], v[42:43], v[56:57]
	v_fma_f64 v[64:65], v[2:3], v[42:43], -v[44:45]
	ds_load_b128 v[2:5], v1 offset:1696
	scratch_load_b128 v[42:45], off, off offset:864
	v_add_f64 v[52:53], v[52:53], v[62:63]
	v_add_f64 v[54:55], v[54:55], v[60:61]
	s_waitcnt vmcnt(8) lgkmcnt(0)
	v_mul_f64 v[60:61], v[2:3], v[12:13]
	v_mul_f64 v[12:13], v[4:5], v[12:13]
	v_fma_f64 v[58:59], v[232:233], v[6:7], v[58:59]
	v_fma_f64 v[62:63], v[230:231], v[6:7], -v[8:9]
	scratch_load_b128 v[6:9], off, off offset:880
	ds_load_b128 v[230:233], v1 offset:1744
	v_add_f64 v[52:53], v[52:53], v[64:65]
	v_add_f64 v[54:55], v[54:55], v[56:57]
	s_waitcnt vmcnt(8)
	v_mul_f64 v[56:57], v[201:202], v[16:17]
	v_mul_f64 v[16:17], v[203:204], v[16:17]
	v_fma_f64 v[60:61], v[4:5], v[10:11], v[60:61]
	v_fma_f64 v[64:65], v[2:3], v[10:11], -v[12:13]
	ds_load_b128 v[2:5], v1 offset:1728
	scratch_load_b128 v[10:13], off, off offset:896
	v_add_f64 v[52:53], v[52:53], v[62:63]
	v_add_f64 v[54:55], v[54:55], v[58:59]
	s_waitcnt vmcnt(8) lgkmcnt(0)
	v_mul_f64 v[58:59], v[2:3], v[20:21]
	v_mul_f64 v[20:21], v[4:5], v[20:21]
	v_fma_f64 v[56:57], v[203:204], v[14:15], v[56:57]
	v_fma_f64 v[62:63], v[201:202], v[14:15], -v[16:17]
	scratch_load_b128 v[14:17], off, off offset:912
	ds_load_b128 v[201:204], v1 offset:1776
	v_add_f64 v[52:53], v[52:53], v[64:65]
	v_add_f64 v[54:55], v[54:55], v[60:61]
	s_waitcnt vmcnt(8)
	v_mul_f64 v[60:61], v[230:231], v[24:25]
	v_mul_f64 v[24:25], v[232:233], v[24:25]
	v_fma_f64 v[58:59], v[4:5], v[18:19], v[58:59]
	v_fma_f64 v[64:65], v[2:3], v[18:19], -v[20:21]
	ds_load_b128 v[2:5], v1 offset:1760
	scratch_load_b128 v[18:21], off, off offset:928
	v_add_f64 v[52:53], v[52:53], v[62:63]
	v_add_f64 v[54:55], v[54:55], v[56:57]
	s_waitcnt vmcnt(8) lgkmcnt(0)
	v_mul_f64 v[56:57], v[2:3], v[28:29]
	v_mul_f64 v[28:29], v[4:5], v[28:29]
	v_fma_f64 v[60:61], v[232:233], v[22:23], v[60:61]
	v_fma_f64 v[62:63], v[230:231], v[22:23], -v[24:25]
	scratch_load_b128 v[22:25], off, off offset:944
	v_add_f64 v[52:53], v[52:53], v[64:65]
	v_add_f64 v[54:55], v[54:55], v[58:59]
	s_waitcnt vmcnt(8)
	v_mul_f64 v[58:59], v[201:202], v[32:33]
	v_mul_f64 v[32:33], v[203:204], v[32:33]
	v_fma_f64 v[56:57], v[4:5], v[26:27], v[56:57]
	v_fma_f64 v[64:65], v[2:3], v[26:27], -v[28:29]
	ds_load_b128 v[2:5], v1 offset:1792
	ds_load_b128 v[26:29], v1 offset:1808
	v_add_f64 v[52:53], v[52:53], v[62:63]
	v_add_f64 v[54:55], v[54:55], v[60:61]
	s_waitcnt vmcnt(7) lgkmcnt(1)
	v_mul_f64 v[60:61], v[2:3], v[36:37]
	v_mul_f64 v[36:37], v[4:5], v[36:37]
	v_fma_f64 v[58:59], v[203:204], v[30:31], v[58:59]
	v_fma_f64 v[30:31], v[201:202], v[30:31], -v[32:33]
	v_add_f64 v[32:33], v[52:53], v[64:65]
	v_add_f64 v[52:53], v[54:55], v[56:57]
	s_waitcnt vmcnt(6) lgkmcnt(0)
	v_mul_f64 v[54:55], v[26:27], v[40:41]
	v_mul_f64 v[40:41], v[28:29], v[40:41]
	v_fma_f64 v[56:57], v[4:5], v[34:35], v[60:61]
	v_fma_f64 v[34:35], v[2:3], v[34:35], -v[36:37]
	v_add_f64 v[36:37], v[32:33], v[30:31]
	v_add_f64 v[52:53], v[52:53], v[58:59]
	ds_load_b128 v[2:5], v1 offset:1824
	ds_load_b128 v[30:33], v1 offset:1840
	v_fma_f64 v[28:29], v[28:29], v[38:39], v[54:55]
	v_fma_f64 v[26:27], v[26:27], v[38:39], -v[40:41]
	s_waitcnt vmcnt(5) lgkmcnt(1)
	v_mul_f64 v[58:59], v[2:3], v[44:45]
	v_mul_f64 v[44:45], v[4:5], v[44:45]
	s_waitcnt vmcnt(4) lgkmcnt(0)
	v_mul_f64 v[38:39], v[30:31], v[8:9]
	v_mul_f64 v[8:9], v[32:33], v[8:9]
	v_add_f64 v[34:35], v[36:37], v[34:35]
	v_add_f64 v[36:37], v[52:53], v[56:57]
	v_fma_f64 v[40:41], v[4:5], v[42:43], v[58:59]
	v_fma_f64 v[42:43], v[2:3], v[42:43], -v[44:45]
	v_fma_f64 v[32:33], v[32:33], v[6:7], v[38:39]
	v_fma_f64 v[6:7], v[30:31], v[6:7], -v[8:9]
	v_add_f64 v[34:35], v[34:35], v[26:27]
	v_add_f64 v[36:37], v[36:37], v[28:29]
	ds_load_b128 v[2:5], v1 offset:1856
	ds_load_b128 v[26:29], v1 offset:1872
	s_waitcnt vmcnt(3) lgkmcnt(1)
	v_mul_f64 v[44:45], v[2:3], v[12:13]
	v_mul_f64 v[12:13], v[4:5], v[12:13]
	v_add_f64 v[8:9], v[34:35], v[42:43]
	v_add_f64 v[30:31], v[36:37], v[40:41]
	s_waitcnt vmcnt(2) lgkmcnt(0)
	v_mul_f64 v[34:35], v[26:27], v[16:17]
	v_mul_f64 v[16:17], v[28:29], v[16:17]
	v_fma_f64 v[36:37], v[4:5], v[10:11], v[44:45]
	v_fma_f64 v[10:11], v[2:3], v[10:11], -v[12:13]
	v_add_f64 v[12:13], v[8:9], v[6:7]
	v_add_f64 v[30:31], v[30:31], v[32:33]
	ds_load_b128 v[2:5], v1 offset:1888
	ds_load_b128 v[6:9], v1 offset:1904
	v_fma_f64 v[28:29], v[28:29], v[14:15], v[34:35]
	v_fma_f64 v[14:15], v[26:27], v[14:15], -v[16:17]
	s_waitcnt vmcnt(1) lgkmcnt(1)
	v_mul_f64 v[32:33], v[2:3], v[20:21]
	v_mul_f64 v[20:21], v[4:5], v[20:21]
	s_waitcnt vmcnt(0) lgkmcnt(0)
	v_mul_f64 v[16:17], v[6:7], v[24:25]
	v_mul_f64 v[24:25], v[8:9], v[24:25]
	v_add_f64 v[10:11], v[12:13], v[10:11]
	v_add_f64 v[12:13], v[30:31], v[36:37]
	v_fma_f64 v[4:5], v[4:5], v[18:19], v[32:33]
	v_fma_f64 v[1:2], v[2:3], v[18:19], -v[20:21]
	v_fma_f64 v[8:9], v[8:9], v[22:23], v[16:17]
	v_fma_f64 v[6:7], v[6:7], v[22:23], -v[24:25]
	v_add_f64 v[10:11], v[10:11], v[14:15]
	v_add_f64 v[12:13], v[12:13], v[28:29]
	s_delay_alu instid0(VALU_DEP_2) | instskip(NEXT) | instid1(VALU_DEP_2)
	v_add_f64 v[1:2], v[10:11], v[1:2]
	v_add_f64 v[3:4], v[12:13], v[4:5]
	s_delay_alu instid0(VALU_DEP_2) | instskip(NEXT) | instid1(VALU_DEP_2)
	;; [unrolled: 3-line block ×3, first 2 shown]
	v_add_f64 v[1:2], v[180:181], -v[1:2]
	v_add_f64 v[3:4], v[182:183], -v[3:4]
	scratch_store_b128 off, v[1:4], off offset:208
	v_cmpx_lt_u32_e32 12, v166
	s_cbranch_execz .LBB59_349
; %bb.348:
	scratch_load_b128 v[1:4], v212, off
	v_mov_b32_e32 v5, 0
	s_delay_alu instid0(VALU_DEP_1)
	v_mov_b32_e32 v6, v5
	v_mov_b32_e32 v7, v5
	;; [unrolled: 1-line block ×3, first 2 shown]
	scratch_store_b128 off, v[5:8], off offset:192
	s_waitcnt vmcnt(0)
	ds_store_b128 v226, v[1:4]
.LBB59_349:
	s_or_b32 exec_lo, exec_lo, s2
	s_waitcnt lgkmcnt(0)
	s_waitcnt_vscnt null, 0x0
	s_barrier
	buffer_gl0_inv
	s_clause 0x7
	scratch_load_b128 v[2:5], off, off offset:208
	scratch_load_b128 v[6:9], off, off offset:224
	scratch_load_b128 v[10:13], off, off offset:240
	scratch_load_b128 v[14:17], off, off offset:256
	scratch_load_b128 v[18:21], off, off offset:272
	scratch_load_b128 v[22:25], off, off offset:288
	scratch_load_b128 v[26:29], off, off offset:304
	scratch_load_b128 v[30:33], off, off offset:320
	v_mov_b32_e32 v1, 0
	s_mov_b32 s2, exec_lo
	ds_load_b128 v[38:41], v1 offset:1168
	s_clause 0x1
	scratch_load_b128 v[34:37], off, off offset:336
	scratch_load_b128 v[42:45], off, off offset:192
	ds_load_b128 v[180:183], v1 offset:1184
	scratch_load_b128 v[201:204], off, off offset:352
	ds_load_b128 v[230:233], v1 offset:1216
	s_waitcnt vmcnt(10) lgkmcnt(2)
	v_mul_f64 v[52:53], v[40:41], v[4:5]
	v_mul_f64 v[4:5], v[38:39], v[4:5]
	s_delay_alu instid0(VALU_DEP_2) | instskip(NEXT) | instid1(VALU_DEP_2)
	v_fma_f64 v[52:53], v[38:39], v[2:3], -v[52:53]
	v_fma_f64 v[56:57], v[40:41], v[2:3], v[4:5]
	ds_load_b128 v[2:5], v1 offset:1200
	s_waitcnt vmcnt(9) lgkmcnt(2)
	v_mul_f64 v[54:55], v[180:181], v[8:9]
	v_mul_f64 v[8:9], v[182:183], v[8:9]
	scratch_load_b128 v[38:41], off, off offset:368
	s_waitcnt vmcnt(9) lgkmcnt(0)
	v_mul_f64 v[58:59], v[2:3], v[12:13]
	v_mul_f64 v[12:13], v[4:5], v[12:13]
	v_add_f64 v[52:53], v[52:53], 0
	v_add_f64 v[56:57], v[56:57], 0
	v_fma_f64 v[54:55], v[182:183], v[6:7], v[54:55]
	v_fma_f64 v[60:61], v[180:181], v[6:7], -v[8:9]
	scratch_load_b128 v[6:9], off, off offset:384
	ds_load_b128 v[180:183], v1 offset:1248
	v_fma_f64 v[58:59], v[4:5], v[10:11], v[58:59]
	v_fma_f64 v[64:65], v[2:3], v[10:11], -v[12:13]
	ds_load_b128 v[2:5], v1 offset:1232
	s_waitcnt vmcnt(9)
	v_mul_f64 v[62:63], v[230:231], v[16:17]
	v_mul_f64 v[16:17], v[232:233], v[16:17]
	scratch_load_b128 v[10:13], off, off offset:400
	v_add_f64 v[54:55], v[56:57], v[54:55]
	v_add_f64 v[52:53], v[52:53], v[60:61]
	s_waitcnt vmcnt(9) lgkmcnt(0)
	v_mul_f64 v[56:57], v[2:3], v[20:21]
	v_mul_f64 v[20:21], v[4:5], v[20:21]
	v_fma_f64 v[60:61], v[232:233], v[14:15], v[62:63]
	v_fma_f64 v[62:63], v[230:231], v[14:15], -v[16:17]
	scratch_load_b128 v[14:17], off, off offset:416
	ds_load_b128 v[230:233], v1 offset:1280
	v_add_f64 v[54:55], v[54:55], v[58:59]
	v_add_f64 v[52:53], v[52:53], v[64:65]
	v_fma_f64 v[56:57], v[4:5], v[18:19], v[56:57]
	v_fma_f64 v[64:65], v[2:3], v[18:19], -v[20:21]
	ds_load_b128 v[2:5], v1 offset:1264
	s_waitcnt vmcnt(9)
	v_mul_f64 v[58:59], v[180:181], v[24:25]
	v_mul_f64 v[24:25], v[182:183], v[24:25]
	scratch_load_b128 v[18:21], off, off offset:432
	v_add_f64 v[54:55], v[54:55], v[60:61]
	v_add_f64 v[52:53], v[52:53], v[62:63]
	s_waitcnt vmcnt(9) lgkmcnt(0)
	v_mul_f64 v[60:61], v[2:3], v[28:29]
	v_mul_f64 v[28:29], v[4:5], v[28:29]
	v_fma_f64 v[58:59], v[182:183], v[22:23], v[58:59]
	v_fma_f64 v[62:63], v[180:181], v[22:23], -v[24:25]
	scratch_load_b128 v[22:25], off, off offset:448
	ds_load_b128 v[180:183], v1 offset:1312
	v_add_f64 v[54:55], v[54:55], v[56:57]
	v_add_f64 v[52:53], v[52:53], v[64:65]
	v_fma_f64 v[60:61], v[4:5], v[26:27], v[60:61]
	v_fma_f64 v[64:65], v[2:3], v[26:27], -v[28:29]
	ds_load_b128 v[2:5], v1 offset:1296
	s_waitcnt vmcnt(9)
	v_mul_f64 v[56:57], v[230:231], v[32:33]
	v_mul_f64 v[32:33], v[232:233], v[32:33]
	scratch_load_b128 v[26:29], off, off offset:464
	v_add_f64 v[54:55], v[54:55], v[58:59]
	v_add_f64 v[52:53], v[52:53], v[62:63]
	s_waitcnt vmcnt(9) lgkmcnt(0)
	v_mul_f64 v[58:59], v[2:3], v[36:37]
	v_mul_f64 v[36:37], v[4:5], v[36:37]
	v_fma_f64 v[56:57], v[232:233], v[30:31], v[56:57]
	v_fma_f64 v[62:63], v[230:231], v[30:31], -v[32:33]
	scratch_load_b128 v[30:33], off, off offset:480
	ds_load_b128 v[230:233], v1 offset:1344
	v_add_f64 v[54:55], v[54:55], v[60:61]
	v_add_f64 v[52:53], v[52:53], v[64:65]
	v_fma_f64 v[58:59], v[4:5], v[34:35], v[58:59]
	v_fma_f64 v[66:67], v[2:3], v[34:35], -v[36:37]
	ds_load_b128 v[2:5], v1 offset:1328
	s_waitcnt vmcnt(8)
	v_mul_f64 v[60:61], v[180:181], v[203:204]
	v_mul_f64 v[64:65], v[182:183], v[203:204]
	scratch_load_b128 v[34:37], off, off offset:496
	v_add_f64 v[54:55], v[54:55], v[56:57]
	v_add_f64 v[52:53], v[52:53], v[62:63]
	v_fma_f64 v[60:61], v[182:183], v[201:202], v[60:61]
	v_fma_f64 v[62:63], v[180:181], v[201:202], -v[64:65]
	scratch_load_b128 v[180:183], off, off offset:512
	ds_load_b128 v[201:204], v1 offset:1376
	s_waitcnt vmcnt(9) lgkmcnt(1)
	v_mul_f64 v[56:57], v[2:3], v[40:41]
	v_mul_f64 v[40:41], v[4:5], v[40:41]
	v_add_f64 v[54:55], v[54:55], v[58:59]
	v_add_f64 v[52:53], v[52:53], v[66:67]
	s_delay_alu instid0(VALU_DEP_4) | instskip(NEXT) | instid1(VALU_DEP_4)
	v_fma_f64 v[56:57], v[4:5], v[38:39], v[56:57]
	v_fma_f64 v[64:65], v[2:3], v[38:39], -v[40:41]
	ds_load_b128 v[2:5], v1 offset:1360
	s_waitcnt vmcnt(8)
	v_mul_f64 v[58:59], v[230:231], v[8:9]
	v_mul_f64 v[8:9], v[232:233], v[8:9]
	scratch_load_b128 v[38:41], off, off offset:528
	v_add_f64 v[54:55], v[54:55], v[60:61]
	v_add_f64 v[52:53], v[52:53], v[62:63]
	s_waitcnt vmcnt(8) lgkmcnt(0)
	v_mul_f64 v[60:61], v[2:3], v[12:13]
	v_mul_f64 v[12:13], v[4:5], v[12:13]
	v_fma_f64 v[58:59], v[232:233], v[6:7], v[58:59]
	v_fma_f64 v[62:63], v[230:231], v[6:7], -v[8:9]
	scratch_load_b128 v[6:9], off, off offset:544
	ds_load_b128 v[230:233], v1 offset:1408
	v_add_f64 v[54:55], v[54:55], v[56:57]
	v_add_f64 v[52:53], v[52:53], v[64:65]
	v_fma_f64 v[60:61], v[4:5], v[10:11], v[60:61]
	v_fma_f64 v[64:65], v[2:3], v[10:11], -v[12:13]
	ds_load_b128 v[2:5], v1 offset:1392
	s_waitcnt vmcnt(8)
	v_mul_f64 v[56:57], v[201:202], v[16:17]
	v_mul_f64 v[16:17], v[203:204], v[16:17]
	scratch_load_b128 v[10:13], off, off offset:560
	v_add_f64 v[54:55], v[54:55], v[58:59]
	v_add_f64 v[52:53], v[52:53], v[62:63]
	s_waitcnt vmcnt(8) lgkmcnt(0)
	v_mul_f64 v[58:59], v[2:3], v[20:21]
	v_mul_f64 v[20:21], v[4:5], v[20:21]
	v_fma_f64 v[56:57], v[203:204], v[14:15], v[56:57]
	v_fma_f64 v[62:63], v[201:202], v[14:15], -v[16:17]
	scratch_load_b128 v[14:17], off, off offset:576
	ds_load_b128 v[201:204], v1 offset:1440
	v_add_f64 v[54:55], v[54:55], v[60:61]
	v_add_f64 v[52:53], v[52:53], v[64:65]
	;; [unrolled: 18-line block ×3, first 2 shown]
	v_fma_f64 v[56:57], v[4:5], v[26:27], v[56:57]
	v_fma_f64 v[64:65], v[2:3], v[26:27], -v[28:29]
	ds_load_b128 v[2:5], v1 offset:1456
	s_waitcnt vmcnt(8)
	v_mul_f64 v[58:59], v[201:202], v[32:33]
	v_mul_f64 v[32:33], v[203:204], v[32:33]
	scratch_load_b128 v[26:29], off, off offset:624
	v_add_f64 v[54:55], v[54:55], v[60:61]
	v_add_f64 v[52:53], v[52:53], v[62:63]
	s_waitcnt vmcnt(8) lgkmcnt(0)
	v_mul_f64 v[60:61], v[2:3], v[36:37]
	v_mul_f64 v[36:37], v[4:5], v[36:37]
	v_fma_f64 v[58:59], v[203:204], v[30:31], v[58:59]
	v_fma_f64 v[62:63], v[201:202], v[30:31], -v[32:33]
	s_clause 0x1
	scratch_load_b128 v[30:33], off, off offset:640
	scratch_load_b128 v[201:204], off, off offset:672
	v_add_f64 v[54:55], v[54:55], v[56:57]
	v_add_f64 v[52:53], v[52:53], v[64:65]
	v_fma_f64 v[60:61], v[4:5], v[34:35], v[60:61]
	v_fma_f64 v[66:67], v[2:3], v[34:35], -v[36:37]
	ds_load_b128 v[2:5], v1 offset:1488
	s_waitcnt vmcnt(9)
	v_mul_f64 v[56:57], v[230:231], v[182:183]
	v_mul_f64 v[64:65], v[232:233], v[182:183]
	scratch_load_b128 v[34:37], off, off offset:656
	ds_load_b128 v[182:185], v1 offset:1504
	v_add_f64 v[54:55], v[54:55], v[58:59]
	v_add_f64 v[52:53], v[52:53], v[62:63]
	s_waitcnt vmcnt(9) lgkmcnt(1)
	v_mul_f64 v[58:59], v[2:3], v[40:41]
	v_mul_f64 v[40:41], v[4:5], v[40:41]
	v_fma_f64 v[56:57], v[232:233], v[180:181], v[56:57]
	v_fma_f64 v[62:63], v[230:231], v[180:181], -v[64:65]
	ds_load_b128 v[230:233], v1 offset:1536
	v_add_f64 v[54:55], v[54:55], v[60:61]
	v_add_f64 v[52:53], v[52:53], v[66:67]
	v_fma_f64 v[58:59], v[4:5], v[38:39], v[58:59]
	v_fma_f64 v[64:65], v[2:3], v[38:39], -v[40:41]
	ds_load_b128 v[2:5], v1 offset:1520
	s_waitcnt vmcnt(8) lgkmcnt(2)
	v_mul_f64 v[60:61], v[182:183], v[8:9]
	v_mul_f64 v[8:9], v[184:185], v[8:9]
	scratch_load_b128 v[38:41], off, off offset:688
	v_add_f64 v[54:55], v[54:55], v[56:57]
	v_add_f64 v[52:53], v[52:53], v[62:63]
	s_waitcnt vmcnt(8) lgkmcnt(0)
	v_mul_f64 v[56:57], v[2:3], v[12:13]
	v_mul_f64 v[12:13], v[4:5], v[12:13]
	v_fma_f64 v[60:61], v[184:185], v[6:7], v[60:61]
	v_fma_f64 v[62:63], v[182:183], v[6:7], -v[8:9]
	scratch_load_b128 v[6:9], off, off offset:704
	ds_load_b128 v[180:183], v1 offset:1568
	v_add_f64 v[54:55], v[54:55], v[58:59]
	v_add_f64 v[52:53], v[52:53], v[64:65]
	v_fma_f64 v[56:57], v[4:5], v[10:11], v[56:57]
	v_fma_f64 v[64:65], v[2:3], v[10:11], -v[12:13]
	ds_load_b128 v[2:5], v1 offset:1552
	s_waitcnt vmcnt(8)
	v_mul_f64 v[58:59], v[230:231], v[16:17]
	v_mul_f64 v[16:17], v[232:233], v[16:17]
	scratch_load_b128 v[10:13], off, off offset:720
	v_add_f64 v[54:55], v[54:55], v[60:61]
	v_add_f64 v[52:53], v[52:53], v[62:63]
	s_waitcnt vmcnt(8) lgkmcnt(0)
	v_mul_f64 v[60:61], v[2:3], v[20:21]
	v_mul_f64 v[20:21], v[4:5], v[20:21]
	v_fma_f64 v[58:59], v[232:233], v[14:15], v[58:59]
	v_fma_f64 v[62:63], v[230:231], v[14:15], -v[16:17]
	scratch_load_b128 v[14:17], off, off offset:736
	ds_load_b128 v[230:233], v1 offset:1600
	v_add_f64 v[54:55], v[54:55], v[56:57]
	v_add_f64 v[52:53], v[52:53], v[64:65]
	v_fma_f64 v[60:61], v[4:5], v[18:19], v[60:61]
	v_fma_f64 v[64:65], v[2:3], v[18:19], -v[20:21]
	ds_load_b128 v[2:5], v1 offset:1584
	s_waitcnt vmcnt(8)
	;; [unrolled: 18-line block ×3, first 2 shown]
	v_mul_f64 v[60:61], v[230:231], v[32:33]
	v_mul_f64 v[32:33], v[232:233], v[32:33]
	scratch_load_b128 v[26:29], off, off offset:784
	v_add_f64 v[54:55], v[54:55], v[56:57]
	v_add_f64 v[52:53], v[52:53], v[62:63]
	s_waitcnt vmcnt(7) lgkmcnt(0)
	v_mul_f64 v[56:57], v[2:3], v[36:37]
	v_mul_f64 v[36:37], v[4:5], v[36:37]
	v_fma_f64 v[60:61], v[232:233], v[30:31], v[60:61]
	v_fma_f64 v[62:63], v[230:231], v[30:31], -v[32:33]
	scratch_load_b128 v[30:33], off, off offset:800
	ds_load_b128 v[230:233], v1 offset:1664
	v_add_f64 v[54:55], v[54:55], v[58:59]
	v_add_f64 v[52:53], v[52:53], v[64:65]
	v_fma_f64 v[56:57], v[4:5], v[34:35], v[56:57]
	v_fma_f64 v[66:67], v[2:3], v[34:35], -v[36:37]
	ds_load_b128 v[2:5], v1 offset:1648
	v_mul_f64 v[58:59], v[180:181], v[203:204]
	v_mul_f64 v[64:65], v[182:183], v[203:204]
	scratch_load_b128 v[34:37], off, off offset:816
	v_add_f64 v[54:55], v[54:55], v[60:61]
	v_add_f64 v[52:53], v[52:53], v[62:63]
	s_waitcnt vmcnt(8) lgkmcnt(0)
	v_mul_f64 v[60:61], v[2:3], v[40:41]
	v_mul_f64 v[40:41], v[4:5], v[40:41]
	v_fma_f64 v[58:59], v[182:183], v[201:202], v[58:59]
	v_fma_f64 v[62:63], v[180:181], v[201:202], -v[64:65]
	scratch_load_b128 v[180:183], off, off offset:832
	ds_load_b128 v[201:204], v1 offset:1696
	v_add_f64 v[54:55], v[54:55], v[56:57]
	v_add_f64 v[52:53], v[52:53], v[66:67]
	v_fma_f64 v[60:61], v[4:5], v[38:39], v[60:61]
	v_fma_f64 v[64:65], v[2:3], v[38:39], -v[40:41]
	ds_load_b128 v[2:5], v1 offset:1680
	s_waitcnt vmcnt(8)
	v_mul_f64 v[56:57], v[230:231], v[8:9]
	v_mul_f64 v[8:9], v[232:233], v[8:9]
	scratch_load_b128 v[38:41], off, off offset:848
	v_add_f64 v[54:55], v[54:55], v[58:59]
	v_add_f64 v[52:53], v[52:53], v[62:63]
	s_waitcnt vmcnt(8) lgkmcnt(0)
	v_mul_f64 v[58:59], v[2:3], v[12:13]
	v_mul_f64 v[12:13], v[4:5], v[12:13]
	v_fma_f64 v[56:57], v[232:233], v[6:7], v[56:57]
	v_fma_f64 v[62:63], v[230:231], v[6:7], -v[8:9]
	scratch_load_b128 v[6:9], off, off offset:864
	ds_load_b128 v[230:233], v1 offset:1728
	v_add_f64 v[54:55], v[54:55], v[60:61]
	v_add_f64 v[52:53], v[52:53], v[64:65]
	v_fma_f64 v[58:59], v[4:5], v[10:11], v[58:59]
	v_fma_f64 v[64:65], v[2:3], v[10:11], -v[12:13]
	ds_load_b128 v[2:5], v1 offset:1712
	s_waitcnt vmcnt(8)
	;; [unrolled: 18-line block ×3, first 2 shown]
	v_mul_f64 v[58:59], v[230:231], v[24:25]
	v_mul_f64 v[24:25], v[232:233], v[24:25]
	scratch_load_b128 v[18:21], off, off offset:912
	v_add_f64 v[54:55], v[54:55], v[60:61]
	v_add_f64 v[52:53], v[52:53], v[62:63]
	s_waitcnt vmcnt(8) lgkmcnt(0)
	v_mul_f64 v[60:61], v[2:3], v[28:29]
	v_mul_f64 v[28:29], v[4:5], v[28:29]
	v_fma_f64 v[58:59], v[232:233], v[22:23], v[58:59]
	v_fma_f64 v[62:63], v[230:231], v[22:23], -v[24:25]
	scratch_load_b128 v[22:25], off, off offset:928
	ds_load_b128 v[230:233], v1 offset:1792
	v_add_f64 v[54:55], v[54:55], v[56:57]
	v_add_f64 v[52:53], v[52:53], v[64:65]
	v_fma_f64 v[60:61], v[4:5], v[26:27], v[60:61]
	v_fma_f64 v[64:65], v[2:3], v[26:27], -v[28:29]
	scratch_load_b128 v[26:29], off, off offset:944
	ds_load_b128 v[2:5], v1 offset:1776
	s_waitcnt vmcnt(9)
	v_mul_f64 v[56:57], v[201:202], v[32:33]
	v_mul_f64 v[32:33], v[203:204], v[32:33]
	v_add_f64 v[54:55], v[54:55], v[58:59]
	v_add_f64 v[52:53], v[52:53], v[62:63]
	s_waitcnt vmcnt(8) lgkmcnt(0)
	v_mul_f64 v[58:59], v[2:3], v[36:37]
	v_mul_f64 v[36:37], v[4:5], v[36:37]
	v_fma_f64 v[56:57], v[203:204], v[30:31], v[56:57]
	v_fma_f64 v[30:31], v[201:202], v[30:31], -v[32:33]
	v_add_f64 v[32:33], v[52:53], v[64:65]
	v_add_f64 v[52:53], v[54:55], v[60:61]
	s_waitcnt vmcnt(7)
	v_mul_f64 v[54:55], v[230:231], v[182:183]
	v_mul_f64 v[60:61], v[232:233], v[182:183]
	v_fma_f64 v[58:59], v[4:5], v[34:35], v[58:59]
	v_fma_f64 v[34:35], v[2:3], v[34:35], -v[36:37]
	v_add_f64 v[36:37], v[32:33], v[30:31]
	v_add_f64 v[52:53], v[52:53], v[56:57]
	ds_load_b128 v[2:5], v1 offset:1808
	ds_load_b128 v[30:33], v1 offset:1824
	v_fma_f64 v[54:55], v[232:233], v[180:181], v[54:55]
	v_fma_f64 v[60:61], v[230:231], v[180:181], -v[60:61]
	s_waitcnt vmcnt(6) lgkmcnt(1)
	v_mul_f64 v[56:57], v[2:3], v[40:41]
	v_mul_f64 v[40:41], v[4:5], v[40:41]
	v_add_f64 v[34:35], v[36:37], v[34:35]
	v_add_f64 v[36:37], v[52:53], v[58:59]
	s_waitcnt vmcnt(5) lgkmcnt(0)
	v_mul_f64 v[52:53], v[30:31], v[8:9]
	v_mul_f64 v[8:9], v[32:33], v[8:9]
	v_fma_f64 v[56:57], v[4:5], v[38:39], v[56:57]
	v_fma_f64 v[38:39], v[2:3], v[38:39], -v[40:41]
	v_add_f64 v[40:41], v[34:35], v[60:61]
	v_add_f64 v[54:55], v[36:37], v[54:55]
	ds_load_b128 v[2:5], v1 offset:1840
	ds_load_b128 v[34:37], v1 offset:1856
	v_fma_f64 v[32:33], v[32:33], v[6:7], v[52:53]
	v_fma_f64 v[6:7], v[30:31], v[6:7], -v[8:9]
	s_waitcnt vmcnt(4) lgkmcnt(1)
	v_mul_f64 v[58:59], v[2:3], v[12:13]
	v_mul_f64 v[12:13], v[4:5], v[12:13]
	v_add_f64 v[8:9], v[40:41], v[38:39]
	v_add_f64 v[30:31], v[54:55], v[56:57]
	s_waitcnt vmcnt(3) lgkmcnt(0)
	v_mul_f64 v[38:39], v[34:35], v[16:17]
	v_mul_f64 v[16:17], v[36:37], v[16:17]
	v_fma_f64 v[40:41], v[4:5], v[10:11], v[58:59]
	v_fma_f64 v[10:11], v[2:3], v[10:11], -v[12:13]
	v_add_f64 v[12:13], v[8:9], v[6:7]
	v_add_f64 v[30:31], v[30:31], v[32:33]
	ds_load_b128 v[2:5], v1 offset:1872
	ds_load_b128 v[6:9], v1 offset:1888
	v_fma_f64 v[36:37], v[36:37], v[14:15], v[38:39]
	v_fma_f64 v[14:15], v[34:35], v[14:15], -v[16:17]
	s_waitcnt vmcnt(2) lgkmcnt(1)
	v_mul_f64 v[32:33], v[2:3], v[20:21]
	v_mul_f64 v[20:21], v[4:5], v[20:21]
	s_waitcnt vmcnt(1) lgkmcnt(0)
	v_mul_f64 v[16:17], v[6:7], v[24:25]
	v_mul_f64 v[24:25], v[8:9], v[24:25]
	v_add_f64 v[10:11], v[12:13], v[10:11]
	v_add_f64 v[12:13], v[30:31], v[40:41]
	v_fma_f64 v[30:31], v[4:5], v[18:19], v[32:33]
	v_fma_f64 v[18:19], v[2:3], v[18:19], -v[20:21]
	ds_load_b128 v[2:5], v1 offset:1904
	v_fma_f64 v[8:9], v[8:9], v[22:23], v[16:17]
	v_fma_f64 v[6:7], v[6:7], v[22:23], -v[24:25]
	v_add_f64 v[10:11], v[10:11], v[14:15]
	v_add_f64 v[12:13], v[12:13], v[36:37]
	s_waitcnt vmcnt(0) lgkmcnt(0)
	v_mul_f64 v[14:15], v[2:3], v[28:29]
	v_mul_f64 v[20:21], v[4:5], v[28:29]
	s_delay_alu instid0(VALU_DEP_4) | instskip(NEXT) | instid1(VALU_DEP_4)
	v_add_f64 v[10:11], v[10:11], v[18:19]
	v_add_f64 v[12:13], v[12:13], v[30:31]
	s_delay_alu instid0(VALU_DEP_4) | instskip(NEXT) | instid1(VALU_DEP_4)
	v_fma_f64 v[4:5], v[4:5], v[26:27], v[14:15]
	v_fma_f64 v[2:3], v[2:3], v[26:27], -v[20:21]
	s_delay_alu instid0(VALU_DEP_4) | instskip(NEXT) | instid1(VALU_DEP_4)
	v_add_f64 v[6:7], v[10:11], v[6:7]
	v_add_f64 v[8:9], v[12:13], v[8:9]
	s_delay_alu instid0(VALU_DEP_2) | instskip(NEXT) | instid1(VALU_DEP_2)
	v_add_f64 v[2:3], v[6:7], v[2:3]
	v_add_f64 v[4:5], v[8:9], v[4:5]
	s_delay_alu instid0(VALU_DEP_2) | instskip(NEXT) | instid1(VALU_DEP_2)
	v_add_f64 v[2:3], v[42:43], -v[2:3]
	v_add_f64 v[4:5], v[44:45], -v[4:5]
	scratch_store_b128 off, v[2:5], off offset:192
	v_cmpx_lt_u32_e32 11, v166
	s_cbranch_execz .LBB59_351
; %bb.350:
	scratch_load_b128 v[5:8], v214, off
	v_mov_b32_e32 v2, v1
	v_mov_b32_e32 v3, v1
	;; [unrolled: 1-line block ×3, first 2 shown]
	scratch_store_b128 off, v[1:4], off offset:176
	s_waitcnt vmcnt(0)
	ds_store_b128 v226, v[5:8]
.LBB59_351:
	s_or_b32 exec_lo, exec_lo, s2
	s_waitcnt lgkmcnt(0)
	s_waitcnt_vscnt null, 0x0
	s_barrier
	buffer_gl0_inv
	s_clause 0x8
	scratch_load_b128 v[2:5], off, off offset:192
	scratch_load_b128 v[6:9], off, off offset:208
	;; [unrolled: 1-line block ×9, first 2 shown]
	ds_load_b128 v[42:45], v1 offset:1152
	ds_load_b128 v[38:41], v1 offset:1168
	s_clause 0x1
	scratch_load_b128 v[180:183], off, off offset:176
	scratch_load_b128 v[201:204], off, off offset:336
	s_mov_b32 s2, exec_lo
	ds_load_b128 v[230:233], v1 offset:1200
	s_waitcnt vmcnt(10) lgkmcnt(2)
	v_mul_f64 v[52:53], v[44:45], v[4:5]
	v_mul_f64 v[4:5], v[42:43], v[4:5]
	s_waitcnt vmcnt(9) lgkmcnt(1)
	v_mul_f64 v[54:55], v[38:39], v[8:9]
	v_mul_f64 v[8:9], v[40:41], v[8:9]
	s_delay_alu instid0(VALU_DEP_4) | instskip(NEXT) | instid1(VALU_DEP_4)
	v_fma_f64 v[52:53], v[42:43], v[2:3], -v[52:53]
	v_fma_f64 v[56:57], v[44:45], v[2:3], v[4:5]
	ds_load_b128 v[2:5], v1 offset:1184
	scratch_load_b128 v[42:45], off, off offset:352
	v_fma_f64 v[40:41], v[40:41], v[6:7], v[54:55]
	v_fma_f64 v[38:39], v[38:39], v[6:7], -v[8:9]
	scratch_load_b128 v[6:9], off, off offset:368
	s_waitcnt vmcnt(10) lgkmcnt(0)
	v_mul_f64 v[58:59], v[2:3], v[12:13]
	v_mul_f64 v[12:13], v[4:5], v[12:13]
	v_add_f64 v[52:53], v[52:53], 0
	v_add_f64 v[54:55], v[56:57], 0
	s_waitcnt vmcnt(9)
	v_mul_f64 v[56:57], v[230:231], v[16:17]
	v_mul_f64 v[16:17], v[232:233], v[16:17]
	v_fma_f64 v[58:59], v[4:5], v[10:11], v[58:59]
	v_fma_f64 v[60:61], v[2:3], v[10:11], -v[12:13]
	ds_load_b128 v[2:5], v1 offset:1216
	scratch_load_b128 v[10:13], off, off offset:384
	v_add_f64 v[52:53], v[52:53], v[38:39]
	v_add_f64 v[54:55], v[54:55], v[40:41]
	ds_load_b128 v[38:41], v1 offset:1232
	v_fma_f64 v[56:57], v[232:233], v[14:15], v[56:57]
	v_fma_f64 v[64:65], v[230:231], v[14:15], -v[16:17]
	scratch_load_b128 v[14:17], off, off offset:400
	s_waitcnt vmcnt(10) lgkmcnt(1)
	v_mul_f64 v[62:63], v[2:3], v[20:21]
	v_mul_f64 v[20:21], v[4:5], v[20:21]
	ds_load_b128 v[230:233], v1 offset:1264
	v_add_f64 v[52:53], v[52:53], v[60:61]
	v_add_f64 v[54:55], v[54:55], v[58:59]
	s_waitcnt vmcnt(9) lgkmcnt(1)
	v_mul_f64 v[58:59], v[38:39], v[24:25]
	v_mul_f64 v[24:25], v[40:41], v[24:25]
	v_fma_f64 v[60:61], v[4:5], v[18:19], v[62:63]
	v_fma_f64 v[62:63], v[2:3], v[18:19], -v[20:21]
	ds_load_b128 v[2:5], v1 offset:1248
	scratch_load_b128 v[18:21], off, off offset:416
	v_add_f64 v[52:53], v[52:53], v[64:65]
	v_add_f64 v[54:55], v[54:55], v[56:57]
	s_waitcnt vmcnt(9) lgkmcnt(0)
	v_mul_f64 v[56:57], v[2:3], v[28:29]
	v_mul_f64 v[28:29], v[4:5], v[28:29]
	v_fma_f64 v[40:41], v[40:41], v[22:23], v[58:59]
	v_fma_f64 v[38:39], v[38:39], v[22:23], -v[24:25]
	scratch_load_b128 v[22:25], off, off offset:432
	s_waitcnt vmcnt(9)
	v_mul_f64 v[58:59], v[230:231], v[32:33]
	v_mul_f64 v[32:33], v[232:233], v[32:33]
	v_add_f64 v[52:53], v[52:53], v[62:63]
	v_add_f64 v[54:55], v[54:55], v[60:61]
	v_fma_f64 v[56:57], v[4:5], v[26:27], v[56:57]
	v_fma_f64 v[60:61], v[2:3], v[26:27], -v[28:29]
	ds_load_b128 v[2:5], v1 offset:1280
	scratch_load_b128 v[26:29], off, off offset:448
	v_fma_f64 v[58:59], v[232:233], v[30:31], v[58:59]
	v_fma_f64 v[64:65], v[230:231], v[30:31], -v[32:33]
	scratch_load_b128 v[30:33], off, off offset:464
	ds_load_b128 v[230:233], v1 offset:1328
	v_add_f64 v[52:53], v[52:53], v[38:39]
	v_add_f64 v[54:55], v[54:55], v[40:41]
	ds_load_b128 v[38:41], v1 offset:1296
	s_waitcnt vmcnt(10) lgkmcnt(2)
	v_mul_f64 v[62:63], v[2:3], v[36:37]
	v_mul_f64 v[36:37], v[4:5], v[36:37]
	v_add_f64 v[52:53], v[52:53], v[60:61]
	v_add_f64 v[54:55], v[54:55], v[56:57]
	s_waitcnt vmcnt(8) lgkmcnt(0)
	v_mul_f64 v[56:57], v[38:39], v[203:204]
	v_mul_f64 v[60:61], v[40:41], v[203:204]
	v_fma_f64 v[62:63], v[4:5], v[34:35], v[62:63]
	v_fma_f64 v[66:67], v[2:3], v[34:35], -v[36:37]
	ds_load_b128 v[2:5], v1 offset:1312
	scratch_load_b128 v[34:37], off, off offset:480
	v_add_f64 v[52:53], v[52:53], v[64:65]
	v_add_f64 v[54:55], v[54:55], v[58:59]
	v_fma_f64 v[56:57], v[40:41], v[201:202], v[56:57]
	v_fma_f64 v[60:61], v[38:39], v[201:202], -v[60:61]
	scratch_load_b128 v[38:41], off, off offset:496
	ds_load_b128 v[201:204], v1 offset:1360
	s_waitcnt vmcnt(9) lgkmcnt(1)
	v_mul_f64 v[58:59], v[2:3], v[44:45]
	v_mul_f64 v[44:45], v[4:5], v[44:45]
	v_add_f64 v[52:53], v[52:53], v[66:67]
	v_add_f64 v[54:55], v[54:55], v[62:63]
	s_waitcnt vmcnt(8)
	v_mul_f64 v[62:63], v[230:231], v[8:9]
	v_mul_f64 v[8:9], v[232:233], v[8:9]
	v_fma_f64 v[58:59], v[4:5], v[42:43], v[58:59]
	v_fma_f64 v[64:65], v[2:3], v[42:43], -v[44:45]
	ds_load_b128 v[2:5], v1 offset:1344
	scratch_load_b128 v[42:45], off, off offset:512
	v_add_f64 v[52:53], v[52:53], v[60:61]
	v_add_f64 v[54:55], v[54:55], v[56:57]
	v_fma_f64 v[60:61], v[232:233], v[6:7], v[62:63]
	s_waitcnt vmcnt(8) lgkmcnt(0)
	v_mul_f64 v[56:57], v[2:3], v[12:13]
	v_mul_f64 v[12:13], v[4:5], v[12:13]
	v_fma_f64 v[62:63], v[230:231], v[6:7], -v[8:9]
	scratch_load_b128 v[6:9], off, off offset:528
	ds_load_b128 v[230:233], v1 offset:1392
	v_add_f64 v[52:53], v[52:53], v[64:65]
	v_add_f64 v[54:55], v[54:55], v[58:59]
	s_waitcnt vmcnt(8)
	v_mul_f64 v[58:59], v[201:202], v[16:17]
	v_mul_f64 v[16:17], v[203:204], v[16:17]
	v_fma_f64 v[56:57], v[4:5], v[10:11], v[56:57]
	v_fma_f64 v[64:65], v[2:3], v[10:11], -v[12:13]
	ds_load_b128 v[2:5], v1 offset:1376
	scratch_load_b128 v[10:13], off, off offset:544
	v_add_f64 v[52:53], v[52:53], v[62:63]
	v_add_f64 v[54:55], v[54:55], v[60:61]
	s_waitcnt vmcnt(8) lgkmcnt(0)
	v_mul_f64 v[60:61], v[2:3], v[20:21]
	v_mul_f64 v[20:21], v[4:5], v[20:21]
	v_fma_f64 v[58:59], v[203:204], v[14:15], v[58:59]
	v_fma_f64 v[62:63], v[201:202], v[14:15], -v[16:17]
	scratch_load_b128 v[14:17], off, off offset:560
	ds_load_b128 v[201:204], v1 offset:1424
	v_add_f64 v[52:53], v[52:53], v[64:65]
	v_add_f64 v[54:55], v[54:55], v[56:57]
	s_waitcnt vmcnt(8)
	v_mul_f64 v[56:57], v[230:231], v[24:25]
	v_mul_f64 v[24:25], v[232:233], v[24:25]
	v_fma_f64 v[60:61], v[4:5], v[18:19], v[60:61]
	v_fma_f64 v[64:65], v[2:3], v[18:19], -v[20:21]
	ds_load_b128 v[2:5], v1 offset:1408
	scratch_load_b128 v[18:21], off, off offset:576
	v_add_f64 v[52:53], v[52:53], v[62:63]
	v_add_f64 v[54:55], v[54:55], v[58:59]
	s_waitcnt vmcnt(8) lgkmcnt(0)
	v_mul_f64 v[58:59], v[2:3], v[28:29]
	v_mul_f64 v[28:29], v[4:5], v[28:29]
	v_fma_f64 v[56:57], v[232:233], v[22:23], v[56:57]
	v_fma_f64 v[62:63], v[230:231], v[22:23], -v[24:25]
	scratch_load_b128 v[22:25], off, off offset:592
	ds_load_b128 v[230:233], v1 offset:1456
	v_add_f64 v[52:53], v[52:53], v[64:65]
	v_add_f64 v[54:55], v[54:55], v[60:61]
	s_waitcnt vmcnt(8)
	v_mul_f64 v[60:61], v[201:202], v[32:33]
	v_mul_f64 v[32:33], v[203:204], v[32:33]
	v_fma_f64 v[58:59], v[4:5], v[26:27], v[58:59]
	v_fma_f64 v[64:65], v[2:3], v[26:27], -v[28:29]
	ds_load_b128 v[2:5], v1 offset:1440
	scratch_load_b128 v[26:29], off, off offset:608
	v_add_f64 v[52:53], v[52:53], v[62:63]
	v_add_f64 v[54:55], v[54:55], v[56:57]
	s_waitcnt vmcnt(8) lgkmcnt(0)
	v_mul_f64 v[56:57], v[2:3], v[36:37]
	v_mul_f64 v[36:37], v[4:5], v[36:37]
	v_fma_f64 v[60:61], v[203:204], v[30:31], v[60:61]
	v_fma_f64 v[62:63], v[201:202], v[30:31], -v[32:33]
	scratch_load_b128 v[30:33], off, off offset:624
	ds_load_b128 v[201:204], v1 offset:1488
	v_add_f64 v[52:53], v[52:53], v[64:65]
	v_add_f64 v[54:55], v[54:55], v[58:59]
	s_waitcnt vmcnt(8)
	v_mul_f64 v[58:59], v[230:231], v[40:41]
	v_mul_f64 v[40:41], v[232:233], v[40:41]
	v_fma_f64 v[56:57], v[4:5], v[34:35], v[56:57]
	v_fma_f64 v[64:65], v[2:3], v[34:35], -v[36:37]
	ds_load_b128 v[2:5], v1 offset:1472
	scratch_load_b128 v[34:37], off, off offset:640
	v_add_f64 v[52:53], v[52:53], v[62:63]
	v_add_f64 v[54:55], v[54:55], v[60:61]
	s_waitcnt vmcnt(8) lgkmcnt(0)
	v_mul_f64 v[60:61], v[2:3], v[44:45]
	v_mul_f64 v[44:45], v[4:5], v[44:45]
	v_fma_f64 v[58:59], v[232:233], v[38:39], v[58:59]
	v_fma_f64 v[62:63], v[230:231], v[38:39], -v[40:41]
	scratch_load_b128 v[38:41], off, off offset:656
	ds_load_b128 v[230:233], v1 offset:1520
	v_add_f64 v[52:53], v[52:53], v[64:65]
	v_add_f64 v[54:55], v[54:55], v[56:57]
	s_waitcnt vmcnt(8)
	v_mul_f64 v[56:57], v[201:202], v[8:9]
	v_mul_f64 v[8:9], v[203:204], v[8:9]
	v_fma_f64 v[60:61], v[4:5], v[42:43], v[60:61]
	v_fma_f64 v[64:65], v[2:3], v[42:43], -v[44:45]
	ds_load_b128 v[2:5], v1 offset:1504
	scratch_load_b128 v[42:45], off, off offset:672
	v_add_f64 v[52:53], v[52:53], v[62:63]
	v_add_f64 v[54:55], v[54:55], v[58:59]
	s_waitcnt vmcnt(8) lgkmcnt(0)
	v_mul_f64 v[58:59], v[2:3], v[12:13]
	v_mul_f64 v[12:13], v[4:5], v[12:13]
	v_fma_f64 v[56:57], v[203:204], v[6:7], v[56:57]
	v_fma_f64 v[62:63], v[201:202], v[6:7], -v[8:9]
	scratch_load_b128 v[6:9], off, off offset:688
	ds_load_b128 v[201:204], v1 offset:1552
	v_add_f64 v[52:53], v[52:53], v[64:65]
	v_add_f64 v[54:55], v[54:55], v[60:61]
	s_waitcnt vmcnt(8)
	v_mul_f64 v[60:61], v[230:231], v[16:17]
	v_mul_f64 v[16:17], v[232:233], v[16:17]
	v_fma_f64 v[58:59], v[4:5], v[10:11], v[58:59]
	v_fma_f64 v[64:65], v[2:3], v[10:11], -v[12:13]
	ds_load_b128 v[2:5], v1 offset:1536
	scratch_load_b128 v[10:13], off, off offset:704
	v_add_f64 v[52:53], v[52:53], v[62:63]
	v_add_f64 v[54:55], v[54:55], v[56:57]
	s_waitcnt vmcnt(8) lgkmcnt(0)
	v_mul_f64 v[56:57], v[2:3], v[20:21]
	v_mul_f64 v[20:21], v[4:5], v[20:21]
	v_fma_f64 v[60:61], v[232:233], v[14:15], v[60:61]
	v_fma_f64 v[62:63], v[230:231], v[14:15], -v[16:17]
	scratch_load_b128 v[14:17], off, off offset:720
	ds_load_b128 v[230:233], v1 offset:1584
	v_add_f64 v[52:53], v[52:53], v[64:65]
	v_add_f64 v[54:55], v[54:55], v[58:59]
	s_waitcnt vmcnt(8)
	v_mul_f64 v[58:59], v[201:202], v[24:25]
	v_mul_f64 v[24:25], v[203:204], v[24:25]
	v_fma_f64 v[56:57], v[4:5], v[18:19], v[56:57]
	v_fma_f64 v[64:65], v[2:3], v[18:19], -v[20:21]
	ds_load_b128 v[2:5], v1 offset:1568
	scratch_load_b128 v[18:21], off, off offset:736
	v_add_f64 v[52:53], v[52:53], v[62:63]
	v_add_f64 v[54:55], v[54:55], v[60:61]
	s_waitcnt vmcnt(8) lgkmcnt(0)
	v_mul_f64 v[60:61], v[2:3], v[28:29]
	v_mul_f64 v[28:29], v[4:5], v[28:29]
	v_fma_f64 v[58:59], v[203:204], v[22:23], v[58:59]
	v_fma_f64 v[62:63], v[201:202], v[22:23], -v[24:25]
	scratch_load_b128 v[22:25], off, off offset:752
	ds_load_b128 v[201:204], v1 offset:1616
	v_add_f64 v[52:53], v[52:53], v[64:65]
	v_add_f64 v[54:55], v[54:55], v[56:57]
	s_waitcnt vmcnt(8)
	v_mul_f64 v[56:57], v[230:231], v[32:33]
	v_mul_f64 v[32:33], v[232:233], v[32:33]
	v_fma_f64 v[60:61], v[4:5], v[26:27], v[60:61]
	v_fma_f64 v[64:65], v[2:3], v[26:27], -v[28:29]
	ds_load_b128 v[2:5], v1 offset:1600
	scratch_load_b128 v[26:29], off, off offset:768
	v_add_f64 v[52:53], v[52:53], v[62:63]
	v_add_f64 v[54:55], v[54:55], v[58:59]
	s_waitcnt vmcnt(8) lgkmcnt(0)
	v_mul_f64 v[58:59], v[2:3], v[36:37]
	v_mul_f64 v[36:37], v[4:5], v[36:37]
	v_fma_f64 v[56:57], v[232:233], v[30:31], v[56:57]
	v_fma_f64 v[62:63], v[230:231], v[30:31], -v[32:33]
	scratch_load_b128 v[30:33], off, off offset:784
	ds_load_b128 v[230:233], v1 offset:1648
	v_add_f64 v[52:53], v[52:53], v[64:65]
	v_add_f64 v[54:55], v[54:55], v[60:61]
	s_waitcnt vmcnt(8)
	v_mul_f64 v[60:61], v[201:202], v[40:41]
	v_mul_f64 v[40:41], v[203:204], v[40:41]
	v_fma_f64 v[58:59], v[4:5], v[34:35], v[58:59]
	v_fma_f64 v[64:65], v[2:3], v[34:35], -v[36:37]
	ds_load_b128 v[2:5], v1 offset:1632
	scratch_load_b128 v[34:37], off, off offset:800
	v_add_f64 v[52:53], v[52:53], v[62:63]
	v_add_f64 v[54:55], v[54:55], v[56:57]
	s_waitcnt vmcnt(8) lgkmcnt(0)
	v_mul_f64 v[56:57], v[2:3], v[44:45]
	v_mul_f64 v[44:45], v[4:5], v[44:45]
	v_fma_f64 v[60:61], v[203:204], v[38:39], v[60:61]
	v_fma_f64 v[62:63], v[201:202], v[38:39], -v[40:41]
	scratch_load_b128 v[38:41], off, off offset:816
	ds_load_b128 v[201:204], v1 offset:1680
	v_add_f64 v[52:53], v[52:53], v[64:65]
	v_add_f64 v[54:55], v[54:55], v[58:59]
	s_waitcnt vmcnt(8)
	v_mul_f64 v[58:59], v[230:231], v[8:9]
	v_mul_f64 v[8:9], v[232:233], v[8:9]
	v_fma_f64 v[56:57], v[4:5], v[42:43], v[56:57]
	v_fma_f64 v[64:65], v[2:3], v[42:43], -v[44:45]
	ds_load_b128 v[2:5], v1 offset:1664
	scratch_load_b128 v[42:45], off, off offset:832
	v_add_f64 v[52:53], v[52:53], v[62:63]
	v_add_f64 v[54:55], v[54:55], v[60:61]
	s_waitcnt vmcnt(8) lgkmcnt(0)
	v_mul_f64 v[60:61], v[2:3], v[12:13]
	v_mul_f64 v[12:13], v[4:5], v[12:13]
	v_fma_f64 v[58:59], v[232:233], v[6:7], v[58:59]
	v_fma_f64 v[62:63], v[230:231], v[6:7], -v[8:9]
	scratch_load_b128 v[6:9], off, off offset:848
	ds_load_b128 v[230:233], v1 offset:1712
	v_add_f64 v[52:53], v[52:53], v[64:65]
	v_add_f64 v[54:55], v[54:55], v[56:57]
	s_waitcnt vmcnt(8)
	v_mul_f64 v[56:57], v[201:202], v[16:17]
	v_mul_f64 v[16:17], v[203:204], v[16:17]
	v_fma_f64 v[60:61], v[4:5], v[10:11], v[60:61]
	v_fma_f64 v[64:65], v[2:3], v[10:11], -v[12:13]
	ds_load_b128 v[2:5], v1 offset:1696
	scratch_load_b128 v[10:13], off, off offset:864
	v_add_f64 v[52:53], v[52:53], v[62:63]
	v_add_f64 v[54:55], v[54:55], v[58:59]
	s_waitcnt vmcnt(8) lgkmcnt(0)
	v_mul_f64 v[58:59], v[2:3], v[20:21]
	v_mul_f64 v[20:21], v[4:5], v[20:21]
	v_fma_f64 v[56:57], v[203:204], v[14:15], v[56:57]
	v_fma_f64 v[62:63], v[201:202], v[14:15], -v[16:17]
	scratch_load_b128 v[14:17], off, off offset:880
	ds_load_b128 v[201:204], v1 offset:1744
	v_add_f64 v[52:53], v[52:53], v[64:65]
	v_add_f64 v[54:55], v[54:55], v[60:61]
	s_waitcnt vmcnt(8)
	v_mul_f64 v[60:61], v[230:231], v[24:25]
	v_mul_f64 v[24:25], v[232:233], v[24:25]
	v_fma_f64 v[58:59], v[4:5], v[18:19], v[58:59]
	v_fma_f64 v[64:65], v[2:3], v[18:19], -v[20:21]
	ds_load_b128 v[2:5], v1 offset:1728
	scratch_load_b128 v[18:21], off, off offset:896
	v_add_f64 v[52:53], v[52:53], v[62:63]
	v_add_f64 v[54:55], v[54:55], v[56:57]
	s_waitcnt vmcnt(8) lgkmcnt(0)
	v_mul_f64 v[56:57], v[2:3], v[28:29]
	v_mul_f64 v[28:29], v[4:5], v[28:29]
	v_fma_f64 v[60:61], v[232:233], v[22:23], v[60:61]
	v_fma_f64 v[62:63], v[230:231], v[22:23], -v[24:25]
	scratch_load_b128 v[22:25], off, off offset:912
	ds_load_b128 v[230:233], v1 offset:1776
	v_add_f64 v[52:53], v[52:53], v[64:65]
	v_add_f64 v[54:55], v[54:55], v[58:59]
	s_waitcnt vmcnt(8)
	v_mul_f64 v[58:59], v[201:202], v[32:33]
	v_mul_f64 v[32:33], v[203:204], v[32:33]
	v_fma_f64 v[56:57], v[4:5], v[26:27], v[56:57]
	v_fma_f64 v[64:65], v[2:3], v[26:27], -v[28:29]
	ds_load_b128 v[2:5], v1 offset:1760
	scratch_load_b128 v[26:29], off, off offset:928
	v_add_f64 v[52:53], v[52:53], v[62:63]
	v_add_f64 v[54:55], v[54:55], v[60:61]
	s_waitcnt vmcnt(8) lgkmcnt(0)
	v_mul_f64 v[60:61], v[2:3], v[36:37]
	v_mul_f64 v[36:37], v[4:5], v[36:37]
	v_fma_f64 v[58:59], v[203:204], v[30:31], v[58:59]
	v_fma_f64 v[62:63], v[201:202], v[30:31], -v[32:33]
	scratch_load_b128 v[30:33], off, off offset:944
	v_add_f64 v[52:53], v[52:53], v[64:65]
	v_add_f64 v[54:55], v[54:55], v[56:57]
	s_waitcnt vmcnt(8)
	v_mul_f64 v[56:57], v[230:231], v[40:41]
	v_mul_f64 v[40:41], v[232:233], v[40:41]
	v_fma_f64 v[60:61], v[4:5], v[34:35], v[60:61]
	v_fma_f64 v[64:65], v[2:3], v[34:35], -v[36:37]
	ds_load_b128 v[2:5], v1 offset:1792
	ds_load_b128 v[34:37], v1 offset:1808
	v_add_f64 v[52:53], v[52:53], v[62:63]
	v_add_f64 v[54:55], v[54:55], v[58:59]
	s_waitcnt vmcnt(7) lgkmcnt(1)
	v_mul_f64 v[58:59], v[2:3], v[44:45]
	v_mul_f64 v[44:45], v[4:5], v[44:45]
	v_fma_f64 v[56:57], v[232:233], v[38:39], v[56:57]
	v_fma_f64 v[38:39], v[230:231], v[38:39], -v[40:41]
	v_add_f64 v[40:41], v[52:53], v[64:65]
	v_add_f64 v[52:53], v[54:55], v[60:61]
	s_waitcnt vmcnt(6) lgkmcnt(0)
	v_mul_f64 v[54:55], v[34:35], v[8:9]
	v_mul_f64 v[8:9], v[36:37], v[8:9]
	v_fma_f64 v[58:59], v[4:5], v[42:43], v[58:59]
	v_fma_f64 v[42:43], v[2:3], v[42:43], -v[44:45]
	v_add_f64 v[44:45], v[40:41], v[38:39]
	v_add_f64 v[52:53], v[52:53], v[56:57]
	ds_load_b128 v[2:5], v1 offset:1824
	ds_load_b128 v[38:41], v1 offset:1840
	v_fma_f64 v[36:37], v[36:37], v[6:7], v[54:55]
	v_fma_f64 v[6:7], v[34:35], v[6:7], -v[8:9]
	s_waitcnt vmcnt(5) lgkmcnt(1)
	v_mul_f64 v[56:57], v[2:3], v[12:13]
	v_mul_f64 v[12:13], v[4:5], v[12:13]
	v_add_f64 v[8:9], v[44:45], v[42:43]
	v_add_f64 v[34:35], v[52:53], v[58:59]
	s_waitcnt vmcnt(4) lgkmcnt(0)
	v_mul_f64 v[42:43], v[38:39], v[16:17]
	v_mul_f64 v[16:17], v[40:41], v[16:17]
	v_fma_f64 v[44:45], v[4:5], v[10:11], v[56:57]
	v_fma_f64 v[10:11], v[2:3], v[10:11], -v[12:13]
	v_add_f64 v[12:13], v[8:9], v[6:7]
	v_add_f64 v[34:35], v[34:35], v[36:37]
	ds_load_b128 v[2:5], v1 offset:1856
	ds_load_b128 v[6:9], v1 offset:1872
	v_fma_f64 v[40:41], v[40:41], v[14:15], v[42:43]
	v_fma_f64 v[14:15], v[38:39], v[14:15], -v[16:17]
	s_waitcnt vmcnt(3) lgkmcnt(1)
	v_mul_f64 v[36:37], v[2:3], v[20:21]
	v_mul_f64 v[20:21], v[4:5], v[20:21]
	s_waitcnt vmcnt(2) lgkmcnt(0)
	v_mul_f64 v[16:17], v[6:7], v[24:25]
	v_mul_f64 v[24:25], v[8:9], v[24:25]
	v_add_f64 v[10:11], v[12:13], v[10:11]
	v_add_f64 v[12:13], v[34:35], v[44:45]
	v_fma_f64 v[34:35], v[4:5], v[18:19], v[36:37]
	v_fma_f64 v[18:19], v[2:3], v[18:19], -v[20:21]
	v_fma_f64 v[8:9], v[8:9], v[22:23], v[16:17]
	v_fma_f64 v[6:7], v[6:7], v[22:23], -v[24:25]
	v_add_f64 v[14:15], v[10:11], v[14:15]
	v_add_f64 v[20:21], v[12:13], v[40:41]
	ds_load_b128 v[2:5], v1 offset:1888
	ds_load_b128 v[10:13], v1 offset:1904
	s_waitcnt vmcnt(1) lgkmcnt(1)
	v_mul_f64 v[36:37], v[2:3], v[28:29]
	v_mul_f64 v[28:29], v[4:5], v[28:29]
	v_add_f64 v[14:15], v[14:15], v[18:19]
	v_add_f64 v[16:17], v[20:21], v[34:35]
	s_waitcnt vmcnt(0) lgkmcnt(0)
	v_mul_f64 v[18:19], v[10:11], v[32:33]
	v_mul_f64 v[20:21], v[12:13], v[32:33]
	v_fma_f64 v[4:5], v[4:5], v[26:27], v[36:37]
	v_fma_f64 v[1:2], v[2:3], v[26:27], -v[28:29]
	v_add_f64 v[6:7], v[14:15], v[6:7]
	v_add_f64 v[8:9], v[16:17], v[8:9]
	v_fma_f64 v[12:13], v[12:13], v[30:31], v[18:19]
	v_fma_f64 v[10:11], v[10:11], v[30:31], -v[20:21]
	s_delay_alu instid0(VALU_DEP_4) | instskip(NEXT) | instid1(VALU_DEP_4)
	v_add_f64 v[1:2], v[6:7], v[1:2]
	v_add_f64 v[3:4], v[8:9], v[4:5]
	s_delay_alu instid0(VALU_DEP_2) | instskip(NEXT) | instid1(VALU_DEP_2)
	v_add_f64 v[1:2], v[1:2], v[10:11]
	v_add_f64 v[3:4], v[3:4], v[12:13]
	s_delay_alu instid0(VALU_DEP_2) | instskip(NEXT) | instid1(VALU_DEP_2)
	v_add_f64 v[1:2], v[180:181], -v[1:2]
	v_add_f64 v[3:4], v[182:183], -v[3:4]
	scratch_store_b128 off, v[1:4], off offset:176
	v_cmpx_lt_u32_e32 10, v166
	s_cbranch_execz .LBB59_353
; %bb.352:
	scratch_load_b128 v[1:4], v208, off
	v_mov_b32_e32 v5, 0
	s_delay_alu instid0(VALU_DEP_1)
	v_mov_b32_e32 v6, v5
	v_mov_b32_e32 v7, v5
	;; [unrolled: 1-line block ×3, first 2 shown]
	scratch_store_b128 off, v[5:8], off offset:160
	s_waitcnt vmcnt(0)
	ds_store_b128 v226, v[1:4]
.LBB59_353:
	s_or_b32 exec_lo, exec_lo, s2
	s_waitcnt lgkmcnt(0)
	s_waitcnt_vscnt null, 0x0
	s_barrier
	buffer_gl0_inv
	s_clause 0x7
	scratch_load_b128 v[2:5], off, off offset:176
	scratch_load_b128 v[6:9], off, off offset:192
	;; [unrolled: 1-line block ×8, first 2 shown]
	v_mov_b32_e32 v1, 0
	s_mov_b32 s2, exec_lo
	ds_load_b128 v[38:41], v1 offset:1136
	s_clause 0x1
	scratch_load_b128 v[34:37], off, off offset:304
	scratch_load_b128 v[42:45], off, off offset:160
	ds_load_b128 v[180:183], v1 offset:1152
	scratch_load_b128 v[201:204], off, off offset:320
	ds_load_b128 v[230:233], v1 offset:1184
	s_waitcnt vmcnt(10) lgkmcnt(2)
	v_mul_f64 v[52:53], v[40:41], v[4:5]
	v_mul_f64 v[4:5], v[38:39], v[4:5]
	s_delay_alu instid0(VALU_DEP_2) | instskip(NEXT) | instid1(VALU_DEP_2)
	v_fma_f64 v[52:53], v[38:39], v[2:3], -v[52:53]
	v_fma_f64 v[56:57], v[40:41], v[2:3], v[4:5]
	ds_load_b128 v[2:5], v1 offset:1168
	s_waitcnt vmcnt(9) lgkmcnt(2)
	v_mul_f64 v[54:55], v[180:181], v[8:9]
	v_mul_f64 v[8:9], v[182:183], v[8:9]
	scratch_load_b128 v[38:41], off, off offset:336
	s_waitcnt vmcnt(9) lgkmcnt(0)
	v_mul_f64 v[58:59], v[2:3], v[12:13]
	v_mul_f64 v[12:13], v[4:5], v[12:13]
	v_add_f64 v[52:53], v[52:53], 0
	v_add_f64 v[56:57], v[56:57], 0
	v_fma_f64 v[54:55], v[182:183], v[6:7], v[54:55]
	v_fma_f64 v[60:61], v[180:181], v[6:7], -v[8:9]
	scratch_load_b128 v[6:9], off, off offset:352
	ds_load_b128 v[180:183], v1 offset:1216
	v_fma_f64 v[58:59], v[4:5], v[10:11], v[58:59]
	v_fma_f64 v[64:65], v[2:3], v[10:11], -v[12:13]
	ds_load_b128 v[2:5], v1 offset:1200
	s_waitcnt vmcnt(9)
	v_mul_f64 v[62:63], v[230:231], v[16:17]
	v_mul_f64 v[16:17], v[232:233], v[16:17]
	scratch_load_b128 v[10:13], off, off offset:368
	v_add_f64 v[54:55], v[56:57], v[54:55]
	v_add_f64 v[52:53], v[52:53], v[60:61]
	s_waitcnt vmcnt(9) lgkmcnt(0)
	v_mul_f64 v[56:57], v[2:3], v[20:21]
	v_mul_f64 v[20:21], v[4:5], v[20:21]
	v_fma_f64 v[60:61], v[232:233], v[14:15], v[62:63]
	v_fma_f64 v[62:63], v[230:231], v[14:15], -v[16:17]
	scratch_load_b128 v[14:17], off, off offset:384
	ds_load_b128 v[230:233], v1 offset:1248
	v_add_f64 v[54:55], v[54:55], v[58:59]
	v_add_f64 v[52:53], v[52:53], v[64:65]
	v_fma_f64 v[56:57], v[4:5], v[18:19], v[56:57]
	v_fma_f64 v[64:65], v[2:3], v[18:19], -v[20:21]
	ds_load_b128 v[2:5], v1 offset:1232
	s_waitcnt vmcnt(9)
	v_mul_f64 v[58:59], v[180:181], v[24:25]
	v_mul_f64 v[24:25], v[182:183], v[24:25]
	scratch_load_b128 v[18:21], off, off offset:400
	v_add_f64 v[54:55], v[54:55], v[60:61]
	v_add_f64 v[52:53], v[52:53], v[62:63]
	s_waitcnt vmcnt(9) lgkmcnt(0)
	v_mul_f64 v[60:61], v[2:3], v[28:29]
	v_mul_f64 v[28:29], v[4:5], v[28:29]
	v_fma_f64 v[58:59], v[182:183], v[22:23], v[58:59]
	v_fma_f64 v[62:63], v[180:181], v[22:23], -v[24:25]
	scratch_load_b128 v[22:25], off, off offset:416
	ds_load_b128 v[180:183], v1 offset:1280
	v_add_f64 v[54:55], v[54:55], v[56:57]
	v_add_f64 v[52:53], v[52:53], v[64:65]
	;; [unrolled: 18-line block ×3, first 2 shown]
	v_fma_f64 v[58:59], v[4:5], v[34:35], v[58:59]
	v_fma_f64 v[66:67], v[2:3], v[34:35], -v[36:37]
	ds_load_b128 v[2:5], v1 offset:1296
	s_waitcnt vmcnt(8)
	v_mul_f64 v[60:61], v[180:181], v[203:204]
	v_mul_f64 v[64:65], v[182:183], v[203:204]
	scratch_load_b128 v[34:37], off, off offset:464
	v_add_f64 v[54:55], v[54:55], v[56:57]
	v_add_f64 v[52:53], v[52:53], v[62:63]
	v_fma_f64 v[60:61], v[182:183], v[201:202], v[60:61]
	v_fma_f64 v[62:63], v[180:181], v[201:202], -v[64:65]
	scratch_load_b128 v[180:183], off, off offset:480
	ds_load_b128 v[201:204], v1 offset:1344
	s_waitcnt vmcnt(9) lgkmcnt(1)
	v_mul_f64 v[56:57], v[2:3], v[40:41]
	v_mul_f64 v[40:41], v[4:5], v[40:41]
	v_add_f64 v[54:55], v[54:55], v[58:59]
	v_add_f64 v[52:53], v[52:53], v[66:67]
	s_delay_alu instid0(VALU_DEP_4) | instskip(NEXT) | instid1(VALU_DEP_4)
	v_fma_f64 v[56:57], v[4:5], v[38:39], v[56:57]
	v_fma_f64 v[64:65], v[2:3], v[38:39], -v[40:41]
	ds_load_b128 v[2:5], v1 offset:1328
	s_waitcnt vmcnt(8)
	v_mul_f64 v[58:59], v[230:231], v[8:9]
	v_mul_f64 v[8:9], v[232:233], v[8:9]
	scratch_load_b128 v[38:41], off, off offset:496
	v_add_f64 v[54:55], v[54:55], v[60:61]
	v_add_f64 v[52:53], v[52:53], v[62:63]
	s_waitcnt vmcnt(8) lgkmcnt(0)
	v_mul_f64 v[60:61], v[2:3], v[12:13]
	v_mul_f64 v[12:13], v[4:5], v[12:13]
	v_fma_f64 v[58:59], v[232:233], v[6:7], v[58:59]
	v_fma_f64 v[62:63], v[230:231], v[6:7], -v[8:9]
	scratch_load_b128 v[6:9], off, off offset:512
	ds_load_b128 v[230:233], v1 offset:1376
	v_add_f64 v[54:55], v[54:55], v[56:57]
	v_add_f64 v[52:53], v[52:53], v[64:65]
	v_fma_f64 v[60:61], v[4:5], v[10:11], v[60:61]
	v_fma_f64 v[64:65], v[2:3], v[10:11], -v[12:13]
	ds_load_b128 v[2:5], v1 offset:1360
	s_waitcnt vmcnt(8)
	v_mul_f64 v[56:57], v[201:202], v[16:17]
	v_mul_f64 v[16:17], v[203:204], v[16:17]
	scratch_load_b128 v[10:13], off, off offset:528
	v_add_f64 v[54:55], v[54:55], v[58:59]
	v_add_f64 v[52:53], v[52:53], v[62:63]
	s_waitcnt vmcnt(8) lgkmcnt(0)
	v_mul_f64 v[58:59], v[2:3], v[20:21]
	v_mul_f64 v[20:21], v[4:5], v[20:21]
	v_fma_f64 v[56:57], v[203:204], v[14:15], v[56:57]
	v_fma_f64 v[62:63], v[201:202], v[14:15], -v[16:17]
	scratch_load_b128 v[14:17], off, off offset:544
	ds_load_b128 v[201:204], v1 offset:1408
	v_add_f64 v[54:55], v[54:55], v[60:61]
	v_add_f64 v[52:53], v[52:53], v[64:65]
	;; [unrolled: 18-line block ×3, first 2 shown]
	v_fma_f64 v[56:57], v[4:5], v[26:27], v[56:57]
	v_fma_f64 v[64:65], v[2:3], v[26:27], -v[28:29]
	ds_load_b128 v[2:5], v1 offset:1424
	s_waitcnt vmcnt(8)
	v_mul_f64 v[58:59], v[201:202], v[32:33]
	v_mul_f64 v[32:33], v[203:204], v[32:33]
	scratch_load_b128 v[26:29], off, off offset:592
	v_add_f64 v[54:55], v[54:55], v[60:61]
	v_add_f64 v[52:53], v[52:53], v[62:63]
	s_waitcnt vmcnt(8) lgkmcnt(0)
	v_mul_f64 v[60:61], v[2:3], v[36:37]
	v_mul_f64 v[36:37], v[4:5], v[36:37]
	v_fma_f64 v[58:59], v[203:204], v[30:31], v[58:59]
	v_fma_f64 v[62:63], v[201:202], v[30:31], -v[32:33]
	s_clause 0x1
	scratch_load_b128 v[30:33], off, off offset:608
	scratch_load_b128 v[201:204], off, off offset:640
	v_add_f64 v[54:55], v[54:55], v[56:57]
	v_add_f64 v[52:53], v[52:53], v[64:65]
	v_fma_f64 v[60:61], v[4:5], v[34:35], v[60:61]
	v_fma_f64 v[66:67], v[2:3], v[34:35], -v[36:37]
	ds_load_b128 v[2:5], v1 offset:1456
	s_waitcnt vmcnt(9)
	v_mul_f64 v[56:57], v[230:231], v[182:183]
	v_mul_f64 v[64:65], v[232:233], v[182:183]
	scratch_load_b128 v[34:37], off, off offset:624
	ds_load_b128 v[182:185], v1 offset:1472
	v_add_f64 v[54:55], v[54:55], v[58:59]
	v_add_f64 v[52:53], v[52:53], v[62:63]
	s_waitcnt vmcnt(9) lgkmcnt(1)
	v_mul_f64 v[58:59], v[2:3], v[40:41]
	v_mul_f64 v[40:41], v[4:5], v[40:41]
	v_fma_f64 v[56:57], v[232:233], v[180:181], v[56:57]
	v_fma_f64 v[62:63], v[230:231], v[180:181], -v[64:65]
	ds_load_b128 v[230:233], v1 offset:1504
	v_add_f64 v[54:55], v[54:55], v[60:61]
	v_add_f64 v[52:53], v[52:53], v[66:67]
	v_fma_f64 v[58:59], v[4:5], v[38:39], v[58:59]
	v_fma_f64 v[64:65], v[2:3], v[38:39], -v[40:41]
	ds_load_b128 v[2:5], v1 offset:1488
	s_waitcnt vmcnt(8) lgkmcnt(2)
	v_mul_f64 v[60:61], v[182:183], v[8:9]
	v_mul_f64 v[8:9], v[184:185], v[8:9]
	scratch_load_b128 v[38:41], off, off offset:656
	v_add_f64 v[54:55], v[54:55], v[56:57]
	v_add_f64 v[52:53], v[52:53], v[62:63]
	s_waitcnt vmcnt(8) lgkmcnt(0)
	v_mul_f64 v[56:57], v[2:3], v[12:13]
	v_mul_f64 v[12:13], v[4:5], v[12:13]
	v_fma_f64 v[60:61], v[184:185], v[6:7], v[60:61]
	v_fma_f64 v[62:63], v[182:183], v[6:7], -v[8:9]
	scratch_load_b128 v[6:9], off, off offset:672
	ds_load_b128 v[180:183], v1 offset:1536
	v_add_f64 v[54:55], v[54:55], v[58:59]
	v_add_f64 v[52:53], v[52:53], v[64:65]
	v_fma_f64 v[56:57], v[4:5], v[10:11], v[56:57]
	v_fma_f64 v[64:65], v[2:3], v[10:11], -v[12:13]
	ds_load_b128 v[2:5], v1 offset:1520
	s_waitcnt vmcnt(8)
	v_mul_f64 v[58:59], v[230:231], v[16:17]
	v_mul_f64 v[16:17], v[232:233], v[16:17]
	scratch_load_b128 v[10:13], off, off offset:688
	v_add_f64 v[54:55], v[54:55], v[60:61]
	v_add_f64 v[52:53], v[52:53], v[62:63]
	s_waitcnt vmcnt(8) lgkmcnt(0)
	v_mul_f64 v[60:61], v[2:3], v[20:21]
	v_mul_f64 v[20:21], v[4:5], v[20:21]
	v_fma_f64 v[58:59], v[232:233], v[14:15], v[58:59]
	v_fma_f64 v[62:63], v[230:231], v[14:15], -v[16:17]
	scratch_load_b128 v[14:17], off, off offset:704
	ds_load_b128 v[230:233], v1 offset:1568
	v_add_f64 v[54:55], v[54:55], v[56:57]
	v_add_f64 v[52:53], v[52:53], v[64:65]
	v_fma_f64 v[60:61], v[4:5], v[18:19], v[60:61]
	v_fma_f64 v[64:65], v[2:3], v[18:19], -v[20:21]
	ds_load_b128 v[2:5], v1 offset:1552
	s_waitcnt vmcnt(8)
	v_mul_f64 v[56:57], v[180:181], v[24:25]
	v_mul_f64 v[24:25], v[182:183], v[24:25]
	scratch_load_b128 v[18:21], off, off offset:720
	v_add_f64 v[54:55], v[54:55], v[58:59]
	v_add_f64 v[52:53], v[52:53], v[62:63]
	s_waitcnt vmcnt(8) lgkmcnt(0)
	v_mul_f64 v[58:59], v[2:3], v[28:29]
	v_mul_f64 v[28:29], v[4:5], v[28:29]
	v_fma_f64 v[56:57], v[182:183], v[22:23], v[56:57]
	v_fma_f64 v[62:63], v[180:181], v[22:23], -v[24:25]
	scratch_load_b128 v[22:25], off, off offset:736
	ds_load_b128 v[180:183], v1 offset:1600
	v_add_f64 v[54:55], v[54:55], v[60:61]
	v_add_f64 v[52:53], v[52:53], v[64:65]
	v_fma_f64 v[58:59], v[4:5], v[26:27], v[58:59]
	v_fma_f64 v[64:65], v[2:3], v[26:27], -v[28:29]
	ds_load_b128 v[2:5], v1 offset:1584
	s_waitcnt vmcnt(8)
	v_mul_f64 v[60:61], v[230:231], v[32:33]
	v_mul_f64 v[32:33], v[232:233], v[32:33]
	scratch_load_b128 v[26:29], off, off offset:752
	v_add_f64 v[54:55], v[54:55], v[56:57]
	v_add_f64 v[52:53], v[52:53], v[62:63]
	s_waitcnt vmcnt(7) lgkmcnt(0)
	v_mul_f64 v[56:57], v[2:3], v[36:37]
	v_mul_f64 v[36:37], v[4:5], v[36:37]
	v_fma_f64 v[60:61], v[232:233], v[30:31], v[60:61]
	v_fma_f64 v[62:63], v[230:231], v[30:31], -v[32:33]
	scratch_load_b128 v[30:33], off, off offset:768
	ds_load_b128 v[230:233], v1 offset:1632
	v_add_f64 v[54:55], v[54:55], v[58:59]
	v_add_f64 v[52:53], v[52:53], v[64:65]
	v_fma_f64 v[56:57], v[4:5], v[34:35], v[56:57]
	v_fma_f64 v[66:67], v[2:3], v[34:35], -v[36:37]
	ds_load_b128 v[2:5], v1 offset:1616
	v_mul_f64 v[58:59], v[180:181], v[203:204]
	v_mul_f64 v[64:65], v[182:183], v[203:204]
	scratch_load_b128 v[34:37], off, off offset:784
	v_add_f64 v[54:55], v[54:55], v[60:61]
	v_add_f64 v[52:53], v[52:53], v[62:63]
	s_waitcnt vmcnt(8) lgkmcnt(0)
	v_mul_f64 v[60:61], v[2:3], v[40:41]
	v_mul_f64 v[40:41], v[4:5], v[40:41]
	v_fma_f64 v[58:59], v[182:183], v[201:202], v[58:59]
	v_fma_f64 v[62:63], v[180:181], v[201:202], -v[64:65]
	scratch_load_b128 v[180:183], off, off offset:800
	ds_load_b128 v[201:204], v1 offset:1664
	v_add_f64 v[54:55], v[54:55], v[56:57]
	v_add_f64 v[52:53], v[52:53], v[66:67]
	v_fma_f64 v[60:61], v[4:5], v[38:39], v[60:61]
	v_fma_f64 v[64:65], v[2:3], v[38:39], -v[40:41]
	ds_load_b128 v[2:5], v1 offset:1648
	s_waitcnt vmcnt(8)
	v_mul_f64 v[56:57], v[230:231], v[8:9]
	v_mul_f64 v[8:9], v[232:233], v[8:9]
	scratch_load_b128 v[38:41], off, off offset:816
	v_add_f64 v[54:55], v[54:55], v[58:59]
	v_add_f64 v[52:53], v[52:53], v[62:63]
	s_waitcnt vmcnt(8) lgkmcnt(0)
	v_mul_f64 v[58:59], v[2:3], v[12:13]
	v_mul_f64 v[12:13], v[4:5], v[12:13]
	v_fma_f64 v[56:57], v[232:233], v[6:7], v[56:57]
	v_fma_f64 v[62:63], v[230:231], v[6:7], -v[8:9]
	scratch_load_b128 v[6:9], off, off offset:832
	ds_load_b128 v[230:233], v1 offset:1696
	v_add_f64 v[54:55], v[54:55], v[60:61]
	v_add_f64 v[52:53], v[52:53], v[64:65]
	v_fma_f64 v[58:59], v[4:5], v[10:11], v[58:59]
	v_fma_f64 v[64:65], v[2:3], v[10:11], -v[12:13]
	ds_load_b128 v[2:5], v1 offset:1680
	s_waitcnt vmcnt(8)
	;; [unrolled: 18-line block ×4, first 2 shown]
	v_mul_f64 v[56:57], v[201:202], v[32:33]
	v_mul_f64 v[32:33], v[203:204], v[32:33]
	scratch_load_b128 v[26:29], off, off offset:912
	v_add_f64 v[54:55], v[54:55], v[58:59]
	v_add_f64 v[52:53], v[52:53], v[62:63]
	s_waitcnt vmcnt(8) lgkmcnt(0)
	v_mul_f64 v[58:59], v[2:3], v[36:37]
	v_mul_f64 v[36:37], v[4:5], v[36:37]
	v_fma_f64 v[56:57], v[203:204], v[30:31], v[56:57]
	v_fma_f64 v[62:63], v[201:202], v[30:31], -v[32:33]
	scratch_load_b128 v[30:33], off, off offset:928
	v_add_f64 v[54:55], v[54:55], v[60:61]
	v_add_f64 v[52:53], v[52:53], v[64:65]
	v_fma_f64 v[58:59], v[4:5], v[34:35], v[58:59]
	v_fma_f64 v[66:67], v[2:3], v[34:35], -v[36:37]
	scratch_load_b128 v[34:37], off, off offset:944
	ds_load_b128 v[2:5], v1 offset:1776
	s_waitcnt vmcnt(9)
	v_mul_f64 v[60:61], v[230:231], v[182:183]
	v_mul_f64 v[64:65], v[232:233], v[182:183]
	ds_load_b128 v[182:185], v1 offset:1792
	v_add_f64 v[54:55], v[54:55], v[56:57]
	v_add_f64 v[52:53], v[52:53], v[62:63]
	s_waitcnt vmcnt(8) lgkmcnt(1)
	v_mul_f64 v[56:57], v[2:3], v[40:41]
	v_mul_f64 v[40:41], v[4:5], v[40:41]
	v_fma_f64 v[60:61], v[232:233], v[180:181], v[60:61]
	v_fma_f64 v[62:63], v[230:231], v[180:181], -v[64:65]
	v_add_f64 v[54:55], v[54:55], v[58:59]
	v_add_f64 v[52:53], v[52:53], v[66:67]
	s_waitcnt vmcnt(7) lgkmcnt(0)
	v_mul_f64 v[58:59], v[182:183], v[8:9]
	v_mul_f64 v[8:9], v[184:185], v[8:9]
	v_fma_f64 v[56:57], v[4:5], v[38:39], v[56:57]
	v_fma_f64 v[64:65], v[2:3], v[38:39], -v[40:41]
	ds_load_b128 v[2:5], v1 offset:1808
	ds_load_b128 v[38:41], v1 offset:1824
	v_add_f64 v[54:55], v[54:55], v[60:61]
	v_add_f64 v[52:53], v[52:53], v[62:63]
	s_waitcnt vmcnt(6) lgkmcnt(1)
	v_mul_f64 v[60:61], v[2:3], v[12:13]
	v_mul_f64 v[12:13], v[4:5], v[12:13]
	v_fma_f64 v[58:59], v[184:185], v[6:7], v[58:59]
	v_fma_f64 v[6:7], v[182:183], v[6:7], -v[8:9]
	v_add_f64 v[8:9], v[52:53], v[64:65]
	v_add_f64 v[52:53], v[54:55], v[56:57]
	s_waitcnt vmcnt(5) lgkmcnt(0)
	v_mul_f64 v[54:55], v[38:39], v[16:17]
	v_mul_f64 v[16:17], v[40:41], v[16:17]
	v_fma_f64 v[56:57], v[4:5], v[10:11], v[60:61]
	v_fma_f64 v[10:11], v[2:3], v[10:11], -v[12:13]
	v_add_f64 v[12:13], v[8:9], v[6:7]
	v_add_f64 v[52:53], v[52:53], v[58:59]
	ds_load_b128 v[2:5], v1 offset:1840
	ds_load_b128 v[6:9], v1 offset:1856
	v_fma_f64 v[40:41], v[40:41], v[14:15], v[54:55]
	v_fma_f64 v[14:15], v[38:39], v[14:15], -v[16:17]
	s_waitcnt vmcnt(4) lgkmcnt(1)
	v_mul_f64 v[58:59], v[2:3], v[20:21]
	v_mul_f64 v[20:21], v[4:5], v[20:21]
	s_waitcnt vmcnt(3) lgkmcnt(0)
	v_mul_f64 v[16:17], v[6:7], v[24:25]
	v_mul_f64 v[24:25], v[8:9], v[24:25]
	v_add_f64 v[10:11], v[12:13], v[10:11]
	v_add_f64 v[12:13], v[52:53], v[56:57]
	v_fma_f64 v[38:39], v[4:5], v[18:19], v[58:59]
	v_fma_f64 v[18:19], v[2:3], v[18:19], -v[20:21]
	v_fma_f64 v[8:9], v[8:9], v[22:23], v[16:17]
	v_fma_f64 v[6:7], v[6:7], v[22:23], -v[24:25]
	v_add_f64 v[14:15], v[10:11], v[14:15]
	v_add_f64 v[20:21], v[12:13], v[40:41]
	ds_load_b128 v[2:5], v1 offset:1872
	ds_load_b128 v[10:13], v1 offset:1888
	s_waitcnt vmcnt(2) lgkmcnt(1)
	v_mul_f64 v[40:41], v[2:3], v[28:29]
	v_mul_f64 v[28:29], v[4:5], v[28:29]
	v_add_f64 v[14:15], v[14:15], v[18:19]
	v_add_f64 v[16:17], v[20:21], v[38:39]
	s_waitcnt vmcnt(1) lgkmcnt(0)
	v_mul_f64 v[18:19], v[10:11], v[32:33]
	v_mul_f64 v[20:21], v[12:13], v[32:33]
	v_fma_f64 v[22:23], v[4:5], v[26:27], v[40:41]
	v_fma_f64 v[24:25], v[2:3], v[26:27], -v[28:29]
	ds_load_b128 v[2:5], v1 offset:1904
	v_add_f64 v[6:7], v[14:15], v[6:7]
	v_add_f64 v[8:9], v[16:17], v[8:9]
	v_fma_f64 v[12:13], v[12:13], v[30:31], v[18:19]
	v_fma_f64 v[10:11], v[10:11], v[30:31], -v[20:21]
	s_waitcnt vmcnt(0) lgkmcnt(0)
	v_mul_f64 v[14:15], v[2:3], v[36:37]
	v_mul_f64 v[16:17], v[4:5], v[36:37]
	v_add_f64 v[6:7], v[6:7], v[24:25]
	v_add_f64 v[8:9], v[8:9], v[22:23]
	s_delay_alu instid0(VALU_DEP_4) | instskip(NEXT) | instid1(VALU_DEP_4)
	v_fma_f64 v[4:5], v[4:5], v[34:35], v[14:15]
	v_fma_f64 v[2:3], v[2:3], v[34:35], -v[16:17]
	s_delay_alu instid0(VALU_DEP_4) | instskip(NEXT) | instid1(VALU_DEP_4)
	v_add_f64 v[6:7], v[6:7], v[10:11]
	v_add_f64 v[8:9], v[8:9], v[12:13]
	s_delay_alu instid0(VALU_DEP_2) | instskip(NEXT) | instid1(VALU_DEP_2)
	v_add_f64 v[2:3], v[6:7], v[2:3]
	v_add_f64 v[4:5], v[8:9], v[4:5]
	s_delay_alu instid0(VALU_DEP_2) | instskip(NEXT) | instid1(VALU_DEP_2)
	v_add_f64 v[2:3], v[42:43], -v[2:3]
	v_add_f64 v[4:5], v[44:45], -v[4:5]
	scratch_store_b128 off, v[2:5], off offset:160
	v_cmpx_lt_u32_e32 9, v166
	s_cbranch_execz .LBB59_355
; %bb.354:
	scratch_load_b128 v[5:8], v211, off
	v_mov_b32_e32 v2, v1
	v_mov_b32_e32 v3, v1
	v_mov_b32_e32 v4, v1
	scratch_store_b128 off, v[1:4], off offset:144
	s_waitcnt vmcnt(0)
	ds_store_b128 v226, v[5:8]
.LBB59_355:
	s_or_b32 exec_lo, exec_lo, s2
	s_waitcnt lgkmcnt(0)
	s_waitcnt_vscnt null, 0x0
	s_barrier
	buffer_gl0_inv
	s_clause 0x8
	scratch_load_b128 v[2:5], off, off offset:160
	scratch_load_b128 v[6:9], off, off offset:176
	;; [unrolled: 1-line block ×9, first 2 shown]
	ds_load_b128 v[42:45], v1 offset:1120
	ds_load_b128 v[38:41], v1 offset:1136
	s_clause 0x1
	scratch_load_b128 v[180:183], off, off offset:144
	scratch_load_b128 v[201:204], off, off offset:304
	s_mov_b32 s2, exec_lo
	ds_load_b128 v[230:233], v1 offset:1168
	s_waitcnt vmcnt(10) lgkmcnt(2)
	v_mul_f64 v[52:53], v[44:45], v[4:5]
	v_mul_f64 v[4:5], v[42:43], v[4:5]
	s_waitcnt vmcnt(9) lgkmcnt(1)
	v_mul_f64 v[54:55], v[38:39], v[8:9]
	v_mul_f64 v[8:9], v[40:41], v[8:9]
	s_delay_alu instid0(VALU_DEP_4) | instskip(NEXT) | instid1(VALU_DEP_4)
	v_fma_f64 v[52:53], v[42:43], v[2:3], -v[52:53]
	v_fma_f64 v[56:57], v[44:45], v[2:3], v[4:5]
	ds_load_b128 v[2:5], v1 offset:1152
	scratch_load_b128 v[42:45], off, off offset:320
	v_fma_f64 v[40:41], v[40:41], v[6:7], v[54:55]
	v_fma_f64 v[38:39], v[38:39], v[6:7], -v[8:9]
	scratch_load_b128 v[6:9], off, off offset:336
	s_waitcnt vmcnt(10) lgkmcnt(0)
	v_mul_f64 v[58:59], v[2:3], v[12:13]
	v_mul_f64 v[12:13], v[4:5], v[12:13]
	v_add_f64 v[52:53], v[52:53], 0
	v_add_f64 v[54:55], v[56:57], 0
	s_waitcnt vmcnt(9)
	v_mul_f64 v[56:57], v[230:231], v[16:17]
	v_mul_f64 v[16:17], v[232:233], v[16:17]
	v_fma_f64 v[58:59], v[4:5], v[10:11], v[58:59]
	v_fma_f64 v[60:61], v[2:3], v[10:11], -v[12:13]
	ds_load_b128 v[2:5], v1 offset:1184
	scratch_load_b128 v[10:13], off, off offset:352
	v_add_f64 v[52:53], v[52:53], v[38:39]
	v_add_f64 v[54:55], v[54:55], v[40:41]
	ds_load_b128 v[38:41], v1 offset:1200
	v_fma_f64 v[56:57], v[232:233], v[14:15], v[56:57]
	v_fma_f64 v[64:65], v[230:231], v[14:15], -v[16:17]
	scratch_load_b128 v[14:17], off, off offset:368
	s_waitcnt vmcnt(10) lgkmcnt(1)
	v_mul_f64 v[62:63], v[2:3], v[20:21]
	v_mul_f64 v[20:21], v[4:5], v[20:21]
	ds_load_b128 v[230:233], v1 offset:1232
	v_add_f64 v[52:53], v[52:53], v[60:61]
	v_add_f64 v[54:55], v[54:55], v[58:59]
	s_waitcnt vmcnt(9) lgkmcnt(1)
	v_mul_f64 v[58:59], v[38:39], v[24:25]
	v_mul_f64 v[24:25], v[40:41], v[24:25]
	v_fma_f64 v[60:61], v[4:5], v[18:19], v[62:63]
	v_fma_f64 v[62:63], v[2:3], v[18:19], -v[20:21]
	ds_load_b128 v[2:5], v1 offset:1216
	scratch_load_b128 v[18:21], off, off offset:384
	v_add_f64 v[52:53], v[52:53], v[64:65]
	v_add_f64 v[54:55], v[54:55], v[56:57]
	s_waitcnt vmcnt(9) lgkmcnt(0)
	v_mul_f64 v[56:57], v[2:3], v[28:29]
	v_mul_f64 v[28:29], v[4:5], v[28:29]
	v_fma_f64 v[40:41], v[40:41], v[22:23], v[58:59]
	v_fma_f64 v[38:39], v[38:39], v[22:23], -v[24:25]
	scratch_load_b128 v[22:25], off, off offset:400
	s_waitcnt vmcnt(9)
	v_mul_f64 v[58:59], v[230:231], v[32:33]
	v_mul_f64 v[32:33], v[232:233], v[32:33]
	v_add_f64 v[52:53], v[52:53], v[62:63]
	v_add_f64 v[54:55], v[54:55], v[60:61]
	v_fma_f64 v[56:57], v[4:5], v[26:27], v[56:57]
	v_fma_f64 v[60:61], v[2:3], v[26:27], -v[28:29]
	ds_load_b128 v[2:5], v1 offset:1248
	scratch_load_b128 v[26:29], off, off offset:416
	v_fma_f64 v[58:59], v[232:233], v[30:31], v[58:59]
	v_fma_f64 v[64:65], v[230:231], v[30:31], -v[32:33]
	scratch_load_b128 v[30:33], off, off offset:432
	ds_load_b128 v[230:233], v1 offset:1296
	v_add_f64 v[52:53], v[52:53], v[38:39]
	v_add_f64 v[54:55], v[54:55], v[40:41]
	ds_load_b128 v[38:41], v1 offset:1264
	s_waitcnt vmcnt(10) lgkmcnt(2)
	v_mul_f64 v[62:63], v[2:3], v[36:37]
	v_mul_f64 v[36:37], v[4:5], v[36:37]
	v_add_f64 v[52:53], v[52:53], v[60:61]
	v_add_f64 v[54:55], v[54:55], v[56:57]
	s_waitcnt vmcnt(8) lgkmcnt(0)
	v_mul_f64 v[56:57], v[38:39], v[203:204]
	v_mul_f64 v[60:61], v[40:41], v[203:204]
	v_fma_f64 v[62:63], v[4:5], v[34:35], v[62:63]
	v_fma_f64 v[66:67], v[2:3], v[34:35], -v[36:37]
	ds_load_b128 v[2:5], v1 offset:1280
	scratch_load_b128 v[34:37], off, off offset:448
	v_add_f64 v[52:53], v[52:53], v[64:65]
	v_add_f64 v[54:55], v[54:55], v[58:59]
	v_fma_f64 v[56:57], v[40:41], v[201:202], v[56:57]
	v_fma_f64 v[60:61], v[38:39], v[201:202], -v[60:61]
	scratch_load_b128 v[38:41], off, off offset:464
	ds_load_b128 v[201:204], v1 offset:1328
	s_waitcnt vmcnt(9) lgkmcnt(1)
	v_mul_f64 v[58:59], v[2:3], v[44:45]
	v_mul_f64 v[44:45], v[4:5], v[44:45]
	v_add_f64 v[52:53], v[52:53], v[66:67]
	v_add_f64 v[54:55], v[54:55], v[62:63]
	s_waitcnt vmcnt(8)
	v_mul_f64 v[62:63], v[230:231], v[8:9]
	v_mul_f64 v[8:9], v[232:233], v[8:9]
	v_fma_f64 v[58:59], v[4:5], v[42:43], v[58:59]
	v_fma_f64 v[64:65], v[2:3], v[42:43], -v[44:45]
	ds_load_b128 v[2:5], v1 offset:1312
	scratch_load_b128 v[42:45], off, off offset:480
	v_add_f64 v[52:53], v[52:53], v[60:61]
	v_add_f64 v[54:55], v[54:55], v[56:57]
	v_fma_f64 v[60:61], v[232:233], v[6:7], v[62:63]
	s_waitcnt vmcnt(8) lgkmcnt(0)
	v_mul_f64 v[56:57], v[2:3], v[12:13]
	v_mul_f64 v[12:13], v[4:5], v[12:13]
	v_fma_f64 v[62:63], v[230:231], v[6:7], -v[8:9]
	scratch_load_b128 v[6:9], off, off offset:496
	ds_load_b128 v[230:233], v1 offset:1360
	v_add_f64 v[52:53], v[52:53], v[64:65]
	v_add_f64 v[54:55], v[54:55], v[58:59]
	s_waitcnt vmcnt(8)
	v_mul_f64 v[58:59], v[201:202], v[16:17]
	v_mul_f64 v[16:17], v[203:204], v[16:17]
	v_fma_f64 v[56:57], v[4:5], v[10:11], v[56:57]
	v_fma_f64 v[64:65], v[2:3], v[10:11], -v[12:13]
	ds_load_b128 v[2:5], v1 offset:1344
	scratch_load_b128 v[10:13], off, off offset:512
	v_add_f64 v[52:53], v[52:53], v[62:63]
	v_add_f64 v[54:55], v[54:55], v[60:61]
	s_waitcnt vmcnt(8) lgkmcnt(0)
	v_mul_f64 v[60:61], v[2:3], v[20:21]
	v_mul_f64 v[20:21], v[4:5], v[20:21]
	v_fma_f64 v[58:59], v[203:204], v[14:15], v[58:59]
	v_fma_f64 v[62:63], v[201:202], v[14:15], -v[16:17]
	scratch_load_b128 v[14:17], off, off offset:528
	ds_load_b128 v[201:204], v1 offset:1392
	v_add_f64 v[52:53], v[52:53], v[64:65]
	v_add_f64 v[54:55], v[54:55], v[56:57]
	s_waitcnt vmcnt(8)
	v_mul_f64 v[56:57], v[230:231], v[24:25]
	v_mul_f64 v[24:25], v[232:233], v[24:25]
	v_fma_f64 v[60:61], v[4:5], v[18:19], v[60:61]
	v_fma_f64 v[64:65], v[2:3], v[18:19], -v[20:21]
	ds_load_b128 v[2:5], v1 offset:1376
	scratch_load_b128 v[18:21], off, off offset:544
	v_add_f64 v[52:53], v[52:53], v[62:63]
	v_add_f64 v[54:55], v[54:55], v[58:59]
	s_waitcnt vmcnt(8) lgkmcnt(0)
	v_mul_f64 v[58:59], v[2:3], v[28:29]
	v_mul_f64 v[28:29], v[4:5], v[28:29]
	v_fma_f64 v[56:57], v[232:233], v[22:23], v[56:57]
	v_fma_f64 v[62:63], v[230:231], v[22:23], -v[24:25]
	scratch_load_b128 v[22:25], off, off offset:560
	ds_load_b128 v[230:233], v1 offset:1424
	v_add_f64 v[52:53], v[52:53], v[64:65]
	v_add_f64 v[54:55], v[54:55], v[60:61]
	s_waitcnt vmcnt(8)
	v_mul_f64 v[60:61], v[201:202], v[32:33]
	v_mul_f64 v[32:33], v[203:204], v[32:33]
	v_fma_f64 v[58:59], v[4:5], v[26:27], v[58:59]
	v_fma_f64 v[64:65], v[2:3], v[26:27], -v[28:29]
	ds_load_b128 v[2:5], v1 offset:1408
	scratch_load_b128 v[26:29], off, off offset:576
	v_add_f64 v[52:53], v[52:53], v[62:63]
	v_add_f64 v[54:55], v[54:55], v[56:57]
	s_waitcnt vmcnt(8) lgkmcnt(0)
	v_mul_f64 v[56:57], v[2:3], v[36:37]
	v_mul_f64 v[36:37], v[4:5], v[36:37]
	v_fma_f64 v[60:61], v[203:204], v[30:31], v[60:61]
	v_fma_f64 v[62:63], v[201:202], v[30:31], -v[32:33]
	scratch_load_b128 v[30:33], off, off offset:592
	ds_load_b128 v[201:204], v1 offset:1456
	v_add_f64 v[52:53], v[52:53], v[64:65]
	v_add_f64 v[54:55], v[54:55], v[58:59]
	s_waitcnt vmcnt(8)
	v_mul_f64 v[58:59], v[230:231], v[40:41]
	v_mul_f64 v[40:41], v[232:233], v[40:41]
	v_fma_f64 v[56:57], v[4:5], v[34:35], v[56:57]
	v_fma_f64 v[64:65], v[2:3], v[34:35], -v[36:37]
	ds_load_b128 v[2:5], v1 offset:1440
	scratch_load_b128 v[34:37], off, off offset:608
	v_add_f64 v[52:53], v[52:53], v[62:63]
	v_add_f64 v[54:55], v[54:55], v[60:61]
	s_waitcnt vmcnt(8) lgkmcnt(0)
	v_mul_f64 v[60:61], v[2:3], v[44:45]
	v_mul_f64 v[44:45], v[4:5], v[44:45]
	v_fma_f64 v[58:59], v[232:233], v[38:39], v[58:59]
	v_fma_f64 v[62:63], v[230:231], v[38:39], -v[40:41]
	scratch_load_b128 v[38:41], off, off offset:624
	ds_load_b128 v[230:233], v1 offset:1488
	v_add_f64 v[52:53], v[52:53], v[64:65]
	v_add_f64 v[54:55], v[54:55], v[56:57]
	s_waitcnt vmcnt(8)
	v_mul_f64 v[56:57], v[201:202], v[8:9]
	v_mul_f64 v[8:9], v[203:204], v[8:9]
	v_fma_f64 v[60:61], v[4:5], v[42:43], v[60:61]
	v_fma_f64 v[64:65], v[2:3], v[42:43], -v[44:45]
	ds_load_b128 v[2:5], v1 offset:1472
	scratch_load_b128 v[42:45], off, off offset:640
	v_add_f64 v[52:53], v[52:53], v[62:63]
	v_add_f64 v[54:55], v[54:55], v[58:59]
	s_waitcnt vmcnt(8) lgkmcnt(0)
	v_mul_f64 v[58:59], v[2:3], v[12:13]
	v_mul_f64 v[12:13], v[4:5], v[12:13]
	v_fma_f64 v[56:57], v[203:204], v[6:7], v[56:57]
	v_fma_f64 v[62:63], v[201:202], v[6:7], -v[8:9]
	scratch_load_b128 v[6:9], off, off offset:656
	ds_load_b128 v[201:204], v1 offset:1520
	v_add_f64 v[52:53], v[52:53], v[64:65]
	v_add_f64 v[54:55], v[54:55], v[60:61]
	s_waitcnt vmcnt(8)
	v_mul_f64 v[60:61], v[230:231], v[16:17]
	v_mul_f64 v[16:17], v[232:233], v[16:17]
	v_fma_f64 v[58:59], v[4:5], v[10:11], v[58:59]
	v_fma_f64 v[64:65], v[2:3], v[10:11], -v[12:13]
	ds_load_b128 v[2:5], v1 offset:1504
	scratch_load_b128 v[10:13], off, off offset:672
	v_add_f64 v[52:53], v[52:53], v[62:63]
	v_add_f64 v[54:55], v[54:55], v[56:57]
	s_waitcnt vmcnt(8) lgkmcnt(0)
	v_mul_f64 v[56:57], v[2:3], v[20:21]
	v_mul_f64 v[20:21], v[4:5], v[20:21]
	v_fma_f64 v[60:61], v[232:233], v[14:15], v[60:61]
	v_fma_f64 v[62:63], v[230:231], v[14:15], -v[16:17]
	scratch_load_b128 v[14:17], off, off offset:688
	ds_load_b128 v[230:233], v1 offset:1552
	v_add_f64 v[52:53], v[52:53], v[64:65]
	v_add_f64 v[54:55], v[54:55], v[58:59]
	s_waitcnt vmcnt(8)
	v_mul_f64 v[58:59], v[201:202], v[24:25]
	v_mul_f64 v[24:25], v[203:204], v[24:25]
	v_fma_f64 v[56:57], v[4:5], v[18:19], v[56:57]
	v_fma_f64 v[64:65], v[2:3], v[18:19], -v[20:21]
	ds_load_b128 v[2:5], v1 offset:1536
	scratch_load_b128 v[18:21], off, off offset:704
	v_add_f64 v[52:53], v[52:53], v[62:63]
	v_add_f64 v[54:55], v[54:55], v[60:61]
	s_waitcnt vmcnt(8) lgkmcnt(0)
	v_mul_f64 v[60:61], v[2:3], v[28:29]
	v_mul_f64 v[28:29], v[4:5], v[28:29]
	v_fma_f64 v[58:59], v[203:204], v[22:23], v[58:59]
	v_fma_f64 v[62:63], v[201:202], v[22:23], -v[24:25]
	scratch_load_b128 v[22:25], off, off offset:720
	ds_load_b128 v[201:204], v1 offset:1584
	v_add_f64 v[52:53], v[52:53], v[64:65]
	v_add_f64 v[54:55], v[54:55], v[56:57]
	s_waitcnt vmcnt(8)
	v_mul_f64 v[56:57], v[230:231], v[32:33]
	v_mul_f64 v[32:33], v[232:233], v[32:33]
	v_fma_f64 v[60:61], v[4:5], v[26:27], v[60:61]
	v_fma_f64 v[64:65], v[2:3], v[26:27], -v[28:29]
	ds_load_b128 v[2:5], v1 offset:1568
	scratch_load_b128 v[26:29], off, off offset:736
	v_add_f64 v[52:53], v[52:53], v[62:63]
	v_add_f64 v[54:55], v[54:55], v[58:59]
	s_waitcnt vmcnt(8) lgkmcnt(0)
	v_mul_f64 v[58:59], v[2:3], v[36:37]
	v_mul_f64 v[36:37], v[4:5], v[36:37]
	v_fma_f64 v[56:57], v[232:233], v[30:31], v[56:57]
	v_fma_f64 v[62:63], v[230:231], v[30:31], -v[32:33]
	scratch_load_b128 v[30:33], off, off offset:752
	ds_load_b128 v[230:233], v1 offset:1616
	v_add_f64 v[52:53], v[52:53], v[64:65]
	v_add_f64 v[54:55], v[54:55], v[60:61]
	s_waitcnt vmcnt(8)
	v_mul_f64 v[60:61], v[201:202], v[40:41]
	v_mul_f64 v[40:41], v[203:204], v[40:41]
	v_fma_f64 v[58:59], v[4:5], v[34:35], v[58:59]
	v_fma_f64 v[64:65], v[2:3], v[34:35], -v[36:37]
	ds_load_b128 v[2:5], v1 offset:1600
	scratch_load_b128 v[34:37], off, off offset:768
	v_add_f64 v[52:53], v[52:53], v[62:63]
	v_add_f64 v[54:55], v[54:55], v[56:57]
	s_waitcnt vmcnt(8) lgkmcnt(0)
	v_mul_f64 v[56:57], v[2:3], v[44:45]
	v_mul_f64 v[44:45], v[4:5], v[44:45]
	v_fma_f64 v[60:61], v[203:204], v[38:39], v[60:61]
	v_fma_f64 v[62:63], v[201:202], v[38:39], -v[40:41]
	scratch_load_b128 v[38:41], off, off offset:784
	ds_load_b128 v[201:204], v1 offset:1648
	v_add_f64 v[52:53], v[52:53], v[64:65]
	v_add_f64 v[54:55], v[54:55], v[58:59]
	s_waitcnt vmcnt(8)
	v_mul_f64 v[58:59], v[230:231], v[8:9]
	v_mul_f64 v[8:9], v[232:233], v[8:9]
	v_fma_f64 v[56:57], v[4:5], v[42:43], v[56:57]
	v_fma_f64 v[64:65], v[2:3], v[42:43], -v[44:45]
	ds_load_b128 v[2:5], v1 offset:1632
	scratch_load_b128 v[42:45], off, off offset:800
	v_add_f64 v[52:53], v[52:53], v[62:63]
	v_add_f64 v[54:55], v[54:55], v[60:61]
	s_waitcnt vmcnt(8) lgkmcnt(0)
	v_mul_f64 v[60:61], v[2:3], v[12:13]
	v_mul_f64 v[12:13], v[4:5], v[12:13]
	v_fma_f64 v[58:59], v[232:233], v[6:7], v[58:59]
	v_fma_f64 v[62:63], v[230:231], v[6:7], -v[8:9]
	scratch_load_b128 v[6:9], off, off offset:816
	ds_load_b128 v[230:233], v1 offset:1680
	v_add_f64 v[52:53], v[52:53], v[64:65]
	v_add_f64 v[54:55], v[54:55], v[56:57]
	s_waitcnt vmcnt(8)
	v_mul_f64 v[56:57], v[201:202], v[16:17]
	v_mul_f64 v[16:17], v[203:204], v[16:17]
	v_fma_f64 v[60:61], v[4:5], v[10:11], v[60:61]
	v_fma_f64 v[64:65], v[2:3], v[10:11], -v[12:13]
	ds_load_b128 v[2:5], v1 offset:1664
	scratch_load_b128 v[10:13], off, off offset:832
	v_add_f64 v[52:53], v[52:53], v[62:63]
	v_add_f64 v[54:55], v[54:55], v[58:59]
	s_waitcnt vmcnt(8) lgkmcnt(0)
	v_mul_f64 v[58:59], v[2:3], v[20:21]
	v_mul_f64 v[20:21], v[4:5], v[20:21]
	v_fma_f64 v[56:57], v[203:204], v[14:15], v[56:57]
	v_fma_f64 v[62:63], v[201:202], v[14:15], -v[16:17]
	scratch_load_b128 v[14:17], off, off offset:848
	ds_load_b128 v[201:204], v1 offset:1712
	v_add_f64 v[52:53], v[52:53], v[64:65]
	v_add_f64 v[54:55], v[54:55], v[60:61]
	s_waitcnt vmcnt(8)
	v_mul_f64 v[60:61], v[230:231], v[24:25]
	v_mul_f64 v[24:25], v[232:233], v[24:25]
	v_fma_f64 v[58:59], v[4:5], v[18:19], v[58:59]
	v_fma_f64 v[64:65], v[2:3], v[18:19], -v[20:21]
	ds_load_b128 v[2:5], v1 offset:1696
	scratch_load_b128 v[18:21], off, off offset:864
	v_add_f64 v[52:53], v[52:53], v[62:63]
	v_add_f64 v[54:55], v[54:55], v[56:57]
	s_waitcnt vmcnt(8) lgkmcnt(0)
	v_mul_f64 v[56:57], v[2:3], v[28:29]
	v_mul_f64 v[28:29], v[4:5], v[28:29]
	v_fma_f64 v[60:61], v[232:233], v[22:23], v[60:61]
	v_fma_f64 v[62:63], v[230:231], v[22:23], -v[24:25]
	scratch_load_b128 v[22:25], off, off offset:880
	ds_load_b128 v[230:233], v1 offset:1744
	v_add_f64 v[52:53], v[52:53], v[64:65]
	v_add_f64 v[54:55], v[54:55], v[58:59]
	s_waitcnt vmcnt(8)
	v_mul_f64 v[58:59], v[201:202], v[32:33]
	v_mul_f64 v[32:33], v[203:204], v[32:33]
	v_fma_f64 v[56:57], v[4:5], v[26:27], v[56:57]
	v_fma_f64 v[64:65], v[2:3], v[26:27], -v[28:29]
	ds_load_b128 v[2:5], v1 offset:1728
	scratch_load_b128 v[26:29], off, off offset:896
	v_add_f64 v[52:53], v[52:53], v[62:63]
	v_add_f64 v[54:55], v[54:55], v[60:61]
	s_waitcnt vmcnt(8) lgkmcnt(0)
	v_mul_f64 v[60:61], v[2:3], v[36:37]
	v_mul_f64 v[36:37], v[4:5], v[36:37]
	v_fma_f64 v[58:59], v[203:204], v[30:31], v[58:59]
	v_fma_f64 v[62:63], v[201:202], v[30:31], -v[32:33]
	scratch_load_b128 v[30:33], off, off offset:912
	ds_load_b128 v[201:204], v1 offset:1776
	v_add_f64 v[52:53], v[52:53], v[64:65]
	v_add_f64 v[54:55], v[54:55], v[56:57]
	s_waitcnt vmcnt(8)
	v_mul_f64 v[56:57], v[230:231], v[40:41]
	v_mul_f64 v[40:41], v[232:233], v[40:41]
	v_fma_f64 v[60:61], v[4:5], v[34:35], v[60:61]
	v_fma_f64 v[64:65], v[2:3], v[34:35], -v[36:37]
	ds_load_b128 v[2:5], v1 offset:1760
	scratch_load_b128 v[34:37], off, off offset:928
	v_add_f64 v[52:53], v[52:53], v[62:63]
	v_add_f64 v[54:55], v[54:55], v[58:59]
	s_waitcnt vmcnt(8) lgkmcnt(0)
	v_mul_f64 v[58:59], v[2:3], v[44:45]
	v_mul_f64 v[44:45], v[4:5], v[44:45]
	v_fma_f64 v[56:57], v[232:233], v[38:39], v[56:57]
	v_fma_f64 v[62:63], v[230:231], v[38:39], -v[40:41]
	scratch_load_b128 v[38:41], off, off offset:944
	v_add_f64 v[52:53], v[52:53], v[64:65]
	v_add_f64 v[54:55], v[54:55], v[60:61]
	s_waitcnt vmcnt(8)
	v_mul_f64 v[60:61], v[201:202], v[8:9]
	v_mul_f64 v[8:9], v[203:204], v[8:9]
	v_fma_f64 v[58:59], v[4:5], v[42:43], v[58:59]
	v_fma_f64 v[64:65], v[2:3], v[42:43], -v[44:45]
	ds_load_b128 v[2:5], v1 offset:1792
	ds_load_b128 v[42:45], v1 offset:1808
	v_add_f64 v[52:53], v[52:53], v[62:63]
	v_add_f64 v[54:55], v[54:55], v[56:57]
	s_waitcnt vmcnt(7) lgkmcnt(1)
	v_mul_f64 v[56:57], v[2:3], v[12:13]
	v_mul_f64 v[12:13], v[4:5], v[12:13]
	v_fma_f64 v[60:61], v[203:204], v[6:7], v[60:61]
	v_fma_f64 v[6:7], v[201:202], v[6:7], -v[8:9]
	v_add_f64 v[8:9], v[52:53], v[64:65]
	v_add_f64 v[52:53], v[54:55], v[58:59]
	s_waitcnt vmcnt(6) lgkmcnt(0)
	v_mul_f64 v[54:55], v[42:43], v[16:17]
	v_mul_f64 v[16:17], v[44:45], v[16:17]
	v_fma_f64 v[56:57], v[4:5], v[10:11], v[56:57]
	v_fma_f64 v[10:11], v[2:3], v[10:11], -v[12:13]
	v_add_f64 v[12:13], v[8:9], v[6:7]
	v_add_f64 v[52:53], v[52:53], v[60:61]
	ds_load_b128 v[2:5], v1 offset:1824
	ds_load_b128 v[6:9], v1 offset:1840
	v_fma_f64 v[44:45], v[44:45], v[14:15], v[54:55]
	v_fma_f64 v[14:15], v[42:43], v[14:15], -v[16:17]
	s_waitcnt vmcnt(5) lgkmcnt(1)
	v_mul_f64 v[58:59], v[2:3], v[20:21]
	v_mul_f64 v[20:21], v[4:5], v[20:21]
	s_waitcnt vmcnt(4) lgkmcnt(0)
	v_mul_f64 v[16:17], v[6:7], v[24:25]
	v_mul_f64 v[24:25], v[8:9], v[24:25]
	v_add_f64 v[10:11], v[12:13], v[10:11]
	v_add_f64 v[12:13], v[52:53], v[56:57]
	v_fma_f64 v[42:43], v[4:5], v[18:19], v[58:59]
	v_fma_f64 v[18:19], v[2:3], v[18:19], -v[20:21]
	v_fma_f64 v[8:9], v[8:9], v[22:23], v[16:17]
	v_fma_f64 v[6:7], v[6:7], v[22:23], -v[24:25]
	v_add_f64 v[14:15], v[10:11], v[14:15]
	v_add_f64 v[20:21], v[12:13], v[44:45]
	ds_load_b128 v[2:5], v1 offset:1856
	ds_load_b128 v[10:13], v1 offset:1872
	s_waitcnt vmcnt(3) lgkmcnt(1)
	v_mul_f64 v[44:45], v[2:3], v[28:29]
	v_mul_f64 v[28:29], v[4:5], v[28:29]
	v_add_f64 v[14:15], v[14:15], v[18:19]
	v_add_f64 v[16:17], v[20:21], v[42:43]
	s_waitcnt vmcnt(2) lgkmcnt(0)
	v_mul_f64 v[18:19], v[10:11], v[32:33]
	v_mul_f64 v[20:21], v[12:13], v[32:33]
	v_fma_f64 v[22:23], v[4:5], v[26:27], v[44:45]
	v_fma_f64 v[24:25], v[2:3], v[26:27], -v[28:29]
	v_add_f64 v[14:15], v[14:15], v[6:7]
	v_add_f64 v[16:17], v[16:17], v[8:9]
	ds_load_b128 v[2:5], v1 offset:1888
	ds_load_b128 v[6:9], v1 offset:1904
	v_fma_f64 v[12:13], v[12:13], v[30:31], v[18:19]
	v_fma_f64 v[10:11], v[10:11], v[30:31], -v[20:21]
	s_waitcnt vmcnt(1) lgkmcnt(1)
	v_mul_f64 v[26:27], v[2:3], v[36:37]
	v_mul_f64 v[28:29], v[4:5], v[36:37]
	s_waitcnt vmcnt(0) lgkmcnt(0)
	v_mul_f64 v[18:19], v[6:7], v[40:41]
	v_mul_f64 v[20:21], v[8:9], v[40:41]
	v_add_f64 v[14:15], v[14:15], v[24:25]
	v_add_f64 v[16:17], v[16:17], v[22:23]
	v_fma_f64 v[4:5], v[4:5], v[34:35], v[26:27]
	v_fma_f64 v[1:2], v[2:3], v[34:35], -v[28:29]
	v_fma_f64 v[8:9], v[8:9], v[38:39], v[18:19]
	v_fma_f64 v[6:7], v[6:7], v[38:39], -v[20:21]
	v_add_f64 v[10:11], v[14:15], v[10:11]
	v_add_f64 v[12:13], v[16:17], v[12:13]
	s_delay_alu instid0(VALU_DEP_2) | instskip(NEXT) | instid1(VALU_DEP_2)
	v_add_f64 v[1:2], v[10:11], v[1:2]
	v_add_f64 v[3:4], v[12:13], v[4:5]
	s_delay_alu instid0(VALU_DEP_2) | instskip(NEXT) | instid1(VALU_DEP_2)
	;; [unrolled: 3-line block ×3, first 2 shown]
	v_add_f64 v[1:2], v[180:181], -v[1:2]
	v_add_f64 v[3:4], v[182:183], -v[3:4]
	scratch_store_b128 off, v[1:4], off offset:144
	v_cmpx_lt_u32_e32 8, v166
	s_cbranch_execz .LBB59_357
; %bb.356:
	scratch_load_b128 v[1:4], v207, off
	v_mov_b32_e32 v5, 0
	s_delay_alu instid0(VALU_DEP_1)
	v_mov_b32_e32 v6, v5
	v_mov_b32_e32 v7, v5
	;; [unrolled: 1-line block ×3, first 2 shown]
	scratch_store_b128 off, v[5:8], off offset:128
	s_waitcnt vmcnt(0)
	ds_store_b128 v226, v[1:4]
.LBB59_357:
	s_or_b32 exec_lo, exec_lo, s2
	s_waitcnt lgkmcnt(0)
	s_waitcnt_vscnt null, 0x0
	s_barrier
	buffer_gl0_inv
	s_clause 0x7
	scratch_load_b128 v[2:5], off, off offset:144
	scratch_load_b128 v[6:9], off, off offset:160
	;; [unrolled: 1-line block ×8, first 2 shown]
	v_mov_b32_e32 v1, 0
	s_mov_b32 s2, exec_lo
	ds_load_b128 v[38:41], v1 offset:1104
	s_clause 0x1
	scratch_load_b128 v[34:37], off, off offset:272
	scratch_load_b128 v[42:45], off, off offset:128
	ds_load_b128 v[180:183], v1 offset:1120
	scratch_load_b128 v[201:204], off, off offset:288
	ds_load_b128 v[230:233], v1 offset:1152
	s_waitcnt vmcnt(10) lgkmcnt(2)
	v_mul_f64 v[52:53], v[40:41], v[4:5]
	v_mul_f64 v[4:5], v[38:39], v[4:5]
	s_delay_alu instid0(VALU_DEP_2) | instskip(NEXT) | instid1(VALU_DEP_2)
	v_fma_f64 v[52:53], v[38:39], v[2:3], -v[52:53]
	v_fma_f64 v[56:57], v[40:41], v[2:3], v[4:5]
	ds_load_b128 v[2:5], v1 offset:1136
	s_waitcnt vmcnt(9) lgkmcnt(2)
	v_mul_f64 v[54:55], v[180:181], v[8:9]
	v_mul_f64 v[8:9], v[182:183], v[8:9]
	scratch_load_b128 v[38:41], off, off offset:304
	s_waitcnt vmcnt(9) lgkmcnt(0)
	v_mul_f64 v[58:59], v[2:3], v[12:13]
	v_mul_f64 v[12:13], v[4:5], v[12:13]
	v_add_f64 v[52:53], v[52:53], 0
	v_add_f64 v[56:57], v[56:57], 0
	v_fma_f64 v[54:55], v[182:183], v[6:7], v[54:55]
	v_fma_f64 v[60:61], v[180:181], v[6:7], -v[8:9]
	scratch_load_b128 v[6:9], off, off offset:320
	ds_load_b128 v[180:183], v1 offset:1184
	v_fma_f64 v[58:59], v[4:5], v[10:11], v[58:59]
	v_fma_f64 v[64:65], v[2:3], v[10:11], -v[12:13]
	ds_load_b128 v[2:5], v1 offset:1168
	s_waitcnt vmcnt(9)
	v_mul_f64 v[62:63], v[230:231], v[16:17]
	v_mul_f64 v[16:17], v[232:233], v[16:17]
	scratch_load_b128 v[10:13], off, off offset:336
	v_add_f64 v[54:55], v[56:57], v[54:55]
	v_add_f64 v[52:53], v[52:53], v[60:61]
	s_waitcnt vmcnt(9) lgkmcnt(0)
	v_mul_f64 v[56:57], v[2:3], v[20:21]
	v_mul_f64 v[20:21], v[4:5], v[20:21]
	v_fma_f64 v[60:61], v[232:233], v[14:15], v[62:63]
	v_fma_f64 v[62:63], v[230:231], v[14:15], -v[16:17]
	scratch_load_b128 v[14:17], off, off offset:352
	ds_load_b128 v[230:233], v1 offset:1216
	v_add_f64 v[54:55], v[54:55], v[58:59]
	v_add_f64 v[52:53], v[52:53], v[64:65]
	v_fma_f64 v[56:57], v[4:5], v[18:19], v[56:57]
	v_fma_f64 v[64:65], v[2:3], v[18:19], -v[20:21]
	ds_load_b128 v[2:5], v1 offset:1200
	s_waitcnt vmcnt(9)
	v_mul_f64 v[58:59], v[180:181], v[24:25]
	v_mul_f64 v[24:25], v[182:183], v[24:25]
	scratch_load_b128 v[18:21], off, off offset:368
	v_add_f64 v[54:55], v[54:55], v[60:61]
	v_add_f64 v[52:53], v[52:53], v[62:63]
	s_waitcnt vmcnt(9) lgkmcnt(0)
	v_mul_f64 v[60:61], v[2:3], v[28:29]
	v_mul_f64 v[28:29], v[4:5], v[28:29]
	v_fma_f64 v[58:59], v[182:183], v[22:23], v[58:59]
	v_fma_f64 v[62:63], v[180:181], v[22:23], -v[24:25]
	scratch_load_b128 v[22:25], off, off offset:384
	ds_load_b128 v[180:183], v1 offset:1248
	v_add_f64 v[54:55], v[54:55], v[56:57]
	v_add_f64 v[52:53], v[52:53], v[64:65]
	;; [unrolled: 18-line block ×3, first 2 shown]
	v_fma_f64 v[58:59], v[4:5], v[34:35], v[58:59]
	v_fma_f64 v[66:67], v[2:3], v[34:35], -v[36:37]
	ds_load_b128 v[2:5], v1 offset:1264
	s_waitcnt vmcnt(8)
	v_mul_f64 v[60:61], v[180:181], v[203:204]
	v_mul_f64 v[64:65], v[182:183], v[203:204]
	scratch_load_b128 v[34:37], off, off offset:432
	v_add_f64 v[54:55], v[54:55], v[56:57]
	v_add_f64 v[52:53], v[52:53], v[62:63]
	v_fma_f64 v[60:61], v[182:183], v[201:202], v[60:61]
	v_fma_f64 v[62:63], v[180:181], v[201:202], -v[64:65]
	scratch_load_b128 v[180:183], off, off offset:448
	ds_load_b128 v[201:204], v1 offset:1312
	s_waitcnt vmcnt(9) lgkmcnt(1)
	v_mul_f64 v[56:57], v[2:3], v[40:41]
	v_mul_f64 v[40:41], v[4:5], v[40:41]
	v_add_f64 v[54:55], v[54:55], v[58:59]
	v_add_f64 v[52:53], v[52:53], v[66:67]
	s_delay_alu instid0(VALU_DEP_4) | instskip(NEXT) | instid1(VALU_DEP_4)
	v_fma_f64 v[56:57], v[4:5], v[38:39], v[56:57]
	v_fma_f64 v[64:65], v[2:3], v[38:39], -v[40:41]
	ds_load_b128 v[2:5], v1 offset:1296
	s_waitcnt vmcnt(8)
	v_mul_f64 v[58:59], v[230:231], v[8:9]
	v_mul_f64 v[8:9], v[232:233], v[8:9]
	scratch_load_b128 v[38:41], off, off offset:464
	v_add_f64 v[54:55], v[54:55], v[60:61]
	v_add_f64 v[52:53], v[52:53], v[62:63]
	s_waitcnt vmcnt(8) lgkmcnt(0)
	v_mul_f64 v[60:61], v[2:3], v[12:13]
	v_mul_f64 v[12:13], v[4:5], v[12:13]
	v_fma_f64 v[58:59], v[232:233], v[6:7], v[58:59]
	v_fma_f64 v[62:63], v[230:231], v[6:7], -v[8:9]
	scratch_load_b128 v[6:9], off, off offset:480
	ds_load_b128 v[230:233], v1 offset:1344
	v_add_f64 v[54:55], v[54:55], v[56:57]
	v_add_f64 v[52:53], v[52:53], v[64:65]
	v_fma_f64 v[60:61], v[4:5], v[10:11], v[60:61]
	v_fma_f64 v[64:65], v[2:3], v[10:11], -v[12:13]
	ds_load_b128 v[2:5], v1 offset:1328
	s_waitcnt vmcnt(8)
	v_mul_f64 v[56:57], v[201:202], v[16:17]
	v_mul_f64 v[16:17], v[203:204], v[16:17]
	scratch_load_b128 v[10:13], off, off offset:496
	v_add_f64 v[54:55], v[54:55], v[58:59]
	v_add_f64 v[52:53], v[52:53], v[62:63]
	s_waitcnt vmcnt(8) lgkmcnt(0)
	v_mul_f64 v[58:59], v[2:3], v[20:21]
	v_mul_f64 v[20:21], v[4:5], v[20:21]
	v_fma_f64 v[56:57], v[203:204], v[14:15], v[56:57]
	v_fma_f64 v[62:63], v[201:202], v[14:15], -v[16:17]
	scratch_load_b128 v[14:17], off, off offset:512
	ds_load_b128 v[201:204], v1 offset:1376
	v_add_f64 v[54:55], v[54:55], v[60:61]
	v_add_f64 v[52:53], v[52:53], v[64:65]
	;; [unrolled: 18-line block ×3, first 2 shown]
	v_fma_f64 v[56:57], v[4:5], v[26:27], v[56:57]
	v_fma_f64 v[64:65], v[2:3], v[26:27], -v[28:29]
	ds_load_b128 v[2:5], v1 offset:1392
	s_waitcnt vmcnt(8)
	v_mul_f64 v[58:59], v[201:202], v[32:33]
	v_mul_f64 v[32:33], v[203:204], v[32:33]
	scratch_load_b128 v[26:29], off, off offset:560
	v_add_f64 v[54:55], v[54:55], v[60:61]
	v_add_f64 v[52:53], v[52:53], v[62:63]
	s_waitcnt vmcnt(8) lgkmcnt(0)
	v_mul_f64 v[60:61], v[2:3], v[36:37]
	v_mul_f64 v[36:37], v[4:5], v[36:37]
	v_fma_f64 v[58:59], v[203:204], v[30:31], v[58:59]
	v_fma_f64 v[62:63], v[201:202], v[30:31], -v[32:33]
	s_clause 0x1
	scratch_load_b128 v[30:33], off, off offset:576
	scratch_load_b128 v[201:204], off, off offset:608
	v_add_f64 v[54:55], v[54:55], v[56:57]
	v_add_f64 v[52:53], v[52:53], v[64:65]
	v_fma_f64 v[60:61], v[4:5], v[34:35], v[60:61]
	v_fma_f64 v[66:67], v[2:3], v[34:35], -v[36:37]
	ds_load_b128 v[2:5], v1 offset:1424
	s_waitcnt vmcnt(9)
	v_mul_f64 v[56:57], v[230:231], v[182:183]
	v_mul_f64 v[64:65], v[232:233], v[182:183]
	scratch_load_b128 v[34:37], off, off offset:592
	ds_load_b128 v[182:185], v1 offset:1440
	v_add_f64 v[54:55], v[54:55], v[58:59]
	v_add_f64 v[52:53], v[52:53], v[62:63]
	s_waitcnt vmcnt(9) lgkmcnt(1)
	v_mul_f64 v[58:59], v[2:3], v[40:41]
	v_mul_f64 v[40:41], v[4:5], v[40:41]
	v_fma_f64 v[56:57], v[232:233], v[180:181], v[56:57]
	v_fma_f64 v[62:63], v[230:231], v[180:181], -v[64:65]
	ds_load_b128 v[230:233], v1 offset:1472
	v_add_f64 v[54:55], v[54:55], v[60:61]
	v_add_f64 v[52:53], v[52:53], v[66:67]
	v_fma_f64 v[58:59], v[4:5], v[38:39], v[58:59]
	v_fma_f64 v[64:65], v[2:3], v[38:39], -v[40:41]
	ds_load_b128 v[2:5], v1 offset:1456
	s_waitcnt vmcnt(8) lgkmcnt(2)
	v_mul_f64 v[60:61], v[182:183], v[8:9]
	v_mul_f64 v[8:9], v[184:185], v[8:9]
	scratch_load_b128 v[38:41], off, off offset:624
	v_add_f64 v[54:55], v[54:55], v[56:57]
	v_add_f64 v[52:53], v[52:53], v[62:63]
	s_waitcnt vmcnt(8) lgkmcnt(0)
	v_mul_f64 v[56:57], v[2:3], v[12:13]
	v_mul_f64 v[12:13], v[4:5], v[12:13]
	v_fma_f64 v[60:61], v[184:185], v[6:7], v[60:61]
	v_fma_f64 v[62:63], v[182:183], v[6:7], -v[8:9]
	scratch_load_b128 v[6:9], off, off offset:640
	ds_load_b128 v[180:183], v1 offset:1504
	v_add_f64 v[54:55], v[54:55], v[58:59]
	v_add_f64 v[52:53], v[52:53], v[64:65]
	v_fma_f64 v[56:57], v[4:5], v[10:11], v[56:57]
	v_fma_f64 v[64:65], v[2:3], v[10:11], -v[12:13]
	ds_load_b128 v[2:5], v1 offset:1488
	s_waitcnt vmcnt(8)
	v_mul_f64 v[58:59], v[230:231], v[16:17]
	v_mul_f64 v[16:17], v[232:233], v[16:17]
	scratch_load_b128 v[10:13], off, off offset:656
	v_add_f64 v[54:55], v[54:55], v[60:61]
	v_add_f64 v[52:53], v[52:53], v[62:63]
	s_waitcnt vmcnt(8) lgkmcnt(0)
	v_mul_f64 v[60:61], v[2:3], v[20:21]
	v_mul_f64 v[20:21], v[4:5], v[20:21]
	v_fma_f64 v[58:59], v[232:233], v[14:15], v[58:59]
	v_fma_f64 v[62:63], v[230:231], v[14:15], -v[16:17]
	scratch_load_b128 v[14:17], off, off offset:672
	ds_load_b128 v[230:233], v1 offset:1536
	v_add_f64 v[54:55], v[54:55], v[56:57]
	v_add_f64 v[52:53], v[52:53], v[64:65]
	v_fma_f64 v[60:61], v[4:5], v[18:19], v[60:61]
	v_fma_f64 v[64:65], v[2:3], v[18:19], -v[20:21]
	ds_load_b128 v[2:5], v1 offset:1520
	s_waitcnt vmcnt(8)
	;; [unrolled: 18-line block ×3, first 2 shown]
	v_mul_f64 v[60:61], v[230:231], v[32:33]
	v_mul_f64 v[32:33], v[232:233], v[32:33]
	scratch_load_b128 v[26:29], off, off offset:720
	v_add_f64 v[54:55], v[54:55], v[56:57]
	v_add_f64 v[52:53], v[52:53], v[62:63]
	s_waitcnt vmcnt(7) lgkmcnt(0)
	v_mul_f64 v[56:57], v[2:3], v[36:37]
	v_mul_f64 v[36:37], v[4:5], v[36:37]
	v_fma_f64 v[60:61], v[232:233], v[30:31], v[60:61]
	v_fma_f64 v[62:63], v[230:231], v[30:31], -v[32:33]
	scratch_load_b128 v[30:33], off, off offset:736
	ds_load_b128 v[230:233], v1 offset:1600
	v_add_f64 v[54:55], v[54:55], v[58:59]
	v_add_f64 v[52:53], v[52:53], v[64:65]
	v_fma_f64 v[56:57], v[4:5], v[34:35], v[56:57]
	v_fma_f64 v[66:67], v[2:3], v[34:35], -v[36:37]
	ds_load_b128 v[2:5], v1 offset:1584
	v_mul_f64 v[58:59], v[180:181], v[203:204]
	v_mul_f64 v[64:65], v[182:183], v[203:204]
	scratch_load_b128 v[34:37], off, off offset:752
	v_add_f64 v[54:55], v[54:55], v[60:61]
	v_add_f64 v[52:53], v[52:53], v[62:63]
	s_waitcnt vmcnt(8) lgkmcnt(0)
	v_mul_f64 v[60:61], v[2:3], v[40:41]
	v_mul_f64 v[40:41], v[4:5], v[40:41]
	v_fma_f64 v[58:59], v[182:183], v[201:202], v[58:59]
	v_fma_f64 v[62:63], v[180:181], v[201:202], -v[64:65]
	scratch_load_b128 v[180:183], off, off offset:768
	ds_load_b128 v[201:204], v1 offset:1632
	v_add_f64 v[54:55], v[54:55], v[56:57]
	v_add_f64 v[52:53], v[52:53], v[66:67]
	v_fma_f64 v[60:61], v[4:5], v[38:39], v[60:61]
	v_fma_f64 v[64:65], v[2:3], v[38:39], -v[40:41]
	ds_load_b128 v[2:5], v1 offset:1616
	s_waitcnt vmcnt(8)
	v_mul_f64 v[56:57], v[230:231], v[8:9]
	v_mul_f64 v[8:9], v[232:233], v[8:9]
	scratch_load_b128 v[38:41], off, off offset:784
	v_add_f64 v[54:55], v[54:55], v[58:59]
	v_add_f64 v[52:53], v[52:53], v[62:63]
	s_waitcnt vmcnt(8) lgkmcnt(0)
	v_mul_f64 v[58:59], v[2:3], v[12:13]
	v_mul_f64 v[12:13], v[4:5], v[12:13]
	v_fma_f64 v[56:57], v[232:233], v[6:7], v[56:57]
	v_fma_f64 v[62:63], v[230:231], v[6:7], -v[8:9]
	scratch_load_b128 v[6:9], off, off offset:800
	ds_load_b128 v[230:233], v1 offset:1664
	v_add_f64 v[54:55], v[54:55], v[60:61]
	v_add_f64 v[52:53], v[52:53], v[64:65]
	v_fma_f64 v[58:59], v[4:5], v[10:11], v[58:59]
	v_fma_f64 v[64:65], v[2:3], v[10:11], -v[12:13]
	ds_load_b128 v[2:5], v1 offset:1648
	s_waitcnt vmcnt(8)
	;; [unrolled: 18-line block ×4, first 2 shown]
	v_mul_f64 v[56:57], v[201:202], v[32:33]
	v_mul_f64 v[32:33], v[203:204], v[32:33]
	scratch_load_b128 v[26:29], off, off offset:880
	v_add_f64 v[54:55], v[54:55], v[58:59]
	v_add_f64 v[52:53], v[52:53], v[62:63]
	s_waitcnt vmcnt(8) lgkmcnt(0)
	v_mul_f64 v[58:59], v[2:3], v[36:37]
	v_mul_f64 v[36:37], v[4:5], v[36:37]
	v_fma_f64 v[56:57], v[203:204], v[30:31], v[56:57]
	v_fma_f64 v[62:63], v[201:202], v[30:31], -v[32:33]
	s_clause 0x1
	scratch_load_b128 v[30:33], off, off offset:896
	scratch_load_b128 v[201:204], off, off offset:928
	v_add_f64 v[54:55], v[54:55], v[60:61]
	v_add_f64 v[52:53], v[52:53], v[64:65]
	v_fma_f64 v[58:59], v[4:5], v[34:35], v[58:59]
	v_fma_f64 v[66:67], v[2:3], v[34:35], -v[36:37]
	ds_load_b128 v[2:5], v1 offset:1744
	s_waitcnt vmcnt(9)
	v_mul_f64 v[60:61], v[230:231], v[182:183]
	v_mul_f64 v[64:65], v[232:233], v[182:183]
	scratch_load_b128 v[34:37], off, off offset:912
	ds_load_b128 v[182:185], v1 offset:1760
	v_add_f64 v[54:55], v[54:55], v[56:57]
	v_add_f64 v[52:53], v[52:53], v[62:63]
	s_waitcnt vmcnt(9) lgkmcnt(1)
	v_mul_f64 v[56:57], v[2:3], v[40:41]
	v_mul_f64 v[40:41], v[4:5], v[40:41]
	v_fma_f64 v[60:61], v[232:233], v[180:181], v[60:61]
	v_fma_f64 v[62:63], v[230:231], v[180:181], -v[64:65]
	ds_load_b128 v[230:233], v1 offset:1792
	v_add_f64 v[54:55], v[54:55], v[58:59]
	v_add_f64 v[52:53], v[52:53], v[66:67]
	v_fma_f64 v[56:57], v[4:5], v[38:39], v[56:57]
	v_fma_f64 v[64:65], v[2:3], v[38:39], -v[40:41]
	ds_load_b128 v[2:5], v1 offset:1776
	s_waitcnt vmcnt(8) lgkmcnt(2)
	v_mul_f64 v[58:59], v[182:183], v[8:9]
	v_mul_f64 v[8:9], v[184:185], v[8:9]
	scratch_load_b128 v[38:41], off, off offset:944
	v_add_f64 v[54:55], v[54:55], v[60:61]
	v_add_f64 v[52:53], v[52:53], v[62:63]
	s_waitcnt vmcnt(8) lgkmcnt(0)
	v_mul_f64 v[60:61], v[2:3], v[12:13]
	v_mul_f64 v[12:13], v[4:5], v[12:13]
	v_fma_f64 v[58:59], v[184:185], v[6:7], v[58:59]
	v_fma_f64 v[6:7], v[182:183], v[6:7], -v[8:9]
	v_add_f64 v[8:9], v[52:53], v[64:65]
	v_add_f64 v[52:53], v[54:55], v[56:57]
	s_waitcnt vmcnt(7)
	v_mul_f64 v[54:55], v[230:231], v[16:17]
	v_mul_f64 v[16:17], v[232:233], v[16:17]
	v_fma_f64 v[56:57], v[4:5], v[10:11], v[60:61]
	v_fma_f64 v[10:11], v[2:3], v[10:11], -v[12:13]
	v_add_f64 v[12:13], v[8:9], v[6:7]
	v_add_f64 v[52:53], v[52:53], v[58:59]
	ds_load_b128 v[2:5], v1 offset:1808
	ds_load_b128 v[6:9], v1 offset:1824
	v_fma_f64 v[54:55], v[232:233], v[14:15], v[54:55]
	v_fma_f64 v[14:15], v[230:231], v[14:15], -v[16:17]
	s_waitcnt vmcnt(6) lgkmcnt(1)
	v_mul_f64 v[58:59], v[2:3], v[20:21]
	v_mul_f64 v[20:21], v[4:5], v[20:21]
	s_waitcnt vmcnt(5) lgkmcnt(0)
	v_mul_f64 v[16:17], v[6:7], v[24:25]
	v_mul_f64 v[24:25], v[8:9], v[24:25]
	v_add_f64 v[10:11], v[12:13], v[10:11]
	v_add_f64 v[12:13], v[52:53], v[56:57]
	v_fma_f64 v[52:53], v[4:5], v[18:19], v[58:59]
	v_fma_f64 v[18:19], v[2:3], v[18:19], -v[20:21]
	v_fma_f64 v[8:9], v[8:9], v[22:23], v[16:17]
	v_fma_f64 v[6:7], v[6:7], v[22:23], -v[24:25]
	v_add_f64 v[14:15], v[10:11], v[14:15]
	v_add_f64 v[20:21], v[12:13], v[54:55]
	ds_load_b128 v[2:5], v1 offset:1840
	ds_load_b128 v[10:13], v1 offset:1856
	s_waitcnt vmcnt(4) lgkmcnt(1)
	v_mul_f64 v[54:55], v[2:3], v[28:29]
	v_mul_f64 v[28:29], v[4:5], v[28:29]
	v_add_f64 v[14:15], v[14:15], v[18:19]
	v_add_f64 v[16:17], v[20:21], v[52:53]
	s_waitcnt vmcnt(3) lgkmcnt(0)
	v_mul_f64 v[18:19], v[10:11], v[32:33]
	v_mul_f64 v[20:21], v[12:13], v[32:33]
	v_fma_f64 v[22:23], v[4:5], v[26:27], v[54:55]
	v_fma_f64 v[24:25], v[2:3], v[26:27], -v[28:29]
	v_add_f64 v[14:15], v[14:15], v[6:7]
	v_add_f64 v[16:17], v[16:17], v[8:9]
	ds_load_b128 v[2:5], v1 offset:1872
	ds_load_b128 v[6:9], v1 offset:1888
	v_fma_f64 v[12:13], v[12:13], v[30:31], v[18:19]
	v_fma_f64 v[10:11], v[10:11], v[30:31], -v[20:21]
	s_waitcnt vmcnt(1) lgkmcnt(1)
	v_mul_f64 v[26:27], v[2:3], v[36:37]
	v_mul_f64 v[28:29], v[4:5], v[36:37]
	s_waitcnt lgkmcnt(0)
	v_mul_f64 v[18:19], v[6:7], v[203:204]
	v_mul_f64 v[20:21], v[8:9], v[203:204]
	v_add_f64 v[14:15], v[14:15], v[24:25]
	v_add_f64 v[16:17], v[16:17], v[22:23]
	v_fma_f64 v[22:23], v[4:5], v[34:35], v[26:27]
	v_fma_f64 v[24:25], v[2:3], v[34:35], -v[28:29]
	ds_load_b128 v[2:5], v1 offset:1904
	v_fma_f64 v[8:9], v[8:9], v[201:202], v[18:19]
	v_fma_f64 v[6:7], v[6:7], v[201:202], -v[20:21]
	v_add_f64 v[10:11], v[14:15], v[10:11]
	v_add_f64 v[12:13], v[16:17], v[12:13]
	s_waitcnt vmcnt(0) lgkmcnt(0)
	v_mul_f64 v[14:15], v[2:3], v[40:41]
	v_mul_f64 v[16:17], v[4:5], v[40:41]
	s_delay_alu instid0(VALU_DEP_4) | instskip(NEXT) | instid1(VALU_DEP_4)
	v_add_f64 v[10:11], v[10:11], v[24:25]
	v_add_f64 v[12:13], v[12:13], v[22:23]
	s_delay_alu instid0(VALU_DEP_4) | instskip(NEXT) | instid1(VALU_DEP_4)
	v_fma_f64 v[4:5], v[4:5], v[38:39], v[14:15]
	v_fma_f64 v[2:3], v[2:3], v[38:39], -v[16:17]
	s_delay_alu instid0(VALU_DEP_4) | instskip(NEXT) | instid1(VALU_DEP_4)
	v_add_f64 v[6:7], v[10:11], v[6:7]
	v_add_f64 v[8:9], v[12:13], v[8:9]
	s_delay_alu instid0(VALU_DEP_2) | instskip(NEXT) | instid1(VALU_DEP_2)
	v_add_f64 v[2:3], v[6:7], v[2:3]
	v_add_f64 v[4:5], v[8:9], v[4:5]
	s_delay_alu instid0(VALU_DEP_2) | instskip(NEXT) | instid1(VALU_DEP_2)
	v_add_f64 v[2:3], v[42:43], -v[2:3]
	v_add_f64 v[4:5], v[44:45], -v[4:5]
	scratch_store_b128 off, v[2:5], off offset:128
	v_cmpx_lt_u32_e32 7, v166
	s_cbranch_execz .LBB59_359
; %bb.358:
	scratch_load_b128 v[5:8], v209, off
	v_mov_b32_e32 v2, v1
	v_mov_b32_e32 v3, v1
	;; [unrolled: 1-line block ×3, first 2 shown]
	scratch_store_b128 off, v[1:4], off offset:112
	s_waitcnt vmcnt(0)
	ds_store_b128 v226, v[5:8]
.LBB59_359:
	s_or_b32 exec_lo, exec_lo, s2
	s_waitcnt lgkmcnt(0)
	s_waitcnt_vscnt null, 0x0
	s_barrier
	buffer_gl0_inv
	s_clause 0x8
	scratch_load_b128 v[2:5], off, off offset:128
	scratch_load_b128 v[6:9], off, off offset:144
	;; [unrolled: 1-line block ×9, first 2 shown]
	ds_load_b128 v[42:45], v1 offset:1088
	ds_load_b128 v[38:41], v1 offset:1104
	s_clause 0x1
	scratch_load_b128 v[180:183], off, off offset:112
	scratch_load_b128 v[201:204], off, off offset:272
	s_mov_b32 s2, exec_lo
	ds_load_b128 v[230:233], v1 offset:1136
	s_waitcnt vmcnt(10) lgkmcnt(2)
	v_mul_f64 v[52:53], v[44:45], v[4:5]
	v_mul_f64 v[4:5], v[42:43], v[4:5]
	s_waitcnt vmcnt(9) lgkmcnt(1)
	v_mul_f64 v[54:55], v[38:39], v[8:9]
	v_mul_f64 v[8:9], v[40:41], v[8:9]
	s_delay_alu instid0(VALU_DEP_4) | instskip(NEXT) | instid1(VALU_DEP_4)
	v_fma_f64 v[52:53], v[42:43], v[2:3], -v[52:53]
	v_fma_f64 v[56:57], v[44:45], v[2:3], v[4:5]
	ds_load_b128 v[2:5], v1 offset:1120
	scratch_load_b128 v[42:45], off, off offset:288
	v_fma_f64 v[40:41], v[40:41], v[6:7], v[54:55]
	v_fma_f64 v[38:39], v[38:39], v[6:7], -v[8:9]
	scratch_load_b128 v[6:9], off, off offset:304
	s_waitcnt vmcnt(10) lgkmcnt(0)
	v_mul_f64 v[58:59], v[2:3], v[12:13]
	v_mul_f64 v[12:13], v[4:5], v[12:13]
	v_add_f64 v[52:53], v[52:53], 0
	v_add_f64 v[54:55], v[56:57], 0
	s_waitcnt vmcnt(9)
	v_mul_f64 v[56:57], v[230:231], v[16:17]
	v_mul_f64 v[16:17], v[232:233], v[16:17]
	v_fma_f64 v[58:59], v[4:5], v[10:11], v[58:59]
	v_fma_f64 v[60:61], v[2:3], v[10:11], -v[12:13]
	ds_load_b128 v[2:5], v1 offset:1152
	scratch_load_b128 v[10:13], off, off offset:320
	v_add_f64 v[52:53], v[52:53], v[38:39]
	v_add_f64 v[54:55], v[54:55], v[40:41]
	ds_load_b128 v[38:41], v1 offset:1168
	v_fma_f64 v[56:57], v[232:233], v[14:15], v[56:57]
	v_fma_f64 v[64:65], v[230:231], v[14:15], -v[16:17]
	scratch_load_b128 v[14:17], off, off offset:336
	s_waitcnt vmcnt(10) lgkmcnt(1)
	v_mul_f64 v[62:63], v[2:3], v[20:21]
	v_mul_f64 v[20:21], v[4:5], v[20:21]
	ds_load_b128 v[230:233], v1 offset:1200
	v_add_f64 v[52:53], v[52:53], v[60:61]
	v_add_f64 v[54:55], v[54:55], v[58:59]
	s_waitcnt vmcnt(9) lgkmcnt(1)
	v_mul_f64 v[58:59], v[38:39], v[24:25]
	v_mul_f64 v[24:25], v[40:41], v[24:25]
	v_fma_f64 v[60:61], v[4:5], v[18:19], v[62:63]
	v_fma_f64 v[62:63], v[2:3], v[18:19], -v[20:21]
	ds_load_b128 v[2:5], v1 offset:1184
	scratch_load_b128 v[18:21], off, off offset:352
	v_add_f64 v[52:53], v[52:53], v[64:65]
	v_add_f64 v[54:55], v[54:55], v[56:57]
	s_waitcnt vmcnt(9) lgkmcnt(0)
	v_mul_f64 v[56:57], v[2:3], v[28:29]
	v_mul_f64 v[28:29], v[4:5], v[28:29]
	v_fma_f64 v[40:41], v[40:41], v[22:23], v[58:59]
	v_fma_f64 v[38:39], v[38:39], v[22:23], -v[24:25]
	scratch_load_b128 v[22:25], off, off offset:368
	s_waitcnt vmcnt(9)
	v_mul_f64 v[58:59], v[230:231], v[32:33]
	v_mul_f64 v[32:33], v[232:233], v[32:33]
	v_add_f64 v[52:53], v[52:53], v[62:63]
	v_add_f64 v[54:55], v[54:55], v[60:61]
	v_fma_f64 v[56:57], v[4:5], v[26:27], v[56:57]
	v_fma_f64 v[60:61], v[2:3], v[26:27], -v[28:29]
	ds_load_b128 v[2:5], v1 offset:1216
	scratch_load_b128 v[26:29], off, off offset:384
	v_fma_f64 v[58:59], v[232:233], v[30:31], v[58:59]
	v_fma_f64 v[64:65], v[230:231], v[30:31], -v[32:33]
	scratch_load_b128 v[30:33], off, off offset:400
	ds_load_b128 v[230:233], v1 offset:1264
	v_add_f64 v[52:53], v[52:53], v[38:39]
	v_add_f64 v[54:55], v[54:55], v[40:41]
	ds_load_b128 v[38:41], v1 offset:1232
	s_waitcnt vmcnt(10) lgkmcnt(2)
	v_mul_f64 v[62:63], v[2:3], v[36:37]
	v_mul_f64 v[36:37], v[4:5], v[36:37]
	v_add_f64 v[52:53], v[52:53], v[60:61]
	v_add_f64 v[54:55], v[54:55], v[56:57]
	s_waitcnt vmcnt(8) lgkmcnt(0)
	v_mul_f64 v[56:57], v[38:39], v[203:204]
	v_mul_f64 v[60:61], v[40:41], v[203:204]
	v_fma_f64 v[62:63], v[4:5], v[34:35], v[62:63]
	v_fma_f64 v[66:67], v[2:3], v[34:35], -v[36:37]
	ds_load_b128 v[2:5], v1 offset:1248
	scratch_load_b128 v[34:37], off, off offset:416
	v_add_f64 v[52:53], v[52:53], v[64:65]
	v_add_f64 v[54:55], v[54:55], v[58:59]
	v_fma_f64 v[56:57], v[40:41], v[201:202], v[56:57]
	v_fma_f64 v[60:61], v[38:39], v[201:202], -v[60:61]
	scratch_load_b128 v[38:41], off, off offset:432
	ds_load_b128 v[201:204], v1 offset:1296
	s_waitcnt vmcnt(9) lgkmcnt(1)
	v_mul_f64 v[58:59], v[2:3], v[44:45]
	v_mul_f64 v[44:45], v[4:5], v[44:45]
	v_add_f64 v[52:53], v[52:53], v[66:67]
	v_add_f64 v[54:55], v[54:55], v[62:63]
	s_waitcnt vmcnt(8)
	v_mul_f64 v[62:63], v[230:231], v[8:9]
	v_mul_f64 v[8:9], v[232:233], v[8:9]
	v_fma_f64 v[58:59], v[4:5], v[42:43], v[58:59]
	v_fma_f64 v[64:65], v[2:3], v[42:43], -v[44:45]
	ds_load_b128 v[2:5], v1 offset:1280
	scratch_load_b128 v[42:45], off, off offset:448
	v_add_f64 v[52:53], v[52:53], v[60:61]
	v_add_f64 v[54:55], v[54:55], v[56:57]
	v_fma_f64 v[60:61], v[232:233], v[6:7], v[62:63]
	s_waitcnt vmcnt(8) lgkmcnt(0)
	v_mul_f64 v[56:57], v[2:3], v[12:13]
	v_mul_f64 v[12:13], v[4:5], v[12:13]
	v_fma_f64 v[62:63], v[230:231], v[6:7], -v[8:9]
	scratch_load_b128 v[6:9], off, off offset:464
	ds_load_b128 v[230:233], v1 offset:1328
	v_add_f64 v[52:53], v[52:53], v[64:65]
	v_add_f64 v[54:55], v[54:55], v[58:59]
	s_waitcnt vmcnt(8)
	v_mul_f64 v[58:59], v[201:202], v[16:17]
	v_mul_f64 v[16:17], v[203:204], v[16:17]
	v_fma_f64 v[56:57], v[4:5], v[10:11], v[56:57]
	v_fma_f64 v[64:65], v[2:3], v[10:11], -v[12:13]
	ds_load_b128 v[2:5], v1 offset:1312
	scratch_load_b128 v[10:13], off, off offset:480
	v_add_f64 v[52:53], v[52:53], v[62:63]
	v_add_f64 v[54:55], v[54:55], v[60:61]
	s_waitcnt vmcnt(8) lgkmcnt(0)
	v_mul_f64 v[60:61], v[2:3], v[20:21]
	v_mul_f64 v[20:21], v[4:5], v[20:21]
	v_fma_f64 v[58:59], v[203:204], v[14:15], v[58:59]
	v_fma_f64 v[62:63], v[201:202], v[14:15], -v[16:17]
	scratch_load_b128 v[14:17], off, off offset:496
	ds_load_b128 v[201:204], v1 offset:1360
	v_add_f64 v[52:53], v[52:53], v[64:65]
	v_add_f64 v[54:55], v[54:55], v[56:57]
	s_waitcnt vmcnt(8)
	v_mul_f64 v[56:57], v[230:231], v[24:25]
	v_mul_f64 v[24:25], v[232:233], v[24:25]
	v_fma_f64 v[60:61], v[4:5], v[18:19], v[60:61]
	v_fma_f64 v[64:65], v[2:3], v[18:19], -v[20:21]
	ds_load_b128 v[2:5], v1 offset:1344
	scratch_load_b128 v[18:21], off, off offset:512
	v_add_f64 v[52:53], v[52:53], v[62:63]
	v_add_f64 v[54:55], v[54:55], v[58:59]
	s_waitcnt vmcnt(8) lgkmcnt(0)
	v_mul_f64 v[58:59], v[2:3], v[28:29]
	v_mul_f64 v[28:29], v[4:5], v[28:29]
	v_fma_f64 v[56:57], v[232:233], v[22:23], v[56:57]
	;; [unrolled: 18-line block ×15, first 2 shown]
	v_fma_f64 v[62:63], v[201:202], v[6:7], -v[8:9]
	scratch_load_b128 v[6:9], off, off offset:944
	v_add_f64 v[52:53], v[52:53], v[64:65]
	v_add_f64 v[54:55], v[54:55], v[58:59]
	s_waitcnt vmcnt(8)
	v_mul_f64 v[58:59], v[230:231], v[16:17]
	v_mul_f64 v[16:17], v[232:233], v[16:17]
	v_fma_f64 v[56:57], v[4:5], v[10:11], v[56:57]
	v_fma_f64 v[64:65], v[2:3], v[10:11], -v[12:13]
	ds_load_b128 v[2:5], v1 offset:1792
	ds_load_b128 v[10:13], v1 offset:1808
	v_add_f64 v[52:53], v[52:53], v[62:63]
	v_add_f64 v[54:55], v[54:55], v[60:61]
	s_waitcnt vmcnt(7) lgkmcnt(1)
	v_mul_f64 v[60:61], v[2:3], v[20:21]
	v_mul_f64 v[20:21], v[4:5], v[20:21]
	v_fma_f64 v[58:59], v[232:233], v[14:15], v[58:59]
	v_fma_f64 v[14:15], v[230:231], v[14:15], -v[16:17]
	v_add_f64 v[16:17], v[52:53], v[64:65]
	v_add_f64 v[52:53], v[54:55], v[56:57]
	s_waitcnt vmcnt(6) lgkmcnt(0)
	v_mul_f64 v[54:55], v[10:11], v[24:25]
	v_mul_f64 v[24:25], v[12:13], v[24:25]
	v_fma_f64 v[56:57], v[4:5], v[18:19], v[60:61]
	v_fma_f64 v[18:19], v[2:3], v[18:19], -v[20:21]
	v_add_f64 v[20:21], v[16:17], v[14:15]
	v_add_f64 v[52:53], v[52:53], v[58:59]
	ds_load_b128 v[2:5], v1 offset:1824
	ds_load_b128 v[14:17], v1 offset:1840
	v_fma_f64 v[12:13], v[12:13], v[22:23], v[54:55]
	v_fma_f64 v[10:11], v[10:11], v[22:23], -v[24:25]
	s_waitcnt vmcnt(5) lgkmcnt(1)
	v_mul_f64 v[58:59], v[2:3], v[28:29]
	v_mul_f64 v[28:29], v[4:5], v[28:29]
	s_waitcnt vmcnt(4) lgkmcnt(0)
	v_mul_f64 v[22:23], v[14:15], v[32:33]
	v_mul_f64 v[24:25], v[16:17], v[32:33]
	v_add_f64 v[18:19], v[20:21], v[18:19]
	v_add_f64 v[20:21], v[52:53], v[56:57]
	v_fma_f64 v[32:33], v[4:5], v[26:27], v[58:59]
	v_fma_f64 v[26:27], v[2:3], v[26:27], -v[28:29]
	v_fma_f64 v[16:17], v[16:17], v[30:31], v[22:23]
	v_fma_f64 v[14:15], v[14:15], v[30:31], -v[24:25]
	v_add_f64 v[18:19], v[18:19], v[10:11]
	v_add_f64 v[20:21], v[20:21], v[12:13]
	ds_load_b128 v[2:5], v1 offset:1856
	ds_load_b128 v[10:13], v1 offset:1872
	s_waitcnt vmcnt(3) lgkmcnt(1)
	v_mul_f64 v[28:29], v[2:3], v[36:37]
	v_mul_f64 v[36:37], v[4:5], v[36:37]
	s_waitcnt vmcnt(2) lgkmcnt(0)
	v_mul_f64 v[22:23], v[10:11], v[40:41]
	v_mul_f64 v[24:25], v[12:13], v[40:41]
	v_add_f64 v[18:19], v[18:19], v[26:27]
	v_add_f64 v[20:21], v[20:21], v[32:33]
	v_fma_f64 v[26:27], v[4:5], v[34:35], v[28:29]
	v_fma_f64 v[28:29], v[2:3], v[34:35], -v[36:37]
	v_fma_f64 v[12:13], v[12:13], v[38:39], v[22:23]
	v_fma_f64 v[10:11], v[10:11], v[38:39], -v[24:25]
	v_add_f64 v[18:19], v[18:19], v[14:15]
	v_add_f64 v[20:21], v[20:21], v[16:17]
	ds_load_b128 v[2:5], v1 offset:1888
	ds_load_b128 v[14:17], v1 offset:1904
	s_waitcnt vmcnt(1) lgkmcnt(1)
	v_mul_f64 v[30:31], v[2:3], v[44:45]
	v_mul_f64 v[32:33], v[4:5], v[44:45]
	s_waitcnt vmcnt(0) lgkmcnt(0)
	v_mul_f64 v[22:23], v[14:15], v[8:9]
	v_mul_f64 v[8:9], v[16:17], v[8:9]
	v_add_f64 v[18:19], v[18:19], v[28:29]
	v_add_f64 v[20:21], v[20:21], v[26:27]
	v_fma_f64 v[4:5], v[4:5], v[42:43], v[30:31]
	v_fma_f64 v[1:2], v[2:3], v[42:43], -v[32:33]
	v_fma_f64 v[16:17], v[16:17], v[6:7], v[22:23]
	v_fma_f64 v[6:7], v[14:15], v[6:7], -v[8:9]
	v_add_f64 v[10:11], v[18:19], v[10:11]
	v_add_f64 v[12:13], v[20:21], v[12:13]
	s_delay_alu instid0(VALU_DEP_2) | instskip(NEXT) | instid1(VALU_DEP_2)
	v_add_f64 v[1:2], v[10:11], v[1:2]
	v_add_f64 v[3:4], v[12:13], v[4:5]
	s_delay_alu instid0(VALU_DEP_2) | instskip(NEXT) | instid1(VALU_DEP_2)
	;; [unrolled: 3-line block ×3, first 2 shown]
	v_add_f64 v[1:2], v[180:181], -v[1:2]
	v_add_f64 v[3:4], v[182:183], -v[3:4]
	scratch_store_b128 off, v[1:4], off offset:112
	v_cmpx_lt_u32_e32 6, v166
	s_cbranch_execz .LBB59_361
; %bb.360:
	scratch_load_b128 v[1:4], v210, off
	v_mov_b32_e32 v5, 0
	s_delay_alu instid0(VALU_DEP_1)
	v_mov_b32_e32 v6, v5
	v_mov_b32_e32 v7, v5
	;; [unrolled: 1-line block ×3, first 2 shown]
	scratch_store_b128 off, v[5:8], off offset:96
	s_waitcnt vmcnt(0)
	ds_store_b128 v226, v[1:4]
.LBB59_361:
	s_or_b32 exec_lo, exec_lo, s2
	s_waitcnt lgkmcnt(0)
	s_waitcnt_vscnt null, 0x0
	s_barrier
	buffer_gl0_inv
	s_clause 0x7
	scratch_load_b128 v[2:5], off, off offset:112
	scratch_load_b128 v[6:9], off, off offset:128
	;; [unrolled: 1-line block ×8, first 2 shown]
	v_mov_b32_e32 v1, 0
	s_mov_b32 s2, exec_lo
	ds_load_b128 v[38:41], v1 offset:1072
	s_clause 0x1
	scratch_load_b128 v[34:37], off, off offset:240
	scratch_load_b128 v[42:45], off, off offset:96
	ds_load_b128 v[180:183], v1 offset:1088
	scratch_load_b128 v[201:204], off, off offset:256
	ds_load_b128 v[230:233], v1 offset:1120
	s_waitcnt vmcnt(10) lgkmcnt(2)
	v_mul_f64 v[52:53], v[40:41], v[4:5]
	v_mul_f64 v[4:5], v[38:39], v[4:5]
	s_delay_alu instid0(VALU_DEP_2) | instskip(NEXT) | instid1(VALU_DEP_2)
	v_fma_f64 v[52:53], v[38:39], v[2:3], -v[52:53]
	v_fma_f64 v[56:57], v[40:41], v[2:3], v[4:5]
	ds_load_b128 v[2:5], v1 offset:1104
	s_waitcnt vmcnt(9) lgkmcnt(2)
	v_mul_f64 v[54:55], v[180:181], v[8:9]
	v_mul_f64 v[8:9], v[182:183], v[8:9]
	scratch_load_b128 v[38:41], off, off offset:272
	s_waitcnt vmcnt(9) lgkmcnt(0)
	v_mul_f64 v[58:59], v[2:3], v[12:13]
	v_mul_f64 v[12:13], v[4:5], v[12:13]
	v_add_f64 v[52:53], v[52:53], 0
	v_add_f64 v[56:57], v[56:57], 0
	v_fma_f64 v[54:55], v[182:183], v[6:7], v[54:55]
	v_fma_f64 v[60:61], v[180:181], v[6:7], -v[8:9]
	scratch_load_b128 v[6:9], off, off offset:288
	ds_load_b128 v[180:183], v1 offset:1152
	v_fma_f64 v[58:59], v[4:5], v[10:11], v[58:59]
	v_fma_f64 v[64:65], v[2:3], v[10:11], -v[12:13]
	ds_load_b128 v[2:5], v1 offset:1136
	s_waitcnt vmcnt(9)
	v_mul_f64 v[62:63], v[230:231], v[16:17]
	v_mul_f64 v[16:17], v[232:233], v[16:17]
	scratch_load_b128 v[10:13], off, off offset:304
	v_add_f64 v[54:55], v[56:57], v[54:55]
	v_add_f64 v[52:53], v[52:53], v[60:61]
	s_waitcnt vmcnt(9) lgkmcnt(0)
	v_mul_f64 v[56:57], v[2:3], v[20:21]
	v_mul_f64 v[20:21], v[4:5], v[20:21]
	v_fma_f64 v[60:61], v[232:233], v[14:15], v[62:63]
	v_fma_f64 v[62:63], v[230:231], v[14:15], -v[16:17]
	scratch_load_b128 v[14:17], off, off offset:320
	ds_load_b128 v[230:233], v1 offset:1184
	v_add_f64 v[54:55], v[54:55], v[58:59]
	v_add_f64 v[52:53], v[52:53], v[64:65]
	v_fma_f64 v[56:57], v[4:5], v[18:19], v[56:57]
	v_fma_f64 v[64:65], v[2:3], v[18:19], -v[20:21]
	ds_load_b128 v[2:5], v1 offset:1168
	s_waitcnt vmcnt(9)
	v_mul_f64 v[58:59], v[180:181], v[24:25]
	v_mul_f64 v[24:25], v[182:183], v[24:25]
	scratch_load_b128 v[18:21], off, off offset:336
	v_add_f64 v[54:55], v[54:55], v[60:61]
	v_add_f64 v[52:53], v[52:53], v[62:63]
	s_waitcnt vmcnt(9) lgkmcnt(0)
	v_mul_f64 v[60:61], v[2:3], v[28:29]
	v_mul_f64 v[28:29], v[4:5], v[28:29]
	v_fma_f64 v[58:59], v[182:183], v[22:23], v[58:59]
	v_fma_f64 v[62:63], v[180:181], v[22:23], -v[24:25]
	scratch_load_b128 v[22:25], off, off offset:352
	ds_load_b128 v[180:183], v1 offset:1216
	v_add_f64 v[54:55], v[54:55], v[56:57]
	v_add_f64 v[52:53], v[52:53], v[64:65]
	;; [unrolled: 18-line block ×3, first 2 shown]
	v_fma_f64 v[58:59], v[4:5], v[34:35], v[58:59]
	v_fma_f64 v[66:67], v[2:3], v[34:35], -v[36:37]
	ds_load_b128 v[2:5], v1 offset:1232
	s_waitcnt vmcnt(8)
	v_mul_f64 v[60:61], v[180:181], v[203:204]
	v_mul_f64 v[64:65], v[182:183], v[203:204]
	scratch_load_b128 v[34:37], off, off offset:400
	v_add_f64 v[54:55], v[54:55], v[56:57]
	v_add_f64 v[52:53], v[52:53], v[62:63]
	v_fma_f64 v[60:61], v[182:183], v[201:202], v[60:61]
	v_fma_f64 v[62:63], v[180:181], v[201:202], -v[64:65]
	scratch_load_b128 v[180:183], off, off offset:416
	ds_load_b128 v[201:204], v1 offset:1280
	s_waitcnt vmcnt(9) lgkmcnt(1)
	v_mul_f64 v[56:57], v[2:3], v[40:41]
	v_mul_f64 v[40:41], v[4:5], v[40:41]
	v_add_f64 v[54:55], v[54:55], v[58:59]
	v_add_f64 v[52:53], v[52:53], v[66:67]
	s_delay_alu instid0(VALU_DEP_4) | instskip(NEXT) | instid1(VALU_DEP_4)
	v_fma_f64 v[56:57], v[4:5], v[38:39], v[56:57]
	v_fma_f64 v[64:65], v[2:3], v[38:39], -v[40:41]
	ds_load_b128 v[2:5], v1 offset:1264
	s_waitcnt vmcnt(8)
	v_mul_f64 v[58:59], v[230:231], v[8:9]
	v_mul_f64 v[8:9], v[232:233], v[8:9]
	scratch_load_b128 v[38:41], off, off offset:432
	v_add_f64 v[54:55], v[54:55], v[60:61]
	v_add_f64 v[52:53], v[52:53], v[62:63]
	s_waitcnt vmcnt(8) lgkmcnt(0)
	v_mul_f64 v[60:61], v[2:3], v[12:13]
	v_mul_f64 v[12:13], v[4:5], v[12:13]
	v_fma_f64 v[58:59], v[232:233], v[6:7], v[58:59]
	v_fma_f64 v[62:63], v[230:231], v[6:7], -v[8:9]
	scratch_load_b128 v[6:9], off, off offset:448
	ds_load_b128 v[230:233], v1 offset:1312
	v_add_f64 v[54:55], v[54:55], v[56:57]
	v_add_f64 v[52:53], v[52:53], v[64:65]
	v_fma_f64 v[60:61], v[4:5], v[10:11], v[60:61]
	v_fma_f64 v[64:65], v[2:3], v[10:11], -v[12:13]
	ds_load_b128 v[2:5], v1 offset:1296
	s_waitcnt vmcnt(8)
	v_mul_f64 v[56:57], v[201:202], v[16:17]
	v_mul_f64 v[16:17], v[203:204], v[16:17]
	scratch_load_b128 v[10:13], off, off offset:464
	v_add_f64 v[54:55], v[54:55], v[58:59]
	v_add_f64 v[52:53], v[52:53], v[62:63]
	s_waitcnt vmcnt(8) lgkmcnt(0)
	v_mul_f64 v[58:59], v[2:3], v[20:21]
	v_mul_f64 v[20:21], v[4:5], v[20:21]
	v_fma_f64 v[56:57], v[203:204], v[14:15], v[56:57]
	v_fma_f64 v[62:63], v[201:202], v[14:15], -v[16:17]
	scratch_load_b128 v[14:17], off, off offset:480
	ds_load_b128 v[201:204], v1 offset:1344
	v_add_f64 v[54:55], v[54:55], v[60:61]
	v_add_f64 v[52:53], v[52:53], v[64:65]
	;; [unrolled: 18-line block ×3, first 2 shown]
	v_fma_f64 v[56:57], v[4:5], v[26:27], v[56:57]
	v_fma_f64 v[64:65], v[2:3], v[26:27], -v[28:29]
	ds_load_b128 v[2:5], v1 offset:1360
	s_waitcnt vmcnt(8)
	v_mul_f64 v[58:59], v[201:202], v[32:33]
	v_mul_f64 v[32:33], v[203:204], v[32:33]
	scratch_load_b128 v[26:29], off, off offset:528
	v_add_f64 v[54:55], v[54:55], v[60:61]
	v_add_f64 v[52:53], v[52:53], v[62:63]
	s_waitcnt vmcnt(8) lgkmcnt(0)
	v_mul_f64 v[60:61], v[2:3], v[36:37]
	v_mul_f64 v[36:37], v[4:5], v[36:37]
	v_fma_f64 v[58:59], v[203:204], v[30:31], v[58:59]
	v_fma_f64 v[62:63], v[201:202], v[30:31], -v[32:33]
	s_clause 0x1
	scratch_load_b128 v[30:33], off, off offset:544
	scratch_load_b128 v[201:204], off, off offset:576
	v_add_f64 v[54:55], v[54:55], v[56:57]
	v_add_f64 v[52:53], v[52:53], v[64:65]
	v_fma_f64 v[60:61], v[4:5], v[34:35], v[60:61]
	v_fma_f64 v[66:67], v[2:3], v[34:35], -v[36:37]
	ds_load_b128 v[2:5], v1 offset:1392
	s_waitcnt vmcnt(9)
	v_mul_f64 v[56:57], v[230:231], v[182:183]
	v_mul_f64 v[64:65], v[232:233], v[182:183]
	scratch_load_b128 v[34:37], off, off offset:560
	ds_load_b128 v[182:185], v1 offset:1408
	v_add_f64 v[54:55], v[54:55], v[58:59]
	v_add_f64 v[52:53], v[52:53], v[62:63]
	s_waitcnt vmcnt(9) lgkmcnt(1)
	v_mul_f64 v[58:59], v[2:3], v[40:41]
	v_mul_f64 v[40:41], v[4:5], v[40:41]
	v_fma_f64 v[56:57], v[232:233], v[180:181], v[56:57]
	v_fma_f64 v[62:63], v[230:231], v[180:181], -v[64:65]
	ds_load_b128 v[230:233], v1 offset:1440
	v_add_f64 v[54:55], v[54:55], v[60:61]
	v_add_f64 v[52:53], v[52:53], v[66:67]
	v_fma_f64 v[58:59], v[4:5], v[38:39], v[58:59]
	v_fma_f64 v[64:65], v[2:3], v[38:39], -v[40:41]
	ds_load_b128 v[2:5], v1 offset:1424
	s_waitcnt vmcnt(8) lgkmcnt(2)
	v_mul_f64 v[60:61], v[182:183], v[8:9]
	v_mul_f64 v[8:9], v[184:185], v[8:9]
	scratch_load_b128 v[38:41], off, off offset:592
	v_add_f64 v[54:55], v[54:55], v[56:57]
	v_add_f64 v[52:53], v[52:53], v[62:63]
	s_waitcnt vmcnt(8) lgkmcnt(0)
	v_mul_f64 v[56:57], v[2:3], v[12:13]
	v_mul_f64 v[12:13], v[4:5], v[12:13]
	v_fma_f64 v[60:61], v[184:185], v[6:7], v[60:61]
	v_fma_f64 v[62:63], v[182:183], v[6:7], -v[8:9]
	scratch_load_b128 v[6:9], off, off offset:608
	ds_load_b128 v[180:183], v1 offset:1472
	v_add_f64 v[54:55], v[54:55], v[58:59]
	v_add_f64 v[52:53], v[52:53], v[64:65]
	v_fma_f64 v[56:57], v[4:5], v[10:11], v[56:57]
	v_fma_f64 v[64:65], v[2:3], v[10:11], -v[12:13]
	ds_load_b128 v[2:5], v1 offset:1456
	s_waitcnt vmcnt(8)
	v_mul_f64 v[58:59], v[230:231], v[16:17]
	v_mul_f64 v[16:17], v[232:233], v[16:17]
	scratch_load_b128 v[10:13], off, off offset:624
	v_add_f64 v[54:55], v[54:55], v[60:61]
	v_add_f64 v[52:53], v[52:53], v[62:63]
	s_waitcnt vmcnt(8) lgkmcnt(0)
	v_mul_f64 v[60:61], v[2:3], v[20:21]
	v_mul_f64 v[20:21], v[4:5], v[20:21]
	v_fma_f64 v[58:59], v[232:233], v[14:15], v[58:59]
	v_fma_f64 v[62:63], v[230:231], v[14:15], -v[16:17]
	scratch_load_b128 v[14:17], off, off offset:640
	ds_load_b128 v[230:233], v1 offset:1504
	v_add_f64 v[54:55], v[54:55], v[56:57]
	v_add_f64 v[52:53], v[52:53], v[64:65]
	v_fma_f64 v[60:61], v[4:5], v[18:19], v[60:61]
	v_fma_f64 v[64:65], v[2:3], v[18:19], -v[20:21]
	ds_load_b128 v[2:5], v1 offset:1488
	s_waitcnt vmcnt(8)
	;; [unrolled: 18-line block ×3, first 2 shown]
	v_mul_f64 v[60:61], v[230:231], v[32:33]
	v_mul_f64 v[32:33], v[232:233], v[32:33]
	scratch_load_b128 v[26:29], off, off offset:688
	v_add_f64 v[54:55], v[54:55], v[56:57]
	v_add_f64 v[52:53], v[52:53], v[62:63]
	s_waitcnt vmcnt(7) lgkmcnt(0)
	v_mul_f64 v[56:57], v[2:3], v[36:37]
	v_mul_f64 v[36:37], v[4:5], v[36:37]
	v_fma_f64 v[60:61], v[232:233], v[30:31], v[60:61]
	v_fma_f64 v[62:63], v[230:231], v[30:31], -v[32:33]
	scratch_load_b128 v[30:33], off, off offset:704
	ds_load_b128 v[230:233], v1 offset:1568
	v_add_f64 v[54:55], v[54:55], v[58:59]
	v_add_f64 v[52:53], v[52:53], v[64:65]
	v_fma_f64 v[56:57], v[4:5], v[34:35], v[56:57]
	v_fma_f64 v[66:67], v[2:3], v[34:35], -v[36:37]
	ds_load_b128 v[2:5], v1 offset:1552
	v_mul_f64 v[58:59], v[180:181], v[203:204]
	v_mul_f64 v[64:65], v[182:183], v[203:204]
	scratch_load_b128 v[34:37], off, off offset:720
	v_add_f64 v[54:55], v[54:55], v[60:61]
	v_add_f64 v[52:53], v[52:53], v[62:63]
	s_waitcnt vmcnt(8) lgkmcnt(0)
	v_mul_f64 v[60:61], v[2:3], v[40:41]
	v_mul_f64 v[40:41], v[4:5], v[40:41]
	v_fma_f64 v[58:59], v[182:183], v[201:202], v[58:59]
	v_fma_f64 v[62:63], v[180:181], v[201:202], -v[64:65]
	scratch_load_b128 v[180:183], off, off offset:736
	ds_load_b128 v[201:204], v1 offset:1600
	v_add_f64 v[54:55], v[54:55], v[56:57]
	v_add_f64 v[52:53], v[52:53], v[66:67]
	v_fma_f64 v[60:61], v[4:5], v[38:39], v[60:61]
	v_fma_f64 v[64:65], v[2:3], v[38:39], -v[40:41]
	ds_load_b128 v[2:5], v1 offset:1584
	s_waitcnt vmcnt(8)
	v_mul_f64 v[56:57], v[230:231], v[8:9]
	v_mul_f64 v[8:9], v[232:233], v[8:9]
	scratch_load_b128 v[38:41], off, off offset:752
	v_add_f64 v[54:55], v[54:55], v[58:59]
	v_add_f64 v[52:53], v[52:53], v[62:63]
	s_waitcnt vmcnt(8) lgkmcnt(0)
	v_mul_f64 v[58:59], v[2:3], v[12:13]
	v_mul_f64 v[12:13], v[4:5], v[12:13]
	v_fma_f64 v[56:57], v[232:233], v[6:7], v[56:57]
	v_fma_f64 v[62:63], v[230:231], v[6:7], -v[8:9]
	scratch_load_b128 v[6:9], off, off offset:768
	ds_load_b128 v[230:233], v1 offset:1632
	v_add_f64 v[54:55], v[54:55], v[60:61]
	v_add_f64 v[52:53], v[52:53], v[64:65]
	v_fma_f64 v[58:59], v[4:5], v[10:11], v[58:59]
	v_fma_f64 v[64:65], v[2:3], v[10:11], -v[12:13]
	ds_load_b128 v[2:5], v1 offset:1616
	s_waitcnt vmcnt(8)
	;; [unrolled: 18-line block ×4, first 2 shown]
	v_mul_f64 v[56:57], v[201:202], v[32:33]
	v_mul_f64 v[32:33], v[203:204], v[32:33]
	scratch_load_b128 v[26:29], off, off offset:848
	v_add_f64 v[54:55], v[54:55], v[58:59]
	v_add_f64 v[52:53], v[52:53], v[62:63]
	s_waitcnt vmcnt(8) lgkmcnt(0)
	v_mul_f64 v[58:59], v[2:3], v[36:37]
	v_mul_f64 v[36:37], v[4:5], v[36:37]
	v_fma_f64 v[56:57], v[203:204], v[30:31], v[56:57]
	v_fma_f64 v[62:63], v[201:202], v[30:31], -v[32:33]
	s_clause 0x1
	scratch_load_b128 v[30:33], off, off offset:864
	scratch_load_b128 v[201:204], off, off offset:896
	v_add_f64 v[54:55], v[54:55], v[60:61]
	v_add_f64 v[52:53], v[52:53], v[64:65]
	v_fma_f64 v[58:59], v[4:5], v[34:35], v[58:59]
	v_fma_f64 v[66:67], v[2:3], v[34:35], -v[36:37]
	ds_load_b128 v[2:5], v1 offset:1712
	s_waitcnt vmcnt(9)
	v_mul_f64 v[60:61], v[230:231], v[182:183]
	v_mul_f64 v[64:65], v[232:233], v[182:183]
	scratch_load_b128 v[34:37], off, off offset:880
	ds_load_b128 v[182:185], v1 offset:1728
	v_add_f64 v[54:55], v[54:55], v[56:57]
	v_add_f64 v[52:53], v[52:53], v[62:63]
	s_waitcnt vmcnt(9) lgkmcnt(1)
	v_mul_f64 v[56:57], v[2:3], v[40:41]
	v_mul_f64 v[40:41], v[4:5], v[40:41]
	v_fma_f64 v[60:61], v[232:233], v[180:181], v[60:61]
	v_fma_f64 v[62:63], v[230:231], v[180:181], -v[64:65]
	ds_load_b128 v[230:233], v1 offset:1760
	v_add_f64 v[54:55], v[54:55], v[58:59]
	v_add_f64 v[52:53], v[52:53], v[66:67]
	v_fma_f64 v[56:57], v[4:5], v[38:39], v[56:57]
	v_fma_f64 v[64:65], v[2:3], v[38:39], -v[40:41]
	ds_load_b128 v[2:5], v1 offset:1744
	s_waitcnt vmcnt(8) lgkmcnt(2)
	v_mul_f64 v[58:59], v[182:183], v[8:9]
	v_mul_f64 v[8:9], v[184:185], v[8:9]
	scratch_load_b128 v[38:41], off, off offset:912
	v_add_f64 v[54:55], v[54:55], v[60:61]
	v_add_f64 v[52:53], v[52:53], v[62:63]
	s_waitcnt vmcnt(8) lgkmcnt(0)
	v_mul_f64 v[60:61], v[2:3], v[12:13]
	v_mul_f64 v[12:13], v[4:5], v[12:13]
	v_fma_f64 v[58:59], v[184:185], v[6:7], v[58:59]
	v_fma_f64 v[62:63], v[182:183], v[6:7], -v[8:9]
	scratch_load_b128 v[6:9], off, off offset:928
	ds_load_b128 v[180:183], v1 offset:1792
	v_add_f64 v[54:55], v[54:55], v[56:57]
	v_add_f64 v[52:53], v[52:53], v[64:65]
	v_fma_f64 v[60:61], v[4:5], v[10:11], v[60:61]
	v_fma_f64 v[64:65], v[2:3], v[10:11], -v[12:13]
	scratch_load_b128 v[10:13], off, off offset:944
	ds_load_b128 v[2:5], v1 offset:1776
	s_waitcnt vmcnt(9)
	v_mul_f64 v[56:57], v[230:231], v[16:17]
	v_mul_f64 v[16:17], v[232:233], v[16:17]
	v_add_f64 v[54:55], v[54:55], v[58:59]
	v_add_f64 v[52:53], v[52:53], v[62:63]
	s_waitcnt vmcnt(8) lgkmcnt(0)
	v_mul_f64 v[58:59], v[2:3], v[20:21]
	v_mul_f64 v[20:21], v[4:5], v[20:21]
	v_fma_f64 v[56:57], v[232:233], v[14:15], v[56:57]
	v_fma_f64 v[14:15], v[230:231], v[14:15], -v[16:17]
	v_add_f64 v[16:17], v[52:53], v[64:65]
	v_add_f64 v[52:53], v[54:55], v[60:61]
	s_waitcnt vmcnt(7)
	v_mul_f64 v[54:55], v[180:181], v[24:25]
	v_mul_f64 v[24:25], v[182:183], v[24:25]
	v_fma_f64 v[58:59], v[4:5], v[18:19], v[58:59]
	v_fma_f64 v[18:19], v[2:3], v[18:19], -v[20:21]
	v_add_f64 v[20:21], v[16:17], v[14:15]
	v_add_f64 v[52:53], v[52:53], v[56:57]
	ds_load_b128 v[2:5], v1 offset:1808
	ds_load_b128 v[14:17], v1 offset:1824
	v_fma_f64 v[54:55], v[182:183], v[22:23], v[54:55]
	v_fma_f64 v[22:23], v[180:181], v[22:23], -v[24:25]
	s_waitcnt vmcnt(6) lgkmcnt(1)
	v_mul_f64 v[56:57], v[2:3], v[28:29]
	v_mul_f64 v[28:29], v[4:5], v[28:29]
	s_waitcnt vmcnt(5) lgkmcnt(0)
	v_mul_f64 v[24:25], v[14:15], v[32:33]
	v_mul_f64 v[32:33], v[16:17], v[32:33]
	v_add_f64 v[18:19], v[20:21], v[18:19]
	v_add_f64 v[20:21], v[52:53], v[58:59]
	v_fma_f64 v[52:53], v[4:5], v[26:27], v[56:57]
	v_fma_f64 v[26:27], v[2:3], v[26:27], -v[28:29]
	v_fma_f64 v[16:17], v[16:17], v[30:31], v[24:25]
	v_fma_f64 v[14:15], v[14:15], v[30:31], -v[32:33]
	v_add_f64 v[22:23], v[18:19], v[22:23]
	v_add_f64 v[28:29], v[20:21], v[54:55]
	ds_load_b128 v[2:5], v1 offset:1840
	ds_load_b128 v[18:21], v1 offset:1856
	s_waitcnt vmcnt(3) lgkmcnt(1)
	v_mul_f64 v[54:55], v[2:3], v[36:37]
	v_mul_f64 v[36:37], v[4:5], v[36:37]
	v_add_f64 v[22:23], v[22:23], v[26:27]
	v_add_f64 v[24:25], v[28:29], v[52:53]
	s_waitcnt lgkmcnt(0)
	v_mul_f64 v[26:27], v[18:19], v[203:204]
	v_mul_f64 v[28:29], v[20:21], v[203:204]
	v_fma_f64 v[30:31], v[4:5], v[34:35], v[54:55]
	v_fma_f64 v[32:33], v[2:3], v[34:35], -v[36:37]
	v_add_f64 v[22:23], v[22:23], v[14:15]
	v_add_f64 v[24:25], v[24:25], v[16:17]
	ds_load_b128 v[2:5], v1 offset:1872
	ds_load_b128 v[14:17], v1 offset:1888
	v_fma_f64 v[20:21], v[20:21], v[201:202], v[26:27]
	v_fma_f64 v[18:19], v[18:19], v[201:202], -v[28:29]
	s_waitcnt vmcnt(2) lgkmcnt(1)
	v_mul_f64 v[34:35], v[2:3], v[40:41]
	v_mul_f64 v[36:37], v[4:5], v[40:41]
	s_waitcnt vmcnt(1) lgkmcnt(0)
	v_mul_f64 v[26:27], v[14:15], v[8:9]
	v_mul_f64 v[8:9], v[16:17], v[8:9]
	v_add_f64 v[22:23], v[22:23], v[32:33]
	v_add_f64 v[24:25], v[24:25], v[30:31]
	v_fma_f64 v[28:29], v[4:5], v[38:39], v[34:35]
	v_fma_f64 v[30:31], v[2:3], v[38:39], -v[36:37]
	ds_load_b128 v[2:5], v1 offset:1904
	v_fma_f64 v[16:17], v[16:17], v[6:7], v[26:27]
	v_fma_f64 v[6:7], v[14:15], v[6:7], -v[8:9]
	v_add_f64 v[18:19], v[22:23], v[18:19]
	v_add_f64 v[20:21], v[24:25], v[20:21]
	s_waitcnt vmcnt(0) lgkmcnt(0)
	v_mul_f64 v[22:23], v[2:3], v[12:13]
	v_mul_f64 v[12:13], v[4:5], v[12:13]
	s_delay_alu instid0(VALU_DEP_4) | instskip(NEXT) | instid1(VALU_DEP_4)
	v_add_f64 v[8:9], v[18:19], v[30:31]
	v_add_f64 v[14:15], v[20:21], v[28:29]
	s_delay_alu instid0(VALU_DEP_4) | instskip(NEXT) | instid1(VALU_DEP_4)
	v_fma_f64 v[4:5], v[4:5], v[10:11], v[22:23]
	v_fma_f64 v[2:3], v[2:3], v[10:11], -v[12:13]
	s_delay_alu instid0(VALU_DEP_4) | instskip(NEXT) | instid1(VALU_DEP_4)
	v_add_f64 v[6:7], v[8:9], v[6:7]
	v_add_f64 v[8:9], v[14:15], v[16:17]
	s_delay_alu instid0(VALU_DEP_2) | instskip(NEXT) | instid1(VALU_DEP_2)
	v_add_f64 v[2:3], v[6:7], v[2:3]
	v_add_f64 v[4:5], v[8:9], v[4:5]
	s_delay_alu instid0(VALU_DEP_2) | instskip(NEXT) | instid1(VALU_DEP_2)
	v_add_f64 v[2:3], v[42:43], -v[2:3]
	v_add_f64 v[4:5], v[44:45], -v[4:5]
	scratch_store_b128 off, v[2:5], off offset:96
	v_cmpx_lt_u32_e32 5, v166
	s_cbranch_execz .LBB59_363
; %bb.362:
	scratch_load_b128 v[5:8], v205, off
	v_mov_b32_e32 v2, v1
	v_mov_b32_e32 v3, v1
	;; [unrolled: 1-line block ×3, first 2 shown]
	scratch_store_b128 off, v[1:4], off offset:80
	s_waitcnt vmcnt(0)
	ds_store_b128 v226, v[5:8]
.LBB59_363:
	s_or_b32 exec_lo, exec_lo, s2
	s_waitcnt lgkmcnt(0)
	s_waitcnt_vscnt null, 0x0
	s_barrier
	buffer_gl0_inv
	s_clause 0x8
	scratch_load_b128 v[2:5], off, off offset:96
	scratch_load_b128 v[6:9], off, off offset:112
	;; [unrolled: 1-line block ×9, first 2 shown]
	ds_load_b128 v[42:45], v1 offset:1056
	ds_load_b128 v[38:41], v1 offset:1072
	s_clause 0x1
	scratch_load_b128 v[180:183], off, off offset:80
	scratch_load_b128 v[201:204], off, off offset:240
	s_mov_b32 s2, exec_lo
	ds_load_b128 v[230:233], v1 offset:1104
	s_waitcnt vmcnt(10) lgkmcnt(2)
	v_mul_f64 v[52:53], v[44:45], v[4:5]
	v_mul_f64 v[4:5], v[42:43], v[4:5]
	s_waitcnt vmcnt(9) lgkmcnt(1)
	v_mul_f64 v[54:55], v[38:39], v[8:9]
	v_mul_f64 v[8:9], v[40:41], v[8:9]
	s_delay_alu instid0(VALU_DEP_4) | instskip(NEXT) | instid1(VALU_DEP_4)
	v_fma_f64 v[52:53], v[42:43], v[2:3], -v[52:53]
	v_fma_f64 v[56:57], v[44:45], v[2:3], v[4:5]
	ds_load_b128 v[2:5], v1 offset:1088
	scratch_load_b128 v[42:45], off, off offset:256
	v_fma_f64 v[40:41], v[40:41], v[6:7], v[54:55]
	v_fma_f64 v[38:39], v[38:39], v[6:7], -v[8:9]
	scratch_load_b128 v[6:9], off, off offset:272
	s_waitcnt vmcnt(10) lgkmcnt(0)
	v_mul_f64 v[58:59], v[2:3], v[12:13]
	v_mul_f64 v[12:13], v[4:5], v[12:13]
	v_add_f64 v[52:53], v[52:53], 0
	v_add_f64 v[54:55], v[56:57], 0
	s_waitcnt vmcnt(9)
	v_mul_f64 v[56:57], v[230:231], v[16:17]
	v_mul_f64 v[16:17], v[232:233], v[16:17]
	v_fma_f64 v[58:59], v[4:5], v[10:11], v[58:59]
	v_fma_f64 v[60:61], v[2:3], v[10:11], -v[12:13]
	ds_load_b128 v[2:5], v1 offset:1120
	scratch_load_b128 v[10:13], off, off offset:288
	v_add_f64 v[52:53], v[52:53], v[38:39]
	v_add_f64 v[54:55], v[54:55], v[40:41]
	ds_load_b128 v[38:41], v1 offset:1136
	v_fma_f64 v[56:57], v[232:233], v[14:15], v[56:57]
	v_fma_f64 v[64:65], v[230:231], v[14:15], -v[16:17]
	scratch_load_b128 v[14:17], off, off offset:304
	s_waitcnt vmcnt(10) lgkmcnt(1)
	v_mul_f64 v[62:63], v[2:3], v[20:21]
	v_mul_f64 v[20:21], v[4:5], v[20:21]
	ds_load_b128 v[230:233], v1 offset:1168
	v_add_f64 v[52:53], v[52:53], v[60:61]
	v_add_f64 v[54:55], v[54:55], v[58:59]
	s_waitcnt vmcnt(9) lgkmcnt(1)
	v_mul_f64 v[58:59], v[38:39], v[24:25]
	v_mul_f64 v[24:25], v[40:41], v[24:25]
	v_fma_f64 v[60:61], v[4:5], v[18:19], v[62:63]
	v_fma_f64 v[62:63], v[2:3], v[18:19], -v[20:21]
	ds_load_b128 v[2:5], v1 offset:1152
	scratch_load_b128 v[18:21], off, off offset:320
	v_add_f64 v[52:53], v[52:53], v[64:65]
	v_add_f64 v[54:55], v[54:55], v[56:57]
	s_waitcnt vmcnt(9) lgkmcnt(0)
	v_mul_f64 v[56:57], v[2:3], v[28:29]
	v_mul_f64 v[28:29], v[4:5], v[28:29]
	v_fma_f64 v[40:41], v[40:41], v[22:23], v[58:59]
	v_fma_f64 v[38:39], v[38:39], v[22:23], -v[24:25]
	scratch_load_b128 v[22:25], off, off offset:336
	s_waitcnt vmcnt(9)
	v_mul_f64 v[58:59], v[230:231], v[32:33]
	v_mul_f64 v[32:33], v[232:233], v[32:33]
	v_add_f64 v[52:53], v[52:53], v[62:63]
	v_add_f64 v[54:55], v[54:55], v[60:61]
	v_fma_f64 v[56:57], v[4:5], v[26:27], v[56:57]
	v_fma_f64 v[60:61], v[2:3], v[26:27], -v[28:29]
	ds_load_b128 v[2:5], v1 offset:1184
	scratch_load_b128 v[26:29], off, off offset:352
	v_fma_f64 v[58:59], v[232:233], v[30:31], v[58:59]
	v_fma_f64 v[64:65], v[230:231], v[30:31], -v[32:33]
	scratch_load_b128 v[30:33], off, off offset:368
	ds_load_b128 v[230:233], v1 offset:1232
	v_add_f64 v[52:53], v[52:53], v[38:39]
	v_add_f64 v[54:55], v[54:55], v[40:41]
	ds_load_b128 v[38:41], v1 offset:1200
	s_waitcnt vmcnt(10) lgkmcnt(2)
	v_mul_f64 v[62:63], v[2:3], v[36:37]
	v_mul_f64 v[36:37], v[4:5], v[36:37]
	v_add_f64 v[52:53], v[52:53], v[60:61]
	v_add_f64 v[54:55], v[54:55], v[56:57]
	s_waitcnt vmcnt(8) lgkmcnt(0)
	v_mul_f64 v[56:57], v[38:39], v[203:204]
	v_mul_f64 v[60:61], v[40:41], v[203:204]
	v_fma_f64 v[62:63], v[4:5], v[34:35], v[62:63]
	v_fma_f64 v[66:67], v[2:3], v[34:35], -v[36:37]
	ds_load_b128 v[2:5], v1 offset:1216
	scratch_load_b128 v[34:37], off, off offset:384
	v_add_f64 v[52:53], v[52:53], v[64:65]
	v_add_f64 v[54:55], v[54:55], v[58:59]
	v_fma_f64 v[56:57], v[40:41], v[201:202], v[56:57]
	v_fma_f64 v[60:61], v[38:39], v[201:202], -v[60:61]
	scratch_load_b128 v[38:41], off, off offset:400
	ds_load_b128 v[201:204], v1 offset:1264
	s_waitcnt vmcnt(9) lgkmcnt(1)
	v_mul_f64 v[58:59], v[2:3], v[44:45]
	v_mul_f64 v[44:45], v[4:5], v[44:45]
	v_add_f64 v[52:53], v[52:53], v[66:67]
	v_add_f64 v[54:55], v[54:55], v[62:63]
	s_waitcnt vmcnt(8)
	v_mul_f64 v[62:63], v[230:231], v[8:9]
	v_mul_f64 v[8:9], v[232:233], v[8:9]
	v_fma_f64 v[58:59], v[4:5], v[42:43], v[58:59]
	v_fma_f64 v[64:65], v[2:3], v[42:43], -v[44:45]
	ds_load_b128 v[2:5], v1 offset:1248
	scratch_load_b128 v[42:45], off, off offset:416
	v_add_f64 v[52:53], v[52:53], v[60:61]
	v_add_f64 v[54:55], v[54:55], v[56:57]
	v_fma_f64 v[60:61], v[232:233], v[6:7], v[62:63]
	s_waitcnt vmcnt(8) lgkmcnt(0)
	v_mul_f64 v[56:57], v[2:3], v[12:13]
	v_mul_f64 v[12:13], v[4:5], v[12:13]
	v_fma_f64 v[62:63], v[230:231], v[6:7], -v[8:9]
	scratch_load_b128 v[6:9], off, off offset:432
	ds_load_b128 v[230:233], v1 offset:1296
	v_add_f64 v[52:53], v[52:53], v[64:65]
	v_add_f64 v[54:55], v[54:55], v[58:59]
	s_waitcnt vmcnt(8)
	v_mul_f64 v[58:59], v[201:202], v[16:17]
	v_mul_f64 v[16:17], v[203:204], v[16:17]
	v_fma_f64 v[56:57], v[4:5], v[10:11], v[56:57]
	v_fma_f64 v[64:65], v[2:3], v[10:11], -v[12:13]
	ds_load_b128 v[2:5], v1 offset:1280
	scratch_load_b128 v[10:13], off, off offset:448
	v_add_f64 v[52:53], v[52:53], v[62:63]
	v_add_f64 v[54:55], v[54:55], v[60:61]
	s_waitcnt vmcnt(8) lgkmcnt(0)
	v_mul_f64 v[60:61], v[2:3], v[20:21]
	v_mul_f64 v[20:21], v[4:5], v[20:21]
	v_fma_f64 v[58:59], v[203:204], v[14:15], v[58:59]
	v_fma_f64 v[62:63], v[201:202], v[14:15], -v[16:17]
	scratch_load_b128 v[14:17], off, off offset:464
	ds_load_b128 v[201:204], v1 offset:1328
	v_add_f64 v[52:53], v[52:53], v[64:65]
	v_add_f64 v[54:55], v[54:55], v[56:57]
	s_waitcnt vmcnt(8)
	v_mul_f64 v[56:57], v[230:231], v[24:25]
	v_mul_f64 v[24:25], v[232:233], v[24:25]
	v_fma_f64 v[60:61], v[4:5], v[18:19], v[60:61]
	v_fma_f64 v[64:65], v[2:3], v[18:19], -v[20:21]
	ds_load_b128 v[2:5], v1 offset:1312
	scratch_load_b128 v[18:21], off, off offset:480
	v_add_f64 v[52:53], v[52:53], v[62:63]
	v_add_f64 v[54:55], v[54:55], v[58:59]
	s_waitcnt vmcnt(8) lgkmcnt(0)
	v_mul_f64 v[58:59], v[2:3], v[28:29]
	v_mul_f64 v[28:29], v[4:5], v[28:29]
	v_fma_f64 v[56:57], v[232:233], v[22:23], v[56:57]
	;; [unrolled: 18-line block ×16, first 2 shown]
	v_fma_f64 v[62:63], v[230:231], v[14:15], -v[16:17]
	scratch_load_b128 v[14:17], off, off offset:944
	v_add_f64 v[52:53], v[52:53], v[64:65]
	v_add_f64 v[54:55], v[54:55], v[56:57]
	s_waitcnt vmcnt(8)
	v_mul_f64 v[56:57], v[201:202], v[24:25]
	v_mul_f64 v[24:25], v[203:204], v[24:25]
	v_fma_f64 v[60:61], v[4:5], v[18:19], v[60:61]
	v_fma_f64 v[64:65], v[2:3], v[18:19], -v[20:21]
	ds_load_b128 v[2:5], v1 offset:1792
	ds_load_b128 v[18:21], v1 offset:1808
	v_add_f64 v[52:53], v[52:53], v[62:63]
	v_add_f64 v[54:55], v[54:55], v[58:59]
	s_waitcnt vmcnt(7) lgkmcnt(1)
	v_mul_f64 v[58:59], v[2:3], v[28:29]
	v_mul_f64 v[28:29], v[4:5], v[28:29]
	v_fma_f64 v[56:57], v[203:204], v[22:23], v[56:57]
	v_fma_f64 v[22:23], v[201:202], v[22:23], -v[24:25]
	v_add_f64 v[24:25], v[52:53], v[64:65]
	v_add_f64 v[52:53], v[54:55], v[60:61]
	s_waitcnt vmcnt(6) lgkmcnt(0)
	v_mul_f64 v[54:55], v[18:19], v[32:33]
	v_mul_f64 v[32:33], v[20:21], v[32:33]
	v_fma_f64 v[58:59], v[4:5], v[26:27], v[58:59]
	v_fma_f64 v[26:27], v[2:3], v[26:27], -v[28:29]
	v_add_f64 v[28:29], v[24:25], v[22:23]
	v_add_f64 v[52:53], v[52:53], v[56:57]
	ds_load_b128 v[2:5], v1 offset:1824
	ds_load_b128 v[22:25], v1 offset:1840
	v_fma_f64 v[20:21], v[20:21], v[30:31], v[54:55]
	v_fma_f64 v[18:19], v[18:19], v[30:31], -v[32:33]
	s_waitcnt vmcnt(5) lgkmcnt(1)
	v_mul_f64 v[56:57], v[2:3], v[36:37]
	v_mul_f64 v[36:37], v[4:5], v[36:37]
	s_waitcnt vmcnt(4) lgkmcnt(0)
	v_mul_f64 v[30:31], v[22:23], v[40:41]
	v_mul_f64 v[32:33], v[24:25], v[40:41]
	v_add_f64 v[26:27], v[28:29], v[26:27]
	v_add_f64 v[28:29], v[52:53], v[58:59]
	v_fma_f64 v[40:41], v[4:5], v[34:35], v[56:57]
	v_fma_f64 v[34:35], v[2:3], v[34:35], -v[36:37]
	v_fma_f64 v[24:25], v[24:25], v[38:39], v[30:31]
	v_fma_f64 v[22:23], v[22:23], v[38:39], -v[32:33]
	v_add_f64 v[26:27], v[26:27], v[18:19]
	v_add_f64 v[28:29], v[28:29], v[20:21]
	ds_load_b128 v[2:5], v1 offset:1856
	ds_load_b128 v[18:21], v1 offset:1872
	s_waitcnt vmcnt(3) lgkmcnt(1)
	v_mul_f64 v[36:37], v[2:3], v[44:45]
	v_mul_f64 v[44:45], v[4:5], v[44:45]
	s_waitcnt vmcnt(2) lgkmcnt(0)
	v_mul_f64 v[30:31], v[18:19], v[8:9]
	v_mul_f64 v[8:9], v[20:21], v[8:9]
	v_add_f64 v[26:27], v[26:27], v[34:35]
	v_add_f64 v[28:29], v[28:29], v[40:41]
	v_fma_f64 v[32:33], v[4:5], v[42:43], v[36:37]
	v_fma_f64 v[34:35], v[2:3], v[42:43], -v[44:45]
	v_fma_f64 v[20:21], v[20:21], v[6:7], v[30:31]
	v_fma_f64 v[6:7], v[18:19], v[6:7], -v[8:9]
	v_add_f64 v[26:27], v[26:27], v[22:23]
	v_add_f64 v[28:29], v[28:29], v[24:25]
	ds_load_b128 v[2:5], v1 offset:1888
	ds_load_b128 v[22:25], v1 offset:1904
	s_waitcnt vmcnt(1) lgkmcnt(1)
	v_mul_f64 v[36:37], v[2:3], v[12:13]
	v_mul_f64 v[12:13], v[4:5], v[12:13]
	v_add_f64 v[8:9], v[26:27], v[34:35]
	v_add_f64 v[18:19], v[28:29], v[32:33]
	s_waitcnt vmcnt(0) lgkmcnt(0)
	v_mul_f64 v[26:27], v[22:23], v[16:17]
	v_mul_f64 v[16:17], v[24:25], v[16:17]
	v_fma_f64 v[4:5], v[4:5], v[10:11], v[36:37]
	v_fma_f64 v[1:2], v[2:3], v[10:11], -v[12:13]
	v_add_f64 v[6:7], v[8:9], v[6:7]
	v_add_f64 v[8:9], v[18:19], v[20:21]
	v_fma_f64 v[10:11], v[24:25], v[14:15], v[26:27]
	v_fma_f64 v[12:13], v[22:23], v[14:15], -v[16:17]
	s_delay_alu instid0(VALU_DEP_4) | instskip(NEXT) | instid1(VALU_DEP_4)
	v_add_f64 v[1:2], v[6:7], v[1:2]
	v_add_f64 v[3:4], v[8:9], v[4:5]
	s_delay_alu instid0(VALU_DEP_2) | instskip(NEXT) | instid1(VALU_DEP_2)
	v_add_f64 v[1:2], v[1:2], v[12:13]
	v_add_f64 v[3:4], v[3:4], v[10:11]
	s_delay_alu instid0(VALU_DEP_2) | instskip(NEXT) | instid1(VALU_DEP_2)
	v_add_f64 v[1:2], v[180:181], -v[1:2]
	v_add_f64 v[3:4], v[182:183], -v[3:4]
	scratch_store_b128 off, v[1:4], off offset:80
	v_cmpx_lt_u32_e32 4, v166
	s_cbranch_execz .LBB59_365
; %bb.364:
	scratch_load_b128 v[1:4], v187, off
	v_mov_b32_e32 v5, 0
	s_delay_alu instid0(VALU_DEP_1)
	v_mov_b32_e32 v6, v5
	v_mov_b32_e32 v7, v5
	;; [unrolled: 1-line block ×3, first 2 shown]
	scratch_store_b128 off, v[5:8], off offset:64
	s_waitcnt vmcnt(0)
	ds_store_b128 v226, v[1:4]
.LBB59_365:
	s_or_b32 exec_lo, exec_lo, s2
	s_waitcnt lgkmcnt(0)
	s_waitcnt_vscnt null, 0x0
	s_barrier
	buffer_gl0_inv
	s_clause 0x7
	scratch_load_b128 v[2:5], off, off offset:80
	scratch_load_b128 v[6:9], off, off offset:96
	;; [unrolled: 1-line block ×8, first 2 shown]
	v_mov_b32_e32 v1, 0
	s_mov_b32 s2, exec_lo
	ds_load_b128 v[38:41], v1 offset:1040
	s_clause 0x1
	scratch_load_b128 v[34:37], off, off offset:208
	scratch_load_b128 v[42:45], off, off offset:64
	ds_load_b128 v[180:183], v1 offset:1056
	scratch_load_b128 v[201:204], off, off offset:224
	ds_load_b128 v[230:233], v1 offset:1088
	s_waitcnt vmcnt(10) lgkmcnt(2)
	v_mul_f64 v[52:53], v[40:41], v[4:5]
	v_mul_f64 v[4:5], v[38:39], v[4:5]
	s_delay_alu instid0(VALU_DEP_2) | instskip(NEXT) | instid1(VALU_DEP_2)
	v_fma_f64 v[52:53], v[38:39], v[2:3], -v[52:53]
	v_fma_f64 v[56:57], v[40:41], v[2:3], v[4:5]
	ds_load_b128 v[2:5], v1 offset:1072
	s_waitcnt vmcnt(9) lgkmcnt(2)
	v_mul_f64 v[54:55], v[180:181], v[8:9]
	v_mul_f64 v[8:9], v[182:183], v[8:9]
	scratch_load_b128 v[38:41], off, off offset:240
	s_waitcnt vmcnt(9) lgkmcnt(0)
	v_mul_f64 v[58:59], v[2:3], v[12:13]
	v_mul_f64 v[12:13], v[4:5], v[12:13]
	v_add_f64 v[52:53], v[52:53], 0
	v_add_f64 v[56:57], v[56:57], 0
	v_fma_f64 v[54:55], v[182:183], v[6:7], v[54:55]
	v_fma_f64 v[60:61], v[180:181], v[6:7], -v[8:9]
	scratch_load_b128 v[6:9], off, off offset:256
	ds_load_b128 v[180:183], v1 offset:1120
	v_fma_f64 v[58:59], v[4:5], v[10:11], v[58:59]
	v_fma_f64 v[64:65], v[2:3], v[10:11], -v[12:13]
	ds_load_b128 v[2:5], v1 offset:1104
	s_waitcnt vmcnt(9)
	v_mul_f64 v[62:63], v[230:231], v[16:17]
	v_mul_f64 v[16:17], v[232:233], v[16:17]
	scratch_load_b128 v[10:13], off, off offset:272
	v_add_f64 v[54:55], v[56:57], v[54:55]
	v_add_f64 v[52:53], v[52:53], v[60:61]
	s_waitcnt vmcnt(9) lgkmcnt(0)
	v_mul_f64 v[56:57], v[2:3], v[20:21]
	v_mul_f64 v[20:21], v[4:5], v[20:21]
	v_fma_f64 v[60:61], v[232:233], v[14:15], v[62:63]
	v_fma_f64 v[62:63], v[230:231], v[14:15], -v[16:17]
	scratch_load_b128 v[14:17], off, off offset:288
	ds_load_b128 v[230:233], v1 offset:1152
	v_add_f64 v[54:55], v[54:55], v[58:59]
	v_add_f64 v[52:53], v[52:53], v[64:65]
	v_fma_f64 v[56:57], v[4:5], v[18:19], v[56:57]
	v_fma_f64 v[64:65], v[2:3], v[18:19], -v[20:21]
	ds_load_b128 v[2:5], v1 offset:1136
	s_waitcnt vmcnt(9)
	v_mul_f64 v[58:59], v[180:181], v[24:25]
	v_mul_f64 v[24:25], v[182:183], v[24:25]
	scratch_load_b128 v[18:21], off, off offset:304
	v_add_f64 v[54:55], v[54:55], v[60:61]
	v_add_f64 v[52:53], v[52:53], v[62:63]
	s_waitcnt vmcnt(9) lgkmcnt(0)
	v_mul_f64 v[60:61], v[2:3], v[28:29]
	v_mul_f64 v[28:29], v[4:5], v[28:29]
	v_fma_f64 v[58:59], v[182:183], v[22:23], v[58:59]
	v_fma_f64 v[62:63], v[180:181], v[22:23], -v[24:25]
	scratch_load_b128 v[22:25], off, off offset:320
	ds_load_b128 v[180:183], v1 offset:1184
	v_add_f64 v[54:55], v[54:55], v[56:57]
	v_add_f64 v[52:53], v[52:53], v[64:65]
	;; [unrolled: 18-line block ×3, first 2 shown]
	v_fma_f64 v[58:59], v[4:5], v[34:35], v[58:59]
	v_fma_f64 v[66:67], v[2:3], v[34:35], -v[36:37]
	ds_load_b128 v[2:5], v1 offset:1200
	s_waitcnt vmcnt(8)
	v_mul_f64 v[60:61], v[180:181], v[203:204]
	v_mul_f64 v[64:65], v[182:183], v[203:204]
	scratch_load_b128 v[34:37], off, off offset:368
	v_add_f64 v[54:55], v[54:55], v[56:57]
	v_add_f64 v[52:53], v[52:53], v[62:63]
	v_fma_f64 v[60:61], v[182:183], v[201:202], v[60:61]
	v_fma_f64 v[62:63], v[180:181], v[201:202], -v[64:65]
	scratch_load_b128 v[180:183], off, off offset:384
	ds_load_b128 v[201:204], v1 offset:1248
	s_waitcnt vmcnt(9) lgkmcnt(1)
	v_mul_f64 v[56:57], v[2:3], v[40:41]
	v_mul_f64 v[40:41], v[4:5], v[40:41]
	v_add_f64 v[54:55], v[54:55], v[58:59]
	v_add_f64 v[52:53], v[52:53], v[66:67]
	s_delay_alu instid0(VALU_DEP_4) | instskip(NEXT) | instid1(VALU_DEP_4)
	v_fma_f64 v[56:57], v[4:5], v[38:39], v[56:57]
	v_fma_f64 v[64:65], v[2:3], v[38:39], -v[40:41]
	ds_load_b128 v[2:5], v1 offset:1232
	s_waitcnt vmcnt(8)
	v_mul_f64 v[58:59], v[230:231], v[8:9]
	v_mul_f64 v[8:9], v[232:233], v[8:9]
	scratch_load_b128 v[38:41], off, off offset:400
	v_add_f64 v[54:55], v[54:55], v[60:61]
	v_add_f64 v[52:53], v[52:53], v[62:63]
	s_waitcnt vmcnt(8) lgkmcnt(0)
	v_mul_f64 v[60:61], v[2:3], v[12:13]
	v_mul_f64 v[12:13], v[4:5], v[12:13]
	v_fma_f64 v[58:59], v[232:233], v[6:7], v[58:59]
	v_fma_f64 v[62:63], v[230:231], v[6:7], -v[8:9]
	scratch_load_b128 v[6:9], off, off offset:416
	ds_load_b128 v[230:233], v1 offset:1280
	v_add_f64 v[54:55], v[54:55], v[56:57]
	v_add_f64 v[52:53], v[52:53], v[64:65]
	v_fma_f64 v[60:61], v[4:5], v[10:11], v[60:61]
	v_fma_f64 v[64:65], v[2:3], v[10:11], -v[12:13]
	ds_load_b128 v[2:5], v1 offset:1264
	s_waitcnt vmcnt(8)
	v_mul_f64 v[56:57], v[201:202], v[16:17]
	v_mul_f64 v[16:17], v[203:204], v[16:17]
	scratch_load_b128 v[10:13], off, off offset:432
	v_add_f64 v[54:55], v[54:55], v[58:59]
	v_add_f64 v[52:53], v[52:53], v[62:63]
	s_waitcnt vmcnt(8) lgkmcnt(0)
	v_mul_f64 v[58:59], v[2:3], v[20:21]
	v_mul_f64 v[20:21], v[4:5], v[20:21]
	v_fma_f64 v[56:57], v[203:204], v[14:15], v[56:57]
	v_fma_f64 v[62:63], v[201:202], v[14:15], -v[16:17]
	scratch_load_b128 v[14:17], off, off offset:448
	ds_load_b128 v[201:204], v1 offset:1312
	v_add_f64 v[54:55], v[54:55], v[60:61]
	v_add_f64 v[52:53], v[52:53], v[64:65]
	;; [unrolled: 18-line block ×3, first 2 shown]
	v_fma_f64 v[56:57], v[4:5], v[26:27], v[56:57]
	v_fma_f64 v[64:65], v[2:3], v[26:27], -v[28:29]
	ds_load_b128 v[2:5], v1 offset:1328
	s_waitcnt vmcnt(8)
	v_mul_f64 v[58:59], v[201:202], v[32:33]
	v_mul_f64 v[32:33], v[203:204], v[32:33]
	scratch_load_b128 v[26:29], off, off offset:496
	v_add_f64 v[54:55], v[54:55], v[60:61]
	v_add_f64 v[52:53], v[52:53], v[62:63]
	s_waitcnt vmcnt(8) lgkmcnt(0)
	v_mul_f64 v[60:61], v[2:3], v[36:37]
	v_mul_f64 v[36:37], v[4:5], v[36:37]
	v_fma_f64 v[58:59], v[203:204], v[30:31], v[58:59]
	v_fma_f64 v[62:63], v[201:202], v[30:31], -v[32:33]
	s_clause 0x1
	scratch_load_b128 v[30:33], off, off offset:512
	scratch_load_b128 v[201:204], off, off offset:544
	v_add_f64 v[54:55], v[54:55], v[56:57]
	v_add_f64 v[52:53], v[52:53], v[64:65]
	v_fma_f64 v[60:61], v[4:5], v[34:35], v[60:61]
	v_fma_f64 v[66:67], v[2:3], v[34:35], -v[36:37]
	ds_load_b128 v[2:5], v1 offset:1360
	s_waitcnt vmcnt(9)
	v_mul_f64 v[56:57], v[230:231], v[182:183]
	v_mul_f64 v[64:65], v[232:233], v[182:183]
	scratch_load_b128 v[34:37], off, off offset:528
	ds_load_b128 v[182:185], v1 offset:1376
	v_add_f64 v[54:55], v[54:55], v[58:59]
	v_add_f64 v[52:53], v[52:53], v[62:63]
	s_waitcnt vmcnt(9) lgkmcnt(1)
	v_mul_f64 v[58:59], v[2:3], v[40:41]
	v_mul_f64 v[40:41], v[4:5], v[40:41]
	v_fma_f64 v[56:57], v[232:233], v[180:181], v[56:57]
	v_fma_f64 v[62:63], v[230:231], v[180:181], -v[64:65]
	ds_load_b128 v[230:233], v1 offset:1408
	v_add_f64 v[54:55], v[54:55], v[60:61]
	v_add_f64 v[52:53], v[52:53], v[66:67]
	v_fma_f64 v[58:59], v[4:5], v[38:39], v[58:59]
	v_fma_f64 v[64:65], v[2:3], v[38:39], -v[40:41]
	ds_load_b128 v[2:5], v1 offset:1392
	s_waitcnt vmcnt(8) lgkmcnt(2)
	v_mul_f64 v[60:61], v[182:183], v[8:9]
	v_mul_f64 v[8:9], v[184:185], v[8:9]
	scratch_load_b128 v[38:41], off, off offset:560
	v_add_f64 v[54:55], v[54:55], v[56:57]
	v_add_f64 v[52:53], v[52:53], v[62:63]
	s_waitcnt vmcnt(8) lgkmcnt(0)
	v_mul_f64 v[56:57], v[2:3], v[12:13]
	v_mul_f64 v[12:13], v[4:5], v[12:13]
	v_fma_f64 v[60:61], v[184:185], v[6:7], v[60:61]
	v_fma_f64 v[62:63], v[182:183], v[6:7], -v[8:9]
	scratch_load_b128 v[6:9], off, off offset:576
	ds_load_b128 v[180:183], v1 offset:1440
	v_add_f64 v[54:55], v[54:55], v[58:59]
	v_add_f64 v[52:53], v[52:53], v[64:65]
	v_fma_f64 v[56:57], v[4:5], v[10:11], v[56:57]
	v_fma_f64 v[64:65], v[2:3], v[10:11], -v[12:13]
	ds_load_b128 v[2:5], v1 offset:1424
	s_waitcnt vmcnt(8)
	v_mul_f64 v[58:59], v[230:231], v[16:17]
	v_mul_f64 v[16:17], v[232:233], v[16:17]
	scratch_load_b128 v[10:13], off, off offset:592
	v_add_f64 v[54:55], v[54:55], v[60:61]
	v_add_f64 v[52:53], v[52:53], v[62:63]
	s_waitcnt vmcnt(8) lgkmcnt(0)
	v_mul_f64 v[60:61], v[2:3], v[20:21]
	v_mul_f64 v[20:21], v[4:5], v[20:21]
	v_fma_f64 v[58:59], v[232:233], v[14:15], v[58:59]
	v_fma_f64 v[62:63], v[230:231], v[14:15], -v[16:17]
	scratch_load_b128 v[14:17], off, off offset:608
	ds_load_b128 v[230:233], v1 offset:1472
	v_add_f64 v[54:55], v[54:55], v[56:57]
	v_add_f64 v[52:53], v[52:53], v[64:65]
	v_fma_f64 v[60:61], v[4:5], v[18:19], v[60:61]
	v_fma_f64 v[64:65], v[2:3], v[18:19], -v[20:21]
	ds_load_b128 v[2:5], v1 offset:1456
	s_waitcnt vmcnt(8)
	;; [unrolled: 18-line block ×3, first 2 shown]
	v_mul_f64 v[60:61], v[230:231], v[32:33]
	v_mul_f64 v[32:33], v[232:233], v[32:33]
	scratch_load_b128 v[26:29], off, off offset:656
	v_add_f64 v[54:55], v[54:55], v[56:57]
	v_add_f64 v[52:53], v[52:53], v[62:63]
	s_waitcnt vmcnt(7) lgkmcnt(0)
	v_mul_f64 v[56:57], v[2:3], v[36:37]
	v_mul_f64 v[36:37], v[4:5], v[36:37]
	v_fma_f64 v[60:61], v[232:233], v[30:31], v[60:61]
	v_fma_f64 v[62:63], v[230:231], v[30:31], -v[32:33]
	scratch_load_b128 v[30:33], off, off offset:672
	ds_load_b128 v[230:233], v1 offset:1536
	v_add_f64 v[54:55], v[54:55], v[58:59]
	v_add_f64 v[52:53], v[52:53], v[64:65]
	v_fma_f64 v[56:57], v[4:5], v[34:35], v[56:57]
	v_fma_f64 v[66:67], v[2:3], v[34:35], -v[36:37]
	ds_load_b128 v[2:5], v1 offset:1520
	v_mul_f64 v[58:59], v[180:181], v[203:204]
	v_mul_f64 v[64:65], v[182:183], v[203:204]
	scratch_load_b128 v[34:37], off, off offset:688
	v_add_f64 v[54:55], v[54:55], v[60:61]
	v_add_f64 v[52:53], v[52:53], v[62:63]
	s_waitcnt vmcnt(8) lgkmcnt(0)
	v_mul_f64 v[60:61], v[2:3], v[40:41]
	v_mul_f64 v[40:41], v[4:5], v[40:41]
	v_fma_f64 v[58:59], v[182:183], v[201:202], v[58:59]
	v_fma_f64 v[62:63], v[180:181], v[201:202], -v[64:65]
	scratch_load_b128 v[180:183], off, off offset:704
	ds_load_b128 v[201:204], v1 offset:1568
	v_add_f64 v[54:55], v[54:55], v[56:57]
	v_add_f64 v[52:53], v[52:53], v[66:67]
	v_fma_f64 v[60:61], v[4:5], v[38:39], v[60:61]
	v_fma_f64 v[64:65], v[2:3], v[38:39], -v[40:41]
	ds_load_b128 v[2:5], v1 offset:1552
	s_waitcnt vmcnt(8)
	v_mul_f64 v[56:57], v[230:231], v[8:9]
	v_mul_f64 v[8:9], v[232:233], v[8:9]
	scratch_load_b128 v[38:41], off, off offset:720
	v_add_f64 v[54:55], v[54:55], v[58:59]
	v_add_f64 v[52:53], v[52:53], v[62:63]
	s_waitcnt vmcnt(8) lgkmcnt(0)
	v_mul_f64 v[58:59], v[2:3], v[12:13]
	v_mul_f64 v[12:13], v[4:5], v[12:13]
	v_fma_f64 v[56:57], v[232:233], v[6:7], v[56:57]
	v_fma_f64 v[62:63], v[230:231], v[6:7], -v[8:9]
	scratch_load_b128 v[6:9], off, off offset:736
	ds_load_b128 v[230:233], v1 offset:1600
	v_add_f64 v[54:55], v[54:55], v[60:61]
	v_add_f64 v[52:53], v[52:53], v[64:65]
	v_fma_f64 v[58:59], v[4:5], v[10:11], v[58:59]
	v_fma_f64 v[64:65], v[2:3], v[10:11], -v[12:13]
	ds_load_b128 v[2:5], v1 offset:1584
	s_waitcnt vmcnt(8)
	;; [unrolled: 18-line block ×4, first 2 shown]
	v_mul_f64 v[56:57], v[201:202], v[32:33]
	v_mul_f64 v[32:33], v[203:204], v[32:33]
	scratch_load_b128 v[26:29], off, off offset:816
	v_add_f64 v[54:55], v[54:55], v[58:59]
	v_add_f64 v[52:53], v[52:53], v[62:63]
	s_waitcnt vmcnt(8) lgkmcnt(0)
	v_mul_f64 v[58:59], v[2:3], v[36:37]
	v_mul_f64 v[36:37], v[4:5], v[36:37]
	v_fma_f64 v[56:57], v[203:204], v[30:31], v[56:57]
	v_fma_f64 v[62:63], v[201:202], v[30:31], -v[32:33]
	s_clause 0x1
	scratch_load_b128 v[30:33], off, off offset:832
	scratch_load_b128 v[201:204], off, off offset:864
	v_add_f64 v[54:55], v[54:55], v[60:61]
	v_add_f64 v[52:53], v[52:53], v[64:65]
	v_fma_f64 v[58:59], v[4:5], v[34:35], v[58:59]
	v_fma_f64 v[66:67], v[2:3], v[34:35], -v[36:37]
	ds_load_b128 v[2:5], v1 offset:1680
	s_waitcnt vmcnt(9)
	v_mul_f64 v[60:61], v[230:231], v[182:183]
	v_mul_f64 v[64:65], v[232:233], v[182:183]
	scratch_load_b128 v[34:37], off, off offset:848
	ds_load_b128 v[182:185], v1 offset:1696
	v_add_f64 v[54:55], v[54:55], v[56:57]
	v_add_f64 v[52:53], v[52:53], v[62:63]
	s_waitcnt vmcnt(9) lgkmcnt(1)
	v_mul_f64 v[56:57], v[2:3], v[40:41]
	v_mul_f64 v[40:41], v[4:5], v[40:41]
	v_fma_f64 v[60:61], v[232:233], v[180:181], v[60:61]
	v_fma_f64 v[62:63], v[230:231], v[180:181], -v[64:65]
	ds_load_b128 v[230:233], v1 offset:1728
	v_add_f64 v[54:55], v[54:55], v[58:59]
	v_add_f64 v[52:53], v[52:53], v[66:67]
	v_fma_f64 v[56:57], v[4:5], v[38:39], v[56:57]
	v_fma_f64 v[64:65], v[2:3], v[38:39], -v[40:41]
	ds_load_b128 v[2:5], v1 offset:1712
	s_waitcnt vmcnt(8) lgkmcnt(2)
	v_mul_f64 v[58:59], v[182:183], v[8:9]
	v_mul_f64 v[8:9], v[184:185], v[8:9]
	scratch_load_b128 v[38:41], off, off offset:880
	v_add_f64 v[54:55], v[54:55], v[60:61]
	v_add_f64 v[52:53], v[52:53], v[62:63]
	s_waitcnt vmcnt(8) lgkmcnt(0)
	v_mul_f64 v[60:61], v[2:3], v[12:13]
	v_mul_f64 v[12:13], v[4:5], v[12:13]
	v_fma_f64 v[58:59], v[184:185], v[6:7], v[58:59]
	v_fma_f64 v[62:63], v[182:183], v[6:7], -v[8:9]
	scratch_load_b128 v[6:9], off, off offset:896
	ds_load_b128 v[180:183], v1 offset:1760
	v_add_f64 v[54:55], v[54:55], v[56:57]
	v_add_f64 v[52:53], v[52:53], v[64:65]
	v_fma_f64 v[60:61], v[4:5], v[10:11], v[60:61]
	v_fma_f64 v[64:65], v[2:3], v[10:11], -v[12:13]
	ds_load_b128 v[2:5], v1 offset:1744
	s_waitcnt vmcnt(8)
	v_mul_f64 v[56:57], v[230:231], v[16:17]
	v_mul_f64 v[16:17], v[232:233], v[16:17]
	scratch_load_b128 v[10:13], off, off offset:912
	v_add_f64 v[54:55], v[54:55], v[58:59]
	v_add_f64 v[52:53], v[52:53], v[62:63]
	s_waitcnt vmcnt(8) lgkmcnt(0)
	v_mul_f64 v[58:59], v[2:3], v[20:21]
	v_mul_f64 v[20:21], v[4:5], v[20:21]
	v_fma_f64 v[56:57], v[232:233], v[14:15], v[56:57]
	v_fma_f64 v[62:63], v[230:231], v[14:15], -v[16:17]
	scratch_load_b128 v[14:17], off, off offset:928
	ds_load_b128 v[230:233], v1 offset:1792
	v_add_f64 v[54:55], v[54:55], v[60:61]
	v_add_f64 v[52:53], v[52:53], v[64:65]
	v_fma_f64 v[58:59], v[4:5], v[18:19], v[58:59]
	v_fma_f64 v[64:65], v[2:3], v[18:19], -v[20:21]
	scratch_load_b128 v[18:21], off, off offset:944
	ds_load_b128 v[2:5], v1 offset:1776
	s_waitcnt vmcnt(9)
	v_mul_f64 v[60:61], v[180:181], v[24:25]
	v_mul_f64 v[24:25], v[182:183], v[24:25]
	v_add_f64 v[54:55], v[54:55], v[56:57]
	v_add_f64 v[52:53], v[52:53], v[62:63]
	s_waitcnt vmcnt(8) lgkmcnt(0)
	v_mul_f64 v[56:57], v[2:3], v[28:29]
	v_mul_f64 v[28:29], v[4:5], v[28:29]
	v_fma_f64 v[60:61], v[182:183], v[22:23], v[60:61]
	v_fma_f64 v[22:23], v[180:181], v[22:23], -v[24:25]
	v_add_f64 v[24:25], v[52:53], v[64:65]
	v_add_f64 v[52:53], v[54:55], v[58:59]
	s_waitcnt vmcnt(7)
	v_mul_f64 v[54:55], v[230:231], v[32:33]
	v_mul_f64 v[32:33], v[232:233], v[32:33]
	v_fma_f64 v[56:57], v[4:5], v[26:27], v[56:57]
	v_fma_f64 v[26:27], v[2:3], v[26:27], -v[28:29]
	v_add_f64 v[28:29], v[24:25], v[22:23]
	v_add_f64 v[52:53], v[52:53], v[60:61]
	ds_load_b128 v[2:5], v1 offset:1808
	ds_load_b128 v[22:25], v1 offset:1824
	v_fma_f64 v[54:55], v[232:233], v[30:31], v[54:55]
	v_fma_f64 v[30:31], v[230:231], v[30:31], -v[32:33]
	s_waitcnt vmcnt(5) lgkmcnt(1)
	v_mul_f64 v[58:59], v[2:3], v[36:37]
	v_mul_f64 v[36:37], v[4:5], v[36:37]
	s_waitcnt lgkmcnt(0)
	v_mul_f64 v[32:33], v[22:23], v[203:204]
	v_add_f64 v[26:27], v[28:29], v[26:27]
	v_add_f64 v[28:29], v[52:53], v[56:57]
	v_mul_f64 v[52:53], v[24:25], v[203:204]
	v_fma_f64 v[56:57], v[4:5], v[34:35], v[58:59]
	v_fma_f64 v[34:35], v[2:3], v[34:35], -v[36:37]
	v_fma_f64 v[24:25], v[24:25], v[201:202], v[32:33]
	v_add_f64 v[30:31], v[26:27], v[30:31]
	v_add_f64 v[36:37], v[28:29], v[54:55]
	ds_load_b128 v[2:5], v1 offset:1840
	ds_load_b128 v[26:29], v1 offset:1856
	v_fma_f64 v[22:23], v[22:23], v[201:202], -v[52:53]
	s_waitcnt vmcnt(4) lgkmcnt(1)
	v_mul_f64 v[54:55], v[2:3], v[40:41]
	v_mul_f64 v[40:41], v[4:5], v[40:41]
	v_add_f64 v[30:31], v[30:31], v[34:35]
	v_add_f64 v[32:33], v[36:37], v[56:57]
	s_waitcnt vmcnt(3) lgkmcnt(0)
	v_mul_f64 v[34:35], v[26:27], v[8:9]
	v_mul_f64 v[8:9], v[28:29], v[8:9]
	v_fma_f64 v[36:37], v[4:5], v[38:39], v[54:55]
	v_fma_f64 v[38:39], v[2:3], v[38:39], -v[40:41]
	v_add_f64 v[30:31], v[30:31], v[22:23]
	v_add_f64 v[32:33], v[32:33], v[24:25]
	ds_load_b128 v[2:5], v1 offset:1872
	ds_load_b128 v[22:25], v1 offset:1888
	v_fma_f64 v[28:29], v[28:29], v[6:7], v[34:35]
	v_fma_f64 v[6:7], v[26:27], v[6:7], -v[8:9]
	s_waitcnt vmcnt(2) lgkmcnt(1)
	v_mul_f64 v[40:41], v[2:3], v[12:13]
	v_mul_f64 v[12:13], v[4:5], v[12:13]
	v_add_f64 v[8:9], v[30:31], v[38:39]
	v_add_f64 v[26:27], v[32:33], v[36:37]
	s_waitcnt vmcnt(1) lgkmcnt(0)
	v_mul_f64 v[30:31], v[22:23], v[16:17]
	v_mul_f64 v[16:17], v[24:25], v[16:17]
	v_fma_f64 v[32:33], v[4:5], v[10:11], v[40:41]
	v_fma_f64 v[10:11], v[2:3], v[10:11], -v[12:13]
	ds_load_b128 v[2:5], v1 offset:1904
	v_add_f64 v[6:7], v[8:9], v[6:7]
	v_add_f64 v[8:9], v[26:27], v[28:29]
	v_fma_f64 v[24:25], v[24:25], v[14:15], v[30:31]
	v_fma_f64 v[14:15], v[22:23], v[14:15], -v[16:17]
	s_waitcnt vmcnt(0) lgkmcnt(0)
	v_mul_f64 v[12:13], v[2:3], v[20:21]
	v_mul_f64 v[20:21], v[4:5], v[20:21]
	v_add_f64 v[6:7], v[6:7], v[10:11]
	v_add_f64 v[8:9], v[8:9], v[32:33]
	s_delay_alu instid0(VALU_DEP_4) | instskip(NEXT) | instid1(VALU_DEP_4)
	v_fma_f64 v[4:5], v[4:5], v[18:19], v[12:13]
	v_fma_f64 v[2:3], v[2:3], v[18:19], -v[20:21]
	s_delay_alu instid0(VALU_DEP_4) | instskip(NEXT) | instid1(VALU_DEP_4)
	v_add_f64 v[6:7], v[6:7], v[14:15]
	v_add_f64 v[8:9], v[8:9], v[24:25]
	s_delay_alu instid0(VALU_DEP_2) | instskip(NEXT) | instid1(VALU_DEP_2)
	v_add_f64 v[2:3], v[6:7], v[2:3]
	v_add_f64 v[4:5], v[8:9], v[4:5]
	s_delay_alu instid0(VALU_DEP_2) | instskip(NEXT) | instid1(VALU_DEP_2)
	v_add_f64 v[2:3], v[42:43], -v[2:3]
	v_add_f64 v[4:5], v[44:45], -v[4:5]
	scratch_store_b128 off, v[2:5], off offset:64
	v_cmpx_lt_u32_e32 3, v166
	s_cbranch_execz .LBB59_367
; %bb.366:
	scratch_load_b128 v[5:8], v206, off
	v_mov_b32_e32 v2, v1
	v_mov_b32_e32 v3, v1
	;; [unrolled: 1-line block ×3, first 2 shown]
	scratch_store_b128 off, v[1:4], off offset:48
	s_waitcnt vmcnt(0)
	ds_store_b128 v226, v[5:8]
.LBB59_367:
	s_or_b32 exec_lo, exec_lo, s2
	s_waitcnt lgkmcnt(0)
	s_waitcnt_vscnt null, 0x0
	s_barrier
	buffer_gl0_inv
	s_clause 0x8
	scratch_load_b128 v[2:5], off, off offset:64
	scratch_load_b128 v[6:9], off, off offset:80
	;; [unrolled: 1-line block ×9, first 2 shown]
	ds_load_b128 v[42:45], v1 offset:1024
	ds_load_b128 v[38:41], v1 offset:1040
	s_clause 0x1
	scratch_load_b128 v[180:183], off, off offset:48
	scratch_load_b128 v[201:204], off, off offset:208
	s_mov_b32 s2, exec_lo
	ds_load_b128 v[230:233], v1 offset:1072
	s_waitcnt vmcnt(10) lgkmcnt(2)
	v_mul_f64 v[52:53], v[44:45], v[4:5]
	v_mul_f64 v[4:5], v[42:43], v[4:5]
	s_waitcnt vmcnt(9) lgkmcnt(1)
	v_mul_f64 v[54:55], v[38:39], v[8:9]
	v_mul_f64 v[8:9], v[40:41], v[8:9]
	s_delay_alu instid0(VALU_DEP_4) | instskip(NEXT) | instid1(VALU_DEP_4)
	v_fma_f64 v[52:53], v[42:43], v[2:3], -v[52:53]
	v_fma_f64 v[56:57], v[44:45], v[2:3], v[4:5]
	ds_load_b128 v[2:5], v1 offset:1056
	scratch_load_b128 v[42:45], off, off offset:224
	v_fma_f64 v[40:41], v[40:41], v[6:7], v[54:55]
	v_fma_f64 v[38:39], v[38:39], v[6:7], -v[8:9]
	scratch_load_b128 v[6:9], off, off offset:240
	s_waitcnt vmcnt(10) lgkmcnt(0)
	v_mul_f64 v[58:59], v[2:3], v[12:13]
	v_mul_f64 v[12:13], v[4:5], v[12:13]
	v_add_f64 v[52:53], v[52:53], 0
	v_add_f64 v[54:55], v[56:57], 0
	s_waitcnt vmcnt(9)
	v_mul_f64 v[56:57], v[230:231], v[16:17]
	v_mul_f64 v[16:17], v[232:233], v[16:17]
	v_fma_f64 v[58:59], v[4:5], v[10:11], v[58:59]
	v_fma_f64 v[60:61], v[2:3], v[10:11], -v[12:13]
	ds_load_b128 v[2:5], v1 offset:1088
	scratch_load_b128 v[10:13], off, off offset:256
	v_add_f64 v[52:53], v[52:53], v[38:39]
	v_add_f64 v[54:55], v[54:55], v[40:41]
	ds_load_b128 v[38:41], v1 offset:1104
	v_fma_f64 v[56:57], v[232:233], v[14:15], v[56:57]
	v_fma_f64 v[64:65], v[230:231], v[14:15], -v[16:17]
	scratch_load_b128 v[14:17], off, off offset:272
	s_waitcnt vmcnt(10) lgkmcnt(1)
	v_mul_f64 v[62:63], v[2:3], v[20:21]
	v_mul_f64 v[20:21], v[4:5], v[20:21]
	ds_load_b128 v[230:233], v1 offset:1136
	v_add_f64 v[52:53], v[52:53], v[60:61]
	v_add_f64 v[54:55], v[54:55], v[58:59]
	s_waitcnt vmcnt(9) lgkmcnt(1)
	v_mul_f64 v[58:59], v[38:39], v[24:25]
	v_mul_f64 v[24:25], v[40:41], v[24:25]
	v_fma_f64 v[60:61], v[4:5], v[18:19], v[62:63]
	v_fma_f64 v[62:63], v[2:3], v[18:19], -v[20:21]
	ds_load_b128 v[2:5], v1 offset:1120
	scratch_load_b128 v[18:21], off, off offset:288
	v_add_f64 v[52:53], v[52:53], v[64:65]
	v_add_f64 v[54:55], v[54:55], v[56:57]
	s_waitcnt vmcnt(9) lgkmcnt(0)
	v_mul_f64 v[56:57], v[2:3], v[28:29]
	v_mul_f64 v[28:29], v[4:5], v[28:29]
	v_fma_f64 v[40:41], v[40:41], v[22:23], v[58:59]
	v_fma_f64 v[38:39], v[38:39], v[22:23], -v[24:25]
	scratch_load_b128 v[22:25], off, off offset:304
	s_waitcnt vmcnt(9)
	v_mul_f64 v[58:59], v[230:231], v[32:33]
	v_mul_f64 v[32:33], v[232:233], v[32:33]
	v_add_f64 v[52:53], v[52:53], v[62:63]
	v_add_f64 v[54:55], v[54:55], v[60:61]
	v_fma_f64 v[56:57], v[4:5], v[26:27], v[56:57]
	v_fma_f64 v[60:61], v[2:3], v[26:27], -v[28:29]
	ds_load_b128 v[2:5], v1 offset:1152
	scratch_load_b128 v[26:29], off, off offset:320
	v_fma_f64 v[58:59], v[232:233], v[30:31], v[58:59]
	v_fma_f64 v[64:65], v[230:231], v[30:31], -v[32:33]
	scratch_load_b128 v[30:33], off, off offset:336
	ds_load_b128 v[230:233], v1 offset:1200
	v_add_f64 v[52:53], v[52:53], v[38:39]
	v_add_f64 v[54:55], v[54:55], v[40:41]
	ds_load_b128 v[38:41], v1 offset:1168
	s_waitcnt vmcnt(10) lgkmcnt(2)
	v_mul_f64 v[62:63], v[2:3], v[36:37]
	v_mul_f64 v[36:37], v[4:5], v[36:37]
	v_add_f64 v[52:53], v[52:53], v[60:61]
	v_add_f64 v[54:55], v[54:55], v[56:57]
	s_waitcnt vmcnt(8) lgkmcnt(0)
	v_mul_f64 v[56:57], v[38:39], v[203:204]
	v_mul_f64 v[60:61], v[40:41], v[203:204]
	v_fma_f64 v[62:63], v[4:5], v[34:35], v[62:63]
	v_fma_f64 v[66:67], v[2:3], v[34:35], -v[36:37]
	ds_load_b128 v[2:5], v1 offset:1184
	scratch_load_b128 v[34:37], off, off offset:352
	v_add_f64 v[52:53], v[52:53], v[64:65]
	v_add_f64 v[54:55], v[54:55], v[58:59]
	v_fma_f64 v[56:57], v[40:41], v[201:202], v[56:57]
	v_fma_f64 v[60:61], v[38:39], v[201:202], -v[60:61]
	scratch_load_b128 v[38:41], off, off offset:368
	ds_load_b128 v[201:204], v1 offset:1232
	s_waitcnt vmcnt(9) lgkmcnt(1)
	v_mul_f64 v[58:59], v[2:3], v[44:45]
	v_mul_f64 v[44:45], v[4:5], v[44:45]
	v_add_f64 v[52:53], v[52:53], v[66:67]
	v_add_f64 v[54:55], v[54:55], v[62:63]
	s_waitcnt vmcnt(8)
	v_mul_f64 v[62:63], v[230:231], v[8:9]
	v_mul_f64 v[8:9], v[232:233], v[8:9]
	v_fma_f64 v[58:59], v[4:5], v[42:43], v[58:59]
	v_fma_f64 v[64:65], v[2:3], v[42:43], -v[44:45]
	ds_load_b128 v[2:5], v1 offset:1216
	scratch_load_b128 v[42:45], off, off offset:384
	v_add_f64 v[52:53], v[52:53], v[60:61]
	v_add_f64 v[54:55], v[54:55], v[56:57]
	v_fma_f64 v[60:61], v[232:233], v[6:7], v[62:63]
	s_waitcnt vmcnt(8) lgkmcnt(0)
	v_mul_f64 v[56:57], v[2:3], v[12:13]
	v_mul_f64 v[12:13], v[4:5], v[12:13]
	v_fma_f64 v[62:63], v[230:231], v[6:7], -v[8:9]
	scratch_load_b128 v[6:9], off, off offset:400
	ds_load_b128 v[230:233], v1 offset:1264
	v_add_f64 v[52:53], v[52:53], v[64:65]
	v_add_f64 v[54:55], v[54:55], v[58:59]
	s_waitcnt vmcnt(8)
	v_mul_f64 v[58:59], v[201:202], v[16:17]
	v_mul_f64 v[16:17], v[203:204], v[16:17]
	v_fma_f64 v[56:57], v[4:5], v[10:11], v[56:57]
	v_fma_f64 v[64:65], v[2:3], v[10:11], -v[12:13]
	ds_load_b128 v[2:5], v1 offset:1248
	scratch_load_b128 v[10:13], off, off offset:416
	v_add_f64 v[52:53], v[52:53], v[62:63]
	v_add_f64 v[54:55], v[54:55], v[60:61]
	s_waitcnt vmcnt(8) lgkmcnt(0)
	v_mul_f64 v[60:61], v[2:3], v[20:21]
	v_mul_f64 v[20:21], v[4:5], v[20:21]
	v_fma_f64 v[58:59], v[203:204], v[14:15], v[58:59]
	v_fma_f64 v[62:63], v[201:202], v[14:15], -v[16:17]
	scratch_load_b128 v[14:17], off, off offset:432
	ds_load_b128 v[201:204], v1 offset:1296
	v_add_f64 v[52:53], v[52:53], v[64:65]
	v_add_f64 v[54:55], v[54:55], v[56:57]
	s_waitcnt vmcnt(8)
	v_mul_f64 v[56:57], v[230:231], v[24:25]
	v_mul_f64 v[24:25], v[232:233], v[24:25]
	v_fma_f64 v[60:61], v[4:5], v[18:19], v[60:61]
	v_fma_f64 v[64:65], v[2:3], v[18:19], -v[20:21]
	ds_load_b128 v[2:5], v1 offset:1280
	scratch_load_b128 v[18:21], off, off offset:448
	v_add_f64 v[52:53], v[52:53], v[62:63]
	v_add_f64 v[54:55], v[54:55], v[58:59]
	s_waitcnt vmcnt(8) lgkmcnt(0)
	v_mul_f64 v[58:59], v[2:3], v[28:29]
	v_mul_f64 v[28:29], v[4:5], v[28:29]
	v_fma_f64 v[56:57], v[232:233], v[22:23], v[56:57]
	;; [unrolled: 18-line block ×17, first 2 shown]
	v_fma_f64 v[62:63], v[201:202], v[22:23], -v[24:25]
	scratch_load_b128 v[22:25], off, off offset:944
	v_add_f64 v[52:53], v[52:53], v[64:65]
	v_add_f64 v[54:55], v[54:55], v[60:61]
	s_waitcnt vmcnt(8)
	v_mul_f64 v[60:61], v[230:231], v[32:33]
	v_mul_f64 v[32:33], v[232:233], v[32:33]
	v_fma_f64 v[58:59], v[4:5], v[26:27], v[58:59]
	v_fma_f64 v[64:65], v[2:3], v[26:27], -v[28:29]
	ds_load_b128 v[2:5], v1 offset:1792
	ds_load_b128 v[26:29], v1 offset:1808
	v_add_f64 v[52:53], v[52:53], v[62:63]
	v_add_f64 v[54:55], v[54:55], v[56:57]
	s_waitcnt vmcnt(7) lgkmcnt(1)
	v_mul_f64 v[56:57], v[2:3], v[36:37]
	v_mul_f64 v[36:37], v[4:5], v[36:37]
	v_fma_f64 v[60:61], v[232:233], v[30:31], v[60:61]
	v_fma_f64 v[30:31], v[230:231], v[30:31], -v[32:33]
	v_add_f64 v[32:33], v[52:53], v[64:65]
	v_add_f64 v[52:53], v[54:55], v[58:59]
	s_waitcnt vmcnt(6) lgkmcnt(0)
	v_mul_f64 v[54:55], v[26:27], v[40:41]
	v_mul_f64 v[40:41], v[28:29], v[40:41]
	v_fma_f64 v[56:57], v[4:5], v[34:35], v[56:57]
	v_fma_f64 v[34:35], v[2:3], v[34:35], -v[36:37]
	v_add_f64 v[36:37], v[32:33], v[30:31]
	v_add_f64 v[52:53], v[52:53], v[60:61]
	ds_load_b128 v[2:5], v1 offset:1824
	ds_load_b128 v[30:33], v1 offset:1840
	v_fma_f64 v[28:29], v[28:29], v[38:39], v[54:55]
	v_fma_f64 v[26:27], v[26:27], v[38:39], -v[40:41]
	s_waitcnt vmcnt(5) lgkmcnt(1)
	v_mul_f64 v[58:59], v[2:3], v[44:45]
	v_mul_f64 v[44:45], v[4:5], v[44:45]
	s_waitcnt vmcnt(4) lgkmcnt(0)
	v_mul_f64 v[38:39], v[30:31], v[8:9]
	v_mul_f64 v[8:9], v[32:33], v[8:9]
	v_add_f64 v[34:35], v[36:37], v[34:35]
	v_add_f64 v[36:37], v[52:53], v[56:57]
	v_fma_f64 v[40:41], v[4:5], v[42:43], v[58:59]
	v_fma_f64 v[42:43], v[2:3], v[42:43], -v[44:45]
	v_fma_f64 v[32:33], v[32:33], v[6:7], v[38:39]
	v_fma_f64 v[6:7], v[30:31], v[6:7], -v[8:9]
	v_add_f64 v[34:35], v[34:35], v[26:27]
	v_add_f64 v[36:37], v[36:37], v[28:29]
	ds_load_b128 v[2:5], v1 offset:1856
	ds_load_b128 v[26:29], v1 offset:1872
	s_waitcnt vmcnt(3) lgkmcnt(1)
	v_mul_f64 v[44:45], v[2:3], v[12:13]
	v_mul_f64 v[12:13], v[4:5], v[12:13]
	v_add_f64 v[8:9], v[34:35], v[42:43]
	v_add_f64 v[30:31], v[36:37], v[40:41]
	s_waitcnt vmcnt(2) lgkmcnt(0)
	v_mul_f64 v[34:35], v[26:27], v[16:17]
	v_mul_f64 v[16:17], v[28:29], v[16:17]
	v_fma_f64 v[36:37], v[4:5], v[10:11], v[44:45]
	v_fma_f64 v[10:11], v[2:3], v[10:11], -v[12:13]
	v_add_f64 v[12:13], v[8:9], v[6:7]
	v_add_f64 v[30:31], v[30:31], v[32:33]
	ds_load_b128 v[2:5], v1 offset:1888
	ds_load_b128 v[6:9], v1 offset:1904
	v_fma_f64 v[28:29], v[28:29], v[14:15], v[34:35]
	v_fma_f64 v[14:15], v[26:27], v[14:15], -v[16:17]
	s_waitcnt vmcnt(1) lgkmcnt(1)
	v_mul_f64 v[32:33], v[2:3], v[20:21]
	v_mul_f64 v[20:21], v[4:5], v[20:21]
	s_waitcnt vmcnt(0) lgkmcnt(0)
	v_mul_f64 v[16:17], v[6:7], v[24:25]
	v_mul_f64 v[24:25], v[8:9], v[24:25]
	v_add_f64 v[10:11], v[12:13], v[10:11]
	v_add_f64 v[12:13], v[30:31], v[36:37]
	v_fma_f64 v[4:5], v[4:5], v[18:19], v[32:33]
	v_fma_f64 v[1:2], v[2:3], v[18:19], -v[20:21]
	v_fma_f64 v[8:9], v[8:9], v[22:23], v[16:17]
	v_fma_f64 v[6:7], v[6:7], v[22:23], -v[24:25]
	v_add_f64 v[10:11], v[10:11], v[14:15]
	v_add_f64 v[12:13], v[12:13], v[28:29]
	s_delay_alu instid0(VALU_DEP_2) | instskip(NEXT) | instid1(VALU_DEP_2)
	v_add_f64 v[1:2], v[10:11], v[1:2]
	v_add_f64 v[3:4], v[12:13], v[4:5]
	s_delay_alu instid0(VALU_DEP_2) | instskip(NEXT) | instid1(VALU_DEP_2)
	;; [unrolled: 3-line block ×3, first 2 shown]
	v_add_f64 v[1:2], v[180:181], -v[1:2]
	v_add_f64 v[3:4], v[182:183], -v[3:4]
	scratch_store_b128 off, v[1:4], off offset:48
	v_cmpx_lt_u32_e32 2, v166
	s_cbranch_execz .LBB59_369
; %bb.368:
	scratch_load_b128 v[1:4], v200, off
	v_mov_b32_e32 v5, 0
	s_delay_alu instid0(VALU_DEP_1)
	v_mov_b32_e32 v6, v5
	v_mov_b32_e32 v7, v5
	;; [unrolled: 1-line block ×3, first 2 shown]
	scratch_store_b128 off, v[5:8], off offset:32
	s_waitcnt vmcnt(0)
	ds_store_b128 v226, v[1:4]
.LBB59_369:
	s_or_b32 exec_lo, exec_lo, s2
	s_waitcnt lgkmcnt(0)
	s_waitcnt_vscnt null, 0x0
	s_barrier
	buffer_gl0_inv
	s_clause 0x7
	scratch_load_b128 v[2:5], off, off offset:48
	scratch_load_b128 v[6:9], off, off offset:64
	;; [unrolled: 1-line block ×8, first 2 shown]
	v_mov_b32_e32 v1, 0
	s_mov_b32 s2, exec_lo
	ds_load_b128 v[38:41], v1 offset:1008
	s_clause 0x1
	scratch_load_b128 v[34:37], off, off offset:176
	scratch_load_b128 v[42:45], off, off offset:32
	ds_load_b128 v[180:183], v1 offset:1024
	scratch_load_b128 v[201:204], off, off offset:192
	ds_load_b128 v[230:233], v1 offset:1056
	s_waitcnt vmcnt(10) lgkmcnt(2)
	v_mul_f64 v[52:53], v[40:41], v[4:5]
	v_mul_f64 v[4:5], v[38:39], v[4:5]
	s_delay_alu instid0(VALU_DEP_2) | instskip(NEXT) | instid1(VALU_DEP_2)
	v_fma_f64 v[52:53], v[38:39], v[2:3], -v[52:53]
	v_fma_f64 v[56:57], v[40:41], v[2:3], v[4:5]
	ds_load_b128 v[2:5], v1 offset:1040
	s_waitcnt vmcnt(9) lgkmcnt(2)
	v_mul_f64 v[54:55], v[180:181], v[8:9]
	v_mul_f64 v[8:9], v[182:183], v[8:9]
	scratch_load_b128 v[38:41], off, off offset:208
	s_waitcnt vmcnt(9) lgkmcnt(0)
	v_mul_f64 v[58:59], v[2:3], v[12:13]
	v_mul_f64 v[12:13], v[4:5], v[12:13]
	v_add_f64 v[52:53], v[52:53], 0
	v_add_f64 v[56:57], v[56:57], 0
	v_fma_f64 v[54:55], v[182:183], v[6:7], v[54:55]
	v_fma_f64 v[60:61], v[180:181], v[6:7], -v[8:9]
	scratch_load_b128 v[6:9], off, off offset:224
	ds_load_b128 v[180:183], v1 offset:1088
	v_fma_f64 v[58:59], v[4:5], v[10:11], v[58:59]
	v_fma_f64 v[64:65], v[2:3], v[10:11], -v[12:13]
	ds_load_b128 v[2:5], v1 offset:1072
	s_waitcnt vmcnt(9)
	v_mul_f64 v[62:63], v[230:231], v[16:17]
	v_mul_f64 v[16:17], v[232:233], v[16:17]
	scratch_load_b128 v[10:13], off, off offset:240
	v_add_f64 v[54:55], v[56:57], v[54:55]
	v_add_f64 v[52:53], v[52:53], v[60:61]
	s_waitcnt vmcnt(9) lgkmcnt(0)
	v_mul_f64 v[56:57], v[2:3], v[20:21]
	v_mul_f64 v[20:21], v[4:5], v[20:21]
	v_fma_f64 v[60:61], v[232:233], v[14:15], v[62:63]
	v_fma_f64 v[62:63], v[230:231], v[14:15], -v[16:17]
	scratch_load_b128 v[14:17], off, off offset:256
	ds_load_b128 v[230:233], v1 offset:1120
	v_add_f64 v[54:55], v[54:55], v[58:59]
	v_add_f64 v[52:53], v[52:53], v[64:65]
	v_fma_f64 v[56:57], v[4:5], v[18:19], v[56:57]
	v_fma_f64 v[64:65], v[2:3], v[18:19], -v[20:21]
	ds_load_b128 v[2:5], v1 offset:1104
	s_waitcnt vmcnt(9)
	v_mul_f64 v[58:59], v[180:181], v[24:25]
	v_mul_f64 v[24:25], v[182:183], v[24:25]
	scratch_load_b128 v[18:21], off, off offset:272
	v_add_f64 v[54:55], v[54:55], v[60:61]
	v_add_f64 v[52:53], v[52:53], v[62:63]
	s_waitcnt vmcnt(9) lgkmcnt(0)
	v_mul_f64 v[60:61], v[2:3], v[28:29]
	v_mul_f64 v[28:29], v[4:5], v[28:29]
	v_fma_f64 v[58:59], v[182:183], v[22:23], v[58:59]
	v_fma_f64 v[62:63], v[180:181], v[22:23], -v[24:25]
	scratch_load_b128 v[22:25], off, off offset:288
	ds_load_b128 v[180:183], v1 offset:1152
	v_add_f64 v[54:55], v[54:55], v[56:57]
	v_add_f64 v[52:53], v[52:53], v[64:65]
	;; [unrolled: 18-line block ×3, first 2 shown]
	v_fma_f64 v[58:59], v[4:5], v[34:35], v[58:59]
	v_fma_f64 v[66:67], v[2:3], v[34:35], -v[36:37]
	ds_load_b128 v[2:5], v1 offset:1168
	s_waitcnt vmcnt(8)
	v_mul_f64 v[60:61], v[180:181], v[203:204]
	v_mul_f64 v[64:65], v[182:183], v[203:204]
	scratch_load_b128 v[34:37], off, off offset:336
	v_add_f64 v[54:55], v[54:55], v[56:57]
	v_add_f64 v[52:53], v[52:53], v[62:63]
	v_fma_f64 v[60:61], v[182:183], v[201:202], v[60:61]
	v_fma_f64 v[62:63], v[180:181], v[201:202], -v[64:65]
	scratch_load_b128 v[180:183], off, off offset:352
	ds_load_b128 v[201:204], v1 offset:1216
	s_waitcnt vmcnt(9) lgkmcnt(1)
	v_mul_f64 v[56:57], v[2:3], v[40:41]
	v_mul_f64 v[40:41], v[4:5], v[40:41]
	v_add_f64 v[54:55], v[54:55], v[58:59]
	v_add_f64 v[52:53], v[52:53], v[66:67]
	s_delay_alu instid0(VALU_DEP_4) | instskip(NEXT) | instid1(VALU_DEP_4)
	v_fma_f64 v[56:57], v[4:5], v[38:39], v[56:57]
	v_fma_f64 v[64:65], v[2:3], v[38:39], -v[40:41]
	ds_load_b128 v[2:5], v1 offset:1200
	s_waitcnt vmcnt(8)
	v_mul_f64 v[58:59], v[230:231], v[8:9]
	v_mul_f64 v[8:9], v[232:233], v[8:9]
	scratch_load_b128 v[38:41], off, off offset:368
	v_add_f64 v[54:55], v[54:55], v[60:61]
	v_add_f64 v[52:53], v[52:53], v[62:63]
	s_waitcnt vmcnt(8) lgkmcnt(0)
	v_mul_f64 v[60:61], v[2:3], v[12:13]
	v_mul_f64 v[12:13], v[4:5], v[12:13]
	v_fma_f64 v[58:59], v[232:233], v[6:7], v[58:59]
	v_fma_f64 v[62:63], v[230:231], v[6:7], -v[8:9]
	scratch_load_b128 v[6:9], off, off offset:384
	ds_load_b128 v[230:233], v1 offset:1248
	v_add_f64 v[54:55], v[54:55], v[56:57]
	v_add_f64 v[52:53], v[52:53], v[64:65]
	v_fma_f64 v[60:61], v[4:5], v[10:11], v[60:61]
	v_fma_f64 v[64:65], v[2:3], v[10:11], -v[12:13]
	ds_load_b128 v[2:5], v1 offset:1232
	s_waitcnt vmcnt(8)
	v_mul_f64 v[56:57], v[201:202], v[16:17]
	v_mul_f64 v[16:17], v[203:204], v[16:17]
	scratch_load_b128 v[10:13], off, off offset:400
	v_add_f64 v[54:55], v[54:55], v[58:59]
	v_add_f64 v[52:53], v[52:53], v[62:63]
	s_waitcnt vmcnt(8) lgkmcnt(0)
	v_mul_f64 v[58:59], v[2:3], v[20:21]
	v_mul_f64 v[20:21], v[4:5], v[20:21]
	v_fma_f64 v[56:57], v[203:204], v[14:15], v[56:57]
	v_fma_f64 v[62:63], v[201:202], v[14:15], -v[16:17]
	scratch_load_b128 v[14:17], off, off offset:416
	ds_load_b128 v[201:204], v1 offset:1280
	v_add_f64 v[54:55], v[54:55], v[60:61]
	v_add_f64 v[52:53], v[52:53], v[64:65]
	;; [unrolled: 18-line block ×3, first 2 shown]
	v_fma_f64 v[56:57], v[4:5], v[26:27], v[56:57]
	v_fma_f64 v[64:65], v[2:3], v[26:27], -v[28:29]
	ds_load_b128 v[2:5], v1 offset:1296
	s_waitcnt vmcnt(8)
	v_mul_f64 v[58:59], v[201:202], v[32:33]
	v_mul_f64 v[32:33], v[203:204], v[32:33]
	scratch_load_b128 v[26:29], off, off offset:464
	v_add_f64 v[54:55], v[54:55], v[60:61]
	v_add_f64 v[52:53], v[52:53], v[62:63]
	s_waitcnt vmcnt(8) lgkmcnt(0)
	v_mul_f64 v[60:61], v[2:3], v[36:37]
	v_mul_f64 v[36:37], v[4:5], v[36:37]
	v_fma_f64 v[58:59], v[203:204], v[30:31], v[58:59]
	v_fma_f64 v[62:63], v[201:202], v[30:31], -v[32:33]
	s_clause 0x1
	scratch_load_b128 v[30:33], off, off offset:480
	scratch_load_b128 v[201:204], off, off offset:512
	v_add_f64 v[54:55], v[54:55], v[56:57]
	v_add_f64 v[52:53], v[52:53], v[64:65]
	v_fma_f64 v[60:61], v[4:5], v[34:35], v[60:61]
	v_fma_f64 v[66:67], v[2:3], v[34:35], -v[36:37]
	ds_load_b128 v[2:5], v1 offset:1328
	s_waitcnt vmcnt(9)
	v_mul_f64 v[56:57], v[230:231], v[182:183]
	v_mul_f64 v[64:65], v[232:233], v[182:183]
	scratch_load_b128 v[34:37], off, off offset:496
	ds_load_b128 v[182:185], v1 offset:1344
	v_add_f64 v[54:55], v[54:55], v[58:59]
	v_add_f64 v[52:53], v[52:53], v[62:63]
	s_waitcnt vmcnt(9) lgkmcnt(1)
	v_mul_f64 v[58:59], v[2:3], v[40:41]
	v_mul_f64 v[40:41], v[4:5], v[40:41]
	v_fma_f64 v[56:57], v[232:233], v[180:181], v[56:57]
	v_fma_f64 v[62:63], v[230:231], v[180:181], -v[64:65]
	ds_load_b128 v[230:233], v1 offset:1376
	v_add_f64 v[54:55], v[54:55], v[60:61]
	v_add_f64 v[52:53], v[52:53], v[66:67]
	v_fma_f64 v[58:59], v[4:5], v[38:39], v[58:59]
	v_fma_f64 v[64:65], v[2:3], v[38:39], -v[40:41]
	ds_load_b128 v[2:5], v1 offset:1360
	s_waitcnt vmcnt(8) lgkmcnt(2)
	v_mul_f64 v[60:61], v[182:183], v[8:9]
	v_mul_f64 v[8:9], v[184:185], v[8:9]
	scratch_load_b128 v[38:41], off, off offset:528
	v_add_f64 v[54:55], v[54:55], v[56:57]
	v_add_f64 v[52:53], v[52:53], v[62:63]
	s_waitcnt vmcnt(8) lgkmcnt(0)
	v_mul_f64 v[56:57], v[2:3], v[12:13]
	v_mul_f64 v[12:13], v[4:5], v[12:13]
	v_fma_f64 v[60:61], v[184:185], v[6:7], v[60:61]
	v_fma_f64 v[62:63], v[182:183], v[6:7], -v[8:9]
	scratch_load_b128 v[6:9], off, off offset:544
	ds_load_b128 v[180:183], v1 offset:1408
	v_add_f64 v[54:55], v[54:55], v[58:59]
	v_add_f64 v[52:53], v[52:53], v[64:65]
	v_fma_f64 v[56:57], v[4:5], v[10:11], v[56:57]
	v_fma_f64 v[64:65], v[2:3], v[10:11], -v[12:13]
	ds_load_b128 v[2:5], v1 offset:1392
	s_waitcnt vmcnt(8)
	v_mul_f64 v[58:59], v[230:231], v[16:17]
	v_mul_f64 v[16:17], v[232:233], v[16:17]
	scratch_load_b128 v[10:13], off, off offset:560
	v_add_f64 v[54:55], v[54:55], v[60:61]
	v_add_f64 v[52:53], v[52:53], v[62:63]
	s_waitcnt vmcnt(8) lgkmcnt(0)
	v_mul_f64 v[60:61], v[2:3], v[20:21]
	v_mul_f64 v[20:21], v[4:5], v[20:21]
	v_fma_f64 v[58:59], v[232:233], v[14:15], v[58:59]
	v_fma_f64 v[62:63], v[230:231], v[14:15], -v[16:17]
	scratch_load_b128 v[14:17], off, off offset:576
	ds_load_b128 v[230:233], v1 offset:1440
	v_add_f64 v[54:55], v[54:55], v[56:57]
	v_add_f64 v[52:53], v[52:53], v[64:65]
	v_fma_f64 v[60:61], v[4:5], v[18:19], v[60:61]
	v_fma_f64 v[64:65], v[2:3], v[18:19], -v[20:21]
	ds_load_b128 v[2:5], v1 offset:1424
	s_waitcnt vmcnt(8)
	;; [unrolled: 18-line block ×3, first 2 shown]
	v_mul_f64 v[60:61], v[230:231], v[32:33]
	v_mul_f64 v[32:33], v[232:233], v[32:33]
	scratch_load_b128 v[26:29], off, off offset:624
	v_add_f64 v[54:55], v[54:55], v[56:57]
	v_add_f64 v[52:53], v[52:53], v[62:63]
	s_waitcnt vmcnt(7) lgkmcnt(0)
	v_mul_f64 v[56:57], v[2:3], v[36:37]
	v_mul_f64 v[36:37], v[4:5], v[36:37]
	v_fma_f64 v[60:61], v[232:233], v[30:31], v[60:61]
	v_fma_f64 v[62:63], v[230:231], v[30:31], -v[32:33]
	scratch_load_b128 v[30:33], off, off offset:640
	ds_load_b128 v[230:233], v1 offset:1504
	v_add_f64 v[54:55], v[54:55], v[58:59]
	v_add_f64 v[52:53], v[52:53], v[64:65]
	v_fma_f64 v[56:57], v[4:5], v[34:35], v[56:57]
	v_fma_f64 v[66:67], v[2:3], v[34:35], -v[36:37]
	ds_load_b128 v[2:5], v1 offset:1488
	v_mul_f64 v[58:59], v[180:181], v[203:204]
	v_mul_f64 v[64:65], v[182:183], v[203:204]
	scratch_load_b128 v[34:37], off, off offset:656
	v_add_f64 v[54:55], v[54:55], v[60:61]
	v_add_f64 v[52:53], v[52:53], v[62:63]
	s_waitcnt vmcnt(8) lgkmcnt(0)
	v_mul_f64 v[60:61], v[2:3], v[40:41]
	v_mul_f64 v[40:41], v[4:5], v[40:41]
	v_fma_f64 v[58:59], v[182:183], v[201:202], v[58:59]
	v_fma_f64 v[62:63], v[180:181], v[201:202], -v[64:65]
	scratch_load_b128 v[180:183], off, off offset:672
	ds_load_b128 v[201:204], v1 offset:1536
	v_add_f64 v[54:55], v[54:55], v[56:57]
	v_add_f64 v[52:53], v[52:53], v[66:67]
	v_fma_f64 v[60:61], v[4:5], v[38:39], v[60:61]
	v_fma_f64 v[64:65], v[2:3], v[38:39], -v[40:41]
	ds_load_b128 v[2:5], v1 offset:1520
	s_waitcnt vmcnt(8)
	v_mul_f64 v[56:57], v[230:231], v[8:9]
	v_mul_f64 v[8:9], v[232:233], v[8:9]
	scratch_load_b128 v[38:41], off, off offset:688
	v_add_f64 v[54:55], v[54:55], v[58:59]
	v_add_f64 v[52:53], v[52:53], v[62:63]
	s_waitcnt vmcnt(8) lgkmcnt(0)
	v_mul_f64 v[58:59], v[2:3], v[12:13]
	v_mul_f64 v[12:13], v[4:5], v[12:13]
	v_fma_f64 v[56:57], v[232:233], v[6:7], v[56:57]
	v_fma_f64 v[62:63], v[230:231], v[6:7], -v[8:9]
	scratch_load_b128 v[6:9], off, off offset:704
	ds_load_b128 v[230:233], v1 offset:1568
	v_add_f64 v[54:55], v[54:55], v[60:61]
	v_add_f64 v[52:53], v[52:53], v[64:65]
	v_fma_f64 v[58:59], v[4:5], v[10:11], v[58:59]
	v_fma_f64 v[64:65], v[2:3], v[10:11], -v[12:13]
	ds_load_b128 v[2:5], v1 offset:1552
	s_waitcnt vmcnt(8)
	;; [unrolled: 18-line block ×4, first 2 shown]
	v_mul_f64 v[56:57], v[201:202], v[32:33]
	v_mul_f64 v[32:33], v[203:204], v[32:33]
	scratch_load_b128 v[26:29], off, off offset:784
	v_add_f64 v[54:55], v[54:55], v[58:59]
	v_add_f64 v[52:53], v[52:53], v[62:63]
	s_waitcnt vmcnt(8) lgkmcnt(0)
	v_mul_f64 v[58:59], v[2:3], v[36:37]
	v_mul_f64 v[36:37], v[4:5], v[36:37]
	v_fma_f64 v[56:57], v[203:204], v[30:31], v[56:57]
	v_fma_f64 v[62:63], v[201:202], v[30:31], -v[32:33]
	s_clause 0x1
	scratch_load_b128 v[30:33], off, off offset:800
	scratch_load_b128 v[201:204], off, off offset:832
	v_add_f64 v[54:55], v[54:55], v[60:61]
	v_add_f64 v[52:53], v[52:53], v[64:65]
	v_fma_f64 v[58:59], v[4:5], v[34:35], v[58:59]
	v_fma_f64 v[66:67], v[2:3], v[34:35], -v[36:37]
	ds_load_b128 v[2:5], v1 offset:1648
	s_waitcnt vmcnt(9)
	v_mul_f64 v[60:61], v[230:231], v[182:183]
	v_mul_f64 v[64:65], v[232:233], v[182:183]
	scratch_load_b128 v[34:37], off, off offset:816
	ds_load_b128 v[182:185], v1 offset:1664
	v_add_f64 v[54:55], v[54:55], v[56:57]
	v_add_f64 v[52:53], v[52:53], v[62:63]
	s_waitcnt vmcnt(9) lgkmcnt(1)
	v_mul_f64 v[56:57], v[2:3], v[40:41]
	v_mul_f64 v[40:41], v[4:5], v[40:41]
	v_fma_f64 v[60:61], v[232:233], v[180:181], v[60:61]
	v_fma_f64 v[62:63], v[230:231], v[180:181], -v[64:65]
	ds_load_b128 v[230:233], v1 offset:1696
	v_add_f64 v[54:55], v[54:55], v[58:59]
	v_add_f64 v[52:53], v[52:53], v[66:67]
	v_fma_f64 v[56:57], v[4:5], v[38:39], v[56:57]
	v_fma_f64 v[64:65], v[2:3], v[38:39], -v[40:41]
	ds_load_b128 v[2:5], v1 offset:1680
	s_waitcnt vmcnt(8) lgkmcnt(2)
	v_mul_f64 v[58:59], v[182:183], v[8:9]
	v_mul_f64 v[8:9], v[184:185], v[8:9]
	scratch_load_b128 v[38:41], off, off offset:848
	v_add_f64 v[54:55], v[54:55], v[60:61]
	v_add_f64 v[52:53], v[52:53], v[62:63]
	s_waitcnt vmcnt(8) lgkmcnt(0)
	v_mul_f64 v[60:61], v[2:3], v[12:13]
	v_mul_f64 v[12:13], v[4:5], v[12:13]
	v_fma_f64 v[58:59], v[184:185], v[6:7], v[58:59]
	v_fma_f64 v[62:63], v[182:183], v[6:7], -v[8:9]
	scratch_load_b128 v[6:9], off, off offset:864
	ds_load_b128 v[180:183], v1 offset:1728
	v_add_f64 v[54:55], v[54:55], v[56:57]
	v_add_f64 v[52:53], v[52:53], v[64:65]
	v_fma_f64 v[60:61], v[4:5], v[10:11], v[60:61]
	v_fma_f64 v[64:65], v[2:3], v[10:11], -v[12:13]
	ds_load_b128 v[2:5], v1 offset:1712
	s_waitcnt vmcnt(8)
	v_mul_f64 v[56:57], v[230:231], v[16:17]
	v_mul_f64 v[16:17], v[232:233], v[16:17]
	scratch_load_b128 v[10:13], off, off offset:880
	v_add_f64 v[54:55], v[54:55], v[58:59]
	v_add_f64 v[52:53], v[52:53], v[62:63]
	s_waitcnt vmcnt(8) lgkmcnt(0)
	v_mul_f64 v[58:59], v[2:3], v[20:21]
	v_mul_f64 v[20:21], v[4:5], v[20:21]
	v_fma_f64 v[56:57], v[232:233], v[14:15], v[56:57]
	v_fma_f64 v[62:63], v[230:231], v[14:15], -v[16:17]
	scratch_load_b128 v[14:17], off, off offset:896
	ds_load_b128 v[230:233], v1 offset:1760
	v_add_f64 v[54:55], v[54:55], v[60:61]
	v_add_f64 v[52:53], v[52:53], v[64:65]
	v_fma_f64 v[58:59], v[4:5], v[18:19], v[58:59]
	v_fma_f64 v[64:65], v[2:3], v[18:19], -v[20:21]
	ds_load_b128 v[2:5], v1 offset:1744
	s_waitcnt vmcnt(8)
	v_mul_f64 v[60:61], v[180:181], v[24:25]
	v_mul_f64 v[24:25], v[182:183], v[24:25]
	scratch_load_b128 v[18:21], off, off offset:912
	v_add_f64 v[54:55], v[54:55], v[56:57]
	v_add_f64 v[52:53], v[52:53], v[62:63]
	s_waitcnt vmcnt(8) lgkmcnt(0)
	v_mul_f64 v[56:57], v[2:3], v[28:29]
	v_mul_f64 v[28:29], v[4:5], v[28:29]
	v_fma_f64 v[60:61], v[182:183], v[22:23], v[60:61]
	v_fma_f64 v[62:63], v[180:181], v[22:23], -v[24:25]
	scratch_load_b128 v[22:25], off, off offset:928
	ds_load_b128 v[180:183], v1 offset:1792
	v_add_f64 v[54:55], v[54:55], v[58:59]
	v_add_f64 v[52:53], v[52:53], v[64:65]
	v_fma_f64 v[56:57], v[4:5], v[26:27], v[56:57]
	v_fma_f64 v[64:65], v[2:3], v[26:27], -v[28:29]
	scratch_load_b128 v[26:29], off, off offset:944
	ds_load_b128 v[2:5], v1 offset:1776
	s_waitcnt vmcnt(9)
	v_mul_f64 v[58:59], v[230:231], v[32:33]
	v_mul_f64 v[32:33], v[232:233], v[32:33]
	v_add_f64 v[54:55], v[54:55], v[60:61]
	v_add_f64 v[52:53], v[52:53], v[62:63]
	s_waitcnt vmcnt(7) lgkmcnt(0)
	v_mul_f64 v[60:61], v[2:3], v[36:37]
	v_mul_f64 v[36:37], v[4:5], v[36:37]
	v_fma_f64 v[58:59], v[232:233], v[30:31], v[58:59]
	v_fma_f64 v[30:31], v[230:231], v[30:31], -v[32:33]
	v_add_f64 v[32:33], v[52:53], v[64:65]
	v_add_f64 v[52:53], v[54:55], v[56:57]
	v_mul_f64 v[54:55], v[180:181], v[203:204]
	v_mul_f64 v[56:57], v[182:183], v[203:204]
	v_fma_f64 v[60:61], v[4:5], v[34:35], v[60:61]
	v_fma_f64 v[34:35], v[2:3], v[34:35], -v[36:37]
	v_add_f64 v[36:37], v[32:33], v[30:31]
	v_add_f64 v[52:53], v[52:53], v[58:59]
	ds_load_b128 v[2:5], v1 offset:1808
	ds_load_b128 v[30:33], v1 offset:1824
	v_fma_f64 v[54:55], v[182:183], v[201:202], v[54:55]
	v_fma_f64 v[56:57], v[180:181], v[201:202], -v[56:57]
	s_waitcnt vmcnt(6) lgkmcnt(1)
	v_mul_f64 v[58:59], v[2:3], v[40:41]
	v_mul_f64 v[40:41], v[4:5], v[40:41]
	v_add_f64 v[34:35], v[36:37], v[34:35]
	v_add_f64 v[36:37], v[52:53], v[60:61]
	s_waitcnt vmcnt(5) lgkmcnt(0)
	v_mul_f64 v[52:53], v[30:31], v[8:9]
	v_mul_f64 v[8:9], v[32:33], v[8:9]
	v_fma_f64 v[58:59], v[4:5], v[38:39], v[58:59]
	v_fma_f64 v[38:39], v[2:3], v[38:39], -v[40:41]
	v_add_f64 v[40:41], v[34:35], v[56:57]
	v_add_f64 v[54:55], v[36:37], v[54:55]
	ds_load_b128 v[2:5], v1 offset:1840
	ds_load_b128 v[34:37], v1 offset:1856
	v_fma_f64 v[32:33], v[32:33], v[6:7], v[52:53]
	v_fma_f64 v[6:7], v[30:31], v[6:7], -v[8:9]
	s_waitcnt vmcnt(4) lgkmcnt(1)
	v_mul_f64 v[56:57], v[2:3], v[12:13]
	v_mul_f64 v[12:13], v[4:5], v[12:13]
	v_add_f64 v[8:9], v[40:41], v[38:39]
	v_add_f64 v[30:31], v[54:55], v[58:59]
	s_waitcnt vmcnt(3) lgkmcnt(0)
	v_mul_f64 v[38:39], v[34:35], v[16:17]
	v_mul_f64 v[16:17], v[36:37], v[16:17]
	v_fma_f64 v[40:41], v[4:5], v[10:11], v[56:57]
	v_fma_f64 v[10:11], v[2:3], v[10:11], -v[12:13]
	v_add_f64 v[12:13], v[8:9], v[6:7]
	v_add_f64 v[30:31], v[30:31], v[32:33]
	ds_load_b128 v[2:5], v1 offset:1872
	ds_load_b128 v[6:9], v1 offset:1888
	v_fma_f64 v[36:37], v[36:37], v[14:15], v[38:39]
	v_fma_f64 v[14:15], v[34:35], v[14:15], -v[16:17]
	s_waitcnt vmcnt(2) lgkmcnt(1)
	v_mul_f64 v[32:33], v[2:3], v[20:21]
	v_mul_f64 v[20:21], v[4:5], v[20:21]
	s_waitcnt vmcnt(1) lgkmcnt(0)
	v_mul_f64 v[16:17], v[6:7], v[24:25]
	v_mul_f64 v[24:25], v[8:9], v[24:25]
	v_add_f64 v[10:11], v[12:13], v[10:11]
	v_add_f64 v[12:13], v[30:31], v[40:41]
	v_fma_f64 v[30:31], v[4:5], v[18:19], v[32:33]
	v_fma_f64 v[18:19], v[2:3], v[18:19], -v[20:21]
	ds_load_b128 v[2:5], v1 offset:1904
	v_fma_f64 v[8:9], v[8:9], v[22:23], v[16:17]
	v_fma_f64 v[6:7], v[6:7], v[22:23], -v[24:25]
	v_add_f64 v[10:11], v[10:11], v[14:15]
	v_add_f64 v[12:13], v[12:13], v[36:37]
	s_waitcnt vmcnt(0) lgkmcnt(0)
	v_mul_f64 v[14:15], v[2:3], v[28:29]
	v_mul_f64 v[20:21], v[4:5], v[28:29]
	s_delay_alu instid0(VALU_DEP_4) | instskip(NEXT) | instid1(VALU_DEP_4)
	v_add_f64 v[10:11], v[10:11], v[18:19]
	v_add_f64 v[12:13], v[12:13], v[30:31]
	s_delay_alu instid0(VALU_DEP_4) | instskip(NEXT) | instid1(VALU_DEP_4)
	v_fma_f64 v[4:5], v[4:5], v[26:27], v[14:15]
	v_fma_f64 v[2:3], v[2:3], v[26:27], -v[20:21]
	s_delay_alu instid0(VALU_DEP_4) | instskip(NEXT) | instid1(VALU_DEP_4)
	v_add_f64 v[6:7], v[10:11], v[6:7]
	v_add_f64 v[8:9], v[12:13], v[8:9]
	s_delay_alu instid0(VALU_DEP_2) | instskip(NEXT) | instid1(VALU_DEP_2)
	v_add_f64 v[2:3], v[6:7], v[2:3]
	v_add_f64 v[4:5], v[8:9], v[4:5]
	s_delay_alu instid0(VALU_DEP_2) | instskip(NEXT) | instid1(VALU_DEP_2)
	v_add_f64 v[2:3], v[42:43], -v[2:3]
	v_add_f64 v[4:5], v[44:45], -v[4:5]
	scratch_store_b128 off, v[2:5], off offset:32
	v_cmpx_lt_u32_e32 1, v166
	s_cbranch_execz .LBB59_371
; %bb.370:
	scratch_load_b128 v[5:8], v225, off
	v_mov_b32_e32 v2, v1
	v_mov_b32_e32 v3, v1
	v_mov_b32_e32 v4, v1
	scratch_store_b128 off, v[1:4], off offset:16
	s_waitcnt vmcnt(0)
	ds_store_b128 v226, v[5:8]
.LBB59_371:
	s_or_b32 exec_lo, exec_lo, s2
	s_waitcnt lgkmcnt(0)
	s_waitcnt_vscnt null, 0x0
	s_barrier
	buffer_gl0_inv
	s_clause 0x8
	scratch_load_b128 v[2:5], off, off offset:32
	scratch_load_b128 v[6:9], off, off offset:48
	;; [unrolled: 1-line block ×9, first 2 shown]
	ds_load_b128 v[42:45], v1 offset:992
	ds_load_b128 v[38:41], v1 offset:1008
	s_clause 0x1
	scratch_load_b128 v[180:183], off, off offset:16
	scratch_load_b128 v[201:204], off, off offset:176
	v_mov_b32_e32 v173, v223
	v_mov_b32_e32 v86, v167
	s_mov_b32 s2, exec_lo
	ds_load_b128 v[230:233], v1 offset:1040
	s_waitcnt vmcnt(10) lgkmcnt(2)
	v_mul_f64 v[52:53], v[44:45], v[4:5]
	v_mul_f64 v[4:5], v[42:43], v[4:5]
	s_waitcnt vmcnt(9) lgkmcnt(1)
	v_mul_f64 v[54:55], v[38:39], v[8:9]
	v_mul_f64 v[8:9], v[40:41], v[8:9]
	s_delay_alu instid0(VALU_DEP_4) | instskip(NEXT) | instid1(VALU_DEP_4)
	v_fma_f64 v[52:53], v[42:43], v[2:3], -v[52:53]
	v_fma_f64 v[56:57], v[44:45], v[2:3], v[4:5]
	ds_load_b128 v[2:5], v1 offset:1024
	scratch_load_b128 v[42:45], off, off offset:192
	v_fma_f64 v[40:41], v[40:41], v[6:7], v[54:55]
	v_fma_f64 v[38:39], v[38:39], v[6:7], -v[8:9]
	scratch_load_b128 v[6:9], off, off offset:208
	s_waitcnt vmcnt(10) lgkmcnt(0)
	v_mul_f64 v[58:59], v[2:3], v[12:13]
	v_mul_f64 v[12:13], v[4:5], v[12:13]
	v_add_f64 v[52:53], v[52:53], 0
	v_add_f64 v[54:55], v[56:57], 0
	s_waitcnt vmcnt(9)
	v_mul_f64 v[56:57], v[230:231], v[16:17]
	v_mul_f64 v[16:17], v[232:233], v[16:17]
	v_fma_f64 v[58:59], v[4:5], v[10:11], v[58:59]
	v_fma_f64 v[60:61], v[2:3], v[10:11], -v[12:13]
	ds_load_b128 v[2:5], v1 offset:1056
	scratch_load_b128 v[10:13], off, off offset:224
	v_add_f64 v[52:53], v[52:53], v[38:39]
	v_add_f64 v[54:55], v[54:55], v[40:41]
	ds_load_b128 v[38:41], v1 offset:1072
	v_fma_f64 v[56:57], v[232:233], v[14:15], v[56:57]
	v_fma_f64 v[64:65], v[230:231], v[14:15], -v[16:17]
	scratch_load_b128 v[14:17], off, off offset:240
	s_waitcnt vmcnt(10) lgkmcnt(1)
	v_mul_f64 v[62:63], v[2:3], v[20:21]
	v_mul_f64 v[20:21], v[4:5], v[20:21]
	ds_load_b128 v[230:233], v1 offset:1104
	v_add_f64 v[52:53], v[52:53], v[60:61]
	v_add_f64 v[54:55], v[54:55], v[58:59]
	s_waitcnt vmcnt(9) lgkmcnt(1)
	v_mul_f64 v[58:59], v[38:39], v[24:25]
	v_mul_f64 v[24:25], v[40:41], v[24:25]
	v_fma_f64 v[60:61], v[4:5], v[18:19], v[62:63]
	v_fma_f64 v[62:63], v[2:3], v[18:19], -v[20:21]
	ds_load_b128 v[2:5], v1 offset:1088
	scratch_load_b128 v[18:21], off, off offset:256
	v_add_f64 v[52:53], v[52:53], v[64:65]
	v_add_f64 v[54:55], v[54:55], v[56:57]
	s_waitcnt vmcnt(9) lgkmcnt(0)
	v_mul_f64 v[56:57], v[2:3], v[28:29]
	v_mul_f64 v[28:29], v[4:5], v[28:29]
	v_fma_f64 v[40:41], v[40:41], v[22:23], v[58:59]
	v_fma_f64 v[38:39], v[38:39], v[22:23], -v[24:25]
	scratch_load_b128 v[22:25], off, off offset:272
	s_waitcnt vmcnt(9)
	v_mul_f64 v[58:59], v[230:231], v[32:33]
	v_mul_f64 v[32:33], v[232:233], v[32:33]
	v_add_f64 v[52:53], v[52:53], v[62:63]
	v_add_f64 v[54:55], v[54:55], v[60:61]
	v_fma_f64 v[56:57], v[4:5], v[26:27], v[56:57]
	v_fma_f64 v[60:61], v[2:3], v[26:27], -v[28:29]
	ds_load_b128 v[2:5], v1 offset:1120
	scratch_load_b128 v[26:29], off, off offset:288
	v_fma_f64 v[58:59], v[232:233], v[30:31], v[58:59]
	v_fma_f64 v[64:65], v[230:231], v[30:31], -v[32:33]
	scratch_load_b128 v[30:33], off, off offset:304
	ds_load_b128 v[230:233], v1 offset:1168
	v_add_f64 v[52:53], v[52:53], v[38:39]
	v_add_f64 v[54:55], v[54:55], v[40:41]
	ds_load_b128 v[38:41], v1 offset:1136
	s_waitcnt vmcnt(10) lgkmcnt(2)
	v_mul_f64 v[62:63], v[2:3], v[36:37]
	v_mul_f64 v[36:37], v[4:5], v[36:37]
	v_add_f64 v[52:53], v[52:53], v[60:61]
	v_add_f64 v[54:55], v[54:55], v[56:57]
	s_waitcnt vmcnt(8) lgkmcnt(0)
	v_mul_f64 v[56:57], v[38:39], v[203:204]
	v_mul_f64 v[60:61], v[40:41], v[203:204]
	v_fma_f64 v[62:63], v[4:5], v[34:35], v[62:63]
	v_fma_f64 v[66:67], v[2:3], v[34:35], -v[36:37]
	ds_load_b128 v[2:5], v1 offset:1152
	scratch_load_b128 v[34:37], off, off offset:320
	v_add_f64 v[52:53], v[52:53], v[64:65]
	v_add_f64 v[54:55], v[54:55], v[58:59]
	v_fma_f64 v[56:57], v[40:41], v[201:202], v[56:57]
	v_fma_f64 v[60:61], v[38:39], v[201:202], -v[60:61]
	scratch_load_b128 v[38:41], off, off offset:336
	ds_load_b128 v[201:204], v1 offset:1200
	s_waitcnt vmcnt(9) lgkmcnt(1)
	v_mul_f64 v[58:59], v[2:3], v[44:45]
	v_mul_f64 v[44:45], v[4:5], v[44:45]
	v_add_f64 v[52:53], v[52:53], v[66:67]
	v_add_f64 v[54:55], v[54:55], v[62:63]
	s_waitcnt vmcnt(8)
	v_mul_f64 v[62:63], v[230:231], v[8:9]
	v_mul_f64 v[8:9], v[232:233], v[8:9]
	v_fma_f64 v[58:59], v[4:5], v[42:43], v[58:59]
	v_fma_f64 v[64:65], v[2:3], v[42:43], -v[44:45]
	ds_load_b128 v[2:5], v1 offset:1184
	scratch_load_b128 v[42:45], off, off offset:352
	v_add_f64 v[52:53], v[52:53], v[60:61]
	v_add_f64 v[54:55], v[54:55], v[56:57]
	v_fma_f64 v[60:61], v[232:233], v[6:7], v[62:63]
	s_waitcnt vmcnt(8) lgkmcnt(0)
	v_mul_f64 v[56:57], v[2:3], v[12:13]
	v_mul_f64 v[12:13], v[4:5], v[12:13]
	v_fma_f64 v[62:63], v[230:231], v[6:7], -v[8:9]
	scratch_load_b128 v[6:9], off, off offset:368
	ds_load_b128 v[230:233], v1 offset:1232
	v_add_f64 v[52:53], v[52:53], v[64:65]
	v_add_f64 v[54:55], v[54:55], v[58:59]
	s_waitcnt vmcnt(8)
	v_mul_f64 v[58:59], v[201:202], v[16:17]
	v_mul_f64 v[16:17], v[203:204], v[16:17]
	v_fma_f64 v[56:57], v[4:5], v[10:11], v[56:57]
	v_fma_f64 v[64:65], v[2:3], v[10:11], -v[12:13]
	ds_load_b128 v[2:5], v1 offset:1216
	scratch_load_b128 v[10:13], off, off offset:384
	v_add_f64 v[52:53], v[52:53], v[62:63]
	v_add_f64 v[54:55], v[54:55], v[60:61]
	s_waitcnt vmcnt(8) lgkmcnt(0)
	v_mul_f64 v[60:61], v[2:3], v[20:21]
	v_mul_f64 v[20:21], v[4:5], v[20:21]
	v_fma_f64 v[58:59], v[203:204], v[14:15], v[58:59]
	v_fma_f64 v[62:63], v[201:202], v[14:15], -v[16:17]
	scratch_load_b128 v[14:17], off, off offset:400
	ds_load_b128 v[201:204], v1 offset:1264
	v_add_f64 v[52:53], v[52:53], v[64:65]
	v_add_f64 v[54:55], v[54:55], v[56:57]
	s_waitcnt vmcnt(8)
	v_mul_f64 v[56:57], v[230:231], v[24:25]
	v_mul_f64 v[24:25], v[232:233], v[24:25]
	v_fma_f64 v[60:61], v[4:5], v[18:19], v[60:61]
	v_fma_f64 v[64:65], v[2:3], v[18:19], -v[20:21]
	ds_load_b128 v[2:5], v1 offset:1248
	scratch_load_b128 v[18:21], off, off offset:416
	v_add_f64 v[52:53], v[52:53], v[62:63]
	v_add_f64 v[54:55], v[54:55], v[58:59]
	s_waitcnt vmcnt(8) lgkmcnt(0)
	v_mul_f64 v[58:59], v[2:3], v[28:29]
	v_mul_f64 v[28:29], v[4:5], v[28:29]
	v_fma_f64 v[56:57], v[232:233], v[22:23], v[56:57]
	;; [unrolled: 18-line block ×18, first 2 shown]
	v_fma_f64 v[62:63], v[230:231], v[30:31], -v[32:33]
	scratch_load_b128 v[30:33], off, off offset:944
	v_add_f64 v[52:53], v[52:53], v[64:65]
	v_add_f64 v[54:55], v[54:55], v[58:59]
	s_waitcnt vmcnt(8)
	v_mul_f64 v[58:59], v[201:202], v[40:41]
	v_mul_f64 v[40:41], v[203:204], v[40:41]
	v_fma_f64 v[56:57], v[4:5], v[34:35], v[56:57]
	v_fma_f64 v[64:65], v[2:3], v[34:35], -v[36:37]
	ds_load_b128 v[2:5], v1 offset:1792
	ds_load_b128 v[34:37], v1 offset:1808
	v_add_f64 v[52:53], v[52:53], v[62:63]
	v_add_f64 v[54:55], v[54:55], v[60:61]
	s_waitcnt vmcnt(7) lgkmcnt(1)
	v_mul_f64 v[60:61], v[2:3], v[44:45]
	v_mul_f64 v[44:45], v[4:5], v[44:45]
	v_fma_f64 v[58:59], v[203:204], v[38:39], v[58:59]
	v_fma_f64 v[38:39], v[201:202], v[38:39], -v[40:41]
	v_add_f64 v[40:41], v[52:53], v[64:65]
	v_add_f64 v[52:53], v[54:55], v[56:57]
	s_waitcnt vmcnt(6) lgkmcnt(0)
	v_mul_f64 v[54:55], v[34:35], v[8:9]
	v_mul_f64 v[8:9], v[36:37], v[8:9]
	v_fma_f64 v[56:57], v[4:5], v[42:43], v[60:61]
	v_fma_f64 v[42:43], v[2:3], v[42:43], -v[44:45]
	v_add_f64 v[44:45], v[40:41], v[38:39]
	v_add_f64 v[52:53], v[52:53], v[58:59]
	ds_load_b128 v[2:5], v1 offset:1824
	ds_load_b128 v[38:41], v1 offset:1840
	v_fma_f64 v[36:37], v[36:37], v[6:7], v[54:55]
	v_fma_f64 v[6:7], v[34:35], v[6:7], -v[8:9]
	s_waitcnt vmcnt(5) lgkmcnt(1)
	v_mul_f64 v[58:59], v[2:3], v[12:13]
	v_mul_f64 v[12:13], v[4:5], v[12:13]
	v_add_f64 v[8:9], v[44:45], v[42:43]
	v_add_f64 v[34:35], v[52:53], v[56:57]
	s_waitcnt vmcnt(4) lgkmcnt(0)
	v_mul_f64 v[42:43], v[38:39], v[16:17]
	v_mul_f64 v[16:17], v[40:41], v[16:17]
	v_fma_f64 v[44:45], v[4:5], v[10:11], v[58:59]
	v_fma_f64 v[10:11], v[2:3], v[10:11], -v[12:13]
	v_add_f64 v[12:13], v[8:9], v[6:7]
	v_add_f64 v[34:35], v[34:35], v[36:37]
	ds_load_b128 v[2:5], v1 offset:1856
	ds_load_b128 v[6:9], v1 offset:1872
	v_fma_f64 v[40:41], v[40:41], v[14:15], v[42:43]
	v_fma_f64 v[14:15], v[38:39], v[14:15], -v[16:17]
	s_waitcnt vmcnt(3) lgkmcnt(1)
	v_mul_f64 v[36:37], v[2:3], v[20:21]
	v_mul_f64 v[20:21], v[4:5], v[20:21]
	s_waitcnt vmcnt(2) lgkmcnt(0)
	v_mul_f64 v[16:17], v[6:7], v[24:25]
	v_mul_f64 v[24:25], v[8:9], v[24:25]
	v_add_f64 v[10:11], v[12:13], v[10:11]
	v_add_f64 v[12:13], v[34:35], v[44:45]
	v_fma_f64 v[34:35], v[4:5], v[18:19], v[36:37]
	v_fma_f64 v[18:19], v[2:3], v[18:19], -v[20:21]
	v_fma_f64 v[8:9], v[8:9], v[22:23], v[16:17]
	v_fma_f64 v[6:7], v[6:7], v[22:23], -v[24:25]
	v_add_f64 v[14:15], v[10:11], v[14:15]
	v_add_f64 v[20:21], v[12:13], v[40:41]
	ds_load_b128 v[2:5], v1 offset:1888
	ds_load_b128 v[10:13], v1 offset:1904
	s_waitcnt vmcnt(1) lgkmcnt(1)
	v_mul_f64 v[36:37], v[2:3], v[28:29]
	v_mul_f64 v[28:29], v[4:5], v[28:29]
	v_add_f64 v[14:15], v[14:15], v[18:19]
	v_add_f64 v[16:17], v[20:21], v[34:35]
	s_waitcnt vmcnt(0) lgkmcnt(0)
	v_mul_f64 v[18:19], v[10:11], v[32:33]
	v_mul_f64 v[20:21], v[12:13], v[32:33]
	v_fma_f64 v[4:5], v[4:5], v[26:27], v[36:37]
	v_fma_f64 v[1:2], v[2:3], v[26:27], -v[28:29]
	v_add_f64 v[6:7], v[14:15], v[6:7]
	v_add_f64 v[8:9], v[16:17], v[8:9]
	v_fma_f64 v[12:13], v[12:13], v[30:31], v[18:19]
	v_fma_f64 v[10:11], v[10:11], v[30:31], -v[20:21]
	s_delay_alu instid0(VALU_DEP_4) | instskip(NEXT) | instid1(VALU_DEP_4)
	v_add_f64 v[1:2], v[6:7], v[1:2]
	v_add_f64 v[3:4], v[8:9], v[4:5]
	s_delay_alu instid0(VALU_DEP_2) | instskip(NEXT) | instid1(VALU_DEP_2)
	v_add_f64 v[1:2], v[1:2], v[10:11]
	v_add_f64 v[3:4], v[3:4], v[12:13]
	s_delay_alu instid0(VALU_DEP_2) | instskip(NEXT) | instid1(VALU_DEP_2)
	v_add_f64 v[1:2], v[180:181], -v[1:2]
	v_add_f64 v[3:4], v[182:183], -v[3:4]
	scratch_store_b128 off, v[1:4], off offset:16
	v_cmpx_ne_u32_e32 0, v166
	s_cbranch_execz .LBB59_373
; %bb.372:
	scratch_load_b128 v[1:4], off, off
	v_mov_b32_e32 v5, 0
	s_delay_alu instid0(VALU_DEP_1)
	v_mov_b32_e32 v6, v5
	v_mov_b32_e32 v7, v5
	;; [unrolled: 1-line block ×3, first 2 shown]
	scratch_store_b128 off, v[5:8], off
	s_waitcnt vmcnt(0)
	ds_store_b128 v226, v[1:4]
.LBB59_373:
	s_or_b32 exec_lo, exec_lo, s2
	s_waitcnt lgkmcnt(0)
	s_waitcnt_vscnt null, 0x0
	s_barrier
	buffer_gl0_inv
	s_clause 0x7
	scratch_load_b128 v[1:4], off, off offset:16
	scratch_load_b128 v[5:8], off, off offset:32
	;; [unrolled: 1-line block ×8, first 2 shown]
	v_dual_mov_b32 v194, v224 :: v_dual_mov_b32 v41, 0
	v_dual_mov_b32 v51, v172 :: v_dual_mov_b32 v78, v170
	s_and_b32 vcc_lo, exec_lo, s20
	ds_load_b128 v[37:40], v41 offset:976
	s_clause 0x1
	scratch_load_b128 v[33:36], off, off offset:144
	scratch_load_b128 v[42:45], off, off
	ds_load_b128 v[180:183], v41 offset:992
	scratch_load_b128 v[201:204], off, off offset:160
	ds_load_b128 v[230:233], v41 offset:1024
	s_waitcnt vmcnt(10) lgkmcnt(2)
	v_mul_f64 v[52:53], v[39:40], v[3:4]
	v_mul_f64 v[3:4], v[37:38], v[3:4]
	s_delay_alu instid0(VALU_DEP_2) | instskip(NEXT) | instid1(VALU_DEP_2)
	v_fma_f64 v[52:53], v[37:38], v[1:2], -v[52:53]
	v_fma_f64 v[56:57], v[39:40], v[1:2], v[3:4]
	ds_load_b128 v[1:4], v41 offset:1008
	s_waitcnt vmcnt(9) lgkmcnt(2)
	v_mul_f64 v[54:55], v[180:181], v[7:8]
	v_mul_f64 v[7:8], v[182:183], v[7:8]
	scratch_load_b128 v[37:40], off, off offset:176
	s_waitcnt vmcnt(9) lgkmcnt(0)
	v_mul_f64 v[58:59], v[1:2], v[11:12]
	v_mul_f64 v[11:12], v[3:4], v[11:12]
	v_add_f64 v[52:53], v[52:53], 0
	v_add_f64 v[56:57], v[56:57], 0
	v_fma_f64 v[54:55], v[182:183], v[5:6], v[54:55]
	v_fma_f64 v[60:61], v[180:181], v[5:6], -v[7:8]
	scratch_load_b128 v[5:8], off, off offset:192
	ds_load_b128 v[180:183], v41 offset:1056
	v_fma_f64 v[58:59], v[3:4], v[9:10], v[58:59]
	v_fma_f64 v[64:65], v[1:2], v[9:10], -v[11:12]
	ds_load_b128 v[1:4], v41 offset:1040
	s_waitcnt vmcnt(9)
	v_mul_f64 v[62:63], v[230:231], v[15:16]
	v_mul_f64 v[15:16], v[232:233], v[15:16]
	scratch_load_b128 v[9:12], off, off offset:208
	v_add_f64 v[54:55], v[56:57], v[54:55]
	v_add_f64 v[52:53], v[52:53], v[60:61]
	s_waitcnt vmcnt(9) lgkmcnt(0)
	v_mul_f64 v[56:57], v[1:2], v[19:20]
	v_mul_f64 v[19:20], v[3:4], v[19:20]
	v_fma_f64 v[60:61], v[232:233], v[13:14], v[62:63]
	v_fma_f64 v[62:63], v[230:231], v[13:14], -v[15:16]
	scratch_load_b128 v[13:16], off, off offset:224
	ds_load_b128 v[230:233], v41 offset:1088
	v_add_f64 v[54:55], v[54:55], v[58:59]
	v_add_f64 v[52:53], v[52:53], v[64:65]
	v_fma_f64 v[56:57], v[3:4], v[17:18], v[56:57]
	v_fma_f64 v[64:65], v[1:2], v[17:18], -v[19:20]
	ds_load_b128 v[1:4], v41 offset:1072
	s_waitcnt vmcnt(9)
	v_mul_f64 v[58:59], v[180:181], v[23:24]
	v_mul_f64 v[23:24], v[182:183], v[23:24]
	scratch_load_b128 v[17:20], off, off offset:240
	v_add_f64 v[54:55], v[54:55], v[60:61]
	v_add_f64 v[52:53], v[52:53], v[62:63]
	s_waitcnt vmcnt(9) lgkmcnt(0)
	v_mul_f64 v[60:61], v[1:2], v[27:28]
	v_mul_f64 v[27:28], v[3:4], v[27:28]
	v_fma_f64 v[58:59], v[182:183], v[21:22], v[58:59]
	v_fma_f64 v[62:63], v[180:181], v[21:22], -v[23:24]
	scratch_load_b128 v[21:24], off, off offset:256
	ds_load_b128 v[180:183], v41 offset:1120
	v_add_f64 v[54:55], v[54:55], v[56:57]
	v_add_f64 v[52:53], v[52:53], v[64:65]
	;; [unrolled: 18-line block ×3, first 2 shown]
	v_fma_f64 v[58:59], v[3:4], v[33:34], v[58:59]
	v_fma_f64 v[66:67], v[1:2], v[33:34], -v[35:36]
	ds_load_b128 v[1:4], v41 offset:1136
	s_waitcnt vmcnt(8)
	v_mul_f64 v[60:61], v[180:181], v[203:204]
	v_mul_f64 v[64:65], v[182:183], v[203:204]
	scratch_load_b128 v[33:36], off, off offset:304
	v_add_f64 v[54:55], v[54:55], v[56:57]
	v_add_f64 v[52:53], v[52:53], v[62:63]
	v_fma_f64 v[60:61], v[182:183], v[201:202], v[60:61]
	v_fma_f64 v[62:63], v[180:181], v[201:202], -v[64:65]
	scratch_load_b128 v[180:183], off, off offset:320
	ds_load_b128 v[201:204], v41 offset:1184
	s_waitcnt vmcnt(9) lgkmcnt(1)
	v_mul_f64 v[56:57], v[1:2], v[39:40]
	v_mul_f64 v[39:40], v[3:4], v[39:40]
	v_add_f64 v[54:55], v[54:55], v[58:59]
	v_add_f64 v[52:53], v[52:53], v[66:67]
	s_delay_alu instid0(VALU_DEP_4) | instskip(NEXT) | instid1(VALU_DEP_4)
	v_fma_f64 v[56:57], v[3:4], v[37:38], v[56:57]
	v_fma_f64 v[64:65], v[1:2], v[37:38], -v[39:40]
	ds_load_b128 v[1:4], v41 offset:1168
	s_waitcnt vmcnt(8)
	v_mul_f64 v[58:59], v[230:231], v[7:8]
	v_mul_f64 v[7:8], v[232:233], v[7:8]
	scratch_load_b128 v[37:40], off, off offset:336
	v_add_f64 v[54:55], v[54:55], v[60:61]
	v_add_f64 v[52:53], v[52:53], v[62:63]
	s_waitcnt vmcnt(8) lgkmcnt(0)
	v_mul_f64 v[60:61], v[1:2], v[11:12]
	v_mul_f64 v[11:12], v[3:4], v[11:12]
	v_fma_f64 v[58:59], v[232:233], v[5:6], v[58:59]
	v_fma_f64 v[62:63], v[230:231], v[5:6], -v[7:8]
	scratch_load_b128 v[5:8], off, off offset:352
	ds_load_b128 v[230:233], v41 offset:1216
	v_add_f64 v[54:55], v[54:55], v[56:57]
	v_add_f64 v[52:53], v[52:53], v[64:65]
	v_fma_f64 v[60:61], v[3:4], v[9:10], v[60:61]
	v_fma_f64 v[64:65], v[1:2], v[9:10], -v[11:12]
	ds_load_b128 v[1:4], v41 offset:1200
	s_waitcnt vmcnt(8)
	v_mul_f64 v[56:57], v[201:202], v[15:16]
	v_mul_f64 v[15:16], v[203:204], v[15:16]
	scratch_load_b128 v[9:12], off, off offset:368
	v_add_f64 v[54:55], v[54:55], v[58:59]
	v_add_f64 v[52:53], v[52:53], v[62:63]
	s_waitcnt vmcnt(8) lgkmcnt(0)
	v_mul_f64 v[58:59], v[1:2], v[19:20]
	v_mul_f64 v[19:20], v[3:4], v[19:20]
	v_fma_f64 v[56:57], v[203:204], v[13:14], v[56:57]
	v_fma_f64 v[62:63], v[201:202], v[13:14], -v[15:16]
	scratch_load_b128 v[13:16], off, off offset:384
	ds_load_b128 v[201:204], v41 offset:1248
	v_add_f64 v[54:55], v[54:55], v[60:61]
	v_add_f64 v[52:53], v[52:53], v[64:65]
	;; [unrolled: 18-line block ×3, first 2 shown]
	v_fma_f64 v[56:57], v[3:4], v[25:26], v[56:57]
	v_fma_f64 v[64:65], v[1:2], v[25:26], -v[27:28]
	ds_load_b128 v[1:4], v41 offset:1264
	s_waitcnt vmcnt(8)
	v_mul_f64 v[58:59], v[201:202], v[31:32]
	v_mul_f64 v[31:32], v[203:204], v[31:32]
	scratch_load_b128 v[25:28], off, off offset:432
	v_add_f64 v[54:55], v[54:55], v[60:61]
	v_add_f64 v[52:53], v[52:53], v[62:63]
	s_waitcnt vmcnt(8) lgkmcnt(0)
	v_mul_f64 v[60:61], v[1:2], v[35:36]
	v_mul_f64 v[35:36], v[3:4], v[35:36]
	v_fma_f64 v[58:59], v[203:204], v[29:30], v[58:59]
	v_fma_f64 v[62:63], v[201:202], v[29:30], -v[31:32]
	s_clause 0x1
	scratch_load_b128 v[29:32], off, off offset:448
	scratch_load_b128 v[201:204], off, off offset:480
	v_add_f64 v[54:55], v[54:55], v[56:57]
	v_add_f64 v[52:53], v[52:53], v[64:65]
	v_fma_f64 v[60:61], v[3:4], v[33:34], v[60:61]
	v_fma_f64 v[66:67], v[1:2], v[33:34], -v[35:36]
	ds_load_b128 v[1:4], v41 offset:1296
	s_waitcnt vmcnt(9)
	v_mul_f64 v[56:57], v[230:231], v[182:183]
	v_mul_f64 v[64:65], v[232:233], v[182:183]
	scratch_load_b128 v[33:36], off, off offset:464
	ds_load_b128 v[182:185], v41 offset:1312
	v_add_f64 v[54:55], v[54:55], v[58:59]
	v_add_f64 v[52:53], v[52:53], v[62:63]
	s_waitcnt vmcnt(9) lgkmcnt(1)
	v_mul_f64 v[58:59], v[1:2], v[39:40]
	v_mul_f64 v[39:40], v[3:4], v[39:40]
	v_fma_f64 v[56:57], v[232:233], v[180:181], v[56:57]
	v_fma_f64 v[62:63], v[230:231], v[180:181], -v[64:65]
	ds_load_b128 v[230:233], v41 offset:1344
	v_add_f64 v[54:55], v[54:55], v[60:61]
	v_add_f64 v[52:53], v[52:53], v[66:67]
	v_fma_f64 v[58:59], v[3:4], v[37:38], v[58:59]
	v_fma_f64 v[64:65], v[1:2], v[37:38], -v[39:40]
	ds_load_b128 v[1:4], v41 offset:1328
	s_waitcnt vmcnt(8) lgkmcnt(2)
	v_mul_f64 v[60:61], v[182:183], v[7:8]
	v_mul_f64 v[7:8], v[184:185], v[7:8]
	scratch_load_b128 v[37:40], off, off offset:496
	v_add_f64 v[54:55], v[54:55], v[56:57]
	v_add_f64 v[52:53], v[52:53], v[62:63]
	s_waitcnt vmcnt(8) lgkmcnt(0)
	v_mul_f64 v[56:57], v[1:2], v[11:12]
	v_mul_f64 v[11:12], v[3:4], v[11:12]
	v_fma_f64 v[60:61], v[184:185], v[5:6], v[60:61]
	v_fma_f64 v[62:63], v[182:183], v[5:6], -v[7:8]
	scratch_load_b128 v[5:8], off, off offset:512
	ds_load_b128 v[180:183], v41 offset:1376
	v_add_f64 v[54:55], v[54:55], v[58:59]
	v_add_f64 v[52:53], v[52:53], v[64:65]
	v_fma_f64 v[56:57], v[3:4], v[9:10], v[56:57]
	v_fma_f64 v[64:65], v[1:2], v[9:10], -v[11:12]
	ds_load_b128 v[1:4], v41 offset:1360
	s_waitcnt vmcnt(8)
	v_mul_f64 v[58:59], v[230:231], v[15:16]
	v_mul_f64 v[15:16], v[232:233], v[15:16]
	scratch_load_b128 v[9:12], off, off offset:528
	v_add_f64 v[54:55], v[54:55], v[60:61]
	v_add_f64 v[52:53], v[52:53], v[62:63]
	s_waitcnt vmcnt(8) lgkmcnt(0)
	v_mul_f64 v[60:61], v[1:2], v[19:20]
	v_mul_f64 v[19:20], v[3:4], v[19:20]
	v_fma_f64 v[58:59], v[232:233], v[13:14], v[58:59]
	v_fma_f64 v[62:63], v[230:231], v[13:14], -v[15:16]
	scratch_load_b128 v[13:16], off, off offset:544
	ds_load_b128 v[230:233], v41 offset:1408
	v_add_f64 v[54:55], v[54:55], v[56:57]
	v_add_f64 v[52:53], v[52:53], v[64:65]
	v_fma_f64 v[60:61], v[3:4], v[17:18], v[60:61]
	v_fma_f64 v[64:65], v[1:2], v[17:18], -v[19:20]
	ds_load_b128 v[1:4], v41 offset:1392
	s_waitcnt vmcnt(8)
	;; [unrolled: 18-line block ×3, first 2 shown]
	v_mul_f64 v[60:61], v[230:231], v[31:32]
	v_mul_f64 v[31:32], v[232:233], v[31:32]
	scratch_load_b128 v[25:28], off, off offset:592
	v_add_f64 v[54:55], v[54:55], v[56:57]
	v_add_f64 v[52:53], v[52:53], v[62:63]
	s_waitcnt vmcnt(7) lgkmcnt(0)
	v_mul_f64 v[56:57], v[1:2], v[35:36]
	v_mul_f64 v[35:36], v[3:4], v[35:36]
	v_fma_f64 v[60:61], v[232:233], v[29:30], v[60:61]
	v_fma_f64 v[62:63], v[230:231], v[29:30], -v[31:32]
	scratch_load_b128 v[29:32], off, off offset:608
	ds_load_b128 v[230:233], v41 offset:1472
	v_add_f64 v[54:55], v[54:55], v[58:59]
	v_add_f64 v[52:53], v[52:53], v[64:65]
	v_fma_f64 v[56:57], v[3:4], v[33:34], v[56:57]
	v_fma_f64 v[66:67], v[1:2], v[33:34], -v[35:36]
	ds_load_b128 v[1:4], v41 offset:1456
	v_mul_f64 v[58:59], v[180:181], v[203:204]
	v_mul_f64 v[64:65], v[182:183], v[203:204]
	scratch_load_b128 v[33:36], off, off offset:624
	v_add_f64 v[54:55], v[54:55], v[60:61]
	v_add_f64 v[52:53], v[52:53], v[62:63]
	s_waitcnt vmcnt(8) lgkmcnt(0)
	v_mul_f64 v[60:61], v[1:2], v[39:40]
	v_mul_f64 v[39:40], v[3:4], v[39:40]
	v_fma_f64 v[58:59], v[182:183], v[201:202], v[58:59]
	v_fma_f64 v[62:63], v[180:181], v[201:202], -v[64:65]
	scratch_load_b128 v[180:183], off, off offset:640
	ds_load_b128 v[201:204], v41 offset:1504
	v_add_f64 v[54:55], v[54:55], v[56:57]
	v_add_f64 v[52:53], v[52:53], v[66:67]
	v_fma_f64 v[60:61], v[3:4], v[37:38], v[60:61]
	v_fma_f64 v[64:65], v[1:2], v[37:38], -v[39:40]
	ds_load_b128 v[1:4], v41 offset:1488
	s_waitcnt vmcnt(8)
	v_mul_f64 v[56:57], v[230:231], v[7:8]
	v_mul_f64 v[7:8], v[232:233], v[7:8]
	scratch_load_b128 v[37:40], off, off offset:656
	v_add_f64 v[54:55], v[54:55], v[58:59]
	v_add_f64 v[52:53], v[52:53], v[62:63]
	s_waitcnt vmcnt(8) lgkmcnt(0)
	v_mul_f64 v[58:59], v[1:2], v[11:12]
	v_mul_f64 v[11:12], v[3:4], v[11:12]
	v_fma_f64 v[56:57], v[232:233], v[5:6], v[56:57]
	v_fma_f64 v[62:63], v[230:231], v[5:6], -v[7:8]
	scratch_load_b128 v[5:8], off, off offset:672
	ds_load_b128 v[230:233], v41 offset:1536
	v_add_f64 v[54:55], v[54:55], v[60:61]
	v_add_f64 v[52:53], v[52:53], v[64:65]
	v_fma_f64 v[58:59], v[3:4], v[9:10], v[58:59]
	v_fma_f64 v[64:65], v[1:2], v[9:10], -v[11:12]
	ds_load_b128 v[1:4], v41 offset:1520
	s_waitcnt vmcnt(8)
	;; [unrolled: 18-line block ×4, first 2 shown]
	v_mul_f64 v[56:57], v[201:202], v[31:32]
	v_mul_f64 v[31:32], v[203:204], v[31:32]
	scratch_load_b128 v[25:28], off, off offset:752
	v_add_f64 v[54:55], v[54:55], v[58:59]
	v_add_f64 v[52:53], v[52:53], v[62:63]
	s_waitcnt vmcnt(8) lgkmcnt(0)
	v_mul_f64 v[58:59], v[1:2], v[35:36]
	v_mul_f64 v[35:36], v[3:4], v[35:36]
	v_fma_f64 v[56:57], v[203:204], v[29:30], v[56:57]
	v_fma_f64 v[62:63], v[201:202], v[29:30], -v[31:32]
	s_clause 0x1
	scratch_load_b128 v[29:32], off, off offset:768
	scratch_load_b128 v[201:204], off, off offset:800
	v_add_f64 v[54:55], v[54:55], v[60:61]
	v_add_f64 v[52:53], v[52:53], v[64:65]
	v_fma_f64 v[58:59], v[3:4], v[33:34], v[58:59]
	v_fma_f64 v[66:67], v[1:2], v[33:34], -v[35:36]
	ds_load_b128 v[1:4], v41 offset:1616
	s_waitcnt vmcnt(9)
	v_mul_f64 v[60:61], v[230:231], v[182:183]
	v_mul_f64 v[64:65], v[232:233], v[182:183]
	scratch_load_b128 v[33:36], off, off offset:784
	ds_load_b128 v[182:185], v41 offset:1632
	v_add_f64 v[54:55], v[54:55], v[56:57]
	v_add_f64 v[52:53], v[52:53], v[62:63]
	s_waitcnt vmcnt(9) lgkmcnt(1)
	v_mul_f64 v[56:57], v[1:2], v[39:40]
	v_mul_f64 v[39:40], v[3:4], v[39:40]
	v_fma_f64 v[60:61], v[232:233], v[180:181], v[60:61]
	v_fma_f64 v[62:63], v[230:231], v[180:181], -v[64:65]
	ds_load_b128 v[230:233], v41 offset:1664
	v_add_f64 v[54:55], v[54:55], v[58:59]
	v_add_f64 v[52:53], v[52:53], v[66:67]
	v_fma_f64 v[56:57], v[3:4], v[37:38], v[56:57]
	v_fma_f64 v[64:65], v[1:2], v[37:38], -v[39:40]
	ds_load_b128 v[1:4], v41 offset:1648
	s_waitcnt vmcnt(8) lgkmcnt(2)
	v_mul_f64 v[58:59], v[182:183], v[7:8]
	v_mul_f64 v[7:8], v[184:185], v[7:8]
	scratch_load_b128 v[37:40], off, off offset:816
	v_add_f64 v[54:55], v[54:55], v[60:61]
	v_add_f64 v[52:53], v[52:53], v[62:63]
	s_waitcnt vmcnt(8) lgkmcnt(0)
	v_mul_f64 v[60:61], v[1:2], v[11:12]
	v_mul_f64 v[11:12], v[3:4], v[11:12]
	v_fma_f64 v[58:59], v[184:185], v[5:6], v[58:59]
	v_fma_f64 v[62:63], v[182:183], v[5:6], -v[7:8]
	scratch_load_b128 v[5:8], off, off offset:832
	ds_load_b128 v[180:183], v41 offset:1696
	v_add_f64 v[54:55], v[54:55], v[56:57]
	v_add_f64 v[52:53], v[52:53], v[64:65]
	v_fma_f64 v[60:61], v[3:4], v[9:10], v[60:61]
	v_fma_f64 v[64:65], v[1:2], v[9:10], -v[11:12]
	ds_load_b128 v[1:4], v41 offset:1680
	s_waitcnt vmcnt(8)
	v_mul_f64 v[56:57], v[230:231], v[15:16]
	v_mul_f64 v[15:16], v[232:233], v[15:16]
	scratch_load_b128 v[9:12], off, off offset:848
	v_add_f64 v[54:55], v[54:55], v[58:59]
	v_add_f64 v[52:53], v[52:53], v[62:63]
	s_waitcnt vmcnt(8) lgkmcnt(0)
	v_mul_f64 v[58:59], v[1:2], v[19:20]
	v_mul_f64 v[19:20], v[3:4], v[19:20]
	v_fma_f64 v[56:57], v[232:233], v[13:14], v[56:57]
	v_fma_f64 v[62:63], v[230:231], v[13:14], -v[15:16]
	scratch_load_b128 v[13:16], off, off offset:864
	ds_load_b128 v[230:233], v41 offset:1728
	v_add_f64 v[54:55], v[54:55], v[60:61]
	v_add_f64 v[52:53], v[52:53], v[64:65]
	v_fma_f64 v[58:59], v[3:4], v[17:18], v[58:59]
	v_fma_f64 v[64:65], v[1:2], v[17:18], -v[19:20]
	ds_load_b128 v[1:4], v41 offset:1712
	s_waitcnt vmcnt(8)
	;; [unrolled: 18-line block ×3, first 2 shown]
	v_mul_f64 v[58:59], v[230:231], v[31:32]
	v_mul_f64 v[31:32], v[232:233], v[31:32]
	scratch_load_b128 v[25:28], off, off offset:912
	v_add_f64 v[54:55], v[54:55], v[60:61]
	v_add_f64 v[52:53], v[52:53], v[62:63]
	s_waitcnt vmcnt(7) lgkmcnt(0)
	v_mul_f64 v[60:61], v[1:2], v[35:36]
	v_mul_f64 v[35:36], v[3:4], v[35:36]
	v_fma_f64 v[58:59], v[232:233], v[29:30], v[58:59]
	v_fma_f64 v[62:63], v[230:231], v[29:30], -v[31:32]
	scratch_load_b128 v[29:32], off, off offset:928
	ds_load_b128 v[230:233], v41 offset:1792
	v_add_f64 v[54:55], v[54:55], v[56:57]
	v_add_f64 v[52:53], v[52:53], v[64:65]
	v_fma_f64 v[60:61], v[3:4], v[33:34], v[60:61]
	v_fma_f64 v[66:67], v[1:2], v[33:34], -v[35:36]
	scratch_load_b128 v[33:36], off, off offset:944
	ds_load_b128 v[1:4], v41 offset:1776
	v_mul_f64 v[56:57], v[180:181], v[203:204]
	v_mul_f64 v[64:65], v[182:183], v[203:204]
	v_add_f64 v[54:55], v[54:55], v[58:59]
	v_add_f64 v[52:53], v[52:53], v[62:63]
	s_waitcnt vmcnt(8) lgkmcnt(0)
	v_mul_f64 v[58:59], v[1:2], v[39:40]
	v_mul_f64 v[39:40], v[3:4], v[39:40]
	v_fma_f64 v[56:57], v[182:183], v[201:202], v[56:57]
	v_fma_f64 v[62:63], v[180:181], v[201:202], -v[64:65]
	v_add_f64 v[54:55], v[54:55], v[60:61]
	v_add_f64 v[52:53], v[52:53], v[66:67]
	s_waitcnt vmcnt(7)
	v_mul_f64 v[60:61], v[230:231], v[7:8]
	v_mul_f64 v[7:8], v[232:233], v[7:8]
	v_fma_f64 v[58:59], v[3:4], v[37:38], v[58:59]
	v_fma_f64 v[64:65], v[1:2], v[37:38], -v[39:40]
	ds_load_b128 v[1:4], v41 offset:1808
	ds_load_b128 v[37:40], v41 offset:1824
	v_add_f64 v[54:55], v[54:55], v[56:57]
	v_add_f64 v[52:53], v[52:53], v[62:63]
	s_waitcnt vmcnt(6) lgkmcnt(1)
	v_mul_f64 v[56:57], v[1:2], v[11:12]
	v_mul_f64 v[11:12], v[3:4], v[11:12]
	v_fma_f64 v[60:61], v[232:233], v[5:6], v[60:61]
	v_fma_f64 v[5:6], v[230:231], v[5:6], -v[7:8]
	v_add_f64 v[7:8], v[52:53], v[64:65]
	v_add_f64 v[52:53], v[54:55], v[58:59]
	s_waitcnt vmcnt(5) lgkmcnt(0)
	v_mul_f64 v[54:55], v[37:38], v[15:16]
	v_mul_f64 v[15:16], v[39:40], v[15:16]
	v_fma_f64 v[56:57], v[3:4], v[9:10], v[56:57]
	v_fma_f64 v[9:10], v[1:2], v[9:10], -v[11:12]
	v_add_f64 v[11:12], v[7:8], v[5:6]
	v_add_f64 v[52:53], v[52:53], v[60:61]
	ds_load_b128 v[1:4], v41 offset:1840
	ds_load_b128 v[5:8], v41 offset:1856
	v_fma_f64 v[39:40], v[39:40], v[13:14], v[54:55]
	v_fma_f64 v[13:14], v[37:38], v[13:14], -v[15:16]
	s_waitcnt vmcnt(4) lgkmcnt(1)
	v_mul_f64 v[58:59], v[1:2], v[19:20]
	v_mul_f64 v[19:20], v[3:4], v[19:20]
	s_waitcnt vmcnt(3) lgkmcnt(0)
	v_mul_f64 v[15:16], v[5:6], v[23:24]
	v_mul_f64 v[23:24], v[7:8], v[23:24]
	v_add_f64 v[9:10], v[11:12], v[9:10]
	v_add_f64 v[11:12], v[52:53], v[56:57]
	v_fma_f64 v[37:38], v[3:4], v[17:18], v[58:59]
	v_fma_f64 v[17:18], v[1:2], v[17:18], -v[19:20]
	v_fma_f64 v[7:8], v[7:8], v[21:22], v[15:16]
	v_fma_f64 v[5:6], v[5:6], v[21:22], -v[23:24]
	v_add_f64 v[13:14], v[9:10], v[13:14]
	v_add_f64 v[19:20], v[11:12], v[39:40]
	ds_load_b128 v[1:4], v41 offset:1872
	ds_load_b128 v[9:12], v41 offset:1888
	s_waitcnt vmcnt(2) lgkmcnt(1)
	v_mul_f64 v[39:40], v[1:2], v[27:28]
	v_mul_f64 v[27:28], v[3:4], v[27:28]
	v_add_f64 v[13:14], v[13:14], v[17:18]
	v_add_f64 v[15:16], v[19:20], v[37:38]
	s_waitcnt vmcnt(1) lgkmcnt(0)
	v_mul_f64 v[17:18], v[9:10], v[31:32]
	v_mul_f64 v[19:20], v[11:12], v[31:32]
	v_fma_f64 v[21:22], v[3:4], v[25:26], v[39:40]
	v_fma_f64 v[23:24], v[1:2], v[25:26], -v[27:28]
	ds_load_b128 v[1:4], v41 offset:1904
	v_add_f64 v[5:6], v[13:14], v[5:6]
	v_add_f64 v[7:8], v[15:16], v[7:8]
	v_fma_f64 v[11:12], v[11:12], v[29:30], v[17:18]
	v_fma_f64 v[9:10], v[9:10], v[29:30], -v[19:20]
	s_waitcnt vmcnt(0) lgkmcnt(0)
	v_mul_f64 v[13:14], v[1:2], v[35:36]
	v_mul_f64 v[15:16], v[3:4], v[35:36]
	v_add_f64 v[5:6], v[5:6], v[23:24]
	v_add_f64 v[7:8], v[7:8], v[21:22]
	s_delay_alu instid0(VALU_DEP_4) | instskip(NEXT) | instid1(VALU_DEP_4)
	v_fma_f64 v[3:4], v[3:4], v[33:34], v[13:14]
	v_fma_f64 v[1:2], v[1:2], v[33:34], -v[15:16]
	s_delay_alu instid0(VALU_DEP_4) | instskip(NEXT) | instid1(VALU_DEP_4)
	v_add_f64 v[5:6], v[5:6], v[9:10]
	v_add_f64 v[7:8], v[7:8], v[11:12]
	s_delay_alu instid0(VALU_DEP_2) | instskip(NEXT) | instid1(VALU_DEP_2)
	v_add_f64 v[1:2], v[5:6], v[1:2]
	v_add_f64 v[3:4], v[7:8], v[3:4]
	s_delay_alu instid0(VALU_DEP_2) | instskip(NEXT) | instid1(VALU_DEP_2)
	v_add_f64 v[1:2], v[42:43], -v[1:2]
	v_add_f64 v[3:4], v[44:45], -v[3:4]
	scratch_store_b128 off, v[1:4], off
	s_cbranch_vccz .LBB59_493
; %bb.374:
	v_dual_mov_b32 v1, s16 :: v_dual_mov_b32 v2, s17
	s_load_b64 s[0:1], s[0:1], 0x4
	flat_load_b32 v1, v[1:2] offset:232
	v_bfe_u32 v2, v0, 10, 10
	v_bfe_u32 v0, v0, 20, 10
	s_waitcnt lgkmcnt(0)
	s_lshr_b32 s0, s0, 16
	s_delay_alu instid0(VALU_DEP_2) | instskip(SKIP_1) | instid1(SALU_CYCLE_1)
	v_mul_u32_u24_e32 v2, s1, v2
	s_mul_i32 s0, s0, s1
	v_mul_u32_u24_e32 v3, s0, v166
	s_mov_b32 s0, exec_lo
	s_delay_alu instid0(VALU_DEP_1) | instskip(NEXT) | instid1(VALU_DEP_1)
	v_add3_u32 v0, v3, v2, v0
	v_lshl_add_u32 v0, v0, 4, 0x788
	s_waitcnt vmcnt(0)
	v_cmpx_ne_u32_e32 59, v1
	s_cbranch_execz .LBB59_376
; %bb.375:
	v_lshl_add_u32 v9, v1, 4, 0
	s_clause 0x1
	scratch_load_b128 v[1:4], v169, off
	scratch_load_b128 v[5:8], v9, off offset:-16
	s_waitcnt vmcnt(1)
	ds_store_2addr_b64 v0, v[1:2], v[3:4] offset1:1
	s_waitcnt vmcnt(0)
	s_clause 0x1
	scratch_store_b128 v169, v[5:8], off
	scratch_store_b128 v9, v[1:4], off offset:-16
.LBB59_376:
	s_or_b32 exec_lo, exec_lo, s0
	v_dual_mov_b32 v1, s16 :: v_dual_mov_b32 v2, s17
	flat_load_b32 v1, v[1:2] offset:228
	s_waitcnt vmcnt(0) lgkmcnt(0)
	v_cmp_ne_u32_e32 vcc_lo, 58, v1
	s_mov_b32 s0, exec_lo
	scratch_load_b32 v23, off, off offset:1060 ; 4-byte Folded Reload
	v_dual_mov_b32 v10, v86 :: v_dual_mov_b32 v11, v188
	v_dual_mov_b32 v12, v87 :: v_dual_mov_b32 v17, v174
	;; [unrolled: 1-line block ×12, first 2 shown]
	v_mov_b32_e32 v34, v239
	s_and_b32 s1, s0, vcc_lo
	s_delay_alu instid0(SALU_CYCLE_1)
	s_mov_b32 exec_lo, s1
	s_cbranch_execz .LBB59_378
; %bb.377:
	v_lshl_add_u32 v9, v1, 4, 0
	s_clause 0x1
	scratch_load_b128 v[1:4], v11, off
	scratch_load_b128 v[5:8], v9, off offset:-16
	s_waitcnt vmcnt(1)
	ds_store_2addr_b64 v0, v[1:2], v[3:4] offset1:1
	s_waitcnt vmcnt(0)
	s_clause 0x1
	scratch_store_b128 v11, v[5:8], off
	scratch_store_b128 v9, v[1:4], off offset:-16
.LBB59_378:
	s_or_b32 exec_lo, exec_lo, s0
	v_dual_mov_b32 v1, s16 :: v_dual_mov_b32 v2, s17
	s_mov_b32 s0, exec_lo
	flat_load_b32 v1, v[1:2] offset:224
	s_waitcnt vmcnt(0) lgkmcnt(0)
	v_cmpx_ne_u32_e32 57, v1
	s_cbranch_execz .LBB59_380
; %bb.379:
	v_lshl_add_u32 v9, v1, 4, 0
	s_clause 0x1
	scratch_load_b128 v[1:4], v12, off
	scratch_load_b128 v[5:8], v9, off offset:-16
	s_waitcnt vmcnt(1)
	ds_store_2addr_b64 v0, v[1:2], v[3:4] offset1:1
	s_waitcnt vmcnt(0)
	s_clause 0x1
	scratch_store_b128 v12, v[5:8], off
	scratch_store_b128 v9, v[1:4], off offset:-16
.LBB59_380:
	s_or_b32 exec_lo, exec_lo, s0
	v_dual_mov_b32 v1, s16 :: v_dual_mov_b32 v2, s17
	s_mov_b32 s0, exec_lo
	flat_load_b32 v1, v[1:2] offset:220
	s_waitcnt vmcnt(0) lgkmcnt(0)
	v_cmpx_ne_u32_e32 56, v1
	;; [unrolled: 19-line block ×41, first 2 shown]
	s_cbranch_execz .LBB59_460
; %bb.459:
	scratch_load_b32 v10, off, off offset:960 ; 4-byte Folded Reload
	v_lshl_add_u32 v9, v1, 4, 0
	s_waitcnt vmcnt(0)
	s_clause 0x1
	scratch_load_b128 v[1:4], v10, off
	scratch_load_b128 v[5:8], v9, off offset:-16
	s_waitcnt vmcnt(1)
	ds_store_2addr_b64 v0, v[1:2], v[3:4] offset1:1
	s_waitcnt vmcnt(0)
	s_clause 0x1
	scratch_store_b128 v10, v[5:8], off
	scratch_store_b128 v9, v[1:4], off offset:-16
.LBB59_460:
	s_or_b32 exec_lo, exec_lo, s0
	v_dual_mov_b32 v1, s16 :: v_dual_mov_b32 v2, s17
	s_mov_b32 s0, exec_lo
	flat_load_b32 v1, v[1:2] offset:60
	s_waitcnt vmcnt(0) lgkmcnt(0)
	v_cmpx_ne_u32_e32 16, v1
	s_cbranch_execz .LBB59_462
; %bb.461:
	v_lshl_add_u32 v9, v1, 4, 0
	s_clause 0x1
	scratch_load_b128 v[1:4], v229, off
	scratch_load_b128 v[5:8], v9, off offset:-16
	s_waitcnt vmcnt(1)
	ds_store_2addr_b64 v0, v[1:2], v[3:4] offset1:1
	s_waitcnt vmcnt(0)
	s_clause 0x1
	scratch_store_b128 v229, v[5:8], off
	scratch_store_b128 v9, v[1:4], off offset:-16
.LBB59_462:
	s_or_b32 exec_lo, exec_lo, s0
	v_dual_mov_b32 v1, s16 :: v_dual_mov_b32 v2, s17
	s_mov_b32 s0, exec_lo
	flat_load_b32 v1, v[1:2] offset:56
	s_waitcnt vmcnt(0) lgkmcnt(0)
	v_cmpx_ne_u32_e32 15, v1
	s_cbranch_execz .LBB59_464
; %bb.463:
	v_lshl_add_u32 v9, v1, 4, 0
	s_clause 0x1
	scratch_load_b128 v[1:4], v227, off
	scratch_load_b128 v[5:8], v9, off offset:-16
	s_waitcnt vmcnt(1)
	ds_store_2addr_b64 v0, v[1:2], v[3:4] offset1:1
	s_waitcnt vmcnt(0)
	s_clause 0x1
	scratch_store_b128 v227, v[5:8], off
	scratch_store_b128 v9, v[1:4], off offset:-16
.LBB59_464:
	;; [unrolled: 19-line block ×15, first 2 shown]
	s_or_b32 exec_lo, exec_lo, s0
	v_dual_mov_b32 v1, s16 :: v_dual_mov_b32 v2, s17
	s_mov_b32 s0, exec_lo
	flat_load_b32 v1, v[1:2]
	s_waitcnt vmcnt(0) lgkmcnt(0)
	v_cmpx_ne_u32_e32 1, v1
	s_cbranch_execz .LBB59_492
; %bb.491:
	v_lshl_add_u32 v9, v1, 4, 0
	scratch_load_b128 v[1:4], off, off
	scratch_load_b128 v[5:8], v9, off offset:-16
	s_waitcnt vmcnt(1)
	ds_store_2addr_b64 v0, v[1:2], v[3:4] offset1:1
	s_waitcnt vmcnt(0)
	scratch_store_b128 off, v[5:8], off
	scratch_store_b128 v9, v[1:4], off offset:-16
.LBB59_492:
	s_or_b32 exec_lo, exec_lo, s0
.LBB59_493:
	scratch_load_b128 v[0:3], off, off
	s_clause 0xe
	scratch_load_b128 v[4:7], v225, off
	scratch_load_b128 v[8:11], v200, off
	;; [unrolled: 1-line block ×15, first 2 shown]
	scratch_load_b32 v44, off, off offset:960 ; 4-byte Folded Reload
	s_waitcnt vmcnt(0)
	s_clause 0x7
	scratch_load_b128 v[225:228], v44, off
	scratch_load_b128 v[229:232], v240, off
	scratch_load_b128 v[233:236], v239, off
	scratch_load_b128 v[237:240], v238, off
	scratch_load_b128 v[241:244], v220, off
	scratch_load_b128 v[245:248], v219, off
	scratch_load_b128 v[249:252], v218, off
	scratch_load_b128 v[217:220], v217, off
	global_store_b128 v[46:47], v[0:3], off
	s_clause 0x1
	scratch_load_b128 v[0:3], v196, off
	scratch_load_b128 v[44:47], v253, off
	scratch_load_b64 v[52:53], off, off offset:964 ; 8-byte Folded Reload
	v_mov_b32_e32 v253, v169
	s_waitcnt vmcnt(0)
	global_store_b128 v[52:53], v[4:7], off
	s_clause 0x1
	scratch_load_b128 v[4:7], v222, off
	scratch_load_b128 v[166:169], v221, off
	scratch_load_b64 v[52:53], off, off offset:972 ; 8-byte Folded Reload
	s_waitcnt vmcnt(0)
	global_store_b128 v[52:53], v[8:11], off
	scratch_load_b128 v[8:11], v197, off
	scratch_load_b32 v52, off, off offset:1060 ; 4-byte Folded Reload
	s_waitcnt vmcnt(0)
	scratch_load_b128 v[221:224], v52, off
	scratch_load_b64 v[52:53], off, off offset:980 ; 8-byte Folded Reload
	s_waitcnt vmcnt(0)
	global_store_b128 v[52:53], v[12:15], off
	s_clause 0x1
	scratch_load_b128 v[12:15], v194, off
	scratch_load_b128 v[170:173], v173, off
	scratch_load_b64 v[52:53], off, off offset:988 ; 8-byte Folded Reload
	s_waitcnt vmcnt(0)
	global_store_b128 v[52:53], v[16:19], off
	s_clause 0x1
	scratch_load_b128 v[16:19], v216, off
	;; [unrolled: 6-line block ×8, first 2 shown]
	scratch_load_b128 v[64:67], v176, off
	global_store_b128 v[68:69], v[180:183], off
	s_clause 0x1
	scratch_load_b128 v[175:178], v175, off
	scratch_load_b128 v[179:182], v198, off
	global_store_b128 v[70:71], v[184:187], off
	s_clause 0x1
	scratch_load_b128 v[68:71], v51, off
	;; [unrolled: 4-line block ×7, first 2 shown]
	scratch_load_b128 v[84:87], v215, off
	scratch_load_b64 v[187:188], off, off offset:1044 ; 8-byte Folded Reload
	s_waitcnt vmcnt(0)
	s_clause 0x1
	global_store_b128 v[187:188], v[233:236], off
	global_store_b128 v[254:255], v[237:240], off
	scratch_load_b64 v[187:188], off, off offset:1052 ; 8-byte Folded Reload
	s_waitcnt vmcnt(0)
	s_clause 0x1f
	global_store_b128 v[187:188], v[241:244], off
	global_store_b128 v[88:89], v[245:248], off
	;; [unrolled: 1-line block ×32, first 2 shown]
	s_clause 0x7
	global_store_b128 v[152:153], v[72:75], off
	global_store_b128 v[154:155], v[202:205], off
	;; [unrolled: 1-line block ×8, first 2 shown]
	s_endpgm
	.section	.rodata,"a",@progbits
	.p2align	6, 0x0
	.amdhsa_kernel _ZN9rocsolver6v33100L18getri_kernel_smallILi60E19rocblas_complex_numIdEPS3_EEvT1_iilPiilS6_bb
		.amdhsa_group_segment_fixed_size 2952
		.amdhsa_private_segment_fixed_size 1072
		.amdhsa_kernarg_size 60
		.amdhsa_user_sgpr_count 15
		.amdhsa_user_sgpr_dispatch_ptr 1
		.amdhsa_user_sgpr_queue_ptr 0
		.amdhsa_user_sgpr_kernarg_segment_ptr 1
		.amdhsa_user_sgpr_dispatch_id 0
		.amdhsa_user_sgpr_private_segment_size 0
		.amdhsa_wavefront_size32 1
		.amdhsa_uses_dynamic_stack 0
		.amdhsa_enable_private_segment 1
		.amdhsa_system_sgpr_workgroup_id_x 1
		.amdhsa_system_sgpr_workgroup_id_y 0
		.amdhsa_system_sgpr_workgroup_id_z 0
		.amdhsa_system_sgpr_workgroup_info 0
		.amdhsa_system_vgpr_workitem_id 2
		.amdhsa_next_free_vgpr 256
		.amdhsa_next_free_sgpr 66
		.amdhsa_reserve_vcc 1
		.amdhsa_float_round_mode_32 0
		.amdhsa_float_round_mode_16_64 0
		.amdhsa_float_denorm_mode_32 3
		.amdhsa_float_denorm_mode_16_64 3
		.amdhsa_dx10_clamp 1
		.amdhsa_ieee_mode 1
		.amdhsa_fp16_overflow 0
		.amdhsa_workgroup_processor_mode 1
		.amdhsa_memory_ordered 1
		.amdhsa_forward_progress 0
		.amdhsa_shared_vgpr_count 0
		.amdhsa_exception_fp_ieee_invalid_op 0
		.amdhsa_exception_fp_denorm_src 0
		.amdhsa_exception_fp_ieee_div_zero 0
		.amdhsa_exception_fp_ieee_overflow 0
		.amdhsa_exception_fp_ieee_underflow 0
		.amdhsa_exception_fp_ieee_inexact 0
		.amdhsa_exception_int_div_zero 0
	.end_amdhsa_kernel
	.section	.text._ZN9rocsolver6v33100L18getri_kernel_smallILi60E19rocblas_complex_numIdEPS3_EEvT1_iilPiilS6_bb,"axG",@progbits,_ZN9rocsolver6v33100L18getri_kernel_smallILi60E19rocblas_complex_numIdEPS3_EEvT1_iilPiilS6_bb,comdat
.Lfunc_end59:
	.size	_ZN9rocsolver6v33100L18getri_kernel_smallILi60E19rocblas_complex_numIdEPS3_EEvT1_iilPiilS6_bb, .Lfunc_end59-_ZN9rocsolver6v33100L18getri_kernel_smallILi60E19rocblas_complex_numIdEPS3_EEvT1_iilPiilS6_bb
                                        ; -- End function
	.section	.AMDGPU.csdata,"",@progbits
; Kernel info:
; codeLenInByte = 157776
; NumSgprs: 68
; NumVgprs: 256
; ScratchSize: 1072
; MemoryBound: 0
; FloatMode: 240
; IeeeMode: 1
; LDSByteSize: 2952 bytes/workgroup (compile time only)
; SGPRBlocks: 8
; VGPRBlocks: 31
; NumSGPRsForWavesPerEU: 68
; NumVGPRsForWavesPerEU: 256
; Occupancy: 5
; WaveLimiterHint : 1
; COMPUTE_PGM_RSRC2:SCRATCH_EN: 1
; COMPUTE_PGM_RSRC2:USER_SGPR: 15
; COMPUTE_PGM_RSRC2:TRAP_HANDLER: 0
; COMPUTE_PGM_RSRC2:TGID_X_EN: 1
; COMPUTE_PGM_RSRC2:TGID_Y_EN: 0
; COMPUTE_PGM_RSRC2:TGID_Z_EN: 0
; COMPUTE_PGM_RSRC2:TIDIG_COMP_CNT: 2
	.section	.text._ZN9rocsolver6v33100L18getri_kernel_smallILi61E19rocblas_complex_numIdEPS3_EEvT1_iilPiilS6_bb,"axG",@progbits,_ZN9rocsolver6v33100L18getri_kernel_smallILi61E19rocblas_complex_numIdEPS3_EEvT1_iilPiilS6_bb,comdat
	.globl	_ZN9rocsolver6v33100L18getri_kernel_smallILi61E19rocblas_complex_numIdEPS3_EEvT1_iilPiilS6_bb ; -- Begin function _ZN9rocsolver6v33100L18getri_kernel_smallILi61E19rocblas_complex_numIdEPS3_EEvT1_iilPiilS6_bb
	.p2align	8
	.type	_ZN9rocsolver6v33100L18getri_kernel_smallILi61E19rocblas_complex_numIdEPS3_EEvT1_iilPiilS6_bb,@function
_ZN9rocsolver6v33100L18getri_kernel_smallILi61E19rocblas_complex_numIdEPS3_EEvT1_iilPiilS6_bb: ; @_ZN9rocsolver6v33100L18getri_kernel_smallILi61E19rocblas_complex_numIdEPS3_EEvT1_iilPiilS6_bb
; %bb.0:
	v_and_b32_e32 v171, 0x3ff, v0
	s_mov_b32 s4, exec_lo
	s_delay_alu instid0(VALU_DEP_1)
	v_cmpx_gt_u32_e32 61, v171
	s_cbranch_execz .LBB60_270
; %bb.1:
	s_mov_b32 s18, s15
	s_clause 0x2
	s_load_b32 s21, s[2:3], 0x38
	s_load_b128 s[12:15], s[2:3], 0x10
	s_load_b128 s[4:7], s[2:3], 0x28
                                        ; implicit-def: $sgpr16_sgpr17
	s_waitcnt lgkmcnt(0)
	s_bitcmp1_b32 s21, 8
	s_cselect_b32 s20, -1, 0
	s_bfe_u32 s8, s21, 0x10008
	s_ashr_i32 s19, s18, 31
	s_cmp_eq_u32 s8, 0
	s_cbranch_scc1 .LBB60_3
; %bb.2:
	s_load_b32 s8, s[2:3], 0x20
	s_mul_i32 s5, s18, s5
	s_mul_hi_u32 s9, s18, s4
	s_mul_i32 s10, s19, s4
	s_add_i32 s5, s9, s5
	s_mul_i32 s4, s18, s4
	s_add_i32 s5, s5, s10
	s_delay_alu instid0(SALU_CYCLE_1)
	s_lshl_b64 s[4:5], s[4:5], 2
	s_waitcnt lgkmcnt(0)
	s_ashr_i32 s9, s8, 31
	s_add_u32 s10, s14, s4
	s_addc_u32 s11, s15, s5
	s_lshl_b64 s[4:5], s[8:9], 2
	s_delay_alu instid0(SALU_CYCLE_1)
	s_add_u32 s16, s10, s4
	s_addc_u32 s17, s11, s5
.LBB60_3:
	s_load_b128 s[8:11], s[2:3], 0x0
	s_mul_i32 s2, s18, s13
	s_mul_hi_u32 s3, s18, s12
	s_mul_i32 s4, s19, s12
	s_add_i32 s3, s3, s2
	s_mul_i32 s2, s18, s12
	s_add_i32 s3, s3, s4
	v_lshlrev_b32_e32 v229, 4, v171
	s_lshl_b64 s[2:3], s[2:3], 4
	s_movk_i32 s12, 0xd0
	s_movk_i32 s13, 0xe0
	;; [unrolled: 1-line block ×11, first 2 shown]
	s_waitcnt lgkmcnt(0)
	v_add3_u32 v5, s11, s11, v171
	s_ashr_i32 s5, s10, 31
	s_mov_b32 s4, s10
	s_add_u32 s8, s8, s2
	s_addc_u32 s9, s9, s3
	v_add_nc_u32_e32 v7, s11, v5
	s_lshl_b64 s[2:3], s[4:5], 4
	v_ashrrev_i32_e32 v6, 31, v5
	s_add_u32 s2, s8, s2
	s_addc_u32 s3, s9, s3
	v_add_nc_u32_e32 v9, s11, v7
	v_add_co_u32 v53, s8, s2, v229
	v_ashrrev_i32_e32 v8, 31, v7
	s_mov_b32 s4, s11
	s_ashr_i32 s5, s11, 31
	v_add_co_ci_u32_e64 v54, null, s3, 0, s8
	v_lshlrev_b64 v[11:12], 4, v[5:6]
	s_lshl_b64 s[4:5], s[4:5], 4
	v_add_nc_u32_e32 v15, s11, v9
	v_add_co_u32 v95, vcc_lo, v53, s4
	v_lshlrev_b64 v[13:14], 4, v[7:8]
	v_ashrrev_i32_e32 v10, 31, v9
	v_add_co_ci_u32_e32 v96, vcc_lo, s5, v54, vcc_lo
	v_add_co_u32 v97, vcc_lo, s2, v11
	v_ashrrev_i32_e32 v16, 31, v15
	v_add_nc_u32_e32 v11, s11, v15
	v_add_co_ci_u32_e32 v98, vcc_lo, s3, v12, vcc_lo
	v_lshlrev_b64 v[9:10], 4, v[9:10]
	v_add_co_u32 v99, vcc_lo, s2, v13
	v_add_co_ci_u32_e32 v100, vcc_lo, s3, v14, vcc_lo
	v_lshlrev_b64 v[13:14], 4, v[15:16]
	v_ashrrev_i32_e32 v12, 31, v11
	v_add_nc_u32_e32 v15, s11, v11
	v_add_co_u32 v101, vcc_lo, s2, v9
	v_add_co_ci_u32_e32 v102, vcc_lo, s3, v10, vcc_lo
	s_delay_alu instid0(VALU_DEP_4) | instskip(NEXT) | instid1(VALU_DEP_4)
	v_lshlrev_b64 v[9:10], 4, v[11:12]
	v_ashrrev_i32_e32 v16, 31, v15
	v_add_nc_u32_e32 v11, s11, v15
	v_add_co_u32 v17, vcc_lo, s2, v13
	v_add_co_ci_u32_e32 v18, vcc_lo, s3, v14, vcc_lo
	s_delay_alu instid0(VALU_DEP_4) | instskip(NEXT) | instid1(VALU_DEP_4)
	;; [unrolled: 6-line block ×12, first 2 shown]
	v_lshlrev_b64 v[13:14], 4, v[15:16]
	v_ashrrev_i32_e32 v12, 31, v11
	v_add_nc_u32_e32 v15, s11, v11
	s_clause 0x3
	global_load_b128 v[1:4], v229, s[2:3]
	global_load_b128 v[5:8], v[95:96], off
	global_load_b128 v[141:144], v[97:98], off
	;; [unrolled: 1-line block ×3, first 2 shown]
	s_clause 0x2
	scratch_store_b64 off, v[17:18], off offset:1024
	scratch_store_b64 off, v[19:20], off offset:1032
	;; [unrolled: 1-line block ×3, first 2 shown]
	s_clause 0x1
	global_load_b128 v[153:156], v[17:18], off
	global_load_b128 v[157:160], v[19:20], off
	v_add_co_u32 v17, vcc_lo, s2, v9
	v_add_co_ci_u32_e32 v18, vcc_lo, s3, v10, vcc_lo
	v_lshlrev_b64 v[9:10], 4, v[11:12]
	v_ashrrev_i32_e32 v16, 31, v15
	v_add_nc_u32_e32 v11, s11, v15
	v_add_co_u32 v19, vcc_lo, s2, v13
	v_add_co_ci_u32_e32 v20, vcc_lo, s3, v14, vcc_lo
	s_delay_alu instid0(VALU_DEP_4) | instskip(NEXT) | instid1(VALU_DEP_4)
	v_lshlrev_b64 v[13:14], 4, v[15:16]
	v_ashrrev_i32_e32 v12, 31, v11
	v_add_nc_u32_e32 v15, s11, v11
	s_clause 0x3
	global_load_b128 v[149:152], v[101:102], off
	global_load_b128 v[161:164], v[81:82], off
	global_load_b128 v[165:168], v[21:22], off
	global_load_b128 v[172:175], v[71:72], off
	v_add_co_u32 v21, vcc_lo, s2, v9
	v_add_co_ci_u32_e32 v22, vcc_lo, s3, v10, vcc_lo
	v_lshlrev_b64 v[9:10], 4, v[11:12]
	v_ashrrev_i32_e32 v16, 31, v15
	v_add_nc_u32_e32 v11, s11, v15
	v_add_co_u32 v23, vcc_lo, s2, v13
	v_add_co_ci_u32_e32 v24, vcc_lo, s3, v14, vcc_lo
	s_delay_alu instid0(VALU_DEP_4) | instskip(NEXT) | instid1(VALU_DEP_4)
	v_lshlrev_b64 v[13:14], 4, v[15:16]
	v_add_nc_u32_e32 v15, s11, v11
	v_ashrrev_i32_e32 v12, 31, v11
	v_add_co_u32 v25, vcc_lo, s2, v9
	v_add_co_ci_u32_e32 v26, vcc_lo, s3, v10, vcc_lo
	s_delay_alu instid0(VALU_DEP_4) | instskip(NEXT) | instid1(VALU_DEP_4)
	v_ashrrev_i32_e32 v16, 31, v15
	v_lshlrev_b64 v[9:10], 4, v[11:12]
	v_add_co_u32 v13, vcc_lo, s2, v13
	v_add_co_ci_u32_e32 v14, vcc_lo, s3, v14, vcc_lo
	s_delay_alu instid0(VALU_DEP_4) | instskip(NEXT) | instid1(VALU_DEP_4)
	v_lshlrev_b64 v[11:12], 4, v[15:16]
	v_add_co_u32 v9, vcc_lo, s2, v9
	v_add_co_ci_u32_e32 v10, vcc_lo, s3, v10, vcc_lo
	global_load_b128 v[176:179], v[73:74], off
	v_add_co_u32 v254, vcc_lo, s2, v11
	v_add_co_ci_u32_e32 v255, vcc_lo, s3, v12, vcc_lo
	s_clause 0x4
	global_load_b128 v[180:183], v[75:76], off
	global_load_b128 v[184:187], v[77:78], off
	;; [unrolled: 1-line block ×5, first 2 shown]
	s_clause 0x6
	scratch_store_b64 off, v[17:18], off offset:1048
	scratch_store_b64 off, v[19:20], off offset:1056
	;; [unrolled: 1-line block ×7, first 2 shown]
	s_clause 0x7
	global_load_b128 v[200:203], v[17:18], off
	global_load_b128 v[220:223], v[13:14], off
	;; [unrolled: 1-line block ×8, first 2 shown]
	v_add_nc_u32_e32 v9, s11, v15
	s_movk_i32 s10, 0xb0
	s_movk_i32 s4, 0x70
	;; [unrolled: 1-line block ×4, first 2 shown]
	v_add_nc_u32_e32 v11, s11, v9
	v_ashrrev_i32_e32 v10, 31, v9
	s_movk_i32 s9, 0xa0
	s_movk_i32 s29, 0x180
	;; [unrolled: 1-line block ×3, first 2 shown]
	v_ashrrev_i32_e32 v12, 31, v11
	v_lshlrev_b64 v[9:10], 4, v[9:10]
	v_add_nc_u32_e32 v13, s11, v11
	s_movk_i32 s31, 0x1a0
	s_movk_i32 s33, 0x1b0
	v_lshlrev_b64 v[11:12], 4, v[11:12]
	s_movk_i32 s34, 0x1c0
	v_add_co_u32 v14, vcc_lo, s2, v9
	v_add_co_ci_u32_e32 v15, vcc_lo, s3, v10, vcc_lo
	s_delay_alu instid0(VALU_DEP_3) | instskip(NEXT) | instid1(VALU_DEP_4)
	v_add_co_u32 v103, vcc_lo, s2, v11
	v_add_co_ci_u32_e32 v104, vcc_lo, s3, v12, vcc_lo
	v_add_nc_u32_e32 v9, s11, v13
	scratch_store_b64 off, v[14:15], off offset:1104 ; 8-byte Folded Spill
	s_clause 0x1
	global_load_b128 v[234:237], v[14:15], off
	global_load_b128 v[238:241], v[103:104], off
	v_ashrrev_i32_e32 v14, 31, v13
	v_ashrrev_i32_e32 v10, 31, v9
	s_movk_i32 s35, 0x1d0
	s_movk_i32 s36, 0x1e0
	;; [unrolled: 1-line block ×3, first 2 shown]
	v_lshlrev_b64 v[11:12], 4, v[13:14]
	v_lshlrev_b64 v[13:14], 4, v[9:10]
	v_add_nc_u32_e32 v9, s11, v9
	s_movk_i32 s38, 0x200
	s_movk_i32 s39, 0x210
	;; [unrolled: 1-line block ×3, first 2 shown]
	v_add_co_u32 v105, vcc_lo, s2, v11
	v_add_co_ci_u32_e32 v106, vcc_lo, s3, v12, vcc_lo
	v_add_co_u32 v107, vcc_lo, s2, v13
	v_add_co_ci_u32_e32 v108, vcc_lo, s3, v14, vcc_lo
	v_ashrrev_i32_e32 v10, 31, v9
	s_clause 0x1
	global_load_b128 v[37:40], v[105:106], off
	global_load_b128 v[49:52], v[107:108], off
	s_movk_i32 s41, 0x230
	s_movk_i32 s42, 0x240
	v_lshlrev_b64 v[10:11], 4, v[9:10]
	v_add_nc_u32_e32 v9, s11, v9
	s_movk_i32 s43, 0x250
	s_movk_i32 s44, 0x260
	;; [unrolled: 1-line block ×4, first 2 shown]
	v_add_co_u32 v109, vcc_lo, s2, v10
	v_add_co_ci_u32_e32 v110, vcc_lo, s3, v11, vcc_lo
	v_add_nc_u32_e32 v11, s11, v9
	v_ashrrev_i32_e32 v10, 31, v9
	s_movk_i32 s47, 0x290
	global_load_b128 v[33:36], v[109:110], off
	s_movk_i32 s48, 0x2a0
	v_add_nc_u32_e32 v13, s11, v11
	v_lshlrev_b64 v[9:10], 4, v[9:10]
	v_ashrrev_i32_e32 v12, 31, v11
	s_movk_i32 s49, 0x2b0
	s_movk_i32 s50, 0x2c0
	v_ashrrev_i32_e32 v14, 31, v13
	v_add_nc_u32_e32 v15, s11, v13
	v_add_co_u32 v111, vcc_lo, s2, v9
	v_add_co_ci_u32_e32 v112, vcc_lo, s3, v10, vcc_lo
	s_delay_alu instid0(VALU_DEP_4) | instskip(NEXT) | instid1(VALU_DEP_4)
	v_lshlrev_b64 v[9:10], 4, v[13:14]
	v_add_nc_u32_e32 v13, s11, v15
	v_lshlrev_b64 v[11:12], 4, v[11:12]
	v_ashrrev_i32_e32 v16, 31, v15
	s_movk_i32 s51, 0x2d0
	s_movk_i32 s52, 0x2e0
	v_add_nc_u32_e32 v21, s11, v13
	v_ashrrev_i32_e32 v14, 31, v13
	v_add_co_u32 v113, vcc_lo, s2, v11
	v_lshlrev_b64 v[15:16], 4, v[15:16]
	s_delay_alu instid0(VALU_DEP_4) | instskip(SKIP_3) | instid1(VALU_DEP_4)
	v_add_nc_u32_e32 v25, s11, v21
	v_ashrrev_i32_e32 v22, 31, v21
	v_add_co_ci_u32_e32 v114, vcc_lo, s3, v12, vcc_lo
	v_add_co_u32 v115, vcc_lo, s2, v9
	v_add_nc_u32_e32 v29, s11, v25
	v_lshlrev_b64 v[13:14], 4, v[13:14]
	v_ashrrev_i32_e32 v26, 31, v25
	v_add_co_ci_u32_e32 v116, vcc_lo, s3, v10, vcc_lo
	s_delay_alu instid0(VALU_DEP_4) | instskip(SKIP_3) | instid1(VALU_DEP_4)
	v_add_nc_u32_e32 v41, s11, v29
	v_add_co_u32 v117, vcc_lo, s2, v15
	v_lshlrev_b64 v[27:28], 4, v[21:22]
	v_ashrrev_i32_e32 v30, 31, v29
	v_add_nc_u32_e32 v45, s11, v41
	v_add_co_ci_u32_e32 v118, vcc_lo, s3, v16, vcc_lo
	v_add_co_u32 v119, vcc_lo, s2, v13
	v_lshlrev_b64 v[25:26], 4, v[25:26]
	v_ashrrev_i32_e32 v42, 31, v41
	v_add_co_ci_u32_e32 v120, vcc_lo, s3, v14, vcc_lo
	v_add_nc_u32_e32 v55, s11, v45
	v_add_co_u32 v121, vcc_lo, s2, v27
	v_lshlrev_b64 v[43:44], 4, v[29:30]
	v_ashrrev_i32_e32 v46, 31, v45
	v_add_co_ci_u32_e32 v122, vcc_lo, s3, v28, vcc_lo
	v_add_co_u32 v123, vcc_lo, s2, v25
	v_lshlrev_b64 v[41:42], 4, v[41:42]
	v_add_nc_u32_e32 v59, s11, v55
	v_add_co_ci_u32_e32 v124, vcc_lo, s3, v26, vcc_lo
	v_add_co_u32 v125, vcc_lo, s2, v43
	v_lshlrev_b64 v[57:58], 4, v[45:46]
	v_ashrrev_i32_e32 v56, 31, v55
	v_add_co_ci_u32_e32 v126, vcc_lo, s3, v44, vcc_lo
	v_add_co_u32 v127, vcc_lo, s2, v41
	v_ashrrev_i32_e32 v60, 31, v59
	v_add_nc_u32_e32 v61, s11, v59
	v_add_co_ci_u32_e32 v128, vcc_lo, s3, v42, vcc_lo
	v_lshlrev_b64 v[55:56], 4, v[55:56]
	v_add_co_u32 v129, vcc_lo, s2, v57
	v_add_co_ci_u32_e32 v130, vcc_lo, s3, v58, vcc_lo
	v_lshlrev_b64 v[57:58], 4, v[59:60]
	v_ashrrev_i32_e32 v62, 31, v61
	v_add_nc_u32_e32 v59, s11, v61
	v_add_co_u32 v131, vcc_lo, s2, v55
	v_add_co_ci_u32_e32 v132, vcc_lo, s3, v56, vcc_lo
	s_delay_alu instid0(VALU_DEP_4) | instskip(NEXT) | instid1(VALU_DEP_4)
	v_lshlrev_b64 v[55:56], 4, v[61:62]
	v_ashrrev_i32_e32 v60, 31, v59
	v_add_nc_u32_e32 v61, s11, v59
	v_add_co_u32 v133, vcc_lo, s2, v57
	v_add_co_ci_u32_e32 v134, vcc_lo, s3, v58, vcc_lo
	s_delay_alu instid0(VALU_DEP_4) | instskip(NEXT) | instid1(VALU_DEP_4)
	;; [unrolled: 6-line block ×3, first 2 shown]
	v_lshlrev_b64 v[55:56], 4, v[61:62]
	v_add_nc_u32_e32 v61, s11, v59
	v_ashrrev_i32_e32 v60, 31, v59
	v_add_co_u32 v137, vcc_lo, s2, v57
	v_add_co_ci_u32_e32 v138, vcc_lo, s3, v58, vcc_lo
	s_delay_alu instid0(VALU_DEP_4) | instskip(SKIP_3) | instid1(VALU_DEP_4)
	v_add_nc_u32_e32 v63, s11, v61
	v_ashrrev_i32_e32 v62, 31, v61
	v_lshlrev_b64 v[59:60], 4, v[59:60]
	v_add_co_u32 v139, vcc_lo, s2, v55
	v_add_nc_u32_e32 v67, s11, v63
	v_ashrrev_i32_e32 v64, 31, v63
	v_lshlrev_b64 v[61:62], 4, v[61:62]
	s_clause 0x3
	global_load_b128 v[17:20], v[111:112], off
	global_load_b128 v[9:12], v[113:114], off
	;; [unrolled: 1-line block ×4, first 2 shown]
	v_add_nc_u32_e32 v85, s11, v67
	v_ashrrev_i32_e32 v68, 31, v67
	s_clause 0x5
	global_load_b128 v[29:32], v[119:120], off
	global_load_b128 v[25:28], v[121:122], off
	;; [unrolled: 1-line block ×6, first 2 shown]
	v_add_co_ci_u32_e32 v140, vcc_lo, s3, v56, vcc_lo
	v_add_nc_u32_e32 v89, s11, v85
	v_lshlrev_b64 v[69:70], 4, v[63:64]
	v_ashrrev_i32_e32 v86, 31, v85
	v_lshlrev_b64 v[67:68], 4, v[67:68]
	s_movk_i32 s53, 0x2f0
	v_ashrrev_i32_e32 v90, 31, v89
	v_add_nc_u32_e32 v91, s11, v89
	v_lshlrev_b64 v[85:86], 4, v[85:86]
	s_movk_i32 s54, 0x300
	s_movk_i32 s55, 0x310
	v_lshlrev_b64 v[89:90], 4, v[89:90]
	v_add_nc_u32_e32 v93, s11, v91
	v_ashrrev_i32_e32 v92, 31, v91
	s_movk_i32 s56, 0x320
	s_movk_i32 s57, 0x330
	;; [unrolled: 1-line block ×3, first 2 shown]
	v_ashrrev_i32_e32 v94, 31, v93
	s_movk_i32 s59, 0x350
	s_movk_i32 s60, 0x360
	s_movk_i32 s61, 0x370
	s_movk_i32 s62, 0x380
	s_movk_i32 s63, 0x390
	s_movk_i32 s64, 0x3a0
	s_movk_i32 s65, 0x3b0
	s_movk_i32 s66, 0x3c0
	s_bitcmp0_b32 s21, 0
	s_waitcnt vmcnt(38)
	scratch_store_b128 off, v[1:4], off
	s_clause 0x1
	global_load_b128 v[1:4], v[131:132], off
	global_load_b128 v[250:253], v[133:134], off
	s_waitcnt vmcnt(39)
	scratch_store_b128 off, v[5:8], off offset:16
	s_waitcnt vmcnt(38)
	scratch_store_b128 off, v[141:144], off offset:32
	;; [unrolled: 2-line block ×3, first 2 shown]
	v_add_co_u32 v141, vcc_lo, s2, v59
	v_add_co_ci_u32_e32 v142, vcc_lo, s3, v60, vcc_lo
	v_add_co_u32 v143, vcc_lo, s2, v61
	v_add_co_ci_u32_e32 v144, vcc_lo, s3, v62, vcc_lo
	;; [unrolled: 2-line block ×4, first 2 shown]
	s_clause 0x1
	global_load_b128 v[5:8], v[135:136], off
	global_load_b128 v[55:58], v[137:138], off
	s_waitcnt vmcnt(36)
	scratch_store_b128 off, v[149:152], off offset:64
	v_add_co_u32 v149, vcc_lo, s2, v85
	v_add_co_ci_u32_e32 v150, vcc_lo, s3, v86, vcc_lo
	v_add_co_u32 v151, vcc_lo, s2, v89
	v_add_nc_u32_e32 v89, s11, v93
	v_lshlrev_b64 v[85:86], 4, v[91:92]
	v_add_co_ci_u32_e32 v152, vcc_lo, s3, v90, vcc_lo
	v_lshlrev_b64 v[91:92], 4, v[93:94]
	s_delay_alu instid0(VALU_DEP_4)
	v_ashrrev_i32_e32 v90, 31, v89
	s_clause 0x1
	scratch_store_b128 off, v[153:156], off offset:80
	scratch_store_b128 off, v[157:160], off offset:96
	v_add_co_u32 v153, vcc_lo, s2, v85
	v_add_co_ci_u32_e32 v154, vcc_lo, s3, v86, vcc_lo
	v_lshlrev_b64 v[85:86], 4, v[89:90]
	v_add_nc_u32_e32 v93, s11, v89
	v_add_co_u32 v155, vcc_lo, s2, v91
	v_add_co_ci_u32_e32 v156, vcc_lo, s3, v92, vcc_lo
	s_delay_alu instid0(VALU_DEP_4) | instskip(NEXT) | instid1(VALU_DEP_4)
	v_add_co_u32 v157, vcc_lo, s2, v85
	v_add_nc_u32_e32 v85, s11, v93
	v_ashrrev_i32_e32 v94, 31, v93
	v_add_co_ci_u32_e32 v158, vcc_lo, s3, v86, vcc_lo
	s_clause 0x1
	global_load_b128 v[59:62], v[139:140], off
	global_load_b128 v[63:66], v[141:142], off
	v_add_nc_u32_e32 v91, s11, v85
	v_lshlrev_b64 v[89:90], 4, v[93:94]
	v_ashrrev_i32_e32 v86, 31, v85
	s_waitcnt vmcnt(37)
	scratch_store_b128 off, v[161:164], off offset:112
	s_waitcnt vmcnt(36)
	scratch_store_b128 off, v[165:168], off offset:128
	;; [unrolled: 2-line block ×3, first 2 shown]
	v_ashrrev_i32_e32 v92, 31, v91
	v_add_nc_u32_e32 v93, s11, v91
	v_lshlrev_b64 v[85:86], 4, v[85:86]
	v_add_co_u32 v159, vcc_lo, s2, v89
	v_add_co_ci_u32_e32 v160, vcc_lo, s3, v90, vcc_lo
	v_lshlrev_b64 v[89:90], 4, v[91:92]
	v_ashrrev_i32_e32 v94, 31, v93
	v_add_nc_u32_e32 v91, s11, v93
	v_add_co_u32 v161, vcc_lo, s2, v85
	v_add_co_ci_u32_e32 v162, vcc_lo, s3, v86, vcc_lo
	s_delay_alu instid0(VALU_DEP_4) | instskip(NEXT) | instid1(VALU_DEP_4)
	v_lshlrev_b64 v[85:86], 4, v[93:94]
	v_ashrrev_i32_e32 v92, 31, v91
	v_add_co_u32 v163, vcc_lo, s2, v89
	v_add_co_ci_u32_e32 v164, vcc_lo, s3, v90, vcc_lo
	s_delay_alu instid0(VALU_DEP_3) | instskip(SKIP_3) | instid1(VALU_DEP_4)
	v_lshlrev_b64 v[89:90], 4, v[91:92]
	v_add_co_u32 v165, vcc_lo, s2, v85
	v_add_nc_u32_e32 v85, s11, v91
	v_add_co_ci_u32_e32 v166, vcc_lo, s3, v86, vcc_lo
	v_add_co_u32 v167, vcc_lo, s2, v89
	s_delay_alu instid0(VALU_DEP_3)
	v_add_nc_u32_e32 v89, s11, v85
	v_ashrrev_i32_e32 v86, 31, v85
	v_add_co_ci_u32_e32 v168, vcc_lo, s3, v90, vcc_lo
	s_clause 0x1
	global_load_b128 v[172:175], v[143:144], off
	global_load_b128 v[67:70], v[145:146], off
	v_add_nc_u32_e32 v91, s11, v89
	v_ashrrev_i32_e32 v90, 31, v89
	s_waitcnt vmcnt(36)
	scratch_store_b128 off, v[176:179], off offset:160
	s_waitcnt vmcnt(35)
	scratch_store_b128 off, v[180:183], off offset:176
	;; [unrolled: 2-line block ×3, first 2 shown]
	s_clause 0x1
	global_load_b128 v[176:179], v[147:148], off
	global_load_b128 v[180:183], v[149:150], off
	s_waitcnt vmcnt(35)
	scratch_store_b128 off, v[188:191], off offset:208
	s_waitcnt vmcnt(34)
	scratch_store_b128 off, v[192:195], off offset:224
	s_waitcnt vmcnt(33)
	scratch_store_b128 off, v[196:199], off offset:240
	v_lshlrev_b64 v[85:86], 4, v[85:86]
	s_clause 0x1
	global_load_b128 v[184:187], v[151:152], off
	global_load_b128 v[188:191], v[153:154], off
	s_waitcnt vmcnt(34)
	scratch_store_b128 off, v[200:203], off offset:256
	s_waitcnt vmcnt(32)
	scratch_store_b128 off, v[204:207], off offset:272
	;; [unrolled: 2-line block ×3, first 2 shown]
	v_ashrrev_i32_e32 v92, 31, v91
	s_clause 0x1
	global_load_b128 v[192:195], v[155:156], off
	global_load_b128 v[196:199], v[157:158], off
	s_waitcnt vmcnt(32)
	scratch_store_b128 off, v[212:215], off offset:304
	s_waitcnt vmcnt(31)
	s_clause 0x1
	scratch_store_b128 off, v[216:219], off offset:320
	scratch_store_b128 off, v[220:223], off offset:336
	s_waitcnt vmcnt(30)
	scratch_store_b128 off, v[224:227], off offset:352
	s_waitcnt vmcnt(29)
	scratch_store_b128 off, v[230:233], off offset:368
	s_clause 0x3
	global_load_b128 v[225:228], v[159:160], off
	global_load_b128 v[230:233], v[161:162], off
	;; [unrolled: 1-line block ×4, first 2 shown]
	s_waitcnt vmcnt(32)
	scratch_store_b128 off, v[234:237], off offset:384
	s_waitcnt vmcnt(31)
	scratch_store_b128 off, v[238:241], off offset:400
	global_load_b128 v[234:237], v[167:168], off
	s_waitcnt vmcnt(31)
	scratch_store_b128 off, v[37:40], off offset:416
	s_waitcnt vmcnt(30)
	scratch_store_b128 off, v[49:52], off offset:432
	v_lshlrev_b64 v[37:38], 4, v[89:90]
	v_add_co_u32 v49, vcc_lo, s2, v85
	v_lshlrev_b64 v[39:40], 4, v[91:92]
	v_add_co_ci_u32_e32 v50, vcc_lo, s3, v86, vcc_lo
	s_delay_alu instid0(VALU_DEP_4) | instskip(SKIP_1) | instid1(VALU_DEP_4)
	v_add_co_u32 v51, vcc_lo, s2, v37
	v_add_co_ci_u32_e32 v52, vcc_lo, s3, v38, vcc_lo
	v_add_co_u32 v169, vcc_lo, s2, v39
	v_add_co_ci_u32_e32 v170, vcc_lo, s3, v40, vcc_lo
	s_clause 0x1
	global_load_b128 v[37:40], v[49:50], off
	global_load_b128 v[238:241], v[51:52], off
	s_waitcnt vmcnt(31)
	scratch_store_b128 off, v[33:36], off offset:448
	s_movk_i32 s11, 0xc0
	global_load_b128 v[33:36], v[169:170], off
	s_movk_i32 s2, 0x50
	s_movk_i32 s3, 0x60
	v_add_nc_u32_e64 v224, 0, 16
	v_add_nc_u32_e64 v223, 0, 32
	;; [unrolled: 1-line block ×17, first 2 shown]
	s_mov_b32 s3, -1
	s_waitcnt vmcnt(31)
	scratch_store_b128 off, v[17:20], off offset:464
	s_waitcnt vmcnt(30)
	scratch_store_b128 off, v[9:12], off offset:480
	;; [unrolled: 2-line block ×3, first 2 shown]
	v_add_nc_u32_e64 v9, s10, 0
	scratch_store_b32 off, v9, off offset:1020 ; 4-byte Folded Spill
	v_add_nc_u32_e64 v9, s11, 0
	scratch_store_b32 off, v9, off offset:1016 ; 4-byte Folded Spill
	s_waitcnt vmcnt(28)
	scratch_store_b128 off, v[13:16], off offset:512
	v_add_nc_u32_e64 v9, s12, 0
	scratch_store_b32 off, v9, off offset:1012 ; 4-byte Folded Spill
	v_add_nc_u32_e64 v9, s13, 0
	scratch_store_b32 off, v9, off offset:1008 ; 4-byte Folded Spill
	v_add_nc_u32_e64 v9, s14, 0
	scratch_store_b32 off, v9, off offset:1004 ; 4-byte Folded Spill
	v_add_nc_u32_e64 v9, s15, 0
	scratch_store_b32 off, v9, off offset:1000 ; 4-byte Folded Spill
	s_waitcnt vmcnt(27)
	scratch_store_b128 off, v[29:32], off offset:528
	v_add_nc_u32_e64 v9, s22, 0
	scratch_store_b32 off, v9, off offset:996 ; 4-byte Folded Spill
	v_add_nc_u32_e64 v9, s23, 0
	scratch_store_b32 off, v9, off offset:992 ; 4-byte Folded Spill
	;; [unrolled: 10-line block ×3, first 2 shown]
	s_waitcnt vmcnt(25)
	scratch_store_b128 off, v[41:44], off offset:560
	s_waitcnt vmcnt(24)
	scratch_store_b128 off, v[45:48], off offset:576
	;; [unrolled: 2-line block ×23, first 2 shown]
	v_add_nc_u32_e64 v206, s28, 0
	v_add_nc_u32_e64 v201, s29, 0
	;; [unrolled: 1-line block ×31, first 2 shown]
	s_waitcnt vmcnt(2)
	scratch_store_b128 off, v[37:40], off offset:928
	s_waitcnt vmcnt(1)
	scratch_store_b128 off, v[238:241], off offset:944
	s_waitcnt vmcnt(0)
	scratch_store_b128 off, v[33:36], off offset:960
	s_cbranch_scc1 .LBB60_268
; %bb.4:
	v_cmp_eq_u32_e64 s2, 0, v171
	s_delay_alu instid0(VALU_DEP_1)
	s_and_saveexec_b32 s3, s2
	s_cbranch_execz .LBB60_6
; %bb.5:
	v_mov_b32_e32 v1, 0
	ds_store_b32 v1, v1 offset:1952
.LBB60_6:
	s_or_b32 exec_lo, exec_lo, s3
	s_waitcnt lgkmcnt(0)
	s_waitcnt_vscnt null, 0x0
	s_barrier
	buffer_gl0_inv
	scratch_load_b128 v[1:4], v229, off
	s_waitcnt vmcnt(0)
	v_cmp_eq_f64_e32 vcc_lo, 0, v[1:2]
	v_cmp_eq_f64_e64 s3, 0, v[3:4]
	s_delay_alu instid0(VALU_DEP_1) | instskip(NEXT) | instid1(SALU_CYCLE_1)
	s_and_b32 s3, vcc_lo, s3
	s_and_saveexec_b32 s4, s3
	s_cbranch_execz .LBB60_10
; %bb.7:
	v_mov_b32_e32 v1, 0
	s_mov_b32 s5, 0
	ds_load_b32 v2, v1 offset:1952
	s_waitcnt lgkmcnt(0)
	v_readfirstlane_b32 s3, v2
	v_add_nc_u32_e32 v2, 1, v171
	s_delay_alu instid0(VALU_DEP_2) | instskip(NEXT) | instid1(VALU_DEP_1)
	s_cmp_eq_u32 s3, 0
	v_cmp_gt_i32_e32 vcc_lo, s3, v2
	s_cselect_b32 s8, -1, 0
	s_delay_alu instid0(SALU_CYCLE_1) | instskip(NEXT) | instid1(SALU_CYCLE_1)
	s_or_b32 s8, s8, vcc_lo
	s_and_b32 exec_lo, exec_lo, s8
	s_cbranch_execz .LBB60_10
; %bb.8:
	v_mov_b32_e32 v3, s3
.LBB60_9:                               ; =>This Inner Loop Header: Depth=1
	ds_cmpstore_rtn_b32 v3, v1, v2, v3 offset:1952
	s_waitcnt lgkmcnt(0)
	v_cmp_ne_u32_e32 vcc_lo, 0, v3
	v_cmp_le_i32_e64 s3, v3, v2
	s_delay_alu instid0(VALU_DEP_1) | instskip(NEXT) | instid1(SALU_CYCLE_1)
	s_and_b32 s3, vcc_lo, s3
	s_and_b32 s3, exec_lo, s3
	s_delay_alu instid0(SALU_CYCLE_1) | instskip(NEXT) | instid1(SALU_CYCLE_1)
	s_or_b32 s5, s3, s5
	s_and_not1_b32 exec_lo, exec_lo, s5
	s_cbranch_execnz .LBB60_9
.LBB60_10:
	s_or_b32 exec_lo, exec_lo, s4
	v_mov_b32_e32 v1, 0
	s_barrier
	buffer_gl0_inv
	ds_load_b32 v2, v1 offset:1952
	s_and_saveexec_b32 s3, s2
	s_cbranch_execz .LBB60_12
; %bb.11:
	s_lshl_b64 s[4:5], s[18:19], 2
	s_delay_alu instid0(SALU_CYCLE_1)
	s_add_u32 s4, s6, s4
	s_addc_u32 s5, s7, s5
	s_waitcnt lgkmcnt(0)
	global_store_b32 v1, v2, s[4:5]
.LBB60_12:
	s_or_b32 exec_lo, exec_lo, s3
	s_waitcnt lgkmcnt(0)
	v_cmp_ne_u32_e32 vcc_lo, 0, v2
	s_mov_b32 s3, 0
	s_cbranch_vccnz .LBB60_268
; %bb.13:
	v_add_nc_u32_e32 v13, 0, v229
                                        ; implicit-def: $vgpr9_vgpr10
	scratch_load_b128 v[1:4], v13, off
	s_waitcnt vmcnt(0)
	v_cmp_gt_f64_e32 vcc_lo, 0, v[1:2]
	v_xor_b32_e32 v6, 0x80000000, v2
	v_xor_b32_e32 v7, 0x80000000, v4
	s_delay_alu instid0(VALU_DEP_2) | instskip(SKIP_1) | instid1(VALU_DEP_3)
	v_cndmask_b32_e32 v6, v2, v6, vcc_lo
	v_cmp_gt_f64_e32 vcc_lo, 0, v[3:4]
	v_dual_mov_b32 v5, v1 :: v_dual_cndmask_b32 v8, v4, v7
	v_mov_b32_e32 v7, v3
	s_delay_alu instid0(VALU_DEP_1) | instskip(SKIP_1) | instid1(SALU_CYCLE_1)
	v_cmp_ngt_f64_e32 vcc_lo, v[5:6], v[7:8]
                                        ; implicit-def: $vgpr5_vgpr6
	s_and_saveexec_b32 s3, vcc_lo
	s_xor_b32 s3, exec_lo, s3
	s_cbranch_execz .LBB60_15
; %bb.14:
	v_div_scale_f64 v[5:6], null, v[3:4], v[3:4], v[1:2]
	v_div_scale_f64 v[11:12], vcc_lo, v[1:2], v[3:4], v[1:2]
	s_delay_alu instid0(VALU_DEP_2) | instskip(SKIP_2) | instid1(VALU_DEP_1)
	v_rcp_f64_e32 v[7:8], v[5:6]
	s_waitcnt_depctr 0xfff
	v_fma_f64 v[9:10], -v[5:6], v[7:8], 1.0
	v_fma_f64 v[7:8], v[7:8], v[9:10], v[7:8]
	s_delay_alu instid0(VALU_DEP_1) | instskip(NEXT) | instid1(VALU_DEP_1)
	v_fma_f64 v[9:10], -v[5:6], v[7:8], 1.0
	v_fma_f64 v[7:8], v[7:8], v[9:10], v[7:8]
	s_delay_alu instid0(VALU_DEP_1) | instskip(NEXT) | instid1(VALU_DEP_1)
	v_mul_f64 v[9:10], v[11:12], v[7:8]
	v_fma_f64 v[5:6], -v[5:6], v[9:10], v[11:12]
	s_delay_alu instid0(VALU_DEP_1) | instskip(NEXT) | instid1(VALU_DEP_1)
	v_div_fmas_f64 v[5:6], v[5:6], v[7:8], v[9:10]
	v_div_fixup_f64 v[5:6], v[5:6], v[3:4], v[1:2]
	s_delay_alu instid0(VALU_DEP_1) | instskip(NEXT) | instid1(VALU_DEP_1)
	v_fma_f64 v[1:2], v[1:2], v[5:6], v[3:4]
	v_div_scale_f64 v[3:4], null, v[1:2], v[1:2], 1.0
	v_div_scale_f64 v[11:12], vcc_lo, 1.0, v[1:2], 1.0
	s_delay_alu instid0(VALU_DEP_2) | instskip(SKIP_2) | instid1(VALU_DEP_1)
	v_rcp_f64_e32 v[7:8], v[3:4]
	s_waitcnt_depctr 0xfff
	v_fma_f64 v[9:10], -v[3:4], v[7:8], 1.0
	v_fma_f64 v[7:8], v[7:8], v[9:10], v[7:8]
	s_delay_alu instid0(VALU_DEP_1) | instskip(NEXT) | instid1(VALU_DEP_1)
	v_fma_f64 v[9:10], -v[3:4], v[7:8], 1.0
	v_fma_f64 v[7:8], v[7:8], v[9:10], v[7:8]
	s_delay_alu instid0(VALU_DEP_1) | instskip(NEXT) | instid1(VALU_DEP_1)
	v_mul_f64 v[9:10], v[11:12], v[7:8]
	v_fma_f64 v[3:4], -v[3:4], v[9:10], v[11:12]
	s_delay_alu instid0(VALU_DEP_1) | instskip(NEXT) | instid1(VALU_DEP_1)
	v_div_fmas_f64 v[3:4], v[3:4], v[7:8], v[9:10]
	v_div_fixup_f64 v[7:8], v[3:4], v[1:2], 1.0
                                        ; implicit-def: $vgpr1_vgpr2
	s_delay_alu instid0(VALU_DEP_1) | instskip(SKIP_1) | instid1(VALU_DEP_2)
	v_mul_f64 v[5:6], v[5:6], v[7:8]
	v_xor_b32_e32 v8, 0x80000000, v8
	v_xor_b32_e32 v10, 0x80000000, v6
	s_delay_alu instid0(VALU_DEP_3)
	v_mov_b32_e32 v9, v5
.LBB60_15:
	s_and_not1_saveexec_b32 s3, s3
	s_cbranch_execz .LBB60_17
; %bb.16:
	v_div_scale_f64 v[5:6], null, v[1:2], v[1:2], v[3:4]
	v_div_scale_f64 v[11:12], vcc_lo, v[3:4], v[1:2], v[3:4]
	s_delay_alu instid0(VALU_DEP_2) | instskip(SKIP_2) | instid1(VALU_DEP_1)
	v_rcp_f64_e32 v[7:8], v[5:6]
	s_waitcnt_depctr 0xfff
	v_fma_f64 v[9:10], -v[5:6], v[7:8], 1.0
	v_fma_f64 v[7:8], v[7:8], v[9:10], v[7:8]
	s_delay_alu instid0(VALU_DEP_1) | instskip(NEXT) | instid1(VALU_DEP_1)
	v_fma_f64 v[9:10], -v[5:6], v[7:8], 1.0
	v_fma_f64 v[7:8], v[7:8], v[9:10], v[7:8]
	s_delay_alu instid0(VALU_DEP_1) | instskip(NEXT) | instid1(VALU_DEP_1)
	v_mul_f64 v[9:10], v[11:12], v[7:8]
	v_fma_f64 v[5:6], -v[5:6], v[9:10], v[11:12]
	s_delay_alu instid0(VALU_DEP_1) | instskip(NEXT) | instid1(VALU_DEP_1)
	v_div_fmas_f64 v[5:6], v[5:6], v[7:8], v[9:10]
	v_div_fixup_f64 v[7:8], v[5:6], v[1:2], v[3:4]
	s_delay_alu instid0(VALU_DEP_1) | instskip(NEXT) | instid1(VALU_DEP_1)
	v_fma_f64 v[1:2], v[3:4], v[7:8], v[1:2]
	v_div_scale_f64 v[3:4], null, v[1:2], v[1:2], 1.0
	s_delay_alu instid0(VALU_DEP_1) | instskip(SKIP_2) | instid1(VALU_DEP_1)
	v_rcp_f64_e32 v[5:6], v[3:4]
	s_waitcnt_depctr 0xfff
	v_fma_f64 v[9:10], -v[3:4], v[5:6], 1.0
	v_fma_f64 v[5:6], v[5:6], v[9:10], v[5:6]
	s_delay_alu instid0(VALU_DEP_1) | instskip(NEXT) | instid1(VALU_DEP_1)
	v_fma_f64 v[9:10], -v[3:4], v[5:6], 1.0
	v_fma_f64 v[5:6], v[5:6], v[9:10], v[5:6]
	v_div_scale_f64 v[9:10], vcc_lo, 1.0, v[1:2], 1.0
	s_delay_alu instid0(VALU_DEP_1) | instskip(NEXT) | instid1(VALU_DEP_1)
	v_mul_f64 v[11:12], v[9:10], v[5:6]
	v_fma_f64 v[3:4], -v[3:4], v[11:12], v[9:10]
	s_delay_alu instid0(VALU_DEP_1) | instskip(NEXT) | instid1(VALU_DEP_1)
	v_div_fmas_f64 v[3:4], v[3:4], v[5:6], v[11:12]
	v_div_fixup_f64 v[5:6], v[3:4], v[1:2], 1.0
	s_delay_alu instid0(VALU_DEP_1)
	v_mul_f64 v[7:8], v[7:8], -v[5:6]
	v_xor_b32_e32 v10, 0x80000000, v6
	v_mov_b32_e32 v9, v5
.LBB60_17:
	s_or_b32 exec_lo, exec_lo, s3
	scratch_store_b128 v13, v[5:8], off
	scratch_load_b128 v[1:4], v224, off
	v_xor_b32_e32 v12, 0x80000000, v8
	v_mov_b32_e32 v11, v7
	v_add_nc_u32_e32 v5, 0x3d0, v229
	ds_store_b128 v229, v[9:12]
	s_waitcnt vmcnt(0)
	ds_store_b128 v229, v[1:4] offset:976
	s_waitcnt lgkmcnt(0)
	s_waitcnt_vscnt null, 0x0
	s_barrier
	buffer_gl0_inv
	s_and_saveexec_b32 s3, s2
	s_cbranch_execz .LBB60_19
; %bb.18:
	scratch_load_b128 v[1:4], v13, off
	ds_load_b128 v[6:9], v5
	v_mov_b32_e32 v10, 0
	ds_load_b128 v[14:17], v10 offset:16
	s_waitcnt vmcnt(0) lgkmcnt(1)
	v_mul_f64 v[10:11], v[6:7], v[3:4]
	v_mul_f64 v[3:4], v[8:9], v[3:4]
	s_delay_alu instid0(VALU_DEP_2) | instskip(NEXT) | instid1(VALU_DEP_2)
	v_fma_f64 v[8:9], v[8:9], v[1:2], v[10:11]
	v_fma_f64 v[1:2], v[6:7], v[1:2], -v[3:4]
	s_delay_alu instid0(VALU_DEP_2) | instskip(NEXT) | instid1(VALU_DEP_2)
	v_add_f64 v[3:4], v[8:9], 0
	v_add_f64 v[1:2], v[1:2], 0
	s_waitcnt lgkmcnt(0)
	s_delay_alu instid0(VALU_DEP_2) | instskip(NEXT) | instid1(VALU_DEP_2)
	v_mul_f64 v[6:7], v[3:4], v[16:17]
	v_mul_f64 v[8:9], v[1:2], v[16:17]
	s_delay_alu instid0(VALU_DEP_2) | instskip(NEXT) | instid1(VALU_DEP_2)
	v_fma_f64 v[1:2], v[1:2], v[14:15], -v[6:7]
	v_fma_f64 v[3:4], v[3:4], v[14:15], v[8:9]
	scratch_store_b128 off, v[1:4], off offset:16
.LBB60_19:
	s_or_b32 exec_lo, exec_lo, s3
	s_waitcnt_vscnt null, 0x0
	s_barrier
	buffer_gl0_inv
	scratch_load_b128 v[1:4], v223, off
	v_cmp_gt_u32_e32 vcc_lo, 2, v171
	s_waitcnt vmcnt(0)
	ds_store_b128 v5, v[1:4]
	s_waitcnt lgkmcnt(0)
	s_barrier
	buffer_gl0_inv
	s_and_saveexec_b32 s3, vcc_lo
	s_cbranch_execz .LBB60_23
; %bb.20:
	scratch_load_b128 v[1:4], v13, off
	ds_load_b128 v[6:9], v5
	s_waitcnt vmcnt(0) lgkmcnt(0)
	v_mul_f64 v[10:11], v[8:9], v[3:4]
	v_mul_f64 v[3:4], v[6:7], v[3:4]
	s_delay_alu instid0(VALU_DEP_2) | instskip(NEXT) | instid1(VALU_DEP_2)
	v_fma_f64 v[6:7], v[6:7], v[1:2], -v[10:11]
	v_fma_f64 v[3:4], v[8:9], v[1:2], v[3:4]
	s_delay_alu instid0(VALU_DEP_2) | instskip(NEXT) | instid1(VALU_DEP_2)
	v_add_f64 v[1:2], v[6:7], 0
	v_add_f64 v[3:4], v[3:4], 0
	s_and_saveexec_b32 s4, s2
	s_cbranch_execz .LBB60_22
; %bb.21:
	scratch_load_b128 v[6:9], off, off offset:16
	v_mov_b32_e32 v10, 0
	ds_load_b128 v[14:17], v10 offset:992
	s_waitcnt vmcnt(0) lgkmcnt(0)
	v_mul_f64 v[10:11], v[14:15], v[8:9]
	v_mul_f64 v[8:9], v[16:17], v[8:9]
	s_delay_alu instid0(VALU_DEP_2) | instskip(NEXT) | instid1(VALU_DEP_2)
	v_fma_f64 v[10:11], v[16:17], v[6:7], v[10:11]
	v_fma_f64 v[6:7], v[14:15], v[6:7], -v[8:9]
	s_delay_alu instid0(VALU_DEP_2) | instskip(NEXT) | instid1(VALU_DEP_2)
	v_add_f64 v[3:4], v[3:4], v[10:11]
	v_add_f64 v[1:2], v[1:2], v[6:7]
.LBB60_22:
	s_or_b32 exec_lo, exec_lo, s4
	v_mov_b32_e32 v6, 0
	ds_load_b128 v[6:9], v6 offset:32
	s_waitcnt lgkmcnt(0)
	v_mul_f64 v[10:11], v[3:4], v[8:9]
	v_mul_f64 v[8:9], v[1:2], v[8:9]
	s_delay_alu instid0(VALU_DEP_2) | instskip(NEXT) | instid1(VALU_DEP_2)
	v_fma_f64 v[1:2], v[1:2], v[6:7], -v[10:11]
	v_fma_f64 v[3:4], v[3:4], v[6:7], v[8:9]
	scratch_store_b128 off, v[1:4], off offset:32
.LBB60_23:
	s_or_b32 exec_lo, exec_lo, s3
	s_waitcnt_vscnt null, 0x0
	s_barrier
	buffer_gl0_inv
	scratch_load_b128 v[1:4], v209, off
	v_add_nc_u32_e32 v6, -1, v171
	s_mov_b32 s4, exec_lo
	s_waitcnt vmcnt(0)
	ds_store_b128 v5, v[1:4]
	s_waitcnt lgkmcnt(0)
	s_barrier
	buffer_gl0_inv
	v_cmpx_gt_u32_e32 3, v171
	s_cbranch_execz .LBB60_27
; %bb.24:
	v_dual_mov_b32 v1, 0 :: v_dual_add_nc_u32 v8, 0x3d0, v229
	v_dual_mov_b32 v2, 0 :: v_dual_add_nc_u32 v7, -1, v171
	v_or_b32_e32 v9, 8, v13
	s_mov_b32 s5, 0
	s_delay_alu instid0(VALU_DEP_2)
	v_dual_mov_b32 v4, v2 :: v_dual_mov_b32 v3, v1
	.p2align	6
.LBB60_25:                              ; =>This Inner Loop Header: Depth=1
	scratch_load_b128 v[14:17], v9, off offset:-8
	ds_load_b128 v[18:21], v8
	v_add_nc_u32_e32 v7, 1, v7
	v_add_nc_u32_e32 v8, 16, v8
	v_add_nc_u32_e32 v9, 16, v9
	s_delay_alu instid0(VALU_DEP_3) | instskip(NEXT) | instid1(VALU_DEP_1)
	v_cmp_lt_u32_e64 s3, 1, v7
	s_or_b32 s5, s3, s5
	s_waitcnt vmcnt(0) lgkmcnt(0)
	v_mul_f64 v[10:11], v[20:21], v[16:17]
	v_mul_f64 v[16:17], v[18:19], v[16:17]
	s_delay_alu instid0(VALU_DEP_2) | instskip(NEXT) | instid1(VALU_DEP_2)
	v_fma_f64 v[10:11], v[18:19], v[14:15], -v[10:11]
	v_fma_f64 v[14:15], v[20:21], v[14:15], v[16:17]
	s_delay_alu instid0(VALU_DEP_2) | instskip(NEXT) | instid1(VALU_DEP_2)
	v_add_f64 v[3:4], v[3:4], v[10:11]
	v_add_f64 v[1:2], v[1:2], v[14:15]
	s_and_not1_b32 exec_lo, exec_lo, s5
	s_cbranch_execnz .LBB60_25
; %bb.26:
	s_or_b32 exec_lo, exec_lo, s5
	v_mov_b32_e32 v7, 0
	ds_load_b128 v[7:10], v7 offset:48
	s_waitcnt lgkmcnt(0)
	v_mul_f64 v[11:12], v[1:2], v[9:10]
	v_mul_f64 v[14:15], v[3:4], v[9:10]
	s_delay_alu instid0(VALU_DEP_2) | instskip(NEXT) | instid1(VALU_DEP_2)
	v_fma_f64 v[9:10], v[3:4], v[7:8], -v[11:12]
	v_fma_f64 v[11:12], v[1:2], v[7:8], v[14:15]
	scratch_store_b128 off, v[9:12], off offset:48
.LBB60_27:
	s_or_b32 exec_lo, exec_lo, s4
	s_waitcnt_vscnt null, 0x0
	s_barrier
	buffer_gl0_inv
	scratch_load_b128 v[1:4], v219, off
	v_cmp_gt_u32_e64 s3, 4, v171
	s_waitcnt vmcnt(0)
	ds_store_b128 v5, v[1:4]
	s_waitcnt lgkmcnt(0)
	s_barrier
	buffer_gl0_inv
	s_and_saveexec_b32 s5, s3
	s_cbranch_execz .LBB60_31
; %bb.28:
	v_dual_mov_b32 v1, 0 :: v_dual_add_nc_u32 v8, 0x3d0, v229
	v_dual_mov_b32 v2, 0 :: v_dual_add_nc_u32 v7, -1, v171
	v_or_b32_e32 v9, 8, v13
	s_mov_b32 s8, 0
	s_delay_alu instid0(VALU_DEP_2)
	v_dual_mov_b32 v4, v2 :: v_dual_mov_b32 v3, v1
	.p2align	6
.LBB60_29:                              ; =>This Inner Loop Header: Depth=1
	scratch_load_b128 v[14:17], v9, off offset:-8
	ds_load_b128 v[18:21], v8
	v_add_nc_u32_e32 v7, 1, v7
	v_add_nc_u32_e32 v8, 16, v8
	;; [unrolled: 1-line block ×3, first 2 shown]
	s_delay_alu instid0(VALU_DEP_3) | instskip(NEXT) | instid1(VALU_DEP_1)
	v_cmp_lt_u32_e64 s4, 2, v7
	s_or_b32 s8, s4, s8
	s_waitcnt vmcnt(0) lgkmcnt(0)
	v_mul_f64 v[10:11], v[20:21], v[16:17]
	v_mul_f64 v[16:17], v[18:19], v[16:17]
	s_delay_alu instid0(VALU_DEP_2) | instskip(NEXT) | instid1(VALU_DEP_2)
	v_fma_f64 v[10:11], v[18:19], v[14:15], -v[10:11]
	v_fma_f64 v[14:15], v[20:21], v[14:15], v[16:17]
	s_delay_alu instid0(VALU_DEP_2) | instskip(NEXT) | instid1(VALU_DEP_2)
	v_add_f64 v[3:4], v[3:4], v[10:11]
	v_add_f64 v[1:2], v[1:2], v[14:15]
	s_and_not1_b32 exec_lo, exec_lo, s8
	s_cbranch_execnz .LBB60_29
; %bb.30:
	s_or_b32 exec_lo, exec_lo, s8
	v_mov_b32_e32 v7, 0
	ds_load_b128 v[7:10], v7 offset:64
	s_waitcnt lgkmcnt(0)
	v_mul_f64 v[11:12], v[1:2], v[9:10]
	v_mul_f64 v[14:15], v[3:4], v[9:10]
	s_delay_alu instid0(VALU_DEP_2) | instskip(NEXT) | instid1(VALU_DEP_2)
	v_fma_f64 v[9:10], v[3:4], v[7:8], -v[11:12]
	v_fma_f64 v[11:12], v[1:2], v[7:8], v[14:15]
	scratch_store_b128 off, v[9:12], off offset:64
.LBB60_31:
	s_or_b32 exec_lo, exec_lo, s5
	s_waitcnt_vscnt null, 0x0
	s_barrier
	buffer_gl0_inv
	scratch_load_b128 v[1:4], v218, off
	s_mov_b32 s5, exec_lo
	s_waitcnt vmcnt(0)
	ds_store_b128 v5, v[1:4]
	s_waitcnt lgkmcnt(0)
	s_barrier
	buffer_gl0_inv
	v_cmpx_gt_u32_e32 5, v171
	s_cbranch_execz .LBB60_35
; %bb.32:
	v_dual_mov_b32 v1, 0 :: v_dual_add_nc_u32 v8, 0x3d0, v229
	v_dual_mov_b32 v2, 0 :: v_dual_add_nc_u32 v7, -1, v171
	v_or_b32_e32 v9, 8, v13
	s_mov_b32 s8, 0
	s_delay_alu instid0(VALU_DEP_2)
	v_dual_mov_b32 v4, v2 :: v_dual_mov_b32 v3, v1
	.p2align	6
.LBB60_33:                              ; =>This Inner Loop Header: Depth=1
	scratch_load_b128 v[14:17], v9, off offset:-8
	ds_load_b128 v[18:21], v8
	v_add_nc_u32_e32 v7, 1, v7
	v_add_nc_u32_e32 v8, 16, v8
	;; [unrolled: 1-line block ×3, first 2 shown]
	s_delay_alu instid0(VALU_DEP_3) | instskip(NEXT) | instid1(VALU_DEP_1)
	v_cmp_lt_u32_e64 s4, 3, v7
	s_or_b32 s8, s4, s8
	s_waitcnt vmcnt(0) lgkmcnt(0)
	v_mul_f64 v[10:11], v[20:21], v[16:17]
	v_mul_f64 v[16:17], v[18:19], v[16:17]
	s_delay_alu instid0(VALU_DEP_2) | instskip(NEXT) | instid1(VALU_DEP_2)
	v_fma_f64 v[10:11], v[18:19], v[14:15], -v[10:11]
	v_fma_f64 v[14:15], v[20:21], v[14:15], v[16:17]
	s_delay_alu instid0(VALU_DEP_2) | instskip(NEXT) | instid1(VALU_DEP_2)
	v_add_f64 v[3:4], v[3:4], v[10:11]
	v_add_f64 v[1:2], v[1:2], v[14:15]
	s_and_not1_b32 exec_lo, exec_lo, s8
	s_cbranch_execnz .LBB60_33
; %bb.34:
	s_or_b32 exec_lo, exec_lo, s8
	v_mov_b32_e32 v7, 0
	ds_load_b128 v[7:10], v7 offset:80
	s_waitcnt lgkmcnt(0)
	v_mul_f64 v[11:12], v[1:2], v[9:10]
	v_mul_f64 v[14:15], v[3:4], v[9:10]
	s_delay_alu instid0(VALU_DEP_2) | instskip(NEXT) | instid1(VALU_DEP_2)
	v_fma_f64 v[9:10], v[3:4], v[7:8], -v[11:12]
	v_fma_f64 v[11:12], v[1:2], v[7:8], v[14:15]
	scratch_store_b128 off, v[9:12], off offset:80
.LBB60_35:
	s_or_b32 exec_lo, exec_lo, s5
	s_waitcnt_vscnt null, 0x0
	s_barrier
	buffer_gl0_inv
	scratch_load_b128 v[1:4], v217, off
	v_cmp_gt_u32_e64 s4, 6, v171
	s_waitcnt vmcnt(0)
	ds_store_b128 v5, v[1:4]
	s_waitcnt lgkmcnt(0)
	s_barrier
	buffer_gl0_inv
	s_and_saveexec_b32 s8, s4
	s_cbranch_execz .LBB60_39
; %bb.36:
	v_dual_mov_b32 v1, 0 :: v_dual_add_nc_u32 v8, 0x3d0, v229
	v_dual_mov_b32 v2, 0 :: v_dual_add_nc_u32 v7, -1, v171
	v_or_b32_e32 v9, 8, v13
	s_mov_b32 s9, 0
	s_delay_alu instid0(VALU_DEP_2)
	v_dual_mov_b32 v4, v2 :: v_dual_mov_b32 v3, v1
	.p2align	6
.LBB60_37:                              ; =>This Inner Loop Header: Depth=1
	scratch_load_b128 v[14:17], v9, off offset:-8
	ds_load_b128 v[18:21], v8
	v_add_nc_u32_e32 v7, 1, v7
	v_add_nc_u32_e32 v8, 16, v8
	;; [unrolled: 1-line block ×3, first 2 shown]
	s_delay_alu instid0(VALU_DEP_3) | instskip(NEXT) | instid1(VALU_DEP_1)
	v_cmp_lt_u32_e64 s5, 4, v7
	s_or_b32 s9, s5, s9
	s_waitcnt vmcnt(0) lgkmcnt(0)
	v_mul_f64 v[10:11], v[20:21], v[16:17]
	v_mul_f64 v[16:17], v[18:19], v[16:17]
	s_delay_alu instid0(VALU_DEP_2) | instskip(NEXT) | instid1(VALU_DEP_2)
	v_fma_f64 v[10:11], v[18:19], v[14:15], -v[10:11]
	v_fma_f64 v[14:15], v[20:21], v[14:15], v[16:17]
	s_delay_alu instid0(VALU_DEP_2) | instskip(NEXT) | instid1(VALU_DEP_2)
	v_add_f64 v[3:4], v[3:4], v[10:11]
	v_add_f64 v[1:2], v[1:2], v[14:15]
	s_and_not1_b32 exec_lo, exec_lo, s9
	s_cbranch_execnz .LBB60_37
; %bb.38:
	s_or_b32 exec_lo, exec_lo, s9
	v_mov_b32_e32 v7, 0
	ds_load_b128 v[7:10], v7 offset:96
	s_waitcnt lgkmcnt(0)
	v_mul_f64 v[11:12], v[1:2], v[9:10]
	v_mul_f64 v[14:15], v[3:4], v[9:10]
	s_delay_alu instid0(VALU_DEP_2) | instskip(NEXT) | instid1(VALU_DEP_2)
	v_fma_f64 v[9:10], v[3:4], v[7:8], -v[11:12]
	v_fma_f64 v[11:12], v[1:2], v[7:8], v[14:15]
	scratch_store_b128 off, v[9:12], off offset:96
.LBB60_39:
	s_or_b32 exec_lo, exec_lo, s8
	s_waitcnt_vscnt null, 0x0
	s_barrier
	buffer_gl0_inv
	scratch_load_b128 v[1:4], v208, off
	s_mov_b32 s8, exec_lo
	s_waitcnt vmcnt(0)
	ds_store_b128 v5, v[1:4]
	s_waitcnt lgkmcnt(0)
	s_barrier
	buffer_gl0_inv
	v_cmpx_gt_u32_e32 7, v171
	s_cbranch_execz .LBB60_43
; %bb.40:
	v_dual_mov_b32 v1, 0 :: v_dual_add_nc_u32 v8, 0x3d0, v229
	v_dual_mov_b32 v2, 0 :: v_dual_add_nc_u32 v7, -1, v171
	v_or_b32_e32 v9, 8, v13
	s_mov_b32 s9, 0
	s_delay_alu instid0(VALU_DEP_2)
	v_dual_mov_b32 v4, v2 :: v_dual_mov_b32 v3, v1
	.p2align	6
.LBB60_41:                              ; =>This Inner Loop Header: Depth=1
	scratch_load_b128 v[14:17], v9, off offset:-8
	ds_load_b128 v[18:21], v8
	v_add_nc_u32_e32 v7, 1, v7
	v_add_nc_u32_e32 v8, 16, v8
	;; [unrolled: 1-line block ×3, first 2 shown]
	s_delay_alu instid0(VALU_DEP_3) | instskip(NEXT) | instid1(VALU_DEP_1)
	v_cmp_lt_u32_e64 s5, 5, v7
	s_or_b32 s9, s5, s9
	s_waitcnt vmcnt(0) lgkmcnt(0)
	v_mul_f64 v[10:11], v[20:21], v[16:17]
	v_mul_f64 v[16:17], v[18:19], v[16:17]
	s_delay_alu instid0(VALU_DEP_2) | instskip(NEXT) | instid1(VALU_DEP_2)
	v_fma_f64 v[10:11], v[18:19], v[14:15], -v[10:11]
	v_fma_f64 v[14:15], v[20:21], v[14:15], v[16:17]
	s_delay_alu instid0(VALU_DEP_2) | instskip(NEXT) | instid1(VALU_DEP_2)
	v_add_f64 v[3:4], v[3:4], v[10:11]
	v_add_f64 v[1:2], v[1:2], v[14:15]
	s_and_not1_b32 exec_lo, exec_lo, s9
	s_cbranch_execnz .LBB60_41
; %bb.42:
	s_or_b32 exec_lo, exec_lo, s9
	v_mov_b32_e32 v7, 0
	ds_load_b128 v[7:10], v7 offset:112
	s_waitcnt lgkmcnt(0)
	v_mul_f64 v[11:12], v[1:2], v[9:10]
	v_mul_f64 v[14:15], v[3:4], v[9:10]
	s_delay_alu instid0(VALU_DEP_2) | instskip(NEXT) | instid1(VALU_DEP_2)
	v_fma_f64 v[9:10], v[3:4], v[7:8], -v[11:12]
	v_fma_f64 v[11:12], v[1:2], v[7:8], v[14:15]
	scratch_store_b128 off, v[9:12], off offset:112
.LBB60_43:
	s_or_b32 exec_lo, exec_lo, s8
	s_waitcnt_vscnt null, 0x0
	s_barrier
	buffer_gl0_inv
	scratch_load_b128 v[1:4], v213, off
	s_mov_b32 s8, exec_lo
	s_waitcnt vmcnt(0)
	ds_store_b128 v5, v[1:4]
	s_waitcnt lgkmcnt(0)
	s_barrier
	buffer_gl0_inv
	v_cmpx_gt_u32_e32 8, v171
	s_cbranch_execz .LBB60_59
; %bb.44:
	scratch_load_b128 v[1:4], v13, off
	ds_load_b128 v[7:10], v5
	s_mov_b32 s9, exec_lo
	s_waitcnt vmcnt(0) lgkmcnt(0)
	v_mul_f64 v[11:12], v[9:10], v[3:4]
	v_mul_f64 v[3:4], v[7:8], v[3:4]
	s_delay_alu instid0(VALU_DEP_2) | instskip(NEXT) | instid1(VALU_DEP_2)
	v_fma_f64 v[7:8], v[7:8], v[1:2], -v[11:12]
	v_fma_f64 v[1:2], v[9:10], v[1:2], v[3:4]
	s_delay_alu instid0(VALU_DEP_2) | instskip(NEXT) | instid1(VALU_DEP_2)
	v_add_f64 v[3:4], v[7:8], 0
	v_add_f64 v[1:2], v[1:2], 0
	v_cmpx_ne_u32_e32 7, v171
	s_cbranch_execz .LBB60_58
; %bb.45:
	scratch_load_b128 v[7:10], v13, off offset:16
	ds_load_b128 v[14:17], v5 offset:16
	s_waitcnt vmcnt(0) lgkmcnt(0)
	v_mul_f64 v[11:12], v[16:17], v[9:10]
	v_mul_f64 v[9:10], v[14:15], v[9:10]
	s_delay_alu instid0(VALU_DEP_2) | instskip(NEXT) | instid1(VALU_DEP_2)
	v_fma_f64 v[11:12], v[14:15], v[7:8], -v[11:12]
	v_fma_f64 v[7:8], v[16:17], v[7:8], v[9:10]
	s_delay_alu instid0(VALU_DEP_2) | instskip(NEXT) | instid1(VALU_DEP_2)
	v_add_f64 v[3:4], v[3:4], v[11:12]
	v_add_f64 v[1:2], v[1:2], v[7:8]
	s_and_saveexec_b32 s5, s4
	s_cbranch_execz .LBB60_57
; %bb.46:
	scratch_load_b128 v[7:10], v13, off offset:32
	ds_load_b128 v[14:17], v5 offset:32
	s_mov_b32 s10, exec_lo
	s_waitcnt vmcnt(0) lgkmcnt(0)
	v_mul_f64 v[11:12], v[16:17], v[9:10]
	v_mul_f64 v[9:10], v[14:15], v[9:10]
	s_delay_alu instid0(VALU_DEP_2) | instskip(NEXT) | instid1(VALU_DEP_2)
	v_fma_f64 v[11:12], v[14:15], v[7:8], -v[11:12]
	v_fma_f64 v[7:8], v[16:17], v[7:8], v[9:10]
	s_delay_alu instid0(VALU_DEP_2) | instskip(NEXT) | instid1(VALU_DEP_2)
	v_add_f64 v[3:4], v[3:4], v[11:12]
	v_add_f64 v[1:2], v[1:2], v[7:8]
	v_cmpx_ne_u32_e32 5, v171
	s_cbranch_execz .LBB60_56
; %bb.47:
	scratch_load_b128 v[7:10], v13, off offset:48
	ds_load_b128 v[14:17], v5 offset:48
	s_waitcnt vmcnt(0) lgkmcnt(0)
	v_mul_f64 v[11:12], v[16:17], v[9:10]
	v_mul_f64 v[9:10], v[14:15], v[9:10]
	s_delay_alu instid0(VALU_DEP_2) | instskip(NEXT) | instid1(VALU_DEP_2)
	v_fma_f64 v[11:12], v[14:15], v[7:8], -v[11:12]
	v_fma_f64 v[7:8], v[16:17], v[7:8], v[9:10]
	s_delay_alu instid0(VALU_DEP_2) | instskip(NEXT) | instid1(VALU_DEP_2)
	v_add_f64 v[3:4], v[3:4], v[11:12]
	v_add_f64 v[1:2], v[1:2], v[7:8]
	s_and_saveexec_b32 s4, s3
	s_cbranch_execz .LBB60_55
; %bb.48:
	scratch_load_b128 v[7:10], v13, off offset:64
	ds_load_b128 v[14:17], v5 offset:64
	s_mov_b32 s11, exec_lo
	s_waitcnt vmcnt(0) lgkmcnt(0)
	v_mul_f64 v[11:12], v[16:17], v[9:10]
	v_mul_f64 v[9:10], v[14:15], v[9:10]
	s_delay_alu instid0(VALU_DEP_2) | instskip(NEXT) | instid1(VALU_DEP_2)
	v_fma_f64 v[11:12], v[14:15], v[7:8], -v[11:12]
	v_fma_f64 v[7:8], v[16:17], v[7:8], v[9:10]
	s_delay_alu instid0(VALU_DEP_2) | instskip(NEXT) | instid1(VALU_DEP_2)
	v_add_f64 v[3:4], v[3:4], v[11:12]
	v_add_f64 v[1:2], v[1:2], v[7:8]
	v_cmpx_ne_u32_e32 3, v171
	s_cbranch_execz .LBB60_54
; %bb.49:
	scratch_load_b128 v[7:10], v13, off offset:80
	ds_load_b128 v[14:17], v5 offset:80
	s_waitcnt vmcnt(0) lgkmcnt(0)
	v_mul_f64 v[11:12], v[16:17], v[9:10]
	v_mul_f64 v[9:10], v[14:15], v[9:10]
	s_delay_alu instid0(VALU_DEP_2) | instskip(NEXT) | instid1(VALU_DEP_2)
	v_fma_f64 v[11:12], v[14:15], v[7:8], -v[11:12]
	v_fma_f64 v[7:8], v[16:17], v[7:8], v[9:10]
	s_delay_alu instid0(VALU_DEP_2) | instskip(NEXT) | instid1(VALU_DEP_2)
	v_add_f64 v[3:4], v[3:4], v[11:12]
	v_add_f64 v[1:2], v[1:2], v[7:8]
	s_and_saveexec_b32 s3, vcc_lo
	s_cbranch_execz .LBB60_53
; %bb.50:
	scratch_load_b128 v[7:10], v13, off offset:96
	ds_load_b128 v[14:17], v5 offset:96
	s_waitcnt vmcnt(0) lgkmcnt(0)
	v_mul_f64 v[11:12], v[16:17], v[9:10]
	v_mul_f64 v[9:10], v[14:15], v[9:10]
	s_delay_alu instid0(VALU_DEP_2) | instskip(NEXT) | instid1(VALU_DEP_2)
	v_fma_f64 v[11:12], v[14:15], v[7:8], -v[11:12]
	v_fma_f64 v[7:8], v[16:17], v[7:8], v[9:10]
	s_delay_alu instid0(VALU_DEP_2) | instskip(NEXT) | instid1(VALU_DEP_2)
	v_add_f64 v[3:4], v[3:4], v[11:12]
	v_add_f64 v[1:2], v[1:2], v[7:8]
	s_and_saveexec_b32 s12, s2
	s_cbranch_execz .LBB60_52
; %bb.51:
	scratch_load_b128 v[7:10], v13, off offset:112
	ds_load_b128 v[14:17], v5 offset:112
	s_waitcnt vmcnt(0) lgkmcnt(0)
	v_mul_f64 v[11:12], v[16:17], v[9:10]
	v_mul_f64 v[9:10], v[14:15], v[9:10]
	s_delay_alu instid0(VALU_DEP_2) | instskip(NEXT) | instid1(VALU_DEP_2)
	v_fma_f64 v[11:12], v[14:15], v[7:8], -v[11:12]
	v_fma_f64 v[7:8], v[16:17], v[7:8], v[9:10]
	s_delay_alu instid0(VALU_DEP_2) | instskip(NEXT) | instid1(VALU_DEP_2)
	v_add_f64 v[3:4], v[3:4], v[11:12]
	v_add_f64 v[1:2], v[1:2], v[7:8]
.LBB60_52:
	s_or_b32 exec_lo, exec_lo, s12
.LBB60_53:
	s_delay_alu instid0(SALU_CYCLE_1)
	s_or_b32 exec_lo, exec_lo, s3
.LBB60_54:
	s_delay_alu instid0(SALU_CYCLE_1)
	s_or_b32 exec_lo, exec_lo, s11
.LBB60_55:
	s_delay_alu instid0(SALU_CYCLE_1)
	s_or_b32 exec_lo, exec_lo, s4
.LBB60_56:
	s_delay_alu instid0(SALU_CYCLE_1)
	s_or_b32 exec_lo, exec_lo, s10
.LBB60_57:
	s_delay_alu instid0(SALU_CYCLE_1)
	s_or_b32 exec_lo, exec_lo, s5
.LBB60_58:
	s_delay_alu instid0(SALU_CYCLE_1)
	s_or_b32 exec_lo, exec_lo, s9
	v_mov_b32_e32 v7, 0
	ds_load_b128 v[7:10], v7 offset:128
	s_waitcnt lgkmcnt(0)
	v_mul_f64 v[11:12], v[1:2], v[9:10]
	v_mul_f64 v[14:15], v[3:4], v[9:10]
	s_delay_alu instid0(VALU_DEP_2) | instskip(NEXT) | instid1(VALU_DEP_2)
	v_fma_f64 v[9:10], v[3:4], v[7:8], -v[11:12]
	v_fma_f64 v[11:12], v[1:2], v[7:8], v[14:15]
	scratch_store_b128 off, v[9:12], off offset:128
.LBB60_59:
	s_or_b32 exec_lo, exec_lo, s8
	s_waitcnt_vscnt null, 0x0
	s_barrier
	buffer_gl0_inv
	scratch_load_b128 v[1:4], v212, off
	s_mov_b32 s2, exec_lo
	s_waitcnt vmcnt(0)
	ds_store_b128 v5, v[1:4]
	s_waitcnt lgkmcnt(0)
	s_barrier
	buffer_gl0_inv
	v_cmpx_gt_u32_e32 9, v171
	s_cbranch_execz .LBB60_63
; %bb.60:
	v_dual_mov_b32 v1, 0 :: v_dual_add_nc_u32 v8, 0x3d0, v229
	v_dual_mov_b32 v2, 0 :: v_dual_add_nc_u32 v7, -1, v171
	v_or_b32_e32 v9, 8, v13
	s_mov_b32 s3, 0
	s_delay_alu instid0(VALU_DEP_2)
	v_dual_mov_b32 v4, v2 :: v_dual_mov_b32 v3, v1
	.p2align	6
.LBB60_61:                              ; =>This Inner Loop Header: Depth=1
	scratch_load_b128 v[14:17], v9, off offset:-8
	ds_load_b128 v[18:21], v8
	v_add_nc_u32_e32 v7, 1, v7
	v_add_nc_u32_e32 v8, 16, v8
	;; [unrolled: 1-line block ×3, first 2 shown]
	s_delay_alu instid0(VALU_DEP_3) | instskip(SKIP_4) | instid1(VALU_DEP_2)
	v_cmp_lt_u32_e32 vcc_lo, 7, v7
	s_or_b32 s3, vcc_lo, s3
	s_waitcnt vmcnt(0) lgkmcnt(0)
	v_mul_f64 v[10:11], v[20:21], v[16:17]
	v_mul_f64 v[16:17], v[18:19], v[16:17]
	v_fma_f64 v[10:11], v[18:19], v[14:15], -v[10:11]
	s_delay_alu instid0(VALU_DEP_2) | instskip(NEXT) | instid1(VALU_DEP_2)
	v_fma_f64 v[14:15], v[20:21], v[14:15], v[16:17]
	v_add_f64 v[3:4], v[3:4], v[10:11]
	s_delay_alu instid0(VALU_DEP_2)
	v_add_f64 v[1:2], v[1:2], v[14:15]
	s_and_not1_b32 exec_lo, exec_lo, s3
	s_cbranch_execnz .LBB60_61
; %bb.62:
	s_or_b32 exec_lo, exec_lo, s3
	v_mov_b32_e32 v7, 0
	ds_load_b128 v[7:10], v7 offset:144
	s_waitcnt lgkmcnt(0)
	v_mul_f64 v[11:12], v[1:2], v[9:10]
	v_mul_f64 v[14:15], v[3:4], v[9:10]
	s_delay_alu instid0(VALU_DEP_2) | instskip(NEXT) | instid1(VALU_DEP_2)
	v_fma_f64 v[9:10], v[3:4], v[7:8], -v[11:12]
	v_fma_f64 v[11:12], v[1:2], v[7:8], v[14:15]
	scratch_store_b128 off, v[9:12], off offset:144
.LBB60_63:
	s_or_b32 exec_lo, exec_lo, s2
	s_waitcnt_vscnt null, 0x0
	s_barrier
	buffer_gl0_inv
	scratch_load_b128 v[1:4], v211, off
	s_mov_b32 s2, exec_lo
	s_waitcnt vmcnt(0)
	ds_store_b128 v5, v[1:4]
	s_waitcnt lgkmcnt(0)
	s_barrier
	buffer_gl0_inv
	v_cmpx_gt_u32_e32 10, v171
	s_cbranch_execz .LBB60_67
; %bb.64:
	v_dual_mov_b32 v1, 0 :: v_dual_add_nc_u32 v8, 0x3d0, v229
	v_dual_mov_b32 v2, 0 :: v_dual_add_nc_u32 v7, -1, v171
	v_or_b32_e32 v9, 8, v13
	s_mov_b32 s3, 0
	s_delay_alu instid0(VALU_DEP_2)
	v_dual_mov_b32 v4, v2 :: v_dual_mov_b32 v3, v1
	.p2align	6
.LBB60_65:                              ; =>This Inner Loop Header: Depth=1
	scratch_load_b128 v[14:17], v9, off offset:-8
	ds_load_b128 v[18:21], v8
	v_add_nc_u32_e32 v7, 1, v7
	v_add_nc_u32_e32 v8, 16, v8
	;; [unrolled: 1-line block ×3, first 2 shown]
	s_delay_alu instid0(VALU_DEP_3) | instskip(SKIP_4) | instid1(VALU_DEP_2)
	v_cmp_lt_u32_e32 vcc_lo, 8, v7
	s_or_b32 s3, vcc_lo, s3
	s_waitcnt vmcnt(0) lgkmcnt(0)
	v_mul_f64 v[10:11], v[20:21], v[16:17]
	v_mul_f64 v[16:17], v[18:19], v[16:17]
	v_fma_f64 v[10:11], v[18:19], v[14:15], -v[10:11]
	s_delay_alu instid0(VALU_DEP_2) | instskip(NEXT) | instid1(VALU_DEP_2)
	v_fma_f64 v[14:15], v[20:21], v[14:15], v[16:17]
	v_add_f64 v[3:4], v[3:4], v[10:11]
	s_delay_alu instid0(VALU_DEP_2)
	v_add_f64 v[1:2], v[1:2], v[14:15]
	s_and_not1_b32 exec_lo, exec_lo, s3
	s_cbranch_execnz .LBB60_65
; %bb.66:
	s_or_b32 exec_lo, exec_lo, s3
	v_mov_b32_e32 v7, 0
	ds_load_b128 v[7:10], v7 offset:160
	s_waitcnt lgkmcnt(0)
	v_mul_f64 v[11:12], v[1:2], v[9:10]
	v_mul_f64 v[14:15], v[3:4], v[9:10]
	s_delay_alu instid0(VALU_DEP_2) | instskip(NEXT) | instid1(VALU_DEP_2)
	v_fma_f64 v[9:10], v[3:4], v[7:8], -v[11:12]
	v_fma_f64 v[11:12], v[1:2], v[7:8], v[14:15]
	scratch_store_b128 off, v[9:12], off offset:160
.LBB60_67:
	s_or_b32 exec_lo, exec_lo, s2
	s_waitcnt_vscnt null, 0x0
	s_barrier
	buffer_gl0_inv
	scratch_load_b32 v1, off, off offset:1020 ; 4-byte Folded Reload
	s_mov_b32 s2, exec_lo
	s_waitcnt vmcnt(0)
	scratch_load_b128 v[1:4], v1, off
	s_waitcnt vmcnt(0)
	ds_store_b128 v5, v[1:4]
	s_waitcnt lgkmcnt(0)
	s_barrier
	buffer_gl0_inv
	v_cmpx_gt_u32_e32 11, v171
	s_cbranch_execz .LBB60_71
; %bb.68:
	v_dual_mov_b32 v1, 0 :: v_dual_add_nc_u32 v8, 0x3d0, v229
	v_dual_mov_b32 v2, 0 :: v_dual_add_nc_u32 v7, -1, v171
	v_or_b32_e32 v9, 8, v13
	s_mov_b32 s3, 0
	s_delay_alu instid0(VALU_DEP_2)
	v_dual_mov_b32 v4, v2 :: v_dual_mov_b32 v3, v1
	.p2align	6
.LBB60_69:                              ; =>This Inner Loop Header: Depth=1
	scratch_load_b128 v[14:17], v9, off offset:-8
	ds_load_b128 v[18:21], v8
	v_add_nc_u32_e32 v7, 1, v7
	v_add_nc_u32_e32 v8, 16, v8
	;; [unrolled: 1-line block ×3, first 2 shown]
	s_delay_alu instid0(VALU_DEP_3) | instskip(SKIP_4) | instid1(VALU_DEP_2)
	v_cmp_lt_u32_e32 vcc_lo, 9, v7
	s_or_b32 s3, vcc_lo, s3
	s_waitcnt vmcnt(0) lgkmcnt(0)
	v_mul_f64 v[10:11], v[20:21], v[16:17]
	v_mul_f64 v[16:17], v[18:19], v[16:17]
	v_fma_f64 v[10:11], v[18:19], v[14:15], -v[10:11]
	s_delay_alu instid0(VALU_DEP_2) | instskip(NEXT) | instid1(VALU_DEP_2)
	v_fma_f64 v[14:15], v[20:21], v[14:15], v[16:17]
	v_add_f64 v[3:4], v[3:4], v[10:11]
	s_delay_alu instid0(VALU_DEP_2)
	v_add_f64 v[1:2], v[1:2], v[14:15]
	s_and_not1_b32 exec_lo, exec_lo, s3
	s_cbranch_execnz .LBB60_69
; %bb.70:
	s_or_b32 exec_lo, exec_lo, s3
	v_mov_b32_e32 v7, 0
	ds_load_b128 v[7:10], v7 offset:176
	s_waitcnt lgkmcnt(0)
	v_mul_f64 v[11:12], v[1:2], v[9:10]
	v_mul_f64 v[14:15], v[3:4], v[9:10]
	s_delay_alu instid0(VALU_DEP_2) | instskip(NEXT) | instid1(VALU_DEP_2)
	v_fma_f64 v[9:10], v[3:4], v[7:8], -v[11:12]
	v_fma_f64 v[11:12], v[1:2], v[7:8], v[14:15]
	scratch_store_b128 off, v[9:12], off offset:176
.LBB60_71:
	s_or_b32 exec_lo, exec_lo, s2
	s_waitcnt_vscnt null, 0x0
	s_barrier
	buffer_gl0_inv
	scratch_load_b32 v1, off, off offset:1016 ; 4-byte Folded Reload
	s_mov_b32 s2, exec_lo
	s_waitcnt vmcnt(0)
	scratch_load_b128 v[1:4], v1, off
	s_waitcnt vmcnt(0)
	ds_store_b128 v5, v[1:4]
	s_waitcnt lgkmcnt(0)
	s_barrier
	buffer_gl0_inv
	v_cmpx_gt_u32_e32 12, v171
	s_cbranch_execz .LBB60_75
; %bb.72:
	v_dual_mov_b32 v1, 0 :: v_dual_add_nc_u32 v8, 0x3d0, v229
	v_dual_mov_b32 v2, 0 :: v_dual_add_nc_u32 v7, -1, v171
	v_or_b32_e32 v9, 8, v13
	s_mov_b32 s3, 0
	s_delay_alu instid0(VALU_DEP_2)
	v_dual_mov_b32 v4, v2 :: v_dual_mov_b32 v3, v1
	.p2align	6
.LBB60_73:                              ; =>This Inner Loop Header: Depth=1
	scratch_load_b128 v[14:17], v9, off offset:-8
	ds_load_b128 v[18:21], v8
	v_add_nc_u32_e32 v7, 1, v7
	v_add_nc_u32_e32 v8, 16, v8
	;; [unrolled: 1-line block ×3, first 2 shown]
	s_delay_alu instid0(VALU_DEP_3) | instskip(SKIP_4) | instid1(VALU_DEP_2)
	v_cmp_lt_u32_e32 vcc_lo, 10, v7
	s_or_b32 s3, vcc_lo, s3
	s_waitcnt vmcnt(0) lgkmcnt(0)
	v_mul_f64 v[10:11], v[20:21], v[16:17]
	v_mul_f64 v[16:17], v[18:19], v[16:17]
	v_fma_f64 v[10:11], v[18:19], v[14:15], -v[10:11]
	s_delay_alu instid0(VALU_DEP_2) | instskip(NEXT) | instid1(VALU_DEP_2)
	v_fma_f64 v[14:15], v[20:21], v[14:15], v[16:17]
	v_add_f64 v[3:4], v[3:4], v[10:11]
	s_delay_alu instid0(VALU_DEP_2)
	v_add_f64 v[1:2], v[1:2], v[14:15]
	s_and_not1_b32 exec_lo, exec_lo, s3
	s_cbranch_execnz .LBB60_73
; %bb.74:
	s_or_b32 exec_lo, exec_lo, s3
	v_mov_b32_e32 v7, 0
	ds_load_b128 v[7:10], v7 offset:192
	s_waitcnt lgkmcnt(0)
	v_mul_f64 v[11:12], v[1:2], v[9:10]
	v_mul_f64 v[14:15], v[3:4], v[9:10]
	s_delay_alu instid0(VALU_DEP_2) | instskip(NEXT) | instid1(VALU_DEP_2)
	v_fma_f64 v[9:10], v[3:4], v[7:8], -v[11:12]
	v_fma_f64 v[11:12], v[1:2], v[7:8], v[14:15]
	scratch_store_b128 off, v[9:12], off offset:192
.LBB60_75:
	s_or_b32 exec_lo, exec_lo, s2
	s_waitcnt_vscnt null, 0x0
	s_barrier
	buffer_gl0_inv
	scratch_load_b32 v1, off, off offset:1012 ; 4-byte Folded Reload
	s_mov_b32 s2, exec_lo
	s_waitcnt vmcnt(0)
	scratch_load_b128 v[1:4], v1, off
	s_waitcnt vmcnt(0)
	ds_store_b128 v5, v[1:4]
	s_waitcnt lgkmcnt(0)
	s_barrier
	buffer_gl0_inv
	v_cmpx_gt_u32_e32 13, v171
	s_cbranch_execz .LBB60_79
; %bb.76:
	v_dual_mov_b32 v1, 0 :: v_dual_add_nc_u32 v8, 0x3d0, v229
	v_dual_mov_b32 v2, 0 :: v_dual_add_nc_u32 v7, -1, v171
	v_or_b32_e32 v9, 8, v13
	s_mov_b32 s3, 0
	s_delay_alu instid0(VALU_DEP_2)
	v_dual_mov_b32 v4, v2 :: v_dual_mov_b32 v3, v1
	.p2align	6
.LBB60_77:                              ; =>This Inner Loop Header: Depth=1
	scratch_load_b128 v[14:17], v9, off offset:-8
	ds_load_b128 v[18:21], v8
	v_add_nc_u32_e32 v7, 1, v7
	v_add_nc_u32_e32 v8, 16, v8
	;; [unrolled: 1-line block ×3, first 2 shown]
	s_delay_alu instid0(VALU_DEP_3) | instskip(SKIP_4) | instid1(VALU_DEP_2)
	v_cmp_lt_u32_e32 vcc_lo, 11, v7
	s_or_b32 s3, vcc_lo, s3
	s_waitcnt vmcnt(0) lgkmcnt(0)
	v_mul_f64 v[10:11], v[20:21], v[16:17]
	v_mul_f64 v[16:17], v[18:19], v[16:17]
	v_fma_f64 v[10:11], v[18:19], v[14:15], -v[10:11]
	s_delay_alu instid0(VALU_DEP_2) | instskip(NEXT) | instid1(VALU_DEP_2)
	v_fma_f64 v[14:15], v[20:21], v[14:15], v[16:17]
	v_add_f64 v[3:4], v[3:4], v[10:11]
	s_delay_alu instid0(VALU_DEP_2)
	v_add_f64 v[1:2], v[1:2], v[14:15]
	s_and_not1_b32 exec_lo, exec_lo, s3
	s_cbranch_execnz .LBB60_77
; %bb.78:
	s_or_b32 exec_lo, exec_lo, s3
	v_mov_b32_e32 v7, 0
	ds_load_b128 v[7:10], v7 offset:208
	s_waitcnt lgkmcnt(0)
	v_mul_f64 v[11:12], v[1:2], v[9:10]
	v_mul_f64 v[14:15], v[3:4], v[9:10]
	s_delay_alu instid0(VALU_DEP_2) | instskip(NEXT) | instid1(VALU_DEP_2)
	v_fma_f64 v[9:10], v[3:4], v[7:8], -v[11:12]
	v_fma_f64 v[11:12], v[1:2], v[7:8], v[14:15]
	scratch_store_b128 off, v[9:12], off offset:208
.LBB60_79:
	s_or_b32 exec_lo, exec_lo, s2
	s_waitcnt_vscnt null, 0x0
	s_barrier
	buffer_gl0_inv
	scratch_load_b32 v1, off, off offset:1008 ; 4-byte Folded Reload
	s_mov_b32 s2, exec_lo
	s_waitcnt vmcnt(0)
	scratch_load_b128 v[1:4], v1, off
	s_waitcnt vmcnt(0)
	ds_store_b128 v5, v[1:4]
	s_waitcnt lgkmcnt(0)
	s_barrier
	buffer_gl0_inv
	v_cmpx_gt_u32_e32 14, v171
	s_cbranch_execz .LBB60_83
; %bb.80:
	v_dual_mov_b32 v1, 0 :: v_dual_add_nc_u32 v8, 0x3d0, v229
	v_dual_mov_b32 v2, 0 :: v_dual_add_nc_u32 v7, -1, v171
	v_or_b32_e32 v9, 8, v13
	s_mov_b32 s3, 0
	s_delay_alu instid0(VALU_DEP_2)
	v_dual_mov_b32 v4, v2 :: v_dual_mov_b32 v3, v1
	.p2align	6
.LBB60_81:                              ; =>This Inner Loop Header: Depth=1
	scratch_load_b128 v[14:17], v9, off offset:-8
	ds_load_b128 v[18:21], v8
	v_add_nc_u32_e32 v7, 1, v7
	v_add_nc_u32_e32 v8, 16, v8
	;; [unrolled: 1-line block ×3, first 2 shown]
	s_delay_alu instid0(VALU_DEP_3) | instskip(SKIP_4) | instid1(VALU_DEP_2)
	v_cmp_lt_u32_e32 vcc_lo, 12, v7
	s_or_b32 s3, vcc_lo, s3
	s_waitcnt vmcnt(0) lgkmcnt(0)
	v_mul_f64 v[10:11], v[20:21], v[16:17]
	v_mul_f64 v[16:17], v[18:19], v[16:17]
	v_fma_f64 v[10:11], v[18:19], v[14:15], -v[10:11]
	s_delay_alu instid0(VALU_DEP_2) | instskip(NEXT) | instid1(VALU_DEP_2)
	v_fma_f64 v[14:15], v[20:21], v[14:15], v[16:17]
	v_add_f64 v[3:4], v[3:4], v[10:11]
	s_delay_alu instid0(VALU_DEP_2)
	v_add_f64 v[1:2], v[1:2], v[14:15]
	s_and_not1_b32 exec_lo, exec_lo, s3
	s_cbranch_execnz .LBB60_81
; %bb.82:
	s_or_b32 exec_lo, exec_lo, s3
	v_mov_b32_e32 v7, 0
	ds_load_b128 v[7:10], v7 offset:224
	s_waitcnt lgkmcnt(0)
	v_mul_f64 v[11:12], v[1:2], v[9:10]
	v_mul_f64 v[14:15], v[3:4], v[9:10]
	s_delay_alu instid0(VALU_DEP_2) | instskip(NEXT) | instid1(VALU_DEP_2)
	v_fma_f64 v[9:10], v[3:4], v[7:8], -v[11:12]
	v_fma_f64 v[11:12], v[1:2], v[7:8], v[14:15]
	scratch_store_b128 off, v[9:12], off offset:224
.LBB60_83:
	s_or_b32 exec_lo, exec_lo, s2
	s_waitcnt_vscnt null, 0x0
	s_barrier
	buffer_gl0_inv
	scratch_load_b32 v1, off, off offset:1004 ; 4-byte Folded Reload
	s_mov_b32 s2, exec_lo
	s_waitcnt vmcnt(0)
	scratch_load_b128 v[1:4], v1, off
	s_waitcnt vmcnt(0)
	ds_store_b128 v5, v[1:4]
	s_waitcnt lgkmcnt(0)
	s_barrier
	buffer_gl0_inv
	v_cmpx_gt_u32_e32 15, v171
	s_cbranch_execz .LBB60_87
; %bb.84:
	v_dual_mov_b32 v1, 0 :: v_dual_add_nc_u32 v8, 0x3d0, v229
	v_dual_mov_b32 v2, 0 :: v_dual_add_nc_u32 v7, -1, v171
	v_or_b32_e32 v9, 8, v13
	s_mov_b32 s3, 0
	s_delay_alu instid0(VALU_DEP_2)
	v_dual_mov_b32 v4, v2 :: v_dual_mov_b32 v3, v1
	.p2align	6
.LBB60_85:                              ; =>This Inner Loop Header: Depth=1
	scratch_load_b128 v[14:17], v9, off offset:-8
	ds_load_b128 v[18:21], v8
	v_add_nc_u32_e32 v7, 1, v7
	v_add_nc_u32_e32 v8, 16, v8
	;; [unrolled: 1-line block ×3, first 2 shown]
	s_delay_alu instid0(VALU_DEP_3) | instskip(SKIP_4) | instid1(VALU_DEP_2)
	v_cmp_lt_u32_e32 vcc_lo, 13, v7
	s_or_b32 s3, vcc_lo, s3
	s_waitcnt vmcnt(0) lgkmcnt(0)
	v_mul_f64 v[10:11], v[20:21], v[16:17]
	v_mul_f64 v[16:17], v[18:19], v[16:17]
	v_fma_f64 v[10:11], v[18:19], v[14:15], -v[10:11]
	s_delay_alu instid0(VALU_DEP_2) | instskip(NEXT) | instid1(VALU_DEP_2)
	v_fma_f64 v[14:15], v[20:21], v[14:15], v[16:17]
	v_add_f64 v[3:4], v[3:4], v[10:11]
	s_delay_alu instid0(VALU_DEP_2)
	v_add_f64 v[1:2], v[1:2], v[14:15]
	s_and_not1_b32 exec_lo, exec_lo, s3
	s_cbranch_execnz .LBB60_85
; %bb.86:
	s_or_b32 exec_lo, exec_lo, s3
	v_mov_b32_e32 v7, 0
	ds_load_b128 v[7:10], v7 offset:240
	s_waitcnt lgkmcnt(0)
	v_mul_f64 v[11:12], v[1:2], v[9:10]
	v_mul_f64 v[14:15], v[3:4], v[9:10]
	s_delay_alu instid0(VALU_DEP_2) | instskip(NEXT) | instid1(VALU_DEP_2)
	v_fma_f64 v[9:10], v[3:4], v[7:8], -v[11:12]
	v_fma_f64 v[11:12], v[1:2], v[7:8], v[14:15]
	scratch_store_b128 off, v[9:12], off offset:240
.LBB60_87:
	s_or_b32 exec_lo, exec_lo, s2
	s_waitcnt_vscnt null, 0x0
	s_barrier
	buffer_gl0_inv
	scratch_load_b32 v1, off, off offset:1000 ; 4-byte Folded Reload
	s_mov_b32 s2, exec_lo
	s_waitcnt vmcnt(0)
	scratch_load_b128 v[1:4], v1, off
	s_waitcnt vmcnt(0)
	ds_store_b128 v5, v[1:4]
	s_waitcnt lgkmcnt(0)
	s_barrier
	buffer_gl0_inv
	v_cmpx_gt_u32_e32 16, v171
	s_cbranch_execz .LBB60_91
; %bb.88:
	v_dual_mov_b32 v1, 0 :: v_dual_add_nc_u32 v8, 0x3d0, v229
	v_dual_mov_b32 v2, 0 :: v_dual_add_nc_u32 v7, -1, v171
	v_or_b32_e32 v9, 8, v13
	s_mov_b32 s3, 0
	s_delay_alu instid0(VALU_DEP_2)
	v_dual_mov_b32 v4, v2 :: v_dual_mov_b32 v3, v1
	.p2align	6
.LBB60_89:                              ; =>This Inner Loop Header: Depth=1
	scratch_load_b128 v[14:17], v9, off offset:-8
	ds_load_b128 v[18:21], v8
	v_add_nc_u32_e32 v7, 1, v7
	v_add_nc_u32_e32 v8, 16, v8
	;; [unrolled: 1-line block ×3, first 2 shown]
	s_delay_alu instid0(VALU_DEP_3) | instskip(SKIP_4) | instid1(VALU_DEP_2)
	v_cmp_lt_u32_e32 vcc_lo, 14, v7
	s_or_b32 s3, vcc_lo, s3
	s_waitcnt vmcnt(0) lgkmcnt(0)
	v_mul_f64 v[10:11], v[20:21], v[16:17]
	v_mul_f64 v[16:17], v[18:19], v[16:17]
	v_fma_f64 v[10:11], v[18:19], v[14:15], -v[10:11]
	s_delay_alu instid0(VALU_DEP_2) | instskip(NEXT) | instid1(VALU_DEP_2)
	v_fma_f64 v[14:15], v[20:21], v[14:15], v[16:17]
	v_add_f64 v[3:4], v[3:4], v[10:11]
	s_delay_alu instid0(VALU_DEP_2)
	v_add_f64 v[1:2], v[1:2], v[14:15]
	s_and_not1_b32 exec_lo, exec_lo, s3
	s_cbranch_execnz .LBB60_89
; %bb.90:
	s_or_b32 exec_lo, exec_lo, s3
	v_mov_b32_e32 v7, 0
	ds_load_b128 v[7:10], v7 offset:256
	s_waitcnt lgkmcnt(0)
	v_mul_f64 v[11:12], v[1:2], v[9:10]
	v_mul_f64 v[14:15], v[3:4], v[9:10]
	s_delay_alu instid0(VALU_DEP_2) | instskip(NEXT) | instid1(VALU_DEP_2)
	v_fma_f64 v[9:10], v[3:4], v[7:8], -v[11:12]
	v_fma_f64 v[11:12], v[1:2], v[7:8], v[14:15]
	scratch_store_b128 off, v[9:12], off offset:256
.LBB60_91:
	s_or_b32 exec_lo, exec_lo, s2
	s_waitcnt_vscnt null, 0x0
	s_barrier
	buffer_gl0_inv
	scratch_load_b32 v1, off, off offset:996 ; 4-byte Folded Reload
	s_mov_b32 s2, exec_lo
	s_waitcnt vmcnt(0)
	scratch_load_b128 v[1:4], v1, off
	s_waitcnt vmcnt(0)
	ds_store_b128 v5, v[1:4]
	s_waitcnt lgkmcnt(0)
	s_barrier
	buffer_gl0_inv
	v_cmpx_gt_u32_e32 17, v171
	s_cbranch_execz .LBB60_95
; %bb.92:
	v_dual_mov_b32 v1, 0 :: v_dual_add_nc_u32 v8, 0x3d0, v229
	v_dual_mov_b32 v2, 0 :: v_dual_add_nc_u32 v7, -1, v171
	v_or_b32_e32 v9, 8, v13
	s_mov_b32 s3, 0
	s_delay_alu instid0(VALU_DEP_2)
	v_dual_mov_b32 v4, v2 :: v_dual_mov_b32 v3, v1
	.p2align	6
.LBB60_93:                              ; =>This Inner Loop Header: Depth=1
	scratch_load_b128 v[14:17], v9, off offset:-8
	ds_load_b128 v[18:21], v8
	v_add_nc_u32_e32 v7, 1, v7
	v_add_nc_u32_e32 v8, 16, v8
	;; [unrolled: 1-line block ×3, first 2 shown]
	s_delay_alu instid0(VALU_DEP_3) | instskip(SKIP_4) | instid1(VALU_DEP_2)
	v_cmp_lt_u32_e32 vcc_lo, 15, v7
	s_or_b32 s3, vcc_lo, s3
	s_waitcnt vmcnt(0) lgkmcnt(0)
	v_mul_f64 v[10:11], v[20:21], v[16:17]
	v_mul_f64 v[16:17], v[18:19], v[16:17]
	v_fma_f64 v[10:11], v[18:19], v[14:15], -v[10:11]
	s_delay_alu instid0(VALU_DEP_2) | instskip(NEXT) | instid1(VALU_DEP_2)
	v_fma_f64 v[14:15], v[20:21], v[14:15], v[16:17]
	v_add_f64 v[3:4], v[3:4], v[10:11]
	s_delay_alu instid0(VALU_DEP_2)
	v_add_f64 v[1:2], v[1:2], v[14:15]
	s_and_not1_b32 exec_lo, exec_lo, s3
	s_cbranch_execnz .LBB60_93
; %bb.94:
	s_or_b32 exec_lo, exec_lo, s3
	v_mov_b32_e32 v7, 0
	ds_load_b128 v[7:10], v7 offset:272
	s_waitcnt lgkmcnt(0)
	v_mul_f64 v[11:12], v[1:2], v[9:10]
	v_mul_f64 v[14:15], v[3:4], v[9:10]
	s_delay_alu instid0(VALU_DEP_2) | instskip(NEXT) | instid1(VALU_DEP_2)
	v_fma_f64 v[9:10], v[3:4], v[7:8], -v[11:12]
	v_fma_f64 v[11:12], v[1:2], v[7:8], v[14:15]
	scratch_store_b128 off, v[9:12], off offset:272
.LBB60_95:
	s_or_b32 exec_lo, exec_lo, s2
	s_waitcnt_vscnt null, 0x0
	s_barrier
	buffer_gl0_inv
	scratch_load_b32 v1, off, off offset:992 ; 4-byte Folded Reload
	s_mov_b32 s2, exec_lo
	s_waitcnt vmcnt(0)
	scratch_load_b128 v[1:4], v1, off
	s_waitcnt vmcnt(0)
	ds_store_b128 v5, v[1:4]
	s_waitcnt lgkmcnt(0)
	s_barrier
	buffer_gl0_inv
	v_cmpx_gt_u32_e32 18, v171
	s_cbranch_execz .LBB60_99
; %bb.96:
	v_dual_mov_b32 v1, 0 :: v_dual_add_nc_u32 v8, 0x3d0, v229
	v_dual_mov_b32 v2, 0 :: v_dual_add_nc_u32 v7, -1, v171
	v_or_b32_e32 v9, 8, v13
	s_mov_b32 s3, 0
	s_delay_alu instid0(VALU_DEP_2)
	v_dual_mov_b32 v4, v2 :: v_dual_mov_b32 v3, v1
	.p2align	6
.LBB60_97:                              ; =>This Inner Loop Header: Depth=1
	scratch_load_b128 v[14:17], v9, off offset:-8
	ds_load_b128 v[18:21], v8
	v_add_nc_u32_e32 v7, 1, v7
	v_add_nc_u32_e32 v8, 16, v8
	;; [unrolled: 1-line block ×3, first 2 shown]
	s_delay_alu instid0(VALU_DEP_3) | instskip(SKIP_4) | instid1(VALU_DEP_2)
	v_cmp_lt_u32_e32 vcc_lo, 16, v7
	s_or_b32 s3, vcc_lo, s3
	s_waitcnt vmcnt(0) lgkmcnt(0)
	v_mul_f64 v[10:11], v[20:21], v[16:17]
	v_mul_f64 v[16:17], v[18:19], v[16:17]
	v_fma_f64 v[10:11], v[18:19], v[14:15], -v[10:11]
	s_delay_alu instid0(VALU_DEP_2) | instskip(NEXT) | instid1(VALU_DEP_2)
	v_fma_f64 v[14:15], v[20:21], v[14:15], v[16:17]
	v_add_f64 v[3:4], v[3:4], v[10:11]
	s_delay_alu instid0(VALU_DEP_2)
	v_add_f64 v[1:2], v[1:2], v[14:15]
	s_and_not1_b32 exec_lo, exec_lo, s3
	s_cbranch_execnz .LBB60_97
; %bb.98:
	s_or_b32 exec_lo, exec_lo, s3
	v_mov_b32_e32 v7, 0
	ds_load_b128 v[7:10], v7 offset:288
	s_waitcnt lgkmcnt(0)
	v_mul_f64 v[11:12], v[1:2], v[9:10]
	v_mul_f64 v[14:15], v[3:4], v[9:10]
	s_delay_alu instid0(VALU_DEP_2) | instskip(NEXT) | instid1(VALU_DEP_2)
	v_fma_f64 v[9:10], v[3:4], v[7:8], -v[11:12]
	v_fma_f64 v[11:12], v[1:2], v[7:8], v[14:15]
	scratch_store_b128 off, v[9:12], off offset:288
.LBB60_99:
	s_or_b32 exec_lo, exec_lo, s2
	s_waitcnt_vscnt null, 0x0
	s_barrier
	buffer_gl0_inv
	scratch_load_b32 v1, off, off offset:988 ; 4-byte Folded Reload
	s_mov_b32 s2, exec_lo
	s_waitcnt vmcnt(0)
	scratch_load_b128 v[1:4], v1, off
	s_waitcnt vmcnt(0)
	ds_store_b128 v5, v[1:4]
	s_waitcnt lgkmcnt(0)
	s_barrier
	buffer_gl0_inv
	v_cmpx_gt_u32_e32 19, v171
	s_cbranch_execz .LBB60_103
; %bb.100:
	v_dual_mov_b32 v1, 0 :: v_dual_add_nc_u32 v8, 0x3d0, v229
	v_dual_mov_b32 v2, 0 :: v_dual_add_nc_u32 v7, -1, v171
	v_or_b32_e32 v9, 8, v13
	s_mov_b32 s3, 0
	s_delay_alu instid0(VALU_DEP_2)
	v_dual_mov_b32 v4, v2 :: v_dual_mov_b32 v3, v1
	.p2align	6
.LBB60_101:                             ; =>This Inner Loop Header: Depth=1
	scratch_load_b128 v[14:17], v9, off offset:-8
	ds_load_b128 v[18:21], v8
	v_add_nc_u32_e32 v7, 1, v7
	v_add_nc_u32_e32 v8, 16, v8
	;; [unrolled: 1-line block ×3, first 2 shown]
	s_delay_alu instid0(VALU_DEP_3) | instskip(SKIP_4) | instid1(VALU_DEP_2)
	v_cmp_lt_u32_e32 vcc_lo, 17, v7
	s_or_b32 s3, vcc_lo, s3
	s_waitcnt vmcnt(0) lgkmcnt(0)
	v_mul_f64 v[10:11], v[20:21], v[16:17]
	v_mul_f64 v[16:17], v[18:19], v[16:17]
	v_fma_f64 v[10:11], v[18:19], v[14:15], -v[10:11]
	s_delay_alu instid0(VALU_DEP_2) | instskip(NEXT) | instid1(VALU_DEP_2)
	v_fma_f64 v[14:15], v[20:21], v[14:15], v[16:17]
	v_add_f64 v[3:4], v[3:4], v[10:11]
	s_delay_alu instid0(VALU_DEP_2)
	v_add_f64 v[1:2], v[1:2], v[14:15]
	s_and_not1_b32 exec_lo, exec_lo, s3
	s_cbranch_execnz .LBB60_101
; %bb.102:
	s_or_b32 exec_lo, exec_lo, s3
	v_mov_b32_e32 v7, 0
	ds_load_b128 v[7:10], v7 offset:304
	s_waitcnt lgkmcnt(0)
	v_mul_f64 v[11:12], v[1:2], v[9:10]
	v_mul_f64 v[14:15], v[3:4], v[9:10]
	s_delay_alu instid0(VALU_DEP_2) | instskip(NEXT) | instid1(VALU_DEP_2)
	v_fma_f64 v[9:10], v[3:4], v[7:8], -v[11:12]
	v_fma_f64 v[11:12], v[1:2], v[7:8], v[14:15]
	scratch_store_b128 off, v[9:12], off offset:304
.LBB60_103:
	s_or_b32 exec_lo, exec_lo, s2
	s_waitcnt_vscnt null, 0x0
	s_barrier
	buffer_gl0_inv
	scratch_load_b32 v1, off, off offset:984 ; 4-byte Folded Reload
	s_mov_b32 s2, exec_lo
	s_waitcnt vmcnt(0)
	scratch_load_b128 v[1:4], v1, off
	s_waitcnt vmcnt(0)
	ds_store_b128 v5, v[1:4]
	s_waitcnt lgkmcnt(0)
	s_barrier
	buffer_gl0_inv
	v_cmpx_gt_u32_e32 20, v171
	s_cbranch_execz .LBB60_107
; %bb.104:
	v_dual_mov_b32 v1, 0 :: v_dual_add_nc_u32 v8, 0x3d0, v229
	v_dual_mov_b32 v2, 0 :: v_dual_add_nc_u32 v7, -1, v171
	v_or_b32_e32 v9, 8, v13
	s_mov_b32 s3, 0
	s_delay_alu instid0(VALU_DEP_2)
	v_dual_mov_b32 v4, v2 :: v_dual_mov_b32 v3, v1
	.p2align	6
.LBB60_105:                             ; =>This Inner Loop Header: Depth=1
	scratch_load_b128 v[14:17], v9, off offset:-8
	ds_load_b128 v[18:21], v8
	v_add_nc_u32_e32 v7, 1, v7
	v_add_nc_u32_e32 v8, 16, v8
	;; [unrolled: 1-line block ×3, first 2 shown]
	s_delay_alu instid0(VALU_DEP_3) | instskip(SKIP_4) | instid1(VALU_DEP_2)
	v_cmp_lt_u32_e32 vcc_lo, 18, v7
	s_or_b32 s3, vcc_lo, s3
	s_waitcnt vmcnt(0) lgkmcnt(0)
	v_mul_f64 v[10:11], v[20:21], v[16:17]
	v_mul_f64 v[16:17], v[18:19], v[16:17]
	v_fma_f64 v[10:11], v[18:19], v[14:15], -v[10:11]
	s_delay_alu instid0(VALU_DEP_2) | instskip(NEXT) | instid1(VALU_DEP_2)
	v_fma_f64 v[14:15], v[20:21], v[14:15], v[16:17]
	v_add_f64 v[3:4], v[3:4], v[10:11]
	s_delay_alu instid0(VALU_DEP_2)
	v_add_f64 v[1:2], v[1:2], v[14:15]
	s_and_not1_b32 exec_lo, exec_lo, s3
	s_cbranch_execnz .LBB60_105
; %bb.106:
	s_or_b32 exec_lo, exec_lo, s3
	v_mov_b32_e32 v7, 0
	ds_load_b128 v[7:10], v7 offset:320
	s_waitcnt lgkmcnt(0)
	v_mul_f64 v[11:12], v[1:2], v[9:10]
	v_mul_f64 v[14:15], v[3:4], v[9:10]
	s_delay_alu instid0(VALU_DEP_2) | instskip(NEXT) | instid1(VALU_DEP_2)
	v_fma_f64 v[9:10], v[3:4], v[7:8], -v[11:12]
	v_fma_f64 v[11:12], v[1:2], v[7:8], v[14:15]
	scratch_store_b128 off, v[9:12], off offset:320
.LBB60_107:
	s_or_b32 exec_lo, exec_lo, s2
	s_waitcnt_vscnt null, 0x0
	s_barrier
	buffer_gl0_inv
	scratch_load_b32 v1, off, off offset:980 ; 4-byte Folded Reload
	s_mov_b32 s2, exec_lo
	s_waitcnt vmcnt(0)
	scratch_load_b128 v[1:4], v1, off
	s_waitcnt vmcnt(0)
	ds_store_b128 v5, v[1:4]
	s_waitcnt lgkmcnt(0)
	s_barrier
	buffer_gl0_inv
	v_cmpx_gt_u32_e32 21, v171
	s_cbranch_execz .LBB60_111
; %bb.108:
	v_dual_mov_b32 v1, 0 :: v_dual_add_nc_u32 v8, 0x3d0, v229
	v_dual_mov_b32 v2, 0 :: v_dual_add_nc_u32 v7, -1, v171
	v_or_b32_e32 v9, 8, v13
	s_mov_b32 s3, 0
	s_delay_alu instid0(VALU_DEP_2)
	v_dual_mov_b32 v4, v2 :: v_dual_mov_b32 v3, v1
	.p2align	6
.LBB60_109:                             ; =>This Inner Loop Header: Depth=1
	scratch_load_b128 v[14:17], v9, off offset:-8
	ds_load_b128 v[18:21], v8
	v_add_nc_u32_e32 v7, 1, v7
	v_add_nc_u32_e32 v8, 16, v8
	;; [unrolled: 1-line block ×3, first 2 shown]
	s_delay_alu instid0(VALU_DEP_3) | instskip(SKIP_4) | instid1(VALU_DEP_2)
	v_cmp_lt_u32_e32 vcc_lo, 19, v7
	s_or_b32 s3, vcc_lo, s3
	s_waitcnt vmcnt(0) lgkmcnt(0)
	v_mul_f64 v[10:11], v[20:21], v[16:17]
	v_mul_f64 v[16:17], v[18:19], v[16:17]
	v_fma_f64 v[10:11], v[18:19], v[14:15], -v[10:11]
	s_delay_alu instid0(VALU_DEP_2) | instskip(NEXT) | instid1(VALU_DEP_2)
	v_fma_f64 v[14:15], v[20:21], v[14:15], v[16:17]
	v_add_f64 v[3:4], v[3:4], v[10:11]
	s_delay_alu instid0(VALU_DEP_2)
	v_add_f64 v[1:2], v[1:2], v[14:15]
	s_and_not1_b32 exec_lo, exec_lo, s3
	s_cbranch_execnz .LBB60_109
; %bb.110:
	s_or_b32 exec_lo, exec_lo, s3
	v_mov_b32_e32 v7, 0
	ds_load_b128 v[7:10], v7 offset:336
	s_waitcnt lgkmcnt(0)
	v_mul_f64 v[11:12], v[1:2], v[9:10]
	v_mul_f64 v[14:15], v[3:4], v[9:10]
	s_delay_alu instid0(VALU_DEP_2) | instskip(NEXT) | instid1(VALU_DEP_2)
	v_fma_f64 v[9:10], v[3:4], v[7:8], -v[11:12]
	v_fma_f64 v[11:12], v[1:2], v[7:8], v[14:15]
	scratch_store_b128 off, v[9:12], off offset:336
.LBB60_111:
	s_or_b32 exec_lo, exec_lo, s2
	s_waitcnt_vscnt null, 0x0
	s_barrier
	buffer_gl0_inv
	scratch_load_b32 v1, off, off offset:976 ; 4-byte Folded Reload
	s_mov_b32 s2, exec_lo
	s_waitcnt vmcnt(0)
	scratch_load_b128 v[1:4], v1, off
	s_waitcnt vmcnt(0)
	ds_store_b128 v5, v[1:4]
	s_waitcnt lgkmcnt(0)
	s_barrier
	buffer_gl0_inv
	v_cmpx_gt_u32_e32 22, v171
	s_cbranch_execz .LBB60_115
; %bb.112:
	v_dual_mov_b32 v1, 0 :: v_dual_add_nc_u32 v8, 0x3d0, v229
	v_dual_mov_b32 v2, 0 :: v_dual_add_nc_u32 v7, -1, v171
	v_or_b32_e32 v9, 8, v13
	s_mov_b32 s3, 0
	s_delay_alu instid0(VALU_DEP_2)
	v_dual_mov_b32 v4, v2 :: v_dual_mov_b32 v3, v1
	.p2align	6
.LBB60_113:                             ; =>This Inner Loop Header: Depth=1
	scratch_load_b128 v[14:17], v9, off offset:-8
	ds_load_b128 v[18:21], v8
	v_add_nc_u32_e32 v7, 1, v7
	v_add_nc_u32_e32 v8, 16, v8
	;; [unrolled: 1-line block ×3, first 2 shown]
	s_delay_alu instid0(VALU_DEP_3) | instskip(SKIP_4) | instid1(VALU_DEP_2)
	v_cmp_lt_u32_e32 vcc_lo, 20, v7
	s_or_b32 s3, vcc_lo, s3
	s_waitcnt vmcnt(0) lgkmcnt(0)
	v_mul_f64 v[10:11], v[20:21], v[16:17]
	v_mul_f64 v[16:17], v[18:19], v[16:17]
	v_fma_f64 v[10:11], v[18:19], v[14:15], -v[10:11]
	s_delay_alu instid0(VALU_DEP_2) | instskip(NEXT) | instid1(VALU_DEP_2)
	v_fma_f64 v[14:15], v[20:21], v[14:15], v[16:17]
	v_add_f64 v[3:4], v[3:4], v[10:11]
	s_delay_alu instid0(VALU_DEP_2)
	v_add_f64 v[1:2], v[1:2], v[14:15]
	s_and_not1_b32 exec_lo, exec_lo, s3
	s_cbranch_execnz .LBB60_113
; %bb.114:
	s_or_b32 exec_lo, exec_lo, s3
	v_mov_b32_e32 v7, 0
	ds_load_b128 v[7:10], v7 offset:352
	s_waitcnt lgkmcnt(0)
	v_mul_f64 v[11:12], v[1:2], v[9:10]
	v_mul_f64 v[14:15], v[3:4], v[9:10]
	s_delay_alu instid0(VALU_DEP_2) | instskip(NEXT) | instid1(VALU_DEP_2)
	v_fma_f64 v[9:10], v[3:4], v[7:8], -v[11:12]
	v_fma_f64 v[11:12], v[1:2], v[7:8], v[14:15]
	scratch_store_b128 off, v[9:12], off offset:352
.LBB60_115:
	s_or_b32 exec_lo, exec_lo, s2
	s_waitcnt_vscnt null, 0x0
	s_barrier
	buffer_gl0_inv
	scratch_load_b128 v[1:4], v206, off
	s_mov_b32 s2, exec_lo
	s_waitcnt vmcnt(0)
	ds_store_b128 v5, v[1:4]
	s_waitcnt lgkmcnt(0)
	s_barrier
	buffer_gl0_inv
	v_cmpx_gt_u32_e32 23, v171
	s_cbranch_execz .LBB60_119
; %bb.116:
	v_dual_mov_b32 v1, 0 :: v_dual_add_nc_u32 v8, 0x3d0, v229
	v_dual_mov_b32 v2, 0 :: v_dual_add_nc_u32 v7, -1, v171
	v_or_b32_e32 v9, 8, v13
	s_mov_b32 s3, 0
	s_delay_alu instid0(VALU_DEP_2)
	v_dual_mov_b32 v4, v2 :: v_dual_mov_b32 v3, v1
	.p2align	6
.LBB60_117:                             ; =>This Inner Loop Header: Depth=1
	scratch_load_b128 v[14:17], v9, off offset:-8
	ds_load_b128 v[18:21], v8
	v_add_nc_u32_e32 v7, 1, v7
	v_add_nc_u32_e32 v8, 16, v8
	;; [unrolled: 1-line block ×3, first 2 shown]
	s_delay_alu instid0(VALU_DEP_3) | instskip(SKIP_4) | instid1(VALU_DEP_2)
	v_cmp_lt_u32_e32 vcc_lo, 21, v7
	s_or_b32 s3, vcc_lo, s3
	s_waitcnt vmcnt(0) lgkmcnt(0)
	v_mul_f64 v[10:11], v[20:21], v[16:17]
	v_mul_f64 v[16:17], v[18:19], v[16:17]
	v_fma_f64 v[10:11], v[18:19], v[14:15], -v[10:11]
	s_delay_alu instid0(VALU_DEP_2) | instskip(NEXT) | instid1(VALU_DEP_2)
	v_fma_f64 v[14:15], v[20:21], v[14:15], v[16:17]
	v_add_f64 v[3:4], v[3:4], v[10:11]
	s_delay_alu instid0(VALU_DEP_2)
	v_add_f64 v[1:2], v[1:2], v[14:15]
	s_and_not1_b32 exec_lo, exec_lo, s3
	s_cbranch_execnz .LBB60_117
; %bb.118:
	s_or_b32 exec_lo, exec_lo, s3
	v_mov_b32_e32 v7, 0
	ds_load_b128 v[7:10], v7 offset:368
	s_waitcnt lgkmcnt(0)
	v_mul_f64 v[11:12], v[1:2], v[9:10]
	v_mul_f64 v[14:15], v[3:4], v[9:10]
	s_delay_alu instid0(VALU_DEP_2) | instskip(NEXT) | instid1(VALU_DEP_2)
	v_fma_f64 v[9:10], v[3:4], v[7:8], -v[11:12]
	v_fma_f64 v[11:12], v[1:2], v[7:8], v[14:15]
	scratch_store_b128 off, v[9:12], off offset:368
.LBB60_119:
	s_or_b32 exec_lo, exec_lo, s2
	s_waitcnt_vscnt null, 0x0
	s_barrier
	buffer_gl0_inv
	scratch_load_b128 v[1:4], v201, off
	s_mov_b32 s2, exec_lo
	s_waitcnt vmcnt(0)
	ds_store_b128 v5, v[1:4]
	s_waitcnt lgkmcnt(0)
	s_barrier
	buffer_gl0_inv
	v_cmpx_gt_u32_e32 24, v171
	s_cbranch_execz .LBB60_123
; %bb.120:
	v_dual_mov_b32 v1, 0 :: v_dual_add_nc_u32 v8, 0x3d0, v229
	v_dual_mov_b32 v2, 0 :: v_dual_add_nc_u32 v7, -1, v171
	v_or_b32_e32 v9, 8, v13
	s_mov_b32 s3, 0
	s_delay_alu instid0(VALU_DEP_2)
	v_dual_mov_b32 v4, v2 :: v_dual_mov_b32 v3, v1
	.p2align	6
.LBB60_121:                             ; =>This Inner Loop Header: Depth=1
	scratch_load_b128 v[14:17], v9, off offset:-8
	ds_load_b128 v[18:21], v8
	v_add_nc_u32_e32 v7, 1, v7
	v_add_nc_u32_e32 v8, 16, v8
	v_add_nc_u32_e32 v9, 16, v9
	s_delay_alu instid0(VALU_DEP_3) | instskip(SKIP_4) | instid1(VALU_DEP_2)
	v_cmp_lt_u32_e32 vcc_lo, 22, v7
	s_or_b32 s3, vcc_lo, s3
	s_waitcnt vmcnt(0) lgkmcnt(0)
	v_mul_f64 v[10:11], v[20:21], v[16:17]
	v_mul_f64 v[16:17], v[18:19], v[16:17]
	v_fma_f64 v[10:11], v[18:19], v[14:15], -v[10:11]
	s_delay_alu instid0(VALU_DEP_2) | instskip(NEXT) | instid1(VALU_DEP_2)
	v_fma_f64 v[14:15], v[20:21], v[14:15], v[16:17]
	v_add_f64 v[3:4], v[3:4], v[10:11]
	s_delay_alu instid0(VALU_DEP_2)
	v_add_f64 v[1:2], v[1:2], v[14:15]
	s_and_not1_b32 exec_lo, exec_lo, s3
	s_cbranch_execnz .LBB60_121
; %bb.122:
	s_or_b32 exec_lo, exec_lo, s3
	v_mov_b32_e32 v7, 0
	ds_load_b128 v[7:10], v7 offset:384
	s_waitcnt lgkmcnt(0)
	v_mul_f64 v[11:12], v[1:2], v[9:10]
	v_mul_f64 v[14:15], v[3:4], v[9:10]
	s_delay_alu instid0(VALU_DEP_2) | instskip(NEXT) | instid1(VALU_DEP_2)
	v_fma_f64 v[9:10], v[3:4], v[7:8], -v[11:12]
	v_fma_f64 v[11:12], v[1:2], v[7:8], v[14:15]
	scratch_store_b128 off, v[9:12], off offset:384
.LBB60_123:
	s_or_b32 exec_lo, exec_lo, s2
	s_waitcnt_vscnt null, 0x0
	s_barrier
	buffer_gl0_inv
	scratch_load_b128 v[1:4], v226, off
	s_mov_b32 s2, exec_lo
	s_waitcnt vmcnt(0)
	ds_store_b128 v5, v[1:4]
	s_waitcnt lgkmcnt(0)
	s_barrier
	buffer_gl0_inv
	v_cmpx_gt_u32_e32 25, v171
	s_cbranch_execz .LBB60_127
; %bb.124:
	v_dual_mov_b32 v1, 0 :: v_dual_add_nc_u32 v8, 0x3d0, v229
	v_dual_mov_b32 v2, 0 :: v_dual_add_nc_u32 v7, -1, v171
	v_or_b32_e32 v9, 8, v13
	s_mov_b32 s3, 0
	s_delay_alu instid0(VALU_DEP_2)
	v_dual_mov_b32 v4, v2 :: v_dual_mov_b32 v3, v1
	.p2align	6
.LBB60_125:                             ; =>This Inner Loop Header: Depth=1
	scratch_load_b128 v[14:17], v9, off offset:-8
	ds_load_b128 v[18:21], v8
	v_add_nc_u32_e32 v7, 1, v7
	v_add_nc_u32_e32 v8, 16, v8
	;; [unrolled: 1-line block ×3, first 2 shown]
	s_delay_alu instid0(VALU_DEP_3) | instskip(SKIP_4) | instid1(VALU_DEP_2)
	v_cmp_lt_u32_e32 vcc_lo, 23, v7
	s_or_b32 s3, vcc_lo, s3
	s_waitcnt vmcnt(0) lgkmcnt(0)
	v_mul_f64 v[10:11], v[20:21], v[16:17]
	v_mul_f64 v[16:17], v[18:19], v[16:17]
	v_fma_f64 v[10:11], v[18:19], v[14:15], -v[10:11]
	s_delay_alu instid0(VALU_DEP_2) | instskip(NEXT) | instid1(VALU_DEP_2)
	v_fma_f64 v[14:15], v[20:21], v[14:15], v[16:17]
	v_add_f64 v[3:4], v[3:4], v[10:11]
	s_delay_alu instid0(VALU_DEP_2)
	v_add_f64 v[1:2], v[1:2], v[14:15]
	s_and_not1_b32 exec_lo, exec_lo, s3
	s_cbranch_execnz .LBB60_125
; %bb.126:
	s_or_b32 exec_lo, exec_lo, s3
	v_mov_b32_e32 v7, 0
	ds_load_b128 v[7:10], v7 offset:400
	s_waitcnt lgkmcnt(0)
	v_mul_f64 v[11:12], v[1:2], v[9:10]
	v_mul_f64 v[14:15], v[3:4], v[9:10]
	s_delay_alu instid0(VALU_DEP_2) | instskip(NEXT) | instid1(VALU_DEP_2)
	v_fma_f64 v[9:10], v[3:4], v[7:8], -v[11:12]
	v_fma_f64 v[11:12], v[1:2], v[7:8], v[14:15]
	scratch_store_b128 off, v[9:12], off offset:400
.LBB60_127:
	s_or_b32 exec_lo, exec_lo, s2
	s_waitcnt_vscnt null, 0x0
	s_barrier
	buffer_gl0_inv
	scratch_load_b128 v[1:4], v225, off
	s_mov_b32 s2, exec_lo
	s_waitcnt vmcnt(0)
	ds_store_b128 v5, v[1:4]
	s_waitcnt lgkmcnt(0)
	s_barrier
	buffer_gl0_inv
	v_cmpx_gt_u32_e32 26, v171
	s_cbranch_execz .LBB60_131
; %bb.128:
	v_dual_mov_b32 v1, 0 :: v_dual_add_nc_u32 v8, 0x3d0, v229
	v_dual_mov_b32 v2, 0 :: v_dual_add_nc_u32 v7, -1, v171
	v_or_b32_e32 v9, 8, v13
	s_mov_b32 s3, 0
	s_delay_alu instid0(VALU_DEP_2)
	v_dual_mov_b32 v4, v2 :: v_dual_mov_b32 v3, v1
	.p2align	6
.LBB60_129:                             ; =>This Inner Loop Header: Depth=1
	scratch_load_b128 v[14:17], v9, off offset:-8
	ds_load_b128 v[18:21], v8
	v_add_nc_u32_e32 v7, 1, v7
	v_add_nc_u32_e32 v8, 16, v8
	;; [unrolled: 1-line block ×3, first 2 shown]
	s_delay_alu instid0(VALU_DEP_3) | instskip(SKIP_4) | instid1(VALU_DEP_2)
	v_cmp_lt_u32_e32 vcc_lo, 24, v7
	s_or_b32 s3, vcc_lo, s3
	s_waitcnt vmcnt(0) lgkmcnt(0)
	v_mul_f64 v[10:11], v[20:21], v[16:17]
	v_mul_f64 v[16:17], v[18:19], v[16:17]
	v_fma_f64 v[10:11], v[18:19], v[14:15], -v[10:11]
	s_delay_alu instid0(VALU_DEP_2) | instskip(NEXT) | instid1(VALU_DEP_2)
	v_fma_f64 v[14:15], v[20:21], v[14:15], v[16:17]
	v_add_f64 v[3:4], v[3:4], v[10:11]
	s_delay_alu instid0(VALU_DEP_2)
	v_add_f64 v[1:2], v[1:2], v[14:15]
	s_and_not1_b32 exec_lo, exec_lo, s3
	s_cbranch_execnz .LBB60_129
; %bb.130:
	s_or_b32 exec_lo, exec_lo, s3
	v_mov_b32_e32 v7, 0
	ds_load_b128 v[7:10], v7 offset:416
	s_waitcnt lgkmcnt(0)
	v_mul_f64 v[11:12], v[1:2], v[9:10]
	v_mul_f64 v[14:15], v[3:4], v[9:10]
	s_delay_alu instid0(VALU_DEP_2) | instskip(NEXT) | instid1(VALU_DEP_2)
	v_fma_f64 v[9:10], v[3:4], v[7:8], -v[11:12]
	v_fma_f64 v[11:12], v[1:2], v[7:8], v[14:15]
	scratch_store_b128 off, v[9:12], off offset:416
.LBB60_131:
	s_or_b32 exec_lo, exec_lo, s2
	s_waitcnt_vscnt null, 0x0
	s_barrier
	buffer_gl0_inv
	scratch_load_b128 v[1:4], v199, off
	s_mov_b32 s2, exec_lo
	s_waitcnt vmcnt(0)
	ds_store_b128 v5, v[1:4]
	s_waitcnt lgkmcnt(0)
	s_barrier
	buffer_gl0_inv
	v_cmpx_gt_u32_e32 27, v171
	s_cbranch_execz .LBB60_135
; %bb.132:
	v_dual_mov_b32 v1, 0 :: v_dual_add_nc_u32 v8, 0x3d0, v229
	v_dual_mov_b32 v2, 0 :: v_dual_add_nc_u32 v7, -1, v171
	v_or_b32_e32 v9, 8, v13
	s_mov_b32 s3, 0
	s_delay_alu instid0(VALU_DEP_2)
	v_dual_mov_b32 v4, v2 :: v_dual_mov_b32 v3, v1
	.p2align	6
.LBB60_133:                             ; =>This Inner Loop Header: Depth=1
	scratch_load_b128 v[14:17], v9, off offset:-8
	ds_load_b128 v[18:21], v8
	v_add_nc_u32_e32 v7, 1, v7
	v_add_nc_u32_e32 v8, 16, v8
	;; [unrolled: 1-line block ×3, first 2 shown]
	s_delay_alu instid0(VALU_DEP_3) | instskip(SKIP_4) | instid1(VALU_DEP_2)
	v_cmp_lt_u32_e32 vcc_lo, 25, v7
	s_or_b32 s3, vcc_lo, s3
	s_waitcnt vmcnt(0) lgkmcnt(0)
	v_mul_f64 v[10:11], v[20:21], v[16:17]
	v_mul_f64 v[16:17], v[18:19], v[16:17]
	v_fma_f64 v[10:11], v[18:19], v[14:15], -v[10:11]
	s_delay_alu instid0(VALU_DEP_2) | instskip(NEXT) | instid1(VALU_DEP_2)
	v_fma_f64 v[14:15], v[20:21], v[14:15], v[16:17]
	v_add_f64 v[3:4], v[3:4], v[10:11]
	s_delay_alu instid0(VALU_DEP_2)
	v_add_f64 v[1:2], v[1:2], v[14:15]
	s_and_not1_b32 exec_lo, exec_lo, s3
	s_cbranch_execnz .LBB60_133
; %bb.134:
	s_or_b32 exec_lo, exec_lo, s3
	v_mov_b32_e32 v7, 0
	ds_load_b128 v[7:10], v7 offset:432
	s_waitcnt lgkmcnt(0)
	v_mul_f64 v[11:12], v[1:2], v[9:10]
	v_mul_f64 v[14:15], v[3:4], v[9:10]
	s_delay_alu instid0(VALU_DEP_2) | instskip(NEXT) | instid1(VALU_DEP_2)
	v_fma_f64 v[9:10], v[3:4], v[7:8], -v[11:12]
	v_fma_f64 v[11:12], v[1:2], v[7:8], v[14:15]
	scratch_store_b128 off, v[9:12], off offset:432
.LBB60_135:
	s_or_b32 exec_lo, exec_lo, s2
	s_waitcnt_vscnt null, 0x0
	s_barrier
	buffer_gl0_inv
	scratch_load_b128 v[1:4], v220, off
	s_mov_b32 s2, exec_lo
	s_waitcnt vmcnt(0)
	ds_store_b128 v5, v[1:4]
	s_waitcnt lgkmcnt(0)
	s_barrier
	buffer_gl0_inv
	v_cmpx_gt_u32_e32 28, v171
	s_cbranch_execz .LBB60_139
; %bb.136:
	v_dual_mov_b32 v1, 0 :: v_dual_add_nc_u32 v8, 0x3d0, v229
	v_dual_mov_b32 v2, 0 :: v_dual_add_nc_u32 v7, -1, v171
	v_or_b32_e32 v9, 8, v13
	s_mov_b32 s3, 0
	s_delay_alu instid0(VALU_DEP_2)
	v_dual_mov_b32 v4, v2 :: v_dual_mov_b32 v3, v1
	.p2align	6
.LBB60_137:                             ; =>This Inner Loop Header: Depth=1
	scratch_load_b128 v[14:17], v9, off offset:-8
	ds_load_b128 v[18:21], v8
	v_add_nc_u32_e32 v7, 1, v7
	v_add_nc_u32_e32 v8, 16, v8
	;; [unrolled: 1-line block ×3, first 2 shown]
	s_delay_alu instid0(VALU_DEP_3) | instskip(SKIP_4) | instid1(VALU_DEP_2)
	v_cmp_lt_u32_e32 vcc_lo, 26, v7
	s_or_b32 s3, vcc_lo, s3
	s_waitcnt vmcnt(0) lgkmcnt(0)
	v_mul_f64 v[10:11], v[20:21], v[16:17]
	v_mul_f64 v[16:17], v[18:19], v[16:17]
	v_fma_f64 v[10:11], v[18:19], v[14:15], -v[10:11]
	s_delay_alu instid0(VALU_DEP_2) | instskip(NEXT) | instid1(VALU_DEP_2)
	v_fma_f64 v[14:15], v[20:21], v[14:15], v[16:17]
	v_add_f64 v[3:4], v[3:4], v[10:11]
	s_delay_alu instid0(VALU_DEP_2)
	v_add_f64 v[1:2], v[1:2], v[14:15]
	s_and_not1_b32 exec_lo, exec_lo, s3
	s_cbranch_execnz .LBB60_137
; %bb.138:
	s_or_b32 exec_lo, exec_lo, s3
	v_mov_b32_e32 v7, 0
	ds_load_b128 v[7:10], v7 offset:448
	s_waitcnt lgkmcnt(0)
	v_mul_f64 v[11:12], v[1:2], v[9:10]
	v_mul_f64 v[14:15], v[3:4], v[9:10]
	s_delay_alu instid0(VALU_DEP_2) | instskip(NEXT) | instid1(VALU_DEP_2)
	v_fma_f64 v[9:10], v[3:4], v[7:8], -v[11:12]
	v_fma_f64 v[11:12], v[1:2], v[7:8], v[14:15]
	scratch_store_b128 off, v[9:12], off offset:448
.LBB60_139:
	s_or_b32 exec_lo, exec_lo, s2
	s_waitcnt_vscnt null, 0x0
	s_barrier
	buffer_gl0_inv
	scratch_load_b128 v[1:4], v194, off
	s_mov_b32 s2, exec_lo
	s_waitcnt vmcnt(0)
	ds_store_b128 v5, v[1:4]
	s_waitcnt lgkmcnt(0)
	s_barrier
	buffer_gl0_inv
	v_cmpx_gt_u32_e32 29, v171
	s_cbranch_execz .LBB60_143
; %bb.140:
	v_dual_mov_b32 v1, 0 :: v_dual_add_nc_u32 v8, 0x3d0, v229
	v_dual_mov_b32 v2, 0 :: v_dual_add_nc_u32 v7, -1, v171
	v_or_b32_e32 v9, 8, v13
	s_mov_b32 s3, 0
	s_delay_alu instid0(VALU_DEP_2)
	v_dual_mov_b32 v4, v2 :: v_dual_mov_b32 v3, v1
	.p2align	6
.LBB60_141:                             ; =>This Inner Loop Header: Depth=1
	scratch_load_b128 v[14:17], v9, off offset:-8
	ds_load_b128 v[18:21], v8
	v_add_nc_u32_e32 v7, 1, v7
	v_add_nc_u32_e32 v8, 16, v8
	;; [unrolled: 1-line block ×3, first 2 shown]
	s_delay_alu instid0(VALU_DEP_3) | instskip(SKIP_4) | instid1(VALU_DEP_2)
	v_cmp_lt_u32_e32 vcc_lo, 27, v7
	s_or_b32 s3, vcc_lo, s3
	s_waitcnt vmcnt(0) lgkmcnt(0)
	v_mul_f64 v[10:11], v[20:21], v[16:17]
	v_mul_f64 v[16:17], v[18:19], v[16:17]
	v_fma_f64 v[10:11], v[18:19], v[14:15], -v[10:11]
	s_delay_alu instid0(VALU_DEP_2) | instskip(NEXT) | instid1(VALU_DEP_2)
	v_fma_f64 v[14:15], v[20:21], v[14:15], v[16:17]
	v_add_f64 v[3:4], v[3:4], v[10:11]
	s_delay_alu instid0(VALU_DEP_2)
	v_add_f64 v[1:2], v[1:2], v[14:15]
	s_and_not1_b32 exec_lo, exec_lo, s3
	s_cbranch_execnz .LBB60_141
; %bb.142:
	s_or_b32 exec_lo, exec_lo, s3
	v_mov_b32_e32 v7, 0
	ds_load_b128 v[7:10], v7 offset:464
	s_waitcnt lgkmcnt(0)
	v_mul_f64 v[11:12], v[1:2], v[9:10]
	v_mul_f64 v[14:15], v[3:4], v[9:10]
	s_delay_alu instid0(VALU_DEP_2) | instskip(NEXT) | instid1(VALU_DEP_2)
	v_fma_f64 v[9:10], v[3:4], v[7:8], -v[11:12]
	v_fma_f64 v[11:12], v[1:2], v[7:8], v[14:15]
	scratch_store_b128 off, v[9:12], off offset:464
.LBB60_143:
	s_or_b32 exec_lo, exec_lo, s2
	s_waitcnt_vscnt null, 0x0
	s_barrier
	buffer_gl0_inv
	scratch_load_b128 v[1:4], v214, off
	s_mov_b32 s2, exec_lo
	s_waitcnt vmcnt(0)
	ds_store_b128 v5, v[1:4]
	s_waitcnt lgkmcnt(0)
	s_barrier
	buffer_gl0_inv
	v_cmpx_gt_u32_e32 30, v171
	s_cbranch_execz .LBB60_147
; %bb.144:
	v_dual_mov_b32 v1, 0 :: v_dual_add_nc_u32 v8, 0x3d0, v229
	v_dual_mov_b32 v2, 0 :: v_dual_add_nc_u32 v7, -1, v171
	v_or_b32_e32 v9, 8, v13
	s_mov_b32 s3, 0
	s_delay_alu instid0(VALU_DEP_2)
	v_dual_mov_b32 v4, v2 :: v_dual_mov_b32 v3, v1
	.p2align	6
.LBB60_145:                             ; =>This Inner Loop Header: Depth=1
	scratch_load_b128 v[14:17], v9, off offset:-8
	ds_load_b128 v[18:21], v8
	v_add_nc_u32_e32 v7, 1, v7
	v_add_nc_u32_e32 v8, 16, v8
	;; [unrolled: 1-line block ×3, first 2 shown]
	s_delay_alu instid0(VALU_DEP_3) | instskip(SKIP_4) | instid1(VALU_DEP_2)
	v_cmp_lt_u32_e32 vcc_lo, 28, v7
	s_or_b32 s3, vcc_lo, s3
	s_waitcnt vmcnt(0) lgkmcnt(0)
	v_mul_f64 v[10:11], v[20:21], v[16:17]
	v_mul_f64 v[16:17], v[18:19], v[16:17]
	v_fma_f64 v[10:11], v[18:19], v[14:15], -v[10:11]
	s_delay_alu instid0(VALU_DEP_2) | instskip(NEXT) | instid1(VALU_DEP_2)
	v_fma_f64 v[14:15], v[20:21], v[14:15], v[16:17]
	v_add_f64 v[3:4], v[3:4], v[10:11]
	s_delay_alu instid0(VALU_DEP_2)
	v_add_f64 v[1:2], v[1:2], v[14:15]
	s_and_not1_b32 exec_lo, exec_lo, s3
	s_cbranch_execnz .LBB60_145
; %bb.146:
	s_or_b32 exec_lo, exec_lo, s3
	v_mov_b32_e32 v7, 0
	ds_load_b128 v[7:10], v7 offset:480
	s_waitcnt lgkmcnt(0)
	v_mul_f64 v[11:12], v[1:2], v[9:10]
	v_mul_f64 v[14:15], v[3:4], v[9:10]
	s_delay_alu instid0(VALU_DEP_2) | instskip(NEXT) | instid1(VALU_DEP_2)
	v_fma_f64 v[9:10], v[3:4], v[7:8], -v[11:12]
	v_fma_f64 v[11:12], v[1:2], v[7:8], v[14:15]
	scratch_store_b128 off, v[9:12], off offset:480
.LBB60_147:
	s_or_b32 exec_lo, exec_lo, s2
	s_waitcnt_vscnt null, 0x0
	s_barrier
	buffer_gl0_inv
	scratch_load_b128 v[1:4], v180, off
	s_mov_b32 s2, exec_lo
	s_waitcnt vmcnt(0)
	ds_store_b128 v5, v[1:4]
	s_waitcnt lgkmcnt(0)
	s_barrier
	buffer_gl0_inv
	v_cmpx_gt_u32_e32 31, v171
	s_cbranch_execz .LBB60_151
; %bb.148:
	v_dual_mov_b32 v1, 0 :: v_dual_add_nc_u32 v8, 0x3d0, v229
	v_dual_mov_b32 v2, 0 :: v_dual_add_nc_u32 v7, -1, v171
	v_or_b32_e32 v9, 8, v13
	s_mov_b32 s3, 0
	s_delay_alu instid0(VALU_DEP_2)
	v_dual_mov_b32 v4, v2 :: v_dual_mov_b32 v3, v1
	.p2align	6
.LBB60_149:                             ; =>This Inner Loop Header: Depth=1
	scratch_load_b128 v[14:17], v9, off offset:-8
	ds_load_b128 v[18:21], v8
	v_add_nc_u32_e32 v7, 1, v7
	v_add_nc_u32_e32 v8, 16, v8
	;; [unrolled: 1-line block ×3, first 2 shown]
	s_delay_alu instid0(VALU_DEP_3) | instskip(SKIP_4) | instid1(VALU_DEP_2)
	v_cmp_lt_u32_e32 vcc_lo, 29, v7
	s_or_b32 s3, vcc_lo, s3
	s_waitcnt vmcnt(0) lgkmcnt(0)
	v_mul_f64 v[10:11], v[20:21], v[16:17]
	v_mul_f64 v[16:17], v[18:19], v[16:17]
	v_fma_f64 v[10:11], v[18:19], v[14:15], -v[10:11]
	s_delay_alu instid0(VALU_DEP_2) | instskip(NEXT) | instid1(VALU_DEP_2)
	v_fma_f64 v[14:15], v[20:21], v[14:15], v[16:17]
	v_add_f64 v[3:4], v[3:4], v[10:11]
	s_delay_alu instid0(VALU_DEP_2)
	v_add_f64 v[1:2], v[1:2], v[14:15]
	s_and_not1_b32 exec_lo, exec_lo, s3
	s_cbranch_execnz .LBB60_149
; %bb.150:
	s_or_b32 exec_lo, exec_lo, s3
	v_mov_b32_e32 v7, 0
	ds_load_b128 v[7:10], v7 offset:496
	s_waitcnt lgkmcnt(0)
	v_mul_f64 v[11:12], v[1:2], v[9:10]
	v_mul_f64 v[14:15], v[3:4], v[9:10]
	s_delay_alu instid0(VALU_DEP_2) | instskip(NEXT) | instid1(VALU_DEP_2)
	v_fma_f64 v[9:10], v[3:4], v[7:8], -v[11:12]
	v_fma_f64 v[11:12], v[1:2], v[7:8], v[14:15]
	scratch_store_b128 off, v[9:12], off offset:496
.LBB60_151:
	s_or_b32 exec_lo, exec_lo, s2
	s_waitcnt_vscnt null, 0x0
	s_barrier
	buffer_gl0_inv
	scratch_load_b128 v[1:4], v182, off
	s_mov_b32 s2, exec_lo
	s_waitcnt vmcnt(0)
	ds_store_b128 v5, v[1:4]
	s_waitcnt lgkmcnt(0)
	s_barrier
	buffer_gl0_inv
	v_cmpx_gt_u32_e32 32, v171
	s_cbranch_execz .LBB60_155
; %bb.152:
	v_dual_mov_b32 v1, 0 :: v_dual_add_nc_u32 v8, 0x3d0, v229
	v_dual_mov_b32 v2, 0 :: v_dual_add_nc_u32 v7, -1, v171
	v_or_b32_e32 v9, 8, v13
	s_mov_b32 s3, 0
	s_delay_alu instid0(VALU_DEP_2)
	v_dual_mov_b32 v4, v2 :: v_dual_mov_b32 v3, v1
	.p2align	6
.LBB60_153:                             ; =>This Inner Loop Header: Depth=1
	scratch_load_b128 v[14:17], v9, off offset:-8
	ds_load_b128 v[18:21], v8
	v_add_nc_u32_e32 v7, 1, v7
	v_add_nc_u32_e32 v8, 16, v8
	v_add_nc_u32_e32 v9, 16, v9
	s_delay_alu instid0(VALU_DEP_3) | instskip(SKIP_4) | instid1(VALU_DEP_2)
	v_cmp_lt_u32_e32 vcc_lo, 30, v7
	s_or_b32 s3, vcc_lo, s3
	s_waitcnt vmcnt(0) lgkmcnt(0)
	v_mul_f64 v[10:11], v[20:21], v[16:17]
	v_mul_f64 v[16:17], v[18:19], v[16:17]
	v_fma_f64 v[10:11], v[18:19], v[14:15], -v[10:11]
	s_delay_alu instid0(VALU_DEP_2) | instskip(NEXT) | instid1(VALU_DEP_2)
	v_fma_f64 v[14:15], v[20:21], v[14:15], v[16:17]
	v_add_f64 v[3:4], v[3:4], v[10:11]
	s_delay_alu instid0(VALU_DEP_2)
	v_add_f64 v[1:2], v[1:2], v[14:15]
	s_and_not1_b32 exec_lo, exec_lo, s3
	s_cbranch_execnz .LBB60_153
; %bb.154:
	s_or_b32 exec_lo, exec_lo, s3
	v_mov_b32_e32 v7, 0
	ds_load_b128 v[7:10], v7 offset:512
	s_waitcnt lgkmcnt(0)
	v_mul_f64 v[11:12], v[1:2], v[9:10]
	v_mul_f64 v[14:15], v[3:4], v[9:10]
	s_delay_alu instid0(VALU_DEP_2) | instskip(NEXT) | instid1(VALU_DEP_2)
	v_fma_f64 v[9:10], v[3:4], v[7:8], -v[11:12]
	v_fma_f64 v[11:12], v[1:2], v[7:8], v[14:15]
	scratch_store_b128 off, v[9:12], off offset:512
.LBB60_155:
	s_or_b32 exec_lo, exec_lo, s2
	s_waitcnt_vscnt null, 0x0
	s_barrier
	buffer_gl0_inv
	scratch_load_b128 v[1:4], v179, off
	s_mov_b32 s2, exec_lo
	s_waitcnt vmcnt(0)
	ds_store_b128 v5, v[1:4]
	s_waitcnt lgkmcnt(0)
	s_barrier
	buffer_gl0_inv
	v_cmpx_gt_u32_e32 33, v171
	s_cbranch_execz .LBB60_159
; %bb.156:
	v_dual_mov_b32 v1, 0 :: v_dual_add_nc_u32 v8, 0x3d0, v229
	v_dual_mov_b32 v2, 0 :: v_dual_add_nc_u32 v7, -1, v171
	v_or_b32_e32 v9, 8, v13
	s_mov_b32 s3, 0
	s_delay_alu instid0(VALU_DEP_2)
	v_dual_mov_b32 v4, v2 :: v_dual_mov_b32 v3, v1
	.p2align	6
.LBB60_157:                             ; =>This Inner Loop Header: Depth=1
	scratch_load_b128 v[14:17], v9, off offset:-8
	ds_load_b128 v[18:21], v8
	v_add_nc_u32_e32 v7, 1, v7
	v_add_nc_u32_e32 v8, 16, v8
	;; [unrolled: 1-line block ×3, first 2 shown]
	s_delay_alu instid0(VALU_DEP_3) | instskip(SKIP_4) | instid1(VALU_DEP_2)
	v_cmp_lt_u32_e32 vcc_lo, 31, v7
	s_or_b32 s3, vcc_lo, s3
	s_waitcnt vmcnt(0) lgkmcnt(0)
	v_mul_f64 v[10:11], v[20:21], v[16:17]
	v_mul_f64 v[16:17], v[18:19], v[16:17]
	v_fma_f64 v[10:11], v[18:19], v[14:15], -v[10:11]
	s_delay_alu instid0(VALU_DEP_2) | instskip(NEXT) | instid1(VALU_DEP_2)
	v_fma_f64 v[14:15], v[20:21], v[14:15], v[16:17]
	v_add_f64 v[3:4], v[3:4], v[10:11]
	s_delay_alu instid0(VALU_DEP_2)
	v_add_f64 v[1:2], v[1:2], v[14:15]
	s_and_not1_b32 exec_lo, exec_lo, s3
	s_cbranch_execnz .LBB60_157
; %bb.158:
	s_or_b32 exec_lo, exec_lo, s3
	v_mov_b32_e32 v7, 0
	ds_load_b128 v[7:10], v7 offset:528
	s_waitcnt lgkmcnt(0)
	v_mul_f64 v[11:12], v[1:2], v[9:10]
	v_mul_f64 v[14:15], v[3:4], v[9:10]
	s_delay_alu instid0(VALU_DEP_2) | instskip(NEXT) | instid1(VALU_DEP_2)
	v_fma_f64 v[9:10], v[3:4], v[7:8], -v[11:12]
	v_fma_f64 v[11:12], v[1:2], v[7:8], v[14:15]
	scratch_store_b128 off, v[9:12], off offset:528
.LBB60_159:
	s_or_b32 exec_lo, exec_lo, s2
	s_waitcnt_vscnt null, 0x0
	s_barrier
	buffer_gl0_inv
	scratch_load_b128 v[1:4], v202, off
	s_mov_b32 s2, exec_lo
	s_waitcnt vmcnt(0)
	ds_store_b128 v5, v[1:4]
	s_waitcnt lgkmcnt(0)
	s_barrier
	buffer_gl0_inv
	v_cmpx_gt_u32_e32 34, v171
	s_cbranch_execz .LBB60_163
; %bb.160:
	v_dual_mov_b32 v1, 0 :: v_dual_add_nc_u32 v8, 0x3d0, v229
	v_dual_mov_b32 v2, 0 :: v_dual_add_nc_u32 v7, -1, v171
	v_or_b32_e32 v9, 8, v13
	s_mov_b32 s3, 0
	s_delay_alu instid0(VALU_DEP_2)
	v_dual_mov_b32 v4, v2 :: v_dual_mov_b32 v3, v1
	.p2align	6
.LBB60_161:                             ; =>This Inner Loop Header: Depth=1
	scratch_load_b128 v[14:17], v9, off offset:-8
	ds_load_b128 v[18:21], v8
	v_add_nc_u32_e32 v7, 1, v7
	v_add_nc_u32_e32 v8, 16, v8
	;; [unrolled: 1-line block ×3, first 2 shown]
	s_delay_alu instid0(VALU_DEP_3) | instskip(SKIP_4) | instid1(VALU_DEP_2)
	v_cmp_lt_u32_e32 vcc_lo, 32, v7
	s_or_b32 s3, vcc_lo, s3
	s_waitcnt vmcnt(0) lgkmcnt(0)
	v_mul_f64 v[10:11], v[20:21], v[16:17]
	v_mul_f64 v[16:17], v[18:19], v[16:17]
	v_fma_f64 v[10:11], v[18:19], v[14:15], -v[10:11]
	s_delay_alu instid0(VALU_DEP_2) | instskip(NEXT) | instid1(VALU_DEP_2)
	v_fma_f64 v[14:15], v[20:21], v[14:15], v[16:17]
	v_add_f64 v[3:4], v[3:4], v[10:11]
	s_delay_alu instid0(VALU_DEP_2)
	v_add_f64 v[1:2], v[1:2], v[14:15]
	s_and_not1_b32 exec_lo, exec_lo, s3
	s_cbranch_execnz .LBB60_161
; %bb.162:
	s_or_b32 exec_lo, exec_lo, s3
	v_mov_b32_e32 v7, 0
	ds_load_b128 v[7:10], v7 offset:544
	s_waitcnt lgkmcnt(0)
	v_mul_f64 v[11:12], v[1:2], v[9:10]
	v_mul_f64 v[14:15], v[3:4], v[9:10]
	s_delay_alu instid0(VALU_DEP_2) | instskip(NEXT) | instid1(VALU_DEP_2)
	v_fma_f64 v[9:10], v[3:4], v[7:8], -v[11:12]
	v_fma_f64 v[11:12], v[1:2], v[7:8], v[14:15]
	scratch_store_b128 off, v[9:12], off offset:544
.LBB60_163:
	s_or_b32 exec_lo, exec_lo, s2
	s_waitcnt_vscnt null, 0x0
	s_barrier
	buffer_gl0_inv
	scratch_load_b128 v[1:4], v198, off
	s_mov_b32 s2, exec_lo
	s_waitcnt vmcnt(0)
	ds_store_b128 v5, v[1:4]
	s_waitcnt lgkmcnt(0)
	s_barrier
	buffer_gl0_inv
	v_cmpx_gt_u32_e32 35, v171
	s_cbranch_execz .LBB60_167
; %bb.164:
	v_dual_mov_b32 v1, 0 :: v_dual_add_nc_u32 v8, 0x3d0, v229
	v_dual_mov_b32 v2, 0 :: v_dual_add_nc_u32 v7, -1, v171
	v_or_b32_e32 v9, 8, v13
	s_mov_b32 s3, 0
	s_delay_alu instid0(VALU_DEP_2)
	v_dual_mov_b32 v4, v2 :: v_dual_mov_b32 v3, v1
	.p2align	6
.LBB60_165:                             ; =>This Inner Loop Header: Depth=1
	scratch_load_b128 v[14:17], v9, off offset:-8
	ds_load_b128 v[18:21], v8
	v_add_nc_u32_e32 v7, 1, v7
	v_add_nc_u32_e32 v8, 16, v8
	;; [unrolled: 1-line block ×3, first 2 shown]
	s_delay_alu instid0(VALU_DEP_3) | instskip(SKIP_4) | instid1(VALU_DEP_2)
	v_cmp_lt_u32_e32 vcc_lo, 33, v7
	s_or_b32 s3, vcc_lo, s3
	s_waitcnt vmcnt(0) lgkmcnt(0)
	v_mul_f64 v[10:11], v[20:21], v[16:17]
	v_mul_f64 v[16:17], v[18:19], v[16:17]
	v_fma_f64 v[10:11], v[18:19], v[14:15], -v[10:11]
	s_delay_alu instid0(VALU_DEP_2) | instskip(NEXT) | instid1(VALU_DEP_2)
	v_fma_f64 v[14:15], v[20:21], v[14:15], v[16:17]
	v_add_f64 v[3:4], v[3:4], v[10:11]
	s_delay_alu instid0(VALU_DEP_2)
	v_add_f64 v[1:2], v[1:2], v[14:15]
	s_and_not1_b32 exec_lo, exec_lo, s3
	s_cbranch_execnz .LBB60_165
; %bb.166:
	s_or_b32 exec_lo, exec_lo, s3
	v_mov_b32_e32 v7, 0
	ds_load_b128 v[7:10], v7 offset:560
	s_waitcnt lgkmcnt(0)
	v_mul_f64 v[11:12], v[1:2], v[9:10]
	v_mul_f64 v[14:15], v[3:4], v[9:10]
	s_delay_alu instid0(VALU_DEP_2) | instskip(NEXT) | instid1(VALU_DEP_2)
	v_fma_f64 v[9:10], v[3:4], v[7:8], -v[11:12]
	v_fma_f64 v[11:12], v[1:2], v[7:8], v[14:15]
	scratch_store_b128 off, v[9:12], off offset:560
.LBB60_167:
	s_or_b32 exec_lo, exec_lo, s2
	s_waitcnt_vscnt null, 0x0
	s_barrier
	buffer_gl0_inv
	scratch_load_b128 v[1:4], v196, off
	s_mov_b32 s2, exec_lo
	s_waitcnt vmcnt(0)
	ds_store_b128 v5, v[1:4]
	s_waitcnt lgkmcnt(0)
	s_barrier
	buffer_gl0_inv
	v_cmpx_gt_u32_e32 36, v171
	s_cbranch_execz .LBB60_171
; %bb.168:
	v_dual_mov_b32 v1, 0 :: v_dual_add_nc_u32 v8, 0x3d0, v229
	v_dual_mov_b32 v2, 0 :: v_dual_add_nc_u32 v7, -1, v171
	v_or_b32_e32 v9, 8, v13
	s_mov_b32 s3, 0
	s_delay_alu instid0(VALU_DEP_2)
	v_dual_mov_b32 v4, v2 :: v_dual_mov_b32 v3, v1
	.p2align	6
.LBB60_169:                             ; =>This Inner Loop Header: Depth=1
	scratch_load_b128 v[14:17], v9, off offset:-8
	ds_load_b128 v[18:21], v8
	v_add_nc_u32_e32 v7, 1, v7
	v_add_nc_u32_e32 v8, 16, v8
	;; [unrolled: 1-line block ×3, first 2 shown]
	s_delay_alu instid0(VALU_DEP_3) | instskip(SKIP_4) | instid1(VALU_DEP_2)
	v_cmp_lt_u32_e32 vcc_lo, 34, v7
	s_or_b32 s3, vcc_lo, s3
	s_waitcnt vmcnt(0) lgkmcnt(0)
	v_mul_f64 v[10:11], v[20:21], v[16:17]
	v_mul_f64 v[16:17], v[18:19], v[16:17]
	v_fma_f64 v[10:11], v[18:19], v[14:15], -v[10:11]
	s_delay_alu instid0(VALU_DEP_2) | instskip(NEXT) | instid1(VALU_DEP_2)
	v_fma_f64 v[14:15], v[20:21], v[14:15], v[16:17]
	v_add_f64 v[3:4], v[3:4], v[10:11]
	s_delay_alu instid0(VALU_DEP_2)
	v_add_f64 v[1:2], v[1:2], v[14:15]
	s_and_not1_b32 exec_lo, exec_lo, s3
	s_cbranch_execnz .LBB60_169
; %bb.170:
	s_or_b32 exec_lo, exec_lo, s3
	v_mov_b32_e32 v7, 0
	ds_load_b128 v[7:10], v7 offset:576
	s_waitcnt lgkmcnt(0)
	v_mul_f64 v[11:12], v[1:2], v[9:10]
	v_mul_f64 v[14:15], v[3:4], v[9:10]
	s_delay_alu instid0(VALU_DEP_2) | instskip(NEXT) | instid1(VALU_DEP_2)
	v_fma_f64 v[9:10], v[3:4], v[7:8], -v[11:12]
	v_fma_f64 v[11:12], v[1:2], v[7:8], v[14:15]
	scratch_store_b128 off, v[9:12], off offset:576
.LBB60_171:
	s_or_b32 exec_lo, exec_lo, s2
	s_waitcnt_vscnt null, 0x0
	s_barrier
	buffer_gl0_inv
	scratch_load_b128 v[1:4], v192, off
	s_mov_b32 s2, exec_lo
	s_waitcnt vmcnt(0)
	ds_store_b128 v5, v[1:4]
	s_waitcnt lgkmcnt(0)
	s_barrier
	buffer_gl0_inv
	v_cmpx_gt_u32_e32 37, v171
	s_cbranch_execz .LBB60_175
; %bb.172:
	v_dual_mov_b32 v1, 0 :: v_dual_add_nc_u32 v8, 0x3d0, v229
	v_dual_mov_b32 v2, 0 :: v_dual_add_nc_u32 v7, -1, v171
	v_or_b32_e32 v9, 8, v13
	s_mov_b32 s3, 0
	s_delay_alu instid0(VALU_DEP_2)
	v_dual_mov_b32 v4, v2 :: v_dual_mov_b32 v3, v1
	.p2align	6
.LBB60_173:                             ; =>This Inner Loop Header: Depth=1
	scratch_load_b128 v[14:17], v9, off offset:-8
	ds_load_b128 v[18:21], v8
	v_add_nc_u32_e32 v7, 1, v7
	v_add_nc_u32_e32 v8, 16, v8
	;; [unrolled: 1-line block ×3, first 2 shown]
	s_delay_alu instid0(VALU_DEP_3) | instskip(SKIP_4) | instid1(VALU_DEP_2)
	v_cmp_lt_u32_e32 vcc_lo, 35, v7
	s_or_b32 s3, vcc_lo, s3
	s_waitcnt vmcnt(0) lgkmcnt(0)
	v_mul_f64 v[10:11], v[20:21], v[16:17]
	v_mul_f64 v[16:17], v[18:19], v[16:17]
	v_fma_f64 v[10:11], v[18:19], v[14:15], -v[10:11]
	s_delay_alu instid0(VALU_DEP_2) | instskip(NEXT) | instid1(VALU_DEP_2)
	v_fma_f64 v[14:15], v[20:21], v[14:15], v[16:17]
	v_add_f64 v[3:4], v[3:4], v[10:11]
	s_delay_alu instid0(VALU_DEP_2)
	v_add_f64 v[1:2], v[1:2], v[14:15]
	s_and_not1_b32 exec_lo, exec_lo, s3
	s_cbranch_execnz .LBB60_173
; %bb.174:
	s_or_b32 exec_lo, exec_lo, s3
	v_mov_b32_e32 v7, 0
	ds_load_b128 v[7:10], v7 offset:592
	s_waitcnt lgkmcnt(0)
	v_mul_f64 v[11:12], v[1:2], v[9:10]
	v_mul_f64 v[14:15], v[3:4], v[9:10]
	s_delay_alu instid0(VALU_DEP_2) | instskip(NEXT) | instid1(VALU_DEP_2)
	v_fma_f64 v[9:10], v[3:4], v[7:8], -v[11:12]
	v_fma_f64 v[11:12], v[1:2], v[7:8], v[14:15]
	scratch_store_b128 off, v[9:12], off offset:592
.LBB60_175:
	s_or_b32 exec_lo, exec_lo, s2
	s_waitcnt_vscnt null, 0x0
	s_barrier
	buffer_gl0_inv
	scratch_load_b128 v[1:4], v191, off
	s_mov_b32 s2, exec_lo
	s_waitcnt vmcnt(0)
	ds_store_b128 v5, v[1:4]
	s_waitcnt lgkmcnt(0)
	s_barrier
	buffer_gl0_inv
	v_cmpx_gt_u32_e32 38, v171
	s_cbranch_execz .LBB60_179
; %bb.176:
	v_dual_mov_b32 v1, 0 :: v_dual_add_nc_u32 v8, 0x3d0, v229
	v_dual_mov_b32 v2, 0 :: v_dual_add_nc_u32 v7, -1, v171
	v_or_b32_e32 v9, 8, v13
	s_mov_b32 s3, 0
	s_delay_alu instid0(VALU_DEP_2)
	v_dual_mov_b32 v4, v2 :: v_dual_mov_b32 v3, v1
	.p2align	6
.LBB60_177:                             ; =>This Inner Loop Header: Depth=1
	scratch_load_b128 v[14:17], v9, off offset:-8
	ds_load_b128 v[18:21], v8
	v_add_nc_u32_e32 v7, 1, v7
	v_add_nc_u32_e32 v8, 16, v8
	;; [unrolled: 1-line block ×3, first 2 shown]
	s_delay_alu instid0(VALU_DEP_3) | instskip(SKIP_4) | instid1(VALU_DEP_2)
	v_cmp_lt_u32_e32 vcc_lo, 36, v7
	s_or_b32 s3, vcc_lo, s3
	s_waitcnt vmcnt(0) lgkmcnt(0)
	v_mul_f64 v[10:11], v[20:21], v[16:17]
	v_mul_f64 v[16:17], v[18:19], v[16:17]
	v_fma_f64 v[10:11], v[18:19], v[14:15], -v[10:11]
	s_delay_alu instid0(VALU_DEP_2) | instskip(NEXT) | instid1(VALU_DEP_2)
	v_fma_f64 v[14:15], v[20:21], v[14:15], v[16:17]
	v_add_f64 v[3:4], v[3:4], v[10:11]
	s_delay_alu instid0(VALU_DEP_2)
	v_add_f64 v[1:2], v[1:2], v[14:15]
	s_and_not1_b32 exec_lo, exec_lo, s3
	s_cbranch_execnz .LBB60_177
; %bb.178:
	s_or_b32 exec_lo, exec_lo, s3
	v_mov_b32_e32 v7, 0
	ds_load_b128 v[7:10], v7 offset:608
	s_waitcnt lgkmcnt(0)
	v_mul_f64 v[11:12], v[1:2], v[9:10]
	v_mul_f64 v[14:15], v[3:4], v[9:10]
	s_delay_alu instid0(VALU_DEP_2) | instskip(NEXT) | instid1(VALU_DEP_2)
	v_fma_f64 v[9:10], v[3:4], v[7:8], -v[11:12]
	v_fma_f64 v[11:12], v[1:2], v[7:8], v[14:15]
	scratch_store_b128 off, v[9:12], off offset:608
.LBB60_179:
	s_or_b32 exec_lo, exec_lo, s2
	s_waitcnt_vscnt null, 0x0
	s_barrier
	buffer_gl0_inv
	scratch_load_b128 v[1:4], v190, off
	s_mov_b32 s2, exec_lo
	s_waitcnt vmcnt(0)
	ds_store_b128 v5, v[1:4]
	s_waitcnt lgkmcnt(0)
	s_barrier
	buffer_gl0_inv
	v_cmpx_gt_u32_e32 39, v171
	s_cbranch_execz .LBB60_183
; %bb.180:
	v_dual_mov_b32 v1, 0 :: v_dual_add_nc_u32 v8, 0x3d0, v229
	v_dual_mov_b32 v2, 0 :: v_dual_add_nc_u32 v7, -1, v171
	v_or_b32_e32 v9, 8, v13
	s_mov_b32 s3, 0
	s_delay_alu instid0(VALU_DEP_2)
	v_dual_mov_b32 v4, v2 :: v_dual_mov_b32 v3, v1
	.p2align	6
.LBB60_181:                             ; =>This Inner Loop Header: Depth=1
	scratch_load_b128 v[14:17], v9, off offset:-8
	ds_load_b128 v[18:21], v8
	v_add_nc_u32_e32 v7, 1, v7
	v_add_nc_u32_e32 v8, 16, v8
	;; [unrolled: 1-line block ×3, first 2 shown]
	s_delay_alu instid0(VALU_DEP_3) | instskip(SKIP_4) | instid1(VALU_DEP_2)
	v_cmp_lt_u32_e32 vcc_lo, 37, v7
	s_or_b32 s3, vcc_lo, s3
	s_waitcnt vmcnt(0) lgkmcnt(0)
	v_mul_f64 v[10:11], v[20:21], v[16:17]
	v_mul_f64 v[16:17], v[18:19], v[16:17]
	v_fma_f64 v[10:11], v[18:19], v[14:15], -v[10:11]
	s_delay_alu instid0(VALU_DEP_2) | instskip(NEXT) | instid1(VALU_DEP_2)
	v_fma_f64 v[14:15], v[20:21], v[14:15], v[16:17]
	v_add_f64 v[3:4], v[3:4], v[10:11]
	s_delay_alu instid0(VALU_DEP_2)
	v_add_f64 v[1:2], v[1:2], v[14:15]
	s_and_not1_b32 exec_lo, exec_lo, s3
	s_cbranch_execnz .LBB60_181
; %bb.182:
	s_or_b32 exec_lo, exec_lo, s3
	v_mov_b32_e32 v7, 0
	ds_load_b128 v[7:10], v7 offset:624
	s_waitcnt lgkmcnt(0)
	v_mul_f64 v[11:12], v[1:2], v[9:10]
	v_mul_f64 v[14:15], v[3:4], v[9:10]
	s_delay_alu instid0(VALU_DEP_2) | instskip(NEXT) | instid1(VALU_DEP_2)
	v_fma_f64 v[9:10], v[3:4], v[7:8], -v[11:12]
	v_fma_f64 v[11:12], v[1:2], v[7:8], v[14:15]
	scratch_store_b128 off, v[9:12], off offset:624
.LBB60_183:
	s_or_b32 exec_lo, exec_lo, s2
	s_waitcnt_vscnt null, 0x0
	s_barrier
	buffer_gl0_inv
	scratch_load_b128 v[1:4], v189, off
	s_mov_b32 s2, exec_lo
	s_waitcnt vmcnt(0)
	ds_store_b128 v5, v[1:4]
	s_waitcnt lgkmcnt(0)
	s_barrier
	buffer_gl0_inv
	v_cmpx_gt_u32_e32 40, v171
	s_cbranch_execz .LBB60_187
; %bb.184:
	v_dual_mov_b32 v1, 0 :: v_dual_add_nc_u32 v8, 0x3d0, v229
	v_dual_mov_b32 v2, 0 :: v_dual_add_nc_u32 v7, -1, v171
	v_or_b32_e32 v9, 8, v13
	s_mov_b32 s3, 0
	s_delay_alu instid0(VALU_DEP_2)
	v_dual_mov_b32 v4, v2 :: v_dual_mov_b32 v3, v1
	.p2align	6
.LBB60_185:                             ; =>This Inner Loop Header: Depth=1
	scratch_load_b128 v[14:17], v9, off offset:-8
	ds_load_b128 v[18:21], v8
	v_add_nc_u32_e32 v7, 1, v7
	v_add_nc_u32_e32 v8, 16, v8
	;; [unrolled: 1-line block ×3, first 2 shown]
	s_delay_alu instid0(VALU_DEP_3) | instskip(SKIP_4) | instid1(VALU_DEP_2)
	v_cmp_lt_u32_e32 vcc_lo, 38, v7
	s_or_b32 s3, vcc_lo, s3
	s_waitcnt vmcnt(0) lgkmcnt(0)
	v_mul_f64 v[10:11], v[20:21], v[16:17]
	v_mul_f64 v[16:17], v[18:19], v[16:17]
	v_fma_f64 v[10:11], v[18:19], v[14:15], -v[10:11]
	s_delay_alu instid0(VALU_DEP_2) | instskip(NEXT) | instid1(VALU_DEP_2)
	v_fma_f64 v[14:15], v[20:21], v[14:15], v[16:17]
	v_add_f64 v[3:4], v[3:4], v[10:11]
	s_delay_alu instid0(VALU_DEP_2)
	v_add_f64 v[1:2], v[1:2], v[14:15]
	s_and_not1_b32 exec_lo, exec_lo, s3
	s_cbranch_execnz .LBB60_185
; %bb.186:
	s_or_b32 exec_lo, exec_lo, s3
	v_mov_b32_e32 v7, 0
	ds_load_b128 v[7:10], v7 offset:640
	s_waitcnt lgkmcnt(0)
	v_mul_f64 v[11:12], v[1:2], v[9:10]
	v_mul_f64 v[14:15], v[3:4], v[9:10]
	s_delay_alu instid0(VALU_DEP_2) | instskip(NEXT) | instid1(VALU_DEP_2)
	v_fma_f64 v[9:10], v[3:4], v[7:8], -v[11:12]
	v_fma_f64 v[11:12], v[1:2], v[7:8], v[14:15]
	scratch_store_b128 off, v[9:12], off offset:640
.LBB60_187:
	s_or_b32 exec_lo, exec_lo, s2
	s_waitcnt_vscnt null, 0x0
	s_barrier
	buffer_gl0_inv
	scratch_load_b128 v[1:4], v188, off
	s_mov_b32 s2, exec_lo
	s_waitcnt vmcnt(0)
	ds_store_b128 v5, v[1:4]
	s_waitcnt lgkmcnt(0)
	s_barrier
	buffer_gl0_inv
	v_cmpx_gt_u32_e32 41, v171
	s_cbranch_execz .LBB60_191
; %bb.188:
	v_dual_mov_b32 v1, 0 :: v_dual_add_nc_u32 v8, 0x3d0, v229
	v_dual_mov_b32 v2, 0 :: v_dual_add_nc_u32 v7, -1, v171
	v_or_b32_e32 v9, 8, v13
	s_mov_b32 s3, 0
	s_delay_alu instid0(VALU_DEP_2)
	v_dual_mov_b32 v4, v2 :: v_dual_mov_b32 v3, v1
	.p2align	6
.LBB60_189:                             ; =>This Inner Loop Header: Depth=1
	scratch_load_b128 v[14:17], v9, off offset:-8
	ds_load_b128 v[18:21], v8
	v_add_nc_u32_e32 v7, 1, v7
	v_add_nc_u32_e32 v8, 16, v8
	;; [unrolled: 1-line block ×3, first 2 shown]
	s_delay_alu instid0(VALU_DEP_3) | instskip(SKIP_4) | instid1(VALU_DEP_2)
	v_cmp_lt_u32_e32 vcc_lo, 39, v7
	s_or_b32 s3, vcc_lo, s3
	s_waitcnt vmcnt(0) lgkmcnt(0)
	v_mul_f64 v[10:11], v[20:21], v[16:17]
	v_mul_f64 v[16:17], v[18:19], v[16:17]
	v_fma_f64 v[10:11], v[18:19], v[14:15], -v[10:11]
	s_delay_alu instid0(VALU_DEP_2) | instskip(NEXT) | instid1(VALU_DEP_2)
	v_fma_f64 v[14:15], v[20:21], v[14:15], v[16:17]
	v_add_f64 v[3:4], v[3:4], v[10:11]
	s_delay_alu instid0(VALU_DEP_2)
	v_add_f64 v[1:2], v[1:2], v[14:15]
	s_and_not1_b32 exec_lo, exec_lo, s3
	s_cbranch_execnz .LBB60_189
; %bb.190:
	s_or_b32 exec_lo, exec_lo, s3
	v_mov_b32_e32 v7, 0
	ds_load_b128 v[7:10], v7 offset:656
	s_waitcnt lgkmcnt(0)
	v_mul_f64 v[11:12], v[1:2], v[9:10]
	v_mul_f64 v[14:15], v[3:4], v[9:10]
	s_delay_alu instid0(VALU_DEP_2) | instskip(NEXT) | instid1(VALU_DEP_2)
	v_fma_f64 v[9:10], v[3:4], v[7:8], -v[11:12]
	v_fma_f64 v[11:12], v[1:2], v[7:8], v[14:15]
	scratch_store_b128 off, v[9:12], off offset:656
.LBB60_191:
	s_or_b32 exec_lo, exec_lo, s2
	s_waitcnt_vscnt null, 0x0
	s_barrier
	buffer_gl0_inv
	scratch_load_b128 v[1:4], v187, off
	s_mov_b32 s2, exec_lo
	s_waitcnt vmcnt(0)
	ds_store_b128 v5, v[1:4]
	s_waitcnt lgkmcnt(0)
	s_barrier
	buffer_gl0_inv
	v_cmpx_gt_u32_e32 42, v171
	s_cbranch_execz .LBB60_195
; %bb.192:
	v_dual_mov_b32 v1, 0 :: v_dual_add_nc_u32 v8, 0x3d0, v229
	v_dual_mov_b32 v2, 0 :: v_dual_add_nc_u32 v7, -1, v171
	v_or_b32_e32 v9, 8, v13
	s_mov_b32 s3, 0
	s_delay_alu instid0(VALU_DEP_2)
	v_dual_mov_b32 v4, v2 :: v_dual_mov_b32 v3, v1
	.p2align	6
.LBB60_193:                             ; =>This Inner Loop Header: Depth=1
	scratch_load_b128 v[14:17], v9, off offset:-8
	ds_load_b128 v[18:21], v8
	v_add_nc_u32_e32 v7, 1, v7
	v_add_nc_u32_e32 v8, 16, v8
	;; [unrolled: 1-line block ×3, first 2 shown]
	s_delay_alu instid0(VALU_DEP_3) | instskip(SKIP_4) | instid1(VALU_DEP_2)
	v_cmp_lt_u32_e32 vcc_lo, 40, v7
	s_or_b32 s3, vcc_lo, s3
	s_waitcnt vmcnt(0) lgkmcnt(0)
	v_mul_f64 v[10:11], v[20:21], v[16:17]
	v_mul_f64 v[16:17], v[18:19], v[16:17]
	v_fma_f64 v[10:11], v[18:19], v[14:15], -v[10:11]
	s_delay_alu instid0(VALU_DEP_2) | instskip(NEXT) | instid1(VALU_DEP_2)
	v_fma_f64 v[14:15], v[20:21], v[14:15], v[16:17]
	v_add_f64 v[3:4], v[3:4], v[10:11]
	s_delay_alu instid0(VALU_DEP_2)
	v_add_f64 v[1:2], v[1:2], v[14:15]
	s_and_not1_b32 exec_lo, exec_lo, s3
	s_cbranch_execnz .LBB60_193
; %bb.194:
	s_or_b32 exec_lo, exec_lo, s3
	v_mov_b32_e32 v7, 0
	ds_load_b128 v[7:10], v7 offset:672
	s_waitcnt lgkmcnt(0)
	v_mul_f64 v[11:12], v[1:2], v[9:10]
	v_mul_f64 v[14:15], v[3:4], v[9:10]
	s_delay_alu instid0(VALU_DEP_2) | instskip(NEXT) | instid1(VALU_DEP_2)
	v_fma_f64 v[9:10], v[3:4], v[7:8], -v[11:12]
	v_fma_f64 v[11:12], v[1:2], v[7:8], v[14:15]
	scratch_store_b128 off, v[9:12], off offset:672
.LBB60_195:
	s_or_b32 exec_lo, exec_lo, s2
	s_waitcnt_vscnt null, 0x0
	s_barrier
	buffer_gl0_inv
	scratch_load_b128 v[1:4], v186, off
	s_mov_b32 s2, exec_lo
	s_waitcnt vmcnt(0)
	ds_store_b128 v5, v[1:4]
	s_waitcnt lgkmcnt(0)
	s_barrier
	buffer_gl0_inv
	v_cmpx_gt_u32_e32 43, v171
	s_cbranch_execz .LBB60_199
; %bb.196:
	v_dual_mov_b32 v1, 0 :: v_dual_add_nc_u32 v8, 0x3d0, v229
	v_dual_mov_b32 v2, 0 :: v_dual_add_nc_u32 v7, -1, v171
	v_or_b32_e32 v9, 8, v13
	s_mov_b32 s3, 0
	s_delay_alu instid0(VALU_DEP_2)
	v_dual_mov_b32 v4, v2 :: v_dual_mov_b32 v3, v1
	.p2align	6
.LBB60_197:                             ; =>This Inner Loop Header: Depth=1
	scratch_load_b128 v[14:17], v9, off offset:-8
	ds_load_b128 v[18:21], v8
	v_add_nc_u32_e32 v7, 1, v7
	v_add_nc_u32_e32 v8, 16, v8
	;; [unrolled: 1-line block ×3, first 2 shown]
	s_delay_alu instid0(VALU_DEP_3) | instskip(SKIP_4) | instid1(VALU_DEP_2)
	v_cmp_lt_u32_e32 vcc_lo, 41, v7
	s_or_b32 s3, vcc_lo, s3
	s_waitcnt vmcnt(0) lgkmcnt(0)
	v_mul_f64 v[10:11], v[20:21], v[16:17]
	v_mul_f64 v[16:17], v[18:19], v[16:17]
	v_fma_f64 v[10:11], v[18:19], v[14:15], -v[10:11]
	s_delay_alu instid0(VALU_DEP_2) | instskip(NEXT) | instid1(VALU_DEP_2)
	v_fma_f64 v[14:15], v[20:21], v[14:15], v[16:17]
	v_add_f64 v[3:4], v[3:4], v[10:11]
	s_delay_alu instid0(VALU_DEP_2)
	v_add_f64 v[1:2], v[1:2], v[14:15]
	s_and_not1_b32 exec_lo, exec_lo, s3
	s_cbranch_execnz .LBB60_197
; %bb.198:
	s_or_b32 exec_lo, exec_lo, s3
	v_mov_b32_e32 v7, 0
	ds_load_b128 v[7:10], v7 offset:688
	s_waitcnt lgkmcnt(0)
	v_mul_f64 v[11:12], v[1:2], v[9:10]
	v_mul_f64 v[14:15], v[3:4], v[9:10]
	s_delay_alu instid0(VALU_DEP_2) | instskip(NEXT) | instid1(VALU_DEP_2)
	v_fma_f64 v[9:10], v[3:4], v[7:8], -v[11:12]
	v_fma_f64 v[11:12], v[1:2], v[7:8], v[14:15]
	scratch_store_b128 off, v[9:12], off offset:688
.LBB60_199:
	s_or_b32 exec_lo, exec_lo, s2
	s_waitcnt_vscnt null, 0x0
	s_barrier
	buffer_gl0_inv
	scratch_load_b128 v[1:4], v185, off
	s_mov_b32 s2, exec_lo
	s_waitcnt vmcnt(0)
	ds_store_b128 v5, v[1:4]
	s_waitcnt lgkmcnt(0)
	s_barrier
	buffer_gl0_inv
	v_cmpx_gt_u32_e32 44, v171
	s_cbranch_execz .LBB60_203
; %bb.200:
	v_dual_mov_b32 v1, 0 :: v_dual_add_nc_u32 v8, 0x3d0, v229
	v_dual_mov_b32 v2, 0 :: v_dual_add_nc_u32 v7, -1, v171
	v_or_b32_e32 v9, 8, v13
	s_mov_b32 s3, 0
	s_delay_alu instid0(VALU_DEP_2)
	v_dual_mov_b32 v4, v2 :: v_dual_mov_b32 v3, v1
	.p2align	6
.LBB60_201:                             ; =>This Inner Loop Header: Depth=1
	scratch_load_b128 v[14:17], v9, off offset:-8
	ds_load_b128 v[18:21], v8
	v_add_nc_u32_e32 v7, 1, v7
	v_add_nc_u32_e32 v8, 16, v8
	;; [unrolled: 1-line block ×3, first 2 shown]
	s_delay_alu instid0(VALU_DEP_3) | instskip(SKIP_4) | instid1(VALU_DEP_2)
	v_cmp_lt_u32_e32 vcc_lo, 42, v7
	s_or_b32 s3, vcc_lo, s3
	s_waitcnt vmcnt(0) lgkmcnt(0)
	v_mul_f64 v[10:11], v[20:21], v[16:17]
	v_mul_f64 v[16:17], v[18:19], v[16:17]
	v_fma_f64 v[10:11], v[18:19], v[14:15], -v[10:11]
	s_delay_alu instid0(VALU_DEP_2) | instskip(NEXT) | instid1(VALU_DEP_2)
	v_fma_f64 v[14:15], v[20:21], v[14:15], v[16:17]
	v_add_f64 v[3:4], v[3:4], v[10:11]
	s_delay_alu instid0(VALU_DEP_2)
	v_add_f64 v[1:2], v[1:2], v[14:15]
	s_and_not1_b32 exec_lo, exec_lo, s3
	s_cbranch_execnz .LBB60_201
; %bb.202:
	s_or_b32 exec_lo, exec_lo, s3
	v_mov_b32_e32 v7, 0
	ds_load_b128 v[7:10], v7 offset:704
	s_waitcnt lgkmcnt(0)
	v_mul_f64 v[11:12], v[1:2], v[9:10]
	v_mul_f64 v[14:15], v[3:4], v[9:10]
	s_delay_alu instid0(VALU_DEP_2) | instskip(NEXT) | instid1(VALU_DEP_2)
	v_fma_f64 v[9:10], v[3:4], v[7:8], -v[11:12]
	v_fma_f64 v[11:12], v[1:2], v[7:8], v[14:15]
	scratch_store_b128 off, v[9:12], off offset:704
.LBB60_203:
	s_or_b32 exec_lo, exec_lo, s2
	s_waitcnt_vscnt null, 0x0
	s_barrier
	buffer_gl0_inv
	scratch_load_b128 v[1:4], v184, off
	s_mov_b32 s2, exec_lo
	s_waitcnt vmcnt(0)
	ds_store_b128 v5, v[1:4]
	s_waitcnt lgkmcnt(0)
	s_barrier
	buffer_gl0_inv
	v_cmpx_gt_u32_e32 45, v171
	s_cbranch_execz .LBB60_207
; %bb.204:
	v_dual_mov_b32 v1, 0 :: v_dual_add_nc_u32 v8, 0x3d0, v229
	v_dual_mov_b32 v2, 0 :: v_dual_add_nc_u32 v7, -1, v171
	v_or_b32_e32 v9, 8, v13
	s_mov_b32 s3, 0
	s_delay_alu instid0(VALU_DEP_2)
	v_dual_mov_b32 v4, v2 :: v_dual_mov_b32 v3, v1
	.p2align	6
.LBB60_205:                             ; =>This Inner Loop Header: Depth=1
	scratch_load_b128 v[14:17], v9, off offset:-8
	ds_load_b128 v[18:21], v8
	v_add_nc_u32_e32 v7, 1, v7
	v_add_nc_u32_e32 v8, 16, v8
	;; [unrolled: 1-line block ×3, first 2 shown]
	s_delay_alu instid0(VALU_DEP_3) | instskip(SKIP_4) | instid1(VALU_DEP_2)
	v_cmp_lt_u32_e32 vcc_lo, 43, v7
	s_or_b32 s3, vcc_lo, s3
	s_waitcnt vmcnt(0) lgkmcnt(0)
	v_mul_f64 v[10:11], v[20:21], v[16:17]
	v_mul_f64 v[16:17], v[18:19], v[16:17]
	v_fma_f64 v[10:11], v[18:19], v[14:15], -v[10:11]
	s_delay_alu instid0(VALU_DEP_2) | instskip(NEXT) | instid1(VALU_DEP_2)
	v_fma_f64 v[14:15], v[20:21], v[14:15], v[16:17]
	v_add_f64 v[3:4], v[3:4], v[10:11]
	s_delay_alu instid0(VALU_DEP_2)
	v_add_f64 v[1:2], v[1:2], v[14:15]
	s_and_not1_b32 exec_lo, exec_lo, s3
	s_cbranch_execnz .LBB60_205
; %bb.206:
	s_or_b32 exec_lo, exec_lo, s3
	v_mov_b32_e32 v7, 0
	ds_load_b128 v[7:10], v7 offset:720
	s_waitcnt lgkmcnt(0)
	v_mul_f64 v[11:12], v[1:2], v[9:10]
	v_mul_f64 v[14:15], v[3:4], v[9:10]
	s_delay_alu instid0(VALU_DEP_2) | instskip(NEXT) | instid1(VALU_DEP_2)
	v_fma_f64 v[9:10], v[3:4], v[7:8], -v[11:12]
	v_fma_f64 v[11:12], v[1:2], v[7:8], v[14:15]
	scratch_store_b128 off, v[9:12], off offset:720
.LBB60_207:
	s_or_b32 exec_lo, exec_lo, s2
	s_waitcnt_vscnt null, 0x0
	s_barrier
	buffer_gl0_inv
	scratch_load_b128 v[1:4], v183, off
	s_mov_b32 s2, exec_lo
	s_waitcnt vmcnt(0)
	ds_store_b128 v5, v[1:4]
	s_waitcnt lgkmcnt(0)
	s_barrier
	buffer_gl0_inv
	v_cmpx_gt_u32_e32 46, v171
	s_cbranch_execz .LBB60_211
; %bb.208:
	v_dual_mov_b32 v1, 0 :: v_dual_add_nc_u32 v8, 0x3d0, v229
	v_dual_mov_b32 v2, 0 :: v_dual_add_nc_u32 v7, -1, v171
	v_or_b32_e32 v9, 8, v13
	s_mov_b32 s3, 0
	s_delay_alu instid0(VALU_DEP_2)
	v_dual_mov_b32 v4, v2 :: v_dual_mov_b32 v3, v1
	.p2align	6
.LBB60_209:                             ; =>This Inner Loop Header: Depth=1
	scratch_load_b128 v[14:17], v9, off offset:-8
	ds_load_b128 v[18:21], v8
	v_add_nc_u32_e32 v7, 1, v7
	v_add_nc_u32_e32 v8, 16, v8
	;; [unrolled: 1-line block ×3, first 2 shown]
	s_delay_alu instid0(VALU_DEP_3) | instskip(SKIP_4) | instid1(VALU_DEP_2)
	v_cmp_lt_u32_e32 vcc_lo, 44, v7
	s_or_b32 s3, vcc_lo, s3
	s_waitcnt vmcnt(0) lgkmcnt(0)
	v_mul_f64 v[10:11], v[20:21], v[16:17]
	v_mul_f64 v[16:17], v[18:19], v[16:17]
	v_fma_f64 v[10:11], v[18:19], v[14:15], -v[10:11]
	s_delay_alu instid0(VALU_DEP_2) | instskip(NEXT) | instid1(VALU_DEP_2)
	v_fma_f64 v[14:15], v[20:21], v[14:15], v[16:17]
	v_add_f64 v[3:4], v[3:4], v[10:11]
	s_delay_alu instid0(VALU_DEP_2)
	v_add_f64 v[1:2], v[1:2], v[14:15]
	s_and_not1_b32 exec_lo, exec_lo, s3
	s_cbranch_execnz .LBB60_209
; %bb.210:
	s_or_b32 exec_lo, exec_lo, s3
	v_mov_b32_e32 v7, 0
	ds_load_b128 v[7:10], v7 offset:736
	s_waitcnt lgkmcnt(0)
	v_mul_f64 v[11:12], v[1:2], v[9:10]
	v_mul_f64 v[14:15], v[3:4], v[9:10]
	s_delay_alu instid0(VALU_DEP_2) | instskip(NEXT) | instid1(VALU_DEP_2)
	v_fma_f64 v[9:10], v[3:4], v[7:8], -v[11:12]
	v_fma_f64 v[11:12], v[1:2], v[7:8], v[14:15]
	scratch_store_b128 off, v[9:12], off offset:736
.LBB60_211:
	s_or_b32 exec_lo, exec_lo, s2
	s_waitcnt_vscnt null, 0x0
	s_barrier
	buffer_gl0_inv
	scratch_load_b128 v[1:4], v228, off
	s_mov_b32 s2, exec_lo
	s_waitcnt vmcnt(0)
	ds_store_b128 v5, v[1:4]
	s_waitcnt lgkmcnt(0)
	s_barrier
	buffer_gl0_inv
	v_cmpx_gt_u32_e32 47, v171
	s_cbranch_execz .LBB60_215
; %bb.212:
	v_dual_mov_b32 v1, 0 :: v_dual_add_nc_u32 v8, 0x3d0, v229
	v_dual_mov_b32 v2, 0 :: v_dual_add_nc_u32 v7, -1, v171
	v_or_b32_e32 v9, 8, v13
	s_mov_b32 s3, 0
	s_delay_alu instid0(VALU_DEP_2)
	v_dual_mov_b32 v4, v2 :: v_dual_mov_b32 v3, v1
	.p2align	6
.LBB60_213:                             ; =>This Inner Loop Header: Depth=1
	scratch_load_b128 v[14:17], v9, off offset:-8
	ds_load_b128 v[18:21], v8
	v_add_nc_u32_e32 v7, 1, v7
	v_add_nc_u32_e32 v8, 16, v8
	;; [unrolled: 1-line block ×3, first 2 shown]
	s_delay_alu instid0(VALU_DEP_3) | instskip(SKIP_4) | instid1(VALU_DEP_2)
	v_cmp_lt_u32_e32 vcc_lo, 45, v7
	s_or_b32 s3, vcc_lo, s3
	s_waitcnt vmcnt(0) lgkmcnt(0)
	v_mul_f64 v[10:11], v[20:21], v[16:17]
	v_mul_f64 v[16:17], v[18:19], v[16:17]
	v_fma_f64 v[10:11], v[18:19], v[14:15], -v[10:11]
	s_delay_alu instid0(VALU_DEP_2) | instskip(NEXT) | instid1(VALU_DEP_2)
	v_fma_f64 v[14:15], v[20:21], v[14:15], v[16:17]
	v_add_f64 v[3:4], v[3:4], v[10:11]
	s_delay_alu instid0(VALU_DEP_2)
	v_add_f64 v[1:2], v[1:2], v[14:15]
	s_and_not1_b32 exec_lo, exec_lo, s3
	s_cbranch_execnz .LBB60_213
; %bb.214:
	s_or_b32 exec_lo, exec_lo, s3
	v_mov_b32_e32 v7, 0
	ds_load_b128 v[7:10], v7 offset:752
	s_waitcnt lgkmcnt(0)
	v_mul_f64 v[11:12], v[1:2], v[9:10]
	v_mul_f64 v[14:15], v[3:4], v[9:10]
	s_delay_alu instid0(VALU_DEP_2) | instskip(NEXT) | instid1(VALU_DEP_2)
	v_fma_f64 v[9:10], v[3:4], v[7:8], -v[11:12]
	v_fma_f64 v[11:12], v[1:2], v[7:8], v[14:15]
	scratch_store_b128 off, v[9:12], off offset:752
.LBB60_215:
	s_or_b32 exec_lo, exec_lo, s2
	s_waitcnt_vscnt null, 0x0
	s_barrier
	buffer_gl0_inv
	scratch_load_b128 v[1:4], v227, off
	s_mov_b32 s2, exec_lo
	s_waitcnt vmcnt(0)
	ds_store_b128 v5, v[1:4]
	s_waitcnt lgkmcnt(0)
	s_barrier
	buffer_gl0_inv
	v_cmpx_gt_u32_e32 48, v171
	s_cbranch_execz .LBB60_219
; %bb.216:
	v_dual_mov_b32 v1, 0 :: v_dual_add_nc_u32 v8, 0x3d0, v229
	v_dual_mov_b32 v2, 0 :: v_dual_add_nc_u32 v7, -1, v171
	v_or_b32_e32 v9, 8, v13
	s_mov_b32 s3, 0
	s_delay_alu instid0(VALU_DEP_2)
	v_dual_mov_b32 v4, v2 :: v_dual_mov_b32 v3, v1
	.p2align	6
.LBB60_217:                             ; =>This Inner Loop Header: Depth=1
	scratch_load_b128 v[14:17], v9, off offset:-8
	ds_load_b128 v[18:21], v8
	v_add_nc_u32_e32 v7, 1, v7
	v_add_nc_u32_e32 v8, 16, v8
	;; [unrolled: 1-line block ×3, first 2 shown]
	s_delay_alu instid0(VALU_DEP_3) | instskip(SKIP_4) | instid1(VALU_DEP_2)
	v_cmp_lt_u32_e32 vcc_lo, 46, v7
	s_or_b32 s3, vcc_lo, s3
	s_waitcnt vmcnt(0) lgkmcnt(0)
	v_mul_f64 v[10:11], v[20:21], v[16:17]
	v_mul_f64 v[16:17], v[18:19], v[16:17]
	v_fma_f64 v[10:11], v[18:19], v[14:15], -v[10:11]
	s_delay_alu instid0(VALU_DEP_2) | instskip(NEXT) | instid1(VALU_DEP_2)
	v_fma_f64 v[14:15], v[20:21], v[14:15], v[16:17]
	v_add_f64 v[3:4], v[3:4], v[10:11]
	s_delay_alu instid0(VALU_DEP_2)
	v_add_f64 v[1:2], v[1:2], v[14:15]
	s_and_not1_b32 exec_lo, exec_lo, s3
	s_cbranch_execnz .LBB60_217
; %bb.218:
	s_or_b32 exec_lo, exec_lo, s3
	v_mov_b32_e32 v7, 0
	ds_load_b128 v[7:10], v7 offset:768
	s_waitcnt lgkmcnt(0)
	v_mul_f64 v[11:12], v[1:2], v[9:10]
	v_mul_f64 v[14:15], v[3:4], v[9:10]
	s_delay_alu instid0(VALU_DEP_2) | instskip(NEXT) | instid1(VALU_DEP_2)
	v_fma_f64 v[9:10], v[3:4], v[7:8], -v[11:12]
	v_fma_f64 v[11:12], v[1:2], v[7:8], v[14:15]
	scratch_store_b128 off, v[9:12], off offset:768
.LBB60_219:
	s_or_b32 exec_lo, exec_lo, s2
	s_waitcnt_vscnt null, 0x0
	s_barrier
	buffer_gl0_inv
	scratch_load_b128 v[1:4], v222, off
	s_mov_b32 s2, exec_lo
	s_waitcnt vmcnt(0)
	ds_store_b128 v5, v[1:4]
	s_waitcnt lgkmcnt(0)
	s_barrier
	buffer_gl0_inv
	v_cmpx_gt_u32_e32 49, v171
	s_cbranch_execz .LBB60_223
; %bb.220:
	v_dual_mov_b32 v1, 0 :: v_dual_add_nc_u32 v8, 0x3d0, v229
	v_dual_mov_b32 v2, 0 :: v_dual_add_nc_u32 v7, -1, v171
	v_or_b32_e32 v9, 8, v13
	s_mov_b32 s3, 0
	s_delay_alu instid0(VALU_DEP_2)
	v_dual_mov_b32 v4, v2 :: v_dual_mov_b32 v3, v1
	.p2align	6
.LBB60_221:                             ; =>This Inner Loop Header: Depth=1
	scratch_load_b128 v[14:17], v9, off offset:-8
	ds_load_b128 v[18:21], v8
	v_add_nc_u32_e32 v7, 1, v7
	v_add_nc_u32_e32 v8, 16, v8
	;; [unrolled: 1-line block ×3, first 2 shown]
	s_delay_alu instid0(VALU_DEP_3) | instskip(SKIP_4) | instid1(VALU_DEP_2)
	v_cmp_lt_u32_e32 vcc_lo, 47, v7
	s_or_b32 s3, vcc_lo, s3
	s_waitcnt vmcnt(0) lgkmcnt(0)
	v_mul_f64 v[10:11], v[20:21], v[16:17]
	v_mul_f64 v[16:17], v[18:19], v[16:17]
	v_fma_f64 v[10:11], v[18:19], v[14:15], -v[10:11]
	s_delay_alu instid0(VALU_DEP_2) | instskip(NEXT) | instid1(VALU_DEP_2)
	v_fma_f64 v[14:15], v[20:21], v[14:15], v[16:17]
	v_add_f64 v[3:4], v[3:4], v[10:11]
	s_delay_alu instid0(VALU_DEP_2)
	v_add_f64 v[1:2], v[1:2], v[14:15]
	s_and_not1_b32 exec_lo, exec_lo, s3
	s_cbranch_execnz .LBB60_221
; %bb.222:
	s_or_b32 exec_lo, exec_lo, s3
	v_mov_b32_e32 v7, 0
	ds_load_b128 v[7:10], v7 offset:784
	s_waitcnt lgkmcnt(0)
	v_mul_f64 v[11:12], v[1:2], v[9:10]
	v_mul_f64 v[14:15], v[3:4], v[9:10]
	s_delay_alu instid0(VALU_DEP_2) | instskip(NEXT) | instid1(VALU_DEP_2)
	v_fma_f64 v[9:10], v[3:4], v[7:8], -v[11:12]
	v_fma_f64 v[11:12], v[1:2], v[7:8], v[14:15]
	scratch_store_b128 off, v[9:12], off offset:784
.LBB60_223:
	s_or_b32 exec_lo, exec_lo, s2
	s_waitcnt_vscnt null, 0x0
	s_barrier
	buffer_gl0_inv
	scratch_load_b128 v[1:4], v221, off
	s_mov_b32 s2, exec_lo
	s_waitcnt vmcnt(0)
	ds_store_b128 v5, v[1:4]
	s_waitcnt lgkmcnt(0)
	s_barrier
	buffer_gl0_inv
	v_cmpx_gt_u32_e32 50, v171
	s_cbranch_execz .LBB60_227
; %bb.224:
	v_dual_mov_b32 v1, 0 :: v_dual_add_nc_u32 v8, 0x3d0, v229
	v_dual_mov_b32 v2, 0 :: v_dual_add_nc_u32 v7, -1, v171
	v_or_b32_e32 v9, 8, v13
	s_mov_b32 s3, 0
	s_delay_alu instid0(VALU_DEP_2)
	v_dual_mov_b32 v4, v2 :: v_dual_mov_b32 v3, v1
	.p2align	6
.LBB60_225:                             ; =>This Inner Loop Header: Depth=1
	scratch_load_b128 v[14:17], v9, off offset:-8
	ds_load_b128 v[18:21], v8
	v_add_nc_u32_e32 v7, 1, v7
	v_add_nc_u32_e32 v8, 16, v8
	;; [unrolled: 1-line block ×3, first 2 shown]
	s_delay_alu instid0(VALU_DEP_3) | instskip(SKIP_4) | instid1(VALU_DEP_2)
	v_cmp_lt_u32_e32 vcc_lo, 48, v7
	s_or_b32 s3, vcc_lo, s3
	s_waitcnt vmcnt(0) lgkmcnt(0)
	v_mul_f64 v[10:11], v[20:21], v[16:17]
	v_mul_f64 v[16:17], v[18:19], v[16:17]
	v_fma_f64 v[10:11], v[18:19], v[14:15], -v[10:11]
	s_delay_alu instid0(VALU_DEP_2) | instskip(NEXT) | instid1(VALU_DEP_2)
	v_fma_f64 v[14:15], v[20:21], v[14:15], v[16:17]
	v_add_f64 v[3:4], v[3:4], v[10:11]
	s_delay_alu instid0(VALU_DEP_2)
	v_add_f64 v[1:2], v[1:2], v[14:15]
	s_and_not1_b32 exec_lo, exec_lo, s3
	s_cbranch_execnz .LBB60_225
; %bb.226:
	s_or_b32 exec_lo, exec_lo, s3
	v_mov_b32_e32 v7, 0
	ds_load_b128 v[7:10], v7 offset:800
	s_waitcnt lgkmcnt(0)
	v_mul_f64 v[11:12], v[1:2], v[9:10]
	v_mul_f64 v[14:15], v[3:4], v[9:10]
	s_delay_alu instid0(VALU_DEP_2) | instskip(NEXT) | instid1(VALU_DEP_2)
	v_fma_f64 v[9:10], v[3:4], v[7:8], -v[11:12]
	v_fma_f64 v[11:12], v[1:2], v[7:8], v[14:15]
	scratch_store_b128 off, v[9:12], off offset:800
.LBB60_227:
	s_or_b32 exec_lo, exec_lo, s2
	s_waitcnt_vscnt null, 0x0
	s_barrier
	buffer_gl0_inv
	scratch_load_b128 v[1:4], v216, off
	s_mov_b32 s2, exec_lo
	s_waitcnt vmcnt(0)
	ds_store_b128 v5, v[1:4]
	s_waitcnt lgkmcnt(0)
	s_barrier
	buffer_gl0_inv
	v_cmpx_gt_u32_e32 51, v171
	s_cbranch_execz .LBB60_231
; %bb.228:
	v_dual_mov_b32 v1, 0 :: v_dual_add_nc_u32 v8, 0x3d0, v229
	v_dual_mov_b32 v2, 0 :: v_dual_add_nc_u32 v7, -1, v171
	v_or_b32_e32 v9, 8, v13
	s_mov_b32 s3, 0
	s_delay_alu instid0(VALU_DEP_2)
	v_dual_mov_b32 v4, v2 :: v_dual_mov_b32 v3, v1
	.p2align	6
.LBB60_229:                             ; =>This Inner Loop Header: Depth=1
	scratch_load_b128 v[14:17], v9, off offset:-8
	ds_load_b128 v[18:21], v8
	v_add_nc_u32_e32 v7, 1, v7
	v_add_nc_u32_e32 v8, 16, v8
	;; [unrolled: 1-line block ×3, first 2 shown]
	s_delay_alu instid0(VALU_DEP_3) | instskip(SKIP_4) | instid1(VALU_DEP_2)
	v_cmp_lt_u32_e32 vcc_lo, 49, v7
	s_or_b32 s3, vcc_lo, s3
	s_waitcnt vmcnt(0) lgkmcnt(0)
	v_mul_f64 v[10:11], v[20:21], v[16:17]
	v_mul_f64 v[16:17], v[18:19], v[16:17]
	v_fma_f64 v[10:11], v[18:19], v[14:15], -v[10:11]
	s_delay_alu instid0(VALU_DEP_2) | instskip(NEXT) | instid1(VALU_DEP_2)
	v_fma_f64 v[14:15], v[20:21], v[14:15], v[16:17]
	v_add_f64 v[3:4], v[3:4], v[10:11]
	s_delay_alu instid0(VALU_DEP_2)
	v_add_f64 v[1:2], v[1:2], v[14:15]
	s_and_not1_b32 exec_lo, exec_lo, s3
	s_cbranch_execnz .LBB60_229
; %bb.230:
	s_or_b32 exec_lo, exec_lo, s3
	v_mov_b32_e32 v7, 0
	ds_load_b128 v[7:10], v7 offset:816
	s_waitcnt lgkmcnt(0)
	v_mul_f64 v[11:12], v[1:2], v[9:10]
	v_mul_f64 v[14:15], v[3:4], v[9:10]
	s_delay_alu instid0(VALU_DEP_2) | instskip(NEXT) | instid1(VALU_DEP_2)
	v_fma_f64 v[9:10], v[3:4], v[7:8], -v[11:12]
	v_fma_f64 v[11:12], v[1:2], v[7:8], v[14:15]
	scratch_store_b128 off, v[9:12], off offset:816
.LBB60_231:
	s_or_b32 exec_lo, exec_lo, s2
	s_waitcnt_vscnt null, 0x0
	s_barrier
	buffer_gl0_inv
	scratch_load_b128 v[1:4], v215, off
	s_mov_b32 s2, exec_lo
	s_waitcnt vmcnt(0)
	ds_store_b128 v5, v[1:4]
	s_waitcnt lgkmcnt(0)
	s_barrier
	buffer_gl0_inv
	v_cmpx_gt_u32_e32 52, v171
	s_cbranch_execz .LBB60_235
; %bb.232:
	v_dual_mov_b32 v1, 0 :: v_dual_add_nc_u32 v8, 0x3d0, v229
	v_dual_mov_b32 v2, 0 :: v_dual_add_nc_u32 v7, -1, v171
	v_or_b32_e32 v9, 8, v13
	s_mov_b32 s3, 0
	s_delay_alu instid0(VALU_DEP_2)
	v_dual_mov_b32 v4, v2 :: v_dual_mov_b32 v3, v1
	.p2align	6
.LBB60_233:                             ; =>This Inner Loop Header: Depth=1
	scratch_load_b128 v[14:17], v9, off offset:-8
	ds_load_b128 v[18:21], v8
	v_add_nc_u32_e32 v7, 1, v7
	v_add_nc_u32_e32 v8, 16, v8
	;; [unrolled: 1-line block ×3, first 2 shown]
	s_delay_alu instid0(VALU_DEP_3) | instskip(SKIP_4) | instid1(VALU_DEP_2)
	v_cmp_lt_u32_e32 vcc_lo, 50, v7
	s_or_b32 s3, vcc_lo, s3
	s_waitcnt vmcnt(0) lgkmcnt(0)
	v_mul_f64 v[10:11], v[20:21], v[16:17]
	v_mul_f64 v[16:17], v[18:19], v[16:17]
	v_fma_f64 v[10:11], v[18:19], v[14:15], -v[10:11]
	s_delay_alu instid0(VALU_DEP_2) | instskip(NEXT) | instid1(VALU_DEP_2)
	v_fma_f64 v[14:15], v[20:21], v[14:15], v[16:17]
	v_add_f64 v[3:4], v[3:4], v[10:11]
	s_delay_alu instid0(VALU_DEP_2)
	v_add_f64 v[1:2], v[1:2], v[14:15]
	s_and_not1_b32 exec_lo, exec_lo, s3
	s_cbranch_execnz .LBB60_233
; %bb.234:
	s_or_b32 exec_lo, exec_lo, s3
	v_mov_b32_e32 v7, 0
	ds_load_b128 v[7:10], v7 offset:832
	s_waitcnt lgkmcnt(0)
	v_mul_f64 v[11:12], v[1:2], v[9:10]
	v_mul_f64 v[14:15], v[3:4], v[9:10]
	s_delay_alu instid0(VALU_DEP_2) | instskip(NEXT) | instid1(VALU_DEP_2)
	v_fma_f64 v[9:10], v[3:4], v[7:8], -v[11:12]
	v_fma_f64 v[11:12], v[1:2], v[7:8], v[14:15]
	scratch_store_b128 off, v[9:12], off offset:832
.LBB60_235:
	s_or_b32 exec_lo, exec_lo, s2
	s_waitcnt_vscnt null, 0x0
	s_barrier
	buffer_gl0_inv
	scratch_load_b128 v[1:4], v210, off
	s_mov_b32 s2, exec_lo
	s_waitcnt vmcnt(0)
	ds_store_b128 v5, v[1:4]
	s_waitcnt lgkmcnt(0)
	s_barrier
	buffer_gl0_inv
	v_cmpx_gt_u32_e32 53, v171
	s_cbranch_execz .LBB60_239
; %bb.236:
	v_dual_mov_b32 v1, 0 :: v_dual_add_nc_u32 v8, 0x3d0, v229
	v_dual_mov_b32 v2, 0 :: v_dual_add_nc_u32 v7, -1, v171
	v_or_b32_e32 v9, 8, v13
	s_mov_b32 s3, 0
	s_delay_alu instid0(VALU_DEP_2)
	v_dual_mov_b32 v4, v2 :: v_dual_mov_b32 v3, v1
	.p2align	6
.LBB60_237:                             ; =>This Inner Loop Header: Depth=1
	scratch_load_b128 v[14:17], v9, off offset:-8
	ds_load_b128 v[18:21], v8
	v_add_nc_u32_e32 v7, 1, v7
	v_add_nc_u32_e32 v8, 16, v8
	v_add_nc_u32_e32 v9, 16, v9
	s_delay_alu instid0(VALU_DEP_3) | instskip(SKIP_4) | instid1(VALU_DEP_2)
	v_cmp_lt_u32_e32 vcc_lo, 51, v7
	s_or_b32 s3, vcc_lo, s3
	s_waitcnt vmcnt(0) lgkmcnt(0)
	v_mul_f64 v[10:11], v[20:21], v[16:17]
	v_mul_f64 v[16:17], v[18:19], v[16:17]
	v_fma_f64 v[10:11], v[18:19], v[14:15], -v[10:11]
	s_delay_alu instid0(VALU_DEP_2) | instskip(NEXT) | instid1(VALU_DEP_2)
	v_fma_f64 v[14:15], v[20:21], v[14:15], v[16:17]
	v_add_f64 v[3:4], v[3:4], v[10:11]
	s_delay_alu instid0(VALU_DEP_2)
	v_add_f64 v[1:2], v[1:2], v[14:15]
	s_and_not1_b32 exec_lo, exec_lo, s3
	s_cbranch_execnz .LBB60_237
; %bb.238:
	s_or_b32 exec_lo, exec_lo, s3
	v_mov_b32_e32 v7, 0
	ds_load_b128 v[7:10], v7 offset:848
	s_waitcnt lgkmcnt(0)
	v_mul_f64 v[11:12], v[1:2], v[9:10]
	v_mul_f64 v[14:15], v[3:4], v[9:10]
	s_delay_alu instid0(VALU_DEP_2) | instskip(NEXT) | instid1(VALU_DEP_2)
	v_fma_f64 v[9:10], v[3:4], v[7:8], -v[11:12]
	v_fma_f64 v[11:12], v[1:2], v[7:8], v[14:15]
	scratch_store_b128 off, v[9:12], off offset:848
.LBB60_239:
	s_or_b32 exec_lo, exec_lo, s2
	s_waitcnt_vscnt null, 0x0
	s_barrier
	buffer_gl0_inv
	scratch_load_b128 v[1:4], v204, off
	s_mov_b32 s2, exec_lo
	s_waitcnt vmcnt(0)
	ds_store_b128 v5, v[1:4]
	s_waitcnt lgkmcnt(0)
	s_barrier
	buffer_gl0_inv
	v_cmpx_gt_u32_e32 54, v171
	s_cbranch_execz .LBB60_243
; %bb.240:
	v_dual_mov_b32 v1, 0 :: v_dual_add_nc_u32 v8, 0x3d0, v229
	v_dual_mov_b32 v2, 0 :: v_dual_add_nc_u32 v7, -1, v171
	v_or_b32_e32 v9, 8, v13
	s_mov_b32 s3, 0
	s_delay_alu instid0(VALU_DEP_2)
	v_dual_mov_b32 v4, v2 :: v_dual_mov_b32 v3, v1
	.p2align	6
.LBB60_241:                             ; =>This Inner Loop Header: Depth=1
	scratch_load_b128 v[14:17], v9, off offset:-8
	ds_load_b128 v[18:21], v8
	v_add_nc_u32_e32 v7, 1, v7
	v_add_nc_u32_e32 v8, 16, v8
	;; [unrolled: 1-line block ×3, first 2 shown]
	s_delay_alu instid0(VALU_DEP_3) | instskip(SKIP_4) | instid1(VALU_DEP_2)
	v_cmp_lt_u32_e32 vcc_lo, 52, v7
	s_or_b32 s3, vcc_lo, s3
	s_waitcnt vmcnt(0) lgkmcnt(0)
	v_mul_f64 v[10:11], v[20:21], v[16:17]
	v_mul_f64 v[16:17], v[18:19], v[16:17]
	v_fma_f64 v[10:11], v[18:19], v[14:15], -v[10:11]
	s_delay_alu instid0(VALU_DEP_2) | instskip(NEXT) | instid1(VALU_DEP_2)
	v_fma_f64 v[14:15], v[20:21], v[14:15], v[16:17]
	v_add_f64 v[3:4], v[3:4], v[10:11]
	s_delay_alu instid0(VALU_DEP_2)
	v_add_f64 v[1:2], v[1:2], v[14:15]
	s_and_not1_b32 exec_lo, exec_lo, s3
	s_cbranch_execnz .LBB60_241
; %bb.242:
	s_or_b32 exec_lo, exec_lo, s3
	v_mov_b32_e32 v7, 0
	ds_load_b128 v[7:10], v7 offset:864
	s_waitcnt lgkmcnt(0)
	v_mul_f64 v[11:12], v[1:2], v[9:10]
	v_mul_f64 v[14:15], v[3:4], v[9:10]
	s_delay_alu instid0(VALU_DEP_2) | instskip(NEXT) | instid1(VALU_DEP_2)
	v_fma_f64 v[9:10], v[3:4], v[7:8], -v[11:12]
	v_fma_f64 v[11:12], v[1:2], v[7:8], v[14:15]
	scratch_store_b128 off, v[9:12], off offset:864
.LBB60_243:
	s_or_b32 exec_lo, exec_lo, s2
	s_waitcnt_vscnt null, 0x0
	s_barrier
	buffer_gl0_inv
	scratch_load_b128 v[1:4], v176, off
	s_mov_b32 s2, exec_lo
	s_waitcnt vmcnt(0)
	ds_store_b128 v5, v[1:4]
	s_waitcnt lgkmcnt(0)
	s_barrier
	buffer_gl0_inv
	v_cmpx_gt_u32_e32 55, v171
	s_cbranch_execz .LBB60_247
; %bb.244:
	v_dual_mov_b32 v1, 0 :: v_dual_add_nc_u32 v8, 0x3d0, v229
	v_dual_mov_b32 v2, 0 :: v_dual_add_nc_u32 v7, -1, v171
	v_or_b32_e32 v9, 8, v13
	s_mov_b32 s3, 0
	s_delay_alu instid0(VALU_DEP_2)
	v_dual_mov_b32 v4, v2 :: v_dual_mov_b32 v3, v1
	.p2align	6
.LBB60_245:                             ; =>This Inner Loop Header: Depth=1
	scratch_load_b128 v[14:17], v9, off offset:-8
	ds_load_b128 v[18:21], v8
	v_add_nc_u32_e32 v7, 1, v7
	v_add_nc_u32_e32 v8, 16, v8
	;; [unrolled: 1-line block ×3, first 2 shown]
	s_delay_alu instid0(VALU_DEP_3) | instskip(SKIP_4) | instid1(VALU_DEP_2)
	v_cmp_lt_u32_e32 vcc_lo, 53, v7
	s_or_b32 s3, vcc_lo, s3
	s_waitcnt vmcnt(0) lgkmcnt(0)
	v_mul_f64 v[10:11], v[20:21], v[16:17]
	v_mul_f64 v[16:17], v[18:19], v[16:17]
	v_fma_f64 v[10:11], v[18:19], v[14:15], -v[10:11]
	s_delay_alu instid0(VALU_DEP_2) | instskip(NEXT) | instid1(VALU_DEP_2)
	v_fma_f64 v[14:15], v[20:21], v[14:15], v[16:17]
	v_add_f64 v[3:4], v[3:4], v[10:11]
	s_delay_alu instid0(VALU_DEP_2)
	v_add_f64 v[1:2], v[1:2], v[14:15]
	s_and_not1_b32 exec_lo, exec_lo, s3
	s_cbranch_execnz .LBB60_245
; %bb.246:
	s_or_b32 exec_lo, exec_lo, s3
	v_mov_b32_e32 v7, 0
	ds_load_b128 v[7:10], v7 offset:880
	s_waitcnt lgkmcnt(0)
	v_mul_f64 v[11:12], v[1:2], v[9:10]
	v_mul_f64 v[14:15], v[3:4], v[9:10]
	s_delay_alu instid0(VALU_DEP_2) | instskip(NEXT) | instid1(VALU_DEP_2)
	v_fma_f64 v[9:10], v[3:4], v[7:8], -v[11:12]
	v_fma_f64 v[11:12], v[1:2], v[7:8], v[14:15]
	scratch_store_b128 off, v[9:12], off offset:880
.LBB60_247:
	s_or_b32 exec_lo, exec_lo, s2
	s_waitcnt_vscnt null, 0x0
	s_barrier
	buffer_gl0_inv
	scratch_load_b128 v[1:4], v175, off
	s_mov_b32 s2, exec_lo
	s_waitcnt vmcnt(0)
	ds_store_b128 v5, v[1:4]
	s_waitcnt lgkmcnt(0)
	s_barrier
	buffer_gl0_inv
	v_cmpx_gt_u32_e32 56, v171
	s_cbranch_execz .LBB60_251
; %bb.248:
	v_dual_mov_b32 v1, 0 :: v_dual_add_nc_u32 v8, 0x3d0, v229
	v_dual_mov_b32 v2, 0 :: v_dual_add_nc_u32 v7, -1, v171
	v_or_b32_e32 v9, 8, v13
	s_mov_b32 s3, 0
	s_delay_alu instid0(VALU_DEP_2)
	v_dual_mov_b32 v4, v2 :: v_dual_mov_b32 v3, v1
	.p2align	6
.LBB60_249:                             ; =>This Inner Loop Header: Depth=1
	scratch_load_b128 v[14:17], v9, off offset:-8
	ds_load_b128 v[18:21], v8
	v_add_nc_u32_e32 v7, 1, v7
	v_add_nc_u32_e32 v8, 16, v8
	;; [unrolled: 1-line block ×3, first 2 shown]
	s_delay_alu instid0(VALU_DEP_3) | instskip(SKIP_4) | instid1(VALU_DEP_2)
	v_cmp_lt_u32_e32 vcc_lo, 54, v7
	s_or_b32 s3, vcc_lo, s3
	s_waitcnt vmcnt(0) lgkmcnt(0)
	v_mul_f64 v[10:11], v[20:21], v[16:17]
	v_mul_f64 v[16:17], v[18:19], v[16:17]
	v_fma_f64 v[10:11], v[18:19], v[14:15], -v[10:11]
	s_delay_alu instid0(VALU_DEP_2) | instskip(NEXT) | instid1(VALU_DEP_2)
	v_fma_f64 v[14:15], v[20:21], v[14:15], v[16:17]
	v_add_f64 v[3:4], v[3:4], v[10:11]
	s_delay_alu instid0(VALU_DEP_2)
	v_add_f64 v[1:2], v[1:2], v[14:15]
	s_and_not1_b32 exec_lo, exec_lo, s3
	s_cbranch_execnz .LBB60_249
; %bb.250:
	s_or_b32 exec_lo, exec_lo, s3
	v_mov_b32_e32 v7, 0
	ds_load_b128 v[7:10], v7 offset:896
	s_waitcnt lgkmcnt(0)
	v_mul_f64 v[11:12], v[1:2], v[9:10]
	v_mul_f64 v[14:15], v[3:4], v[9:10]
	s_delay_alu instid0(VALU_DEP_2) | instskip(NEXT) | instid1(VALU_DEP_2)
	v_fma_f64 v[9:10], v[3:4], v[7:8], -v[11:12]
	v_fma_f64 v[11:12], v[1:2], v[7:8], v[14:15]
	scratch_store_b128 off, v[9:12], off offset:896
.LBB60_251:
	s_or_b32 exec_lo, exec_lo, s2
	s_waitcnt_vscnt null, 0x0
	s_barrier
	buffer_gl0_inv
	scratch_load_b128 v[1:4], v205, off
	s_mov_b32 s2, exec_lo
	s_waitcnt vmcnt(0)
	ds_store_b128 v5, v[1:4]
	s_waitcnt lgkmcnt(0)
	s_barrier
	buffer_gl0_inv
	v_cmpx_gt_u32_e32 57, v171
	s_cbranch_execz .LBB60_255
; %bb.252:
	v_dual_mov_b32 v1, 0 :: v_dual_add_nc_u32 v8, 0x3d0, v229
	v_dual_mov_b32 v2, 0 :: v_dual_add_nc_u32 v7, -1, v171
	v_or_b32_e32 v9, 8, v13
	s_mov_b32 s3, 0
	s_delay_alu instid0(VALU_DEP_2)
	v_dual_mov_b32 v4, v2 :: v_dual_mov_b32 v3, v1
	.p2align	6
.LBB60_253:                             ; =>This Inner Loop Header: Depth=1
	scratch_load_b128 v[14:17], v9, off offset:-8
	ds_load_b128 v[18:21], v8
	v_add_nc_u32_e32 v7, 1, v7
	v_add_nc_u32_e32 v8, 16, v8
	;; [unrolled: 1-line block ×3, first 2 shown]
	s_delay_alu instid0(VALU_DEP_3) | instskip(SKIP_4) | instid1(VALU_DEP_2)
	v_cmp_lt_u32_e32 vcc_lo, 55, v7
	s_or_b32 s3, vcc_lo, s3
	s_waitcnt vmcnt(0) lgkmcnt(0)
	v_mul_f64 v[10:11], v[20:21], v[16:17]
	v_mul_f64 v[16:17], v[18:19], v[16:17]
	v_fma_f64 v[10:11], v[18:19], v[14:15], -v[10:11]
	s_delay_alu instid0(VALU_DEP_2) | instskip(NEXT) | instid1(VALU_DEP_2)
	v_fma_f64 v[14:15], v[20:21], v[14:15], v[16:17]
	v_add_f64 v[3:4], v[3:4], v[10:11]
	s_delay_alu instid0(VALU_DEP_2)
	v_add_f64 v[1:2], v[1:2], v[14:15]
	s_and_not1_b32 exec_lo, exec_lo, s3
	s_cbranch_execnz .LBB60_253
; %bb.254:
	s_or_b32 exec_lo, exec_lo, s3
	v_mov_b32_e32 v7, 0
	ds_load_b128 v[7:10], v7 offset:912
	s_waitcnt lgkmcnt(0)
	v_mul_f64 v[11:12], v[1:2], v[9:10]
	v_mul_f64 v[14:15], v[3:4], v[9:10]
	s_delay_alu instid0(VALU_DEP_2) | instskip(NEXT) | instid1(VALU_DEP_2)
	v_fma_f64 v[9:10], v[3:4], v[7:8], -v[11:12]
	v_fma_f64 v[11:12], v[1:2], v[7:8], v[14:15]
	scratch_store_b128 off, v[9:12], off offset:912
.LBB60_255:
	s_or_b32 exec_lo, exec_lo, s2
	s_waitcnt_vscnt null, 0x0
	s_barrier
	buffer_gl0_inv
	scratch_load_b128 v[1:4], v173, off
	s_mov_b32 s2, exec_lo
	s_waitcnt vmcnt(0)
	ds_store_b128 v5, v[1:4]
	s_waitcnt lgkmcnt(0)
	s_barrier
	buffer_gl0_inv
	v_cmpx_gt_u32_e32 58, v171
	s_cbranch_execz .LBB60_259
; %bb.256:
	v_dual_mov_b32 v1, 0 :: v_dual_add_nc_u32 v8, 0x3d0, v229
	v_dual_mov_b32 v2, 0 :: v_dual_add_nc_u32 v7, -1, v171
	v_or_b32_e32 v9, 8, v13
	s_mov_b32 s3, 0
	s_delay_alu instid0(VALU_DEP_2)
	v_dual_mov_b32 v4, v2 :: v_dual_mov_b32 v3, v1
	.p2align	6
.LBB60_257:                             ; =>This Inner Loop Header: Depth=1
	scratch_load_b128 v[14:17], v9, off offset:-8
	ds_load_b128 v[18:21], v8
	v_add_nc_u32_e32 v7, 1, v7
	v_add_nc_u32_e32 v8, 16, v8
	;; [unrolled: 1-line block ×3, first 2 shown]
	s_delay_alu instid0(VALU_DEP_3) | instskip(SKIP_4) | instid1(VALU_DEP_2)
	v_cmp_lt_u32_e32 vcc_lo, 56, v7
	s_or_b32 s3, vcc_lo, s3
	s_waitcnt vmcnt(0) lgkmcnt(0)
	v_mul_f64 v[10:11], v[20:21], v[16:17]
	v_mul_f64 v[16:17], v[18:19], v[16:17]
	v_fma_f64 v[10:11], v[18:19], v[14:15], -v[10:11]
	s_delay_alu instid0(VALU_DEP_2) | instskip(NEXT) | instid1(VALU_DEP_2)
	v_fma_f64 v[14:15], v[20:21], v[14:15], v[16:17]
	v_add_f64 v[3:4], v[3:4], v[10:11]
	s_delay_alu instid0(VALU_DEP_2)
	v_add_f64 v[1:2], v[1:2], v[14:15]
	s_and_not1_b32 exec_lo, exec_lo, s3
	s_cbranch_execnz .LBB60_257
; %bb.258:
	s_or_b32 exec_lo, exec_lo, s3
	v_mov_b32_e32 v7, 0
	ds_load_b128 v[7:10], v7 offset:928
	s_waitcnt lgkmcnt(0)
	v_mul_f64 v[11:12], v[1:2], v[9:10]
	v_mul_f64 v[14:15], v[3:4], v[9:10]
	s_delay_alu instid0(VALU_DEP_2) | instskip(NEXT) | instid1(VALU_DEP_2)
	v_fma_f64 v[9:10], v[3:4], v[7:8], -v[11:12]
	v_fma_f64 v[11:12], v[1:2], v[7:8], v[14:15]
	scratch_store_b128 off, v[9:12], off offset:928
.LBB60_259:
	s_or_b32 exec_lo, exec_lo, s2
	s_waitcnt_vscnt null, 0x0
	s_barrier
	buffer_gl0_inv
	scratch_load_b128 v[1:4], v253, off
	s_mov_b32 s2, exec_lo
	s_waitcnt vmcnt(0)
	ds_store_b128 v5, v[1:4]
	s_waitcnt lgkmcnt(0)
	s_barrier
	buffer_gl0_inv
	v_cmpx_gt_u32_e32 59, v171
	s_cbranch_execz .LBB60_263
; %bb.260:
	v_dual_mov_b32 v1, 0 :: v_dual_add_nc_u32 v8, 0x3d0, v229
	v_dual_mov_b32 v2, 0 :: v_dual_add_nc_u32 v7, -1, v171
	v_or_b32_e32 v9, 8, v13
	s_mov_b32 s3, 0
	s_delay_alu instid0(VALU_DEP_2)
	v_dual_mov_b32 v4, v2 :: v_dual_mov_b32 v3, v1
	.p2align	6
.LBB60_261:                             ; =>This Inner Loop Header: Depth=1
	scratch_load_b128 v[14:17], v9, off offset:-8
	ds_load_b128 v[18:21], v8
	v_add_nc_u32_e32 v7, 1, v7
	v_add_nc_u32_e32 v8, 16, v8
	;; [unrolled: 1-line block ×3, first 2 shown]
	s_delay_alu instid0(VALU_DEP_3) | instskip(SKIP_4) | instid1(VALU_DEP_2)
	v_cmp_lt_u32_e32 vcc_lo, 57, v7
	s_or_b32 s3, vcc_lo, s3
	s_waitcnt vmcnt(0) lgkmcnt(0)
	v_mul_f64 v[10:11], v[20:21], v[16:17]
	v_mul_f64 v[16:17], v[18:19], v[16:17]
	v_fma_f64 v[10:11], v[18:19], v[14:15], -v[10:11]
	s_delay_alu instid0(VALU_DEP_2) | instskip(NEXT) | instid1(VALU_DEP_2)
	v_fma_f64 v[14:15], v[20:21], v[14:15], v[16:17]
	v_add_f64 v[3:4], v[3:4], v[10:11]
	s_delay_alu instid0(VALU_DEP_2)
	v_add_f64 v[1:2], v[1:2], v[14:15]
	s_and_not1_b32 exec_lo, exec_lo, s3
	s_cbranch_execnz .LBB60_261
; %bb.262:
	s_or_b32 exec_lo, exec_lo, s3
	v_mov_b32_e32 v7, 0
	ds_load_b128 v[7:10], v7 offset:944
	s_waitcnt lgkmcnt(0)
	v_mul_f64 v[11:12], v[1:2], v[9:10]
	v_mul_f64 v[14:15], v[3:4], v[9:10]
	s_delay_alu instid0(VALU_DEP_2) | instskip(NEXT) | instid1(VALU_DEP_2)
	v_fma_f64 v[9:10], v[3:4], v[7:8], -v[11:12]
	v_fma_f64 v[11:12], v[1:2], v[7:8], v[14:15]
	scratch_store_b128 off, v[9:12], off offset:944
.LBB60_263:
	s_or_b32 exec_lo, exec_lo, s2
	s_waitcnt_vscnt null, 0x0
	s_barrier
	buffer_gl0_inv
	scratch_load_b128 v[1:4], v172, off
	s_mov_b32 s2, exec_lo
	s_waitcnt vmcnt(0)
	ds_store_b128 v5, v[1:4]
	s_waitcnt lgkmcnt(0)
	s_barrier
	buffer_gl0_inv
	v_cmpx_ne_u32_e32 60, v171
	s_cbranch_execz .LBB60_267
; %bb.264:
	v_mov_b32_e32 v1, 0
	v_mov_b32_e32 v2, 0
	v_or_b32_e32 v7, 8, v13
	s_mov_b32 s3, 0
	s_delay_alu instid0(VALU_DEP_2)
	v_dual_mov_b32 v4, v2 :: v_dual_mov_b32 v3, v1
	.p2align	6
.LBB60_265:                             ; =>This Inner Loop Header: Depth=1
	scratch_load_b128 v[8:11], v7, off offset:-8
	ds_load_b128 v[12:15], v5
	v_add_nc_u32_e32 v6, 1, v6
	v_add_nc_u32_e32 v5, 16, v5
	;; [unrolled: 1-line block ×3, first 2 shown]
	s_delay_alu instid0(VALU_DEP_3) | instskip(SKIP_4) | instid1(VALU_DEP_2)
	v_cmp_lt_u32_e32 vcc_lo, 58, v6
	s_or_b32 s3, vcc_lo, s3
	s_waitcnt vmcnt(0) lgkmcnt(0)
	v_mul_f64 v[16:17], v[14:15], v[10:11]
	v_mul_f64 v[10:11], v[12:13], v[10:11]
	v_fma_f64 v[12:13], v[12:13], v[8:9], -v[16:17]
	s_delay_alu instid0(VALU_DEP_2) | instskip(NEXT) | instid1(VALU_DEP_2)
	v_fma_f64 v[8:9], v[14:15], v[8:9], v[10:11]
	v_add_f64 v[3:4], v[3:4], v[12:13]
	s_delay_alu instid0(VALU_DEP_2)
	v_add_f64 v[1:2], v[1:2], v[8:9]
	s_and_not1_b32 exec_lo, exec_lo, s3
	s_cbranch_execnz .LBB60_265
; %bb.266:
	s_or_b32 exec_lo, exec_lo, s3
	v_mov_b32_e32 v5, 0
	ds_load_b128 v[5:8], v5 offset:960
	s_waitcnt lgkmcnt(0)
	v_mul_f64 v[9:10], v[1:2], v[7:8]
	v_mul_f64 v[7:8], v[3:4], v[7:8]
	s_delay_alu instid0(VALU_DEP_2) | instskip(NEXT) | instid1(VALU_DEP_2)
	v_fma_f64 v[3:4], v[3:4], v[5:6], -v[9:10]
	v_fma_f64 v[5:6], v[1:2], v[5:6], v[7:8]
	scratch_store_b128 off, v[3:6], off offset:960
.LBB60_267:
	s_or_b32 exec_lo, exec_lo, s2
	s_mov_b32 s3, -1
	s_waitcnt_vscnt null, 0x0
	s_barrier
	buffer_gl0_inv
.LBB60_268:
	s_and_b32 vcc_lo, exec_lo, s3
	s_cbranch_vccz .LBB60_270
; %bb.269:
	s_lshl_b64 s[2:3], s[18:19], 2
	v_mov_b32_e32 v1, 0
	s_add_u32 s2, s6, s2
	s_addc_u32 s3, s7, s3
	global_load_b32 v1, v1, s[2:3]
	s_waitcnt vmcnt(0)
	v_cmp_ne_u32_e32 vcc_lo, 0, v1
	s_cbranch_vccz .LBB60_271
.LBB60_270:
	s_endpgm
.LBB60_271:
	v_lshl_add_u32 v229, v171, 4, 0x3d0
	s_mov_b32 s2, exec_lo
	v_cmpx_eq_u32_e32 60, v171
	s_cbranch_execz .LBB60_273
; %bb.272:
	scratch_load_b128 v[1:4], v253, off
	v_mov_b32_e32 v5, 0
	s_delay_alu instid0(VALU_DEP_1)
	v_mov_b32_e32 v6, v5
	v_mov_b32_e32 v7, v5
	;; [unrolled: 1-line block ×3, first 2 shown]
	scratch_store_b128 off, v[5:8], off offset:944
	s_waitcnt vmcnt(0)
	ds_store_b128 v229, v[1:4]
.LBB60_273:
	s_or_b32 exec_lo, exec_lo, s2
	s_waitcnt lgkmcnt(0)
	s_waitcnt_vscnt null, 0x0
	s_barrier
	buffer_gl0_inv
	s_clause 0x1
	scratch_load_b128 v[2:5], off, off offset:960
	scratch_load_b128 v[6:9], off, off offset:944
	v_mov_b32_e32 v1, 0
	s_mov_b32 s2, exec_lo
	ds_load_b128 v[10:13], v1 offset:1936
	s_waitcnt vmcnt(1) lgkmcnt(0)
	v_mul_f64 v[14:15], v[12:13], v[4:5]
	v_mul_f64 v[4:5], v[10:11], v[4:5]
	s_delay_alu instid0(VALU_DEP_2) | instskip(NEXT) | instid1(VALU_DEP_2)
	v_fma_f64 v[10:11], v[10:11], v[2:3], -v[14:15]
	v_fma_f64 v[2:3], v[12:13], v[2:3], v[4:5]
	s_delay_alu instid0(VALU_DEP_2) | instskip(NEXT) | instid1(VALU_DEP_2)
	v_add_f64 v[4:5], v[10:11], 0
	v_add_f64 v[10:11], v[2:3], 0
	s_waitcnt vmcnt(0)
	s_delay_alu instid0(VALU_DEP_2) | instskip(NEXT) | instid1(VALU_DEP_2)
	v_add_f64 v[2:3], v[6:7], -v[4:5]
	v_add_f64 v[4:5], v[8:9], -v[10:11]
	scratch_store_b128 off, v[2:5], off offset:944
	v_cmpx_lt_u32_e32 58, v171
	s_cbranch_execz .LBB60_275
; %bb.274:
	scratch_load_b128 v[5:8], v173, off
	v_mov_b32_e32 v2, v1
	v_mov_b32_e32 v3, v1
	;; [unrolled: 1-line block ×3, first 2 shown]
	scratch_store_b128 off, v[1:4], off offset:928
	s_waitcnt vmcnt(0)
	ds_store_b128 v229, v[5:8]
.LBB60_275:
	s_or_b32 exec_lo, exec_lo, s2
	s_waitcnt lgkmcnt(0)
	s_waitcnt_vscnt null, 0x0
	s_barrier
	buffer_gl0_inv
	s_clause 0x2
	scratch_load_b128 v[2:5], off, off offset:944
	scratch_load_b128 v[6:9], off, off offset:960
	;; [unrolled: 1-line block ×3, first 2 shown]
	ds_load_b128 v[14:17], v1 offset:1920
	ds_load_b128 v[18:21], v1 offset:1936
	s_mov_b32 s2, exec_lo
	s_waitcnt vmcnt(2) lgkmcnt(1)
	v_mul_f64 v[22:23], v[16:17], v[4:5]
	v_mul_f64 v[4:5], v[14:15], v[4:5]
	s_waitcnt vmcnt(1) lgkmcnt(0)
	v_mul_f64 v[24:25], v[18:19], v[8:9]
	v_mul_f64 v[8:9], v[20:21], v[8:9]
	s_delay_alu instid0(VALU_DEP_4) | instskip(NEXT) | instid1(VALU_DEP_4)
	v_fma_f64 v[14:15], v[14:15], v[2:3], -v[22:23]
	v_fma_f64 v[1:2], v[16:17], v[2:3], v[4:5]
	s_delay_alu instid0(VALU_DEP_4) | instskip(NEXT) | instid1(VALU_DEP_4)
	v_fma_f64 v[3:4], v[20:21], v[6:7], v[24:25]
	v_fma_f64 v[5:6], v[18:19], v[6:7], -v[8:9]
	s_delay_alu instid0(VALU_DEP_4) | instskip(NEXT) | instid1(VALU_DEP_4)
	v_add_f64 v[7:8], v[14:15], 0
	v_add_f64 v[1:2], v[1:2], 0
	s_delay_alu instid0(VALU_DEP_2) | instskip(NEXT) | instid1(VALU_DEP_2)
	v_add_f64 v[5:6], v[7:8], v[5:6]
	v_add_f64 v[3:4], v[1:2], v[3:4]
	s_waitcnt vmcnt(0)
	s_delay_alu instid0(VALU_DEP_2) | instskip(NEXT) | instid1(VALU_DEP_2)
	v_add_f64 v[1:2], v[10:11], -v[5:6]
	v_add_f64 v[3:4], v[12:13], -v[3:4]
	scratch_store_b128 off, v[1:4], off offset:928
	v_cmpx_lt_u32_e32 57, v171
	s_cbranch_execz .LBB60_277
; %bb.276:
	scratch_load_b128 v[1:4], v205, off
	v_mov_b32_e32 v5, 0
	s_delay_alu instid0(VALU_DEP_1)
	v_mov_b32_e32 v6, v5
	v_mov_b32_e32 v7, v5
	;; [unrolled: 1-line block ×3, first 2 shown]
	scratch_store_b128 off, v[5:8], off offset:912
	s_waitcnt vmcnt(0)
	ds_store_b128 v229, v[1:4]
.LBB60_277:
	s_or_b32 exec_lo, exec_lo, s2
	s_waitcnt lgkmcnt(0)
	s_waitcnt_vscnt null, 0x0
	s_barrier
	buffer_gl0_inv
	s_clause 0x3
	scratch_load_b128 v[2:5], off, off offset:928
	scratch_load_b128 v[6:9], off, off offset:944
	;; [unrolled: 1-line block ×4, first 2 shown]
	v_mov_b32_e32 v1, 0
	ds_load_b128 v[18:21], v1 offset:1904
	ds_load_b128 v[22:25], v1 offset:1920
	s_mov_b32 s2, exec_lo
	s_waitcnt vmcnt(3) lgkmcnt(1)
	v_mul_f64 v[26:27], v[20:21], v[4:5]
	v_mul_f64 v[4:5], v[18:19], v[4:5]
	s_waitcnt vmcnt(2) lgkmcnt(0)
	v_mul_f64 v[28:29], v[22:23], v[8:9]
	v_mul_f64 v[8:9], v[24:25], v[8:9]
	s_delay_alu instid0(VALU_DEP_4) | instskip(NEXT) | instid1(VALU_DEP_4)
	v_fma_f64 v[18:19], v[18:19], v[2:3], -v[26:27]
	v_fma_f64 v[20:21], v[20:21], v[2:3], v[4:5]
	ds_load_b128 v[2:5], v1 offset:1936
	v_fma_f64 v[24:25], v[24:25], v[6:7], v[28:29]
	v_fma_f64 v[6:7], v[22:23], v[6:7], -v[8:9]
	s_waitcnt vmcnt(1) lgkmcnt(0)
	v_mul_f64 v[26:27], v[2:3], v[12:13]
	v_mul_f64 v[12:13], v[4:5], v[12:13]
	v_add_f64 v[8:9], v[18:19], 0
	v_add_f64 v[18:19], v[20:21], 0
	s_delay_alu instid0(VALU_DEP_4) | instskip(NEXT) | instid1(VALU_DEP_4)
	v_fma_f64 v[4:5], v[4:5], v[10:11], v[26:27]
	v_fma_f64 v[2:3], v[2:3], v[10:11], -v[12:13]
	s_delay_alu instid0(VALU_DEP_4) | instskip(NEXT) | instid1(VALU_DEP_4)
	v_add_f64 v[6:7], v[8:9], v[6:7]
	v_add_f64 v[8:9], v[18:19], v[24:25]
	s_delay_alu instid0(VALU_DEP_2) | instskip(NEXT) | instid1(VALU_DEP_2)
	v_add_f64 v[2:3], v[6:7], v[2:3]
	v_add_f64 v[4:5], v[8:9], v[4:5]
	s_waitcnt vmcnt(0)
	s_delay_alu instid0(VALU_DEP_2) | instskip(NEXT) | instid1(VALU_DEP_2)
	v_add_f64 v[2:3], v[14:15], -v[2:3]
	v_add_f64 v[4:5], v[16:17], -v[4:5]
	scratch_store_b128 off, v[2:5], off offset:912
	v_cmpx_lt_u32_e32 56, v171
	s_cbranch_execz .LBB60_279
; %bb.278:
	scratch_load_b128 v[5:8], v175, off
	v_mov_b32_e32 v2, v1
	v_mov_b32_e32 v3, v1
	;; [unrolled: 1-line block ×3, first 2 shown]
	scratch_store_b128 off, v[1:4], off offset:896
	s_waitcnt vmcnt(0)
	ds_store_b128 v229, v[5:8]
.LBB60_279:
	s_or_b32 exec_lo, exec_lo, s2
	s_waitcnt lgkmcnt(0)
	s_waitcnt_vscnt null, 0x0
	s_barrier
	buffer_gl0_inv
	s_clause 0x4
	scratch_load_b128 v[2:5], off, off offset:912
	scratch_load_b128 v[6:9], off, off offset:928
	;; [unrolled: 1-line block ×5, first 2 shown]
	ds_load_b128 v[22:25], v1 offset:1888
	ds_load_b128 v[26:29], v1 offset:1904
	s_mov_b32 s2, exec_lo
	s_waitcnt vmcnt(4) lgkmcnt(1)
	v_mul_f64 v[30:31], v[24:25], v[4:5]
	v_mul_f64 v[4:5], v[22:23], v[4:5]
	s_waitcnt vmcnt(3) lgkmcnt(0)
	v_mul_f64 v[32:33], v[26:27], v[8:9]
	v_mul_f64 v[8:9], v[28:29], v[8:9]
	s_delay_alu instid0(VALU_DEP_4) | instskip(NEXT) | instid1(VALU_DEP_4)
	v_fma_f64 v[30:31], v[22:23], v[2:3], -v[30:31]
	v_fma_f64 v[34:35], v[24:25], v[2:3], v[4:5]
	ds_load_b128 v[2:5], v1 offset:1920
	ds_load_b128 v[22:25], v1 offset:1936
	v_fma_f64 v[28:29], v[28:29], v[6:7], v[32:33]
	v_fma_f64 v[6:7], v[26:27], v[6:7], -v[8:9]
	s_waitcnt vmcnt(2) lgkmcnt(1)
	v_mul_f64 v[36:37], v[2:3], v[12:13]
	v_mul_f64 v[12:13], v[4:5], v[12:13]
	v_add_f64 v[8:9], v[30:31], 0
	v_add_f64 v[26:27], v[34:35], 0
	s_waitcnt vmcnt(1) lgkmcnt(0)
	v_mul_f64 v[30:31], v[22:23], v[16:17]
	v_mul_f64 v[16:17], v[24:25], v[16:17]
	v_fma_f64 v[4:5], v[4:5], v[10:11], v[36:37]
	v_fma_f64 v[1:2], v[2:3], v[10:11], -v[12:13]
	v_add_f64 v[6:7], v[8:9], v[6:7]
	v_add_f64 v[8:9], v[26:27], v[28:29]
	v_fma_f64 v[10:11], v[24:25], v[14:15], v[30:31]
	v_fma_f64 v[12:13], v[22:23], v[14:15], -v[16:17]
	s_delay_alu instid0(VALU_DEP_4) | instskip(NEXT) | instid1(VALU_DEP_4)
	v_add_f64 v[1:2], v[6:7], v[1:2]
	v_add_f64 v[3:4], v[8:9], v[4:5]
	s_delay_alu instid0(VALU_DEP_2) | instskip(NEXT) | instid1(VALU_DEP_2)
	v_add_f64 v[1:2], v[1:2], v[12:13]
	v_add_f64 v[3:4], v[3:4], v[10:11]
	s_waitcnt vmcnt(0)
	s_delay_alu instid0(VALU_DEP_2) | instskip(NEXT) | instid1(VALU_DEP_2)
	v_add_f64 v[1:2], v[18:19], -v[1:2]
	v_add_f64 v[3:4], v[20:21], -v[3:4]
	scratch_store_b128 off, v[1:4], off offset:896
	v_cmpx_lt_u32_e32 55, v171
	s_cbranch_execz .LBB60_281
; %bb.280:
	scratch_load_b128 v[1:4], v176, off
	v_mov_b32_e32 v5, 0
	s_delay_alu instid0(VALU_DEP_1)
	v_mov_b32_e32 v6, v5
	v_mov_b32_e32 v7, v5
	;; [unrolled: 1-line block ×3, first 2 shown]
	scratch_store_b128 off, v[5:8], off offset:880
	s_waitcnt vmcnt(0)
	ds_store_b128 v229, v[1:4]
.LBB60_281:
	s_or_b32 exec_lo, exec_lo, s2
	s_waitcnt lgkmcnt(0)
	s_waitcnt_vscnt null, 0x0
	s_barrier
	buffer_gl0_inv
	s_clause 0x5
	scratch_load_b128 v[2:5], off, off offset:896
	scratch_load_b128 v[6:9], off, off offset:912
	;; [unrolled: 1-line block ×6, first 2 shown]
	v_mov_b32_e32 v1, 0
	ds_load_b128 v[26:29], v1 offset:1872
	ds_load_b128 v[30:33], v1 offset:1888
	s_mov_b32 s2, exec_lo
	s_waitcnt vmcnt(5) lgkmcnt(1)
	v_mul_f64 v[34:35], v[28:29], v[4:5]
	v_mul_f64 v[4:5], v[26:27], v[4:5]
	s_waitcnt vmcnt(4) lgkmcnt(0)
	v_mul_f64 v[36:37], v[30:31], v[8:9]
	v_mul_f64 v[8:9], v[32:33], v[8:9]
	s_delay_alu instid0(VALU_DEP_4) | instskip(NEXT) | instid1(VALU_DEP_4)
	v_fma_f64 v[34:35], v[26:27], v[2:3], -v[34:35]
	v_fma_f64 v[38:39], v[28:29], v[2:3], v[4:5]
	ds_load_b128 v[2:5], v1 offset:1904
	ds_load_b128 v[26:29], v1 offset:1920
	v_fma_f64 v[32:33], v[32:33], v[6:7], v[36:37]
	v_fma_f64 v[6:7], v[30:31], v[6:7], -v[8:9]
	s_waitcnt vmcnt(3) lgkmcnt(1)
	v_mul_f64 v[40:41], v[2:3], v[12:13]
	v_mul_f64 v[12:13], v[4:5], v[12:13]
	v_add_f64 v[8:9], v[34:35], 0
	v_add_f64 v[30:31], v[38:39], 0
	s_waitcnt vmcnt(2) lgkmcnt(0)
	v_mul_f64 v[34:35], v[26:27], v[16:17]
	v_mul_f64 v[16:17], v[28:29], v[16:17]
	v_fma_f64 v[36:37], v[4:5], v[10:11], v[40:41]
	v_fma_f64 v[10:11], v[2:3], v[10:11], -v[12:13]
	ds_load_b128 v[2:5], v1 offset:1936
	v_add_f64 v[6:7], v[8:9], v[6:7]
	v_add_f64 v[8:9], v[30:31], v[32:33]
	v_fma_f64 v[28:29], v[28:29], v[14:15], v[34:35]
	v_fma_f64 v[14:15], v[26:27], v[14:15], -v[16:17]
	s_waitcnt vmcnt(1) lgkmcnt(0)
	v_mul_f64 v[12:13], v[2:3], v[20:21]
	v_mul_f64 v[20:21], v[4:5], v[20:21]
	v_add_f64 v[6:7], v[6:7], v[10:11]
	v_add_f64 v[8:9], v[8:9], v[36:37]
	s_delay_alu instid0(VALU_DEP_4) | instskip(NEXT) | instid1(VALU_DEP_4)
	v_fma_f64 v[4:5], v[4:5], v[18:19], v[12:13]
	v_fma_f64 v[2:3], v[2:3], v[18:19], -v[20:21]
	s_delay_alu instid0(VALU_DEP_4) | instskip(NEXT) | instid1(VALU_DEP_4)
	v_add_f64 v[6:7], v[6:7], v[14:15]
	v_add_f64 v[8:9], v[8:9], v[28:29]
	s_delay_alu instid0(VALU_DEP_2) | instskip(NEXT) | instid1(VALU_DEP_2)
	v_add_f64 v[2:3], v[6:7], v[2:3]
	v_add_f64 v[4:5], v[8:9], v[4:5]
	s_waitcnt vmcnt(0)
	s_delay_alu instid0(VALU_DEP_2) | instskip(NEXT) | instid1(VALU_DEP_2)
	v_add_f64 v[2:3], v[22:23], -v[2:3]
	v_add_f64 v[4:5], v[24:25], -v[4:5]
	scratch_store_b128 off, v[2:5], off offset:880
	v_cmpx_lt_u32_e32 54, v171
	s_cbranch_execz .LBB60_283
; %bb.282:
	scratch_load_b128 v[5:8], v204, off
	v_mov_b32_e32 v2, v1
	v_mov_b32_e32 v3, v1
	;; [unrolled: 1-line block ×3, first 2 shown]
	scratch_store_b128 off, v[1:4], off offset:864
	s_waitcnt vmcnt(0)
	ds_store_b128 v229, v[5:8]
.LBB60_283:
	s_or_b32 exec_lo, exec_lo, s2
	s_waitcnt lgkmcnt(0)
	s_waitcnt_vscnt null, 0x0
	s_barrier
	buffer_gl0_inv
	s_clause 0x5
	scratch_load_b128 v[2:5], off, off offset:880
	scratch_load_b128 v[6:9], off, off offset:896
	;; [unrolled: 1-line block ×6, first 2 shown]
	ds_load_b128 v[26:29], v1 offset:1856
	ds_load_b128 v[34:37], v1 offset:1872
	scratch_load_b128 v[30:33], off, off offset:864
	s_mov_b32 s2, exec_lo
	s_waitcnt vmcnt(6) lgkmcnt(1)
	v_mul_f64 v[38:39], v[28:29], v[4:5]
	v_mul_f64 v[4:5], v[26:27], v[4:5]
	s_waitcnt vmcnt(5) lgkmcnt(0)
	v_mul_f64 v[40:41], v[34:35], v[8:9]
	v_mul_f64 v[8:9], v[36:37], v[8:9]
	s_delay_alu instid0(VALU_DEP_4) | instskip(NEXT) | instid1(VALU_DEP_4)
	v_fma_f64 v[38:39], v[26:27], v[2:3], -v[38:39]
	v_fma_f64 v[42:43], v[28:29], v[2:3], v[4:5]
	ds_load_b128 v[2:5], v1 offset:1888
	ds_load_b128 v[26:29], v1 offset:1904
	v_fma_f64 v[36:37], v[36:37], v[6:7], v[40:41]
	v_fma_f64 v[6:7], v[34:35], v[6:7], -v[8:9]
	s_waitcnt vmcnt(4) lgkmcnt(1)
	v_mul_f64 v[44:45], v[2:3], v[12:13]
	v_mul_f64 v[12:13], v[4:5], v[12:13]
	v_add_f64 v[8:9], v[38:39], 0
	v_add_f64 v[34:35], v[42:43], 0
	s_waitcnt vmcnt(3) lgkmcnt(0)
	v_mul_f64 v[38:39], v[26:27], v[16:17]
	v_mul_f64 v[16:17], v[28:29], v[16:17]
	v_fma_f64 v[40:41], v[4:5], v[10:11], v[44:45]
	v_fma_f64 v[10:11], v[2:3], v[10:11], -v[12:13]
	v_add_f64 v[12:13], v[8:9], v[6:7]
	v_add_f64 v[34:35], v[34:35], v[36:37]
	ds_load_b128 v[2:5], v1 offset:1920
	ds_load_b128 v[6:9], v1 offset:1936
	v_fma_f64 v[28:29], v[28:29], v[14:15], v[38:39]
	v_fma_f64 v[14:15], v[26:27], v[14:15], -v[16:17]
	s_waitcnt vmcnt(2) lgkmcnt(1)
	v_mul_f64 v[36:37], v[2:3], v[20:21]
	v_mul_f64 v[20:21], v[4:5], v[20:21]
	s_waitcnt vmcnt(1) lgkmcnt(0)
	v_mul_f64 v[16:17], v[6:7], v[24:25]
	v_mul_f64 v[24:25], v[8:9], v[24:25]
	v_add_f64 v[10:11], v[12:13], v[10:11]
	v_add_f64 v[12:13], v[34:35], v[40:41]
	v_fma_f64 v[4:5], v[4:5], v[18:19], v[36:37]
	v_fma_f64 v[1:2], v[2:3], v[18:19], -v[20:21]
	v_fma_f64 v[8:9], v[8:9], v[22:23], v[16:17]
	v_fma_f64 v[6:7], v[6:7], v[22:23], -v[24:25]
	v_add_f64 v[10:11], v[10:11], v[14:15]
	v_add_f64 v[12:13], v[12:13], v[28:29]
	s_delay_alu instid0(VALU_DEP_2) | instskip(NEXT) | instid1(VALU_DEP_2)
	v_add_f64 v[1:2], v[10:11], v[1:2]
	v_add_f64 v[3:4], v[12:13], v[4:5]
	s_delay_alu instid0(VALU_DEP_2) | instskip(NEXT) | instid1(VALU_DEP_2)
	v_add_f64 v[1:2], v[1:2], v[6:7]
	v_add_f64 v[3:4], v[3:4], v[8:9]
	s_waitcnt vmcnt(0)
	s_delay_alu instid0(VALU_DEP_2) | instskip(NEXT) | instid1(VALU_DEP_2)
	v_add_f64 v[1:2], v[30:31], -v[1:2]
	v_add_f64 v[3:4], v[32:33], -v[3:4]
	scratch_store_b128 off, v[1:4], off offset:864
	v_cmpx_lt_u32_e32 53, v171
	s_cbranch_execz .LBB60_285
; %bb.284:
	scratch_load_b128 v[1:4], v210, off
	v_mov_b32_e32 v5, 0
	s_delay_alu instid0(VALU_DEP_1)
	v_mov_b32_e32 v6, v5
	v_mov_b32_e32 v7, v5
	;; [unrolled: 1-line block ×3, first 2 shown]
	scratch_store_b128 off, v[5:8], off offset:848
	s_waitcnt vmcnt(0)
	ds_store_b128 v229, v[1:4]
.LBB60_285:
	s_or_b32 exec_lo, exec_lo, s2
	s_waitcnt lgkmcnt(0)
	s_waitcnt_vscnt null, 0x0
	s_barrier
	buffer_gl0_inv
	s_clause 0x6
	scratch_load_b128 v[2:5], off, off offset:864
	scratch_load_b128 v[6:9], off, off offset:880
	;; [unrolled: 1-line block ×7, first 2 shown]
	v_mov_b32_e32 v1, 0
	scratch_load_b128 v[34:37], off, off offset:848
	s_mov_b32 s2, exec_lo
	ds_load_b128 v[30:33], v1 offset:1840
	ds_load_b128 v[38:41], v1 offset:1856
	s_waitcnt vmcnt(7) lgkmcnt(1)
	v_mul_f64 v[42:43], v[32:33], v[4:5]
	v_mul_f64 v[4:5], v[30:31], v[4:5]
	s_waitcnt vmcnt(6) lgkmcnt(0)
	v_mul_f64 v[44:45], v[38:39], v[8:9]
	v_mul_f64 v[8:9], v[40:41], v[8:9]
	s_delay_alu instid0(VALU_DEP_4) | instskip(NEXT) | instid1(VALU_DEP_4)
	v_fma_f64 v[42:43], v[30:31], v[2:3], -v[42:43]
	v_fma_f64 v[46:47], v[32:33], v[2:3], v[4:5]
	ds_load_b128 v[2:5], v1 offset:1872
	ds_load_b128 v[30:33], v1 offset:1888
	v_fma_f64 v[40:41], v[40:41], v[6:7], v[44:45]
	v_fma_f64 v[6:7], v[38:39], v[6:7], -v[8:9]
	s_waitcnt vmcnt(5) lgkmcnt(1)
	v_mul_f64 v[55:56], v[2:3], v[12:13]
	v_mul_f64 v[12:13], v[4:5], v[12:13]
	v_add_f64 v[8:9], v[42:43], 0
	v_add_f64 v[38:39], v[46:47], 0
	s_waitcnt vmcnt(4) lgkmcnt(0)
	v_mul_f64 v[42:43], v[30:31], v[16:17]
	v_mul_f64 v[16:17], v[32:33], v[16:17]
	v_fma_f64 v[44:45], v[4:5], v[10:11], v[55:56]
	v_fma_f64 v[10:11], v[2:3], v[10:11], -v[12:13]
	v_add_f64 v[12:13], v[8:9], v[6:7]
	v_add_f64 v[38:39], v[38:39], v[40:41]
	ds_load_b128 v[2:5], v1 offset:1904
	ds_load_b128 v[6:9], v1 offset:1920
	v_fma_f64 v[32:33], v[32:33], v[14:15], v[42:43]
	v_fma_f64 v[14:15], v[30:31], v[14:15], -v[16:17]
	s_waitcnt vmcnt(3) lgkmcnt(1)
	v_mul_f64 v[40:41], v[2:3], v[20:21]
	v_mul_f64 v[20:21], v[4:5], v[20:21]
	s_waitcnt vmcnt(2) lgkmcnt(0)
	v_mul_f64 v[16:17], v[6:7], v[24:25]
	v_mul_f64 v[24:25], v[8:9], v[24:25]
	v_add_f64 v[10:11], v[12:13], v[10:11]
	v_add_f64 v[12:13], v[38:39], v[44:45]
	v_fma_f64 v[30:31], v[4:5], v[18:19], v[40:41]
	v_fma_f64 v[18:19], v[2:3], v[18:19], -v[20:21]
	ds_load_b128 v[2:5], v1 offset:1936
	v_fma_f64 v[8:9], v[8:9], v[22:23], v[16:17]
	v_fma_f64 v[6:7], v[6:7], v[22:23], -v[24:25]
	v_add_f64 v[10:11], v[10:11], v[14:15]
	v_add_f64 v[12:13], v[12:13], v[32:33]
	s_waitcnt vmcnt(1) lgkmcnt(0)
	v_mul_f64 v[14:15], v[2:3], v[28:29]
	v_mul_f64 v[20:21], v[4:5], v[28:29]
	s_delay_alu instid0(VALU_DEP_4) | instskip(NEXT) | instid1(VALU_DEP_4)
	v_add_f64 v[10:11], v[10:11], v[18:19]
	v_add_f64 v[12:13], v[12:13], v[30:31]
	s_delay_alu instid0(VALU_DEP_4) | instskip(NEXT) | instid1(VALU_DEP_4)
	v_fma_f64 v[4:5], v[4:5], v[26:27], v[14:15]
	v_fma_f64 v[2:3], v[2:3], v[26:27], -v[20:21]
	s_delay_alu instid0(VALU_DEP_4) | instskip(NEXT) | instid1(VALU_DEP_4)
	v_add_f64 v[6:7], v[10:11], v[6:7]
	v_add_f64 v[8:9], v[12:13], v[8:9]
	s_delay_alu instid0(VALU_DEP_2) | instskip(NEXT) | instid1(VALU_DEP_2)
	v_add_f64 v[2:3], v[6:7], v[2:3]
	v_add_f64 v[4:5], v[8:9], v[4:5]
	s_waitcnt vmcnt(0)
	s_delay_alu instid0(VALU_DEP_2) | instskip(NEXT) | instid1(VALU_DEP_2)
	v_add_f64 v[2:3], v[34:35], -v[2:3]
	v_add_f64 v[4:5], v[36:37], -v[4:5]
	scratch_store_b128 off, v[2:5], off offset:848
	v_cmpx_lt_u32_e32 52, v171
	s_cbranch_execz .LBB60_287
; %bb.286:
	scratch_load_b128 v[5:8], v215, off
	v_mov_b32_e32 v2, v1
	v_mov_b32_e32 v3, v1
	v_mov_b32_e32 v4, v1
	scratch_store_b128 off, v[1:4], off offset:832
	s_waitcnt vmcnt(0)
	ds_store_b128 v229, v[5:8]
.LBB60_287:
	s_or_b32 exec_lo, exec_lo, s2
	s_waitcnt lgkmcnt(0)
	s_waitcnt_vscnt null, 0x0
	s_barrier
	buffer_gl0_inv
	s_clause 0x7
	scratch_load_b128 v[2:5], off, off offset:848
	scratch_load_b128 v[6:9], off, off offset:864
	;; [unrolled: 1-line block ×8, first 2 shown]
	ds_load_b128 v[34:37], v1 offset:1824
	ds_load_b128 v[38:41], v1 offset:1840
	scratch_load_b128 v[42:45], off, off offset:832
	s_mov_b32 s2, exec_lo
	s_waitcnt vmcnt(8) lgkmcnt(1)
	v_mul_f64 v[46:47], v[36:37], v[4:5]
	v_mul_f64 v[4:5], v[34:35], v[4:5]
	s_waitcnt vmcnt(7) lgkmcnt(0)
	v_mul_f64 v[55:56], v[38:39], v[8:9]
	v_mul_f64 v[8:9], v[40:41], v[8:9]
	s_delay_alu instid0(VALU_DEP_4) | instskip(NEXT) | instid1(VALU_DEP_4)
	v_fma_f64 v[46:47], v[34:35], v[2:3], -v[46:47]
	v_fma_f64 v[57:58], v[36:37], v[2:3], v[4:5]
	ds_load_b128 v[2:5], v1 offset:1856
	ds_load_b128 v[34:37], v1 offset:1872
	v_fma_f64 v[40:41], v[40:41], v[6:7], v[55:56]
	v_fma_f64 v[6:7], v[38:39], v[6:7], -v[8:9]
	s_waitcnt vmcnt(6) lgkmcnt(1)
	v_mul_f64 v[59:60], v[2:3], v[12:13]
	v_mul_f64 v[12:13], v[4:5], v[12:13]
	v_add_f64 v[8:9], v[46:47], 0
	v_add_f64 v[38:39], v[57:58], 0
	s_waitcnt vmcnt(5) lgkmcnt(0)
	v_mul_f64 v[46:47], v[34:35], v[16:17]
	v_mul_f64 v[16:17], v[36:37], v[16:17]
	v_fma_f64 v[55:56], v[4:5], v[10:11], v[59:60]
	v_fma_f64 v[10:11], v[2:3], v[10:11], -v[12:13]
	v_add_f64 v[12:13], v[8:9], v[6:7]
	v_add_f64 v[38:39], v[38:39], v[40:41]
	ds_load_b128 v[2:5], v1 offset:1888
	ds_load_b128 v[6:9], v1 offset:1904
	v_fma_f64 v[36:37], v[36:37], v[14:15], v[46:47]
	v_fma_f64 v[14:15], v[34:35], v[14:15], -v[16:17]
	s_waitcnt vmcnt(4) lgkmcnt(1)
	v_mul_f64 v[40:41], v[2:3], v[20:21]
	v_mul_f64 v[20:21], v[4:5], v[20:21]
	s_waitcnt vmcnt(3) lgkmcnt(0)
	v_mul_f64 v[16:17], v[6:7], v[24:25]
	v_mul_f64 v[24:25], v[8:9], v[24:25]
	v_add_f64 v[10:11], v[12:13], v[10:11]
	v_add_f64 v[12:13], v[38:39], v[55:56]
	v_fma_f64 v[34:35], v[4:5], v[18:19], v[40:41]
	v_fma_f64 v[18:19], v[2:3], v[18:19], -v[20:21]
	v_fma_f64 v[8:9], v[8:9], v[22:23], v[16:17]
	v_fma_f64 v[6:7], v[6:7], v[22:23], -v[24:25]
	v_add_f64 v[14:15], v[10:11], v[14:15]
	v_add_f64 v[20:21], v[12:13], v[36:37]
	ds_load_b128 v[2:5], v1 offset:1920
	ds_load_b128 v[10:13], v1 offset:1936
	s_waitcnt vmcnt(2) lgkmcnt(1)
	v_mul_f64 v[36:37], v[2:3], v[28:29]
	v_mul_f64 v[28:29], v[4:5], v[28:29]
	v_add_f64 v[14:15], v[14:15], v[18:19]
	v_add_f64 v[16:17], v[20:21], v[34:35]
	s_waitcnt vmcnt(1) lgkmcnt(0)
	v_mul_f64 v[18:19], v[10:11], v[32:33]
	v_mul_f64 v[20:21], v[12:13], v[32:33]
	v_fma_f64 v[4:5], v[4:5], v[26:27], v[36:37]
	v_fma_f64 v[1:2], v[2:3], v[26:27], -v[28:29]
	v_add_f64 v[6:7], v[14:15], v[6:7]
	v_add_f64 v[8:9], v[16:17], v[8:9]
	v_fma_f64 v[12:13], v[12:13], v[30:31], v[18:19]
	v_fma_f64 v[10:11], v[10:11], v[30:31], -v[20:21]
	s_delay_alu instid0(VALU_DEP_4) | instskip(NEXT) | instid1(VALU_DEP_4)
	v_add_f64 v[1:2], v[6:7], v[1:2]
	v_add_f64 v[3:4], v[8:9], v[4:5]
	s_delay_alu instid0(VALU_DEP_2) | instskip(NEXT) | instid1(VALU_DEP_2)
	v_add_f64 v[1:2], v[1:2], v[10:11]
	v_add_f64 v[3:4], v[3:4], v[12:13]
	s_waitcnt vmcnt(0)
	s_delay_alu instid0(VALU_DEP_2) | instskip(NEXT) | instid1(VALU_DEP_2)
	v_add_f64 v[1:2], v[42:43], -v[1:2]
	v_add_f64 v[3:4], v[44:45], -v[3:4]
	scratch_store_b128 off, v[1:4], off offset:832
	v_cmpx_lt_u32_e32 51, v171
	s_cbranch_execz .LBB60_289
; %bb.288:
	scratch_load_b128 v[1:4], v216, off
	v_mov_b32_e32 v5, 0
	s_delay_alu instid0(VALU_DEP_1)
	v_mov_b32_e32 v6, v5
	v_mov_b32_e32 v7, v5
	;; [unrolled: 1-line block ×3, first 2 shown]
	scratch_store_b128 off, v[5:8], off offset:816
	s_waitcnt vmcnt(0)
	ds_store_b128 v229, v[1:4]
.LBB60_289:
	s_or_b32 exec_lo, exec_lo, s2
	s_waitcnt lgkmcnt(0)
	s_waitcnt_vscnt null, 0x0
	s_barrier
	buffer_gl0_inv
	s_clause 0x7
	scratch_load_b128 v[2:5], off, off offset:832
	scratch_load_b128 v[6:9], off, off offset:848
	;; [unrolled: 1-line block ×8, first 2 shown]
	v_mov_b32_e32 v1, 0
	scratch_load_b128 v[38:41], off, off offset:960
	s_mov_b32 s2, exec_lo
	ds_load_b128 v[34:37], v1 offset:1808
	ds_load_b128 v[42:45], v1 offset:1824
	s_waitcnt vmcnt(8) lgkmcnt(1)
	v_mul_f64 v[46:47], v[36:37], v[4:5]
	v_mul_f64 v[4:5], v[34:35], v[4:5]
	s_waitcnt vmcnt(7) lgkmcnt(0)
	v_mul_f64 v[55:56], v[42:43], v[8:9]
	v_mul_f64 v[8:9], v[44:45], v[8:9]
	s_delay_alu instid0(VALU_DEP_4) | instskip(NEXT) | instid1(VALU_DEP_4)
	v_fma_f64 v[34:35], v[34:35], v[2:3], -v[46:47]
	v_fma_f64 v[36:37], v[36:37], v[2:3], v[4:5]
	ds_load_b128 v[2:5], v1 offset:1840
	v_fma_f64 v[44:45], v[44:45], v[6:7], v[55:56]
	v_fma_f64 v[42:43], v[42:43], v[6:7], -v[8:9]
	ds_load_b128 v[6:9], v1 offset:1856
	s_waitcnt vmcnt(6) lgkmcnt(1)
	v_mul_f64 v[46:47], v[2:3], v[12:13]
	v_mul_f64 v[12:13], v[4:5], v[12:13]
	s_waitcnt vmcnt(5) lgkmcnt(0)
	v_mul_f64 v[59:60], v[6:7], v[16:17]
	v_mul_f64 v[16:17], v[8:9], v[16:17]
	v_add_f64 v[55:56], v[34:35], 0
	v_add_f64 v[57:58], v[36:37], 0
	scratch_load_b128 v[34:37], off, off offset:816
	v_fma_f64 v[46:47], v[4:5], v[10:11], v[46:47]
	v_fma_f64 v[10:11], v[2:3], v[10:11], -v[12:13]
	ds_load_b128 v[2:5], v1 offset:1872
	v_add_f64 v[12:13], v[55:56], v[42:43]
	v_add_f64 v[42:43], v[57:58], v[44:45]
	v_fma_f64 v[55:56], v[8:9], v[14:15], v[59:60]
	v_fma_f64 v[14:15], v[6:7], v[14:15], -v[16:17]
	ds_load_b128 v[6:9], v1 offset:1888
	s_waitcnt vmcnt(5) lgkmcnt(1)
	v_mul_f64 v[44:45], v[2:3], v[20:21]
	v_mul_f64 v[20:21], v[4:5], v[20:21]
	s_waitcnt vmcnt(4) lgkmcnt(0)
	v_mul_f64 v[16:17], v[6:7], v[24:25]
	v_mul_f64 v[24:25], v[8:9], v[24:25]
	v_add_f64 v[10:11], v[12:13], v[10:11]
	v_add_f64 v[12:13], v[42:43], v[46:47]
	v_fma_f64 v[42:43], v[4:5], v[18:19], v[44:45]
	v_fma_f64 v[18:19], v[2:3], v[18:19], -v[20:21]
	ds_load_b128 v[2:5], v1 offset:1904
	v_fma_f64 v[16:17], v[8:9], v[22:23], v[16:17]
	v_fma_f64 v[22:23], v[6:7], v[22:23], -v[24:25]
	ds_load_b128 v[6:9], v1 offset:1920
	s_waitcnt vmcnt(3) lgkmcnt(1)
	v_mul_f64 v[20:21], v[4:5], v[28:29]
	v_add_f64 v[10:11], v[10:11], v[14:15]
	v_add_f64 v[12:13], v[12:13], v[55:56]
	v_mul_f64 v[14:15], v[2:3], v[28:29]
	s_waitcnt vmcnt(2) lgkmcnt(0)
	v_mul_f64 v[24:25], v[8:9], v[32:33]
	v_fma_f64 v[20:21], v[2:3], v[26:27], -v[20:21]
	v_add_f64 v[10:11], v[10:11], v[18:19]
	v_add_f64 v[12:13], v[12:13], v[42:43]
	v_mul_f64 v[18:19], v[6:7], v[32:33]
	v_fma_f64 v[14:15], v[4:5], v[26:27], v[14:15]
	ds_load_b128 v[2:5], v1 offset:1936
	v_fma_f64 v[6:7], v[6:7], v[30:31], -v[24:25]
	v_add_f64 v[10:11], v[10:11], v[22:23]
	v_add_f64 v[12:13], v[12:13], v[16:17]
	s_waitcnt vmcnt(1) lgkmcnt(0)
	v_mul_f64 v[16:17], v[2:3], v[40:41]
	v_mul_f64 v[22:23], v[4:5], v[40:41]
	v_fma_f64 v[8:9], v[8:9], v[30:31], v[18:19]
	v_add_f64 v[10:11], v[10:11], v[20:21]
	v_add_f64 v[12:13], v[12:13], v[14:15]
	v_fma_f64 v[4:5], v[4:5], v[38:39], v[16:17]
	v_fma_f64 v[2:3], v[2:3], v[38:39], -v[22:23]
	s_delay_alu instid0(VALU_DEP_4) | instskip(NEXT) | instid1(VALU_DEP_4)
	v_add_f64 v[6:7], v[10:11], v[6:7]
	v_add_f64 v[8:9], v[12:13], v[8:9]
	s_delay_alu instid0(VALU_DEP_2) | instskip(NEXT) | instid1(VALU_DEP_2)
	v_add_f64 v[2:3], v[6:7], v[2:3]
	v_add_f64 v[4:5], v[8:9], v[4:5]
	s_waitcnt vmcnt(0)
	s_delay_alu instid0(VALU_DEP_2) | instskip(NEXT) | instid1(VALU_DEP_2)
	v_add_f64 v[2:3], v[34:35], -v[2:3]
	v_add_f64 v[4:5], v[36:37], -v[4:5]
	scratch_store_b128 off, v[2:5], off offset:816
	v_cmpx_lt_u32_e32 50, v171
	s_cbranch_execz .LBB60_291
; %bb.290:
	scratch_load_b128 v[5:8], v221, off
	v_mov_b32_e32 v2, v1
	v_mov_b32_e32 v3, v1
	;; [unrolled: 1-line block ×3, first 2 shown]
	scratch_store_b128 off, v[1:4], off offset:800
	s_waitcnt vmcnt(0)
	ds_store_b128 v229, v[5:8]
.LBB60_291:
	s_or_b32 exec_lo, exec_lo, s2
	s_waitcnt lgkmcnt(0)
	s_waitcnt_vscnt null, 0x0
	s_barrier
	buffer_gl0_inv
	s_clause 0x7
	scratch_load_b128 v[2:5], off, off offset:816
	scratch_load_b128 v[6:9], off, off offset:832
	;; [unrolled: 1-line block ×8, first 2 shown]
	ds_load_b128 v[34:37], v1 offset:1792
	ds_load_b128 v[42:45], v1 offset:1808
	s_clause 0x1
	scratch_load_b128 v[38:41], off, off offset:944
	scratch_load_b128 v[55:58], off, off offset:960
	s_mov_b32 s2, exec_lo
	s_waitcnt vmcnt(9) lgkmcnt(1)
	v_mul_f64 v[46:47], v[36:37], v[4:5]
	v_mul_f64 v[4:5], v[34:35], v[4:5]
	s_waitcnt vmcnt(8) lgkmcnt(0)
	v_mul_f64 v[59:60], v[42:43], v[8:9]
	v_mul_f64 v[8:9], v[44:45], v[8:9]
	s_delay_alu instid0(VALU_DEP_4) | instskip(NEXT) | instid1(VALU_DEP_4)
	v_fma_f64 v[34:35], v[34:35], v[2:3], -v[46:47]
	v_fma_f64 v[36:37], v[36:37], v[2:3], v[4:5]
	ds_load_b128 v[2:5], v1 offset:1824
	v_fma_f64 v[44:45], v[44:45], v[6:7], v[59:60]
	v_fma_f64 v[42:43], v[42:43], v[6:7], -v[8:9]
	ds_load_b128 v[6:9], v1 offset:1840
	s_waitcnt vmcnt(7) lgkmcnt(1)
	v_mul_f64 v[46:47], v[2:3], v[12:13]
	v_mul_f64 v[12:13], v[4:5], v[12:13]
	s_waitcnt vmcnt(6) lgkmcnt(0)
	v_mul_f64 v[59:60], v[6:7], v[16:17]
	v_mul_f64 v[16:17], v[8:9], v[16:17]
	v_add_f64 v[34:35], v[34:35], 0
	v_add_f64 v[36:37], v[36:37], 0
	v_fma_f64 v[46:47], v[4:5], v[10:11], v[46:47]
	v_fma_f64 v[61:62], v[2:3], v[10:11], -v[12:13]
	ds_load_b128 v[2:5], v1 offset:1856
	scratch_load_b128 v[10:13], off, off offset:800
	v_add_f64 v[34:35], v[34:35], v[42:43]
	v_add_f64 v[36:37], v[36:37], v[44:45]
	v_fma_f64 v[44:45], v[8:9], v[14:15], v[59:60]
	v_fma_f64 v[14:15], v[6:7], v[14:15], -v[16:17]
	ds_load_b128 v[6:9], v1 offset:1872
	s_waitcnt vmcnt(6) lgkmcnt(1)
	v_mul_f64 v[42:43], v[2:3], v[20:21]
	v_mul_f64 v[20:21], v[4:5], v[20:21]
	v_add_f64 v[16:17], v[34:35], v[61:62]
	v_add_f64 v[34:35], v[36:37], v[46:47]
	s_waitcnt vmcnt(5) lgkmcnt(0)
	v_mul_f64 v[36:37], v[6:7], v[24:25]
	v_mul_f64 v[24:25], v[8:9], v[24:25]
	v_fma_f64 v[42:43], v[4:5], v[18:19], v[42:43]
	v_fma_f64 v[18:19], v[2:3], v[18:19], -v[20:21]
	ds_load_b128 v[2:5], v1 offset:1888
	v_add_f64 v[14:15], v[16:17], v[14:15]
	v_add_f64 v[16:17], v[34:35], v[44:45]
	v_fma_f64 v[34:35], v[8:9], v[22:23], v[36:37]
	v_fma_f64 v[22:23], v[6:7], v[22:23], -v[24:25]
	ds_load_b128 v[6:9], v1 offset:1904
	s_waitcnt vmcnt(4) lgkmcnt(1)
	v_mul_f64 v[20:21], v[2:3], v[28:29]
	v_mul_f64 v[28:29], v[4:5], v[28:29]
	s_waitcnt vmcnt(3) lgkmcnt(0)
	v_mul_f64 v[24:25], v[8:9], v[32:33]
	v_add_f64 v[14:15], v[14:15], v[18:19]
	v_add_f64 v[16:17], v[16:17], v[42:43]
	v_mul_f64 v[18:19], v[6:7], v[32:33]
	v_fma_f64 v[20:21], v[4:5], v[26:27], v[20:21]
	v_fma_f64 v[26:27], v[2:3], v[26:27], -v[28:29]
	ds_load_b128 v[2:5], v1 offset:1920
	v_fma_f64 v[24:25], v[6:7], v[30:31], -v[24:25]
	v_add_f64 v[14:15], v[14:15], v[22:23]
	v_add_f64 v[16:17], v[16:17], v[34:35]
	v_fma_f64 v[18:19], v[8:9], v[30:31], v[18:19]
	ds_load_b128 v[6:9], v1 offset:1936
	s_waitcnt vmcnt(2) lgkmcnt(1)
	v_mul_f64 v[22:23], v[2:3], v[40:41]
	v_mul_f64 v[28:29], v[4:5], v[40:41]
	v_add_f64 v[14:15], v[14:15], v[26:27]
	v_add_f64 v[16:17], v[16:17], v[20:21]
	s_waitcnt vmcnt(1) lgkmcnt(0)
	v_mul_f64 v[20:21], v[6:7], v[57:58]
	v_mul_f64 v[26:27], v[8:9], v[57:58]
	v_fma_f64 v[4:5], v[4:5], v[38:39], v[22:23]
	v_fma_f64 v[1:2], v[2:3], v[38:39], -v[28:29]
	v_add_f64 v[14:15], v[14:15], v[24:25]
	v_add_f64 v[16:17], v[16:17], v[18:19]
	v_fma_f64 v[8:9], v[8:9], v[55:56], v[20:21]
	v_fma_f64 v[6:7], v[6:7], v[55:56], -v[26:27]
	s_delay_alu instid0(VALU_DEP_4) | instskip(NEXT) | instid1(VALU_DEP_4)
	v_add_f64 v[1:2], v[14:15], v[1:2]
	v_add_f64 v[3:4], v[16:17], v[4:5]
	s_delay_alu instid0(VALU_DEP_2) | instskip(NEXT) | instid1(VALU_DEP_2)
	v_add_f64 v[1:2], v[1:2], v[6:7]
	v_add_f64 v[3:4], v[3:4], v[8:9]
	s_waitcnt vmcnt(0)
	s_delay_alu instid0(VALU_DEP_2) | instskip(NEXT) | instid1(VALU_DEP_2)
	v_add_f64 v[1:2], v[10:11], -v[1:2]
	v_add_f64 v[3:4], v[12:13], -v[3:4]
	scratch_store_b128 off, v[1:4], off offset:800
	v_cmpx_lt_u32_e32 49, v171
	s_cbranch_execz .LBB60_293
; %bb.292:
	scratch_load_b128 v[1:4], v222, off
	v_mov_b32_e32 v5, 0
	s_delay_alu instid0(VALU_DEP_1)
	v_mov_b32_e32 v6, v5
	v_mov_b32_e32 v7, v5
	;; [unrolled: 1-line block ×3, first 2 shown]
	scratch_store_b128 off, v[5:8], off offset:784
	s_waitcnt vmcnt(0)
	ds_store_b128 v229, v[1:4]
.LBB60_293:
	s_or_b32 exec_lo, exec_lo, s2
	s_waitcnt lgkmcnt(0)
	s_waitcnt_vscnt null, 0x0
	s_barrier
	buffer_gl0_inv
	s_clause 0x7
	scratch_load_b128 v[2:5], off, off offset:800
	scratch_load_b128 v[6:9], off, off offset:816
	;; [unrolled: 1-line block ×8, first 2 shown]
	v_mov_b32_e32 v1, 0
	s_clause 0x1
	scratch_load_b128 v[38:41], off, off offset:928
	scratch_load_b128 v[55:58], off, off offset:944
	s_mov_b32 s2, exec_lo
	ds_load_b128 v[34:37], v1 offset:1776
	ds_load_b128 v[42:45], v1 offset:1792
	s_waitcnt vmcnt(9) lgkmcnt(1)
	v_mul_f64 v[46:47], v[36:37], v[4:5]
	v_mul_f64 v[4:5], v[34:35], v[4:5]
	s_waitcnt vmcnt(8) lgkmcnt(0)
	v_mul_f64 v[59:60], v[42:43], v[8:9]
	v_mul_f64 v[8:9], v[44:45], v[8:9]
	s_delay_alu instid0(VALU_DEP_4) | instskip(NEXT) | instid1(VALU_DEP_4)
	v_fma_f64 v[46:47], v[34:35], v[2:3], -v[46:47]
	v_fma_f64 v[61:62], v[36:37], v[2:3], v[4:5]
	ds_load_b128 v[2:5], v1 offset:1808
	scratch_load_b128 v[34:37], off, off offset:960
	v_fma_f64 v[44:45], v[44:45], v[6:7], v[59:60]
	v_fma_f64 v[42:43], v[42:43], v[6:7], -v[8:9]
	ds_load_b128 v[6:9], v1 offset:1824
	s_waitcnt vmcnt(8) lgkmcnt(1)
	v_mul_f64 v[63:64], v[2:3], v[12:13]
	v_mul_f64 v[12:13], v[4:5], v[12:13]
	v_add_f64 v[46:47], v[46:47], 0
	v_add_f64 v[59:60], v[61:62], 0
	s_waitcnt vmcnt(7) lgkmcnt(0)
	v_mul_f64 v[61:62], v[6:7], v[16:17]
	v_mul_f64 v[16:17], v[8:9], v[16:17]
	v_fma_f64 v[63:64], v[4:5], v[10:11], v[63:64]
	v_fma_f64 v[10:11], v[2:3], v[10:11], -v[12:13]
	ds_load_b128 v[2:5], v1 offset:1840
	v_add_f64 v[12:13], v[46:47], v[42:43]
	v_add_f64 v[42:43], v[59:60], v[44:45]
	v_fma_f64 v[46:47], v[8:9], v[14:15], v[61:62]
	v_fma_f64 v[14:15], v[6:7], v[14:15], -v[16:17]
	ds_load_b128 v[6:9], v1 offset:1856
	s_waitcnt vmcnt(6) lgkmcnt(1)
	v_mul_f64 v[44:45], v[2:3], v[20:21]
	v_mul_f64 v[20:21], v[4:5], v[20:21]
	s_waitcnt vmcnt(5) lgkmcnt(0)
	v_mul_f64 v[59:60], v[6:7], v[24:25]
	v_mul_f64 v[24:25], v[8:9], v[24:25]
	v_add_f64 v[16:17], v[12:13], v[10:11]
	v_add_f64 v[42:43], v[42:43], v[63:64]
	scratch_load_b128 v[10:13], off, off offset:784
	v_fma_f64 v[44:45], v[4:5], v[18:19], v[44:45]
	v_fma_f64 v[18:19], v[2:3], v[18:19], -v[20:21]
	ds_load_b128 v[2:5], v1 offset:1872
	v_add_f64 v[14:15], v[16:17], v[14:15]
	v_add_f64 v[16:17], v[42:43], v[46:47]
	v_fma_f64 v[42:43], v[8:9], v[22:23], v[59:60]
	v_fma_f64 v[22:23], v[6:7], v[22:23], -v[24:25]
	ds_load_b128 v[6:9], v1 offset:1888
	s_waitcnt vmcnt(5) lgkmcnt(1)
	v_mul_f64 v[20:21], v[2:3], v[28:29]
	v_mul_f64 v[28:29], v[4:5], v[28:29]
	s_waitcnt vmcnt(4) lgkmcnt(0)
	v_mul_f64 v[24:25], v[8:9], v[32:33]
	v_add_f64 v[14:15], v[14:15], v[18:19]
	v_add_f64 v[16:17], v[16:17], v[44:45]
	v_mul_f64 v[18:19], v[6:7], v[32:33]
	v_fma_f64 v[20:21], v[4:5], v[26:27], v[20:21]
	v_fma_f64 v[26:27], v[2:3], v[26:27], -v[28:29]
	ds_load_b128 v[2:5], v1 offset:1904
	v_fma_f64 v[24:25], v[6:7], v[30:31], -v[24:25]
	v_add_f64 v[14:15], v[14:15], v[22:23]
	v_add_f64 v[16:17], v[16:17], v[42:43]
	v_fma_f64 v[18:19], v[8:9], v[30:31], v[18:19]
	ds_load_b128 v[6:9], v1 offset:1920
	s_waitcnt vmcnt(3) lgkmcnt(1)
	v_mul_f64 v[22:23], v[2:3], v[40:41]
	v_mul_f64 v[28:29], v[4:5], v[40:41]
	v_add_f64 v[14:15], v[14:15], v[26:27]
	v_add_f64 v[16:17], v[16:17], v[20:21]
	s_waitcnt vmcnt(2) lgkmcnt(0)
	v_mul_f64 v[20:21], v[6:7], v[57:58]
	v_mul_f64 v[26:27], v[8:9], v[57:58]
	v_fma_f64 v[22:23], v[4:5], v[38:39], v[22:23]
	v_fma_f64 v[28:29], v[2:3], v[38:39], -v[28:29]
	ds_load_b128 v[2:5], v1 offset:1936
	v_add_f64 v[14:15], v[14:15], v[24:25]
	v_add_f64 v[16:17], v[16:17], v[18:19]
	v_fma_f64 v[8:9], v[8:9], v[55:56], v[20:21]
	v_fma_f64 v[6:7], v[6:7], v[55:56], -v[26:27]
	s_waitcnt vmcnt(1) lgkmcnt(0)
	v_mul_f64 v[18:19], v[2:3], v[36:37]
	v_mul_f64 v[24:25], v[4:5], v[36:37]
	v_add_f64 v[14:15], v[14:15], v[28:29]
	v_add_f64 v[16:17], v[16:17], v[22:23]
	s_delay_alu instid0(VALU_DEP_4) | instskip(NEXT) | instid1(VALU_DEP_4)
	v_fma_f64 v[4:5], v[4:5], v[34:35], v[18:19]
	v_fma_f64 v[2:3], v[2:3], v[34:35], -v[24:25]
	s_delay_alu instid0(VALU_DEP_4) | instskip(NEXT) | instid1(VALU_DEP_4)
	v_add_f64 v[6:7], v[14:15], v[6:7]
	v_add_f64 v[8:9], v[16:17], v[8:9]
	s_delay_alu instid0(VALU_DEP_2) | instskip(NEXT) | instid1(VALU_DEP_2)
	v_add_f64 v[2:3], v[6:7], v[2:3]
	v_add_f64 v[4:5], v[8:9], v[4:5]
	s_waitcnt vmcnt(0)
	s_delay_alu instid0(VALU_DEP_2) | instskip(NEXT) | instid1(VALU_DEP_2)
	v_add_f64 v[2:3], v[10:11], -v[2:3]
	v_add_f64 v[4:5], v[12:13], -v[4:5]
	scratch_store_b128 off, v[2:5], off offset:784
	v_cmpx_lt_u32_e32 48, v171
	s_cbranch_execz .LBB60_295
; %bb.294:
	scratch_load_b128 v[5:8], v227, off
	v_mov_b32_e32 v2, v1
	v_mov_b32_e32 v3, v1
	;; [unrolled: 1-line block ×3, first 2 shown]
	scratch_store_b128 off, v[1:4], off offset:768
	s_waitcnt vmcnt(0)
	ds_store_b128 v229, v[5:8]
.LBB60_295:
	s_or_b32 exec_lo, exec_lo, s2
	s_waitcnt lgkmcnt(0)
	s_waitcnt_vscnt null, 0x0
	s_barrier
	buffer_gl0_inv
	s_clause 0x8
	scratch_load_b128 v[2:5], off, off offset:784
	scratch_load_b128 v[6:9], off, off offset:800
	;; [unrolled: 1-line block ×9, first 2 shown]
	ds_load_b128 v[38:41], v1 offset:1760
	ds_load_b128 v[42:45], v1 offset:1776
	s_clause 0x1
	scratch_load_b128 v[55:58], off, off offset:768
	scratch_load_b128 v[59:62], off, off offset:928
	s_mov_b32 s2, exec_lo
	ds_load_b128 v[63:66], v1 offset:1808
	s_waitcnt vmcnt(10) lgkmcnt(2)
	v_mul_f64 v[46:47], v[40:41], v[4:5]
	v_mul_f64 v[4:5], v[38:39], v[4:5]
	s_waitcnt vmcnt(9) lgkmcnt(1)
	v_mul_f64 v[67:68], v[42:43], v[8:9]
	v_mul_f64 v[8:9], v[44:45], v[8:9]
	s_delay_alu instid0(VALU_DEP_4) | instskip(NEXT) | instid1(VALU_DEP_4)
	v_fma_f64 v[46:47], v[38:39], v[2:3], -v[46:47]
	v_fma_f64 v[69:70], v[40:41], v[2:3], v[4:5]
	ds_load_b128 v[2:5], v1 offset:1792
	scratch_load_b128 v[38:41], off, off offset:944
	v_fma_f64 v[44:45], v[44:45], v[6:7], v[67:68]
	v_fma_f64 v[42:43], v[42:43], v[6:7], -v[8:9]
	scratch_load_b128 v[6:9], off, off offset:960
	s_waitcnt vmcnt(10) lgkmcnt(0)
	v_mul_f64 v[85:86], v[2:3], v[12:13]
	v_mul_f64 v[12:13], v[4:5], v[12:13]
	v_add_f64 v[46:47], v[46:47], 0
	v_add_f64 v[67:68], v[69:70], 0
	s_waitcnt vmcnt(9)
	v_mul_f64 v[69:70], v[63:64], v[16:17]
	v_mul_f64 v[16:17], v[65:66], v[16:17]
	v_fma_f64 v[85:86], v[4:5], v[10:11], v[85:86]
	v_fma_f64 v[89:90], v[2:3], v[10:11], -v[12:13]
	ds_load_b128 v[2:5], v1 offset:1824
	ds_load_b128 v[10:13], v1 offset:1840
	v_add_f64 v[42:43], v[46:47], v[42:43]
	v_add_f64 v[44:45], v[67:68], v[44:45]
	v_fma_f64 v[65:66], v[65:66], v[14:15], v[69:70]
	v_fma_f64 v[14:15], v[63:64], v[14:15], -v[16:17]
	s_waitcnt vmcnt(8) lgkmcnt(1)
	v_mul_f64 v[46:47], v[2:3], v[20:21]
	v_mul_f64 v[20:21], v[4:5], v[20:21]
	v_add_f64 v[16:17], v[42:43], v[89:90]
	v_add_f64 v[42:43], v[44:45], v[85:86]
	s_waitcnt vmcnt(7) lgkmcnt(0)
	v_mul_f64 v[44:45], v[10:11], v[24:25]
	v_mul_f64 v[24:25], v[12:13], v[24:25]
	v_fma_f64 v[46:47], v[4:5], v[18:19], v[46:47]
	v_fma_f64 v[18:19], v[2:3], v[18:19], -v[20:21]
	v_add_f64 v[20:21], v[16:17], v[14:15]
	v_add_f64 v[42:43], v[42:43], v[65:66]
	ds_load_b128 v[2:5], v1 offset:1856
	ds_load_b128 v[14:17], v1 offset:1872
	v_fma_f64 v[12:13], v[12:13], v[22:23], v[44:45]
	v_fma_f64 v[10:11], v[10:11], v[22:23], -v[24:25]
	s_waitcnt vmcnt(6) lgkmcnt(1)
	v_mul_f64 v[63:64], v[2:3], v[28:29]
	v_mul_f64 v[28:29], v[4:5], v[28:29]
	s_waitcnt vmcnt(5) lgkmcnt(0)
	v_mul_f64 v[22:23], v[14:15], v[32:33]
	v_mul_f64 v[24:25], v[16:17], v[32:33]
	v_add_f64 v[18:19], v[20:21], v[18:19]
	v_add_f64 v[20:21], v[42:43], v[46:47]
	v_fma_f64 v[32:33], v[4:5], v[26:27], v[63:64]
	v_fma_f64 v[26:27], v[2:3], v[26:27], -v[28:29]
	v_fma_f64 v[16:17], v[16:17], v[30:31], v[22:23]
	v_fma_f64 v[14:15], v[14:15], v[30:31], -v[24:25]
	v_add_f64 v[18:19], v[18:19], v[10:11]
	v_add_f64 v[20:21], v[20:21], v[12:13]
	ds_load_b128 v[2:5], v1 offset:1888
	ds_load_b128 v[10:13], v1 offset:1904
	s_waitcnt vmcnt(4) lgkmcnt(1)
	v_mul_f64 v[28:29], v[2:3], v[36:37]
	v_mul_f64 v[36:37], v[4:5], v[36:37]
	s_waitcnt vmcnt(2) lgkmcnt(0)
	v_mul_f64 v[22:23], v[10:11], v[61:62]
	v_mul_f64 v[24:25], v[12:13], v[61:62]
	v_add_f64 v[18:19], v[18:19], v[26:27]
	v_add_f64 v[20:21], v[20:21], v[32:33]
	v_fma_f64 v[26:27], v[4:5], v[34:35], v[28:29]
	v_fma_f64 v[28:29], v[2:3], v[34:35], -v[36:37]
	v_fma_f64 v[12:13], v[12:13], v[59:60], v[22:23]
	v_fma_f64 v[10:11], v[10:11], v[59:60], -v[24:25]
	v_add_f64 v[18:19], v[18:19], v[14:15]
	v_add_f64 v[20:21], v[20:21], v[16:17]
	ds_load_b128 v[2:5], v1 offset:1920
	ds_load_b128 v[14:17], v1 offset:1936
	s_waitcnt vmcnt(1) lgkmcnt(1)
	v_mul_f64 v[30:31], v[2:3], v[40:41]
	v_mul_f64 v[32:33], v[4:5], v[40:41]
	s_waitcnt vmcnt(0) lgkmcnt(0)
	v_mul_f64 v[22:23], v[14:15], v[8:9]
	v_mul_f64 v[8:9], v[16:17], v[8:9]
	v_add_f64 v[18:19], v[18:19], v[28:29]
	v_add_f64 v[20:21], v[20:21], v[26:27]
	v_fma_f64 v[4:5], v[4:5], v[38:39], v[30:31]
	v_fma_f64 v[1:2], v[2:3], v[38:39], -v[32:33]
	v_fma_f64 v[16:17], v[16:17], v[6:7], v[22:23]
	v_fma_f64 v[6:7], v[14:15], v[6:7], -v[8:9]
	v_add_f64 v[10:11], v[18:19], v[10:11]
	v_add_f64 v[12:13], v[20:21], v[12:13]
	s_delay_alu instid0(VALU_DEP_2) | instskip(NEXT) | instid1(VALU_DEP_2)
	v_add_f64 v[1:2], v[10:11], v[1:2]
	v_add_f64 v[3:4], v[12:13], v[4:5]
	s_delay_alu instid0(VALU_DEP_2) | instskip(NEXT) | instid1(VALU_DEP_2)
	;; [unrolled: 3-line block ×3, first 2 shown]
	v_add_f64 v[1:2], v[55:56], -v[1:2]
	v_add_f64 v[3:4], v[57:58], -v[3:4]
	scratch_store_b128 off, v[1:4], off offset:768
	v_cmpx_lt_u32_e32 47, v171
	s_cbranch_execz .LBB60_297
; %bb.296:
	scratch_load_b128 v[1:4], v228, off
	v_mov_b32_e32 v5, 0
	s_delay_alu instid0(VALU_DEP_1)
	v_mov_b32_e32 v6, v5
	v_mov_b32_e32 v7, v5
	;; [unrolled: 1-line block ×3, first 2 shown]
	scratch_store_b128 off, v[5:8], off offset:752
	s_waitcnt vmcnt(0)
	ds_store_b128 v229, v[1:4]
.LBB60_297:
	s_or_b32 exec_lo, exec_lo, s2
	s_waitcnt lgkmcnt(0)
	s_waitcnt_vscnt null, 0x0
	s_barrier
	buffer_gl0_inv
	s_clause 0x7
	scratch_load_b128 v[2:5], off, off offset:768
	scratch_load_b128 v[6:9], off, off offset:784
	;; [unrolled: 1-line block ×8, first 2 shown]
	v_mov_b32_e32 v1, 0
	s_mov_b32 s2, exec_lo
	ds_load_b128 v[34:37], v1 offset:1744
	s_clause 0x1
	scratch_load_b128 v[38:41], off, off offset:896
	scratch_load_b128 v[42:45], off, off offset:752
	ds_load_b128 v[55:58], v1 offset:1760
	scratch_load_b128 v[59:62], off, off offset:912
	ds_load_b128 v[63:66], v1 offset:1792
	s_waitcnt vmcnt(10) lgkmcnt(2)
	v_mul_f64 v[46:47], v[36:37], v[4:5]
	v_mul_f64 v[4:5], v[34:35], v[4:5]
	s_delay_alu instid0(VALU_DEP_2) | instskip(NEXT) | instid1(VALU_DEP_2)
	v_fma_f64 v[46:47], v[34:35], v[2:3], -v[46:47]
	v_fma_f64 v[69:70], v[36:37], v[2:3], v[4:5]
	ds_load_b128 v[2:5], v1 offset:1776
	s_waitcnt vmcnt(9) lgkmcnt(2)
	v_mul_f64 v[67:68], v[55:56], v[8:9]
	v_mul_f64 v[8:9], v[57:58], v[8:9]
	scratch_load_b128 v[34:37], off, off offset:928
	s_waitcnt vmcnt(9) lgkmcnt(0)
	v_mul_f64 v[85:86], v[2:3], v[12:13]
	v_mul_f64 v[12:13], v[4:5], v[12:13]
	v_add_f64 v[46:47], v[46:47], 0
	v_fma_f64 v[57:58], v[57:58], v[6:7], v[67:68]
	v_fma_f64 v[55:56], v[55:56], v[6:7], -v[8:9]
	v_add_f64 v[67:68], v[69:70], 0
	scratch_load_b128 v[6:9], off, off offset:944
	v_fma_f64 v[85:86], v[4:5], v[10:11], v[85:86]
	v_fma_f64 v[89:90], v[2:3], v[10:11], -v[12:13]
	scratch_load_b128 v[10:13], off, off offset:960
	ds_load_b128 v[2:5], v1 offset:1808
	s_waitcnt vmcnt(10)
	v_mul_f64 v[69:70], v[63:64], v[16:17]
	v_mul_f64 v[16:17], v[65:66], v[16:17]
	v_add_f64 v[46:47], v[46:47], v[55:56]
	v_add_f64 v[67:68], v[67:68], v[57:58]
	ds_load_b128 v[55:58], v1 offset:1824
	s_waitcnt vmcnt(9) lgkmcnt(1)
	v_mul_f64 v[91:92], v[2:3], v[20:21]
	v_mul_f64 v[20:21], v[4:5], v[20:21]
	v_fma_f64 v[65:66], v[65:66], v[14:15], v[69:70]
	v_fma_f64 v[14:15], v[63:64], v[14:15], -v[16:17]
	s_waitcnt vmcnt(8) lgkmcnt(0)
	v_mul_f64 v[63:64], v[55:56], v[24:25]
	v_mul_f64 v[24:25], v[57:58], v[24:25]
	v_add_f64 v[16:17], v[46:47], v[89:90]
	v_add_f64 v[46:47], v[67:68], v[85:86]
	v_fma_f64 v[67:68], v[4:5], v[18:19], v[91:92]
	v_fma_f64 v[18:19], v[2:3], v[18:19], -v[20:21]
	v_fma_f64 v[57:58], v[57:58], v[22:23], v[63:64]
	v_fma_f64 v[22:23], v[55:56], v[22:23], -v[24:25]
	v_add_f64 v[20:21], v[16:17], v[14:15]
	v_add_f64 v[46:47], v[46:47], v[65:66]
	ds_load_b128 v[2:5], v1 offset:1840
	ds_load_b128 v[14:17], v1 offset:1856
	s_waitcnt vmcnt(7) lgkmcnt(1)
	v_mul_f64 v[65:66], v[2:3], v[28:29]
	v_mul_f64 v[28:29], v[4:5], v[28:29]
	s_waitcnt vmcnt(6) lgkmcnt(0)
	v_mul_f64 v[24:25], v[14:15], v[32:33]
	v_mul_f64 v[32:33], v[16:17], v[32:33]
	v_add_f64 v[18:19], v[20:21], v[18:19]
	v_add_f64 v[20:21], v[46:47], v[67:68]
	v_fma_f64 v[46:47], v[4:5], v[26:27], v[65:66]
	v_fma_f64 v[26:27], v[2:3], v[26:27], -v[28:29]
	v_fma_f64 v[16:17], v[16:17], v[30:31], v[24:25]
	v_fma_f64 v[14:15], v[14:15], v[30:31], -v[32:33]
	v_add_f64 v[22:23], v[18:19], v[22:23]
	v_add_f64 v[28:29], v[20:21], v[57:58]
	ds_load_b128 v[2:5], v1 offset:1872
	ds_load_b128 v[18:21], v1 offset:1888
	s_waitcnt vmcnt(5) lgkmcnt(1)
	v_mul_f64 v[55:56], v[2:3], v[40:41]
	v_mul_f64 v[40:41], v[4:5], v[40:41]
	v_add_f64 v[22:23], v[22:23], v[26:27]
	v_add_f64 v[24:25], v[28:29], v[46:47]
	s_waitcnt vmcnt(3) lgkmcnt(0)
	v_mul_f64 v[26:27], v[18:19], v[61:62]
	v_mul_f64 v[28:29], v[20:21], v[61:62]
	v_fma_f64 v[30:31], v[4:5], v[38:39], v[55:56]
	v_fma_f64 v[32:33], v[2:3], v[38:39], -v[40:41]
	v_add_f64 v[22:23], v[22:23], v[14:15]
	v_add_f64 v[24:25], v[24:25], v[16:17]
	ds_load_b128 v[2:5], v1 offset:1904
	ds_load_b128 v[14:17], v1 offset:1920
	v_fma_f64 v[20:21], v[20:21], v[59:60], v[26:27]
	v_fma_f64 v[18:19], v[18:19], v[59:60], -v[28:29]
	s_waitcnt vmcnt(2) lgkmcnt(1)
	v_mul_f64 v[38:39], v[2:3], v[36:37]
	v_mul_f64 v[36:37], v[4:5], v[36:37]
	v_add_f64 v[22:23], v[22:23], v[32:33]
	v_add_f64 v[24:25], v[24:25], v[30:31]
	s_waitcnt vmcnt(1) lgkmcnt(0)
	v_mul_f64 v[26:27], v[14:15], v[8:9]
	v_mul_f64 v[8:9], v[16:17], v[8:9]
	v_fma_f64 v[28:29], v[4:5], v[34:35], v[38:39]
	v_fma_f64 v[30:31], v[2:3], v[34:35], -v[36:37]
	ds_load_b128 v[2:5], v1 offset:1936
	v_add_f64 v[18:19], v[22:23], v[18:19]
	v_add_f64 v[20:21], v[24:25], v[20:21]
	s_waitcnt vmcnt(0) lgkmcnt(0)
	v_mul_f64 v[22:23], v[2:3], v[12:13]
	v_mul_f64 v[12:13], v[4:5], v[12:13]
	v_fma_f64 v[16:17], v[16:17], v[6:7], v[26:27]
	v_fma_f64 v[6:7], v[14:15], v[6:7], -v[8:9]
	v_add_f64 v[8:9], v[18:19], v[30:31]
	v_add_f64 v[14:15], v[20:21], v[28:29]
	v_fma_f64 v[4:5], v[4:5], v[10:11], v[22:23]
	v_fma_f64 v[2:3], v[2:3], v[10:11], -v[12:13]
	s_delay_alu instid0(VALU_DEP_4) | instskip(NEXT) | instid1(VALU_DEP_4)
	v_add_f64 v[6:7], v[8:9], v[6:7]
	v_add_f64 v[8:9], v[14:15], v[16:17]
	s_delay_alu instid0(VALU_DEP_2) | instskip(NEXT) | instid1(VALU_DEP_2)
	v_add_f64 v[2:3], v[6:7], v[2:3]
	v_add_f64 v[4:5], v[8:9], v[4:5]
	s_delay_alu instid0(VALU_DEP_2) | instskip(NEXT) | instid1(VALU_DEP_2)
	v_add_f64 v[2:3], v[42:43], -v[2:3]
	v_add_f64 v[4:5], v[44:45], -v[4:5]
	scratch_store_b128 off, v[2:5], off offset:752
	v_cmpx_lt_u32_e32 46, v171
	s_cbranch_execz .LBB60_299
; %bb.298:
	scratch_load_b128 v[5:8], v183, off
	v_mov_b32_e32 v2, v1
	v_mov_b32_e32 v3, v1
	v_mov_b32_e32 v4, v1
	scratch_store_b128 off, v[1:4], off offset:736
	s_waitcnt vmcnt(0)
	ds_store_b128 v229, v[5:8]
.LBB60_299:
	s_or_b32 exec_lo, exec_lo, s2
	s_waitcnt lgkmcnt(0)
	s_waitcnt_vscnt null, 0x0
	s_barrier
	buffer_gl0_inv
	s_clause 0x8
	scratch_load_b128 v[2:5], off, off offset:752
	scratch_load_b128 v[6:9], off, off offset:768
	;; [unrolled: 1-line block ×9, first 2 shown]
	ds_load_b128 v[38:41], v1 offset:1728
	ds_load_b128 v[42:45], v1 offset:1744
	s_clause 0x1
	scratch_load_b128 v[55:58], off, off offset:736
	scratch_load_b128 v[59:62], off, off offset:896
	s_mov_b32 s2, exec_lo
	ds_load_b128 v[63:66], v1 offset:1776
	s_waitcnt vmcnt(10) lgkmcnt(2)
	v_mul_f64 v[46:47], v[40:41], v[4:5]
	v_mul_f64 v[4:5], v[38:39], v[4:5]
	s_waitcnt vmcnt(9) lgkmcnt(1)
	v_mul_f64 v[67:68], v[42:43], v[8:9]
	v_mul_f64 v[8:9], v[44:45], v[8:9]
	s_delay_alu instid0(VALU_DEP_4) | instskip(NEXT) | instid1(VALU_DEP_4)
	v_fma_f64 v[46:47], v[38:39], v[2:3], -v[46:47]
	v_fma_f64 v[69:70], v[40:41], v[2:3], v[4:5]
	ds_load_b128 v[2:5], v1 offset:1760
	scratch_load_b128 v[38:41], off, off offset:912
	v_fma_f64 v[44:45], v[44:45], v[6:7], v[67:68]
	v_fma_f64 v[42:43], v[42:43], v[6:7], -v[8:9]
	scratch_load_b128 v[6:9], off, off offset:928
	s_waitcnt vmcnt(10) lgkmcnt(0)
	v_mul_f64 v[85:86], v[2:3], v[12:13]
	v_mul_f64 v[12:13], v[4:5], v[12:13]
	v_add_f64 v[46:47], v[46:47], 0
	v_add_f64 v[67:68], v[69:70], 0
	s_waitcnt vmcnt(9)
	v_mul_f64 v[69:70], v[63:64], v[16:17]
	v_mul_f64 v[16:17], v[65:66], v[16:17]
	v_fma_f64 v[85:86], v[4:5], v[10:11], v[85:86]
	v_fma_f64 v[89:90], v[2:3], v[10:11], -v[12:13]
	ds_load_b128 v[2:5], v1 offset:1792
	scratch_load_b128 v[10:13], off, off offset:944
	v_add_f64 v[46:47], v[46:47], v[42:43]
	v_add_f64 v[67:68], v[67:68], v[44:45]
	ds_load_b128 v[42:45], v1 offset:1808
	v_fma_f64 v[65:66], v[65:66], v[14:15], v[69:70]
	v_fma_f64 v[63:64], v[63:64], v[14:15], -v[16:17]
	scratch_load_b128 v[14:17], off, off offset:960
	s_waitcnt vmcnt(10) lgkmcnt(1)
	v_mul_f64 v[91:92], v[2:3], v[20:21]
	v_mul_f64 v[20:21], v[4:5], v[20:21]
	s_waitcnt vmcnt(9) lgkmcnt(0)
	v_mul_f64 v[69:70], v[42:43], v[24:25]
	v_mul_f64 v[24:25], v[44:45], v[24:25]
	v_add_f64 v[46:47], v[46:47], v[89:90]
	v_add_f64 v[67:68], v[67:68], v[85:86]
	v_fma_f64 v[85:86], v[4:5], v[18:19], v[91:92]
	v_fma_f64 v[89:90], v[2:3], v[18:19], -v[20:21]
	ds_load_b128 v[2:5], v1 offset:1824
	ds_load_b128 v[18:21], v1 offset:1840
	v_fma_f64 v[44:45], v[44:45], v[22:23], v[69:70]
	v_fma_f64 v[22:23], v[42:43], v[22:23], -v[24:25]
	v_add_f64 v[46:47], v[46:47], v[63:64]
	v_add_f64 v[63:64], v[67:68], v[65:66]
	s_waitcnt vmcnt(8) lgkmcnt(1)
	v_mul_f64 v[65:66], v[2:3], v[28:29]
	v_mul_f64 v[28:29], v[4:5], v[28:29]
	s_delay_alu instid0(VALU_DEP_4) | instskip(NEXT) | instid1(VALU_DEP_4)
	v_add_f64 v[24:25], v[46:47], v[89:90]
	v_add_f64 v[42:43], v[63:64], v[85:86]
	s_waitcnt vmcnt(7) lgkmcnt(0)
	v_mul_f64 v[46:47], v[18:19], v[32:33]
	v_mul_f64 v[32:33], v[20:21], v[32:33]
	v_fma_f64 v[63:64], v[4:5], v[26:27], v[65:66]
	v_fma_f64 v[26:27], v[2:3], v[26:27], -v[28:29]
	v_add_f64 v[28:29], v[24:25], v[22:23]
	v_add_f64 v[42:43], v[42:43], v[44:45]
	ds_load_b128 v[2:5], v1 offset:1856
	ds_load_b128 v[22:25], v1 offset:1872
	v_fma_f64 v[20:21], v[20:21], v[30:31], v[46:47]
	v_fma_f64 v[18:19], v[18:19], v[30:31], -v[32:33]
	s_waitcnt vmcnt(6) lgkmcnt(1)
	v_mul_f64 v[44:45], v[2:3], v[36:37]
	v_mul_f64 v[36:37], v[4:5], v[36:37]
	s_waitcnt vmcnt(4) lgkmcnt(0)
	v_mul_f64 v[30:31], v[22:23], v[61:62]
	v_mul_f64 v[32:33], v[24:25], v[61:62]
	v_add_f64 v[26:27], v[28:29], v[26:27]
	v_add_f64 v[28:29], v[42:43], v[63:64]
	v_fma_f64 v[42:43], v[4:5], v[34:35], v[44:45]
	v_fma_f64 v[34:35], v[2:3], v[34:35], -v[36:37]
	v_fma_f64 v[24:25], v[24:25], v[59:60], v[30:31]
	v_fma_f64 v[22:23], v[22:23], v[59:60], -v[32:33]
	v_add_f64 v[26:27], v[26:27], v[18:19]
	v_add_f64 v[28:29], v[28:29], v[20:21]
	ds_load_b128 v[2:5], v1 offset:1888
	ds_load_b128 v[18:21], v1 offset:1904
	s_waitcnt vmcnt(3) lgkmcnt(1)
	v_mul_f64 v[36:37], v[2:3], v[40:41]
	v_mul_f64 v[40:41], v[4:5], v[40:41]
	s_waitcnt vmcnt(2) lgkmcnt(0)
	v_mul_f64 v[30:31], v[18:19], v[8:9]
	v_mul_f64 v[8:9], v[20:21], v[8:9]
	v_add_f64 v[26:27], v[26:27], v[34:35]
	v_add_f64 v[28:29], v[28:29], v[42:43]
	v_fma_f64 v[32:33], v[4:5], v[38:39], v[36:37]
	v_fma_f64 v[34:35], v[2:3], v[38:39], -v[40:41]
	v_fma_f64 v[20:21], v[20:21], v[6:7], v[30:31]
	v_fma_f64 v[6:7], v[18:19], v[6:7], -v[8:9]
	v_add_f64 v[26:27], v[26:27], v[22:23]
	v_add_f64 v[28:29], v[28:29], v[24:25]
	ds_load_b128 v[2:5], v1 offset:1920
	ds_load_b128 v[22:25], v1 offset:1936
	s_waitcnt vmcnt(1) lgkmcnt(1)
	v_mul_f64 v[36:37], v[2:3], v[12:13]
	v_mul_f64 v[12:13], v[4:5], v[12:13]
	v_add_f64 v[8:9], v[26:27], v[34:35]
	v_add_f64 v[18:19], v[28:29], v[32:33]
	s_waitcnt vmcnt(0) lgkmcnt(0)
	v_mul_f64 v[26:27], v[22:23], v[16:17]
	v_mul_f64 v[16:17], v[24:25], v[16:17]
	v_fma_f64 v[4:5], v[4:5], v[10:11], v[36:37]
	v_fma_f64 v[1:2], v[2:3], v[10:11], -v[12:13]
	v_add_f64 v[6:7], v[8:9], v[6:7]
	v_add_f64 v[8:9], v[18:19], v[20:21]
	v_fma_f64 v[10:11], v[24:25], v[14:15], v[26:27]
	v_fma_f64 v[12:13], v[22:23], v[14:15], -v[16:17]
	s_delay_alu instid0(VALU_DEP_4) | instskip(NEXT) | instid1(VALU_DEP_4)
	v_add_f64 v[1:2], v[6:7], v[1:2]
	v_add_f64 v[3:4], v[8:9], v[4:5]
	s_delay_alu instid0(VALU_DEP_2) | instskip(NEXT) | instid1(VALU_DEP_2)
	v_add_f64 v[1:2], v[1:2], v[12:13]
	v_add_f64 v[3:4], v[3:4], v[10:11]
	s_delay_alu instid0(VALU_DEP_2) | instskip(NEXT) | instid1(VALU_DEP_2)
	v_add_f64 v[1:2], v[55:56], -v[1:2]
	v_add_f64 v[3:4], v[57:58], -v[3:4]
	scratch_store_b128 off, v[1:4], off offset:736
	v_cmpx_lt_u32_e32 45, v171
	s_cbranch_execz .LBB60_301
; %bb.300:
	scratch_load_b128 v[1:4], v184, off
	v_mov_b32_e32 v5, 0
	s_delay_alu instid0(VALU_DEP_1)
	v_mov_b32_e32 v6, v5
	v_mov_b32_e32 v7, v5
	v_mov_b32_e32 v8, v5
	scratch_store_b128 off, v[5:8], off offset:720
	s_waitcnt vmcnt(0)
	ds_store_b128 v229, v[1:4]
.LBB60_301:
	s_or_b32 exec_lo, exec_lo, s2
	s_waitcnt lgkmcnt(0)
	s_waitcnt_vscnt null, 0x0
	s_barrier
	buffer_gl0_inv
	s_clause 0x7
	scratch_load_b128 v[2:5], off, off offset:736
	scratch_load_b128 v[6:9], off, off offset:752
	;; [unrolled: 1-line block ×8, first 2 shown]
	v_mov_b32_e32 v1, 0
	s_mov_b32 s2, exec_lo
	ds_load_b128 v[34:37], v1 offset:1712
	s_clause 0x1
	scratch_load_b128 v[38:41], off, off offset:864
	scratch_load_b128 v[42:45], off, off offset:720
	ds_load_b128 v[55:58], v1 offset:1728
	scratch_load_b128 v[59:62], off, off offset:880
	ds_load_b128 v[63:66], v1 offset:1760
	s_waitcnt vmcnt(10) lgkmcnt(2)
	v_mul_f64 v[46:47], v[36:37], v[4:5]
	v_mul_f64 v[4:5], v[34:35], v[4:5]
	s_delay_alu instid0(VALU_DEP_2) | instskip(NEXT) | instid1(VALU_DEP_2)
	v_fma_f64 v[46:47], v[34:35], v[2:3], -v[46:47]
	v_fma_f64 v[69:70], v[36:37], v[2:3], v[4:5]
	ds_load_b128 v[2:5], v1 offset:1744
	s_waitcnt vmcnt(9) lgkmcnt(2)
	v_mul_f64 v[67:68], v[55:56], v[8:9]
	v_mul_f64 v[8:9], v[57:58], v[8:9]
	scratch_load_b128 v[34:37], off, off offset:896
	s_waitcnt vmcnt(9) lgkmcnt(0)
	v_mul_f64 v[85:86], v[2:3], v[12:13]
	v_mul_f64 v[12:13], v[4:5], v[12:13]
	v_add_f64 v[46:47], v[46:47], 0
	v_fma_f64 v[57:58], v[57:58], v[6:7], v[67:68]
	v_fma_f64 v[55:56], v[55:56], v[6:7], -v[8:9]
	v_add_f64 v[67:68], v[69:70], 0
	scratch_load_b128 v[6:9], off, off offset:912
	v_fma_f64 v[85:86], v[4:5], v[10:11], v[85:86]
	v_fma_f64 v[89:90], v[2:3], v[10:11], -v[12:13]
	scratch_load_b128 v[10:13], off, off offset:928
	ds_load_b128 v[2:5], v1 offset:1776
	s_waitcnt vmcnt(10)
	v_mul_f64 v[69:70], v[63:64], v[16:17]
	v_mul_f64 v[16:17], v[65:66], v[16:17]
	v_add_f64 v[46:47], v[46:47], v[55:56]
	v_add_f64 v[67:68], v[67:68], v[57:58]
	ds_load_b128 v[55:58], v1 offset:1792
	s_waitcnt vmcnt(9) lgkmcnt(1)
	v_mul_f64 v[91:92], v[2:3], v[20:21]
	v_mul_f64 v[20:21], v[4:5], v[20:21]
	v_fma_f64 v[65:66], v[65:66], v[14:15], v[69:70]
	v_fma_f64 v[63:64], v[63:64], v[14:15], -v[16:17]
	scratch_load_b128 v[14:17], off, off offset:944
	v_add_f64 v[46:47], v[46:47], v[89:90]
	v_add_f64 v[67:68], v[67:68], v[85:86]
	v_fma_f64 v[85:86], v[4:5], v[18:19], v[91:92]
	v_fma_f64 v[89:90], v[2:3], v[18:19], -v[20:21]
	scratch_load_b128 v[18:21], off, off offset:960
	ds_load_b128 v[2:5], v1 offset:1808
	s_waitcnt vmcnt(10) lgkmcnt(1)
	v_mul_f64 v[69:70], v[55:56], v[24:25]
	v_mul_f64 v[24:25], v[57:58], v[24:25]
	s_waitcnt vmcnt(9) lgkmcnt(0)
	v_mul_f64 v[91:92], v[2:3], v[28:29]
	v_mul_f64 v[28:29], v[4:5], v[28:29]
	v_add_f64 v[46:47], v[46:47], v[63:64]
	v_add_f64 v[67:68], v[67:68], v[65:66]
	ds_load_b128 v[63:66], v1 offset:1824
	v_fma_f64 v[57:58], v[57:58], v[22:23], v[69:70]
	v_fma_f64 v[22:23], v[55:56], v[22:23], -v[24:25]
	s_waitcnt vmcnt(8) lgkmcnt(0)
	v_mul_f64 v[55:56], v[63:64], v[32:33]
	v_mul_f64 v[32:33], v[65:66], v[32:33]
	v_add_f64 v[24:25], v[46:47], v[89:90]
	v_add_f64 v[46:47], v[67:68], v[85:86]
	v_fma_f64 v[67:68], v[4:5], v[26:27], v[91:92]
	v_fma_f64 v[26:27], v[2:3], v[26:27], -v[28:29]
	v_fma_f64 v[55:56], v[65:66], v[30:31], v[55:56]
	v_fma_f64 v[30:31], v[63:64], v[30:31], -v[32:33]
	v_add_f64 v[28:29], v[24:25], v[22:23]
	v_add_f64 v[46:47], v[46:47], v[57:58]
	ds_load_b128 v[2:5], v1 offset:1840
	ds_load_b128 v[22:25], v1 offset:1856
	s_waitcnt vmcnt(7) lgkmcnt(1)
	v_mul_f64 v[57:58], v[2:3], v[40:41]
	v_mul_f64 v[40:41], v[4:5], v[40:41]
	s_waitcnt vmcnt(5) lgkmcnt(0)
	v_mul_f64 v[32:33], v[22:23], v[61:62]
	v_add_f64 v[26:27], v[28:29], v[26:27]
	v_add_f64 v[28:29], v[46:47], v[67:68]
	v_mul_f64 v[46:47], v[24:25], v[61:62]
	v_fma_f64 v[57:58], v[4:5], v[38:39], v[57:58]
	v_fma_f64 v[38:39], v[2:3], v[38:39], -v[40:41]
	v_fma_f64 v[24:25], v[24:25], v[59:60], v[32:33]
	v_add_f64 v[30:31], v[26:27], v[30:31]
	v_add_f64 v[40:41], v[28:29], v[55:56]
	ds_load_b128 v[2:5], v1 offset:1872
	ds_load_b128 v[26:29], v1 offset:1888
	v_fma_f64 v[22:23], v[22:23], v[59:60], -v[46:47]
	s_waitcnt vmcnt(4) lgkmcnt(1)
	v_mul_f64 v[55:56], v[2:3], v[36:37]
	v_mul_f64 v[36:37], v[4:5], v[36:37]
	v_add_f64 v[30:31], v[30:31], v[38:39]
	v_add_f64 v[32:33], v[40:41], v[57:58]
	s_waitcnt vmcnt(3) lgkmcnt(0)
	v_mul_f64 v[38:39], v[26:27], v[8:9]
	v_mul_f64 v[8:9], v[28:29], v[8:9]
	v_fma_f64 v[40:41], v[4:5], v[34:35], v[55:56]
	v_fma_f64 v[34:35], v[2:3], v[34:35], -v[36:37]
	v_add_f64 v[30:31], v[30:31], v[22:23]
	v_add_f64 v[32:33], v[32:33], v[24:25]
	ds_load_b128 v[2:5], v1 offset:1904
	ds_load_b128 v[22:25], v1 offset:1920
	v_fma_f64 v[28:29], v[28:29], v[6:7], v[38:39]
	v_fma_f64 v[6:7], v[26:27], v[6:7], -v[8:9]
	s_waitcnt vmcnt(2) lgkmcnt(1)
	v_mul_f64 v[36:37], v[2:3], v[12:13]
	v_mul_f64 v[12:13], v[4:5], v[12:13]
	v_add_f64 v[8:9], v[30:31], v[34:35]
	v_add_f64 v[26:27], v[32:33], v[40:41]
	s_waitcnt vmcnt(1) lgkmcnt(0)
	v_mul_f64 v[30:31], v[22:23], v[16:17]
	v_mul_f64 v[16:17], v[24:25], v[16:17]
	v_fma_f64 v[32:33], v[4:5], v[10:11], v[36:37]
	v_fma_f64 v[10:11], v[2:3], v[10:11], -v[12:13]
	ds_load_b128 v[2:5], v1 offset:1936
	v_add_f64 v[6:7], v[8:9], v[6:7]
	v_add_f64 v[8:9], v[26:27], v[28:29]
	v_fma_f64 v[24:25], v[24:25], v[14:15], v[30:31]
	v_fma_f64 v[14:15], v[22:23], v[14:15], -v[16:17]
	s_waitcnt vmcnt(0) lgkmcnt(0)
	v_mul_f64 v[12:13], v[2:3], v[20:21]
	v_mul_f64 v[20:21], v[4:5], v[20:21]
	v_add_f64 v[6:7], v[6:7], v[10:11]
	v_add_f64 v[8:9], v[8:9], v[32:33]
	s_delay_alu instid0(VALU_DEP_4) | instskip(NEXT) | instid1(VALU_DEP_4)
	v_fma_f64 v[4:5], v[4:5], v[18:19], v[12:13]
	v_fma_f64 v[2:3], v[2:3], v[18:19], -v[20:21]
	s_delay_alu instid0(VALU_DEP_4) | instskip(NEXT) | instid1(VALU_DEP_4)
	v_add_f64 v[6:7], v[6:7], v[14:15]
	v_add_f64 v[8:9], v[8:9], v[24:25]
	s_delay_alu instid0(VALU_DEP_2) | instskip(NEXT) | instid1(VALU_DEP_2)
	v_add_f64 v[2:3], v[6:7], v[2:3]
	v_add_f64 v[4:5], v[8:9], v[4:5]
	s_delay_alu instid0(VALU_DEP_2) | instskip(NEXT) | instid1(VALU_DEP_2)
	v_add_f64 v[2:3], v[42:43], -v[2:3]
	v_add_f64 v[4:5], v[44:45], -v[4:5]
	scratch_store_b128 off, v[2:5], off offset:720
	v_cmpx_lt_u32_e32 44, v171
	s_cbranch_execz .LBB60_303
; %bb.302:
	scratch_load_b128 v[5:8], v185, off
	v_mov_b32_e32 v2, v1
	v_mov_b32_e32 v3, v1
	;; [unrolled: 1-line block ×3, first 2 shown]
	scratch_store_b128 off, v[1:4], off offset:704
	s_waitcnt vmcnt(0)
	ds_store_b128 v229, v[5:8]
.LBB60_303:
	s_or_b32 exec_lo, exec_lo, s2
	s_waitcnt lgkmcnt(0)
	s_waitcnt_vscnt null, 0x0
	s_barrier
	buffer_gl0_inv
	s_clause 0x8
	scratch_load_b128 v[2:5], off, off offset:720
	scratch_load_b128 v[6:9], off, off offset:736
	;; [unrolled: 1-line block ×9, first 2 shown]
	ds_load_b128 v[38:41], v1 offset:1696
	ds_load_b128 v[42:45], v1 offset:1712
	s_clause 0x1
	scratch_load_b128 v[55:58], off, off offset:704
	scratch_load_b128 v[59:62], off, off offset:864
	s_mov_b32 s2, exec_lo
	ds_load_b128 v[63:66], v1 offset:1744
	s_waitcnt vmcnt(10) lgkmcnt(2)
	v_mul_f64 v[46:47], v[40:41], v[4:5]
	v_mul_f64 v[4:5], v[38:39], v[4:5]
	s_waitcnt vmcnt(9) lgkmcnt(1)
	v_mul_f64 v[67:68], v[42:43], v[8:9]
	v_mul_f64 v[8:9], v[44:45], v[8:9]
	s_delay_alu instid0(VALU_DEP_4) | instskip(NEXT) | instid1(VALU_DEP_4)
	v_fma_f64 v[46:47], v[38:39], v[2:3], -v[46:47]
	v_fma_f64 v[69:70], v[40:41], v[2:3], v[4:5]
	ds_load_b128 v[2:5], v1 offset:1728
	scratch_load_b128 v[38:41], off, off offset:880
	v_fma_f64 v[44:45], v[44:45], v[6:7], v[67:68]
	v_fma_f64 v[42:43], v[42:43], v[6:7], -v[8:9]
	scratch_load_b128 v[6:9], off, off offset:896
	s_waitcnt vmcnt(10) lgkmcnt(0)
	v_mul_f64 v[85:86], v[2:3], v[12:13]
	v_mul_f64 v[12:13], v[4:5], v[12:13]
	v_add_f64 v[46:47], v[46:47], 0
	v_add_f64 v[67:68], v[69:70], 0
	s_waitcnt vmcnt(9)
	v_mul_f64 v[69:70], v[63:64], v[16:17]
	v_mul_f64 v[16:17], v[65:66], v[16:17]
	v_fma_f64 v[85:86], v[4:5], v[10:11], v[85:86]
	v_fma_f64 v[89:90], v[2:3], v[10:11], -v[12:13]
	ds_load_b128 v[2:5], v1 offset:1760
	scratch_load_b128 v[10:13], off, off offset:912
	v_add_f64 v[46:47], v[46:47], v[42:43]
	v_add_f64 v[67:68], v[67:68], v[44:45]
	ds_load_b128 v[42:45], v1 offset:1776
	v_fma_f64 v[65:66], v[65:66], v[14:15], v[69:70]
	v_fma_f64 v[63:64], v[63:64], v[14:15], -v[16:17]
	scratch_load_b128 v[14:17], off, off offset:928
	s_waitcnt vmcnt(10) lgkmcnt(1)
	v_mul_f64 v[91:92], v[2:3], v[20:21]
	v_mul_f64 v[20:21], v[4:5], v[20:21]
	s_waitcnt vmcnt(9) lgkmcnt(0)
	v_mul_f64 v[69:70], v[42:43], v[24:25]
	v_mul_f64 v[24:25], v[44:45], v[24:25]
	v_add_f64 v[46:47], v[46:47], v[89:90]
	v_add_f64 v[67:68], v[67:68], v[85:86]
	v_fma_f64 v[85:86], v[4:5], v[18:19], v[91:92]
	v_fma_f64 v[89:90], v[2:3], v[18:19], -v[20:21]
	ds_load_b128 v[2:5], v1 offset:1792
	scratch_load_b128 v[18:21], off, off offset:944
	v_fma_f64 v[44:45], v[44:45], v[22:23], v[69:70]
	v_fma_f64 v[42:43], v[42:43], v[22:23], -v[24:25]
	scratch_load_b128 v[22:25], off, off offset:960
	v_add_f64 v[46:47], v[46:47], v[63:64]
	v_add_f64 v[67:68], v[67:68], v[65:66]
	ds_load_b128 v[63:66], v1 offset:1808
	s_waitcnt vmcnt(10) lgkmcnt(1)
	v_mul_f64 v[91:92], v[2:3], v[28:29]
	v_mul_f64 v[28:29], v[4:5], v[28:29]
	s_waitcnt vmcnt(9) lgkmcnt(0)
	v_mul_f64 v[69:70], v[63:64], v[32:33]
	v_mul_f64 v[32:33], v[65:66], v[32:33]
	v_add_f64 v[46:47], v[46:47], v[89:90]
	v_add_f64 v[67:68], v[67:68], v[85:86]
	v_fma_f64 v[85:86], v[4:5], v[26:27], v[91:92]
	v_fma_f64 v[89:90], v[2:3], v[26:27], -v[28:29]
	ds_load_b128 v[2:5], v1 offset:1824
	ds_load_b128 v[26:29], v1 offset:1840
	v_fma_f64 v[65:66], v[65:66], v[30:31], v[69:70]
	v_fma_f64 v[30:31], v[63:64], v[30:31], -v[32:33]
	v_add_f64 v[42:43], v[46:47], v[42:43]
	v_add_f64 v[44:45], v[67:68], v[44:45]
	s_waitcnt vmcnt(8) lgkmcnt(1)
	v_mul_f64 v[46:47], v[2:3], v[36:37]
	v_mul_f64 v[36:37], v[4:5], v[36:37]
	s_delay_alu instid0(VALU_DEP_4) | instskip(NEXT) | instid1(VALU_DEP_4)
	v_add_f64 v[32:33], v[42:43], v[89:90]
	v_add_f64 v[42:43], v[44:45], v[85:86]
	s_waitcnt vmcnt(6) lgkmcnt(0)
	v_mul_f64 v[44:45], v[26:27], v[61:62]
	v_mul_f64 v[61:62], v[28:29], v[61:62]
	v_fma_f64 v[46:47], v[4:5], v[34:35], v[46:47]
	v_fma_f64 v[34:35], v[2:3], v[34:35], -v[36:37]
	v_add_f64 v[36:37], v[32:33], v[30:31]
	v_add_f64 v[42:43], v[42:43], v[65:66]
	ds_load_b128 v[2:5], v1 offset:1856
	ds_load_b128 v[30:33], v1 offset:1872
	v_fma_f64 v[28:29], v[28:29], v[59:60], v[44:45]
	v_fma_f64 v[26:27], v[26:27], v[59:60], -v[61:62]
	s_waitcnt vmcnt(5) lgkmcnt(1)
	v_mul_f64 v[63:64], v[2:3], v[40:41]
	v_mul_f64 v[40:41], v[4:5], v[40:41]
	v_add_f64 v[34:35], v[36:37], v[34:35]
	v_add_f64 v[36:37], v[42:43], v[46:47]
	s_waitcnt vmcnt(4) lgkmcnt(0)
	v_mul_f64 v[42:43], v[30:31], v[8:9]
	v_mul_f64 v[8:9], v[32:33], v[8:9]
	v_fma_f64 v[44:45], v[4:5], v[38:39], v[63:64]
	v_fma_f64 v[38:39], v[2:3], v[38:39], -v[40:41]
	v_add_f64 v[34:35], v[34:35], v[26:27]
	v_add_f64 v[36:37], v[36:37], v[28:29]
	ds_load_b128 v[2:5], v1 offset:1888
	ds_load_b128 v[26:29], v1 offset:1904
	v_fma_f64 v[32:33], v[32:33], v[6:7], v[42:43]
	v_fma_f64 v[6:7], v[30:31], v[6:7], -v[8:9]
	s_waitcnt vmcnt(3) lgkmcnt(1)
	v_mul_f64 v[40:41], v[2:3], v[12:13]
	v_mul_f64 v[12:13], v[4:5], v[12:13]
	;; [unrolled: 16-line block ×3, first 2 shown]
	s_waitcnt vmcnt(0) lgkmcnt(0)
	v_mul_f64 v[16:17], v[6:7], v[24:25]
	v_mul_f64 v[24:25], v[8:9], v[24:25]
	v_add_f64 v[10:11], v[12:13], v[10:11]
	v_add_f64 v[12:13], v[30:31], v[36:37]
	v_fma_f64 v[4:5], v[4:5], v[18:19], v[32:33]
	v_fma_f64 v[1:2], v[2:3], v[18:19], -v[20:21]
	v_fma_f64 v[8:9], v[8:9], v[22:23], v[16:17]
	v_fma_f64 v[6:7], v[6:7], v[22:23], -v[24:25]
	v_add_f64 v[10:11], v[10:11], v[14:15]
	v_add_f64 v[12:13], v[12:13], v[28:29]
	s_delay_alu instid0(VALU_DEP_2) | instskip(NEXT) | instid1(VALU_DEP_2)
	v_add_f64 v[1:2], v[10:11], v[1:2]
	v_add_f64 v[3:4], v[12:13], v[4:5]
	s_delay_alu instid0(VALU_DEP_2) | instskip(NEXT) | instid1(VALU_DEP_2)
	;; [unrolled: 3-line block ×3, first 2 shown]
	v_add_f64 v[1:2], v[55:56], -v[1:2]
	v_add_f64 v[3:4], v[57:58], -v[3:4]
	scratch_store_b128 off, v[1:4], off offset:704
	v_cmpx_lt_u32_e32 43, v171
	s_cbranch_execz .LBB60_305
; %bb.304:
	scratch_load_b128 v[1:4], v186, off
	v_mov_b32_e32 v5, 0
	s_delay_alu instid0(VALU_DEP_1)
	v_mov_b32_e32 v6, v5
	v_mov_b32_e32 v7, v5
	;; [unrolled: 1-line block ×3, first 2 shown]
	scratch_store_b128 off, v[5:8], off offset:688
	s_waitcnt vmcnt(0)
	ds_store_b128 v229, v[1:4]
.LBB60_305:
	s_or_b32 exec_lo, exec_lo, s2
	s_waitcnt lgkmcnt(0)
	s_waitcnt_vscnt null, 0x0
	s_barrier
	buffer_gl0_inv
	s_clause 0x7
	scratch_load_b128 v[2:5], off, off offset:704
	scratch_load_b128 v[6:9], off, off offset:720
	;; [unrolled: 1-line block ×8, first 2 shown]
	v_mov_b32_e32 v1, 0
	s_mov_b32 s2, exec_lo
	ds_load_b128 v[34:37], v1 offset:1680
	s_clause 0x1
	scratch_load_b128 v[38:41], off, off offset:832
	scratch_load_b128 v[42:45], off, off offset:688
	ds_load_b128 v[55:58], v1 offset:1696
	scratch_load_b128 v[59:62], off, off offset:848
	ds_load_b128 v[63:66], v1 offset:1728
	s_waitcnt vmcnt(10) lgkmcnt(2)
	v_mul_f64 v[46:47], v[36:37], v[4:5]
	v_mul_f64 v[4:5], v[34:35], v[4:5]
	s_delay_alu instid0(VALU_DEP_2) | instskip(NEXT) | instid1(VALU_DEP_2)
	v_fma_f64 v[46:47], v[34:35], v[2:3], -v[46:47]
	v_fma_f64 v[69:70], v[36:37], v[2:3], v[4:5]
	ds_load_b128 v[2:5], v1 offset:1712
	s_waitcnt vmcnt(9) lgkmcnt(2)
	v_mul_f64 v[67:68], v[55:56], v[8:9]
	v_mul_f64 v[8:9], v[57:58], v[8:9]
	scratch_load_b128 v[34:37], off, off offset:864
	s_waitcnt vmcnt(9) lgkmcnt(0)
	v_mul_f64 v[85:86], v[2:3], v[12:13]
	v_mul_f64 v[12:13], v[4:5], v[12:13]
	v_add_f64 v[46:47], v[46:47], 0
	v_fma_f64 v[57:58], v[57:58], v[6:7], v[67:68]
	v_fma_f64 v[55:56], v[55:56], v[6:7], -v[8:9]
	v_add_f64 v[67:68], v[69:70], 0
	scratch_load_b128 v[6:9], off, off offset:880
	v_fma_f64 v[85:86], v[4:5], v[10:11], v[85:86]
	v_fma_f64 v[89:90], v[2:3], v[10:11], -v[12:13]
	scratch_load_b128 v[10:13], off, off offset:896
	ds_load_b128 v[2:5], v1 offset:1744
	s_waitcnt vmcnt(10)
	v_mul_f64 v[69:70], v[63:64], v[16:17]
	v_mul_f64 v[16:17], v[65:66], v[16:17]
	v_add_f64 v[46:47], v[46:47], v[55:56]
	v_add_f64 v[67:68], v[67:68], v[57:58]
	ds_load_b128 v[55:58], v1 offset:1760
	s_waitcnt vmcnt(9) lgkmcnt(1)
	v_mul_f64 v[91:92], v[2:3], v[20:21]
	v_mul_f64 v[20:21], v[4:5], v[20:21]
	v_fma_f64 v[65:66], v[65:66], v[14:15], v[69:70]
	v_fma_f64 v[63:64], v[63:64], v[14:15], -v[16:17]
	scratch_load_b128 v[14:17], off, off offset:912
	v_add_f64 v[46:47], v[46:47], v[89:90]
	v_add_f64 v[67:68], v[67:68], v[85:86]
	v_fma_f64 v[85:86], v[4:5], v[18:19], v[91:92]
	v_fma_f64 v[89:90], v[2:3], v[18:19], -v[20:21]
	scratch_load_b128 v[18:21], off, off offset:928
	ds_load_b128 v[2:5], v1 offset:1776
	s_waitcnt vmcnt(10) lgkmcnt(1)
	v_mul_f64 v[69:70], v[55:56], v[24:25]
	v_mul_f64 v[24:25], v[57:58], v[24:25]
	s_waitcnt vmcnt(9) lgkmcnt(0)
	v_mul_f64 v[91:92], v[2:3], v[28:29]
	v_mul_f64 v[28:29], v[4:5], v[28:29]
	v_add_f64 v[46:47], v[46:47], v[63:64]
	v_add_f64 v[67:68], v[67:68], v[65:66]
	ds_load_b128 v[63:66], v1 offset:1792
	v_fma_f64 v[57:58], v[57:58], v[22:23], v[69:70]
	v_fma_f64 v[55:56], v[55:56], v[22:23], -v[24:25]
	scratch_load_b128 v[22:25], off, off offset:944
	v_add_f64 v[46:47], v[46:47], v[89:90]
	v_add_f64 v[67:68], v[67:68], v[85:86]
	v_fma_f64 v[85:86], v[4:5], v[26:27], v[91:92]
	v_fma_f64 v[89:90], v[2:3], v[26:27], -v[28:29]
	scratch_load_b128 v[26:29], off, off offset:960
	ds_load_b128 v[2:5], v1 offset:1808
	s_waitcnt vmcnt(10) lgkmcnt(1)
	v_mul_f64 v[69:70], v[63:64], v[32:33]
	v_mul_f64 v[32:33], v[65:66], v[32:33]
	s_waitcnt vmcnt(9) lgkmcnt(0)
	v_mul_f64 v[91:92], v[2:3], v[40:41]
	v_mul_f64 v[40:41], v[4:5], v[40:41]
	v_add_f64 v[46:47], v[46:47], v[55:56]
	v_add_f64 v[67:68], v[67:68], v[57:58]
	ds_load_b128 v[55:58], v1 offset:1824
	v_fma_f64 v[65:66], v[65:66], v[30:31], v[69:70]
	v_fma_f64 v[30:31], v[63:64], v[30:31], -v[32:33]
	s_waitcnt vmcnt(7) lgkmcnt(0)
	v_mul_f64 v[63:64], v[55:56], v[61:62]
	v_mul_f64 v[61:62], v[57:58], v[61:62]
	v_add_f64 v[32:33], v[46:47], v[89:90]
	v_add_f64 v[46:47], v[67:68], v[85:86]
	v_fma_f64 v[67:68], v[4:5], v[38:39], v[91:92]
	v_fma_f64 v[38:39], v[2:3], v[38:39], -v[40:41]
	v_fma_f64 v[57:58], v[57:58], v[59:60], v[63:64]
	v_fma_f64 v[55:56], v[55:56], v[59:60], -v[61:62]
	v_add_f64 v[40:41], v[32:33], v[30:31]
	v_add_f64 v[46:47], v[46:47], v[65:66]
	ds_load_b128 v[2:5], v1 offset:1840
	ds_load_b128 v[30:33], v1 offset:1856
	s_waitcnt vmcnt(6) lgkmcnt(1)
	v_mul_f64 v[65:66], v[2:3], v[36:37]
	v_mul_f64 v[36:37], v[4:5], v[36:37]
	v_add_f64 v[38:39], v[40:41], v[38:39]
	v_add_f64 v[40:41], v[46:47], v[67:68]
	s_waitcnt vmcnt(5) lgkmcnt(0)
	v_mul_f64 v[46:47], v[30:31], v[8:9]
	v_mul_f64 v[8:9], v[32:33], v[8:9]
	v_fma_f64 v[59:60], v[4:5], v[34:35], v[65:66]
	v_fma_f64 v[61:62], v[2:3], v[34:35], -v[36:37]
	ds_load_b128 v[2:5], v1 offset:1872
	ds_load_b128 v[34:37], v1 offset:1888
	v_add_f64 v[38:39], v[38:39], v[55:56]
	v_add_f64 v[40:41], v[40:41], v[57:58]
	s_waitcnt vmcnt(4) lgkmcnt(1)
	v_mul_f64 v[55:56], v[2:3], v[12:13]
	v_mul_f64 v[12:13], v[4:5], v[12:13]
	v_fma_f64 v[32:33], v[32:33], v[6:7], v[46:47]
	v_fma_f64 v[6:7], v[30:31], v[6:7], -v[8:9]
	v_add_f64 v[8:9], v[38:39], v[61:62]
	v_add_f64 v[30:31], v[40:41], v[59:60]
	s_waitcnt vmcnt(3) lgkmcnt(0)
	v_mul_f64 v[38:39], v[34:35], v[16:17]
	v_mul_f64 v[16:17], v[36:37], v[16:17]
	v_fma_f64 v[40:41], v[4:5], v[10:11], v[55:56]
	v_fma_f64 v[10:11], v[2:3], v[10:11], -v[12:13]
	v_add_f64 v[12:13], v[8:9], v[6:7]
	v_add_f64 v[30:31], v[30:31], v[32:33]
	ds_load_b128 v[2:5], v1 offset:1904
	ds_load_b128 v[6:9], v1 offset:1920
	v_fma_f64 v[36:37], v[36:37], v[14:15], v[38:39]
	v_fma_f64 v[14:15], v[34:35], v[14:15], -v[16:17]
	s_waitcnt vmcnt(2) lgkmcnt(1)
	v_mul_f64 v[32:33], v[2:3], v[20:21]
	v_mul_f64 v[20:21], v[4:5], v[20:21]
	s_waitcnt vmcnt(1) lgkmcnt(0)
	v_mul_f64 v[16:17], v[6:7], v[24:25]
	v_mul_f64 v[24:25], v[8:9], v[24:25]
	v_add_f64 v[10:11], v[12:13], v[10:11]
	v_add_f64 v[12:13], v[30:31], v[40:41]
	v_fma_f64 v[30:31], v[4:5], v[18:19], v[32:33]
	v_fma_f64 v[18:19], v[2:3], v[18:19], -v[20:21]
	ds_load_b128 v[2:5], v1 offset:1936
	v_fma_f64 v[8:9], v[8:9], v[22:23], v[16:17]
	v_fma_f64 v[6:7], v[6:7], v[22:23], -v[24:25]
	v_add_f64 v[10:11], v[10:11], v[14:15]
	v_add_f64 v[12:13], v[12:13], v[36:37]
	s_waitcnt vmcnt(0) lgkmcnt(0)
	v_mul_f64 v[14:15], v[2:3], v[28:29]
	v_mul_f64 v[20:21], v[4:5], v[28:29]
	s_delay_alu instid0(VALU_DEP_4) | instskip(NEXT) | instid1(VALU_DEP_4)
	v_add_f64 v[10:11], v[10:11], v[18:19]
	v_add_f64 v[12:13], v[12:13], v[30:31]
	s_delay_alu instid0(VALU_DEP_4) | instskip(NEXT) | instid1(VALU_DEP_4)
	v_fma_f64 v[4:5], v[4:5], v[26:27], v[14:15]
	v_fma_f64 v[2:3], v[2:3], v[26:27], -v[20:21]
	s_delay_alu instid0(VALU_DEP_4) | instskip(NEXT) | instid1(VALU_DEP_4)
	v_add_f64 v[6:7], v[10:11], v[6:7]
	v_add_f64 v[8:9], v[12:13], v[8:9]
	s_delay_alu instid0(VALU_DEP_2) | instskip(NEXT) | instid1(VALU_DEP_2)
	v_add_f64 v[2:3], v[6:7], v[2:3]
	v_add_f64 v[4:5], v[8:9], v[4:5]
	s_delay_alu instid0(VALU_DEP_2) | instskip(NEXT) | instid1(VALU_DEP_2)
	v_add_f64 v[2:3], v[42:43], -v[2:3]
	v_add_f64 v[4:5], v[44:45], -v[4:5]
	scratch_store_b128 off, v[2:5], off offset:688
	v_cmpx_lt_u32_e32 42, v171
	s_cbranch_execz .LBB60_307
; %bb.306:
	scratch_load_b128 v[5:8], v187, off
	v_mov_b32_e32 v2, v1
	v_mov_b32_e32 v3, v1
	;; [unrolled: 1-line block ×3, first 2 shown]
	scratch_store_b128 off, v[1:4], off offset:672
	s_waitcnt vmcnt(0)
	ds_store_b128 v229, v[5:8]
.LBB60_307:
	s_or_b32 exec_lo, exec_lo, s2
	s_waitcnt lgkmcnt(0)
	s_waitcnt_vscnt null, 0x0
	s_barrier
	buffer_gl0_inv
	s_clause 0x8
	scratch_load_b128 v[2:5], off, off offset:688
	scratch_load_b128 v[6:9], off, off offset:704
	;; [unrolled: 1-line block ×9, first 2 shown]
	ds_load_b128 v[38:41], v1 offset:1664
	ds_load_b128 v[42:45], v1 offset:1680
	s_clause 0x1
	scratch_load_b128 v[55:58], off, off offset:672
	scratch_load_b128 v[59:62], off, off offset:832
	s_mov_b32 s2, exec_lo
	ds_load_b128 v[63:66], v1 offset:1712
	s_waitcnt vmcnt(10) lgkmcnt(2)
	v_mul_f64 v[46:47], v[40:41], v[4:5]
	v_mul_f64 v[4:5], v[38:39], v[4:5]
	s_waitcnt vmcnt(9) lgkmcnt(1)
	v_mul_f64 v[67:68], v[42:43], v[8:9]
	v_mul_f64 v[8:9], v[44:45], v[8:9]
	s_delay_alu instid0(VALU_DEP_4) | instskip(NEXT) | instid1(VALU_DEP_4)
	v_fma_f64 v[46:47], v[38:39], v[2:3], -v[46:47]
	v_fma_f64 v[69:70], v[40:41], v[2:3], v[4:5]
	ds_load_b128 v[2:5], v1 offset:1696
	scratch_load_b128 v[38:41], off, off offset:848
	v_fma_f64 v[44:45], v[44:45], v[6:7], v[67:68]
	v_fma_f64 v[42:43], v[42:43], v[6:7], -v[8:9]
	scratch_load_b128 v[6:9], off, off offset:864
	s_waitcnt vmcnt(10) lgkmcnt(0)
	v_mul_f64 v[85:86], v[2:3], v[12:13]
	v_mul_f64 v[12:13], v[4:5], v[12:13]
	v_add_f64 v[46:47], v[46:47], 0
	v_add_f64 v[67:68], v[69:70], 0
	s_waitcnt vmcnt(9)
	v_mul_f64 v[69:70], v[63:64], v[16:17]
	v_mul_f64 v[16:17], v[65:66], v[16:17]
	v_fma_f64 v[85:86], v[4:5], v[10:11], v[85:86]
	v_fma_f64 v[89:90], v[2:3], v[10:11], -v[12:13]
	ds_load_b128 v[2:5], v1 offset:1728
	scratch_load_b128 v[10:13], off, off offset:880
	v_add_f64 v[46:47], v[46:47], v[42:43]
	v_add_f64 v[67:68], v[67:68], v[44:45]
	ds_load_b128 v[42:45], v1 offset:1744
	v_fma_f64 v[65:66], v[65:66], v[14:15], v[69:70]
	v_fma_f64 v[63:64], v[63:64], v[14:15], -v[16:17]
	scratch_load_b128 v[14:17], off, off offset:896
	s_waitcnt vmcnt(10) lgkmcnt(1)
	v_mul_f64 v[91:92], v[2:3], v[20:21]
	v_mul_f64 v[20:21], v[4:5], v[20:21]
	s_waitcnt vmcnt(9) lgkmcnt(0)
	v_mul_f64 v[69:70], v[42:43], v[24:25]
	v_mul_f64 v[24:25], v[44:45], v[24:25]
	v_add_f64 v[46:47], v[46:47], v[89:90]
	v_add_f64 v[67:68], v[67:68], v[85:86]
	v_fma_f64 v[85:86], v[4:5], v[18:19], v[91:92]
	v_fma_f64 v[89:90], v[2:3], v[18:19], -v[20:21]
	ds_load_b128 v[2:5], v1 offset:1760
	scratch_load_b128 v[18:21], off, off offset:912
	v_fma_f64 v[44:45], v[44:45], v[22:23], v[69:70]
	v_fma_f64 v[42:43], v[42:43], v[22:23], -v[24:25]
	scratch_load_b128 v[22:25], off, off offset:928
	v_add_f64 v[46:47], v[46:47], v[63:64]
	v_add_f64 v[67:68], v[67:68], v[65:66]
	ds_load_b128 v[63:66], v1 offset:1776
	s_waitcnt vmcnt(10) lgkmcnt(1)
	v_mul_f64 v[91:92], v[2:3], v[28:29]
	v_mul_f64 v[28:29], v[4:5], v[28:29]
	s_waitcnt vmcnt(9) lgkmcnt(0)
	v_mul_f64 v[69:70], v[63:64], v[32:33]
	v_mul_f64 v[32:33], v[65:66], v[32:33]
	v_add_f64 v[46:47], v[46:47], v[89:90]
	v_add_f64 v[67:68], v[67:68], v[85:86]
	v_fma_f64 v[85:86], v[4:5], v[26:27], v[91:92]
	v_fma_f64 v[89:90], v[2:3], v[26:27], -v[28:29]
	ds_load_b128 v[2:5], v1 offset:1792
	scratch_load_b128 v[26:29], off, off offset:944
	v_fma_f64 v[65:66], v[65:66], v[30:31], v[69:70]
	v_fma_f64 v[63:64], v[63:64], v[30:31], -v[32:33]
	scratch_load_b128 v[30:33], off, off offset:960
	v_add_f64 v[46:47], v[46:47], v[42:43]
	v_add_f64 v[67:68], v[67:68], v[44:45]
	ds_load_b128 v[42:45], v1 offset:1808
	s_waitcnt vmcnt(10) lgkmcnt(1)
	v_mul_f64 v[91:92], v[2:3], v[36:37]
	v_mul_f64 v[36:37], v[4:5], v[36:37]
	s_waitcnt vmcnt(8) lgkmcnt(0)
	v_mul_f64 v[69:70], v[42:43], v[61:62]
	v_mul_f64 v[61:62], v[44:45], v[61:62]
	v_add_f64 v[46:47], v[46:47], v[89:90]
	v_add_f64 v[67:68], v[67:68], v[85:86]
	v_fma_f64 v[85:86], v[4:5], v[34:35], v[91:92]
	v_fma_f64 v[89:90], v[2:3], v[34:35], -v[36:37]
	ds_load_b128 v[2:5], v1 offset:1824
	ds_load_b128 v[34:37], v1 offset:1840
	v_fma_f64 v[44:45], v[44:45], v[59:60], v[69:70]
	v_fma_f64 v[42:43], v[42:43], v[59:60], -v[61:62]
	v_add_f64 v[46:47], v[46:47], v[63:64]
	v_add_f64 v[63:64], v[67:68], v[65:66]
	s_waitcnt vmcnt(7) lgkmcnt(1)
	v_mul_f64 v[65:66], v[2:3], v[40:41]
	v_mul_f64 v[40:41], v[4:5], v[40:41]
	s_waitcnt vmcnt(6) lgkmcnt(0)
	v_mul_f64 v[61:62], v[34:35], v[8:9]
	v_mul_f64 v[8:9], v[36:37], v[8:9]
	v_add_f64 v[46:47], v[46:47], v[89:90]
	v_add_f64 v[59:60], v[63:64], v[85:86]
	v_fma_f64 v[63:64], v[4:5], v[38:39], v[65:66]
	v_fma_f64 v[65:66], v[2:3], v[38:39], -v[40:41]
	ds_load_b128 v[2:5], v1 offset:1856
	ds_load_b128 v[38:41], v1 offset:1872
	v_fma_f64 v[36:37], v[36:37], v[6:7], v[61:62]
	v_fma_f64 v[6:7], v[34:35], v[6:7], -v[8:9]
	v_add_f64 v[42:43], v[46:47], v[42:43]
	v_add_f64 v[44:45], v[59:60], v[44:45]
	s_waitcnt vmcnt(5) lgkmcnt(1)
	v_mul_f64 v[46:47], v[2:3], v[12:13]
	v_mul_f64 v[12:13], v[4:5], v[12:13]
	s_delay_alu instid0(VALU_DEP_4) | instskip(NEXT) | instid1(VALU_DEP_4)
	v_add_f64 v[8:9], v[42:43], v[65:66]
	v_add_f64 v[34:35], v[44:45], v[63:64]
	s_waitcnt vmcnt(4) lgkmcnt(0)
	v_mul_f64 v[42:43], v[38:39], v[16:17]
	v_mul_f64 v[16:17], v[40:41], v[16:17]
	v_fma_f64 v[44:45], v[4:5], v[10:11], v[46:47]
	v_fma_f64 v[10:11], v[2:3], v[10:11], -v[12:13]
	v_add_f64 v[12:13], v[8:9], v[6:7]
	v_add_f64 v[34:35], v[34:35], v[36:37]
	ds_load_b128 v[2:5], v1 offset:1888
	ds_load_b128 v[6:9], v1 offset:1904
	v_fma_f64 v[40:41], v[40:41], v[14:15], v[42:43]
	v_fma_f64 v[14:15], v[38:39], v[14:15], -v[16:17]
	s_waitcnt vmcnt(3) lgkmcnt(1)
	v_mul_f64 v[36:37], v[2:3], v[20:21]
	v_mul_f64 v[20:21], v[4:5], v[20:21]
	s_waitcnt vmcnt(2) lgkmcnt(0)
	v_mul_f64 v[16:17], v[6:7], v[24:25]
	v_mul_f64 v[24:25], v[8:9], v[24:25]
	v_add_f64 v[10:11], v[12:13], v[10:11]
	v_add_f64 v[12:13], v[34:35], v[44:45]
	v_fma_f64 v[34:35], v[4:5], v[18:19], v[36:37]
	v_fma_f64 v[18:19], v[2:3], v[18:19], -v[20:21]
	v_fma_f64 v[8:9], v[8:9], v[22:23], v[16:17]
	v_fma_f64 v[6:7], v[6:7], v[22:23], -v[24:25]
	v_add_f64 v[14:15], v[10:11], v[14:15]
	v_add_f64 v[20:21], v[12:13], v[40:41]
	ds_load_b128 v[2:5], v1 offset:1920
	ds_load_b128 v[10:13], v1 offset:1936
	s_waitcnt vmcnt(1) lgkmcnt(1)
	v_mul_f64 v[36:37], v[2:3], v[28:29]
	v_mul_f64 v[28:29], v[4:5], v[28:29]
	v_add_f64 v[14:15], v[14:15], v[18:19]
	v_add_f64 v[16:17], v[20:21], v[34:35]
	s_waitcnt vmcnt(0) lgkmcnt(0)
	v_mul_f64 v[18:19], v[10:11], v[32:33]
	v_mul_f64 v[20:21], v[12:13], v[32:33]
	v_fma_f64 v[4:5], v[4:5], v[26:27], v[36:37]
	v_fma_f64 v[1:2], v[2:3], v[26:27], -v[28:29]
	v_add_f64 v[6:7], v[14:15], v[6:7]
	v_add_f64 v[8:9], v[16:17], v[8:9]
	v_fma_f64 v[12:13], v[12:13], v[30:31], v[18:19]
	v_fma_f64 v[10:11], v[10:11], v[30:31], -v[20:21]
	s_delay_alu instid0(VALU_DEP_4) | instskip(NEXT) | instid1(VALU_DEP_4)
	v_add_f64 v[1:2], v[6:7], v[1:2]
	v_add_f64 v[3:4], v[8:9], v[4:5]
	s_delay_alu instid0(VALU_DEP_2) | instskip(NEXT) | instid1(VALU_DEP_2)
	v_add_f64 v[1:2], v[1:2], v[10:11]
	v_add_f64 v[3:4], v[3:4], v[12:13]
	s_delay_alu instid0(VALU_DEP_2) | instskip(NEXT) | instid1(VALU_DEP_2)
	v_add_f64 v[1:2], v[55:56], -v[1:2]
	v_add_f64 v[3:4], v[57:58], -v[3:4]
	scratch_store_b128 off, v[1:4], off offset:672
	v_cmpx_lt_u32_e32 41, v171
	s_cbranch_execz .LBB60_309
; %bb.308:
	scratch_load_b128 v[1:4], v188, off
	v_mov_b32_e32 v5, 0
	s_delay_alu instid0(VALU_DEP_1)
	v_mov_b32_e32 v6, v5
	v_mov_b32_e32 v7, v5
	;; [unrolled: 1-line block ×3, first 2 shown]
	scratch_store_b128 off, v[5:8], off offset:656
	s_waitcnt vmcnt(0)
	ds_store_b128 v229, v[1:4]
.LBB60_309:
	s_or_b32 exec_lo, exec_lo, s2
	s_waitcnt lgkmcnt(0)
	s_waitcnt_vscnt null, 0x0
	s_barrier
	buffer_gl0_inv
	s_clause 0x7
	scratch_load_b128 v[2:5], off, off offset:672
	scratch_load_b128 v[6:9], off, off offset:688
	;; [unrolled: 1-line block ×8, first 2 shown]
	v_mov_b32_e32 v1, 0
	s_mov_b32 s2, exec_lo
	ds_load_b128 v[34:37], v1 offset:1648
	s_clause 0x1
	scratch_load_b128 v[38:41], off, off offset:800
	scratch_load_b128 v[42:45], off, off offset:656
	ds_load_b128 v[55:58], v1 offset:1664
	scratch_load_b128 v[59:62], off, off offset:816
	ds_load_b128 v[63:66], v1 offset:1696
	s_waitcnt vmcnt(10) lgkmcnt(2)
	v_mul_f64 v[46:47], v[36:37], v[4:5]
	v_mul_f64 v[4:5], v[34:35], v[4:5]
	s_delay_alu instid0(VALU_DEP_2) | instskip(NEXT) | instid1(VALU_DEP_2)
	v_fma_f64 v[46:47], v[34:35], v[2:3], -v[46:47]
	v_fma_f64 v[69:70], v[36:37], v[2:3], v[4:5]
	ds_load_b128 v[2:5], v1 offset:1680
	s_waitcnt vmcnt(9) lgkmcnt(2)
	v_mul_f64 v[67:68], v[55:56], v[8:9]
	v_mul_f64 v[8:9], v[57:58], v[8:9]
	scratch_load_b128 v[34:37], off, off offset:832
	s_waitcnt vmcnt(9) lgkmcnt(0)
	v_mul_f64 v[85:86], v[2:3], v[12:13]
	v_mul_f64 v[12:13], v[4:5], v[12:13]
	v_add_f64 v[46:47], v[46:47], 0
	v_fma_f64 v[57:58], v[57:58], v[6:7], v[67:68]
	v_fma_f64 v[55:56], v[55:56], v[6:7], -v[8:9]
	v_add_f64 v[67:68], v[69:70], 0
	scratch_load_b128 v[6:9], off, off offset:848
	v_fma_f64 v[85:86], v[4:5], v[10:11], v[85:86]
	v_fma_f64 v[89:90], v[2:3], v[10:11], -v[12:13]
	scratch_load_b128 v[10:13], off, off offset:864
	ds_load_b128 v[2:5], v1 offset:1712
	s_waitcnt vmcnt(10)
	v_mul_f64 v[69:70], v[63:64], v[16:17]
	v_mul_f64 v[16:17], v[65:66], v[16:17]
	v_add_f64 v[46:47], v[46:47], v[55:56]
	v_add_f64 v[67:68], v[67:68], v[57:58]
	ds_load_b128 v[55:58], v1 offset:1728
	s_waitcnt vmcnt(9) lgkmcnt(1)
	v_mul_f64 v[91:92], v[2:3], v[20:21]
	v_mul_f64 v[20:21], v[4:5], v[20:21]
	v_fma_f64 v[65:66], v[65:66], v[14:15], v[69:70]
	v_fma_f64 v[63:64], v[63:64], v[14:15], -v[16:17]
	scratch_load_b128 v[14:17], off, off offset:880
	v_add_f64 v[46:47], v[46:47], v[89:90]
	v_add_f64 v[67:68], v[67:68], v[85:86]
	v_fma_f64 v[85:86], v[4:5], v[18:19], v[91:92]
	v_fma_f64 v[89:90], v[2:3], v[18:19], -v[20:21]
	scratch_load_b128 v[18:21], off, off offset:896
	ds_load_b128 v[2:5], v1 offset:1744
	s_waitcnt vmcnt(10) lgkmcnt(1)
	v_mul_f64 v[69:70], v[55:56], v[24:25]
	v_mul_f64 v[24:25], v[57:58], v[24:25]
	s_waitcnt vmcnt(9) lgkmcnt(0)
	v_mul_f64 v[91:92], v[2:3], v[28:29]
	v_mul_f64 v[28:29], v[4:5], v[28:29]
	v_add_f64 v[46:47], v[46:47], v[63:64]
	v_add_f64 v[67:68], v[67:68], v[65:66]
	ds_load_b128 v[63:66], v1 offset:1760
	v_fma_f64 v[57:58], v[57:58], v[22:23], v[69:70]
	v_fma_f64 v[55:56], v[55:56], v[22:23], -v[24:25]
	scratch_load_b128 v[22:25], off, off offset:912
	v_add_f64 v[46:47], v[46:47], v[89:90]
	v_add_f64 v[67:68], v[67:68], v[85:86]
	v_fma_f64 v[85:86], v[4:5], v[26:27], v[91:92]
	v_fma_f64 v[89:90], v[2:3], v[26:27], -v[28:29]
	scratch_load_b128 v[26:29], off, off offset:928
	ds_load_b128 v[2:5], v1 offset:1776
	s_waitcnt vmcnt(10) lgkmcnt(1)
	v_mul_f64 v[69:70], v[63:64], v[32:33]
	v_mul_f64 v[32:33], v[65:66], v[32:33]
	s_waitcnt vmcnt(9) lgkmcnt(0)
	v_mul_f64 v[91:92], v[2:3], v[40:41]
	v_mul_f64 v[40:41], v[4:5], v[40:41]
	v_add_f64 v[46:47], v[46:47], v[55:56]
	v_add_f64 v[67:68], v[67:68], v[57:58]
	ds_load_b128 v[55:58], v1 offset:1792
	v_fma_f64 v[65:66], v[65:66], v[30:31], v[69:70]
	v_fma_f64 v[63:64], v[63:64], v[30:31], -v[32:33]
	scratch_load_b128 v[30:33], off, off offset:944
	v_add_f64 v[46:47], v[46:47], v[89:90]
	v_add_f64 v[67:68], v[67:68], v[85:86]
	v_fma_f64 v[89:90], v[4:5], v[38:39], v[91:92]
	v_fma_f64 v[91:92], v[2:3], v[38:39], -v[40:41]
	scratch_load_b128 v[38:41], off, off offset:960
	ds_load_b128 v[2:5], v1 offset:1808
	s_waitcnt vmcnt(9) lgkmcnt(1)
	v_mul_f64 v[69:70], v[55:56], v[61:62]
	v_mul_f64 v[85:86], v[57:58], v[61:62]
	v_add_f64 v[46:47], v[46:47], v[63:64]
	v_add_f64 v[65:66], v[67:68], v[65:66]
	ds_load_b128 v[61:64], v1 offset:1824
	v_fma_f64 v[57:58], v[57:58], v[59:60], v[69:70]
	v_fma_f64 v[55:56], v[55:56], v[59:60], -v[85:86]
	s_waitcnt vmcnt(8) lgkmcnt(1)
	v_mul_f64 v[67:68], v[2:3], v[36:37]
	v_mul_f64 v[36:37], v[4:5], v[36:37]
	v_add_f64 v[46:47], v[46:47], v[91:92]
	v_add_f64 v[59:60], v[65:66], v[89:90]
	s_delay_alu instid0(VALU_DEP_4)
	v_fma_f64 v[67:68], v[4:5], v[34:35], v[67:68]
	s_waitcnt vmcnt(7) lgkmcnt(0)
	v_mul_f64 v[65:66], v[61:62], v[8:9]
	v_mul_f64 v[8:9], v[63:64], v[8:9]
	v_fma_f64 v[69:70], v[2:3], v[34:35], -v[36:37]
	ds_load_b128 v[2:5], v1 offset:1840
	ds_load_b128 v[34:37], v1 offset:1856
	v_add_f64 v[46:47], v[46:47], v[55:56]
	v_add_f64 v[55:56], v[59:60], v[57:58]
	s_waitcnt vmcnt(6) lgkmcnt(1)
	v_mul_f64 v[57:58], v[2:3], v[12:13]
	v_mul_f64 v[12:13], v[4:5], v[12:13]
	v_fma_f64 v[59:60], v[63:64], v[6:7], v[65:66]
	v_fma_f64 v[6:7], v[61:62], v[6:7], -v[8:9]
	v_add_f64 v[8:9], v[46:47], v[69:70]
	v_add_f64 v[46:47], v[55:56], v[67:68]
	s_waitcnt vmcnt(5) lgkmcnt(0)
	v_mul_f64 v[55:56], v[34:35], v[16:17]
	v_mul_f64 v[16:17], v[36:37], v[16:17]
	v_fma_f64 v[57:58], v[4:5], v[10:11], v[57:58]
	v_fma_f64 v[10:11], v[2:3], v[10:11], -v[12:13]
	v_add_f64 v[12:13], v[8:9], v[6:7]
	v_add_f64 v[46:47], v[46:47], v[59:60]
	ds_load_b128 v[2:5], v1 offset:1872
	ds_load_b128 v[6:9], v1 offset:1888
	v_fma_f64 v[36:37], v[36:37], v[14:15], v[55:56]
	v_fma_f64 v[14:15], v[34:35], v[14:15], -v[16:17]
	s_waitcnt vmcnt(4) lgkmcnt(1)
	v_mul_f64 v[59:60], v[2:3], v[20:21]
	v_mul_f64 v[20:21], v[4:5], v[20:21]
	s_waitcnt vmcnt(3) lgkmcnt(0)
	v_mul_f64 v[16:17], v[6:7], v[24:25]
	v_mul_f64 v[24:25], v[8:9], v[24:25]
	v_add_f64 v[10:11], v[12:13], v[10:11]
	v_add_f64 v[12:13], v[46:47], v[57:58]
	v_fma_f64 v[34:35], v[4:5], v[18:19], v[59:60]
	v_fma_f64 v[18:19], v[2:3], v[18:19], -v[20:21]
	v_fma_f64 v[8:9], v[8:9], v[22:23], v[16:17]
	v_fma_f64 v[6:7], v[6:7], v[22:23], -v[24:25]
	v_add_f64 v[14:15], v[10:11], v[14:15]
	v_add_f64 v[20:21], v[12:13], v[36:37]
	ds_load_b128 v[2:5], v1 offset:1904
	ds_load_b128 v[10:13], v1 offset:1920
	s_waitcnt vmcnt(2) lgkmcnt(1)
	v_mul_f64 v[36:37], v[2:3], v[28:29]
	v_mul_f64 v[28:29], v[4:5], v[28:29]
	v_add_f64 v[14:15], v[14:15], v[18:19]
	v_add_f64 v[16:17], v[20:21], v[34:35]
	s_waitcnt vmcnt(1) lgkmcnt(0)
	v_mul_f64 v[18:19], v[10:11], v[32:33]
	v_mul_f64 v[20:21], v[12:13], v[32:33]
	v_fma_f64 v[22:23], v[4:5], v[26:27], v[36:37]
	v_fma_f64 v[24:25], v[2:3], v[26:27], -v[28:29]
	ds_load_b128 v[2:5], v1 offset:1936
	v_add_f64 v[6:7], v[14:15], v[6:7]
	v_add_f64 v[8:9], v[16:17], v[8:9]
	v_fma_f64 v[12:13], v[12:13], v[30:31], v[18:19]
	v_fma_f64 v[10:11], v[10:11], v[30:31], -v[20:21]
	s_waitcnt vmcnt(0) lgkmcnt(0)
	v_mul_f64 v[14:15], v[2:3], v[40:41]
	v_mul_f64 v[16:17], v[4:5], v[40:41]
	v_add_f64 v[6:7], v[6:7], v[24:25]
	v_add_f64 v[8:9], v[8:9], v[22:23]
	s_delay_alu instid0(VALU_DEP_4) | instskip(NEXT) | instid1(VALU_DEP_4)
	v_fma_f64 v[4:5], v[4:5], v[38:39], v[14:15]
	v_fma_f64 v[2:3], v[2:3], v[38:39], -v[16:17]
	s_delay_alu instid0(VALU_DEP_4) | instskip(NEXT) | instid1(VALU_DEP_4)
	v_add_f64 v[6:7], v[6:7], v[10:11]
	v_add_f64 v[8:9], v[8:9], v[12:13]
	s_delay_alu instid0(VALU_DEP_2) | instskip(NEXT) | instid1(VALU_DEP_2)
	v_add_f64 v[2:3], v[6:7], v[2:3]
	v_add_f64 v[4:5], v[8:9], v[4:5]
	s_delay_alu instid0(VALU_DEP_2) | instskip(NEXT) | instid1(VALU_DEP_2)
	v_add_f64 v[2:3], v[42:43], -v[2:3]
	v_add_f64 v[4:5], v[44:45], -v[4:5]
	scratch_store_b128 off, v[2:5], off offset:656
	v_cmpx_lt_u32_e32 40, v171
	s_cbranch_execz .LBB60_311
; %bb.310:
	scratch_load_b128 v[5:8], v189, off
	v_mov_b32_e32 v2, v1
	v_mov_b32_e32 v3, v1
	;; [unrolled: 1-line block ×3, first 2 shown]
	scratch_store_b128 off, v[1:4], off offset:640
	s_waitcnt vmcnt(0)
	ds_store_b128 v229, v[5:8]
.LBB60_311:
	s_or_b32 exec_lo, exec_lo, s2
	s_waitcnt lgkmcnt(0)
	s_waitcnt_vscnt null, 0x0
	s_barrier
	buffer_gl0_inv
	s_clause 0x8
	scratch_load_b128 v[2:5], off, off offset:656
	scratch_load_b128 v[6:9], off, off offset:672
	;; [unrolled: 1-line block ×9, first 2 shown]
	ds_load_b128 v[38:41], v1 offset:1632
	ds_load_b128 v[42:45], v1 offset:1648
	s_clause 0x1
	scratch_load_b128 v[55:58], off, off offset:640
	scratch_load_b128 v[59:62], off, off offset:800
	s_mov_b32 s2, exec_lo
	ds_load_b128 v[63:66], v1 offset:1680
	s_waitcnt vmcnt(10) lgkmcnt(2)
	v_mul_f64 v[46:47], v[40:41], v[4:5]
	v_mul_f64 v[4:5], v[38:39], v[4:5]
	s_waitcnt vmcnt(9) lgkmcnt(1)
	v_mul_f64 v[67:68], v[42:43], v[8:9]
	v_mul_f64 v[8:9], v[44:45], v[8:9]
	s_delay_alu instid0(VALU_DEP_4) | instskip(NEXT) | instid1(VALU_DEP_4)
	v_fma_f64 v[46:47], v[38:39], v[2:3], -v[46:47]
	v_fma_f64 v[69:70], v[40:41], v[2:3], v[4:5]
	ds_load_b128 v[2:5], v1 offset:1664
	scratch_load_b128 v[38:41], off, off offset:816
	v_fma_f64 v[44:45], v[44:45], v[6:7], v[67:68]
	v_fma_f64 v[42:43], v[42:43], v[6:7], -v[8:9]
	scratch_load_b128 v[6:9], off, off offset:832
	s_waitcnt vmcnt(10) lgkmcnt(0)
	v_mul_f64 v[85:86], v[2:3], v[12:13]
	v_mul_f64 v[12:13], v[4:5], v[12:13]
	v_add_f64 v[46:47], v[46:47], 0
	v_add_f64 v[67:68], v[69:70], 0
	s_waitcnt vmcnt(9)
	v_mul_f64 v[69:70], v[63:64], v[16:17]
	v_mul_f64 v[16:17], v[65:66], v[16:17]
	v_fma_f64 v[85:86], v[4:5], v[10:11], v[85:86]
	v_fma_f64 v[89:90], v[2:3], v[10:11], -v[12:13]
	ds_load_b128 v[2:5], v1 offset:1696
	scratch_load_b128 v[10:13], off, off offset:848
	v_add_f64 v[46:47], v[46:47], v[42:43]
	v_add_f64 v[67:68], v[67:68], v[44:45]
	ds_load_b128 v[42:45], v1 offset:1712
	v_fma_f64 v[65:66], v[65:66], v[14:15], v[69:70]
	v_fma_f64 v[63:64], v[63:64], v[14:15], -v[16:17]
	scratch_load_b128 v[14:17], off, off offset:864
	s_waitcnt vmcnt(10) lgkmcnt(1)
	v_mul_f64 v[91:92], v[2:3], v[20:21]
	v_mul_f64 v[20:21], v[4:5], v[20:21]
	s_waitcnt vmcnt(9) lgkmcnt(0)
	v_mul_f64 v[69:70], v[42:43], v[24:25]
	v_mul_f64 v[24:25], v[44:45], v[24:25]
	v_add_f64 v[46:47], v[46:47], v[89:90]
	v_add_f64 v[67:68], v[67:68], v[85:86]
	v_fma_f64 v[85:86], v[4:5], v[18:19], v[91:92]
	v_fma_f64 v[89:90], v[2:3], v[18:19], -v[20:21]
	ds_load_b128 v[2:5], v1 offset:1728
	scratch_load_b128 v[18:21], off, off offset:880
	v_fma_f64 v[44:45], v[44:45], v[22:23], v[69:70]
	v_fma_f64 v[42:43], v[42:43], v[22:23], -v[24:25]
	scratch_load_b128 v[22:25], off, off offset:896
	v_add_f64 v[46:47], v[46:47], v[63:64]
	v_add_f64 v[67:68], v[67:68], v[65:66]
	ds_load_b128 v[63:66], v1 offset:1744
	s_waitcnt vmcnt(10) lgkmcnt(1)
	v_mul_f64 v[91:92], v[2:3], v[28:29]
	v_mul_f64 v[28:29], v[4:5], v[28:29]
	s_waitcnt vmcnt(9) lgkmcnt(0)
	v_mul_f64 v[69:70], v[63:64], v[32:33]
	v_mul_f64 v[32:33], v[65:66], v[32:33]
	v_add_f64 v[46:47], v[46:47], v[89:90]
	v_add_f64 v[67:68], v[67:68], v[85:86]
	v_fma_f64 v[85:86], v[4:5], v[26:27], v[91:92]
	v_fma_f64 v[89:90], v[2:3], v[26:27], -v[28:29]
	ds_load_b128 v[2:5], v1 offset:1760
	scratch_load_b128 v[26:29], off, off offset:912
	v_fma_f64 v[65:66], v[65:66], v[30:31], v[69:70]
	v_fma_f64 v[63:64], v[63:64], v[30:31], -v[32:33]
	scratch_load_b128 v[30:33], off, off offset:928
	v_add_f64 v[46:47], v[46:47], v[42:43]
	v_add_f64 v[67:68], v[67:68], v[44:45]
	ds_load_b128 v[42:45], v1 offset:1776
	s_waitcnt vmcnt(10) lgkmcnt(1)
	v_mul_f64 v[91:92], v[2:3], v[36:37]
	v_mul_f64 v[36:37], v[4:5], v[36:37]
	s_waitcnt vmcnt(8) lgkmcnt(0)
	v_mul_f64 v[69:70], v[42:43], v[61:62]
	v_add_f64 v[46:47], v[46:47], v[89:90]
	v_add_f64 v[67:68], v[67:68], v[85:86]
	v_mul_f64 v[85:86], v[44:45], v[61:62]
	v_fma_f64 v[89:90], v[4:5], v[34:35], v[91:92]
	v_fma_f64 v[91:92], v[2:3], v[34:35], -v[36:37]
	ds_load_b128 v[2:5], v1 offset:1792
	scratch_load_b128 v[34:37], off, off offset:944
	v_fma_f64 v[44:45], v[44:45], v[59:60], v[69:70]
	v_add_f64 v[46:47], v[46:47], v[63:64]
	v_add_f64 v[65:66], v[67:68], v[65:66]
	ds_load_b128 v[61:64], v1 offset:1808
	v_fma_f64 v[59:60], v[42:43], v[59:60], -v[85:86]
	s_waitcnt vmcnt(8) lgkmcnt(1)
	v_mul_f64 v[67:68], v[2:3], v[40:41]
	v_mul_f64 v[93:94], v[4:5], v[40:41]
	scratch_load_b128 v[40:43], off, off offset:960
	s_waitcnt vmcnt(8) lgkmcnt(0)
	v_mul_f64 v[69:70], v[61:62], v[8:9]
	v_mul_f64 v[8:9], v[63:64], v[8:9]
	v_add_f64 v[46:47], v[46:47], v[91:92]
	v_add_f64 v[65:66], v[65:66], v[89:90]
	v_fma_f64 v[85:86], v[4:5], v[38:39], v[67:68]
	v_fma_f64 v[38:39], v[2:3], v[38:39], -v[93:94]
	v_fma_f64 v[63:64], v[63:64], v[6:7], v[69:70]
	v_fma_f64 v[6:7], v[61:62], v[6:7], -v[8:9]
	v_add_f64 v[46:47], v[46:47], v[59:60]
	v_add_f64 v[44:45], v[65:66], v[44:45]
	ds_load_b128 v[2:5], v1 offset:1824
	ds_load_b128 v[65:68], v1 offset:1840
	s_waitcnt vmcnt(7) lgkmcnt(1)
	v_mul_f64 v[59:60], v[2:3], v[12:13]
	v_mul_f64 v[12:13], v[4:5], v[12:13]
	v_add_f64 v[8:9], v[46:47], v[38:39]
	v_add_f64 v[38:39], v[44:45], v[85:86]
	s_waitcnt vmcnt(6) lgkmcnt(0)
	v_mul_f64 v[44:45], v[65:66], v[16:17]
	v_mul_f64 v[16:17], v[67:68], v[16:17]
	v_fma_f64 v[46:47], v[4:5], v[10:11], v[59:60]
	v_fma_f64 v[10:11], v[2:3], v[10:11], -v[12:13]
	v_add_f64 v[12:13], v[8:9], v[6:7]
	v_add_f64 v[38:39], v[38:39], v[63:64]
	ds_load_b128 v[2:5], v1 offset:1856
	ds_load_b128 v[6:9], v1 offset:1872
	v_fma_f64 v[44:45], v[67:68], v[14:15], v[44:45]
	v_fma_f64 v[14:15], v[65:66], v[14:15], -v[16:17]
	s_waitcnt vmcnt(5) lgkmcnt(1)
	v_mul_f64 v[59:60], v[2:3], v[20:21]
	v_mul_f64 v[20:21], v[4:5], v[20:21]
	s_waitcnt vmcnt(4) lgkmcnt(0)
	v_mul_f64 v[16:17], v[6:7], v[24:25]
	v_mul_f64 v[24:25], v[8:9], v[24:25]
	v_add_f64 v[10:11], v[12:13], v[10:11]
	v_add_f64 v[12:13], v[38:39], v[46:47]
	v_fma_f64 v[38:39], v[4:5], v[18:19], v[59:60]
	v_fma_f64 v[18:19], v[2:3], v[18:19], -v[20:21]
	v_fma_f64 v[8:9], v[8:9], v[22:23], v[16:17]
	v_fma_f64 v[6:7], v[6:7], v[22:23], -v[24:25]
	v_add_f64 v[14:15], v[10:11], v[14:15]
	v_add_f64 v[20:21], v[12:13], v[44:45]
	ds_load_b128 v[2:5], v1 offset:1888
	ds_load_b128 v[10:13], v1 offset:1904
	s_waitcnt vmcnt(3) lgkmcnt(1)
	v_mul_f64 v[44:45], v[2:3], v[28:29]
	v_mul_f64 v[28:29], v[4:5], v[28:29]
	v_add_f64 v[14:15], v[14:15], v[18:19]
	v_add_f64 v[16:17], v[20:21], v[38:39]
	s_waitcnt vmcnt(2) lgkmcnt(0)
	v_mul_f64 v[18:19], v[10:11], v[32:33]
	v_mul_f64 v[20:21], v[12:13], v[32:33]
	v_fma_f64 v[22:23], v[4:5], v[26:27], v[44:45]
	v_fma_f64 v[24:25], v[2:3], v[26:27], -v[28:29]
	v_add_f64 v[14:15], v[14:15], v[6:7]
	v_add_f64 v[16:17], v[16:17], v[8:9]
	ds_load_b128 v[2:5], v1 offset:1920
	ds_load_b128 v[6:9], v1 offset:1936
	v_fma_f64 v[12:13], v[12:13], v[30:31], v[18:19]
	v_fma_f64 v[10:11], v[10:11], v[30:31], -v[20:21]
	s_waitcnt vmcnt(1) lgkmcnt(1)
	v_mul_f64 v[26:27], v[2:3], v[36:37]
	v_mul_f64 v[28:29], v[4:5], v[36:37]
	s_waitcnt vmcnt(0) lgkmcnt(0)
	v_mul_f64 v[18:19], v[6:7], v[42:43]
	v_add_f64 v[14:15], v[14:15], v[24:25]
	v_add_f64 v[16:17], v[16:17], v[22:23]
	v_mul_f64 v[20:21], v[8:9], v[42:43]
	v_fma_f64 v[4:5], v[4:5], v[34:35], v[26:27]
	v_fma_f64 v[1:2], v[2:3], v[34:35], -v[28:29]
	v_fma_f64 v[8:9], v[8:9], v[40:41], v[18:19]
	v_add_f64 v[10:11], v[14:15], v[10:11]
	v_add_f64 v[12:13], v[16:17], v[12:13]
	v_fma_f64 v[6:7], v[6:7], v[40:41], -v[20:21]
	s_delay_alu instid0(VALU_DEP_3) | instskip(NEXT) | instid1(VALU_DEP_3)
	v_add_f64 v[1:2], v[10:11], v[1:2]
	v_add_f64 v[3:4], v[12:13], v[4:5]
	s_delay_alu instid0(VALU_DEP_2) | instskip(NEXT) | instid1(VALU_DEP_2)
	v_add_f64 v[1:2], v[1:2], v[6:7]
	v_add_f64 v[3:4], v[3:4], v[8:9]
	s_delay_alu instid0(VALU_DEP_2) | instskip(NEXT) | instid1(VALU_DEP_2)
	v_add_f64 v[1:2], v[55:56], -v[1:2]
	v_add_f64 v[3:4], v[57:58], -v[3:4]
	scratch_store_b128 off, v[1:4], off offset:640
	v_cmpx_lt_u32_e32 39, v171
	s_cbranch_execz .LBB60_313
; %bb.312:
	scratch_load_b128 v[1:4], v190, off
	v_mov_b32_e32 v5, 0
	s_delay_alu instid0(VALU_DEP_1)
	v_mov_b32_e32 v6, v5
	v_mov_b32_e32 v7, v5
	;; [unrolled: 1-line block ×3, first 2 shown]
	scratch_store_b128 off, v[5:8], off offset:624
	s_waitcnt vmcnt(0)
	ds_store_b128 v229, v[1:4]
.LBB60_313:
	s_or_b32 exec_lo, exec_lo, s2
	s_waitcnt lgkmcnt(0)
	s_waitcnt_vscnt null, 0x0
	s_barrier
	buffer_gl0_inv
	s_clause 0x7
	scratch_load_b128 v[2:5], off, off offset:640
	scratch_load_b128 v[6:9], off, off offset:656
	;; [unrolled: 1-line block ×8, first 2 shown]
	v_mov_b32_e32 v1, 0
	s_mov_b32 s2, exec_lo
	ds_load_b128 v[34:37], v1 offset:1616
	s_clause 0x1
	scratch_load_b128 v[38:41], off, off offset:768
	scratch_load_b128 v[42:45], off, off offset:624
	ds_load_b128 v[55:58], v1 offset:1632
	scratch_load_b128 v[59:62], off, off offset:784
	ds_load_b128 v[63:66], v1 offset:1664
	s_waitcnt vmcnt(10) lgkmcnt(2)
	v_mul_f64 v[46:47], v[36:37], v[4:5]
	v_mul_f64 v[4:5], v[34:35], v[4:5]
	s_delay_alu instid0(VALU_DEP_2) | instskip(NEXT) | instid1(VALU_DEP_2)
	v_fma_f64 v[46:47], v[34:35], v[2:3], -v[46:47]
	v_fma_f64 v[69:70], v[36:37], v[2:3], v[4:5]
	ds_load_b128 v[2:5], v1 offset:1648
	s_waitcnt vmcnt(9) lgkmcnt(2)
	v_mul_f64 v[67:68], v[55:56], v[8:9]
	v_mul_f64 v[8:9], v[57:58], v[8:9]
	scratch_load_b128 v[34:37], off, off offset:800
	s_waitcnt vmcnt(9) lgkmcnt(0)
	v_mul_f64 v[85:86], v[2:3], v[12:13]
	v_mul_f64 v[12:13], v[4:5], v[12:13]
	v_add_f64 v[46:47], v[46:47], 0
	v_fma_f64 v[57:58], v[57:58], v[6:7], v[67:68]
	v_fma_f64 v[55:56], v[55:56], v[6:7], -v[8:9]
	v_add_f64 v[67:68], v[69:70], 0
	scratch_load_b128 v[6:9], off, off offset:816
	v_fma_f64 v[85:86], v[4:5], v[10:11], v[85:86]
	v_fma_f64 v[89:90], v[2:3], v[10:11], -v[12:13]
	scratch_load_b128 v[10:13], off, off offset:832
	ds_load_b128 v[2:5], v1 offset:1680
	s_waitcnt vmcnt(10)
	v_mul_f64 v[69:70], v[63:64], v[16:17]
	v_mul_f64 v[16:17], v[65:66], v[16:17]
	v_add_f64 v[46:47], v[46:47], v[55:56]
	v_add_f64 v[67:68], v[67:68], v[57:58]
	ds_load_b128 v[55:58], v1 offset:1696
	s_waitcnt vmcnt(9) lgkmcnt(1)
	v_mul_f64 v[91:92], v[2:3], v[20:21]
	v_mul_f64 v[20:21], v[4:5], v[20:21]
	v_fma_f64 v[65:66], v[65:66], v[14:15], v[69:70]
	v_fma_f64 v[63:64], v[63:64], v[14:15], -v[16:17]
	scratch_load_b128 v[14:17], off, off offset:848
	v_add_f64 v[46:47], v[46:47], v[89:90]
	v_add_f64 v[67:68], v[67:68], v[85:86]
	v_fma_f64 v[85:86], v[4:5], v[18:19], v[91:92]
	v_fma_f64 v[89:90], v[2:3], v[18:19], -v[20:21]
	scratch_load_b128 v[18:21], off, off offset:864
	ds_load_b128 v[2:5], v1 offset:1712
	s_waitcnt vmcnt(10) lgkmcnt(1)
	v_mul_f64 v[69:70], v[55:56], v[24:25]
	v_mul_f64 v[24:25], v[57:58], v[24:25]
	s_waitcnt vmcnt(9) lgkmcnt(0)
	v_mul_f64 v[91:92], v[2:3], v[28:29]
	v_mul_f64 v[28:29], v[4:5], v[28:29]
	v_add_f64 v[46:47], v[46:47], v[63:64]
	v_add_f64 v[67:68], v[67:68], v[65:66]
	ds_load_b128 v[63:66], v1 offset:1728
	v_fma_f64 v[57:58], v[57:58], v[22:23], v[69:70]
	v_fma_f64 v[55:56], v[55:56], v[22:23], -v[24:25]
	scratch_load_b128 v[22:25], off, off offset:880
	v_add_f64 v[46:47], v[46:47], v[89:90]
	v_add_f64 v[67:68], v[67:68], v[85:86]
	v_fma_f64 v[85:86], v[4:5], v[26:27], v[91:92]
	v_fma_f64 v[89:90], v[2:3], v[26:27], -v[28:29]
	scratch_load_b128 v[26:29], off, off offset:896
	ds_load_b128 v[2:5], v1 offset:1744
	s_waitcnt vmcnt(10) lgkmcnt(1)
	v_mul_f64 v[69:70], v[63:64], v[32:33]
	v_mul_f64 v[32:33], v[65:66], v[32:33]
	s_waitcnt vmcnt(9) lgkmcnt(0)
	v_mul_f64 v[91:92], v[2:3], v[40:41]
	v_mul_f64 v[40:41], v[4:5], v[40:41]
	v_add_f64 v[46:47], v[46:47], v[55:56]
	v_add_f64 v[67:68], v[67:68], v[57:58]
	ds_load_b128 v[55:58], v1 offset:1760
	v_fma_f64 v[65:66], v[65:66], v[30:31], v[69:70]
	v_fma_f64 v[63:64], v[63:64], v[30:31], -v[32:33]
	scratch_load_b128 v[30:33], off, off offset:912
	v_add_f64 v[46:47], v[46:47], v[89:90]
	v_add_f64 v[67:68], v[67:68], v[85:86]
	v_fma_f64 v[89:90], v[4:5], v[38:39], v[91:92]
	v_fma_f64 v[91:92], v[2:3], v[38:39], -v[40:41]
	scratch_load_b128 v[38:41], off, off offset:928
	ds_load_b128 v[2:5], v1 offset:1776
	s_waitcnt vmcnt(9) lgkmcnt(1)
	v_mul_f64 v[69:70], v[55:56], v[61:62]
	v_mul_f64 v[85:86], v[57:58], v[61:62]
	v_add_f64 v[46:47], v[46:47], v[63:64]
	v_add_f64 v[65:66], v[67:68], v[65:66]
	ds_load_b128 v[61:64], v1 offset:1792
	v_fma_f64 v[69:70], v[57:58], v[59:60], v[69:70]
	v_fma_f64 v[59:60], v[55:56], v[59:60], -v[85:86]
	scratch_load_b128 v[55:58], off, off offset:944
	s_waitcnt vmcnt(9) lgkmcnt(1)
	v_mul_f64 v[67:68], v[2:3], v[36:37]
	v_mul_f64 v[36:37], v[4:5], v[36:37]
	v_add_f64 v[46:47], v[46:47], v[91:92]
	v_add_f64 v[65:66], v[65:66], v[89:90]
	s_delay_alu instid0(VALU_DEP_4) | instskip(NEXT) | instid1(VALU_DEP_4)
	v_fma_f64 v[89:90], v[4:5], v[34:35], v[67:68]
	v_fma_f64 v[91:92], v[2:3], v[34:35], -v[36:37]
	scratch_load_b128 v[34:37], off, off offset:960
	ds_load_b128 v[2:5], v1 offset:1808
	s_waitcnt vmcnt(9) lgkmcnt(1)
	v_mul_f64 v[85:86], v[61:62], v[8:9]
	v_mul_f64 v[8:9], v[63:64], v[8:9]
	v_add_f64 v[46:47], v[46:47], v[59:60]
	v_add_f64 v[59:60], v[65:66], v[69:70]
	s_waitcnt vmcnt(8) lgkmcnt(0)
	v_mul_f64 v[69:70], v[2:3], v[12:13]
	v_mul_f64 v[12:13], v[4:5], v[12:13]
	ds_load_b128 v[65:68], v1 offset:1824
	v_fma_f64 v[63:64], v[63:64], v[6:7], v[85:86]
	v_fma_f64 v[6:7], v[61:62], v[6:7], -v[8:9]
	v_add_f64 v[8:9], v[46:47], v[91:92]
	v_add_f64 v[46:47], v[59:60], v[89:90]
	s_waitcnt vmcnt(7) lgkmcnt(0)
	v_mul_f64 v[59:60], v[65:66], v[16:17]
	v_mul_f64 v[16:17], v[67:68], v[16:17]
	v_fma_f64 v[61:62], v[4:5], v[10:11], v[69:70]
	v_fma_f64 v[10:11], v[2:3], v[10:11], -v[12:13]
	v_add_f64 v[12:13], v[8:9], v[6:7]
	v_add_f64 v[46:47], v[46:47], v[63:64]
	ds_load_b128 v[2:5], v1 offset:1840
	ds_load_b128 v[6:9], v1 offset:1856
	v_fma_f64 v[59:60], v[67:68], v[14:15], v[59:60]
	v_fma_f64 v[14:15], v[65:66], v[14:15], -v[16:17]
	s_waitcnt vmcnt(6) lgkmcnt(1)
	v_mul_f64 v[63:64], v[2:3], v[20:21]
	v_mul_f64 v[20:21], v[4:5], v[20:21]
	s_waitcnt vmcnt(5) lgkmcnt(0)
	v_mul_f64 v[16:17], v[6:7], v[24:25]
	v_mul_f64 v[24:25], v[8:9], v[24:25]
	v_add_f64 v[10:11], v[12:13], v[10:11]
	v_add_f64 v[12:13], v[46:47], v[61:62]
	v_fma_f64 v[46:47], v[4:5], v[18:19], v[63:64]
	v_fma_f64 v[18:19], v[2:3], v[18:19], -v[20:21]
	v_fma_f64 v[8:9], v[8:9], v[22:23], v[16:17]
	v_fma_f64 v[6:7], v[6:7], v[22:23], -v[24:25]
	v_add_f64 v[14:15], v[10:11], v[14:15]
	v_add_f64 v[20:21], v[12:13], v[59:60]
	ds_load_b128 v[2:5], v1 offset:1872
	ds_load_b128 v[10:13], v1 offset:1888
	s_waitcnt vmcnt(4) lgkmcnt(1)
	v_mul_f64 v[59:60], v[2:3], v[28:29]
	v_mul_f64 v[28:29], v[4:5], v[28:29]
	v_add_f64 v[14:15], v[14:15], v[18:19]
	v_add_f64 v[16:17], v[20:21], v[46:47]
	s_waitcnt vmcnt(3) lgkmcnt(0)
	v_mul_f64 v[18:19], v[10:11], v[32:33]
	v_mul_f64 v[20:21], v[12:13], v[32:33]
	v_fma_f64 v[22:23], v[4:5], v[26:27], v[59:60]
	v_fma_f64 v[24:25], v[2:3], v[26:27], -v[28:29]
	v_add_f64 v[14:15], v[14:15], v[6:7]
	v_add_f64 v[16:17], v[16:17], v[8:9]
	ds_load_b128 v[2:5], v1 offset:1904
	ds_load_b128 v[6:9], v1 offset:1920
	v_fma_f64 v[12:13], v[12:13], v[30:31], v[18:19]
	v_fma_f64 v[10:11], v[10:11], v[30:31], -v[20:21]
	s_waitcnt vmcnt(2) lgkmcnt(1)
	v_mul_f64 v[26:27], v[2:3], v[40:41]
	v_mul_f64 v[28:29], v[4:5], v[40:41]
	s_waitcnt vmcnt(1) lgkmcnt(0)
	v_mul_f64 v[18:19], v[6:7], v[57:58]
	v_mul_f64 v[20:21], v[8:9], v[57:58]
	v_add_f64 v[14:15], v[14:15], v[24:25]
	v_add_f64 v[16:17], v[16:17], v[22:23]
	v_fma_f64 v[22:23], v[4:5], v[38:39], v[26:27]
	v_fma_f64 v[24:25], v[2:3], v[38:39], -v[28:29]
	ds_load_b128 v[2:5], v1 offset:1936
	v_fma_f64 v[8:9], v[8:9], v[55:56], v[18:19]
	v_fma_f64 v[6:7], v[6:7], v[55:56], -v[20:21]
	v_add_f64 v[10:11], v[14:15], v[10:11]
	v_add_f64 v[12:13], v[16:17], v[12:13]
	s_waitcnt vmcnt(0) lgkmcnt(0)
	v_mul_f64 v[14:15], v[2:3], v[36:37]
	v_mul_f64 v[16:17], v[4:5], v[36:37]
	s_delay_alu instid0(VALU_DEP_4) | instskip(NEXT) | instid1(VALU_DEP_4)
	v_add_f64 v[10:11], v[10:11], v[24:25]
	v_add_f64 v[12:13], v[12:13], v[22:23]
	s_delay_alu instid0(VALU_DEP_4) | instskip(NEXT) | instid1(VALU_DEP_4)
	v_fma_f64 v[4:5], v[4:5], v[34:35], v[14:15]
	v_fma_f64 v[2:3], v[2:3], v[34:35], -v[16:17]
	s_delay_alu instid0(VALU_DEP_4) | instskip(NEXT) | instid1(VALU_DEP_4)
	v_add_f64 v[6:7], v[10:11], v[6:7]
	v_add_f64 v[8:9], v[12:13], v[8:9]
	s_delay_alu instid0(VALU_DEP_2) | instskip(NEXT) | instid1(VALU_DEP_2)
	v_add_f64 v[2:3], v[6:7], v[2:3]
	v_add_f64 v[4:5], v[8:9], v[4:5]
	s_delay_alu instid0(VALU_DEP_2) | instskip(NEXT) | instid1(VALU_DEP_2)
	v_add_f64 v[2:3], v[42:43], -v[2:3]
	v_add_f64 v[4:5], v[44:45], -v[4:5]
	scratch_store_b128 off, v[2:5], off offset:624
	v_cmpx_lt_u32_e32 38, v171
	s_cbranch_execz .LBB60_315
; %bb.314:
	scratch_load_b128 v[5:8], v191, off
	v_mov_b32_e32 v2, v1
	v_mov_b32_e32 v3, v1
	;; [unrolled: 1-line block ×3, first 2 shown]
	scratch_store_b128 off, v[1:4], off offset:608
	s_waitcnt vmcnt(0)
	ds_store_b128 v229, v[5:8]
.LBB60_315:
	s_or_b32 exec_lo, exec_lo, s2
	s_waitcnt lgkmcnt(0)
	s_waitcnt_vscnt null, 0x0
	s_barrier
	buffer_gl0_inv
	s_clause 0x8
	scratch_load_b128 v[2:5], off, off offset:624
	scratch_load_b128 v[6:9], off, off offset:640
	;; [unrolled: 1-line block ×9, first 2 shown]
	ds_load_b128 v[38:41], v1 offset:1600
	ds_load_b128 v[42:45], v1 offset:1616
	s_clause 0x1
	scratch_load_b128 v[55:58], off, off offset:608
	scratch_load_b128 v[59:62], off, off offset:768
	s_mov_b32 s2, exec_lo
	ds_load_b128 v[63:66], v1 offset:1648
	ds_load_b128 v[230:233], v1 offset:1808
	s_waitcnt vmcnt(10) lgkmcnt(3)
	v_mul_f64 v[46:47], v[40:41], v[4:5]
	v_mul_f64 v[4:5], v[38:39], v[4:5]
	s_waitcnt vmcnt(9) lgkmcnt(2)
	v_mul_f64 v[67:68], v[42:43], v[8:9]
	v_mul_f64 v[8:9], v[44:45], v[8:9]
	s_delay_alu instid0(VALU_DEP_4) | instskip(NEXT) | instid1(VALU_DEP_4)
	v_fma_f64 v[46:47], v[38:39], v[2:3], -v[46:47]
	v_fma_f64 v[69:70], v[40:41], v[2:3], v[4:5]
	ds_load_b128 v[2:5], v1 offset:1632
	scratch_load_b128 v[38:41], off, off offset:784
	v_fma_f64 v[44:45], v[44:45], v[6:7], v[67:68]
	v_fma_f64 v[42:43], v[42:43], v[6:7], -v[8:9]
	scratch_load_b128 v[6:9], off, off offset:800
	s_waitcnt vmcnt(10) lgkmcnt(0)
	v_mul_f64 v[85:86], v[2:3], v[12:13]
	v_mul_f64 v[12:13], v[4:5], v[12:13]
	v_add_f64 v[46:47], v[46:47], 0
	v_add_f64 v[67:68], v[69:70], 0
	s_waitcnt vmcnt(9)
	v_mul_f64 v[69:70], v[63:64], v[16:17]
	v_mul_f64 v[16:17], v[65:66], v[16:17]
	v_fma_f64 v[85:86], v[4:5], v[10:11], v[85:86]
	v_fma_f64 v[89:90], v[2:3], v[10:11], -v[12:13]
	ds_load_b128 v[2:5], v1 offset:1664
	scratch_load_b128 v[10:13], off, off offset:816
	v_add_f64 v[46:47], v[46:47], v[42:43]
	v_add_f64 v[67:68], v[67:68], v[44:45]
	ds_load_b128 v[42:45], v1 offset:1680
	v_fma_f64 v[65:66], v[65:66], v[14:15], v[69:70]
	v_fma_f64 v[63:64], v[63:64], v[14:15], -v[16:17]
	scratch_load_b128 v[14:17], off, off offset:832
	s_waitcnt vmcnt(10) lgkmcnt(1)
	v_mul_f64 v[91:92], v[2:3], v[20:21]
	v_mul_f64 v[20:21], v[4:5], v[20:21]
	s_waitcnt vmcnt(9) lgkmcnt(0)
	v_mul_f64 v[69:70], v[42:43], v[24:25]
	v_mul_f64 v[24:25], v[44:45], v[24:25]
	v_add_f64 v[46:47], v[46:47], v[89:90]
	v_add_f64 v[67:68], v[67:68], v[85:86]
	v_fma_f64 v[85:86], v[4:5], v[18:19], v[91:92]
	v_fma_f64 v[89:90], v[2:3], v[18:19], -v[20:21]
	ds_load_b128 v[2:5], v1 offset:1696
	scratch_load_b128 v[18:21], off, off offset:848
	v_fma_f64 v[44:45], v[44:45], v[22:23], v[69:70]
	v_fma_f64 v[42:43], v[42:43], v[22:23], -v[24:25]
	scratch_load_b128 v[22:25], off, off offset:864
	v_add_f64 v[46:47], v[46:47], v[63:64]
	v_add_f64 v[67:68], v[67:68], v[65:66]
	ds_load_b128 v[63:66], v1 offset:1712
	s_waitcnt vmcnt(10) lgkmcnt(1)
	v_mul_f64 v[91:92], v[2:3], v[28:29]
	v_mul_f64 v[28:29], v[4:5], v[28:29]
	s_waitcnt vmcnt(9) lgkmcnt(0)
	v_mul_f64 v[69:70], v[63:64], v[32:33]
	v_mul_f64 v[32:33], v[65:66], v[32:33]
	v_add_f64 v[46:47], v[46:47], v[89:90]
	v_add_f64 v[67:68], v[67:68], v[85:86]
	v_fma_f64 v[85:86], v[4:5], v[26:27], v[91:92]
	v_fma_f64 v[89:90], v[2:3], v[26:27], -v[28:29]
	ds_load_b128 v[2:5], v1 offset:1728
	scratch_load_b128 v[26:29], off, off offset:880
	v_fma_f64 v[65:66], v[65:66], v[30:31], v[69:70]
	v_fma_f64 v[63:64], v[63:64], v[30:31], -v[32:33]
	scratch_load_b128 v[30:33], off, off offset:896
	v_add_f64 v[46:47], v[46:47], v[42:43]
	v_add_f64 v[67:68], v[67:68], v[44:45]
	ds_load_b128 v[42:45], v1 offset:1744
	s_waitcnt vmcnt(10) lgkmcnt(1)
	v_mul_f64 v[91:92], v[2:3], v[36:37]
	v_mul_f64 v[36:37], v[4:5], v[36:37]
	s_waitcnt vmcnt(8) lgkmcnt(0)
	v_mul_f64 v[69:70], v[42:43], v[61:62]
	v_add_f64 v[46:47], v[46:47], v[89:90]
	v_add_f64 v[67:68], v[67:68], v[85:86]
	v_mul_f64 v[85:86], v[44:45], v[61:62]
	v_fma_f64 v[89:90], v[4:5], v[34:35], v[91:92]
	v_fma_f64 v[91:92], v[2:3], v[34:35], -v[36:37]
	ds_load_b128 v[2:5], v1 offset:1760
	scratch_load_b128 v[34:37], off, off offset:912
	v_fma_f64 v[44:45], v[44:45], v[59:60], v[69:70]
	v_add_f64 v[46:47], v[46:47], v[63:64]
	v_add_f64 v[65:66], v[67:68], v[65:66]
	ds_load_b128 v[61:64], v1 offset:1776
	v_fma_f64 v[59:60], v[42:43], v[59:60], -v[85:86]
	s_waitcnt vmcnt(8) lgkmcnt(1)
	v_mul_f64 v[67:68], v[2:3], v[40:41]
	v_mul_f64 v[93:94], v[4:5], v[40:41]
	scratch_load_b128 v[40:43], off, off offset:928
	s_waitcnt vmcnt(8) lgkmcnt(0)
	v_mul_f64 v[69:70], v[61:62], v[8:9]
	v_mul_f64 v[8:9], v[63:64], v[8:9]
	v_add_f64 v[46:47], v[46:47], v[91:92]
	v_add_f64 v[65:66], v[65:66], v[89:90]
	v_fma_f64 v[85:86], v[4:5], v[38:39], v[67:68]
	v_fma_f64 v[38:39], v[2:3], v[38:39], -v[93:94]
	ds_load_b128 v[2:5], v1 offset:1792
	v_fma_f64 v[63:64], v[63:64], v[6:7], v[69:70]
	v_fma_f64 v[61:62], v[61:62], v[6:7], -v[8:9]
	scratch_load_b128 v[6:9], off, off offset:960
	v_add_f64 v[46:47], v[46:47], v[59:60]
	v_add_f64 v[44:45], v[65:66], v[44:45]
	scratch_load_b128 v[65:68], off, off offset:944
	s_waitcnt vmcnt(9) lgkmcnt(0)
	v_mul_f64 v[59:60], v[2:3], v[12:13]
	v_mul_f64 v[12:13], v[4:5], v[12:13]
	v_add_f64 v[38:39], v[46:47], v[38:39]
	v_add_f64 v[44:45], v[44:45], v[85:86]
	s_waitcnt vmcnt(8)
	v_mul_f64 v[46:47], v[230:231], v[16:17]
	v_mul_f64 v[16:17], v[232:233], v[16:17]
	v_fma_f64 v[59:60], v[4:5], v[10:11], v[59:60]
	v_fma_f64 v[69:70], v[2:3], v[10:11], -v[12:13]
	ds_load_b128 v[2:5], v1 offset:1824
	ds_load_b128 v[10:13], v1 offset:1840
	v_add_f64 v[38:39], v[38:39], v[61:62]
	v_add_f64 v[44:45], v[44:45], v[63:64]
	s_waitcnt vmcnt(7) lgkmcnt(1)
	v_mul_f64 v[61:62], v[2:3], v[20:21]
	v_mul_f64 v[20:21], v[4:5], v[20:21]
	v_fma_f64 v[46:47], v[232:233], v[14:15], v[46:47]
	v_fma_f64 v[14:15], v[230:231], v[14:15], -v[16:17]
	v_add_f64 v[16:17], v[38:39], v[69:70]
	v_add_f64 v[38:39], v[44:45], v[59:60]
	s_waitcnt vmcnt(6) lgkmcnt(0)
	v_mul_f64 v[44:45], v[10:11], v[24:25]
	v_mul_f64 v[24:25], v[12:13], v[24:25]
	v_fma_f64 v[59:60], v[4:5], v[18:19], v[61:62]
	v_fma_f64 v[18:19], v[2:3], v[18:19], -v[20:21]
	v_add_f64 v[20:21], v[16:17], v[14:15]
	v_add_f64 v[38:39], v[38:39], v[46:47]
	ds_load_b128 v[2:5], v1 offset:1856
	ds_load_b128 v[14:17], v1 offset:1872
	v_fma_f64 v[12:13], v[12:13], v[22:23], v[44:45]
	v_fma_f64 v[10:11], v[10:11], v[22:23], -v[24:25]
	s_waitcnt vmcnt(5) lgkmcnt(1)
	v_mul_f64 v[46:47], v[2:3], v[28:29]
	v_mul_f64 v[28:29], v[4:5], v[28:29]
	s_waitcnt vmcnt(4) lgkmcnt(0)
	v_mul_f64 v[22:23], v[14:15], v[32:33]
	v_mul_f64 v[24:25], v[16:17], v[32:33]
	v_add_f64 v[18:19], v[20:21], v[18:19]
	v_add_f64 v[20:21], v[38:39], v[59:60]
	v_fma_f64 v[32:33], v[4:5], v[26:27], v[46:47]
	v_fma_f64 v[26:27], v[2:3], v[26:27], -v[28:29]
	v_fma_f64 v[16:17], v[16:17], v[30:31], v[22:23]
	v_fma_f64 v[14:15], v[14:15], v[30:31], -v[24:25]
	v_add_f64 v[18:19], v[18:19], v[10:11]
	v_add_f64 v[20:21], v[20:21], v[12:13]
	ds_load_b128 v[2:5], v1 offset:1888
	ds_load_b128 v[10:13], v1 offset:1904
	s_waitcnt vmcnt(3) lgkmcnt(1)
	v_mul_f64 v[28:29], v[2:3], v[36:37]
	v_mul_f64 v[36:37], v[4:5], v[36:37]
	s_waitcnt vmcnt(2) lgkmcnt(0)
	v_mul_f64 v[22:23], v[10:11], v[42:43]
	v_add_f64 v[18:19], v[18:19], v[26:27]
	v_add_f64 v[20:21], v[20:21], v[32:33]
	v_mul_f64 v[24:25], v[12:13], v[42:43]
	v_fma_f64 v[26:27], v[4:5], v[34:35], v[28:29]
	v_fma_f64 v[28:29], v[2:3], v[34:35], -v[36:37]
	v_fma_f64 v[12:13], v[12:13], v[40:41], v[22:23]
	v_add_f64 v[18:19], v[18:19], v[14:15]
	v_add_f64 v[20:21], v[20:21], v[16:17]
	ds_load_b128 v[2:5], v1 offset:1920
	ds_load_b128 v[14:17], v1 offset:1936
	v_fma_f64 v[10:11], v[10:11], v[40:41], -v[24:25]
	s_waitcnt vmcnt(0) lgkmcnt(1)
	v_mul_f64 v[30:31], v[2:3], v[67:68]
	v_mul_f64 v[32:33], v[4:5], v[67:68]
	s_waitcnt lgkmcnt(0)
	v_mul_f64 v[22:23], v[14:15], v[8:9]
	v_mul_f64 v[8:9], v[16:17], v[8:9]
	v_add_f64 v[18:19], v[18:19], v[28:29]
	v_add_f64 v[20:21], v[20:21], v[26:27]
	v_fma_f64 v[4:5], v[4:5], v[65:66], v[30:31]
	v_fma_f64 v[1:2], v[2:3], v[65:66], -v[32:33]
	v_fma_f64 v[16:17], v[16:17], v[6:7], v[22:23]
	v_fma_f64 v[6:7], v[14:15], v[6:7], -v[8:9]
	v_add_f64 v[10:11], v[18:19], v[10:11]
	v_add_f64 v[12:13], v[20:21], v[12:13]
	s_delay_alu instid0(VALU_DEP_2) | instskip(NEXT) | instid1(VALU_DEP_2)
	v_add_f64 v[1:2], v[10:11], v[1:2]
	v_add_f64 v[3:4], v[12:13], v[4:5]
	s_delay_alu instid0(VALU_DEP_2) | instskip(NEXT) | instid1(VALU_DEP_2)
	;; [unrolled: 3-line block ×3, first 2 shown]
	v_add_f64 v[1:2], v[55:56], -v[1:2]
	v_add_f64 v[3:4], v[57:58], -v[3:4]
	scratch_store_b128 off, v[1:4], off offset:608
	v_cmpx_lt_u32_e32 37, v171
	s_cbranch_execz .LBB60_317
; %bb.316:
	scratch_load_b128 v[1:4], v192, off
	v_mov_b32_e32 v5, 0
	s_delay_alu instid0(VALU_DEP_1)
	v_mov_b32_e32 v6, v5
	v_mov_b32_e32 v7, v5
	;; [unrolled: 1-line block ×3, first 2 shown]
	scratch_store_b128 off, v[5:8], off offset:592
	s_waitcnt vmcnt(0)
	ds_store_b128 v229, v[1:4]
.LBB60_317:
	s_or_b32 exec_lo, exec_lo, s2
	s_waitcnt lgkmcnt(0)
	s_waitcnt_vscnt null, 0x0
	s_barrier
	buffer_gl0_inv
	s_clause 0x7
	scratch_load_b128 v[2:5], off, off offset:608
	scratch_load_b128 v[6:9], off, off offset:624
	;; [unrolled: 1-line block ×8, first 2 shown]
	v_mov_b32_e32 v1, 0
	s_mov_b32 s2, exec_lo
	ds_load_b128 v[34:37], v1 offset:1584
	s_clause 0x1
	scratch_load_b128 v[38:41], off, off offset:736
	scratch_load_b128 v[42:45], off, off offset:592
	ds_load_b128 v[55:58], v1 offset:1600
	scratch_load_b128 v[59:62], off, off offset:752
	ds_load_b128 v[63:66], v1 offset:1632
	s_waitcnt vmcnt(10) lgkmcnt(2)
	v_mul_f64 v[46:47], v[36:37], v[4:5]
	v_mul_f64 v[4:5], v[34:35], v[4:5]
	s_delay_alu instid0(VALU_DEP_2) | instskip(NEXT) | instid1(VALU_DEP_2)
	v_fma_f64 v[46:47], v[34:35], v[2:3], -v[46:47]
	v_fma_f64 v[69:70], v[36:37], v[2:3], v[4:5]
	ds_load_b128 v[2:5], v1 offset:1616
	s_waitcnt vmcnt(9) lgkmcnt(2)
	v_mul_f64 v[67:68], v[55:56], v[8:9]
	v_mul_f64 v[8:9], v[57:58], v[8:9]
	scratch_load_b128 v[34:37], off, off offset:768
	s_waitcnt vmcnt(9) lgkmcnt(0)
	v_mul_f64 v[85:86], v[2:3], v[12:13]
	v_mul_f64 v[12:13], v[4:5], v[12:13]
	v_add_f64 v[46:47], v[46:47], 0
	v_fma_f64 v[57:58], v[57:58], v[6:7], v[67:68]
	v_fma_f64 v[55:56], v[55:56], v[6:7], -v[8:9]
	v_add_f64 v[67:68], v[69:70], 0
	scratch_load_b128 v[6:9], off, off offset:784
	v_fma_f64 v[85:86], v[4:5], v[10:11], v[85:86]
	v_fma_f64 v[89:90], v[2:3], v[10:11], -v[12:13]
	scratch_load_b128 v[10:13], off, off offset:800
	ds_load_b128 v[2:5], v1 offset:1648
	s_waitcnt vmcnt(10)
	v_mul_f64 v[69:70], v[63:64], v[16:17]
	v_mul_f64 v[16:17], v[65:66], v[16:17]
	v_add_f64 v[46:47], v[46:47], v[55:56]
	v_add_f64 v[67:68], v[67:68], v[57:58]
	ds_load_b128 v[55:58], v1 offset:1664
	s_waitcnt vmcnt(9) lgkmcnt(1)
	v_mul_f64 v[91:92], v[2:3], v[20:21]
	v_mul_f64 v[20:21], v[4:5], v[20:21]
	v_fma_f64 v[65:66], v[65:66], v[14:15], v[69:70]
	v_fma_f64 v[63:64], v[63:64], v[14:15], -v[16:17]
	scratch_load_b128 v[14:17], off, off offset:816
	v_add_f64 v[46:47], v[46:47], v[89:90]
	v_add_f64 v[67:68], v[67:68], v[85:86]
	v_fma_f64 v[85:86], v[4:5], v[18:19], v[91:92]
	v_fma_f64 v[89:90], v[2:3], v[18:19], -v[20:21]
	scratch_load_b128 v[18:21], off, off offset:832
	ds_load_b128 v[2:5], v1 offset:1680
	s_waitcnt vmcnt(10) lgkmcnt(1)
	v_mul_f64 v[69:70], v[55:56], v[24:25]
	v_mul_f64 v[24:25], v[57:58], v[24:25]
	s_waitcnt vmcnt(9) lgkmcnt(0)
	v_mul_f64 v[91:92], v[2:3], v[28:29]
	v_mul_f64 v[28:29], v[4:5], v[28:29]
	v_add_f64 v[46:47], v[46:47], v[63:64]
	v_add_f64 v[67:68], v[67:68], v[65:66]
	ds_load_b128 v[63:66], v1 offset:1696
	v_fma_f64 v[57:58], v[57:58], v[22:23], v[69:70]
	v_fma_f64 v[55:56], v[55:56], v[22:23], -v[24:25]
	scratch_load_b128 v[22:25], off, off offset:848
	v_add_f64 v[46:47], v[46:47], v[89:90]
	v_add_f64 v[67:68], v[67:68], v[85:86]
	v_fma_f64 v[85:86], v[4:5], v[26:27], v[91:92]
	v_fma_f64 v[89:90], v[2:3], v[26:27], -v[28:29]
	scratch_load_b128 v[26:29], off, off offset:864
	ds_load_b128 v[2:5], v1 offset:1712
	s_waitcnt vmcnt(10) lgkmcnt(1)
	v_mul_f64 v[69:70], v[63:64], v[32:33]
	v_mul_f64 v[32:33], v[65:66], v[32:33]
	s_waitcnt vmcnt(9) lgkmcnt(0)
	v_mul_f64 v[91:92], v[2:3], v[40:41]
	v_mul_f64 v[40:41], v[4:5], v[40:41]
	v_add_f64 v[46:47], v[46:47], v[55:56]
	v_add_f64 v[67:68], v[67:68], v[57:58]
	ds_load_b128 v[55:58], v1 offset:1728
	v_fma_f64 v[65:66], v[65:66], v[30:31], v[69:70]
	v_fma_f64 v[63:64], v[63:64], v[30:31], -v[32:33]
	scratch_load_b128 v[30:33], off, off offset:880
	v_add_f64 v[46:47], v[46:47], v[89:90]
	v_add_f64 v[67:68], v[67:68], v[85:86]
	v_fma_f64 v[89:90], v[4:5], v[38:39], v[91:92]
	v_fma_f64 v[91:92], v[2:3], v[38:39], -v[40:41]
	scratch_load_b128 v[38:41], off, off offset:896
	ds_load_b128 v[2:5], v1 offset:1744
	s_waitcnt vmcnt(9) lgkmcnt(1)
	v_mul_f64 v[69:70], v[55:56], v[61:62]
	v_mul_f64 v[85:86], v[57:58], v[61:62]
	v_add_f64 v[46:47], v[46:47], v[63:64]
	v_add_f64 v[65:66], v[67:68], v[65:66]
	ds_load_b128 v[61:64], v1 offset:1760
	v_fma_f64 v[69:70], v[57:58], v[59:60], v[69:70]
	v_fma_f64 v[59:60], v[55:56], v[59:60], -v[85:86]
	scratch_load_b128 v[55:58], off, off offset:912
	s_waitcnt vmcnt(9) lgkmcnt(1)
	v_mul_f64 v[67:68], v[2:3], v[36:37]
	v_mul_f64 v[36:37], v[4:5], v[36:37]
	v_add_f64 v[46:47], v[46:47], v[91:92]
	v_add_f64 v[65:66], v[65:66], v[89:90]
	s_delay_alu instid0(VALU_DEP_4) | instskip(NEXT) | instid1(VALU_DEP_4)
	v_fma_f64 v[89:90], v[4:5], v[34:35], v[67:68]
	v_fma_f64 v[91:92], v[2:3], v[34:35], -v[36:37]
	scratch_load_b128 v[34:37], off, off offset:928
	ds_load_b128 v[2:5], v1 offset:1776
	s_waitcnt vmcnt(9) lgkmcnt(1)
	v_mul_f64 v[85:86], v[61:62], v[8:9]
	v_mul_f64 v[8:9], v[63:64], v[8:9]
	v_add_f64 v[46:47], v[46:47], v[59:60]
	v_add_f64 v[59:60], v[65:66], v[69:70]
	s_waitcnt vmcnt(8) lgkmcnt(0)
	v_mul_f64 v[69:70], v[2:3], v[12:13]
	v_mul_f64 v[12:13], v[4:5], v[12:13]
	ds_load_b128 v[65:68], v1 offset:1792
	v_fma_f64 v[63:64], v[63:64], v[6:7], v[85:86]
	v_fma_f64 v[61:62], v[61:62], v[6:7], -v[8:9]
	scratch_load_b128 v[6:9], off, off offset:944
	v_add_f64 v[46:47], v[46:47], v[91:92]
	v_add_f64 v[59:60], v[59:60], v[89:90]
	v_fma_f64 v[69:70], v[4:5], v[10:11], v[69:70]
	v_fma_f64 v[89:90], v[2:3], v[10:11], -v[12:13]
	scratch_load_b128 v[10:13], off, off offset:960
	ds_load_b128 v[2:5], v1 offset:1808
	s_waitcnt vmcnt(9) lgkmcnt(1)
	v_mul_f64 v[85:86], v[65:66], v[16:17]
	v_mul_f64 v[16:17], v[67:68], v[16:17]
	s_waitcnt vmcnt(8) lgkmcnt(0)
	v_mul_f64 v[91:92], v[2:3], v[20:21]
	v_mul_f64 v[20:21], v[4:5], v[20:21]
	v_add_f64 v[46:47], v[46:47], v[61:62]
	v_add_f64 v[63:64], v[59:60], v[63:64]
	ds_load_b128 v[59:62], v1 offset:1824
	v_fma_f64 v[67:68], v[67:68], v[14:15], v[85:86]
	v_fma_f64 v[14:15], v[65:66], v[14:15], -v[16:17]
	v_fma_f64 v[65:66], v[4:5], v[18:19], v[91:92]
	v_fma_f64 v[18:19], v[2:3], v[18:19], -v[20:21]
	v_add_f64 v[16:17], v[46:47], v[89:90]
	v_add_f64 v[46:47], v[63:64], v[69:70]
	s_waitcnt vmcnt(7) lgkmcnt(0)
	v_mul_f64 v[63:64], v[59:60], v[24:25]
	v_mul_f64 v[24:25], v[61:62], v[24:25]
	s_delay_alu instid0(VALU_DEP_4) | instskip(NEXT) | instid1(VALU_DEP_4)
	v_add_f64 v[20:21], v[16:17], v[14:15]
	v_add_f64 v[46:47], v[46:47], v[67:68]
	ds_load_b128 v[2:5], v1 offset:1840
	ds_load_b128 v[14:17], v1 offset:1856
	v_fma_f64 v[61:62], v[61:62], v[22:23], v[63:64]
	v_fma_f64 v[22:23], v[59:60], v[22:23], -v[24:25]
	s_waitcnt vmcnt(6) lgkmcnt(1)
	v_mul_f64 v[67:68], v[2:3], v[28:29]
	v_mul_f64 v[28:29], v[4:5], v[28:29]
	s_waitcnt vmcnt(5) lgkmcnt(0)
	v_mul_f64 v[24:25], v[14:15], v[32:33]
	v_mul_f64 v[32:33], v[16:17], v[32:33]
	v_add_f64 v[18:19], v[20:21], v[18:19]
	v_add_f64 v[20:21], v[46:47], v[65:66]
	v_fma_f64 v[46:47], v[4:5], v[26:27], v[67:68]
	v_fma_f64 v[26:27], v[2:3], v[26:27], -v[28:29]
	v_fma_f64 v[16:17], v[16:17], v[30:31], v[24:25]
	v_fma_f64 v[14:15], v[14:15], v[30:31], -v[32:33]
	v_add_f64 v[22:23], v[18:19], v[22:23]
	v_add_f64 v[28:29], v[20:21], v[61:62]
	ds_load_b128 v[2:5], v1 offset:1872
	ds_load_b128 v[18:21], v1 offset:1888
	s_waitcnt vmcnt(4) lgkmcnt(1)
	v_mul_f64 v[59:60], v[2:3], v[40:41]
	v_mul_f64 v[40:41], v[4:5], v[40:41]
	v_add_f64 v[22:23], v[22:23], v[26:27]
	v_add_f64 v[24:25], v[28:29], v[46:47]
	s_waitcnt vmcnt(3) lgkmcnt(0)
	v_mul_f64 v[26:27], v[18:19], v[57:58]
	v_mul_f64 v[28:29], v[20:21], v[57:58]
	v_fma_f64 v[30:31], v[4:5], v[38:39], v[59:60]
	v_fma_f64 v[32:33], v[2:3], v[38:39], -v[40:41]
	v_add_f64 v[22:23], v[22:23], v[14:15]
	v_add_f64 v[24:25], v[24:25], v[16:17]
	ds_load_b128 v[2:5], v1 offset:1904
	ds_load_b128 v[14:17], v1 offset:1920
	v_fma_f64 v[20:21], v[20:21], v[55:56], v[26:27]
	v_fma_f64 v[18:19], v[18:19], v[55:56], -v[28:29]
	s_waitcnt vmcnt(2) lgkmcnt(1)
	v_mul_f64 v[38:39], v[2:3], v[36:37]
	v_mul_f64 v[36:37], v[4:5], v[36:37]
	v_add_f64 v[22:23], v[22:23], v[32:33]
	v_add_f64 v[24:25], v[24:25], v[30:31]
	s_waitcnt vmcnt(1) lgkmcnt(0)
	v_mul_f64 v[26:27], v[14:15], v[8:9]
	v_mul_f64 v[8:9], v[16:17], v[8:9]
	v_fma_f64 v[28:29], v[4:5], v[34:35], v[38:39]
	v_fma_f64 v[30:31], v[2:3], v[34:35], -v[36:37]
	ds_load_b128 v[2:5], v1 offset:1936
	v_add_f64 v[18:19], v[22:23], v[18:19]
	v_add_f64 v[20:21], v[24:25], v[20:21]
	v_fma_f64 v[16:17], v[16:17], v[6:7], v[26:27]
	v_fma_f64 v[6:7], v[14:15], v[6:7], -v[8:9]
	s_waitcnt vmcnt(0) lgkmcnt(0)
	v_mul_f64 v[22:23], v[2:3], v[12:13]
	v_mul_f64 v[12:13], v[4:5], v[12:13]
	v_add_f64 v[8:9], v[18:19], v[30:31]
	v_add_f64 v[14:15], v[20:21], v[28:29]
	s_delay_alu instid0(VALU_DEP_4) | instskip(NEXT) | instid1(VALU_DEP_4)
	v_fma_f64 v[4:5], v[4:5], v[10:11], v[22:23]
	v_fma_f64 v[2:3], v[2:3], v[10:11], -v[12:13]
	s_delay_alu instid0(VALU_DEP_4) | instskip(NEXT) | instid1(VALU_DEP_4)
	v_add_f64 v[6:7], v[8:9], v[6:7]
	v_add_f64 v[8:9], v[14:15], v[16:17]
	s_delay_alu instid0(VALU_DEP_2) | instskip(NEXT) | instid1(VALU_DEP_2)
	v_add_f64 v[2:3], v[6:7], v[2:3]
	v_add_f64 v[4:5], v[8:9], v[4:5]
	s_delay_alu instid0(VALU_DEP_2) | instskip(NEXT) | instid1(VALU_DEP_2)
	v_add_f64 v[2:3], v[42:43], -v[2:3]
	v_add_f64 v[4:5], v[44:45], -v[4:5]
	scratch_store_b128 off, v[2:5], off offset:592
	v_cmpx_lt_u32_e32 36, v171
	s_cbranch_execz .LBB60_319
; %bb.318:
	scratch_load_b128 v[5:8], v196, off
	v_mov_b32_e32 v2, v1
	v_mov_b32_e32 v3, v1
	;; [unrolled: 1-line block ×3, first 2 shown]
	scratch_store_b128 off, v[1:4], off offset:576
	s_waitcnt vmcnt(0)
	ds_store_b128 v229, v[5:8]
.LBB60_319:
	s_or_b32 exec_lo, exec_lo, s2
	s_waitcnt lgkmcnt(0)
	s_waitcnt_vscnt null, 0x0
	s_barrier
	buffer_gl0_inv
	s_clause 0x8
	scratch_load_b128 v[2:5], off, off offset:592
	scratch_load_b128 v[6:9], off, off offset:608
	;; [unrolled: 1-line block ×9, first 2 shown]
	ds_load_b128 v[38:41], v1 offset:1568
	ds_load_b128 v[42:45], v1 offset:1584
	s_clause 0x1
	scratch_load_b128 v[55:58], off, off offset:576
	scratch_load_b128 v[59:62], off, off offset:736
	s_mov_b32 s2, exec_lo
	ds_load_b128 v[63:66], v1 offset:1616
	ds_load_b128 v[230:233], v1 offset:1776
	s_waitcnt vmcnt(10) lgkmcnt(3)
	v_mul_f64 v[46:47], v[40:41], v[4:5]
	v_mul_f64 v[4:5], v[38:39], v[4:5]
	s_waitcnt vmcnt(9) lgkmcnt(2)
	v_mul_f64 v[67:68], v[42:43], v[8:9]
	v_mul_f64 v[8:9], v[44:45], v[8:9]
	s_delay_alu instid0(VALU_DEP_4) | instskip(NEXT) | instid1(VALU_DEP_4)
	v_fma_f64 v[46:47], v[38:39], v[2:3], -v[46:47]
	v_fma_f64 v[69:70], v[40:41], v[2:3], v[4:5]
	ds_load_b128 v[2:5], v1 offset:1600
	scratch_load_b128 v[38:41], off, off offset:752
	v_fma_f64 v[44:45], v[44:45], v[6:7], v[67:68]
	v_fma_f64 v[42:43], v[42:43], v[6:7], -v[8:9]
	scratch_load_b128 v[6:9], off, off offset:768
	s_waitcnt vmcnt(10) lgkmcnt(0)
	v_mul_f64 v[85:86], v[2:3], v[12:13]
	v_mul_f64 v[12:13], v[4:5], v[12:13]
	v_add_f64 v[46:47], v[46:47], 0
	v_add_f64 v[67:68], v[69:70], 0
	s_waitcnt vmcnt(9)
	v_mul_f64 v[69:70], v[63:64], v[16:17]
	v_mul_f64 v[16:17], v[65:66], v[16:17]
	v_fma_f64 v[85:86], v[4:5], v[10:11], v[85:86]
	v_fma_f64 v[89:90], v[2:3], v[10:11], -v[12:13]
	ds_load_b128 v[2:5], v1 offset:1632
	scratch_load_b128 v[10:13], off, off offset:784
	v_add_f64 v[46:47], v[46:47], v[42:43]
	v_add_f64 v[67:68], v[67:68], v[44:45]
	ds_load_b128 v[42:45], v1 offset:1648
	v_fma_f64 v[65:66], v[65:66], v[14:15], v[69:70]
	v_fma_f64 v[63:64], v[63:64], v[14:15], -v[16:17]
	scratch_load_b128 v[14:17], off, off offset:800
	s_waitcnt vmcnt(10) lgkmcnt(1)
	v_mul_f64 v[91:92], v[2:3], v[20:21]
	v_mul_f64 v[20:21], v[4:5], v[20:21]
	s_waitcnt vmcnt(9) lgkmcnt(0)
	v_mul_f64 v[69:70], v[42:43], v[24:25]
	v_mul_f64 v[24:25], v[44:45], v[24:25]
	v_add_f64 v[46:47], v[46:47], v[89:90]
	v_add_f64 v[67:68], v[67:68], v[85:86]
	v_fma_f64 v[85:86], v[4:5], v[18:19], v[91:92]
	v_fma_f64 v[89:90], v[2:3], v[18:19], -v[20:21]
	ds_load_b128 v[2:5], v1 offset:1664
	scratch_load_b128 v[18:21], off, off offset:816
	v_fma_f64 v[44:45], v[44:45], v[22:23], v[69:70]
	v_fma_f64 v[42:43], v[42:43], v[22:23], -v[24:25]
	scratch_load_b128 v[22:25], off, off offset:832
	v_add_f64 v[46:47], v[46:47], v[63:64]
	v_add_f64 v[67:68], v[67:68], v[65:66]
	ds_load_b128 v[63:66], v1 offset:1680
	s_waitcnt vmcnt(10) lgkmcnt(1)
	v_mul_f64 v[91:92], v[2:3], v[28:29]
	v_mul_f64 v[28:29], v[4:5], v[28:29]
	s_waitcnt vmcnt(9) lgkmcnt(0)
	v_mul_f64 v[69:70], v[63:64], v[32:33]
	v_mul_f64 v[32:33], v[65:66], v[32:33]
	v_add_f64 v[46:47], v[46:47], v[89:90]
	v_add_f64 v[67:68], v[67:68], v[85:86]
	v_fma_f64 v[85:86], v[4:5], v[26:27], v[91:92]
	v_fma_f64 v[89:90], v[2:3], v[26:27], -v[28:29]
	ds_load_b128 v[2:5], v1 offset:1696
	scratch_load_b128 v[26:29], off, off offset:848
	v_fma_f64 v[65:66], v[65:66], v[30:31], v[69:70]
	v_fma_f64 v[63:64], v[63:64], v[30:31], -v[32:33]
	scratch_load_b128 v[30:33], off, off offset:864
	v_add_f64 v[46:47], v[46:47], v[42:43]
	v_add_f64 v[67:68], v[67:68], v[44:45]
	ds_load_b128 v[42:45], v1 offset:1712
	s_waitcnt vmcnt(10) lgkmcnt(1)
	v_mul_f64 v[91:92], v[2:3], v[36:37]
	v_mul_f64 v[36:37], v[4:5], v[36:37]
	s_waitcnt vmcnt(8) lgkmcnt(0)
	v_mul_f64 v[69:70], v[42:43], v[61:62]
	v_add_f64 v[46:47], v[46:47], v[89:90]
	v_add_f64 v[67:68], v[67:68], v[85:86]
	v_mul_f64 v[85:86], v[44:45], v[61:62]
	v_fma_f64 v[89:90], v[4:5], v[34:35], v[91:92]
	v_fma_f64 v[91:92], v[2:3], v[34:35], -v[36:37]
	ds_load_b128 v[2:5], v1 offset:1728
	scratch_load_b128 v[34:37], off, off offset:880
	v_fma_f64 v[44:45], v[44:45], v[59:60], v[69:70]
	v_add_f64 v[46:47], v[46:47], v[63:64]
	v_add_f64 v[65:66], v[67:68], v[65:66]
	ds_load_b128 v[61:64], v1 offset:1744
	v_fma_f64 v[59:60], v[42:43], v[59:60], -v[85:86]
	s_waitcnt vmcnt(8) lgkmcnt(1)
	v_mul_f64 v[67:68], v[2:3], v[40:41]
	v_mul_f64 v[93:94], v[4:5], v[40:41]
	scratch_load_b128 v[40:43], off, off offset:896
	s_waitcnt vmcnt(8) lgkmcnt(0)
	v_mul_f64 v[69:70], v[61:62], v[8:9]
	v_mul_f64 v[8:9], v[63:64], v[8:9]
	v_add_f64 v[46:47], v[46:47], v[91:92]
	v_add_f64 v[65:66], v[65:66], v[89:90]
	v_fma_f64 v[85:86], v[4:5], v[38:39], v[67:68]
	v_fma_f64 v[38:39], v[2:3], v[38:39], -v[93:94]
	ds_load_b128 v[2:5], v1 offset:1760
	v_fma_f64 v[63:64], v[63:64], v[6:7], v[69:70]
	v_fma_f64 v[61:62], v[61:62], v[6:7], -v[8:9]
	scratch_load_b128 v[6:9], off, off offset:928
	v_add_f64 v[46:47], v[46:47], v[59:60]
	v_add_f64 v[44:45], v[65:66], v[44:45]
	scratch_load_b128 v[65:68], off, off offset:912
	s_waitcnt vmcnt(9) lgkmcnt(0)
	v_mul_f64 v[59:60], v[2:3], v[12:13]
	v_mul_f64 v[12:13], v[4:5], v[12:13]
	v_add_f64 v[38:39], v[46:47], v[38:39]
	v_add_f64 v[44:45], v[44:45], v[85:86]
	s_waitcnt vmcnt(8)
	v_mul_f64 v[46:47], v[230:231], v[16:17]
	v_mul_f64 v[16:17], v[232:233], v[16:17]
	v_fma_f64 v[69:70], v[4:5], v[10:11], v[59:60]
	v_fma_f64 v[85:86], v[2:3], v[10:11], -v[12:13]
	ds_load_b128 v[2:5], v1 offset:1792
	scratch_load_b128 v[10:13], off, off offset:944
	v_add_f64 v[38:39], v[38:39], v[61:62]
	v_add_f64 v[44:45], v[44:45], v[63:64]
	ds_load_b128 v[59:62], v1 offset:1808
	s_waitcnt vmcnt(8) lgkmcnt(1)
	v_mul_f64 v[63:64], v[2:3], v[20:21]
	v_mul_f64 v[20:21], v[4:5], v[20:21]
	v_fma_f64 v[46:47], v[232:233], v[14:15], v[46:47]
	v_fma_f64 v[89:90], v[230:231], v[14:15], -v[16:17]
	scratch_load_b128 v[14:17], off, off offset:960
	v_add_f64 v[38:39], v[38:39], v[85:86]
	v_add_f64 v[44:45], v[44:45], v[69:70]
	s_waitcnt vmcnt(8) lgkmcnt(0)
	v_mul_f64 v[69:70], v[59:60], v[24:25]
	v_mul_f64 v[24:25], v[61:62], v[24:25]
	v_fma_f64 v[63:64], v[4:5], v[18:19], v[63:64]
	v_fma_f64 v[85:86], v[2:3], v[18:19], -v[20:21]
	ds_load_b128 v[2:5], v1 offset:1824
	ds_load_b128 v[18:21], v1 offset:1840
	v_add_f64 v[38:39], v[38:39], v[89:90]
	v_add_f64 v[44:45], v[44:45], v[46:47]
	s_waitcnt vmcnt(7) lgkmcnt(1)
	v_mul_f64 v[46:47], v[2:3], v[28:29]
	v_mul_f64 v[28:29], v[4:5], v[28:29]
	v_fma_f64 v[61:62], v[61:62], v[22:23], v[69:70]
	v_fma_f64 v[22:23], v[59:60], v[22:23], -v[24:25]
	v_add_f64 v[24:25], v[38:39], v[85:86]
	v_add_f64 v[38:39], v[44:45], v[63:64]
	s_waitcnt vmcnt(6) lgkmcnt(0)
	v_mul_f64 v[44:45], v[18:19], v[32:33]
	v_mul_f64 v[32:33], v[20:21], v[32:33]
	v_fma_f64 v[46:47], v[4:5], v[26:27], v[46:47]
	v_fma_f64 v[26:27], v[2:3], v[26:27], -v[28:29]
	v_add_f64 v[28:29], v[24:25], v[22:23]
	v_add_f64 v[38:39], v[38:39], v[61:62]
	ds_load_b128 v[2:5], v1 offset:1856
	ds_load_b128 v[22:25], v1 offset:1872
	v_fma_f64 v[20:21], v[20:21], v[30:31], v[44:45]
	v_fma_f64 v[18:19], v[18:19], v[30:31], -v[32:33]
	s_waitcnt vmcnt(5) lgkmcnt(1)
	v_mul_f64 v[59:60], v[2:3], v[36:37]
	v_mul_f64 v[36:37], v[4:5], v[36:37]
	s_waitcnt vmcnt(4) lgkmcnt(0)
	v_mul_f64 v[30:31], v[22:23], v[42:43]
	v_add_f64 v[26:27], v[28:29], v[26:27]
	v_add_f64 v[28:29], v[38:39], v[46:47]
	v_mul_f64 v[32:33], v[24:25], v[42:43]
	v_fma_f64 v[38:39], v[4:5], v[34:35], v[59:60]
	v_fma_f64 v[34:35], v[2:3], v[34:35], -v[36:37]
	v_fma_f64 v[24:25], v[24:25], v[40:41], v[30:31]
	v_add_f64 v[26:27], v[26:27], v[18:19]
	v_add_f64 v[28:29], v[28:29], v[20:21]
	ds_load_b128 v[2:5], v1 offset:1888
	ds_load_b128 v[18:21], v1 offset:1904
	v_fma_f64 v[22:23], v[22:23], v[40:41], -v[32:33]
	s_waitcnt vmcnt(2) lgkmcnt(1)
	v_mul_f64 v[36:37], v[2:3], v[67:68]
	v_mul_f64 v[42:43], v[4:5], v[67:68]
	s_waitcnt lgkmcnt(0)
	v_mul_f64 v[30:31], v[18:19], v[8:9]
	v_mul_f64 v[8:9], v[20:21], v[8:9]
	v_add_f64 v[26:27], v[26:27], v[34:35]
	v_add_f64 v[28:29], v[28:29], v[38:39]
	v_fma_f64 v[32:33], v[4:5], v[65:66], v[36:37]
	v_fma_f64 v[34:35], v[2:3], v[65:66], -v[42:43]
	v_fma_f64 v[20:21], v[20:21], v[6:7], v[30:31]
	v_fma_f64 v[6:7], v[18:19], v[6:7], -v[8:9]
	v_add_f64 v[26:27], v[26:27], v[22:23]
	v_add_f64 v[28:29], v[28:29], v[24:25]
	ds_load_b128 v[2:5], v1 offset:1920
	ds_load_b128 v[22:25], v1 offset:1936
	s_waitcnt vmcnt(1) lgkmcnt(1)
	v_mul_f64 v[36:37], v[2:3], v[12:13]
	v_mul_f64 v[12:13], v[4:5], v[12:13]
	v_add_f64 v[8:9], v[26:27], v[34:35]
	v_add_f64 v[18:19], v[28:29], v[32:33]
	s_waitcnt vmcnt(0) lgkmcnt(0)
	v_mul_f64 v[26:27], v[22:23], v[16:17]
	v_mul_f64 v[16:17], v[24:25], v[16:17]
	v_fma_f64 v[4:5], v[4:5], v[10:11], v[36:37]
	v_fma_f64 v[1:2], v[2:3], v[10:11], -v[12:13]
	v_add_f64 v[6:7], v[8:9], v[6:7]
	v_add_f64 v[8:9], v[18:19], v[20:21]
	v_fma_f64 v[10:11], v[24:25], v[14:15], v[26:27]
	v_fma_f64 v[12:13], v[22:23], v[14:15], -v[16:17]
	s_delay_alu instid0(VALU_DEP_4) | instskip(NEXT) | instid1(VALU_DEP_4)
	v_add_f64 v[1:2], v[6:7], v[1:2]
	v_add_f64 v[3:4], v[8:9], v[4:5]
	s_delay_alu instid0(VALU_DEP_2) | instskip(NEXT) | instid1(VALU_DEP_2)
	v_add_f64 v[1:2], v[1:2], v[12:13]
	v_add_f64 v[3:4], v[3:4], v[10:11]
	s_delay_alu instid0(VALU_DEP_2) | instskip(NEXT) | instid1(VALU_DEP_2)
	v_add_f64 v[1:2], v[55:56], -v[1:2]
	v_add_f64 v[3:4], v[57:58], -v[3:4]
	scratch_store_b128 off, v[1:4], off offset:576
	v_cmpx_lt_u32_e32 35, v171
	s_cbranch_execz .LBB60_321
; %bb.320:
	scratch_load_b128 v[1:4], v198, off
	v_mov_b32_e32 v5, 0
	s_delay_alu instid0(VALU_DEP_1)
	v_mov_b32_e32 v6, v5
	v_mov_b32_e32 v7, v5
	;; [unrolled: 1-line block ×3, first 2 shown]
	scratch_store_b128 off, v[5:8], off offset:560
	s_waitcnt vmcnt(0)
	ds_store_b128 v229, v[1:4]
.LBB60_321:
	s_or_b32 exec_lo, exec_lo, s2
	s_waitcnt lgkmcnt(0)
	s_waitcnt_vscnt null, 0x0
	s_barrier
	buffer_gl0_inv
	s_clause 0x7
	scratch_load_b128 v[2:5], off, off offset:576
	scratch_load_b128 v[6:9], off, off offset:592
	;; [unrolled: 1-line block ×8, first 2 shown]
	v_mov_b32_e32 v1, 0
	s_mov_b32 s2, exec_lo
	ds_load_b128 v[34:37], v1 offset:1552
	s_clause 0x1
	scratch_load_b128 v[38:41], off, off offset:704
	scratch_load_b128 v[42:45], off, off offset:560
	ds_load_b128 v[55:58], v1 offset:1568
	scratch_load_b128 v[59:62], off, off offset:720
	ds_load_b128 v[63:66], v1 offset:1600
	s_waitcnt vmcnt(10) lgkmcnt(2)
	v_mul_f64 v[46:47], v[36:37], v[4:5]
	v_mul_f64 v[4:5], v[34:35], v[4:5]
	s_delay_alu instid0(VALU_DEP_2) | instskip(NEXT) | instid1(VALU_DEP_2)
	v_fma_f64 v[46:47], v[34:35], v[2:3], -v[46:47]
	v_fma_f64 v[69:70], v[36:37], v[2:3], v[4:5]
	ds_load_b128 v[2:5], v1 offset:1584
	s_waitcnt vmcnt(9) lgkmcnt(2)
	v_mul_f64 v[67:68], v[55:56], v[8:9]
	v_mul_f64 v[8:9], v[57:58], v[8:9]
	scratch_load_b128 v[34:37], off, off offset:736
	s_waitcnt vmcnt(9) lgkmcnt(0)
	v_mul_f64 v[85:86], v[2:3], v[12:13]
	v_mul_f64 v[12:13], v[4:5], v[12:13]
	v_add_f64 v[46:47], v[46:47], 0
	v_fma_f64 v[57:58], v[57:58], v[6:7], v[67:68]
	v_fma_f64 v[55:56], v[55:56], v[6:7], -v[8:9]
	v_add_f64 v[67:68], v[69:70], 0
	scratch_load_b128 v[6:9], off, off offset:752
	v_fma_f64 v[85:86], v[4:5], v[10:11], v[85:86]
	v_fma_f64 v[89:90], v[2:3], v[10:11], -v[12:13]
	scratch_load_b128 v[10:13], off, off offset:768
	ds_load_b128 v[2:5], v1 offset:1616
	s_waitcnt vmcnt(10)
	v_mul_f64 v[69:70], v[63:64], v[16:17]
	v_mul_f64 v[16:17], v[65:66], v[16:17]
	v_add_f64 v[46:47], v[46:47], v[55:56]
	v_add_f64 v[67:68], v[67:68], v[57:58]
	ds_load_b128 v[55:58], v1 offset:1632
	s_waitcnt vmcnt(9) lgkmcnt(1)
	v_mul_f64 v[91:92], v[2:3], v[20:21]
	v_mul_f64 v[20:21], v[4:5], v[20:21]
	v_fma_f64 v[65:66], v[65:66], v[14:15], v[69:70]
	v_fma_f64 v[63:64], v[63:64], v[14:15], -v[16:17]
	scratch_load_b128 v[14:17], off, off offset:784
	v_add_f64 v[46:47], v[46:47], v[89:90]
	v_add_f64 v[67:68], v[67:68], v[85:86]
	v_fma_f64 v[85:86], v[4:5], v[18:19], v[91:92]
	v_fma_f64 v[89:90], v[2:3], v[18:19], -v[20:21]
	scratch_load_b128 v[18:21], off, off offset:800
	ds_load_b128 v[2:5], v1 offset:1648
	s_waitcnt vmcnt(10) lgkmcnt(1)
	v_mul_f64 v[69:70], v[55:56], v[24:25]
	v_mul_f64 v[24:25], v[57:58], v[24:25]
	s_waitcnt vmcnt(9) lgkmcnt(0)
	v_mul_f64 v[91:92], v[2:3], v[28:29]
	v_mul_f64 v[28:29], v[4:5], v[28:29]
	v_add_f64 v[46:47], v[46:47], v[63:64]
	v_add_f64 v[67:68], v[67:68], v[65:66]
	ds_load_b128 v[63:66], v1 offset:1664
	v_fma_f64 v[57:58], v[57:58], v[22:23], v[69:70]
	v_fma_f64 v[55:56], v[55:56], v[22:23], -v[24:25]
	scratch_load_b128 v[22:25], off, off offset:816
	v_add_f64 v[46:47], v[46:47], v[89:90]
	v_add_f64 v[67:68], v[67:68], v[85:86]
	v_fma_f64 v[85:86], v[4:5], v[26:27], v[91:92]
	v_fma_f64 v[89:90], v[2:3], v[26:27], -v[28:29]
	scratch_load_b128 v[26:29], off, off offset:832
	ds_load_b128 v[2:5], v1 offset:1680
	s_waitcnt vmcnt(10) lgkmcnt(1)
	v_mul_f64 v[69:70], v[63:64], v[32:33]
	v_mul_f64 v[32:33], v[65:66], v[32:33]
	s_waitcnt vmcnt(9) lgkmcnt(0)
	v_mul_f64 v[91:92], v[2:3], v[40:41]
	v_mul_f64 v[40:41], v[4:5], v[40:41]
	v_add_f64 v[46:47], v[46:47], v[55:56]
	v_add_f64 v[67:68], v[67:68], v[57:58]
	ds_load_b128 v[55:58], v1 offset:1696
	v_fma_f64 v[65:66], v[65:66], v[30:31], v[69:70]
	v_fma_f64 v[63:64], v[63:64], v[30:31], -v[32:33]
	scratch_load_b128 v[30:33], off, off offset:848
	v_add_f64 v[46:47], v[46:47], v[89:90]
	v_add_f64 v[67:68], v[67:68], v[85:86]
	v_fma_f64 v[89:90], v[4:5], v[38:39], v[91:92]
	v_fma_f64 v[91:92], v[2:3], v[38:39], -v[40:41]
	scratch_load_b128 v[38:41], off, off offset:864
	ds_load_b128 v[2:5], v1 offset:1712
	s_waitcnt vmcnt(9) lgkmcnt(1)
	v_mul_f64 v[69:70], v[55:56], v[61:62]
	v_mul_f64 v[85:86], v[57:58], v[61:62]
	v_add_f64 v[46:47], v[46:47], v[63:64]
	v_add_f64 v[65:66], v[67:68], v[65:66]
	ds_load_b128 v[61:64], v1 offset:1728
	v_fma_f64 v[69:70], v[57:58], v[59:60], v[69:70]
	v_fma_f64 v[59:60], v[55:56], v[59:60], -v[85:86]
	scratch_load_b128 v[55:58], off, off offset:880
	s_waitcnt vmcnt(9) lgkmcnt(1)
	v_mul_f64 v[67:68], v[2:3], v[36:37]
	v_mul_f64 v[36:37], v[4:5], v[36:37]
	v_add_f64 v[46:47], v[46:47], v[91:92]
	v_add_f64 v[65:66], v[65:66], v[89:90]
	s_delay_alu instid0(VALU_DEP_4) | instskip(NEXT) | instid1(VALU_DEP_4)
	v_fma_f64 v[89:90], v[4:5], v[34:35], v[67:68]
	v_fma_f64 v[91:92], v[2:3], v[34:35], -v[36:37]
	scratch_load_b128 v[34:37], off, off offset:896
	ds_load_b128 v[2:5], v1 offset:1744
	s_waitcnt vmcnt(9) lgkmcnt(1)
	v_mul_f64 v[85:86], v[61:62], v[8:9]
	v_mul_f64 v[8:9], v[63:64], v[8:9]
	v_add_f64 v[46:47], v[46:47], v[59:60]
	v_add_f64 v[59:60], v[65:66], v[69:70]
	s_waitcnt vmcnt(8) lgkmcnt(0)
	v_mul_f64 v[69:70], v[2:3], v[12:13]
	v_mul_f64 v[12:13], v[4:5], v[12:13]
	ds_load_b128 v[65:68], v1 offset:1760
	v_fma_f64 v[63:64], v[63:64], v[6:7], v[85:86]
	v_fma_f64 v[61:62], v[61:62], v[6:7], -v[8:9]
	scratch_load_b128 v[6:9], off, off offset:912
	v_add_f64 v[46:47], v[46:47], v[91:92]
	v_add_f64 v[59:60], v[59:60], v[89:90]
	v_fma_f64 v[69:70], v[4:5], v[10:11], v[69:70]
	v_fma_f64 v[89:90], v[2:3], v[10:11], -v[12:13]
	scratch_load_b128 v[10:13], off, off offset:928
	ds_load_b128 v[2:5], v1 offset:1776
	s_waitcnt vmcnt(9) lgkmcnt(1)
	v_mul_f64 v[85:86], v[65:66], v[16:17]
	v_mul_f64 v[16:17], v[67:68], v[16:17]
	s_waitcnt vmcnt(8) lgkmcnt(0)
	v_mul_f64 v[91:92], v[2:3], v[20:21]
	v_mul_f64 v[20:21], v[4:5], v[20:21]
	v_add_f64 v[46:47], v[46:47], v[61:62]
	v_add_f64 v[63:64], v[59:60], v[63:64]
	ds_load_b128 v[59:62], v1 offset:1792
	v_fma_f64 v[67:68], v[67:68], v[14:15], v[85:86]
	v_fma_f64 v[65:66], v[65:66], v[14:15], -v[16:17]
	scratch_load_b128 v[14:17], off, off offset:944
	v_fma_f64 v[85:86], v[4:5], v[18:19], v[91:92]
	v_add_f64 v[46:47], v[46:47], v[89:90]
	v_add_f64 v[63:64], v[63:64], v[69:70]
	v_fma_f64 v[89:90], v[2:3], v[18:19], -v[20:21]
	scratch_load_b128 v[18:21], off, off offset:960
	ds_load_b128 v[2:5], v1 offset:1808
	s_waitcnt vmcnt(9) lgkmcnt(1)
	v_mul_f64 v[69:70], v[59:60], v[24:25]
	v_mul_f64 v[24:25], v[61:62], v[24:25]
	s_waitcnt vmcnt(8) lgkmcnt(0)
	v_mul_f64 v[91:92], v[2:3], v[28:29]
	v_mul_f64 v[28:29], v[4:5], v[28:29]
	v_add_f64 v[46:47], v[46:47], v[65:66]
	v_add_f64 v[67:68], v[63:64], v[67:68]
	ds_load_b128 v[63:66], v1 offset:1824
	v_fma_f64 v[61:62], v[61:62], v[22:23], v[69:70]
	v_fma_f64 v[22:23], v[59:60], v[22:23], -v[24:25]
	s_waitcnt vmcnt(7) lgkmcnt(0)
	v_mul_f64 v[59:60], v[63:64], v[32:33]
	v_mul_f64 v[32:33], v[65:66], v[32:33]
	v_add_f64 v[24:25], v[46:47], v[89:90]
	v_add_f64 v[46:47], v[67:68], v[85:86]
	v_fma_f64 v[67:68], v[4:5], v[26:27], v[91:92]
	v_fma_f64 v[26:27], v[2:3], v[26:27], -v[28:29]
	v_fma_f64 v[59:60], v[65:66], v[30:31], v[59:60]
	v_fma_f64 v[30:31], v[63:64], v[30:31], -v[32:33]
	v_add_f64 v[28:29], v[24:25], v[22:23]
	v_add_f64 v[46:47], v[46:47], v[61:62]
	ds_load_b128 v[2:5], v1 offset:1840
	ds_load_b128 v[22:25], v1 offset:1856
	s_waitcnt vmcnt(6) lgkmcnt(1)
	v_mul_f64 v[61:62], v[2:3], v[40:41]
	v_mul_f64 v[40:41], v[4:5], v[40:41]
	s_waitcnt vmcnt(5) lgkmcnt(0)
	v_mul_f64 v[32:33], v[22:23], v[57:58]
	v_add_f64 v[26:27], v[28:29], v[26:27]
	v_add_f64 v[28:29], v[46:47], v[67:68]
	v_mul_f64 v[46:47], v[24:25], v[57:58]
	v_fma_f64 v[57:58], v[4:5], v[38:39], v[61:62]
	v_fma_f64 v[38:39], v[2:3], v[38:39], -v[40:41]
	v_fma_f64 v[24:25], v[24:25], v[55:56], v[32:33]
	v_add_f64 v[30:31], v[26:27], v[30:31]
	v_add_f64 v[40:41], v[28:29], v[59:60]
	ds_load_b128 v[2:5], v1 offset:1872
	ds_load_b128 v[26:29], v1 offset:1888
	v_fma_f64 v[22:23], v[22:23], v[55:56], -v[46:47]
	s_waitcnt vmcnt(4) lgkmcnt(1)
	v_mul_f64 v[59:60], v[2:3], v[36:37]
	v_mul_f64 v[36:37], v[4:5], v[36:37]
	v_add_f64 v[30:31], v[30:31], v[38:39]
	v_add_f64 v[32:33], v[40:41], v[57:58]
	s_waitcnt vmcnt(3) lgkmcnt(0)
	v_mul_f64 v[38:39], v[26:27], v[8:9]
	v_mul_f64 v[8:9], v[28:29], v[8:9]
	v_fma_f64 v[40:41], v[4:5], v[34:35], v[59:60]
	v_fma_f64 v[34:35], v[2:3], v[34:35], -v[36:37]
	v_add_f64 v[30:31], v[30:31], v[22:23]
	v_add_f64 v[32:33], v[32:33], v[24:25]
	ds_load_b128 v[2:5], v1 offset:1904
	ds_load_b128 v[22:25], v1 offset:1920
	v_fma_f64 v[28:29], v[28:29], v[6:7], v[38:39]
	v_fma_f64 v[6:7], v[26:27], v[6:7], -v[8:9]
	s_waitcnt vmcnt(2) lgkmcnt(1)
	v_mul_f64 v[36:37], v[2:3], v[12:13]
	v_mul_f64 v[12:13], v[4:5], v[12:13]
	v_add_f64 v[8:9], v[30:31], v[34:35]
	v_add_f64 v[26:27], v[32:33], v[40:41]
	s_waitcnt vmcnt(1) lgkmcnt(0)
	v_mul_f64 v[30:31], v[22:23], v[16:17]
	v_mul_f64 v[16:17], v[24:25], v[16:17]
	v_fma_f64 v[32:33], v[4:5], v[10:11], v[36:37]
	v_fma_f64 v[10:11], v[2:3], v[10:11], -v[12:13]
	ds_load_b128 v[2:5], v1 offset:1936
	v_add_f64 v[6:7], v[8:9], v[6:7]
	v_add_f64 v[8:9], v[26:27], v[28:29]
	v_fma_f64 v[24:25], v[24:25], v[14:15], v[30:31]
	v_fma_f64 v[14:15], v[22:23], v[14:15], -v[16:17]
	s_waitcnt vmcnt(0) lgkmcnt(0)
	v_mul_f64 v[12:13], v[2:3], v[20:21]
	v_mul_f64 v[20:21], v[4:5], v[20:21]
	v_add_f64 v[6:7], v[6:7], v[10:11]
	v_add_f64 v[8:9], v[8:9], v[32:33]
	s_delay_alu instid0(VALU_DEP_4) | instskip(NEXT) | instid1(VALU_DEP_4)
	v_fma_f64 v[4:5], v[4:5], v[18:19], v[12:13]
	v_fma_f64 v[2:3], v[2:3], v[18:19], -v[20:21]
	s_delay_alu instid0(VALU_DEP_4) | instskip(NEXT) | instid1(VALU_DEP_4)
	v_add_f64 v[6:7], v[6:7], v[14:15]
	v_add_f64 v[8:9], v[8:9], v[24:25]
	s_delay_alu instid0(VALU_DEP_2) | instskip(NEXT) | instid1(VALU_DEP_2)
	v_add_f64 v[2:3], v[6:7], v[2:3]
	v_add_f64 v[4:5], v[8:9], v[4:5]
	s_delay_alu instid0(VALU_DEP_2) | instskip(NEXT) | instid1(VALU_DEP_2)
	v_add_f64 v[2:3], v[42:43], -v[2:3]
	v_add_f64 v[4:5], v[44:45], -v[4:5]
	scratch_store_b128 off, v[2:5], off offset:560
	v_cmpx_lt_u32_e32 34, v171
	s_cbranch_execz .LBB60_323
; %bb.322:
	scratch_load_b128 v[5:8], v202, off
	v_mov_b32_e32 v2, v1
	v_mov_b32_e32 v3, v1
	;; [unrolled: 1-line block ×3, first 2 shown]
	scratch_store_b128 off, v[1:4], off offset:544
	s_waitcnt vmcnt(0)
	ds_store_b128 v229, v[5:8]
.LBB60_323:
	s_or_b32 exec_lo, exec_lo, s2
	s_waitcnt lgkmcnt(0)
	s_waitcnt_vscnt null, 0x0
	s_barrier
	buffer_gl0_inv
	s_clause 0x8
	scratch_load_b128 v[2:5], off, off offset:560
	scratch_load_b128 v[6:9], off, off offset:576
	;; [unrolled: 1-line block ×9, first 2 shown]
	ds_load_b128 v[38:41], v1 offset:1536
	ds_load_b128 v[42:45], v1 offset:1552
	s_clause 0x1
	scratch_load_b128 v[55:58], off, off offset:544
	scratch_load_b128 v[59:62], off, off offset:704
	s_mov_b32 s2, exec_lo
	ds_load_b128 v[63:66], v1 offset:1584
	ds_load_b128 v[230:233], v1 offset:1744
	s_waitcnt vmcnt(10) lgkmcnt(3)
	v_mul_f64 v[46:47], v[40:41], v[4:5]
	v_mul_f64 v[4:5], v[38:39], v[4:5]
	s_waitcnt vmcnt(9) lgkmcnt(2)
	v_mul_f64 v[67:68], v[42:43], v[8:9]
	v_mul_f64 v[8:9], v[44:45], v[8:9]
	s_delay_alu instid0(VALU_DEP_4) | instskip(NEXT) | instid1(VALU_DEP_4)
	v_fma_f64 v[46:47], v[38:39], v[2:3], -v[46:47]
	v_fma_f64 v[69:70], v[40:41], v[2:3], v[4:5]
	ds_load_b128 v[2:5], v1 offset:1568
	scratch_load_b128 v[38:41], off, off offset:720
	v_fma_f64 v[44:45], v[44:45], v[6:7], v[67:68]
	v_fma_f64 v[42:43], v[42:43], v[6:7], -v[8:9]
	scratch_load_b128 v[6:9], off, off offset:736
	s_waitcnt vmcnt(10) lgkmcnt(0)
	v_mul_f64 v[85:86], v[2:3], v[12:13]
	v_mul_f64 v[12:13], v[4:5], v[12:13]
	v_add_f64 v[46:47], v[46:47], 0
	v_add_f64 v[67:68], v[69:70], 0
	s_waitcnt vmcnt(9)
	v_mul_f64 v[69:70], v[63:64], v[16:17]
	v_mul_f64 v[16:17], v[65:66], v[16:17]
	v_fma_f64 v[85:86], v[4:5], v[10:11], v[85:86]
	v_fma_f64 v[89:90], v[2:3], v[10:11], -v[12:13]
	ds_load_b128 v[2:5], v1 offset:1600
	scratch_load_b128 v[10:13], off, off offset:752
	v_add_f64 v[46:47], v[46:47], v[42:43]
	v_add_f64 v[67:68], v[67:68], v[44:45]
	ds_load_b128 v[42:45], v1 offset:1616
	v_fma_f64 v[65:66], v[65:66], v[14:15], v[69:70]
	v_fma_f64 v[63:64], v[63:64], v[14:15], -v[16:17]
	scratch_load_b128 v[14:17], off, off offset:768
	s_waitcnt vmcnt(10) lgkmcnt(1)
	v_mul_f64 v[91:92], v[2:3], v[20:21]
	v_mul_f64 v[20:21], v[4:5], v[20:21]
	s_waitcnt vmcnt(9) lgkmcnt(0)
	v_mul_f64 v[69:70], v[42:43], v[24:25]
	v_mul_f64 v[24:25], v[44:45], v[24:25]
	v_add_f64 v[46:47], v[46:47], v[89:90]
	v_add_f64 v[67:68], v[67:68], v[85:86]
	v_fma_f64 v[85:86], v[4:5], v[18:19], v[91:92]
	v_fma_f64 v[89:90], v[2:3], v[18:19], -v[20:21]
	ds_load_b128 v[2:5], v1 offset:1632
	scratch_load_b128 v[18:21], off, off offset:784
	v_fma_f64 v[44:45], v[44:45], v[22:23], v[69:70]
	v_fma_f64 v[42:43], v[42:43], v[22:23], -v[24:25]
	scratch_load_b128 v[22:25], off, off offset:800
	v_add_f64 v[46:47], v[46:47], v[63:64]
	v_add_f64 v[67:68], v[67:68], v[65:66]
	ds_load_b128 v[63:66], v1 offset:1648
	s_waitcnt vmcnt(10) lgkmcnt(1)
	v_mul_f64 v[91:92], v[2:3], v[28:29]
	v_mul_f64 v[28:29], v[4:5], v[28:29]
	s_waitcnt vmcnt(9) lgkmcnt(0)
	v_mul_f64 v[69:70], v[63:64], v[32:33]
	v_mul_f64 v[32:33], v[65:66], v[32:33]
	v_add_f64 v[46:47], v[46:47], v[89:90]
	v_add_f64 v[67:68], v[67:68], v[85:86]
	v_fma_f64 v[85:86], v[4:5], v[26:27], v[91:92]
	v_fma_f64 v[89:90], v[2:3], v[26:27], -v[28:29]
	ds_load_b128 v[2:5], v1 offset:1664
	scratch_load_b128 v[26:29], off, off offset:816
	v_fma_f64 v[65:66], v[65:66], v[30:31], v[69:70]
	v_fma_f64 v[63:64], v[63:64], v[30:31], -v[32:33]
	scratch_load_b128 v[30:33], off, off offset:832
	v_add_f64 v[46:47], v[46:47], v[42:43]
	v_add_f64 v[67:68], v[67:68], v[44:45]
	ds_load_b128 v[42:45], v1 offset:1680
	s_waitcnt vmcnt(10) lgkmcnt(1)
	v_mul_f64 v[91:92], v[2:3], v[36:37]
	v_mul_f64 v[36:37], v[4:5], v[36:37]
	s_waitcnt vmcnt(8) lgkmcnt(0)
	v_mul_f64 v[69:70], v[42:43], v[61:62]
	v_add_f64 v[46:47], v[46:47], v[89:90]
	v_add_f64 v[67:68], v[67:68], v[85:86]
	v_mul_f64 v[85:86], v[44:45], v[61:62]
	v_fma_f64 v[89:90], v[4:5], v[34:35], v[91:92]
	v_fma_f64 v[91:92], v[2:3], v[34:35], -v[36:37]
	ds_load_b128 v[2:5], v1 offset:1696
	scratch_load_b128 v[34:37], off, off offset:848
	v_fma_f64 v[44:45], v[44:45], v[59:60], v[69:70]
	v_add_f64 v[46:47], v[46:47], v[63:64]
	v_add_f64 v[65:66], v[67:68], v[65:66]
	ds_load_b128 v[61:64], v1 offset:1712
	v_fma_f64 v[59:60], v[42:43], v[59:60], -v[85:86]
	s_waitcnt vmcnt(8) lgkmcnt(1)
	v_mul_f64 v[67:68], v[2:3], v[40:41]
	v_mul_f64 v[93:94], v[4:5], v[40:41]
	scratch_load_b128 v[40:43], off, off offset:864
	s_waitcnt vmcnt(8) lgkmcnt(0)
	v_mul_f64 v[69:70], v[61:62], v[8:9]
	v_mul_f64 v[8:9], v[63:64], v[8:9]
	v_add_f64 v[46:47], v[46:47], v[91:92]
	v_add_f64 v[65:66], v[65:66], v[89:90]
	v_fma_f64 v[85:86], v[4:5], v[38:39], v[67:68]
	v_fma_f64 v[38:39], v[2:3], v[38:39], -v[93:94]
	ds_load_b128 v[2:5], v1 offset:1728
	v_fma_f64 v[63:64], v[63:64], v[6:7], v[69:70]
	v_fma_f64 v[61:62], v[61:62], v[6:7], -v[8:9]
	scratch_load_b128 v[6:9], off, off offset:896
	v_add_f64 v[46:47], v[46:47], v[59:60]
	v_add_f64 v[44:45], v[65:66], v[44:45]
	scratch_load_b128 v[65:68], off, off offset:880
	s_waitcnt vmcnt(9) lgkmcnt(0)
	v_mul_f64 v[59:60], v[2:3], v[12:13]
	v_mul_f64 v[12:13], v[4:5], v[12:13]
	v_add_f64 v[38:39], v[46:47], v[38:39]
	v_add_f64 v[44:45], v[44:45], v[85:86]
	s_waitcnt vmcnt(8)
	v_mul_f64 v[46:47], v[230:231], v[16:17]
	v_mul_f64 v[16:17], v[232:233], v[16:17]
	v_fma_f64 v[69:70], v[4:5], v[10:11], v[59:60]
	v_fma_f64 v[85:86], v[2:3], v[10:11], -v[12:13]
	ds_load_b128 v[2:5], v1 offset:1760
	scratch_load_b128 v[10:13], off, off offset:912
	v_add_f64 v[38:39], v[38:39], v[61:62]
	v_add_f64 v[44:45], v[44:45], v[63:64]
	ds_load_b128 v[59:62], v1 offset:1776
	s_waitcnt vmcnt(8) lgkmcnt(1)
	v_mul_f64 v[63:64], v[2:3], v[20:21]
	v_mul_f64 v[20:21], v[4:5], v[20:21]
	v_fma_f64 v[46:47], v[232:233], v[14:15], v[46:47]
	v_fma_f64 v[89:90], v[230:231], v[14:15], -v[16:17]
	scratch_load_b128 v[14:17], off, off offset:928
	ds_load_b128 v[230:233], v1 offset:1808
	v_add_f64 v[38:39], v[38:39], v[85:86]
	v_add_f64 v[44:45], v[44:45], v[69:70]
	s_waitcnt vmcnt(8) lgkmcnt(1)
	v_mul_f64 v[69:70], v[59:60], v[24:25]
	v_mul_f64 v[24:25], v[61:62], v[24:25]
	v_fma_f64 v[63:64], v[4:5], v[18:19], v[63:64]
	v_fma_f64 v[85:86], v[2:3], v[18:19], -v[20:21]
	ds_load_b128 v[2:5], v1 offset:1792
	scratch_load_b128 v[18:21], off, off offset:944
	v_add_f64 v[38:39], v[38:39], v[89:90]
	v_add_f64 v[44:45], v[44:45], v[46:47]
	s_waitcnt vmcnt(8) lgkmcnt(0)
	v_mul_f64 v[46:47], v[2:3], v[28:29]
	v_mul_f64 v[28:29], v[4:5], v[28:29]
	v_fma_f64 v[61:62], v[61:62], v[22:23], v[69:70]
	v_fma_f64 v[59:60], v[59:60], v[22:23], -v[24:25]
	scratch_load_b128 v[22:25], off, off offset:960
	v_add_f64 v[38:39], v[38:39], v[85:86]
	v_add_f64 v[44:45], v[44:45], v[63:64]
	s_waitcnt vmcnt(8)
	v_mul_f64 v[63:64], v[230:231], v[32:33]
	v_mul_f64 v[32:33], v[232:233], v[32:33]
	v_fma_f64 v[46:47], v[4:5], v[26:27], v[46:47]
	v_fma_f64 v[69:70], v[2:3], v[26:27], -v[28:29]
	ds_load_b128 v[2:5], v1 offset:1824
	ds_load_b128 v[26:29], v1 offset:1840
	v_add_f64 v[38:39], v[38:39], v[59:60]
	v_add_f64 v[44:45], v[44:45], v[61:62]
	s_waitcnt vmcnt(7) lgkmcnt(1)
	v_mul_f64 v[59:60], v[2:3], v[36:37]
	v_mul_f64 v[36:37], v[4:5], v[36:37]
	v_fma_f64 v[61:62], v[232:233], v[30:31], v[63:64]
	v_fma_f64 v[30:31], v[230:231], v[30:31], -v[32:33]
	v_add_f64 v[32:33], v[38:39], v[69:70]
	v_add_f64 v[38:39], v[44:45], v[46:47]
	s_waitcnt vmcnt(6) lgkmcnt(0)
	v_mul_f64 v[44:45], v[26:27], v[42:43]
	v_mul_f64 v[42:43], v[28:29], v[42:43]
	v_fma_f64 v[46:47], v[4:5], v[34:35], v[59:60]
	v_fma_f64 v[34:35], v[2:3], v[34:35], -v[36:37]
	v_add_f64 v[36:37], v[32:33], v[30:31]
	v_add_f64 v[38:39], v[38:39], v[61:62]
	ds_load_b128 v[2:5], v1 offset:1856
	ds_load_b128 v[30:33], v1 offset:1872
	v_fma_f64 v[28:29], v[28:29], v[40:41], v[44:45]
	v_fma_f64 v[26:27], v[26:27], v[40:41], -v[42:43]
	s_waitcnt vmcnt(4) lgkmcnt(1)
	v_mul_f64 v[59:60], v[2:3], v[67:68]
	v_mul_f64 v[61:62], v[4:5], v[67:68]
	v_add_f64 v[34:35], v[36:37], v[34:35]
	v_add_f64 v[36:37], v[38:39], v[46:47]
	s_waitcnt lgkmcnt(0)
	v_mul_f64 v[38:39], v[30:31], v[8:9]
	v_mul_f64 v[8:9], v[32:33], v[8:9]
	v_fma_f64 v[40:41], v[4:5], v[65:66], v[59:60]
	v_fma_f64 v[42:43], v[2:3], v[65:66], -v[61:62]
	v_add_f64 v[34:35], v[34:35], v[26:27]
	v_add_f64 v[36:37], v[36:37], v[28:29]
	ds_load_b128 v[2:5], v1 offset:1888
	ds_load_b128 v[26:29], v1 offset:1904
	v_fma_f64 v[32:33], v[32:33], v[6:7], v[38:39]
	v_fma_f64 v[6:7], v[30:31], v[6:7], -v[8:9]
	s_waitcnt vmcnt(3) lgkmcnt(1)
	v_mul_f64 v[44:45], v[2:3], v[12:13]
	v_mul_f64 v[12:13], v[4:5], v[12:13]
	v_add_f64 v[8:9], v[34:35], v[42:43]
	v_add_f64 v[30:31], v[36:37], v[40:41]
	s_waitcnt vmcnt(2) lgkmcnt(0)
	v_mul_f64 v[34:35], v[26:27], v[16:17]
	v_mul_f64 v[16:17], v[28:29], v[16:17]
	v_fma_f64 v[36:37], v[4:5], v[10:11], v[44:45]
	v_fma_f64 v[10:11], v[2:3], v[10:11], -v[12:13]
	v_add_f64 v[12:13], v[8:9], v[6:7]
	v_add_f64 v[30:31], v[30:31], v[32:33]
	ds_load_b128 v[2:5], v1 offset:1920
	ds_load_b128 v[6:9], v1 offset:1936
	v_fma_f64 v[28:29], v[28:29], v[14:15], v[34:35]
	v_fma_f64 v[14:15], v[26:27], v[14:15], -v[16:17]
	s_waitcnt vmcnt(1) lgkmcnt(1)
	v_mul_f64 v[32:33], v[2:3], v[20:21]
	v_mul_f64 v[20:21], v[4:5], v[20:21]
	s_waitcnt vmcnt(0) lgkmcnt(0)
	v_mul_f64 v[16:17], v[6:7], v[24:25]
	v_mul_f64 v[24:25], v[8:9], v[24:25]
	v_add_f64 v[10:11], v[12:13], v[10:11]
	v_add_f64 v[12:13], v[30:31], v[36:37]
	v_fma_f64 v[4:5], v[4:5], v[18:19], v[32:33]
	v_fma_f64 v[1:2], v[2:3], v[18:19], -v[20:21]
	v_fma_f64 v[8:9], v[8:9], v[22:23], v[16:17]
	v_fma_f64 v[6:7], v[6:7], v[22:23], -v[24:25]
	v_add_f64 v[10:11], v[10:11], v[14:15]
	v_add_f64 v[12:13], v[12:13], v[28:29]
	s_delay_alu instid0(VALU_DEP_2) | instskip(NEXT) | instid1(VALU_DEP_2)
	v_add_f64 v[1:2], v[10:11], v[1:2]
	v_add_f64 v[3:4], v[12:13], v[4:5]
	s_delay_alu instid0(VALU_DEP_2) | instskip(NEXT) | instid1(VALU_DEP_2)
	;; [unrolled: 3-line block ×3, first 2 shown]
	v_add_f64 v[1:2], v[55:56], -v[1:2]
	v_add_f64 v[3:4], v[57:58], -v[3:4]
	scratch_store_b128 off, v[1:4], off offset:544
	v_cmpx_lt_u32_e32 33, v171
	s_cbranch_execz .LBB60_325
; %bb.324:
	scratch_load_b128 v[1:4], v179, off
	v_mov_b32_e32 v5, 0
	s_delay_alu instid0(VALU_DEP_1)
	v_mov_b32_e32 v6, v5
	v_mov_b32_e32 v7, v5
	;; [unrolled: 1-line block ×3, first 2 shown]
	scratch_store_b128 off, v[5:8], off offset:528
	s_waitcnt vmcnt(0)
	ds_store_b128 v229, v[1:4]
.LBB60_325:
	s_or_b32 exec_lo, exec_lo, s2
	s_waitcnt lgkmcnt(0)
	s_waitcnt_vscnt null, 0x0
	s_barrier
	buffer_gl0_inv
	s_clause 0x7
	scratch_load_b128 v[2:5], off, off offset:544
	scratch_load_b128 v[6:9], off, off offset:560
	;; [unrolled: 1-line block ×8, first 2 shown]
	v_mov_b32_e32 v1, 0
	s_mov_b32 s2, exec_lo
	ds_load_b128 v[38:41], v1 offset:1520
	s_clause 0x1
	scratch_load_b128 v[34:37], off, off offset:672
	scratch_load_b128 v[42:45], off, off offset:528
	ds_load_b128 v[55:58], v1 offset:1536
	scratch_load_b128 v[59:62], off, off offset:688
	ds_load_b128 v[63:66], v1 offset:1568
	s_waitcnt vmcnt(10) lgkmcnt(2)
	v_mul_f64 v[46:47], v[40:41], v[4:5]
	v_mul_f64 v[4:5], v[38:39], v[4:5]
	s_delay_alu instid0(VALU_DEP_2) | instskip(NEXT) | instid1(VALU_DEP_2)
	v_fma_f64 v[46:47], v[38:39], v[2:3], -v[46:47]
	v_fma_f64 v[69:70], v[40:41], v[2:3], v[4:5]
	ds_load_b128 v[2:5], v1 offset:1552
	s_waitcnt vmcnt(9) lgkmcnt(2)
	v_mul_f64 v[67:68], v[55:56], v[8:9]
	v_mul_f64 v[8:9], v[57:58], v[8:9]
	scratch_load_b128 v[38:41], off, off offset:704
	s_waitcnt vmcnt(9) lgkmcnt(0)
	v_mul_f64 v[85:86], v[2:3], v[12:13]
	v_mul_f64 v[12:13], v[4:5], v[12:13]
	v_add_f64 v[46:47], v[46:47], 0
	v_fma_f64 v[57:58], v[57:58], v[6:7], v[67:68]
	v_fma_f64 v[55:56], v[55:56], v[6:7], -v[8:9]
	v_add_f64 v[67:68], v[69:70], 0
	scratch_load_b128 v[6:9], off, off offset:720
	v_fma_f64 v[85:86], v[4:5], v[10:11], v[85:86]
	v_fma_f64 v[89:90], v[2:3], v[10:11], -v[12:13]
	scratch_load_b128 v[10:13], off, off offset:736
	ds_load_b128 v[2:5], v1 offset:1584
	s_waitcnt vmcnt(10)
	v_mul_f64 v[69:70], v[63:64], v[16:17]
	v_mul_f64 v[16:17], v[65:66], v[16:17]
	v_add_f64 v[46:47], v[46:47], v[55:56]
	v_add_f64 v[67:68], v[67:68], v[57:58]
	ds_load_b128 v[55:58], v1 offset:1600
	s_waitcnt vmcnt(9) lgkmcnt(1)
	v_mul_f64 v[91:92], v[2:3], v[20:21]
	v_mul_f64 v[20:21], v[4:5], v[20:21]
	v_fma_f64 v[65:66], v[65:66], v[14:15], v[69:70]
	v_fma_f64 v[63:64], v[63:64], v[14:15], -v[16:17]
	scratch_load_b128 v[14:17], off, off offset:752
	v_add_f64 v[46:47], v[46:47], v[89:90]
	v_add_f64 v[67:68], v[67:68], v[85:86]
	v_fma_f64 v[85:86], v[4:5], v[18:19], v[91:92]
	v_fma_f64 v[89:90], v[2:3], v[18:19], -v[20:21]
	scratch_load_b128 v[18:21], off, off offset:768
	ds_load_b128 v[2:5], v1 offset:1616
	s_waitcnt vmcnt(10) lgkmcnt(1)
	v_mul_f64 v[69:70], v[55:56], v[24:25]
	v_mul_f64 v[24:25], v[57:58], v[24:25]
	s_waitcnt vmcnt(9) lgkmcnt(0)
	v_mul_f64 v[91:92], v[2:3], v[28:29]
	v_mul_f64 v[28:29], v[4:5], v[28:29]
	v_add_f64 v[46:47], v[46:47], v[63:64]
	v_add_f64 v[67:68], v[67:68], v[65:66]
	ds_load_b128 v[63:66], v1 offset:1632
	v_fma_f64 v[57:58], v[57:58], v[22:23], v[69:70]
	v_fma_f64 v[55:56], v[55:56], v[22:23], -v[24:25]
	scratch_load_b128 v[22:25], off, off offset:784
	v_add_f64 v[46:47], v[46:47], v[89:90]
	v_add_f64 v[67:68], v[67:68], v[85:86]
	v_fma_f64 v[85:86], v[4:5], v[26:27], v[91:92]
	v_fma_f64 v[89:90], v[2:3], v[26:27], -v[28:29]
	scratch_load_b128 v[26:29], off, off offset:800
	ds_load_b128 v[2:5], v1 offset:1648
	s_waitcnt vmcnt(10) lgkmcnt(1)
	v_mul_f64 v[69:70], v[63:64], v[32:33]
	v_mul_f64 v[32:33], v[65:66], v[32:33]
	s_waitcnt vmcnt(9) lgkmcnt(0)
	v_mul_f64 v[91:92], v[2:3], v[36:37]
	v_mul_f64 v[36:37], v[4:5], v[36:37]
	v_add_f64 v[46:47], v[46:47], v[55:56]
	v_add_f64 v[67:68], v[67:68], v[57:58]
	ds_load_b128 v[55:58], v1 offset:1664
	v_fma_f64 v[65:66], v[65:66], v[30:31], v[69:70]
	v_fma_f64 v[63:64], v[63:64], v[30:31], -v[32:33]
	scratch_load_b128 v[30:33], off, off offset:816
	v_add_f64 v[46:47], v[46:47], v[89:90]
	v_add_f64 v[67:68], v[67:68], v[85:86]
	v_fma_f64 v[89:90], v[4:5], v[34:35], v[91:92]
	v_fma_f64 v[91:92], v[2:3], v[34:35], -v[36:37]
	scratch_load_b128 v[34:37], off, off offset:832
	ds_load_b128 v[2:5], v1 offset:1680
	s_waitcnt vmcnt(9) lgkmcnt(1)
	v_mul_f64 v[69:70], v[55:56], v[61:62]
	v_mul_f64 v[85:86], v[57:58], v[61:62]
	v_add_f64 v[46:47], v[46:47], v[63:64]
	v_add_f64 v[65:66], v[67:68], v[65:66]
	ds_load_b128 v[61:64], v1 offset:1696
	v_fma_f64 v[69:70], v[57:58], v[59:60], v[69:70]
	v_fma_f64 v[59:60], v[55:56], v[59:60], -v[85:86]
	scratch_load_b128 v[55:58], off, off offset:848
	s_waitcnt vmcnt(9) lgkmcnt(1)
	v_mul_f64 v[67:68], v[2:3], v[40:41]
	v_mul_f64 v[40:41], v[4:5], v[40:41]
	v_add_f64 v[46:47], v[46:47], v[91:92]
	v_add_f64 v[65:66], v[65:66], v[89:90]
	s_delay_alu instid0(VALU_DEP_4) | instskip(NEXT) | instid1(VALU_DEP_4)
	v_fma_f64 v[89:90], v[4:5], v[38:39], v[67:68]
	v_fma_f64 v[91:92], v[2:3], v[38:39], -v[40:41]
	scratch_load_b128 v[38:41], off, off offset:864
	ds_load_b128 v[2:5], v1 offset:1712
	s_waitcnt vmcnt(9) lgkmcnt(1)
	v_mul_f64 v[85:86], v[61:62], v[8:9]
	v_mul_f64 v[8:9], v[63:64], v[8:9]
	v_add_f64 v[46:47], v[46:47], v[59:60]
	v_add_f64 v[59:60], v[65:66], v[69:70]
	s_waitcnt vmcnt(8) lgkmcnt(0)
	v_mul_f64 v[69:70], v[2:3], v[12:13]
	v_mul_f64 v[12:13], v[4:5], v[12:13]
	ds_load_b128 v[65:68], v1 offset:1728
	v_fma_f64 v[63:64], v[63:64], v[6:7], v[85:86]
	v_fma_f64 v[61:62], v[61:62], v[6:7], -v[8:9]
	scratch_load_b128 v[6:9], off, off offset:880
	v_add_f64 v[46:47], v[46:47], v[91:92]
	v_add_f64 v[59:60], v[59:60], v[89:90]
	v_fma_f64 v[69:70], v[4:5], v[10:11], v[69:70]
	v_fma_f64 v[89:90], v[2:3], v[10:11], -v[12:13]
	scratch_load_b128 v[10:13], off, off offset:896
	ds_load_b128 v[2:5], v1 offset:1744
	s_waitcnt vmcnt(9) lgkmcnt(1)
	v_mul_f64 v[85:86], v[65:66], v[16:17]
	v_mul_f64 v[16:17], v[67:68], v[16:17]
	s_waitcnt vmcnt(8) lgkmcnt(0)
	v_mul_f64 v[91:92], v[2:3], v[20:21]
	v_mul_f64 v[20:21], v[4:5], v[20:21]
	v_add_f64 v[46:47], v[46:47], v[61:62]
	v_add_f64 v[63:64], v[59:60], v[63:64]
	ds_load_b128 v[59:62], v1 offset:1760
	v_fma_f64 v[67:68], v[67:68], v[14:15], v[85:86]
	v_fma_f64 v[65:66], v[65:66], v[14:15], -v[16:17]
	scratch_load_b128 v[14:17], off, off offset:912
	v_fma_f64 v[85:86], v[4:5], v[18:19], v[91:92]
	v_add_f64 v[46:47], v[46:47], v[89:90]
	v_add_f64 v[63:64], v[63:64], v[69:70]
	v_fma_f64 v[89:90], v[2:3], v[18:19], -v[20:21]
	scratch_load_b128 v[18:21], off, off offset:928
	ds_load_b128 v[2:5], v1 offset:1776
	s_waitcnt vmcnt(9) lgkmcnt(1)
	v_mul_f64 v[69:70], v[59:60], v[24:25]
	v_mul_f64 v[24:25], v[61:62], v[24:25]
	s_waitcnt vmcnt(8) lgkmcnt(0)
	v_mul_f64 v[91:92], v[2:3], v[28:29]
	v_mul_f64 v[28:29], v[4:5], v[28:29]
	v_add_f64 v[46:47], v[46:47], v[65:66]
	v_add_f64 v[67:68], v[63:64], v[67:68]
	ds_load_b128 v[63:66], v1 offset:1792
	v_fma_f64 v[61:62], v[61:62], v[22:23], v[69:70]
	v_fma_f64 v[59:60], v[59:60], v[22:23], -v[24:25]
	scratch_load_b128 v[22:25], off, off offset:944
	v_add_f64 v[46:47], v[46:47], v[89:90]
	v_add_f64 v[67:68], v[67:68], v[85:86]
	v_fma_f64 v[85:86], v[4:5], v[26:27], v[91:92]
	v_fma_f64 v[89:90], v[2:3], v[26:27], -v[28:29]
	scratch_load_b128 v[26:29], off, off offset:960
	ds_load_b128 v[2:5], v1 offset:1808
	s_waitcnt vmcnt(9) lgkmcnt(1)
	v_mul_f64 v[69:70], v[63:64], v[32:33]
	v_mul_f64 v[32:33], v[65:66], v[32:33]
	s_waitcnt vmcnt(8) lgkmcnt(0)
	v_mul_f64 v[91:92], v[2:3], v[36:37]
	v_mul_f64 v[36:37], v[4:5], v[36:37]
	v_add_f64 v[46:47], v[46:47], v[59:60]
	v_add_f64 v[67:68], v[67:68], v[61:62]
	ds_load_b128 v[59:62], v1 offset:1824
	v_fma_f64 v[65:66], v[65:66], v[30:31], v[69:70]
	v_fma_f64 v[30:31], v[63:64], v[30:31], -v[32:33]
	s_waitcnt vmcnt(7) lgkmcnt(0)
	v_mul_f64 v[63:64], v[59:60], v[57:58]
	v_mul_f64 v[57:58], v[61:62], v[57:58]
	v_add_f64 v[32:33], v[46:47], v[89:90]
	v_add_f64 v[46:47], v[67:68], v[85:86]
	v_fma_f64 v[67:68], v[4:5], v[34:35], v[91:92]
	v_fma_f64 v[34:35], v[2:3], v[34:35], -v[36:37]
	v_fma_f64 v[61:62], v[61:62], v[55:56], v[63:64]
	v_fma_f64 v[55:56], v[59:60], v[55:56], -v[57:58]
	v_add_f64 v[36:37], v[32:33], v[30:31]
	v_add_f64 v[46:47], v[46:47], v[65:66]
	ds_load_b128 v[2:5], v1 offset:1840
	ds_load_b128 v[30:33], v1 offset:1856
	s_waitcnt vmcnt(6) lgkmcnt(1)
	v_mul_f64 v[65:66], v[2:3], v[40:41]
	v_mul_f64 v[40:41], v[4:5], v[40:41]
	v_add_f64 v[34:35], v[36:37], v[34:35]
	v_add_f64 v[36:37], v[46:47], v[67:68]
	s_waitcnt vmcnt(5) lgkmcnt(0)
	v_mul_f64 v[46:47], v[30:31], v[8:9]
	v_mul_f64 v[8:9], v[32:33], v[8:9]
	v_fma_f64 v[57:58], v[4:5], v[38:39], v[65:66]
	v_fma_f64 v[38:39], v[2:3], v[38:39], -v[40:41]
	v_add_f64 v[40:41], v[34:35], v[55:56]
	v_add_f64 v[55:56], v[36:37], v[61:62]
	ds_load_b128 v[2:5], v1 offset:1872
	ds_load_b128 v[34:37], v1 offset:1888
	v_fma_f64 v[32:33], v[32:33], v[6:7], v[46:47]
	v_fma_f64 v[6:7], v[30:31], v[6:7], -v[8:9]
	s_waitcnt vmcnt(4) lgkmcnt(1)
	v_mul_f64 v[59:60], v[2:3], v[12:13]
	v_mul_f64 v[12:13], v[4:5], v[12:13]
	v_add_f64 v[8:9], v[40:41], v[38:39]
	v_add_f64 v[30:31], v[55:56], v[57:58]
	s_waitcnt vmcnt(3) lgkmcnt(0)
	v_mul_f64 v[38:39], v[34:35], v[16:17]
	v_mul_f64 v[16:17], v[36:37], v[16:17]
	v_fma_f64 v[40:41], v[4:5], v[10:11], v[59:60]
	v_fma_f64 v[10:11], v[2:3], v[10:11], -v[12:13]
	v_add_f64 v[12:13], v[8:9], v[6:7]
	v_add_f64 v[30:31], v[30:31], v[32:33]
	ds_load_b128 v[2:5], v1 offset:1904
	ds_load_b128 v[6:9], v1 offset:1920
	v_fma_f64 v[36:37], v[36:37], v[14:15], v[38:39]
	v_fma_f64 v[14:15], v[34:35], v[14:15], -v[16:17]
	s_waitcnt vmcnt(2) lgkmcnt(1)
	v_mul_f64 v[32:33], v[2:3], v[20:21]
	v_mul_f64 v[20:21], v[4:5], v[20:21]
	s_waitcnt vmcnt(1) lgkmcnt(0)
	v_mul_f64 v[16:17], v[6:7], v[24:25]
	v_mul_f64 v[24:25], v[8:9], v[24:25]
	v_add_f64 v[10:11], v[12:13], v[10:11]
	v_add_f64 v[12:13], v[30:31], v[40:41]
	v_fma_f64 v[30:31], v[4:5], v[18:19], v[32:33]
	v_fma_f64 v[18:19], v[2:3], v[18:19], -v[20:21]
	ds_load_b128 v[2:5], v1 offset:1936
	v_fma_f64 v[8:9], v[8:9], v[22:23], v[16:17]
	v_fma_f64 v[6:7], v[6:7], v[22:23], -v[24:25]
	v_add_f64 v[10:11], v[10:11], v[14:15]
	v_add_f64 v[12:13], v[12:13], v[36:37]
	s_waitcnt vmcnt(0) lgkmcnt(0)
	v_mul_f64 v[14:15], v[2:3], v[28:29]
	v_mul_f64 v[20:21], v[4:5], v[28:29]
	s_delay_alu instid0(VALU_DEP_4) | instskip(NEXT) | instid1(VALU_DEP_4)
	v_add_f64 v[10:11], v[10:11], v[18:19]
	v_add_f64 v[12:13], v[12:13], v[30:31]
	s_delay_alu instid0(VALU_DEP_4) | instskip(NEXT) | instid1(VALU_DEP_4)
	v_fma_f64 v[4:5], v[4:5], v[26:27], v[14:15]
	v_fma_f64 v[2:3], v[2:3], v[26:27], -v[20:21]
	s_delay_alu instid0(VALU_DEP_4) | instskip(NEXT) | instid1(VALU_DEP_4)
	v_add_f64 v[6:7], v[10:11], v[6:7]
	v_add_f64 v[8:9], v[12:13], v[8:9]
	s_delay_alu instid0(VALU_DEP_2) | instskip(NEXT) | instid1(VALU_DEP_2)
	v_add_f64 v[2:3], v[6:7], v[2:3]
	v_add_f64 v[4:5], v[8:9], v[4:5]
	s_delay_alu instid0(VALU_DEP_2) | instskip(NEXT) | instid1(VALU_DEP_2)
	v_add_f64 v[2:3], v[42:43], -v[2:3]
	v_add_f64 v[4:5], v[44:45], -v[4:5]
	scratch_store_b128 off, v[2:5], off offset:528
	v_cmpx_lt_u32_e32 32, v171
	s_cbranch_execz .LBB60_327
; %bb.326:
	scratch_load_b128 v[5:8], v182, off
	v_mov_b32_e32 v2, v1
	v_mov_b32_e32 v3, v1
	;; [unrolled: 1-line block ×3, first 2 shown]
	scratch_store_b128 off, v[1:4], off offset:512
	s_waitcnt vmcnt(0)
	ds_store_b128 v229, v[5:8]
.LBB60_327:
	s_or_b32 exec_lo, exec_lo, s2
	s_waitcnt lgkmcnt(0)
	s_waitcnt_vscnt null, 0x0
	s_barrier
	buffer_gl0_inv
	s_clause 0x8
	scratch_load_b128 v[2:5], off, off offset:528
	scratch_load_b128 v[6:9], off, off offset:544
	;; [unrolled: 1-line block ×9, first 2 shown]
	ds_load_b128 v[42:45], v1 offset:1504
	ds_load_b128 v[38:41], v1 offset:1520
	s_clause 0x1
	scratch_load_b128 v[55:58], off, off offset:512
	scratch_load_b128 v[59:62], off, off offset:672
	s_mov_b32 s2, exec_lo
	ds_load_b128 v[63:66], v1 offset:1552
	s_waitcnt vmcnt(10) lgkmcnt(2)
	v_mul_f64 v[46:47], v[44:45], v[4:5]
	v_mul_f64 v[4:5], v[42:43], v[4:5]
	s_waitcnt vmcnt(9) lgkmcnt(1)
	v_mul_f64 v[67:68], v[38:39], v[8:9]
	v_mul_f64 v[8:9], v[40:41], v[8:9]
	s_delay_alu instid0(VALU_DEP_4) | instskip(NEXT) | instid1(VALU_DEP_4)
	v_fma_f64 v[46:47], v[42:43], v[2:3], -v[46:47]
	v_fma_f64 v[69:70], v[44:45], v[2:3], v[4:5]
	ds_load_b128 v[2:5], v1 offset:1536
	scratch_load_b128 v[42:45], off, off offset:688
	v_fma_f64 v[40:41], v[40:41], v[6:7], v[67:68]
	v_fma_f64 v[38:39], v[38:39], v[6:7], -v[8:9]
	scratch_load_b128 v[6:9], off, off offset:704
	s_waitcnt vmcnt(10) lgkmcnt(0)
	v_mul_f64 v[85:86], v[2:3], v[12:13]
	v_mul_f64 v[12:13], v[4:5], v[12:13]
	v_add_f64 v[46:47], v[46:47], 0
	v_add_f64 v[67:68], v[69:70], 0
	s_waitcnt vmcnt(9)
	v_mul_f64 v[69:70], v[63:64], v[16:17]
	v_mul_f64 v[16:17], v[65:66], v[16:17]
	v_fma_f64 v[85:86], v[4:5], v[10:11], v[85:86]
	v_fma_f64 v[89:90], v[2:3], v[10:11], -v[12:13]
	ds_load_b128 v[2:5], v1 offset:1568
	scratch_load_b128 v[10:13], off, off offset:720
	v_add_f64 v[46:47], v[46:47], v[38:39]
	v_add_f64 v[67:68], v[67:68], v[40:41]
	ds_load_b128 v[38:41], v1 offset:1584
	v_fma_f64 v[65:66], v[65:66], v[14:15], v[69:70]
	v_fma_f64 v[63:64], v[63:64], v[14:15], -v[16:17]
	scratch_load_b128 v[14:17], off, off offset:736
	s_waitcnt vmcnt(10) lgkmcnt(1)
	v_mul_f64 v[91:92], v[2:3], v[20:21]
	v_mul_f64 v[20:21], v[4:5], v[20:21]
	s_waitcnt vmcnt(9) lgkmcnt(0)
	v_mul_f64 v[69:70], v[38:39], v[24:25]
	v_mul_f64 v[24:25], v[40:41], v[24:25]
	v_add_f64 v[46:47], v[46:47], v[89:90]
	v_add_f64 v[67:68], v[67:68], v[85:86]
	v_fma_f64 v[85:86], v[4:5], v[18:19], v[91:92]
	v_fma_f64 v[89:90], v[2:3], v[18:19], -v[20:21]
	ds_load_b128 v[2:5], v1 offset:1600
	scratch_load_b128 v[18:21], off, off offset:752
	v_fma_f64 v[40:41], v[40:41], v[22:23], v[69:70]
	v_fma_f64 v[38:39], v[38:39], v[22:23], -v[24:25]
	scratch_load_b128 v[22:25], off, off offset:768
	v_add_f64 v[46:47], v[46:47], v[63:64]
	v_add_f64 v[67:68], v[67:68], v[65:66]
	ds_load_b128 v[63:66], v1 offset:1616
	s_waitcnt vmcnt(10) lgkmcnt(1)
	v_mul_f64 v[91:92], v[2:3], v[28:29]
	v_mul_f64 v[28:29], v[4:5], v[28:29]
	s_waitcnt vmcnt(9) lgkmcnt(0)
	v_mul_f64 v[69:70], v[63:64], v[32:33]
	v_mul_f64 v[32:33], v[65:66], v[32:33]
	v_add_f64 v[46:47], v[46:47], v[89:90]
	v_add_f64 v[67:68], v[67:68], v[85:86]
	v_fma_f64 v[85:86], v[4:5], v[26:27], v[91:92]
	v_fma_f64 v[89:90], v[2:3], v[26:27], -v[28:29]
	ds_load_b128 v[2:5], v1 offset:1632
	scratch_load_b128 v[26:29], off, off offset:784
	v_fma_f64 v[65:66], v[65:66], v[30:31], v[69:70]
	v_fma_f64 v[63:64], v[63:64], v[30:31], -v[32:33]
	scratch_load_b128 v[30:33], off, off offset:800
	v_add_f64 v[46:47], v[46:47], v[38:39]
	v_add_f64 v[67:68], v[67:68], v[40:41]
	ds_load_b128 v[38:41], v1 offset:1648
	s_waitcnt vmcnt(10) lgkmcnt(1)
	v_mul_f64 v[91:92], v[2:3], v[36:37]
	v_mul_f64 v[36:37], v[4:5], v[36:37]
	s_waitcnt vmcnt(8) lgkmcnt(0)
	v_mul_f64 v[69:70], v[38:39], v[61:62]
	v_add_f64 v[46:47], v[46:47], v[89:90]
	v_add_f64 v[67:68], v[67:68], v[85:86]
	v_mul_f64 v[85:86], v[40:41], v[61:62]
	v_fma_f64 v[89:90], v[4:5], v[34:35], v[91:92]
	v_fma_f64 v[91:92], v[2:3], v[34:35], -v[36:37]
	ds_load_b128 v[2:5], v1 offset:1664
	scratch_load_b128 v[34:37], off, off offset:816
	v_fma_f64 v[69:70], v[40:41], v[59:60], v[69:70]
	v_add_f64 v[46:47], v[46:47], v[63:64]
	v_add_f64 v[65:66], v[67:68], v[65:66]
	ds_load_b128 v[61:64], v1 offset:1680
	v_fma_f64 v[59:60], v[38:39], v[59:60], -v[85:86]
	scratch_load_b128 v[38:41], off, off offset:832
	s_waitcnt vmcnt(9) lgkmcnt(1)
	v_mul_f64 v[67:68], v[2:3], v[44:45]
	v_mul_f64 v[44:45], v[4:5], v[44:45]
	s_waitcnt vmcnt(8) lgkmcnt(0)
	v_mul_f64 v[85:86], v[61:62], v[8:9]
	v_mul_f64 v[8:9], v[63:64], v[8:9]
	v_add_f64 v[46:47], v[46:47], v[91:92]
	v_add_f64 v[65:66], v[65:66], v[89:90]
	v_fma_f64 v[89:90], v[4:5], v[42:43], v[67:68]
	v_fma_f64 v[91:92], v[2:3], v[42:43], -v[44:45]
	ds_load_b128 v[2:5], v1 offset:1696
	scratch_load_b128 v[42:45], off, off offset:848
	v_fma_f64 v[63:64], v[63:64], v[6:7], v[85:86]
	v_fma_f64 v[61:62], v[61:62], v[6:7], -v[8:9]
	scratch_load_b128 v[6:9], off, off offset:864
	v_add_f64 v[46:47], v[46:47], v[59:60]
	v_add_f64 v[59:60], v[65:66], v[69:70]
	ds_load_b128 v[65:68], v1 offset:1712
	s_waitcnt vmcnt(9) lgkmcnt(1)
	v_mul_f64 v[69:70], v[2:3], v[12:13]
	v_mul_f64 v[12:13], v[4:5], v[12:13]
	s_waitcnt vmcnt(8) lgkmcnt(0)
	v_mul_f64 v[85:86], v[65:66], v[16:17]
	v_mul_f64 v[16:17], v[67:68], v[16:17]
	v_add_f64 v[46:47], v[46:47], v[91:92]
	v_add_f64 v[59:60], v[59:60], v[89:90]
	v_fma_f64 v[69:70], v[4:5], v[10:11], v[69:70]
	v_fma_f64 v[89:90], v[2:3], v[10:11], -v[12:13]
	ds_load_b128 v[2:5], v1 offset:1728
	scratch_load_b128 v[10:13], off, off offset:880
	v_fma_f64 v[67:68], v[67:68], v[14:15], v[85:86]
	v_fma_f64 v[65:66], v[65:66], v[14:15], -v[16:17]
	scratch_load_b128 v[14:17], off, off offset:896
	v_add_f64 v[46:47], v[46:47], v[61:62]
	v_add_f64 v[63:64], v[59:60], v[63:64]
	ds_load_b128 v[59:62], v1 offset:1744
	s_waitcnt vmcnt(9) lgkmcnt(1)
	v_mul_f64 v[91:92], v[2:3], v[20:21]
	v_mul_f64 v[20:21], v[4:5], v[20:21]
	v_add_f64 v[46:47], v[46:47], v[89:90]
	v_add_f64 v[63:64], v[63:64], v[69:70]
	s_waitcnt vmcnt(8) lgkmcnt(0)
	v_mul_f64 v[69:70], v[59:60], v[24:25]
	v_mul_f64 v[24:25], v[61:62], v[24:25]
	v_fma_f64 v[85:86], v[4:5], v[18:19], v[91:92]
	v_fma_f64 v[89:90], v[2:3], v[18:19], -v[20:21]
	ds_load_b128 v[2:5], v1 offset:1760
	scratch_load_b128 v[18:21], off, off offset:912
	v_add_f64 v[46:47], v[46:47], v[65:66]
	v_add_f64 v[67:68], v[63:64], v[67:68]
	ds_load_b128 v[63:66], v1 offset:1776
	s_waitcnt vmcnt(8) lgkmcnt(1)
	v_mul_f64 v[91:92], v[2:3], v[28:29]
	v_mul_f64 v[28:29], v[4:5], v[28:29]
	v_fma_f64 v[61:62], v[61:62], v[22:23], v[69:70]
	v_fma_f64 v[59:60], v[59:60], v[22:23], -v[24:25]
	scratch_load_b128 v[22:25], off, off offset:928
	s_waitcnt vmcnt(8) lgkmcnt(0)
	v_mul_f64 v[69:70], v[63:64], v[32:33]
	v_mul_f64 v[32:33], v[65:66], v[32:33]
	v_add_f64 v[46:47], v[46:47], v[89:90]
	v_add_f64 v[67:68], v[67:68], v[85:86]
	v_fma_f64 v[85:86], v[4:5], v[26:27], v[91:92]
	v_fma_f64 v[89:90], v[2:3], v[26:27], -v[28:29]
	ds_load_b128 v[2:5], v1 offset:1792
	scratch_load_b128 v[26:29], off, off offset:944
	v_fma_f64 v[65:66], v[65:66], v[30:31], v[69:70]
	v_fma_f64 v[63:64], v[63:64], v[30:31], -v[32:33]
	scratch_load_b128 v[30:33], off, off offset:960
	v_add_f64 v[46:47], v[46:47], v[59:60]
	v_add_f64 v[67:68], v[67:68], v[61:62]
	ds_load_b128 v[59:62], v1 offset:1808
	s_waitcnt vmcnt(9) lgkmcnt(1)
	v_mul_f64 v[91:92], v[2:3], v[36:37]
	v_mul_f64 v[36:37], v[4:5], v[36:37]
	s_waitcnt vmcnt(8) lgkmcnt(0)
	v_mul_f64 v[69:70], v[59:60], v[40:41]
	v_mul_f64 v[40:41], v[61:62], v[40:41]
	v_add_f64 v[46:47], v[46:47], v[89:90]
	v_add_f64 v[67:68], v[67:68], v[85:86]
	v_fma_f64 v[85:86], v[4:5], v[34:35], v[91:92]
	v_fma_f64 v[89:90], v[2:3], v[34:35], -v[36:37]
	ds_load_b128 v[2:5], v1 offset:1824
	ds_load_b128 v[34:37], v1 offset:1840
	v_fma_f64 v[61:62], v[61:62], v[38:39], v[69:70]
	v_fma_f64 v[38:39], v[59:60], v[38:39], -v[40:41]
	v_add_f64 v[46:47], v[46:47], v[63:64]
	v_add_f64 v[63:64], v[67:68], v[65:66]
	s_waitcnt vmcnt(7) lgkmcnt(1)
	v_mul_f64 v[65:66], v[2:3], v[44:45]
	v_mul_f64 v[44:45], v[4:5], v[44:45]
	s_waitcnt vmcnt(6) lgkmcnt(0)
	v_mul_f64 v[59:60], v[34:35], v[8:9]
	v_mul_f64 v[8:9], v[36:37], v[8:9]
	v_add_f64 v[40:41], v[46:47], v[89:90]
	v_add_f64 v[46:47], v[63:64], v[85:86]
	v_fma_f64 v[63:64], v[4:5], v[42:43], v[65:66]
	v_fma_f64 v[42:43], v[2:3], v[42:43], -v[44:45]
	v_fma_f64 v[36:37], v[36:37], v[6:7], v[59:60]
	v_fma_f64 v[6:7], v[34:35], v[6:7], -v[8:9]
	v_add_f64 v[44:45], v[40:41], v[38:39]
	v_add_f64 v[46:47], v[46:47], v[61:62]
	ds_load_b128 v[2:5], v1 offset:1856
	ds_load_b128 v[38:41], v1 offset:1872
	s_waitcnt vmcnt(5) lgkmcnt(1)
	v_mul_f64 v[61:62], v[2:3], v[12:13]
	v_mul_f64 v[12:13], v[4:5], v[12:13]
	v_add_f64 v[8:9], v[44:45], v[42:43]
	v_add_f64 v[34:35], v[46:47], v[63:64]
	s_waitcnt vmcnt(4) lgkmcnt(0)
	v_mul_f64 v[42:43], v[38:39], v[16:17]
	v_mul_f64 v[16:17], v[40:41], v[16:17]
	v_fma_f64 v[44:45], v[4:5], v[10:11], v[61:62]
	v_fma_f64 v[10:11], v[2:3], v[10:11], -v[12:13]
	v_add_f64 v[12:13], v[8:9], v[6:7]
	v_add_f64 v[34:35], v[34:35], v[36:37]
	ds_load_b128 v[2:5], v1 offset:1888
	ds_load_b128 v[6:9], v1 offset:1904
	v_fma_f64 v[40:41], v[40:41], v[14:15], v[42:43]
	v_fma_f64 v[14:15], v[38:39], v[14:15], -v[16:17]
	s_waitcnt vmcnt(3) lgkmcnt(1)
	v_mul_f64 v[36:37], v[2:3], v[20:21]
	v_mul_f64 v[20:21], v[4:5], v[20:21]
	s_waitcnt vmcnt(2) lgkmcnt(0)
	v_mul_f64 v[16:17], v[6:7], v[24:25]
	v_mul_f64 v[24:25], v[8:9], v[24:25]
	v_add_f64 v[10:11], v[12:13], v[10:11]
	v_add_f64 v[12:13], v[34:35], v[44:45]
	v_fma_f64 v[34:35], v[4:5], v[18:19], v[36:37]
	v_fma_f64 v[18:19], v[2:3], v[18:19], -v[20:21]
	v_fma_f64 v[8:9], v[8:9], v[22:23], v[16:17]
	v_fma_f64 v[6:7], v[6:7], v[22:23], -v[24:25]
	v_add_f64 v[14:15], v[10:11], v[14:15]
	v_add_f64 v[20:21], v[12:13], v[40:41]
	ds_load_b128 v[2:5], v1 offset:1920
	ds_load_b128 v[10:13], v1 offset:1936
	s_waitcnt vmcnt(1) lgkmcnt(1)
	v_mul_f64 v[36:37], v[2:3], v[28:29]
	v_mul_f64 v[28:29], v[4:5], v[28:29]
	v_add_f64 v[14:15], v[14:15], v[18:19]
	v_add_f64 v[16:17], v[20:21], v[34:35]
	s_waitcnt vmcnt(0) lgkmcnt(0)
	v_mul_f64 v[18:19], v[10:11], v[32:33]
	v_mul_f64 v[20:21], v[12:13], v[32:33]
	v_fma_f64 v[4:5], v[4:5], v[26:27], v[36:37]
	v_fma_f64 v[1:2], v[2:3], v[26:27], -v[28:29]
	v_add_f64 v[6:7], v[14:15], v[6:7]
	v_add_f64 v[8:9], v[16:17], v[8:9]
	v_fma_f64 v[12:13], v[12:13], v[30:31], v[18:19]
	v_fma_f64 v[10:11], v[10:11], v[30:31], -v[20:21]
	s_delay_alu instid0(VALU_DEP_4) | instskip(NEXT) | instid1(VALU_DEP_4)
	v_add_f64 v[1:2], v[6:7], v[1:2]
	v_add_f64 v[3:4], v[8:9], v[4:5]
	s_delay_alu instid0(VALU_DEP_2) | instskip(NEXT) | instid1(VALU_DEP_2)
	v_add_f64 v[1:2], v[1:2], v[10:11]
	v_add_f64 v[3:4], v[3:4], v[12:13]
	s_delay_alu instid0(VALU_DEP_2) | instskip(NEXT) | instid1(VALU_DEP_2)
	v_add_f64 v[1:2], v[55:56], -v[1:2]
	v_add_f64 v[3:4], v[57:58], -v[3:4]
	scratch_store_b128 off, v[1:4], off offset:512
	v_cmpx_lt_u32_e32 31, v171
	s_cbranch_execz .LBB60_329
; %bb.328:
	scratch_load_b128 v[1:4], v180, off
	v_mov_b32_e32 v5, 0
	s_delay_alu instid0(VALU_DEP_1)
	v_mov_b32_e32 v6, v5
	v_mov_b32_e32 v7, v5
	v_mov_b32_e32 v8, v5
	scratch_store_b128 off, v[5:8], off offset:496
	s_waitcnt vmcnt(0)
	ds_store_b128 v229, v[1:4]
.LBB60_329:
	s_or_b32 exec_lo, exec_lo, s2
	s_waitcnt lgkmcnt(0)
	s_waitcnt_vscnt null, 0x0
	s_barrier
	buffer_gl0_inv
	s_clause 0x7
	scratch_load_b128 v[2:5], off, off offset:512
	scratch_load_b128 v[6:9], off, off offset:528
	;; [unrolled: 1-line block ×8, first 2 shown]
	v_mov_b32_e32 v1, 0
	s_mov_b32 s2, exec_lo
	ds_load_b128 v[38:41], v1 offset:1488
	s_clause 0x1
	scratch_load_b128 v[34:37], off, off offset:640
	scratch_load_b128 v[42:45], off, off offset:496
	ds_load_b128 v[55:58], v1 offset:1504
	scratch_load_b128 v[59:62], off, off offset:656
	ds_load_b128 v[63:66], v1 offset:1536
	s_waitcnt vmcnt(10) lgkmcnt(2)
	v_mul_f64 v[46:47], v[40:41], v[4:5]
	v_mul_f64 v[4:5], v[38:39], v[4:5]
	s_delay_alu instid0(VALU_DEP_2) | instskip(NEXT) | instid1(VALU_DEP_2)
	v_fma_f64 v[46:47], v[38:39], v[2:3], -v[46:47]
	v_fma_f64 v[69:70], v[40:41], v[2:3], v[4:5]
	ds_load_b128 v[2:5], v1 offset:1520
	s_waitcnt vmcnt(9) lgkmcnt(2)
	v_mul_f64 v[67:68], v[55:56], v[8:9]
	v_mul_f64 v[8:9], v[57:58], v[8:9]
	scratch_load_b128 v[38:41], off, off offset:672
	s_waitcnt vmcnt(9) lgkmcnt(0)
	v_mul_f64 v[85:86], v[2:3], v[12:13]
	v_mul_f64 v[12:13], v[4:5], v[12:13]
	v_add_f64 v[46:47], v[46:47], 0
	v_fma_f64 v[57:58], v[57:58], v[6:7], v[67:68]
	v_fma_f64 v[55:56], v[55:56], v[6:7], -v[8:9]
	v_add_f64 v[67:68], v[69:70], 0
	scratch_load_b128 v[6:9], off, off offset:688
	v_fma_f64 v[85:86], v[4:5], v[10:11], v[85:86]
	v_fma_f64 v[89:90], v[2:3], v[10:11], -v[12:13]
	scratch_load_b128 v[10:13], off, off offset:704
	ds_load_b128 v[2:5], v1 offset:1552
	s_waitcnt vmcnt(10)
	v_mul_f64 v[69:70], v[63:64], v[16:17]
	v_mul_f64 v[16:17], v[65:66], v[16:17]
	v_add_f64 v[46:47], v[46:47], v[55:56]
	v_add_f64 v[67:68], v[67:68], v[57:58]
	ds_load_b128 v[55:58], v1 offset:1568
	s_waitcnt vmcnt(9) lgkmcnt(1)
	v_mul_f64 v[91:92], v[2:3], v[20:21]
	v_mul_f64 v[20:21], v[4:5], v[20:21]
	v_fma_f64 v[65:66], v[65:66], v[14:15], v[69:70]
	v_fma_f64 v[63:64], v[63:64], v[14:15], -v[16:17]
	scratch_load_b128 v[14:17], off, off offset:720
	v_add_f64 v[46:47], v[46:47], v[89:90]
	v_add_f64 v[67:68], v[67:68], v[85:86]
	v_fma_f64 v[85:86], v[4:5], v[18:19], v[91:92]
	v_fma_f64 v[89:90], v[2:3], v[18:19], -v[20:21]
	scratch_load_b128 v[18:21], off, off offset:736
	ds_load_b128 v[2:5], v1 offset:1584
	s_waitcnt vmcnt(10) lgkmcnt(1)
	v_mul_f64 v[69:70], v[55:56], v[24:25]
	v_mul_f64 v[24:25], v[57:58], v[24:25]
	s_waitcnt vmcnt(9) lgkmcnt(0)
	v_mul_f64 v[91:92], v[2:3], v[28:29]
	v_mul_f64 v[28:29], v[4:5], v[28:29]
	v_add_f64 v[46:47], v[46:47], v[63:64]
	v_add_f64 v[67:68], v[67:68], v[65:66]
	ds_load_b128 v[63:66], v1 offset:1600
	v_fma_f64 v[57:58], v[57:58], v[22:23], v[69:70]
	v_fma_f64 v[55:56], v[55:56], v[22:23], -v[24:25]
	scratch_load_b128 v[22:25], off, off offset:752
	v_add_f64 v[46:47], v[46:47], v[89:90]
	v_add_f64 v[67:68], v[67:68], v[85:86]
	v_fma_f64 v[85:86], v[4:5], v[26:27], v[91:92]
	v_fma_f64 v[89:90], v[2:3], v[26:27], -v[28:29]
	scratch_load_b128 v[26:29], off, off offset:768
	ds_load_b128 v[2:5], v1 offset:1616
	s_waitcnt vmcnt(10) lgkmcnt(1)
	v_mul_f64 v[69:70], v[63:64], v[32:33]
	v_mul_f64 v[32:33], v[65:66], v[32:33]
	s_waitcnt vmcnt(9) lgkmcnt(0)
	v_mul_f64 v[91:92], v[2:3], v[36:37]
	v_mul_f64 v[36:37], v[4:5], v[36:37]
	v_add_f64 v[46:47], v[46:47], v[55:56]
	v_add_f64 v[67:68], v[67:68], v[57:58]
	ds_load_b128 v[55:58], v1 offset:1632
	v_fma_f64 v[65:66], v[65:66], v[30:31], v[69:70]
	v_fma_f64 v[63:64], v[63:64], v[30:31], -v[32:33]
	scratch_load_b128 v[30:33], off, off offset:784
	v_add_f64 v[46:47], v[46:47], v[89:90]
	v_add_f64 v[67:68], v[67:68], v[85:86]
	v_fma_f64 v[89:90], v[4:5], v[34:35], v[91:92]
	v_fma_f64 v[91:92], v[2:3], v[34:35], -v[36:37]
	scratch_load_b128 v[34:37], off, off offset:800
	ds_load_b128 v[2:5], v1 offset:1648
	s_waitcnt vmcnt(9) lgkmcnt(1)
	v_mul_f64 v[69:70], v[55:56], v[61:62]
	v_mul_f64 v[85:86], v[57:58], v[61:62]
	v_add_f64 v[46:47], v[46:47], v[63:64]
	v_add_f64 v[65:66], v[67:68], v[65:66]
	ds_load_b128 v[61:64], v1 offset:1664
	v_fma_f64 v[69:70], v[57:58], v[59:60], v[69:70]
	v_fma_f64 v[59:60], v[55:56], v[59:60], -v[85:86]
	scratch_load_b128 v[55:58], off, off offset:816
	s_waitcnt vmcnt(9) lgkmcnt(1)
	v_mul_f64 v[67:68], v[2:3], v[40:41]
	v_mul_f64 v[40:41], v[4:5], v[40:41]
	v_add_f64 v[46:47], v[46:47], v[91:92]
	v_add_f64 v[65:66], v[65:66], v[89:90]
	s_delay_alu instid0(VALU_DEP_4) | instskip(NEXT) | instid1(VALU_DEP_4)
	v_fma_f64 v[89:90], v[4:5], v[38:39], v[67:68]
	v_fma_f64 v[91:92], v[2:3], v[38:39], -v[40:41]
	scratch_load_b128 v[38:41], off, off offset:832
	ds_load_b128 v[2:5], v1 offset:1680
	s_waitcnt vmcnt(9) lgkmcnt(1)
	v_mul_f64 v[85:86], v[61:62], v[8:9]
	v_mul_f64 v[8:9], v[63:64], v[8:9]
	v_add_f64 v[46:47], v[46:47], v[59:60]
	v_add_f64 v[59:60], v[65:66], v[69:70]
	s_waitcnt vmcnt(8) lgkmcnt(0)
	v_mul_f64 v[69:70], v[2:3], v[12:13]
	v_mul_f64 v[12:13], v[4:5], v[12:13]
	ds_load_b128 v[65:68], v1 offset:1696
	v_fma_f64 v[63:64], v[63:64], v[6:7], v[85:86]
	v_fma_f64 v[61:62], v[61:62], v[6:7], -v[8:9]
	scratch_load_b128 v[6:9], off, off offset:848
	v_add_f64 v[46:47], v[46:47], v[91:92]
	v_add_f64 v[59:60], v[59:60], v[89:90]
	v_fma_f64 v[69:70], v[4:5], v[10:11], v[69:70]
	v_fma_f64 v[89:90], v[2:3], v[10:11], -v[12:13]
	scratch_load_b128 v[10:13], off, off offset:864
	ds_load_b128 v[2:5], v1 offset:1712
	s_waitcnt vmcnt(9) lgkmcnt(1)
	v_mul_f64 v[85:86], v[65:66], v[16:17]
	v_mul_f64 v[16:17], v[67:68], v[16:17]
	s_waitcnt vmcnt(8) lgkmcnt(0)
	v_mul_f64 v[91:92], v[2:3], v[20:21]
	v_mul_f64 v[20:21], v[4:5], v[20:21]
	v_add_f64 v[46:47], v[46:47], v[61:62]
	v_add_f64 v[63:64], v[59:60], v[63:64]
	ds_load_b128 v[59:62], v1 offset:1728
	v_fma_f64 v[67:68], v[67:68], v[14:15], v[85:86]
	v_fma_f64 v[65:66], v[65:66], v[14:15], -v[16:17]
	scratch_load_b128 v[14:17], off, off offset:880
	v_fma_f64 v[85:86], v[4:5], v[18:19], v[91:92]
	v_add_f64 v[46:47], v[46:47], v[89:90]
	v_add_f64 v[63:64], v[63:64], v[69:70]
	v_fma_f64 v[89:90], v[2:3], v[18:19], -v[20:21]
	scratch_load_b128 v[18:21], off, off offset:896
	ds_load_b128 v[2:5], v1 offset:1744
	s_waitcnt vmcnt(9) lgkmcnt(1)
	v_mul_f64 v[69:70], v[59:60], v[24:25]
	v_mul_f64 v[24:25], v[61:62], v[24:25]
	s_waitcnt vmcnt(8) lgkmcnt(0)
	v_mul_f64 v[91:92], v[2:3], v[28:29]
	v_mul_f64 v[28:29], v[4:5], v[28:29]
	v_add_f64 v[46:47], v[46:47], v[65:66]
	v_add_f64 v[67:68], v[63:64], v[67:68]
	ds_load_b128 v[63:66], v1 offset:1760
	v_fma_f64 v[61:62], v[61:62], v[22:23], v[69:70]
	v_fma_f64 v[59:60], v[59:60], v[22:23], -v[24:25]
	scratch_load_b128 v[22:25], off, off offset:912
	v_add_f64 v[46:47], v[46:47], v[89:90]
	v_add_f64 v[67:68], v[67:68], v[85:86]
	v_fma_f64 v[85:86], v[4:5], v[26:27], v[91:92]
	v_fma_f64 v[89:90], v[2:3], v[26:27], -v[28:29]
	scratch_load_b128 v[26:29], off, off offset:928
	ds_load_b128 v[2:5], v1 offset:1776
	s_waitcnt vmcnt(9) lgkmcnt(1)
	v_mul_f64 v[69:70], v[63:64], v[32:33]
	v_mul_f64 v[32:33], v[65:66], v[32:33]
	s_waitcnt vmcnt(8) lgkmcnt(0)
	v_mul_f64 v[91:92], v[2:3], v[36:37]
	v_mul_f64 v[36:37], v[4:5], v[36:37]
	v_add_f64 v[46:47], v[46:47], v[59:60]
	v_add_f64 v[67:68], v[67:68], v[61:62]
	ds_load_b128 v[59:62], v1 offset:1792
	v_fma_f64 v[65:66], v[65:66], v[30:31], v[69:70]
	v_fma_f64 v[63:64], v[63:64], v[30:31], -v[32:33]
	scratch_load_b128 v[30:33], off, off offset:944
	v_add_f64 v[46:47], v[46:47], v[89:90]
	v_add_f64 v[67:68], v[67:68], v[85:86]
	v_fma_f64 v[85:86], v[4:5], v[34:35], v[91:92]
	v_fma_f64 v[89:90], v[2:3], v[34:35], -v[36:37]
	scratch_load_b128 v[34:37], off, off offset:960
	ds_load_b128 v[2:5], v1 offset:1808
	s_waitcnt vmcnt(9) lgkmcnt(1)
	v_mul_f64 v[69:70], v[59:60], v[57:58]
	v_mul_f64 v[57:58], v[61:62], v[57:58]
	s_waitcnt vmcnt(8) lgkmcnt(0)
	v_mul_f64 v[91:92], v[2:3], v[40:41]
	v_mul_f64 v[40:41], v[4:5], v[40:41]
	v_add_f64 v[46:47], v[46:47], v[63:64]
	v_add_f64 v[67:68], v[67:68], v[65:66]
	ds_load_b128 v[63:66], v1 offset:1824
	v_fma_f64 v[61:62], v[61:62], v[55:56], v[69:70]
	v_fma_f64 v[55:56], v[59:60], v[55:56], -v[57:58]
	v_fma_f64 v[69:70], v[2:3], v[38:39], -v[40:41]
	v_add_f64 v[46:47], v[46:47], v[89:90]
	v_add_f64 v[57:58], v[67:68], v[85:86]
	s_waitcnt vmcnt(7) lgkmcnt(0)
	v_mul_f64 v[59:60], v[63:64], v[8:9]
	v_mul_f64 v[8:9], v[65:66], v[8:9]
	v_fma_f64 v[67:68], v[4:5], v[38:39], v[91:92]
	ds_load_b128 v[2:5], v1 offset:1840
	ds_load_b128 v[38:41], v1 offset:1856
	v_add_f64 v[46:47], v[46:47], v[55:56]
	v_add_f64 v[55:56], v[57:58], v[61:62]
	s_waitcnt vmcnt(6) lgkmcnt(1)
	v_mul_f64 v[57:58], v[2:3], v[12:13]
	v_mul_f64 v[12:13], v[4:5], v[12:13]
	v_fma_f64 v[59:60], v[65:66], v[6:7], v[59:60]
	v_fma_f64 v[6:7], v[63:64], v[6:7], -v[8:9]
	v_add_f64 v[8:9], v[46:47], v[69:70]
	v_add_f64 v[46:47], v[55:56], v[67:68]
	s_waitcnt vmcnt(5) lgkmcnt(0)
	v_mul_f64 v[55:56], v[38:39], v[16:17]
	v_mul_f64 v[16:17], v[40:41], v[16:17]
	v_fma_f64 v[57:58], v[4:5], v[10:11], v[57:58]
	v_fma_f64 v[10:11], v[2:3], v[10:11], -v[12:13]
	v_add_f64 v[12:13], v[8:9], v[6:7]
	v_add_f64 v[46:47], v[46:47], v[59:60]
	ds_load_b128 v[2:5], v1 offset:1872
	ds_load_b128 v[6:9], v1 offset:1888
	v_fma_f64 v[40:41], v[40:41], v[14:15], v[55:56]
	v_fma_f64 v[14:15], v[38:39], v[14:15], -v[16:17]
	s_waitcnt vmcnt(4) lgkmcnt(1)
	v_mul_f64 v[59:60], v[2:3], v[20:21]
	v_mul_f64 v[20:21], v[4:5], v[20:21]
	s_waitcnt vmcnt(3) lgkmcnt(0)
	v_mul_f64 v[16:17], v[6:7], v[24:25]
	v_mul_f64 v[24:25], v[8:9], v[24:25]
	v_add_f64 v[10:11], v[12:13], v[10:11]
	v_add_f64 v[12:13], v[46:47], v[57:58]
	v_fma_f64 v[38:39], v[4:5], v[18:19], v[59:60]
	v_fma_f64 v[18:19], v[2:3], v[18:19], -v[20:21]
	v_fma_f64 v[8:9], v[8:9], v[22:23], v[16:17]
	v_fma_f64 v[6:7], v[6:7], v[22:23], -v[24:25]
	v_add_f64 v[14:15], v[10:11], v[14:15]
	v_add_f64 v[20:21], v[12:13], v[40:41]
	ds_load_b128 v[2:5], v1 offset:1904
	ds_load_b128 v[10:13], v1 offset:1920
	s_waitcnt vmcnt(2) lgkmcnt(1)
	v_mul_f64 v[40:41], v[2:3], v[28:29]
	v_mul_f64 v[28:29], v[4:5], v[28:29]
	v_add_f64 v[14:15], v[14:15], v[18:19]
	v_add_f64 v[16:17], v[20:21], v[38:39]
	s_waitcnt vmcnt(1) lgkmcnt(0)
	v_mul_f64 v[18:19], v[10:11], v[32:33]
	v_mul_f64 v[20:21], v[12:13], v[32:33]
	v_fma_f64 v[22:23], v[4:5], v[26:27], v[40:41]
	v_fma_f64 v[24:25], v[2:3], v[26:27], -v[28:29]
	ds_load_b128 v[2:5], v1 offset:1936
	v_add_f64 v[6:7], v[14:15], v[6:7]
	v_add_f64 v[8:9], v[16:17], v[8:9]
	v_fma_f64 v[12:13], v[12:13], v[30:31], v[18:19]
	v_fma_f64 v[10:11], v[10:11], v[30:31], -v[20:21]
	s_waitcnt vmcnt(0) lgkmcnt(0)
	v_mul_f64 v[14:15], v[2:3], v[36:37]
	v_mul_f64 v[16:17], v[4:5], v[36:37]
	v_add_f64 v[6:7], v[6:7], v[24:25]
	v_add_f64 v[8:9], v[8:9], v[22:23]
	s_delay_alu instid0(VALU_DEP_4) | instskip(NEXT) | instid1(VALU_DEP_4)
	v_fma_f64 v[4:5], v[4:5], v[34:35], v[14:15]
	v_fma_f64 v[2:3], v[2:3], v[34:35], -v[16:17]
	s_delay_alu instid0(VALU_DEP_4) | instskip(NEXT) | instid1(VALU_DEP_4)
	v_add_f64 v[6:7], v[6:7], v[10:11]
	v_add_f64 v[8:9], v[8:9], v[12:13]
	s_delay_alu instid0(VALU_DEP_2) | instskip(NEXT) | instid1(VALU_DEP_2)
	v_add_f64 v[2:3], v[6:7], v[2:3]
	v_add_f64 v[4:5], v[8:9], v[4:5]
	s_delay_alu instid0(VALU_DEP_2) | instskip(NEXT) | instid1(VALU_DEP_2)
	v_add_f64 v[2:3], v[42:43], -v[2:3]
	v_add_f64 v[4:5], v[44:45], -v[4:5]
	scratch_store_b128 off, v[2:5], off offset:496
	v_cmpx_lt_u32_e32 30, v171
	s_cbranch_execz .LBB60_331
; %bb.330:
	scratch_load_b128 v[5:8], v214, off
	v_mov_b32_e32 v2, v1
	v_mov_b32_e32 v3, v1
	;; [unrolled: 1-line block ×3, first 2 shown]
	scratch_store_b128 off, v[1:4], off offset:480
	s_waitcnt vmcnt(0)
	ds_store_b128 v229, v[5:8]
.LBB60_331:
	s_or_b32 exec_lo, exec_lo, s2
	s_waitcnt lgkmcnt(0)
	s_waitcnt_vscnt null, 0x0
	s_barrier
	buffer_gl0_inv
	s_clause 0x8
	scratch_load_b128 v[2:5], off, off offset:496
	scratch_load_b128 v[6:9], off, off offset:512
	scratch_load_b128 v[10:13], off, off offset:528
	scratch_load_b128 v[14:17], off, off offset:544
	scratch_load_b128 v[18:21], off, off offset:560
	scratch_load_b128 v[22:25], off, off offset:576
	scratch_load_b128 v[26:29], off, off offset:592
	scratch_load_b128 v[30:33], off, off offset:608
	scratch_load_b128 v[34:37], off, off offset:624
	ds_load_b128 v[42:45], v1 offset:1472
	ds_load_b128 v[38:41], v1 offset:1488
	s_clause 0x1
	scratch_load_b128 v[55:58], off, off offset:480
	scratch_load_b128 v[59:62], off, off offset:640
	s_mov_b32 s2, exec_lo
	ds_load_b128 v[63:66], v1 offset:1520
	s_waitcnt vmcnt(10) lgkmcnt(2)
	v_mul_f64 v[46:47], v[44:45], v[4:5]
	v_mul_f64 v[4:5], v[42:43], v[4:5]
	s_waitcnt vmcnt(9) lgkmcnt(1)
	v_mul_f64 v[67:68], v[38:39], v[8:9]
	v_mul_f64 v[8:9], v[40:41], v[8:9]
	s_delay_alu instid0(VALU_DEP_4) | instskip(NEXT) | instid1(VALU_DEP_4)
	v_fma_f64 v[46:47], v[42:43], v[2:3], -v[46:47]
	v_fma_f64 v[69:70], v[44:45], v[2:3], v[4:5]
	ds_load_b128 v[2:5], v1 offset:1504
	scratch_load_b128 v[42:45], off, off offset:656
	v_fma_f64 v[40:41], v[40:41], v[6:7], v[67:68]
	v_fma_f64 v[38:39], v[38:39], v[6:7], -v[8:9]
	scratch_load_b128 v[6:9], off, off offset:672
	s_waitcnt vmcnt(10) lgkmcnt(0)
	v_mul_f64 v[85:86], v[2:3], v[12:13]
	v_mul_f64 v[12:13], v[4:5], v[12:13]
	v_add_f64 v[46:47], v[46:47], 0
	v_add_f64 v[67:68], v[69:70], 0
	s_waitcnt vmcnt(9)
	v_mul_f64 v[69:70], v[63:64], v[16:17]
	v_mul_f64 v[16:17], v[65:66], v[16:17]
	v_fma_f64 v[85:86], v[4:5], v[10:11], v[85:86]
	v_fma_f64 v[89:90], v[2:3], v[10:11], -v[12:13]
	ds_load_b128 v[2:5], v1 offset:1536
	scratch_load_b128 v[10:13], off, off offset:688
	v_add_f64 v[46:47], v[46:47], v[38:39]
	v_add_f64 v[67:68], v[67:68], v[40:41]
	ds_load_b128 v[38:41], v1 offset:1552
	v_fma_f64 v[65:66], v[65:66], v[14:15], v[69:70]
	v_fma_f64 v[63:64], v[63:64], v[14:15], -v[16:17]
	scratch_load_b128 v[14:17], off, off offset:704
	s_waitcnt vmcnt(10) lgkmcnt(1)
	v_mul_f64 v[91:92], v[2:3], v[20:21]
	v_mul_f64 v[20:21], v[4:5], v[20:21]
	s_waitcnt vmcnt(9) lgkmcnt(0)
	v_mul_f64 v[69:70], v[38:39], v[24:25]
	v_mul_f64 v[24:25], v[40:41], v[24:25]
	v_add_f64 v[46:47], v[46:47], v[89:90]
	v_add_f64 v[67:68], v[67:68], v[85:86]
	v_fma_f64 v[85:86], v[4:5], v[18:19], v[91:92]
	v_fma_f64 v[89:90], v[2:3], v[18:19], -v[20:21]
	ds_load_b128 v[2:5], v1 offset:1568
	scratch_load_b128 v[18:21], off, off offset:720
	v_fma_f64 v[40:41], v[40:41], v[22:23], v[69:70]
	v_fma_f64 v[38:39], v[38:39], v[22:23], -v[24:25]
	scratch_load_b128 v[22:25], off, off offset:736
	v_add_f64 v[46:47], v[46:47], v[63:64]
	v_add_f64 v[67:68], v[67:68], v[65:66]
	ds_load_b128 v[63:66], v1 offset:1584
	s_waitcnt vmcnt(10) lgkmcnt(1)
	v_mul_f64 v[91:92], v[2:3], v[28:29]
	v_mul_f64 v[28:29], v[4:5], v[28:29]
	s_waitcnt vmcnt(9) lgkmcnt(0)
	v_mul_f64 v[69:70], v[63:64], v[32:33]
	v_mul_f64 v[32:33], v[65:66], v[32:33]
	v_add_f64 v[46:47], v[46:47], v[89:90]
	v_add_f64 v[67:68], v[67:68], v[85:86]
	v_fma_f64 v[85:86], v[4:5], v[26:27], v[91:92]
	v_fma_f64 v[89:90], v[2:3], v[26:27], -v[28:29]
	ds_load_b128 v[2:5], v1 offset:1600
	scratch_load_b128 v[26:29], off, off offset:752
	v_fma_f64 v[65:66], v[65:66], v[30:31], v[69:70]
	v_fma_f64 v[63:64], v[63:64], v[30:31], -v[32:33]
	scratch_load_b128 v[30:33], off, off offset:768
	v_add_f64 v[46:47], v[46:47], v[38:39]
	v_add_f64 v[67:68], v[67:68], v[40:41]
	ds_load_b128 v[38:41], v1 offset:1616
	s_waitcnt vmcnt(10) lgkmcnt(1)
	v_mul_f64 v[91:92], v[2:3], v[36:37]
	v_mul_f64 v[36:37], v[4:5], v[36:37]
	s_waitcnt vmcnt(8) lgkmcnt(0)
	v_mul_f64 v[69:70], v[38:39], v[61:62]
	v_add_f64 v[46:47], v[46:47], v[89:90]
	v_add_f64 v[67:68], v[67:68], v[85:86]
	v_mul_f64 v[85:86], v[40:41], v[61:62]
	v_fma_f64 v[89:90], v[4:5], v[34:35], v[91:92]
	v_fma_f64 v[91:92], v[2:3], v[34:35], -v[36:37]
	ds_load_b128 v[2:5], v1 offset:1632
	scratch_load_b128 v[34:37], off, off offset:784
	v_fma_f64 v[69:70], v[40:41], v[59:60], v[69:70]
	v_add_f64 v[46:47], v[46:47], v[63:64]
	v_add_f64 v[65:66], v[67:68], v[65:66]
	ds_load_b128 v[61:64], v1 offset:1648
	v_fma_f64 v[59:60], v[38:39], v[59:60], -v[85:86]
	scratch_load_b128 v[38:41], off, off offset:800
	s_waitcnt vmcnt(9) lgkmcnt(1)
	v_mul_f64 v[67:68], v[2:3], v[44:45]
	v_mul_f64 v[44:45], v[4:5], v[44:45]
	s_waitcnt vmcnt(8) lgkmcnt(0)
	v_mul_f64 v[85:86], v[61:62], v[8:9]
	v_mul_f64 v[8:9], v[63:64], v[8:9]
	v_add_f64 v[46:47], v[46:47], v[91:92]
	v_add_f64 v[65:66], v[65:66], v[89:90]
	v_fma_f64 v[89:90], v[4:5], v[42:43], v[67:68]
	v_fma_f64 v[91:92], v[2:3], v[42:43], -v[44:45]
	ds_load_b128 v[2:5], v1 offset:1664
	scratch_load_b128 v[42:45], off, off offset:816
	v_fma_f64 v[63:64], v[63:64], v[6:7], v[85:86]
	v_fma_f64 v[61:62], v[61:62], v[6:7], -v[8:9]
	scratch_load_b128 v[6:9], off, off offset:832
	v_add_f64 v[46:47], v[46:47], v[59:60]
	v_add_f64 v[59:60], v[65:66], v[69:70]
	ds_load_b128 v[65:68], v1 offset:1680
	s_waitcnt vmcnt(9) lgkmcnt(1)
	v_mul_f64 v[69:70], v[2:3], v[12:13]
	v_mul_f64 v[12:13], v[4:5], v[12:13]
	s_waitcnt vmcnt(8) lgkmcnt(0)
	v_mul_f64 v[85:86], v[65:66], v[16:17]
	v_mul_f64 v[16:17], v[67:68], v[16:17]
	v_add_f64 v[46:47], v[46:47], v[91:92]
	v_add_f64 v[59:60], v[59:60], v[89:90]
	v_fma_f64 v[69:70], v[4:5], v[10:11], v[69:70]
	v_fma_f64 v[89:90], v[2:3], v[10:11], -v[12:13]
	ds_load_b128 v[2:5], v1 offset:1696
	scratch_load_b128 v[10:13], off, off offset:848
	v_fma_f64 v[67:68], v[67:68], v[14:15], v[85:86]
	v_fma_f64 v[65:66], v[65:66], v[14:15], -v[16:17]
	scratch_load_b128 v[14:17], off, off offset:864
	v_add_f64 v[46:47], v[46:47], v[61:62]
	v_add_f64 v[63:64], v[59:60], v[63:64]
	ds_load_b128 v[59:62], v1 offset:1712
	s_waitcnt vmcnt(9) lgkmcnt(1)
	v_mul_f64 v[91:92], v[2:3], v[20:21]
	v_mul_f64 v[20:21], v[4:5], v[20:21]
	v_add_f64 v[46:47], v[46:47], v[89:90]
	v_add_f64 v[63:64], v[63:64], v[69:70]
	s_waitcnt vmcnt(8) lgkmcnt(0)
	v_mul_f64 v[69:70], v[59:60], v[24:25]
	v_mul_f64 v[24:25], v[61:62], v[24:25]
	v_fma_f64 v[85:86], v[4:5], v[18:19], v[91:92]
	v_fma_f64 v[89:90], v[2:3], v[18:19], -v[20:21]
	ds_load_b128 v[2:5], v1 offset:1728
	scratch_load_b128 v[18:21], off, off offset:880
	v_add_f64 v[46:47], v[46:47], v[65:66]
	v_add_f64 v[67:68], v[63:64], v[67:68]
	ds_load_b128 v[63:66], v1 offset:1744
	s_waitcnt vmcnt(8) lgkmcnt(1)
	v_mul_f64 v[91:92], v[2:3], v[28:29]
	v_mul_f64 v[28:29], v[4:5], v[28:29]
	v_fma_f64 v[61:62], v[61:62], v[22:23], v[69:70]
	v_fma_f64 v[59:60], v[59:60], v[22:23], -v[24:25]
	scratch_load_b128 v[22:25], off, off offset:896
	s_waitcnt vmcnt(8) lgkmcnt(0)
	v_mul_f64 v[69:70], v[63:64], v[32:33]
	v_mul_f64 v[32:33], v[65:66], v[32:33]
	v_add_f64 v[46:47], v[46:47], v[89:90]
	v_add_f64 v[67:68], v[67:68], v[85:86]
	v_fma_f64 v[85:86], v[4:5], v[26:27], v[91:92]
	v_fma_f64 v[89:90], v[2:3], v[26:27], -v[28:29]
	ds_load_b128 v[2:5], v1 offset:1760
	scratch_load_b128 v[26:29], off, off offset:912
	v_fma_f64 v[65:66], v[65:66], v[30:31], v[69:70]
	v_fma_f64 v[63:64], v[63:64], v[30:31], -v[32:33]
	scratch_load_b128 v[30:33], off, off offset:928
	v_add_f64 v[46:47], v[46:47], v[59:60]
	v_add_f64 v[67:68], v[67:68], v[61:62]
	ds_load_b128 v[59:62], v1 offset:1776
	s_waitcnt vmcnt(9) lgkmcnt(1)
	v_mul_f64 v[91:92], v[2:3], v[36:37]
	v_mul_f64 v[36:37], v[4:5], v[36:37]
	s_waitcnt vmcnt(8) lgkmcnt(0)
	v_mul_f64 v[69:70], v[59:60], v[40:41]
	v_mul_f64 v[40:41], v[61:62], v[40:41]
	v_add_f64 v[46:47], v[46:47], v[89:90]
	v_add_f64 v[67:68], v[67:68], v[85:86]
	v_fma_f64 v[85:86], v[4:5], v[34:35], v[91:92]
	v_fma_f64 v[89:90], v[2:3], v[34:35], -v[36:37]
	ds_load_b128 v[2:5], v1 offset:1792
	scratch_load_b128 v[34:37], off, off offset:944
	v_fma_f64 v[61:62], v[61:62], v[38:39], v[69:70]
	v_fma_f64 v[59:60], v[59:60], v[38:39], -v[40:41]
	scratch_load_b128 v[38:41], off, off offset:960
	v_add_f64 v[46:47], v[46:47], v[63:64]
	v_add_f64 v[67:68], v[67:68], v[65:66]
	ds_load_b128 v[63:66], v1 offset:1808
	s_waitcnt vmcnt(9) lgkmcnt(1)
	v_mul_f64 v[91:92], v[2:3], v[44:45]
	v_mul_f64 v[44:45], v[4:5], v[44:45]
	s_waitcnt vmcnt(8) lgkmcnt(0)
	v_mul_f64 v[69:70], v[63:64], v[8:9]
	v_mul_f64 v[8:9], v[65:66], v[8:9]
	v_add_f64 v[46:47], v[46:47], v[89:90]
	v_add_f64 v[67:68], v[67:68], v[85:86]
	v_fma_f64 v[85:86], v[4:5], v[42:43], v[91:92]
	v_fma_f64 v[89:90], v[2:3], v[42:43], -v[44:45]
	ds_load_b128 v[2:5], v1 offset:1824
	ds_load_b128 v[42:45], v1 offset:1840
	v_fma_f64 v[65:66], v[65:66], v[6:7], v[69:70]
	v_fma_f64 v[6:7], v[63:64], v[6:7], -v[8:9]
	v_add_f64 v[46:47], v[46:47], v[59:60]
	v_add_f64 v[59:60], v[67:68], v[61:62]
	s_waitcnt vmcnt(7) lgkmcnt(1)
	v_mul_f64 v[61:62], v[2:3], v[12:13]
	v_mul_f64 v[12:13], v[4:5], v[12:13]
	s_delay_alu instid0(VALU_DEP_4) | instskip(NEXT) | instid1(VALU_DEP_4)
	v_add_f64 v[8:9], v[46:47], v[89:90]
	v_add_f64 v[46:47], v[59:60], v[85:86]
	s_waitcnt vmcnt(6) lgkmcnt(0)
	v_mul_f64 v[59:60], v[42:43], v[16:17]
	v_mul_f64 v[16:17], v[44:45], v[16:17]
	v_fma_f64 v[61:62], v[4:5], v[10:11], v[61:62]
	v_fma_f64 v[10:11], v[2:3], v[10:11], -v[12:13]
	v_add_f64 v[12:13], v[8:9], v[6:7]
	v_add_f64 v[46:47], v[46:47], v[65:66]
	ds_load_b128 v[2:5], v1 offset:1856
	ds_load_b128 v[6:9], v1 offset:1872
	v_fma_f64 v[44:45], v[44:45], v[14:15], v[59:60]
	v_fma_f64 v[14:15], v[42:43], v[14:15], -v[16:17]
	s_waitcnt vmcnt(5) lgkmcnt(1)
	v_mul_f64 v[63:64], v[2:3], v[20:21]
	v_mul_f64 v[20:21], v[4:5], v[20:21]
	s_waitcnt vmcnt(4) lgkmcnt(0)
	v_mul_f64 v[16:17], v[6:7], v[24:25]
	v_mul_f64 v[24:25], v[8:9], v[24:25]
	v_add_f64 v[10:11], v[12:13], v[10:11]
	v_add_f64 v[12:13], v[46:47], v[61:62]
	v_fma_f64 v[42:43], v[4:5], v[18:19], v[63:64]
	v_fma_f64 v[18:19], v[2:3], v[18:19], -v[20:21]
	v_fma_f64 v[8:9], v[8:9], v[22:23], v[16:17]
	v_fma_f64 v[6:7], v[6:7], v[22:23], -v[24:25]
	v_add_f64 v[14:15], v[10:11], v[14:15]
	v_add_f64 v[20:21], v[12:13], v[44:45]
	ds_load_b128 v[2:5], v1 offset:1888
	ds_load_b128 v[10:13], v1 offset:1904
	s_waitcnt vmcnt(3) lgkmcnt(1)
	v_mul_f64 v[44:45], v[2:3], v[28:29]
	v_mul_f64 v[28:29], v[4:5], v[28:29]
	v_add_f64 v[14:15], v[14:15], v[18:19]
	v_add_f64 v[16:17], v[20:21], v[42:43]
	s_waitcnt vmcnt(2) lgkmcnt(0)
	v_mul_f64 v[18:19], v[10:11], v[32:33]
	v_mul_f64 v[20:21], v[12:13], v[32:33]
	v_fma_f64 v[22:23], v[4:5], v[26:27], v[44:45]
	v_fma_f64 v[24:25], v[2:3], v[26:27], -v[28:29]
	v_add_f64 v[14:15], v[14:15], v[6:7]
	v_add_f64 v[16:17], v[16:17], v[8:9]
	ds_load_b128 v[2:5], v1 offset:1920
	ds_load_b128 v[6:9], v1 offset:1936
	v_fma_f64 v[12:13], v[12:13], v[30:31], v[18:19]
	v_fma_f64 v[10:11], v[10:11], v[30:31], -v[20:21]
	s_waitcnt vmcnt(1) lgkmcnt(1)
	v_mul_f64 v[26:27], v[2:3], v[36:37]
	v_mul_f64 v[28:29], v[4:5], v[36:37]
	s_waitcnt vmcnt(0) lgkmcnt(0)
	v_mul_f64 v[18:19], v[6:7], v[40:41]
	v_mul_f64 v[20:21], v[8:9], v[40:41]
	v_add_f64 v[14:15], v[14:15], v[24:25]
	v_add_f64 v[16:17], v[16:17], v[22:23]
	v_fma_f64 v[4:5], v[4:5], v[34:35], v[26:27]
	v_fma_f64 v[1:2], v[2:3], v[34:35], -v[28:29]
	v_fma_f64 v[8:9], v[8:9], v[38:39], v[18:19]
	v_fma_f64 v[6:7], v[6:7], v[38:39], -v[20:21]
	v_add_f64 v[10:11], v[14:15], v[10:11]
	v_add_f64 v[12:13], v[16:17], v[12:13]
	s_delay_alu instid0(VALU_DEP_2) | instskip(NEXT) | instid1(VALU_DEP_2)
	v_add_f64 v[1:2], v[10:11], v[1:2]
	v_add_f64 v[3:4], v[12:13], v[4:5]
	s_delay_alu instid0(VALU_DEP_2) | instskip(NEXT) | instid1(VALU_DEP_2)
	;; [unrolled: 3-line block ×3, first 2 shown]
	v_add_f64 v[1:2], v[55:56], -v[1:2]
	v_add_f64 v[3:4], v[57:58], -v[3:4]
	scratch_store_b128 off, v[1:4], off offset:480
	v_cmpx_lt_u32_e32 29, v171
	s_cbranch_execz .LBB60_333
; %bb.332:
	scratch_load_b128 v[1:4], v194, off
	v_mov_b32_e32 v5, 0
	s_delay_alu instid0(VALU_DEP_1)
	v_mov_b32_e32 v6, v5
	v_mov_b32_e32 v7, v5
	;; [unrolled: 1-line block ×3, first 2 shown]
	scratch_store_b128 off, v[5:8], off offset:464
	s_waitcnt vmcnt(0)
	ds_store_b128 v229, v[1:4]
.LBB60_333:
	s_or_b32 exec_lo, exec_lo, s2
	s_waitcnt lgkmcnt(0)
	s_waitcnt_vscnt null, 0x0
	s_barrier
	buffer_gl0_inv
	s_clause 0x7
	scratch_load_b128 v[2:5], off, off offset:480
	scratch_load_b128 v[6:9], off, off offset:496
	;; [unrolled: 1-line block ×8, first 2 shown]
	v_mov_b32_e32 v1, 0
	s_mov_b32 s2, exec_lo
	ds_load_b128 v[38:41], v1 offset:1456
	s_clause 0x1
	scratch_load_b128 v[34:37], off, off offset:608
	scratch_load_b128 v[42:45], off, off offset:464
	ds_load_b128 v[55:58], v1 offset:1472
	scratch_load_b128 v[59:62], off, off offset:624
	ds_load_b128 v[63:66], v1 offset:1504
	s_waitcnt vmcnt(10) lgkmcnt(2)
	v_mul_f64 v[46:47], v[40:41], v[4:5]
	v_mul_f64 v[4:5], v[38:39], v[4:5]
	s_delay_alu instid0(VALU_DEP_2) | instskip(NEXT) | instid1(VALU_DEP_2)
	v_fma_f64 v[46:47], v[38:39], v[2:3], -v[46:47]
	v_fma_f64 v[69:70], v[40:41], v[2:3], v[4:5]
	ds_load_b128 v[2:5], v1 offset:1488
	s_waitcnt vmcnt(9) lgkmcnt(2)
	v_mul_f64 v[67:68], v[55:56], v[8:9]
	v_mul_f64 v[8:9], v[57:58], v[8:9]
	scratch_load_b128 v[38:41], off, off offset:640
	s_waitcnt vmcnt(9) lgkmcnt(0)
	v_mul_f64 v[85:86], v[2:3], v[12:13]
	v_mul_f64 v[12:13], v[4:5], v[12:13]
	v_add_f64 v[46:47], v[46:47], 0
	v_fma_f64 v[57:58], v[57:58], v[6:7], v[67:68]
	v_fma_f64 v[55:56], v[55:56], v[6:7], -v[8:9]
	v_add_f64 v[67:68], v[69:70], 0
	scratch_load_b128 v[6:9], off, off offset:656
	v_fma_f64 v[85:86], v[4:5], v[10:11], v[85:86]
	v_fma_f64 v[89:90], v[2:3], v[10:11], -v[12:13]
	scratch_load_b128 v[10:13], off, off offset:672
	ds_load_b128 v[2:5], v1 offset:1520
	s_waitcnt vmcnt(10)
	v_mul_f64 v[69:70], v[63:64], v[16:17]
	v_mul_f64 v[16:17], v[65:66], v[16:17]
	v_add_f64 v[46:47], v[46:47], v[55:56]
	v_add_f64 v[67:68], v[67:68], v[57:58]
	ds_load_b128 v[55:58], v1 offset:1536
	s_waitcnt vmcnt(9) lgkmcnt(1)
	v_mul_f64 v[91:92], v[2:3], v[20:21]
	v_mul_f64 v[20:21], v[4:5], v[20:21]
	v_fma_f64 v[65:66], v[65:66], v[14:15], v[69:70]
	v_fma_f64 v[63:64], v[63:64], v[14:15], -v[16:17]
	scratch_load_b128 v[14:17], off, off offset:688
	v_add_f64 v[46:47], v[46:47], v[89:90]
	v_add_f64 v[67:68], v[67:68], v[85:86]
	v_fma_f64 v[85:86], v[4:5], v[18:19], v[91:92]
	v_fma_f64 v[89:90], v[2:3], v[18:19], -v[20:21]
	scratch_load_b128 v[18:21], off, off offset:704
	ds_load_b128 v[2:5], v1 offset:1552
	s_waitcnt vmcnt(10) lgkmcnt(1)
	v_mul_f64 v[69:70], v[55:56], v[24:25]
	v_mul_f64 v[24:25], v[57:58], v[24:25]
	s_waitcnt vmcnt(9) lgkmcnt(0)
	v_mul_f64 v[91:92], v[2:3], v[28:29]
	v_mul_f64 v[28:29], v[4:5], v[28:29]
	v_add_f64 v[46:47], v[46:47], v[63:64]
	v_add_f64 v[67:68], v[67:68], v[65:66]
	ds_load_b128 v[63:66], v1 offset:1568
	v_fma_f64 v[57:58], v[57:58], v[22:23], v[69:70]
	v_fma_f64 v[55:56], v[55:56], v[22:23], -v[24:25]
	scratch_load_b128 v[22:25], off, off offset:720
	v_add_f64 v[46:47], v[46:47], v[89:90]
	v_add_f64 v[67:68], v[67:68], v[85:86]
	v_fma_f64 v[85:86], v[4:5], v[26:27], v[91:92]
	v_fma_f64 v[89:90], v[2:3], v[26:27], -v[28:29]
	scratch_load_b128 v[26:29], off, off offset:736
	ds_load_b128 v[2:5], v1 offset:1584
	s_waitcnt vmcnt(10) lgkmcnt(1)
	v_mul_f64 v[69:70], v[63:64], v[32:33]
	v_mul_f64 v[32:33], v[65:66], v[32:33]
	s_waitcnt vmcnt(9) lgkmcnt(0)
	v_mul_f64 v[91:92], v[2:3], v[36:37]
	v_mul_f64 v[36:37], v[4:5], v[36:37]
	v_add_f64 v[46:47], v[46:47], v[55:56]
	v_add_f64 v[67:68], v[67:68], v[57:58]
	ds_load_b128 v[55:58], v1 offset:1600
	v_fma_f64 v[65:66], v[65:66], v[30:31], v[69:70]
	v_fma_f64 v[63:64], v[63:64], v[30:31], -v[32:33]
	scratch_load_b128 v[30:33], off, off offset:752
	v_add_f64 v[46:47], v[46:47], v[89:90]
	v_add_f64 v[67:68], v[67:68], v[85:86]
	v_fma_f64 v[89:90], v[4:5], v[34:35], v[91:92]
	v_fma_f64 v[91:92], v[2:3], v[34:35], -v[36:37]
	scratch_load_b128 v[34:37], off, off offset:768
	ds_load_b128 v[2:5], v1 offset:1616
	s_waitcnt vmcnt(9) lgkmcnt(1)
	v_mul_f64 v[69:70], v[55:56], v[61:62]
	v_mul_f64 v[85:86], v[57:58], v[61:62]
	v_add_f64 v[46:47], v[46:47], v[63:64]
	v_add_f64 v[65:66], v[67:68], v[65:66]
	ds_load_b128 v[61:64], v1 offset:1632
	v_fma_f64 v[69:70], v[57:58], v[59:60], v[69:70]
	v_fma_f64 v[59:60], v[55:56], v[59:60], -v[85:86]
	scratch_load_b128 v[55:58], off, off offset:784
	s_waitcnt vmcnt(9) lgkmcnt(1)
	v_mul_f64 v[67:68], v[2:3], v[40:41]
	v_mul_f64 v[40:41], v[4:5], v[40:41]
	v_add_f64 v[46:47], v[46:47], v[91:92]
	v_add_f64 v[65:66], v[65:66], v[89:90]
	s_delay_alu instid0(VALU_DEP_4) | instskip(NEXT) | instid1(VALU_DEP_4)
	v_fma_f64 v[89:90], v[4:5], v[38:39], v[67:68]
	v_fma_f64 v[91:92], v[2:3], v[38:39], -v[40:41]
	scratch_load_b128 v[38:41], off, off offset:800
	ds_load_b128 v[2:5], v1 offset:1648
	s_waitcnt vmcnt(9) lgkmcnt(1)
	v_mul_f64 v[85:86], v[61:62], v[8:9]
	v_mul_f64 v[8:9], v[63:64], v[8:9]
	v_add_f64 v[46:47], v[46:47], v[59:60]
	v_add_f64 v[59:60], v[65:66], v[69:70]
	s_waitcnt vmcnt(8) lgkmcnt(0)
	v_mul_f64 v[69:70], v[2:3], v[12:13]
	v_mul_f64 v[12:13], v[4:5], v[12:13]
	ds_load_b128 v[65:68], v1 offset:1664
	v_fma_f64 v[63:64], v[63:64], v[6:7], v[85:86]
	v_fma_f64 v[61:62], v[61:62], v[6:7], -v[8:9]
	scratch_load_b128 v[6:9], off, off offset:816
	v_add_f64 v[46:47], v[46:47], v[91:92]
	v_add_f64 v[59:60], v[59:60], v[89:90]
	v_fma_f64 v[69:70], v[4:5], v[10:11], v[69:70]
	v_fma_f64 v[89:90], v[2:3], v[10:11], -v[12:13]
	scratch_load_b128 v[10:13], off, off offset:832
	ds_load_b128 v[2:5], v1 offset:1680
	s_waitcnt vmcnt(9) lgkmcnt(1)
	v_mul_f64 v[85:86], v[65:66], v[16:17]
	v_mul_f64 v[16:17], v[67:68], v[16:17]
	s_waitcnt vmcnt(8) lgkmcnt(0)
	v_mul_f64 v[91:92], v[2:3], v[20:21]
	v_mul_f64 v[20:21], v[4:5], v[20:21]
	v_add_f64 v[46:47], v[46:47], v[61:62]
	v_add_f64 v[63:64], v[59:60], v[63:64]
	ds_load_b128 v[59:62], v1 offset:1696
	v_fma_f64 v[67:68], v[67:68], v[14:15], v[85:86]
	v_fma_f64 v[65:66], v[65:66], v[14:15], -v[16:17]
	scratch_load_b128 v[14:17], off, off offset:848
	v_fma_f64 v[85:86], v[4:5], v[18:19], v[91:92]
	v_add_f64 v[46:47], v[46:47], v[89:90]
	v_add_f64 v[63:64], v[63:64], v[69:70]
	v_fma_f64 v[89:90], v[2:3], v[18:19], -v[20:21]
	scratch_load_b128 v[18:21], off, off offset:864
	ds_load_b128 v[2:5], v1 offset:1712
	s_waitcnt vmcnt(9) lgkmcnt(1)
	v_mul_f64 v[69:70], v[59:60], v[24:25]
	v_mul_f64 v[24:25], v[61:62], v[24:25]
	s_waitcnt vmcnt(8) lgkmcnt(0)
	v_mul_f64 v[91:92], v[2:3], v[28:29]
	v_mul_f64 v[28:29], v[4:5], v[28:29]
	v_add_f64 v[46:47], v[46:47], v[65:66]
	v_add_f64 v[67:68], v[63:64], v[67:68]
	ds_load_b128 v[63:66], v1 offset:1728
	v_fma_f64 v[61:62], v[61:62], v[22:23], v[69:70]
	v_fma_f64 v[59:60], v[59:60], v[22:23], -v[24:25]
	scratch_load_b128 v[22:25], off, off offset:880
	v_add_f64 v[46:47], v[46:47], v[89:90]
	v_add_f64 v[67:68], v[67:68], v[85:86]
	v_fma_f64 v[85:86], v[4:5], v[26:27], v[91:92]
	v_fma_f64 v[89:90], v[2:3], v[26:27], -v[28:29]
	scratch_load_b128 v[26:29], off, off offset:896
	ds_load_b128 v[2:5], v1 offset:1744
	s_waitcnt vmcnt(9) lgkmcnt(1)
	v_mul_f64 v[69:70], v[63:64], v[32:33]
	v_mul_f64 v[32:33], v[65:66], v[32:33]
	s_waitcnt vmcnt(8) lgkmcnt(0)
	v_mul_f64 v[91:92], v[2:3], v[36:37]
	v_mul_f64 v[36:37], v[4:5], v[36:37]
	v_add_f64 v[46:47], v[46:47], v[59:60]
	v_add_f64 v[67:68], v[67:68], v[61:62]
	ds_load_b128 v[59:62], v1 offset:1760
	v_fma_f64 v[65:66], v[65:66], v[30:31], v[69:70]
	v_fma_f64 v[63:64], v[63:64], v[30:31], -v[32:33]
	scratch_load_b128 v[30:33], off, off offset:912
	v_add_f64 v[46:47], v[46:47], v[89:90]
	v_add_f64 v[67:68], v[67:68], v[85:86]
	v_fma_f64 v[85:86], v[4:5], v[34:35], v[91:92]
	;; [unrolled: 18-line block ×3, first 2 shown]
	v_fma_f64 v[89:90], v[2:3], v[38:39], -v[40:41]
	scratch_load_b128 v[38:41], off, off offset:960
	ds_load_b128 v[2:5], v1 offset:1808
	s_waitcnt vmcnt(9) lgkmcnt(1)
	v_mul_f64 v[69:70], v[63:64], v[8:9]
	v_mul_f64 v[8:9], v[65:66], v[8:9]
	s_waitcnt vmcnt(8) lgkmcnt(0)
	v_mul_f64 v[91:92], v[2:3], v[12:13]
	v_mul_f64 v[12:13], v[4:5], v[12:13]
	v_add_f64 v[46:47], v[46:47], v[59:60]
	v_add_f64 v[67:68], v[67:68], v[61:62]
	ds_load_b128 v[59:62], v1 offset:1824
	v_fma_f64 v[65:66], v[65:66], v[6:7], v[69:70]
	v_fma_f64 v[6:7], v[63:64], v[6:7], -v[8:9]
	s_waitcnt vmcnt(7) lgkmcnt(0)
	v_mul_f64 v[63:64], v[59:60], v[16:17]
	v_mul_f64 v[16:17], v[61:62], v[16:17]
	v_add_f64 v[8:9], v[46:47], v[89:90]
	v_add_f64 v[46:47], v[67:68], v[85:86]
	v_fma_f64 v[67:68], v[4:5], v[10:11], v[91:92]
	v_fma_f64 v[10:11], v[2:3], v[10:11], -v[12:13]
	v_fma_f64 v[61:62], v[61:62], v[14:15], v[63:64]
	v_fma_f64 v[14:15], v[59:60], v[14:15], -v[16:17]
	v_add_f64 v[12:13], v[8:9], v[6:7]
	v_add_f64 v[46:47], v[46:47], v[65:66]
	ds_load_b128 v[2:5], v1 offset:1840
	ds_load_b128 v[6:9], v1 offset:1856
	s_waitcnt vmcnt(6) lgkmcnt(1)
	v_mul_f64 v[65:66], v[2:3], v[20:21]
	v_mul_f64 v[20:21], v[4:5], v[20:21]
	s_waitcnt vmcnt(5) lgkmcnt(0)
	v_mul_f64 v[16:17], v[6:7], v[24:25]
	v_mul_f64 v[24:25], v[8:9], v[24:25]
	v_add_f64 v[10:11], v[12:13], v[10:11]
	v_add_f64 v[12:13], v[46:47], v[67:68]
	v_fma_f64 v[46:47], v[4:5], v[18:19], v[65:66]
	v_fma_f64 v[18:19], v[2:3], v[18:19], -v[20:21]
	v_fma_f64 v[8:9], v[8:9], v[22:23], v[16:17]
	v_fma_f64 v[6:7], v[6:7], v[22:23], -v[24:25]
	v_add_f64 v[14:15], v[10:11], v[14:15]
	v_add_f64 v[20:21], v[12:13], v[61:62]
	ds_load_b128 v[2:5], v1 offset:1872
	ds_load_b128 v[10:13], v1 offset:1888
	s_waitcnt vmcnt(4) lgkmcnt(1)
	v_mul_f64 v[59:60], v[2:3], v[28:29]
	v_mul_f64 v[28:29], v[4:5], v[28:29]
	v_add_f64 v[14:15], v[14:15], v[18:19]
	v_add_f64 v[16:17], v[20:21], v[46:47]
	s_waitcnt vmcnt(3) lgkmcnt(0)
	v_mul_f64 v[18:19], v[10:11], v[32:33]
	v_mul_f64 v[20:21], v[12:13], v[32:33]
	v_fma_f64 v[22:23], v[4:5], v[26:27], v[59:60]
	v_fma_f64 v[24:25], v[2:3], v[26:27], -v[28:29]
	v_add_f64 v[14:15], v[14:15], v[6:7]
	v_add_f64 v[16:17], v[16:17], v[8:9]
	ds_load_b128 v[2:5], v1 offset:1904
	ds_load_b128 v[6:9], v1 offset:1920
	v_fma_f64 v[12:13], v[12:13], v[30:31], v[18:19]
	v_fma_f64 v[10:11], v[10:11], v[30:31], -v[20:21]
	s_waitcnt vmcnt(2) lgkmcnt(1)
	v_mul_f64 v[26:27], v[2:3], v[36:37]
	v_mul_f64 v[28:29], v[4:5], v[36:37]
	s_waitcnt vmcnt(1) lgkmcnt(0)
	v_mul_f64 v[18:19], v[6:7], v[57:58]
	v_mul_f64 v[20:21], v[8:9], v[57:58]
	v_add_f64 v[14:15], v[14:15], v[24:25]
	v_add_f64 v[16:17], v[16:17], v[22:23]
	v_fma_f64 v[22:23], v[4:5], v[34:35], v[26:27]
	v_fma_f64 v[24:25], v[2:3], v[34:35], -v[28:29]
	ds_load_b128 v[2:5], v1 offset:1936
	v_fma_f64 v[8:9], v[8:9], v[55:56], v[18:19]
	v_fma_f64 v[6:7], v[6:7], v[55:56], -v[20:21]
	v_add_f64 v[10:11], v[14:15], v[10:11]
	v_add_f64 v[12:13], v[16:17], v[12:13]
	s_waitcnt vmcnt(0) lgkmcnt(0)
	v_mul_f64 v[14:15], v[2:3], v[40:41]
	v_mul_f64 v[16:17], v[4:5], v[40:41]
	s_delay_alu instid0(VALU_DEP_4) | instskip(NEXT) | instid1(VALU_DEP_4)
	v_add_f64 v[10:11], v[10:11], v[24:25]
	v_add_f64 v[12:13], v[12:13], v[22:23]
	s_delay_alu instid0(VALU_DEP_4) | instskip(NEXT) | instid1(VALU_DEP_4)
	v_fma_f64 v[4:5], v[4:5], v[38:39], v[14:15]
	v_fma_f64 v[2:3], v[2:3], v[38:39], -v[16:17]
	s_delay_alu instid0(VALU_DEP_4) | instskip(NEXT) | instid1(VALU_DEP_4)
	v_add_f64 v[6:7], v[10:11], v[6:7]
	v_add_f64 v[8:9], v[12:13], v[8:9]
	s_delay_alu instid0(VALU_DEP_2) | instskip(NEXT) | instid1(VALU_DEP_2)
	v_add_f64 v[2:3], v[6:7], v[2:3]
	v_add_f64 v[4:5], v[8:9], v[4:5]
	s_delay_alu instid0(VALU_DEP_2) | instskip(NEXT) | instid1(VALU_DEP_2)
	v_add_f64 v[2:3], v[42:43], -v[2:3]
	v_add_f64 v[4:5], v[44:45], -v[4:5]
	scratch_store_b128 off, v[2:5], off offset:464
	v_cmpx_lt_u32_e32 28, v171
	s_cbranch_execz .LBB60_335
; %bb.334:
	scratch_load_b128 v[5:8], v220, off
	v_mov_b32_e32 v2, v1
	v_mov_b32_e32 v3, v1
	;; [unrolled: 1-line block ×3, first 2 shown]
	scratch_store_b128 off, v[1:4], off offset:448
	s_waitcnt vmcnt(0)
	ds_store_b128 v229, v[5:8]
.LBB60_335:
	s_or_b32 exec_lo, exec_lo, s2
	s_waitcnt lgkmcnt(0)
	s_waitcnt_vscnt null, 0x0
	s_barrier
	buffer_gl0_inv
	s_clause 0x8
	scratch_load_b128 v[2:5], off, off offset:464
	scratch_load_b128 v[6:9], off, off offset:480
	;; [unrolled: 1-line block ×9, first 2 shown]
	ds_load_b128 v[42:45], v1 offset:1440
	ds_load_b128 v[38:41], v1 offset:1456
	s_clause 0x1
	scratch_load_b128 v[55:58], off, off offset:448
	scratch_load_b128 v[59:62], off, off offset:608
	s_mov_b32 s2, exec_lo
	ds_load_b128 v[63:66], v1 offset:1488
	s_waitcnt vmcnt(10) lgkmcnt(2)
	v_mul_f64 v[46:47], v[44:45], v[4:5]
	v_mul_f64 v[4:5], v[42:43], v[4:5]
	s_waitcnt vmcnt(9) lgkmcnt(1)
	v_mul_f64 v[67:68], v[38:39], v[8:9]
	v_mul_f64 v[8:9], v[40:41], v[8:9]
	s_delay_alu instid0(VALU_DEP_4) | instskip(NEXT) | instid1(VALU_DEP_4)
	v_fma_f64 v[46:47], v[42:43], v[2:3], -v[46:47]
	v_fma_f64 v[69:70], v[44:45], v[2:3], v[4:5]
	ds_load_b128 v[2:5], v1 offset:1472
	scratch_load_b128 v[42:45], off, off offset:624
	v_fma_f64 v[40:41], v[40:41], v[6:7], v[67:68]
	v_fma_f64 v[38:39], v[38:39], v[6:7], -v[8:9]
	scratch_load_b128 v[6:9], off, off offset:640
	s_waitcnt vmcnt(10) lgkmcnt(0)
	v_mul_f64 v[85:86], v[2:3], v[12:13]
	v_mul_f64 v[12:13], v[4:5], v[12:13]
	v_add_f64 v[46:47], v[46:47], 0
	v_add_f64 v[67:68], v[69:70], 0
	s_waitcnt vmcnt(9)
	v_mul_f64 v[69:70], v[63:64], v[16:17]
	v_mul_f64 v[16:17], v[65:66], v[16:17]
	v_fma_f64 v[85:86], v[4:5], v[10:11], v[85:86]
	v_fma_f64 v[89:90], v[2:3], v[10:11], -v[12:13]
	ds_load_b128 v[2:5], v1 offset:1504
	scratch_load_b128 v[10:13], off, off offset:656
	v_add_f64 v[46:47], v[46:47], v[38:39]
	v_add_f64 v[67:68], v[67:68], v[40:41]
	ds_load_b128 v[38:41], v1 offset:1520
	v_fma_f64 v[65:66], v[65:66], v[14:15], v[69:70]
	v_fma_f64 v[63:64], v[63:64], v[14:15], -v[16:17]
	scratch_load_b128 v[14:17], off, off offset:672
	s_waitcnt vmcnt(10) lgkmcnt(1)
	v_mul_f64 v[91:92], v[2:3], v[20:21]
	v_mul_f64 v[20:21], v[4:5], v[20:21]
	s_waitcnt vmcnt(9) lgkmcnt(0)
	v_mul_f64 v[69:70], v[38:39], v[24:25]
	v_mul_f64 v[24:25], v[40:41], v[24:25]
	v_add_f64 v[46:47], v[46:47], v[89:90]
	v_add_f64 v[67:68], v[67:68], v[85:86]
	v_fma_f64 v[85:86], v[4:5], v[18:19], v[91:92]
	v_fma_f64 v[89:90], v[2:3], v[18:19], -v[20:21]
	ds_load_b128 v[2:5], v1 offset:1536
	scratch_load_b128 v[18:21], off, off offset:688
	v_fma_f64 v[40:41], v[40:41], v[22:23], v[69:70]
	v_fma_f64 v[38:39], v[38:39], v[22:23], -v[24:25]
	scratch_load_b128 v[22:25], off, off offset:704
	v_add_f64 v[46:47], v[46:47], v[63:64]
	v_add_f64 v[67:68], v[67:68], v[65:66]
	ds_load_b128 v[63:66], v1 offset:1552
	s_waitcnt vmcnt(10) lgkmcnt(1)
	v_mul_f64 v[91:92], v[2:3], v[28:29]
	v_mul_f64 v[28:29], v[4:5], v[28:29]
	s_waitcnt vmcnt(9) lgkmcnt(0)
	v_mul_f64 v[69:70], v[63:64], v[32:33]
	v_mul_f64 v[32:33], v[65:66], v[32:33]
	v_add_f64 v[46:47], v[46:47], v[89:90]
	v_add_f64 v[67:68], v[67:68], v[85:86]
	v_fma_f64 v[85:86], v[4:5], v[26:27], v[91:92]
	v_fma_f64 v[89:90], v[2:3], v[26:27], -v[28:29]
	ds_load_b128 v[2:5], v1 offset:1568
	scratch_load_b128 v[26:29], off, off offset:720
	v_fma_f64 v[65:66], v[65:66], v[30:31], v[69:70]
	v_fma_f64 v[63:64], v[63:64], v[30:31], -v[32:33]
	scratch_load_b128 v[30:33], off, off offset:736
	v_add_f64 v[46:47], v[46:47], v[38:39]
	v_add_f64 v[67:68], v[67:68], v[40:41]
	ds_load_b128 v[38:41], v1 offset:1584
	s_waitcnt vmcnt(10) lgkmcnt(1)
	v_mul_f64 v[91:92], v[2:3], v[36:37]
	v_mul_f64 v[36:37], v[4:5], v[36:37]
	s_waitcnt vmcnt(8) lgkmcnt(0)
	v_mul_f64 v[69:70], v[38:39], v[61:62]
	v_add_f64 v[46:47], v[46:47], v[89:90]
	v_add_f64 v[67:68], v[67:68], v[85:86]
	v_mul_f64 v[85:86], v[40:41], v[61:62]
	v_fma_f64 v[89:90], v[4:5], v[34:35], v[91:92]
	v_fma_f64 v[91:92], v[2:3], v[34:35], -v[36:37]
	ds_load_b128 v[2:5], v1 offset:1600
	scratch_load_b128 v[34:37], off, off offset:752
	v_fma_f64 v[69:70], v[40:41], v[59:60], v[69:70]
	v_add_f64 v[46:47], v[46:47], v[63:64]
	v_add_f64 v[65:66], v[67:68], v[65:66]
	ds_load_b128 v[61:64], v1 offset:1616
	v_fma_f64 v[59:60], v[38:39], v[59:60], -v[85:86]
	scratch_load_b128 v[38:41], off, off offset:768
	s_waitcnt vmcnt(9) lgkmcnt(1)
	v_mul_f64 v[67:68], v[2:3], v[44:45]
	v_mul_f64 v[44:45], v[4:5], v[44:45]
	s_waitcnt vmcnt(8) lgkmcnt(0)
	v_mul_f64 v[85:86], v[61:62], v[8:9]
	v_mul_f64 v[8:9], v[63:64], v[8:9]
	v_add_f64 v[46:47], v[46:47], v[91:92]
	v_add_f64 v[65:66], v[65:66], v[89:90]
	v_fma_f64 v[89:90], v[4:5], v[42:43], v[67:68]
	v_fma_f64 v[91:92], v[2:3], v[42:43], -v[44:45]
	ds_load_b128 v[2:5], v1 offset:1632
	scratch_load_b128 v[42:45], off, off offset:784
	v_fma_f64 v[63:64], v[63:64], v[6:7], v[85:86]
	v_fma_f64 v[61:62], v[61:62], v[6:7], -v[8:9]
	scratch_load_b128 v[6:9], off, off offset:800
	v_add_f64 v[46:47], v[46:47], v[59:60]
	v_add_f64 v[59:60], v[65:66], v[69:70]
	ds_load_b128 v[65:68], v1 offset:1648
	s_waitcnt vmcnt(9) lgkmcnt(1)
	v_mul_f64 v[69:70], v[2:3], v[12:13]
	v_mul_f64 v[12:13], v[4:5], v[12:13]
	s_waitcnt vmcnt(8) lgkmcnt(0)
	v_mul_f64 v[85:86], v[65:66], v[16:17]
	v_mul_f64 v[16:17], v[67:68], v[16:17]
	v_add_f64 v[46:47], v[46:47], v[91:92]
	v_add_f64 v[59:60], v[59:60], v[89:90]
	v_fma_f64 v[69:70], v[4:5], v[10:11], v[69:70]
	v_fma_f64 v[89:90], v[2:3], v[10:11], -v[12:13]
	ds_load_b128 v[2:5], v1 offset:1664
	scratch_load_b128 v[10:13], off, off offset:816
	v_fma_f64 v[67:68], v[67:68], v[14:15], v[85:86]
	v_fma_f64 v[65:66], v[65:66], v[14:15], -v[16:17]
	scratch_load_b128 v[14:17], off, off offset:832
	v_add_f64 v[46:47], v[46:47], v[61:62]
	v_add_f64 v[63:64], v[59:60], v[63:64]
	ds_load_b128 v[59:62], v1 offset:1680
	s_waitcnt vmcnt(9) lgkmcnt(1)
	v_mul_f64 v[91:92], v[2:3], v[20:21]
	v_mul_f64 v[20:21], v[4:5], v[20:21]
	v_add_f64 v[46:47], v[46:47], v[89:90]
	v_add_f64 v[63:64], v[63:64], v[69:70]
	s_waitcnt vmcnt(8) lgkmcnt(0)
	v_mul_f64 v[69:70], v[59:60], v[24:25]
	v_mul_f64 v[24:25], v[61:62], v[24:25]
	v_fma_f64 v[85:86], v[4:5], v[18:19], v[91:92]
	v_fma_f64 v[89:90], v[2:3], v[18:19], -v[20:21]
	ds_load_b128 v[2:5], v1 offset:1696
	scratch_load_b128 v[18:21], off, off offset:848
	v_add_f64 v[46:47], v[46:47], v[65:66]
	v_add_f64 v[67:68], v[63:64], v[67:68]
	ds_load_b128 v[63:66], v1 offset:1712
	s_waitcnt vmcnt(8) lgkmcnt(1)
	v_mul_f64 v[91:92], v[2:3], v[28:29]
	v_mul_f64 v[28:29], v[4:5], v[28:29]
	v_fma_f64 v[61:62], v[61:62], v[22:23], v[69:70]
	v_fma_f64 v[59:60], v[59:60], v[22:23], -v[24:25]
	scratch_load_b128 v[22:25], off, off offset:864
	s_waitcnt vmcnt(8) lgkmcnt(0)
	v_mul_f64 v[69:70], v[63:64], v[32:33]
	v_mul_f64 v[32:33], v[65:66], v[32:33]
	v_add_f64 v[46:47], v[46:47], v[89:90]
	v_add_f64 v[67:68], v[67:68], v[85:86]
	v_fma_f64 v[85:86], v[4:5], v[26:27], v[91:92]
	v_fma_f64 v[89:90], v[2:3], v[26:27], -v[28:29]
	ds_load_b128 v[2:5], v1 offset:1728
	scratch_load_b128 v[26:29], off, off offset:880
	v_fma_f64 v[65:66], v[65:66], v[30:31], v[69:70]
	v_fma_f64 v[63:64], v[63:64], v[30:31], -v[32:33]
	scratch_load_b128 v[30:33], off, off offset:896
	v_add_f64 v[46:47], v[46:47], v[59:60]
	v_add_f64 v[67:68], v[67:68], v[61:62]
	ds_load_b128 v[59:62], v1 offset:1744
	s_waitcnt vmcnt(9) lgkmcnt(1)
	v_mul_f64 v[91:92], v[2:3], v[36:37]
	v_mul_f64 v[36:37], v[4:5], v[36:37]
	s_waitcnt vmcnt(8) lgkmcnt(0)
	v_mul_f64 v[69:70], v[59:60], v[40:41]
	v_mul_f64 v[40:41], v[61:62], v[40:41]
	v_add_f64 v[46:47], v[46:47], v[89:90]
	v_add_f64 v[67:68], v[67:68], v[85:86]
	v_fma_f64 v[85:86], v[4:5], v[34:35], v[91:92]
	v_fma_f64 v[89:90], v[2:3], v[34:35], -v[36:37]
	ds_load_b128 v[2:5], v1 offset:1760
	scratch_load_b128 v[34:37], off, off offset:912
	v_fma_f64 v[61:62], v[61:62], v[38:39], v[69:70]
	v_fma_f64 v[59:60], v[59:60], v[38:39], -v[40:41]
	scratch_load_b128 v[38:41], off, off offset:928
	v_add_f64 v[46:47], v[46:47], v[63:64]
	v_add_f64 v[67:68], v[67:68], v[65:66]
	ds_load_b128 v[63:66], v1 offset:1776
	s_waitcnt vmcnt(9) lgkmcnt(1)
	v_mul_f64 v[91:92], v[2:3], v[44:45]
	v_mul_f64 v[44:45], v[4:5], v[44:45]
	;; [unrolled: 18-line block ×3, first 2 shown]
	s_waitcnt vmcnt(8) lgkmcnt(0)
	v_mul_f64 v[69:70], v[59:60], v[16:17]
	v_mul_f64 v[16:17], v[61:62], v[16:17]
	v_add_f64 v[46:47], v[46:47], v[89:90]
	v_add_f64 v[67:68], v[67:68], v[85:86]
	v_fma_f64 v[85:86], v[4:5], v[10:11], v[91:92]
	v_fma_f64 v[89:90], v[2:3], v[10:11], -v[12:13]
	ds_load_b128 v[2:5], v1 offset:1824
	ds_load_b128 v[10:13], v1 offset:1840
	v_fma_f64 v[61:62], v[61:62], v[14:15], v[69:70]
	v_fma_f64 v[14:15], v[59:60], v[14:15], -v[16:17]
	v_add_f64 v[46:47], v[46:47], v[63:64]
	v_add_f64 v[63:64], v[67:68], v[65:66]
	s_waitcnt vmcnt(7) lgkmcnt(1)
	v_mul_f64 v[65:66], v[2:3], v[20:21]
	v_mul_f64 v[20:21], v[4:5], v[20:21]
	s_waitcnt vmcnt(6) lgkmcnt(0)
	v_mul_f64 v[59:60], v[10:11], v[24:25]
	v_mul_f64 v[24:25], v[12:13], v[24:25]
	v_add_f64 v[16:17], v[46:47], v[89:90]
	v_add_f64 v[46:47], v[63:64], v[85:86]
	v_fma_f64 v[63:64], v[4:5], v[18:19], v[65:66]
	v_fma_f64 v[18:19], v[2:3], v[18:19], -v[20:21]
	v_fma_f64 v[12:13], v[12:13], v[22:23], v[59:60]
	v_fma_f64 v[10:11], v[10:11], v[22:23], -v[24:25]
	v_add_f64 v[20:21], v[16:17], v[14:15]
	v_add_f64 v[46:47], v[46:47], v[61:62]
	ds_load_b128 v[2:5], v1 offset:1856
	ds_load_b128 v[14:17], v1 offset:1872
	s_waitcnt vmcnt(5) lgkmcnt(1)
	v_mul_f64 v[61:62], v[2:3], v[28:29]
	v_mul_f64 v[28:29], v[4:5], v[28:29]
	s_waitcnt vmcnt(4) lgkmcnt(0)
	v_mul_f64 v[22:23], v[14:15], v[32:33]
	v_mul_f64 v[24:25], v[16:17], v[32:33]
	v_add_f64 v[18:19], v[20:21], v[18:19]
	v_add_f64 v[20:21], v[46:47], v[63:64]
	v_fma_f64 v[32:33], v[4:5], v[26:27], v[61:62]
	v_fma_f64 v[26:27], v[2:3], v[26:27], -v[28:29]
	v_fma_f64 v[16:17], v[16:17], v[30:31], v[22:23]
	v_fma_f64 v[14:15], v[14:15], v[30:31], -v[24:25]
	v_add_f64 v[18:19], v[18:19], v[10:11]
	v_add_f64 v[20:21], v[20:21], v[12:13]
	ds_load_b128 v[2:5], v1 offset:1888
	ds_load_b128 v[10:13], v1 offset:1904
	s_waitcnt vmcnt(3) lgkmcnt(1)
	v_mul_f64 v[28:29], v[2:3], v[36:37]
	v_mul_f64 v[36:37], v[4:5], v[36:37]
	s_waitcnt vmcnt(2) lgkmcnt(0)
	v_mul_f64 v[22:23], v[10:11], v[40:41]
	v_mul_f64 v[24:25], v[12:13], v[40:41]
	v_add_f64 v[18:19], v[18:19], v[26:27]
	v_add_f64 v[20:21], v[20:21], v[32:33]
	v_fma_f64 v[26:27], v[4:5], v[34:35], v[28:29]
	v_fma_f64 v[28:29], v[2:3], v[34:35], -v[36:37]
	v_fma_f64 v[12:13], v[12:13], v[38:39], v[22:23]
	v_fma_f64 v[10:11], v[10:11], v[38:39], -v[24:25]
	v_add_f64 v[18:19], v[18:19], v[14:15]
	v_add_f64 v[20:21], v[20:21], v[16:17]
	ds_load_b128 v[2:5], v1 offset:1920
	ds_load_b128 v[14:17], v1 offset:1936
	s_waitcnt vmcnt(1) lgkmcnt(1)
	v_mul_f64 v[30:31], v[2:3], v[44:45]
	v_mul_f64 v[32:33], v[4:5], v[44:45]
	s_waitcnt vmcnt(0) lgkmcnt(0)
	v_mul_f64 v[22:23], v[14:15], v[8:9]
	v_mul_f64 v[8:9], v[16:17], v[8:9]
	v_add_f64 v[18:19], v[18:19], v[28:29]
	v_add_f64 v[20:21], v[20:21], v[26:27]
	v_fma_f64 v[4:5], v[4:5], v[42:43], v[30:31]
	v_fma_f64 v[1:2], v[2:3], v[42:43], -v[32:33]
	v_fma_f64 v[16:17], v[16:17], v[6:7], v[22:23]
	v_fma_f64 v[6:7], v[14:15], v[6:7], -v[8:9]
	v_add_f64 v[10:11], v[18:19], v[10:11]
	v_add_f64 v[12:13], v[20:21], v[12:13]
	s_delay_alu instid0(VALU_DEP_2) | instskip(NEXT) | instid1(VALU_DEP_2)
	v_add_f64 v[1:2], v[10:11], v[1:2]
	v_add_f64 v[3:4], v[12:13], v[4:5]
	s_delay_alu instid0(VALU_DEP_2) | instskip(NEXT) | instid1(VALU_DEP_2)
	;; [unrolled: 3-line block ×3, first 2 shown]
	v_add_f64 v[1:2], v[55:56], -v[1:2]
	v_add_f64 v[3:4], v[57:58], -v[3:4]
	scratch_store_b128 off, v[1:4], off offset:448
	v_cmpx_lt_u32_e32 27, v171
	s_cbranch_execz .LBB60_337
; %bb.336:
	scratch_load_b128 v[1:4], v199, off
	v_mov_b32_e32 v5, 0
	s_delay_alu instid0(VALU_DEP_1)
	v_mov_b32_e32 v6, v5
	v_mov_b32_e32 v7, v5
	;; [unrolled: 1-line block ×3, first 2 shown]
	scratch_store_b128 off, v[5:8], off offset:432
	s_waitcnt vmcnt(0)
	ds_store_b128 v229, v[1:4]
.LBB60_337:
	s_or_b32 exec_lo, exec_lo, s2
	s_waitcnt lgkmcnt(0)
	s_waitcnt_vscnt null, 0x0
	s_barrier
	buffer_gl0_inv
	s_clause 0x7
	scratch_load_b128 v[2:5], off, off offset:448
	scratch_load_b128 v[6:9], off, off offset:464
	;; [unrolled: 1-line block ×8, first 2 shown]
	v_mov_b32_e32 v1, 0
	s_mov_b32 s2, exec_lo
	ds_load_b128 v[38:41], v1 offset:1424
	s_clause 0x1
	scratch_load_b128 v[34:37], off, off offset:576
	scratch_load_b128 v[42:45], off, off offset:432
	ds_load_b128 v[55:58], v1 offset:1440
	scratch_load_b128 v[59:62], off, off offset:592
	ds_load_b128 v[63:66], v1 offset:1472
	s_waitcnt vmcnt(10) lgkmcnt(2)
	v_mul_f64 v[46:47], v[40:41], v[4:5]
	v_mul_f64 v[4:5], v[38:39], v[4:5]
	s_delay_alu instid0(VALU_DEP_2) | instskip(NEXT) | instid1(VALU_DEP_2)
	v_fma_f64 v[46:47], v[38:39], v[2:3], -v[46:47]
	v_fma_f64 v[69:70], v[40:41], v[2:3], v[4:5]
	ds_load_b128 v[2:5], v1 offset:1456
	s_waitcnt vmcnt(9) lgkmcnt(2)
	v_mul_f64 v[67:68], v[55:56], v[8:9]
	v_mul_f64 v[8:9], v[57:58], v[8:9]
	scratch_load_b128 v[38:41], off, off offset:608
	s_waitcnt vmcnt(9) lgkmcnt(0)
	v_mul_f64 v[85:86], v[2:3], v[12:13]
	v_mul_f64 v[12:13], v[4:5], v[12:13]
	v_add_f64 v[46:47], v[46:47], 0
	v_fma_f64 v[57:58], v[57:58], v[6:7], v[67:68]
	v_fma_f64 v[55:56], v[55:56], v[6:7], -v[8:9]
	v_add_f64 v[67:68], v[69:70], 0
	scratch_load_b128 v[6:9], off, off offset:624
	v_fma_f64 v[85:86], v[4:5], v[10:11], v[85:86]
	v_fma_f64 v[89:90], v[2:3], v[10:11], -v[12:13]
	scratch_load_b128 v[10:13], off, off offset:640
	ds_load_b128 v[2:5], v1 offset:1488
	s_waitcnt vmcnt(10)
	v_mul_f64 v[69:70], v[63:64], v[16:17]
	v_mul_f64 v[16:17], v[65:66], v[16:17]
	v_add_f64 v[46:47], v[46:47], v[55:56]
	v_add_f64 v[67:68], v[67:68], v[57:58]
	ds_load_b128 v[55:58], v1 offset:1504
	s_waitcnt vmcnt(9) lgkmcnt(1)
	v_mul_f64 v[91:92], v[2:3], v[20:21]
	v_mul_f64 v[20:21], v[4:5], v[20:21]
	v_fma_f64 v[65:66], v[65:66], v[14:15], v[69:70]
	v_fma_f64 v[63:64], v[63:64], v[14:15], -v[16:17]
	scratch_load_b128 v[14:17], off, off offset:656
	v_add_f64 v[46:47], v[46:47], v[89:90]
	v_add_f64 v[67:68], v[67:68], v[85:86]
	v_fma_f64 v[85:86], v[4:5], v[18:19], v[91:92]
	v_fma_f64 v[89:90], v[2:3], v[18:19], -v[20:21]
	scratch_load_b128 v[18:21], off, off offset:672
	ds_load_b128 v[2:5], v1 offset:1520
	s_waitcnt vmcnt(10) lgkmcnt(1)
	v_mul_f64 v[69:70], v[55:56], v[24:25]
	v_mul_f64 v[24:25], v[57:58], v[24:25]
	s_waitcnt vmcnt(9) lgkmcnt(0)
	v_mul_f64 v[91:92], v[2:3], v[28:29]
	v_mul_f64 v[28:29], v[4:5], v[28:29]
	v_add_f64 v[46:47], v[46:47], v[63:64]
	v_add_f64 v[67:68], v[67:68], v[65:66]
	ds_load_b128 v[63:66], v1 offset:1536
	v_fma_f64 v[57:58], v[57:58], v[22:23], v[69:70]
	v_fma_f64 v[55:56], v[55:56], v[22:23], -v[24:25]
	scratch_load_b128 v[22:25], off, off offset:688
	v_add_f64 v[46:47], v[46:47], v[89:90]
	v_add_f64 v[67:68], v[67:68], v[85:86]
	v_fma_f64 v[85:86], v[4:5], v[26:27], v[91:92]
	v_fma_f64 v[89:90], v[2:3], v[26:27], -v[28:29]
	scratch_load_b128 v[26:29], off, off offset:704
	ds_load_b128 v[2:5], v1 offset:1552
	s_waitcnt vmcnt(10) lgkmcnt(1)
	v_mul_f64 v[69:70], v[63:64], v[32:33]
	v_mul_f64 v[32:33], v[65:66], v[32:33]
	s_waitcnt vmcnt(9) lgkmcnt(0)
	v_mul_f64 v[91:92], v[2:3], v[36:37]
	v_mul_f64 v[36:37], v[4:5], v[36:37]
	v_add_f64 v[46:47], v[46:47], v[55:56]
	v_add_f64 v[67:68], v[67:68], v[57:58]
	ds_load_b128 v[55:58], v1 offset:1568
	v_fma_f64 v[65:66], v[65:66], v[30:31], v[69:70]
	v_fma_f64 v[63:64], v[63:64], v[30:31], -v[32:33]
	scratch_load_b128 v[30:33], off, off offset:720
	v_add_f64 v[46:47], v[46:47], v[89:90]
	v_add_f64 v[67:68], v[67:68], v[85:86]
	v_fma_f64 v[89:90], v[4:5], v[34:35], v[91:92]
	v_fma_f64 v[91:92], v[2:3], v[34:35], -v[36:37]
	scratch_load_b128 v[34:37], off, off offset:736
	ds_load_b128 v[2:5], v1 offset:1584
	s_waitcnt vmcnt(9) lgkmcnt(1)
	v_mul_f64 v[69:70], v[55:56], v[61:62]
	v_mul_f64 v[85:86], v[57:58], v[61:62]
	v_add_f64 v[46:47], v[46:47], v[63:64]
	v_add_f64 v[65:66], v[67:68], v[65:66]
	ds_load_b128 v[61:64], v1 offset:1600
	v_fma_f64 v[69:70], v[57:58], v[59:60], v[69:70]
	v_fma_f64 v[59:60], v[55:56], v[59:60], -v[85:86]
	scratch_load_b128 v[55:58], off, off offset:752
	s_waitcnt vmcnt(9) lgkmcnt(1)
	v_mul_f64 v[67:68], v[2:3], v[40:41]
	v_mul_f64 v[40:41], v[4:5], v[40:41]
	v_add_f64 v[46:47], v[46:47], v[91:92]
	v_add_f64 v[65:66], v[65:66], v[89:90]
	s_delay_alu instid0(VALU_DEP_4) | instskip(NEXT) | instid1(VALU_DEP_4)
	v_fma_f64 v[89:90], v[4:5], v[38:39], v[67:68]
	v_fma_f64 v[91:92], v[2:3], v[38:39], -v[40:41]
	scratch_load_b128 v[38:41], off, off offset:768
	ds_load_b128 v[2:5], v1 offset:1616
	s_waitcnt vmcnt(9) lgkmcnt(1)
	v_mul_f64 v[85:86], v[61:62], v[8:9]
	v_mul_f64 v[8:9], v[63:64], v[8:9]
	v_add_f64 v[46:47], v[46:47], v[59:60]
	v_add_f64 v[59:60], v[65:66], v[69:70]
	s_waitcnt vmcnt(8) lgkmcnt(0)
	v_mul_f64 v[69:70], v[2:3], v[12:13]
	v_mul_f64 v[12:13], v[4:5], v[12:13]
	ds_load_b128 v[65:68], v1 offset:1632
	v_fma_f64 v[63:64], v[63:64], v[6:7], v[85:86]
	v_fma_f64 v[61:62], v[61:62], v[6:7], -v[8:9]
	scratch_load_b128 v[6:9], off, off offset:784
	v_add_f64 v[46:47], v[46:47], v[91:92]
	v_add_f64 v[59:60], v[59:60], v[89:90]
	v_fma_f64 v[69:70], v[4:5], v[10:11], v[69:70]
	v_fma_f64 v[89:90], v[2:3], v[10:11], -v[12:13]
	scratch_load_b128 v[10:13], off, off offset:800
	ds_load_b128 v[2:5], v1 offset:1648
	s_waitcnt vmcnt(9) lgkmcnt(1)
	v_mul_f64 v[85:86], v[65:66], v[16:17]
	v_mul_f64 v[16:17], v[67:68], v[16:17]
	s_waitcnt vmcnt(8) lgkmcnt(0)
	v_mul_f64 v[91:92], v[2:3], v[20:21]
	v_mul_f64 v[20:21], v[4:5], v[20:21]
	v_add_f64 v[46:47], v[46:47], v[61:62]
	v_add_f64 v[63:64], v[59:60], v[63:64]
	ds_load_b128 v[59:62], v1 offset:1664
	v_fma_f64 v[67:68], v[67:68], v[14:15], v[85:86]
	v_fma_f64 v[65:66], v[65:66], v[14:15], -v[16:17]
	scratch_load_b128 v[14:17], off, off offset:816
	v_fma_f64 v[85:86], v[4:5], v[18:19], v[91:92]
	v_add_f64 v[46:47], v[46:47], v[89:90]
	v_add_f64 v[63:64], v[63:64], v[69:70]
	v_fma_f64 v[89:90], v[2:3], v[18:19], -v[20:21]
	scratch_load_b128 v[18:21], off, off offset:832
	ds_load_b128 v[2:5], v1 offset:1680
	s_waitcnt vmcnt(9) lgkmcnt(1)
	v_mul_f64 v[69:70], v[59:60], v[24:25]
	v_mul_f64 v[24:25], v[61:62], v[24:25]
	s_waitcnt vmcnt(8) lgkmcnt(0)
	v_mul_f64 v[91:92], v[2:3], v[28:29]
	v_mul_f64 v[28:29], v[4:5], v[28:29]
	v_add_f64 v[46:47], v[46:47], v[65:66]
	v_add_f64 v[67:68], v[63:64], v[67:68]
	ds_load_b128 v[63:66], v1 offset:1696
	v_fma_f64 v[61:62], v[61:62], v[22:23], v[69:70]
	v_fma_f64 v[59:60], v[59:60], v[22:23], -v[24:25]
	scratch_load_b128 v[22:25], off, off offset:848
	v_add_f64 v[46:47], v[46:47], v[89:90]
	v_add_f64 v[67:68], v[67:68], v[85:86]
	v_fma_f64 v[85:86], v[4:5], v[26:27], v[91:92]
	v_fma_f64 v[89:90], v[2:3], v[26:27], -v[28:29]
	scratch_load_b128 v[26:29], off, off offset:864
	ds_load_b128 v[2:5], v1 offset:1712
	s_waitcnt vmcnt(9) lgkmcnt(1)
	v_mul_f64 v[69:70], v[63:64], v[32:33]
	v_mul_f64 v[32:33], v[65:66], v[32:33]
	s_waitcnt vmcnt(8) lgkmcnt(0)
	v_mul_f64 v[91:92], v[2:3], v[36:37]
	v_mul_f64 v[36:37], v[4:5], v[36:37]
	v_add_f64 v[46:47], v[46:47], v[59:60]
	v_add_f64 v[67:68], v[67:68], v[61:62]
	ds_load_b128 v[59:62], v1 offset:1728
	v_fma_f64 v[65:66], v[65:66], v[30:31], v[69:70]
	v_fma_f64 v[63:64], v[63:64], v[30:31], -v[32:33]
	scratch_load_b128 v[30:33], off, off offset:880
	v_add_f64 v[46:47], v[46:47], v[89:90]
	v_add_f64 v[67:68], v[67:68], v[85:86]
	v_fma_f64 v[85:86], v[4:5], v[34:35], v[91:92]
	;; [unrolled: 18-line block ×4, first 2 shown]
	v_fma_f64 v[89:90], v[2:3], v[10:11], -v[12:13]
	scratch_load_b128 v[10:13], off, off offset:960
	ds_load_b128 v[2:5], v1 offset:1808
	s_waitcnt vmcnt(9) lgkmcnt(1)
	v_mul_f64 v[69:70], v[59:60], v[16:17]
	v_mul_f64 v[16:17], v[61:62], v[16:17]
	s_waitcnt vmcnt(8) lgkmcnt(0)
	v_mul_f64 v[91:92], v[2:3], v[20:21]
	v_mul_f64 v[20:21], v[4:5], v[20:21]
	v_add_f64 v[46:47], v[46:47], v[63:64]
	v_add_f64 v[67:68], v[67:68], v[65:66]
	ds_load_b128 v[63:66], v1 offset:1824
	v_fma_f64 v[61:62], v[61:62], v[14:15], v[69:70]
	v_fma_f64 v[14:15], v[59:60], v[14:15], -v[16:17]
	s_waitcnt vmcnt(7) lgkmcnt(0)
	v_mul_f64 v[59:60], v[63:64], v[24:25]
	v_mul_f64 v[24:25], v[65:66], v[24:25]
	v_add_f64 v[16:17], v[46:47], v[89:90]
	v_add_f64 v[46:47], v[67:68], v[85:86]
	v_fma_f64 v[67:68], v[4:5], v[18:19], v[91:92]
	v_fma_f64 v[18:19], v[2:3], v[18:19], -v[20:21]
	v_fma_f64 v[59:60], v[65:66], v[22:23], v[59:60]
	v_fma_f64 v[22:23], v[63:64], v[22:23], -v[24:25]
	v_add_f64 v[20:21], v[16:17], v[14:15]
	v_add_f64 v[46:47], v[46:47], v[61:62]
	ds_load_b128 v[2:5], v1 offset:1840
	ds_load_b128 v[14:17], v1 offset:1856
	s_waitcnt vmcnt(6) lgkmcnt(1)
	v_mul_f64 v[61:62], v[2:3], v[28:29]
	v_mul_f64 v[28:29], v[4:5], v[28:29]
	s_waitcnt vmcnt(5) lgkmcnt(0)
	v_mul_f64 v[24:25], v[14:15], v[32:33]
	v_mul_f64 v[32:33], v[16:17], v[32:33]
	v_add_f64 v[18:19], v[20:21], v[18:19]
	v_add_f64 v[20:21], v[46:47], v[67:68]
	v_fma_f64 v[46:47], v[4:5], v[26:27], v[61:62]
	v_fma_f64 v[26:27], v[2:3], v[26:27], -v[28:29]
	v_fma_f64 v[16:17], v[16:17], v[30:31], v[24:25]
	v_fma_f64 v[14:15], v[14:15], v[30:31], -v[32:33]
	v_add_f64 v[22:23], v[18:19], v[22:23]
	v_add_f64 v[28:29], v[20:21], v[59:60]
	ds_load_b128 v[2:5], v1 offset:1872
	ds_load_b128 v[18:21], v1 offset:1888
	s_waitcnt vmcnt(4) lgkmcnt(1)
	v_mul_f64 v[59:60], v[2:3], v[36:37]
	v_mul_f64 v[36:37], v[4:5], v[36:37]
	v_add_f64 v[22:23], v[22:23], v[26:27]
	v_add_f64 v[24:25], v[28:29], v[46:47]
	s_waitcnt vmcnt(3) lgkmcnt(0)
	v_mul_f64 v[26:27], v[18:19], v[57:58]
	v_mul_f64 v[28:29], v[20:21], v[57:58]
	v_fma_f64 v[30:31], v[4:5], v[34:35], v[59:60]
	v_fma_f64 v[32:33], v[2:3], v[34:35], -v[36:37]
	v_add_f64 v[22:23], v[22:23], v[14:15]
	v_add_f64 v[24:25], v[24:25], v[16:17]
	ds_load_b128 v[2:5], v1 offset:1904
	ds_load_b128 v[14:17], v1 offset:1920
	v_fma_f64 v[20:21], v[20:21], v[55:56], v[26:27]
	v_fma_f64 v[18:19], v[18:19], v[55:56], -v[28:29]
	s_waitcnt vmcnt(2) lgkmcnt(1)
	v_mul_f64 v[34:35], v[2:3], v[40:41]
	v_mul_f64 v[36:37], v[4:5], v[40:41]
	s_waitcnt vmcnt(1) lgkmcnt(0)
	v_mul_f64 v[26:27], v[14:15], v[8:9]
	v_mul_f64 v[8:9], v[16:17], v[8:9]
	v_add_f64 v[22:23], v[22:23], v[32:33]
	v_add_f64 v[24:25], v[24:25], v[30:31]
	v_fma_f64 v[28:29], v[4:5], v[38:39], v[34:35]
	v_fma_f64 v[30:31], v[2:3], v[38:39], -v[36:37]
	ds_load_b128 v[2:5], v1 offset:1936
	v_fma_f64 v[16:17], v[16:17], v[6:7], v[26:27]
	v_fma_f64 v[6:7], v[14:15], v[6:7], -v[8:9]
	v_add_f64 v[18:19], v[22:23], v[18:19]
	v_add_f64 v[20:21], v[24:25], v[20:21]
	s_waitcnt vmcnt(0) lgkmcnt(0)
	v_mul_f64 v[22:23], v[2:3], v[12:13]
	v_mul_f64 v[12:13], v[4:5], v[12:13]
	s_delay_alu instid0(VALU_DEP_4) | instskip(NEXT) | instid1(VALU_DEP_4)
	v_add_f64 v[8:9], v[18:19], v[30:31]
	v_add_f64 v[14:15], v[20:21], v[28:29]
	s_delay_alu instid0(VALU_DEP_4) | instskip(NEXT) | instid1(VALU_DEP_4)
	v_fma_f64 v[4:5], v[4:5], v[10:11], v[22:23]
	v_fma_f64 v[2:3], v[2:3], v[10:11], -v[12:13]
	s_delay_alu instid0(VALU_DEP_4) | instskip(NEXT) | instid1(VALU_DEP_4)
	v_add_f64 v[6:7], v[8:9], v[6:7]
	v_add_f64 v[8:9], v[14:15], v[16:17]
	s_delay_alu instid0(VALU_DEP_2) | instskip(NEXT) | instid1(VALU_DEP_2)
	v_add_f64 v[2:3], v[6:7], v[2:3]
	v_add_f64 v[4:5], v[8:9], v[4:5]
	s_delay_alu instid0(VALU_DEP_2) | instskip(NEXT) | instid1(VALU_DEP_2)
	v_add_f64 v[2:3], v[42:43], -v[2:3]
	v_add_f64 v[4:5], v[44:45], -v[4:5]
	scratch_store_b128 off, v[2:5], off offset:432
	v_cmpx_lt_u32_e32 26, v171
	s_cbranch_execz .LBB60_339
; %bb.338:
	scratch_load_b128 v[5:8], v225, off
	v_mov_b32_e32 v2, v1
	v_mov_b32_e32 v3, v1
	;; [unrolled: 1-line block ×3, first 2 shown]
	scratch_store_b128 off, v[1:4], off offset:416
	s_waitcnt vmcnt(0)
	ds_store_b128 v229, v[5:8]
.LBB60_339:
	s_or_b32 exec_lo, exec_lo, s2
	s_waitcnt lgkmcnt(0)
	s_waitcnt_vscnt null, 0x0
	s_barrier
	buffer_gl0_inv
	s_clause 0x8
	scratch_load_b128 v[2:5], off, off offset:432
	scratch_load_b128 v[6:9], off, off offset:448
	;; [unrolled: 1-line block ×9, first 2 shown]
	ds_load_b128 v[42:45], v1 offset:1408
	ds_load_b128 v[38:41], v1 offset:1424
	s_clause 0x1
	scratch_load_b128 v[55:58], off, off offset:416
	scratch_load_b128 v[59:62], off, off offset:576
	s_mov_b32 s2, exec_lo
	ds_load_b128 v[63:66], v1 offset:1456
	s_waitcnt vmcnt(10) lgkmcnt(2)
	v_mul_f64 v[46:47], v[44:45], v[4:5]
	v_mul_f64 v[4:5], v[42:43], v[4:5]
	s_waitcnt vmcnt(9) lgkmcnt(1)
	v_mul_f64 v[67:68], v[38:39], v[8:9]
	v_mul_f64 v[8:9], v[40:41], v[8:9]
	s_delay_alu instid0(VALU_DEP_4) | instskip(NEXT) | instid1(VALU_DEP_4)
	v_fma_f64 v[46:47], v[42:43], v[2:3], -v[46:47]
	v_fma_f64 v[69:70], v[44:45], v[2:3], v[4:5]
	ds_load_b128 v[2:5], v1 offset:1440
	scratch_load_b128 v[42:45], off, off offset:592
	v_fma_f64 v[40:41], v[40:41], v[6:7], v[67:68]
	v_fma_f64 v[38:39], v[38:39], v[6:7], -v[8:9]
	scratch_load_b128 v[6:9], off, off offset:608
	s_waitcnt vmcnt(10) lgkmcnt(0)
	v_mul_f64 v[85:86], v[2:3], v[12:13]
	v_mul_f64 v[12:13], v[4:5], v[12:13]
	v_add_f64 v[46:47], v[46:47], 0
	v_add_f64 v[67:68], v[69:70], 0
	s_waitcnt vmcnt(9)
	v_mul_f64 v[69:70], v[63:64], v[16:17]
	v_mul_f64 v[16:17], v[65:66], v[16:17]
	v_fma_f64 v[85:86], v[4:5], v[10:11], v[85:86]
	v_fma_f64 v[89:90], v[2:3], v[10:11], -v[12:13]
	ds_load_b128 v[2:5], v1 offset:1472
	scratch_load_b128 v[10:13], off, off offset:624
	v_add_f64 v[46:47], v[46:47], v[38:39]
	v_add_f64 v[67:68], v[67:68], v[40:41]
	ds_load_b128 v[38:41], v1 offset:1488
	v_fma_f64 v[65:66], v[65:66], v[14:15], v[69:70]
	v_fma_f64 v[63:64], v[63:64], v[14:15], -v[16:17]
	scratch_load_b128 v[14:17], off, off offset:640
	s_waitcnt vmcnt(10) lgkmcnt(1)
	v_mul_f64 v[91:92], v[2:3], v[20:21]
	v_mul_f64 v[20:21], v[4:5], v[20:21]
	s_waitcnt vmcnt(9) lgkmcnt(0)
	v_mul_f64 v[69:70], v[38:39], v[24:25]
	v_mul_f64 v[24:25], v[40:41], v[24:25]
	v_add_f64 v[46:47], v[46:47], v[89:90]
	v_add_f64 v[67:68], v[67:68], v[85:86]
	v_fma_f64 v[85:86], v[4:5], v[18:19], v[91:92]
	v_fma_f64 v[89:90], v[2:3], v[18:19], -v[20:21]
	ds_load_b128 v[2:5], v1 offset:1504
	scratch_load_b128 v[18:21], off, off offset:656
	v_fma_f64 v[40:41], v[40:41], v[22:23], v[69:70]
	v_fma_f64 v[38:39], v[38:39], v[22:23], -v[24:25]
	scratch_load_b128 v[22:25], off, off offset:672
	v_add_f64 v[46:47], v[46:47], v[63:64]
	v_add_f64 v[67:68], v[67:68], v[65:66]
	ds_load_b128 v[63:66], v1 offset:1520
	s_waitcnt vmcnt(10) lgkmcnt(1)
	v_mul_f64 v[91:92], v[2:3], v[28:29]
	v_mul_f64 v[28:29], v[4:5], v[28:29]
	s_waitcnt vmcnt(9) lgkmcnt(0)
	v_mul_f64 v[69:70], v[63:64], v[32:33]
	v_mul_f64 v[32:33], v[65:66], v[32:33]
	v_add_f64 v[46:47], v[46:47], v[89:90]
	v_add_f64 v[67:68], v[67:68], v[85:86]
	v_fma_f64 v[85:86], v[4:5], v[26:27], v[91:92]
	v_fma_f64 v[89:90], v[2:3], v[26:27], -v[28:29]
	ds_load_b128 v[2:5], v1 offset:1536
	scratch_load_b128 v[26:29], off, off offset:688
	v_fma_f64 v[65:66], v[65:66], v[30:31], v[69:70]
	v_fma_f64 v[63:64], v[63:64], v[30:31], -v[32:33]
	scratch_load_b128 v[30:33], off, off offset:704
	v_add_f64 v[46:47], v[46:47], v[38:39]
	v_add_f64 v[67:68], v[67:68], v[40:41]
	ds_load_b128 v[38:41], v1 offset:1552
	s_waitcnt vmcnt(10) lgkmcnt(1)
	v_mul_f64 v[91:92], v[2:3], v[36:37]
	v_mul_f64 v[36:37], v[4:5], v[36:37]
	s_waitcnt vmcnt(8) lgkmcnt(0)
	v_mul_f64 v[69:70], v[38:39], v[61:62]
	v_add_f64 v[46:47], v[46:47], v[89:90]
	v_add_f64 v[67:68], v[67:68], v[85:86]
	v_mul_f64 v[85:86], v[40:41], v[61:62]
	v_fma_f64 v[89:90], v[4:5], v[34:35], v[91:92]
	v_fma_f64 v[91:92], v[2:3], v[34:35], -v[36:37]
	ds_load_b128 v[2:5], v1 offset:1568
	scratch_load_b128 v[34:37], off, off offset:720
	v_fma_f64 v[69:70], v[40:41], v[59:60], v[69:70]
	v_add_f64 v[46:47], v[46:47], v[63:64]
	v_add_f64 v[65:66], v[67:68], v[65:66]
	ds_load_b128 v[61:64], v1 offset:1584
	v_fma_f64 v[59:60], v[38:39], v[59:60], -v[85:86]
	scratch_load_b128 v[38:41], off, off offset:736
	s_waitcnt vmcnt(9) lgkmcnt(1)
	v_mul_f64 v[67:68], v[2:3], v[44:45]
	v_mul_f64 v[44:45], v[4:5], v[44:45]
	s_waitcnt vmcnt(8) lgkmcnt(0)
	v_mul_f64 v[85:86], v[61:62], v[8:9]
	v_mul_f64 v[8:9], v[63:64], v[8:9]
	v_add_f64 v[46:47], v[46:47], v[91:92]
	v_add_f64 v[65:66], v[65:66], v[89:90]
	v_fma_f64 v[89:90], v[4:5], v[42:43], v[67:68]
	v_fma_f64 v[91:92], v[2:3], v[42:43], -v[44:45]
	ds_load_b128 v[2:5], v1 offset:1600
	scratch_load_b128 v[42:45], off, off offset:752
	v_fma_f64 v[63:64], v[63:64], v[6:7], v[85:86]
	v_fma_f64 v[61:62], v[61:62], v[6:7], -v[8:9]
	scratch_load_b128 v[6:9], off, off offset:768
	v_add_f64 v[46:47], v[46:47], v[59:60]
	v_add_f64 v[59:60], v[65:66], v[69:70]
	ds_load_b128 v[65:68], v1 offset:1616
	s_waitcnt vmcnt(9) lgkmcnt(1)
	v_mul_f64 v[69:70], v[2:3], v[12:13]
	v_mul_f64 v[12:13], v[4:5], v[12:13]
	s_waitcnt vmcnt(8) lgkmcnt(0)
	v_mul_f64 v[85:86], v[65:66], v[16:17]
	v_mul_f64 v[16:17], v[67:68], v[16:17]
	v_add_f64 v[46:47], v[46:47], v[91:92]
	v_add_f64 v[59:60], v[59:60], v[89:90]
	v_fma_f64 v[69:70], v[4:5], v[10:11], v[69:70]
	v_fma_f64 v[89:90], v[2:3], v[10:11], -v[12:13]
	ds_load_b128 v[2:5], v1 offset:1632
	scratch_load_b128 v[10:13], off, off offset:784
	v_fma_f64 v[67:68], v[67:68], v[14:15], v[85:86]
	v_fma_f64 v[65:66], v[65:66], v[14:15], -v[16:17]
	scratch_load_b128 v[14:17], off, off offset:800
	v_add_f64 v[46:47], v[46:47], v[61:62]
	v_add_f64 v[63:64], v[59:60], v[63:64]
	ds_load_b128 v[59:62], v1 offset:1648
	s_waitcnt vmcnt(9) lgkmcnt(1)
	v_mul_f64 v[91:92], v[2:3], v[20:21]
	v_mul_f64 v[20:21], v[4:5], v[20:21]
	v_add_f64 v[46:47], v[46:47], v[89:90]
	v_add_f64 v[63:64], v[63:64], v[69:70]
	s_waitcnt vmcnt(8) lgkmcnt(0)
	v_mul_f64 v[69:70], v[59:60], v[24:25]
	v_mul_f64 v[24:25], v[61:62], v[24:25]
	v_fma_f64 v[85:86], v[4:5], v[18:19], v[91:92]
	v_fma_f64 v[89:90], v[2:3], v[18:19], -v[20:21]
	ds_load_b128 v[2:5], v1 offset:1664
	scratch_load_b128 v[18:21], off, off offset:816
	v_add_f64 v[46:47], v[46:47], v[65:66]
	v_add_f64 v[67:68], v[63:64], v[67:68]
	ds_load_b128 v[63:66], v1 offset:1680
	s_waitcnt vmcnt(8) lgkmcnt(1)
	v_mul_f64 v[91:92], v[2:3], v[28:29]
	v_mul_f64 v[28:29], v[4:5], v[28:29]
	v_fma_f64 v[61:62], v[61:62], v[22:23], v[69:70]
	v_fma_f64 v[59:60], v[59:60], v[22:23], -v[24:25]
	scratch_load_b128 v[22:25], off, off offset:832
	s_waitcnt vmcnt(8) lgkmcnt(0)
	v_mul_f64 v[69:70], v[63:64], v[32:33]
	v_mul_f64 v[32:33], v[65:66], v[32:33]
	v_add_f64 v[46:47], v[46:47], v[89:90]
	v_add_f64 v[67:68], v[67:68], v[85:86]
	v_fma_f64 v[85:86], v[4:5], v[26:27], v[91:92]
	v_fma_f64 v[89:90], v[2:3], v[26:27], -v[28:29]
	ds_load_b128 v[2:5], v1 offset:1696
	scratch_load_b128 v[26:29], off, off offset:848
	v_fma_f64 v[65:66], v[65:66], v[30:31], v[69:70]
	v_fma_f64 v[63:64], v[63:64], v[30:31], -v[32:33]
	scratch_load_b128 v[30:33], off, off offset:864
	v_add_f64 v[46:47], v[46:47], v[59:60]
	v_add_f64 v[67:68], v[67:68], v[61:62]
	ds_load_b128 v[59:62], v1 offset:1712
	s_waitcnt vmcnt(9) lgkmcnt(1)
	v_mul_f64 v[91:92], v[2:3], v[36:37]
	v_mul_f64 v[36:37], v[4:5], v[36:37]
	s_waitcnt vmcnt(8) lgkmcnt(0)
	v_mul_f64 v[69:70], v[59:60], v[40:41]
	v_mul_f64 v[40:41], v[61:62], v[40:41]
	v_add_f64 v[46:47], v[46:47], v[89:90]
	v_add_f64 v[67:68], v[67:68], v[85:86]
	v_fma_f64 v[85:86], v[4:5], v[34:35], v[91:92]
	v_fma_f64 v[89:90], v[2:3], v[34:35], -v[36:37]
	ds_load_b128 v[2:5], v1 offset:1728
	scratch_load_b128 v[34:37], off, off offset:880
	v_fma_f64 v[61:62], v[61:62], v[38:39], v[69:70]
	v_fma_f64 v[59:60], v[59:60], v[38:39], -v[40:41]
	scratch_load_b128 v[38:41], off, off offset:896
	v_add_f64 v[46:47], v[46:47], v[63:64]
	v_add_f64 v[67:68], v[67:68], v[65:66]
	ds_load_b128 v[63:66], v1 offset:1744
	s_waitcnt vmcnt(9) lgkmcnt(1)
	v_mul_f64 v[91:92], v[2:3], v[44:45]
	v_mul_f64 v[44:45], v[4:5], v[44:45]
	s_waitcnt vmcnt(8) lgkmcnt(0)
	v_mul_f64 v[69:70], v[63:64], v[8:9]
	v_mul_f64 v[8:9], v[65:66], v[8:9]
	v_add_f64 v[46:47], v[46:47], v[89:90]
	v_add_f64 v[67:68], v[67:68], v[85:86]
	v_fma_f64 v[85:86], v[4:5], v[42:43], v[91:92]
	v_fma_f64 v[89:90], v[2:3], v[42:43], -v[44:45]
	ds_load_b128 v[2:5], v1 offset:1760
	scratch_load_b128 v[42:45], off, off offset:912
	v_fma_f64 v[65:66], v[65:66], v[6:7], v[69:70]
	v_fma_f64 v[63:64], v[63:64], v[6:7], -v[8:9]
	scratch_load_b128 v[6:9], off, off offset:928
	v_add_f64 v[46:47], v[46:47], v[59:60]
	v_add_f64 v[67:68], v[67:68], v[61:62]
	ds_load_b128 v[59:62], v1 offset:1776
	s_waitcnt vmcnt(9) lgkmcnt(1)
	v_mul_f64 v[91:92], v[2:3], v[12:13]
	v_mul_f64 v[12:13], v[4:5], v[12:13]
	s_waitcnt vmcnt(8) lgkmcnt(0)
	v_mul_f64 v[69:70], v[59:60], v[16:17]
	v_mul_f64 v[16:17], v[61:62], v[16:17]
	v_add_f64 v[46:47], v[46:47], v[89:90]
	v_add_f64 v[67:68], v[67:68], v[85:86]
	v_fma_f64 v[85:86], v[4:5], v[10:11], v[91:92]
	v_fma_f64 v[89:90], v[2:3], v[10:11], -v[12:13]
	ds_load_b128 v[2:5], v1 offset:1792
	scratch_load_b128 v[10:13], off, off offset:944
	v_fma_f64 v[61:62], v[61:62], v[14:15], v[69:70]
	v_fma_f64 v[59:60], v[59:60], v[14:15], -v[16:17]
	scratch_load_b128 v[14:17], off, off offset:960
	v_add_f64 v[46:47], v[46:47], v[63:64]
	v_add_f64 v[67:68], v[67:68], v[65:66]
	ds_load_b128 v[63:66], v1 offset:1808
	s_waitcnt vmcnt(9) lgkmcnt(1)
	v_mul_f64 v[91:92], v[2:3], v[20:21]
	v_mul_f64 v[20:21], v[4:5], v[20:21]
	s_waitcnt vmcnt(8) lgkmcnt(0)
	v_mul_f64 v[69:70], v[63:64], v[24:25]
	v_mul_f64 v[24:25], v[65:66], v[24:25]
	v_add_f64 v[46:47], v[46:47], v[89:90]
	v_add_f64 v[67:68], v[67:68], v[85:86]
	v_fma_f64 v[85:86], v[4:5], v[18:19], v[91:92]
	v_fma_f64 v[89:90], v[2:3], v[18:19], -v[20:21]
	ds_load_b128 v[2:5], v1 offset:1824
	ds_load_b128 v[18:21], v1 offset:1840
	v_fma_f64 v[65:66], v[65:66], v[22:23], v[69:70]
	v_fma_f64 v[22:23], v[63:64], v[22:23], -v[24:25]
	v_add_f64 v[46:47], v[46:47], v[59:60]
	v_add_f64 v[59:60], v[67:68], v[61:62]
	s_waitcnt vmcnt(7) lgkmcnt(1)
	v_mul_f64 v[61:62], v[2:3], v[28:29]
	v_mul_f64 v[28:29], v[4:5], v[28:29]
	s_delay_alu instid0(VALU_DEP_4) | instskip(NEXT) | instid1(VALU_DEP_4)
	v_add_f64 v[24:25], v[46:47], v[89:90]
	v_add_f64 v[46:47], v[59:60], v[85:86]
	s_waitcnt vmcnt(6) lgkmcnt(0)
	v_mul_f64 v[59:60], v[18:19], v[32:33]
	v_mul_f64 v[32:33], v[20:21], v[32:33]
	v_fma_f64 v[61:62], v[4:5], v[26:27], v[61:62]
	v_fma_f64 v[26:27], v[2:3], v[26:27], -v[28:29]
	v_add_f64 v[28:29], v[24:25], v[22:23]
	v_add_f64 v[46:47], v[46:47], v[65:66]
	ds_load_b128 v[2:5], v1 offset:1856
	ds_load_b128 v[22:25], v1 offset:1872
	v_fma_f64 v[20:21], v[20:21], v[30:31], v[59:60]
	v_fma_f64 v[18:19], v[18:19], v[30:31], -v[32:33]
	s_waitcnt vmcnt(5) lgkmcnt(1)
	v_mul_f64 v[63:64], v[2:3], v[36:37]
	v_mul_f64 v[36:37], v[4:5], v[36:37]
	s_waitcnt vmcnt(4) lgkmcnt(0)
	v_mul_f64 v[30:31], v[22:23], v[40:41]
	v_mul_f64 v[32:33], v[24:25], v[40:41]
	v_add_f64 v[26:27], v[28:29], v[26:27]
	v_add_f64 v[28:29], v[46:47], v[61:62]
	v_fma_f64 v[40:41], v[4:5], v[34:35], v[63:64]
	v_fma_f64 v[34:35], v[2:3], v[34:35], -v[36:37]
	v_fma_f64 v[24:25], v[24:25], v[38:39], v[30:31]
	v_fma_f64 v[22:23], v[22:23], v[38:39], -v[32:33]
	v_add_f64 v[26:27], v[26:27], v[18:19]
	v_add_f64 v[28:29], v[28:29], v[20:21]
	ds_load_b128 v[2:5], v1 offset:1888
	ds_load_b128 v[18:21], v1 offset:1904
	s_waitcnt vmcnt(3) lgkmcnt(1)
	v_mul_f64 v[36:37], v[2:3], v[44:45]
	v_mul_f64 v[44:45], v[4:5], v[44:45]
	s_waitcnt vmcnt(2) lgkmcnt(0)
	v_mul_f64 v[30:31], v[18:19], v[8:9]
	v_mul_f64 v[8:9], v[20:21], v[8:9]
	v_add_f64 v[26:27], v[26:27], v[34:35]
	v_add_f64 v[28:29], v[28:29], v[40:41]
	v_fma_f64 v[32:33], v[4:5], v[42:43], v[36:37]
	v_fma_f64 v[34:35], v[2:3], v[42:43], -v[44:45]
	v_fma_f64 v[20:21], v[20:21], v[6:7], v[30:31]
	v_fma_f64 v[6:7], v[18:19], v[6:7], -v[8:9]
	v_add_f64 v[26:27], v[26:27], v[22:23]
	v_add_f64 v[28:29], v[28:29], v[24:25]
	ds_load_b128 v[2:5], v1 offset:1920
	ds_load_b128 v[22:25], v1 offset:1936
	s_waitcnt vmcnt(1) lgkmcnt(1)
	v_mul_f64 v[36:37], v[2:3], v[12:13]
	v_mul_f64 v[12:13], v[4:5], v[12:13]
	v_add_f64 v[8:9], v[26:27], v[34:35]
	v_add_f64 v[18:19], v[28:29], v[32:33]
	s_waitcnt vmcnt(0) lgkmcnt(0)
	v_mul_f64 v[26:27], v[22:23], v[16:17]
	v_mul_f64 v[16:17], v[24:25], v[16:17]
	v_fma_f64 v[4:5], v[4:5], v[10:11], v[36:37]
	v_fma_f64 v[1:2], v[2:3], v[10:11], -v[12:13]
	v_add_f64 v[6:7], v[8:9], v[6:7]
	v_add_f64 v[8:9], v[18:19], v[20:21]
	v_fma_f64 v[10:11], v[24:25], v[14:15], v[26:27]
	v_fma_f64 v[12:13], v[22:23], v[14:15], -v[16:17]
	s_delay_alu instid0(VALU_DEP_4) | instskip(NEXT) | instid1(VALU_DEP_4)
	v_add_f64 v[1:2], v[6:7], v[1:2]
	v_add_f64 v[3:4], v[8:9], v[4:5]
	s_delay_alu instid0(VALU_DEP_2) | instskip(NEXT) | instid1(VALU_DEP_2)
	v_add_f64 v[1:2], v[1:2], v[12:13]
	v_add_f64 v[3:4], v[3:4], v[10:11]
	s_delay_alu instid0(VALU_DEP_2) | instskip(NEXT) | instid1(VALU_DEP_2)
	v_add_f64 v[1:2], v[55:56], -v[1:2]
	v_add_f64 v[3:4], v[57:58], -v[3:4]
	scratch_store_b128 off, v[1:4], off offset:416
	v_cmpx_lt_u32_e32 25, v171
	s_cbranch_execz .LBB60_341
; %bb.340:
	scratch_load_b128 v[1:4], v226, off
	v_mov_b32_e32 v5, 0
	s_delay_alu instid0(VALU_DEP_1)
	v_mov_b32_e32 v6, v5
	v_mov_b32_e32 v7, v5
	;; [unrolled: 1-line block ×3, first 2 shown]
	scratch_store_b128 off, v[5:8], off offset:400
	s_waitcnt vmcnt(0)
	ds_store_b128 v229, v[1:4]
.LBB60_341:
	s_or_b32 exec_lo, exec_lo, s2
	s_waitcnt lgkmcnt(0)
	s_waitcnt_vscnt null, 0x0
	s_barrier
	buffer_gl0_inv
	s_clause 0x7
	scratch_load_b128 v[2:5], off, off offset:416
	scratch_load_b128 v[6:9], off, off offset:432
	;; [unrolled: 1-line block ×8, first 2 shown]
	v_mov_b32_e32 v1, 0
	s_mov_b32 s2, exec_lo
	ds_load_b128 v[38:41], v1 offset:1392
	s_clause 0x1
	scratch_load_b128 v[34:37], off, off offset:544
	scratch_load_b128 v[42:45], off, off offset:400
	ds_load_b128 v[55:58], v1 offset:1408
	scratch_load_b128 v[59:62], off, off offset:560
	ds_load_b128 v[63:66], v1 offset:1440
	s_waitcnt vmcnt(10) lgkmcnt(2)
	v_mul_f64 v[46:47], v[40:41], v[4:5]
	v_mul_f64 v[4:5], v[38:39], v[4:5]
	s_delay_alu instid0(VALU_DEP_2) | instskip(NEXT) | instid1(VALU_DEP_2)
	v_fma_f64 v[46:47], v[38:39], v[2:3], -v[46:47]
	v_fma_f64 v[69:70], v[40:41], v[2:3], v[4:5]
	ds_load_b128 v[2:5], v1 offset:1424
	s_waitcnt vmcnt(9) lgkmcnt(2)
	v_mul_f64 v[67:68], v[55:56], v[8:9]
	v_mul_f64 v[8:9], v[57:58], v[8:9]
	scratch_load_b128 v[38:41], off, off offset:576
	s_waitcnt vmcnt(9) lgkmcnt(0)
	v_mul_f64 v[85:86], v[2:3], v[12:13]
	v_mul_f64 v[12:13], v[4:5], v[12:13]
	v_add_f64 v[46:47], v[46:47], 0
	v_fma_f64 v[57:58], v[57:58], v[6:7], v[67:68]
	v_fma_f64 v[55:56], v[55:56], v[6:7], -v[8:9]
	v_add_f64 v[67:68], v[69:70], 0
	scratch_load_b128 v[6:9], off, off offset:592
	v_fma_f64 v[85:86], v[4:5], v[10:11], v[85:86]
	v_fma_f64 v[89:90], v[2:3], v[10:11], -v[12:13]
	scratch_load_b128 v[10:13], off, off offset:608
	ds_load_b128 v[2:5], v1 offset:1456
	s_waitcnt vmcnt(10)
	v_mul_f64 v[69:70], v[63:64], v[16:17]
	v_mul_f64 v[16:17], v[65:66], v[16:17]
	v_add_f64 v[46:47], v[46:47], v[55:56]
	v_add_f64 v[67:68], v[67:68], v[57:58]
	ds_load_b128 v[55:58], v1 offset:1472
	s_waitcnt vmcnt(9) lgkmcnt(1)
	v_mul_f64 v[91:92], v[2:3], v[20:21]
	v_mul_f64 v[20:21], v[4:5], v[20:21]
	v_fma_f64 v[65:66], v[65:66], v[14:15], v[69:70]
	v_fma_f64 v[63:64], v[63:64], v[14:15], -v[16:17]
	scratch_load_b128 v[14:17], off, off offset:624
	v_add_f64 v[46:47], v[46:47], v[89:90]
	v_add_f64 v[67:68], v[67:68], v[85:86]
	v_fma_f64 v[85:86], v[4:5], v[18:19], v[91:92]
	v_fma_f64 v[89:90], v[2:3], v[18:19], -v[20:21]
	scratch_load_b128 v[18:21], off, off offset:640
	ds_load_b128 v[2:5], v1 offset:1488
	s_waitcnt vmcnt(10) lgkmcnt(1)
	v_mul_f64 v[69:70], v[55:56], v[24:25]
	v_mul_f64 v[24:25], v[57:58], v[24:25]
	s_waitcnt vmcnt(9) lgkmcnt(0)
	v_mul_f64 v[91:92], v[2:3], v[28:29]
	v_mul_f64 v[28:29], v[4:5], v[28:29]
	v_add_f64 v[46:47], v[46:47], v[63:64]
	v_add_f64 v[67:68], v[67:68], v[65:66]
	ds_load_b128 v[63:66], v1 offset:1504
	v_fma_f64 v[57:58], v[57:58], v[22:23], v[69:70]
	v_fma_f64 v[55:56], v[55:56], v[22:23], -v[24:25]
	scratch_load_b128 v[22:25], off, off offset:656
	v_add_f64 v[46:47], v[46:47], v[89:90]
	v_add_f64 v[67:68], v[67:68], v[85:86]
	v_fma_f64 v[85:86], v[4:5], v[26:27], v[91:92]
	v_fma_f64 v[89:90], v[2:3], v[26:27], -v[28:29]
	scratch_load_b128 v[26:29], off, off offset:672
	ds_load_b128 v[2:5], v1 offset:1520
	s_waitcnt vmcnt(10) lgkmcnt(1)
	v_mul_f64 v[69:70], v[63:64], v[32:33]
	v_mul_f64 v[32:33], v[65:66], v[32:33]
	s_waitcnt vmcnt(9) lgkmcnt(0)
	v_mul_f64 v[91:92], v[2:3], v[36:37]
	v_mul_f64 v[36:37], v[4:5], v[36:37]
	v_add_f64 v[46:47], v[46:47], v[55:56]
	v_add_f64 v[67:68], v[67:68], v[57:58]
	ds_load_b128 v[55:58], v1 offset:1536
	v_fma_f64 v[65:66], v[65:66], v[30:31], v[69:70]
	v_fma_f64 v[63:64], v[63:64], v[30:31], -v[32:33]
	scratch_load_b128 v[30:33], off, off offset:688
	v_add_f64 v[46:47], v[46:47], v[89:90]
	v_add_f64 v[67:68], v[67:68], v[85:86]
	v_fma_f64 v[89:90], v[4:5], v[34:35], v[91:92]
	v_fma_f64 v[91:92], v[2:3], v[34:35], -v[36:37]
	scratch_load_b128 v[34:37], off, off offset:704
	ds_load_b128 v[2:5], v1 offset:1552
	s_waitcnt vmcnt(9) lgkmcnt(1)
	v_mul_f64 v[69:70], v[55:56], v[61:62]
	v_mul_f64 v[85:86], v[57:58], v[61:62]
	v_add_f64 v[46:47], v[46:47], v[63:64]
	v_add_f64 v[65:66], v[67:68], v[65:66]
	ds_load_b128 v[61:64], v1 offset:1568
	v_fma_f64 v[69:70], v[57:58], v[59:60], v[69:70]
	v_fma_f64 v[59:60], v[55:56], v[59:60], -v[85:86]
	scratch_load_b128 v[55:58], off, off offset:720
	s_waitcnt vmcnt(9) lgkmcnt(1)
	v_mul_f64 v[67:68], v[2:3], v[40:41]
	v_mul_f64 v[40:41], v[4:5], v[40:41]
	v_add_f64 v[46:47], v[46:47], v[91:92]
	v_add_f64 v[65:66], v[65:66], v[89:90]
	s_delay_alu instid0(VALU_DEP_4) | instskip(NEXT) | instid1(VALU_DEP_4)
	v_fma_f64 v[89:90], v[4:5], v[38:39], v[67:68]
	v_fma_f64 v[91:92], v[2:3], v[38:39], -v[40:41]
	scratch_load_b128 v[38:41], off, off offset:736
	ds_load_b128 v[2:5], v1 offset:1584
	s_waitcnt vmcnt(9) lgkmcnt(1)
	v_mul_f64 v[85:86], v[61:62], v[8:9]
	v_mul_f64 v[8:9], v[63:64], v[8:9]
	v_add_f64 v[46:47], v[46:47], v[59:60]
	v_add_f64 v[59:60], v[65:66], v[69:70]
	s_waitcnt vmcnt(8) lgkmcnt(0)
	v_mul_f64 v[69:70], v[2:3], v[12:13]
	v_mul_f64 v[12:13], v[4:5], v[12:13]
	ds_load_b128 v[65:68], v1 offset:1600
	v_fma_f64 v[63:64], v[63:64], v[6:7], v[85:86]
	v_fma_f64 v[61:62], v[61:62], v[6:7], -v[8:9]
	scratch_load_b128 v[6:9], off, off offset:752
	v_add_f64 v[46:47], v[46:47], v[91:92]
	v_add_f64 v[59:60], v[59:60], v[89:90]
	v_fma_f64 v[69:70], v[4:5], v[10:11], v[69:70]
	v_fma_f64 v[89:90], v[2:3], v[10:11], -v[12:13]
	scratch_load_b128 v[10:13], off, off offset:768
	ds_load_b128 v[2:5], v1 offset:1616
	s_waitcnt vmcnt(9) lgkmcnt(1)
	v_mul_f64 v[85:86], v[65:66], v[16:17]
	v_mul_f64 v[16:17], v[67:68], v[16:17]
	s_waitcnt vmcnt(8) lgkmcnt(0)
	v_mul_f64 v[91:92], v[2:3], v[20:21]
	v_mul_f64 v[20:21], v[4:5], v[20:21]
	v_add_f64 v[46:47], v[46:47], v[61:62]
	v_add_f64 v[63:64], v[59:60], v[63:64]
	ds_load_b128 v[59:62], v1 offset:1632
	v_fma_f64 v[67:68], v[67:68], v[14:15], v[85:86]
	v_fma_f64 v[65:66], v[65:66], v[14:15], -v[16:17]
	scratch_load_b128 v[14:17], off, off offset:784
	v_fma_f64 v[85:86], v[4:5], v[18:19], v[91:92]
	v_add_f64 v[46:47], v[46:47], v[89:90]
	v_add_f64 v[63:64], v[63:64], v[69:70]
	v_fma_f64 v[89:90], v[2:3], v[18:19], -v[20:21]
	scratch_load_b128 v[18:21], off, off offset:800
	ds_load_b128 v[2:5], v1 offset:1648
	s_waitcnt vmcnt(9) lgkmcnt(1)
	v_mul_f64 v[69:70], v[59:60], v[24:25]
	v_mul_f64 v[24:25], v[61:62], v[24:25]
	s_waitcnt vmcnt(8) lgkmcnt(0)
	v_mul_f64 v[91:92], v[2:3], v[28:29]
	v_mul_f64 v[28:29], v[4:5], v[28:29]
	v_add_f64 v[46:47], v[46:47], v[65:66]
	v_add_f64 v[67:68], v[63:64], v[67:68]
	ds_load_b128 v[63:66], v1 offset:1664
	v_fma_f64 v[61:62], v[61:62], v[22:23], v[69:70]
	v_fma_f64 v[59:60], v[59:60], v[22:23], -v[24:25]
	scratch_load_b128 v[22:25], off, off offset:816
	v_add_f64 v[46:47], v[46:47], v[89:90]
	v_add_f64 v[67:68], v[67:68], v[85:86]
	v_fma_f64 v[85:86], v[4:5], v[26:27], v[91:92]
	v_fma_f64 v[89:90], v[2:3], v[26:27], -v[28:29]
	scratch_load_b128 v[26:29], off, off offset:832
	ds_load_b128 v[2:5], v1 offset:1680
	s_waitcnt vmcnt(9) lgkmcnt(1)
	v_mul_f64 v[69:70], v[63:64], v[32:33]
	v_mul_f64 v[32:33], v[65:66], v[32:33]
	s_waitcnt vmcnt(8) lgkmcnt(0)
	v_mul_f64 v[91:92], v[2:3], v[36:37]
	v_mul_f64 v[36:37], v[4:5], v[36:37]
	v_add_f64 v[46:47], v[46:47], v[59:60]
	v_add_f64 v[67:68], v[67:68], v[61:62]
	ds_load_b128 v[59:62], v1 offset:1696
	v_fma_f64 v[65:66], v[65:66], v[30:31], v[69:70]
	v_fma_f64 v[63:64], v[63:64], v[30:31], -v[32:33]
	scratch_load_b128 v[30:33], off, off offset:848
	v_add_f64 v[46:47], v[46:47], v[89:90]
	v_add_f64 v[67:68], v[67:68], v[85:86]
	v_fma_f64 v[85:86], v[4:5], v[34:35], v[91:92]
	;; [unrolled: 18-line block ×5, first 2 shown]
	v_fma_f64 v[89:90], v[2:3], v[18:19], -v[20:21]
	scratch_load_b128 v[18:21], off, off offset:960
	ds_load_b128 v[2:5], v1 offset:1808
	s_waitcnt vmcnt(9) lgkmcnt(1)
	v_mul_f64 v[69:70], v[63:64], v[24:25]
	v_mul_f64 v[24:25], v[65:66], v[24:25]
	s_waitcnt vmcnt(8) lgkmcnt(0)
	v_mul_f64 v[91:92], v[2:3], v[28:29]
	v_mul_f64 v[28:29], v[4:5], v[28:29]
	v_add_f64 v[46:47], v[46:47], v[59:60]
	v_add_f64 v[67:68], v[67:68], v[61:62]
	ds_load_b128 v[59:62], v1 offset:1824
	v_fma_f64 v[65:66], v[65:66], v[22:23], v[69:70]
	v_fma_f64 v[22:23], v[63:64], v[22:23], -v[24:25]
	s_waitcnt vmcnt(7) lgkmcnt(0)
	v_mul_f64 v[63:64], v[59:60], v[32:33]
	v_mul_f64 v[32:33], v[61:62], v[32:33]
	v_add_f64 v[24:25], v[46:47], v[89:90]
	v_add_f64 v[46:47], v[67:68], v[85:86]
	v_fma_f64 v[67:68], v[4:5], v[26:27], v[91:92]
	v_fma_f64 v[26:27], v[2:3], v[26:27], -v[28:29]
	v_fma_f64 v[61:62], v[61:62], v[30:31], v[63:64]
	v_fma_f64 v[30:31], v[59:60], v[30:31], -v[32:33]
	v_add_f64 v[28:29], v[24:25], v[22:23]
	v_add_f64 v[46:47], v[46:47], v[65:66]
	ds_load_b128 v[2:5], v1 offset:1840
	ds_load_b128 v[22:25], v1 offset:1856
	s_waitcnt vmcnt(6) lgkmcnt(1)
	v_mul_f64 v[65:66], v[2:3], v[36:37]
	v_mul_f64 v[36:37], v[4:5], v[36:37]
	s_waitcnt vmcnt(5) lgkmcnt(0)
	v_mul_f64 v[32:33], v[22:23], v[57:58]
	v_add_f64 v[26:27], v[28:29], v[26:27]
	v_add_f64 v[28:29], v[46:47], v[67:68]
	v_mul_f64 v[46:47], v[24:25], v[57:58]
	v_fma_f64 v[57:58], v[4:5], v[34:35], v[65:66]
	v_fma_f64 v[34:35], v[2:3], v[34:35], -v[36:37]
	v_fma_f64 v[24:25], v[24:25], v[55:56], v[32:33]
	v_add_f64 v[30:31], v[26:27], v[30:31]
	v_add_f64 v[36:37], v[28:29], v[61:62]
	ds_load_b128 v[2:5], v1 offset:1872
	ds_load_b128 v[26:29], v1 offset:1888
	v_fma_f64 v[22:23], v[22:23], v[55:56], -v[46:47]
	s_waitcnt vmcnt(4) lgkmcnt(1)
	v_mul_f64 v[59:60], v[2:3], v[40:41]
	v_mul_f64 v[40:41], v[4:5], v[40:41]
	v_add_f64 v[30:31], v[30:31], v[34:35]
	v_add_f64 v[32:33], v[36:37], v[57:58]
	s_waitcnt vmcnt(3) lgkmcnt(0)
	v_mul_f64 v[34:35], v[26:27], v[8:9]
	v_mul_f64 v[8:9], v[28:29], v[8:9]
	v_fma_f64 v[36:37], v[4:5], v[38:39], v[59:60]
	v_fma_f64 v[38:39], v[2:3], v[38:39], -v[40:41]
	v_add_f64 v[30:31], v[30:31], v[22:23]
	v_add_f64 v[32:33], v[32:33], v[24:25]
	ds_load_b128 v[2:5], v1 offset:1904
	ds_load_b128 v[22:25], v1 offset:1920
	v_fma_f64 v[28:29], v[28:29], v[6:7], v[34:35]
	v_fma_f64 v[6:7], v[26:27], v[6:7], -v[8:9]
	s_waitcnt vmcnt(2) lgkmcnt(1)
	v_mul_f64 v[40:41], v[2:3], v[12:13]
	v_mul_f64 v[12:13], v[4:5], v[12:13]
	v_add_f64 v[8:9], v[30:31], v[38:39]
	v_add_f64 v[26:27], v[32:33], v[36:37]
	s_waitcnt vmcnt(1) lgkmcnt(0)
	v_mul_f64 v[30:31], v[22:23], v[16:17]
	v_mul_f64 v[16:17], v[24:25], v[16:17]
	v_fma_f64 v[32:33], v[4:5], v[10:11], v[40:41]
	v_fma_f64 v[10:11], v[2:3], v[10:11], -v[12:13]
	ds_load_b128 v[2:5], v1 offset:1936
	v_add_f64 v[6:7], v[8:9], v[6:7]
	v_add_f64 v[8:9], v[26:27], v[28:29]
	v_fma_f64 v[24:25], v[24:25], v[14:15], v[30:31]
	v_fma_f64 v[14:15], v[22:23], v[14:15], -v[16:17]
	s_waitcnt vmcnt(0) lgkmcnt(0)
	v_mul_f64 v[12:13], v[2:3], v[20:21]
	v_mul_f64 v[20:21], v[4:5], v[20:21]
	v_add_f64 v[6:7], v[6:7], v[10:11]
	v_add_f64 v[8:9], v[8:9], v[32:33]
	s_delay_alu instid0(VALU_DEP_4) | instskip(NEXT) | instid1(VALU_DEP_4)
	v_fma_f64 v[4:5], v[4:5], v[18:19], v[12:13]
	v_fma_f64 v[2:3], v[2:3], v[18:19], -v[20:21]
	s_delay_alu instid0(VALU_DEP_4) | instskip(NEXT) | instid1(VALU_DEP_4)
	v_add_f64 v[6:7], v[6:7], v[14:15]
	v_add_f64 v[8:9], v[8:9], v[24:25]
	s_delay_alu instid0(VALU_DEP_2) | instskip(NEXT) | instid1(VALU_DEP_2)
	v_add_f64 v[2:3], v[6:7], v[2:3]
	v_add_f64 v[4:5], v[8:9], v[4:5]
	s_delay_alu instid0(VALU_DEP_2) | instskip(NEXT) | instid1(VALU_DEP_2)
	v_add_f64 v[2:3], v[42:43], -v[2:3]
	v_add_f64 v[4:5], v[44:45], -v[4:5]
	scratch_store_b128 off, v[2:5], off offset:400
	v_cmpx_lt_u32_e32 24, v171
	s_cbranch_execz .LBB60_343
; %bb.342:
	scratch_load_b128 v[5:8], v201, off
	v_mov_b32_e32 v2, v1
	v_mov_b32_e32 v3, v1
	;; [unrolled: 1-line block ×3, first 2 shown]
	scratch_store_b128 off, v[1:4], off offset:384
	s_waitcnt vmcnt(0)
	ds_store_b128 v229, v[5:8]
.LBB60_343:
	s_or_b32 exec_lo, exec_lo, s2
	s_waitcnt lgkmcnt(0)
	s_waitcnt_vscnt null, 0x0
	s_barrier
	buffer_gl0_inv
	s_clause 0x8
	scratch_load_b128 v[2:5], off, off offset:400
	scratch_load_b128 v[6:9], off, off offset:416
	;; [unrolled: 1-line block ×9, first 2 shown]
	ds_load_b128 v[42:45], v1 offset:1376
	ds_load_b128 v[38:41], v1 offset:1392
	s_clause 0x1
	scratch_load_b128 v[55:58], off, off offset:384
	scratch_load_b128 v[59:62], off, off offset:544
	s_mov_b32 s2, exec_lo
	ds_load_b128 v[63:66], v1 offset:1424
	s_waitcnt vmcnt(10) lgkmcnt(2)
	v_mul_f64 v[46:47], v[44:45], v[4:5]
	v_mul_f64 v[4:5], v[42:43], v[4:5]
	s_waitcnt vmcnt(9) lgkmcnt(1)
	v_mul_f64 v[67:68], v[38:39], v[8:9]
	v_mul_f64 v[8:9], v[40:41], v[8:9]
	s_delay_alu instid0(VALU_DEP_4) | instskip(NEXT) | instid1(VALU_DEP_4)
	v_fma_f64 v[46:47], v[42:43], v[2:3], -v[46:47]
	v_fma_f64 v[69:70], v[44:45], v[2:3], v[4:5]
	ds_load_b128 v[2:5], v1 offset:1408
	scratch_load_b128 v[42:45], off, off offset:560
	v_fma_f64 v[40:41], v[40:41], v[6:7], v[67:68]
	v_fma_f64 v[38:39], v[38:39], v[6:7], -v[8:9]
	scratch_load_b128 v[6:9], off, off offset:576
	s_waitcnt vmcnt(10) lgkmcnt(0)
	v_mul_f64 v[85:86], v[2:3], v[12:13]
	v_mul_f64 v[12:13], v[4:5], v[12:13]
	v_add_f64 v[46:47], v[46:47], 0
	v_add_f64 v[67:68], v[69:70], 0
	s_waitcnt vmcnt(9)
	v_mul_f64 v[69:70], v[63:64], v[16:17]
	v_mul_f64 v[16:17], v[65:66], v[16:17]
	v_fma_f64 v[85:86], v[4:5], v[10:11], v[85:86]
	v_fma_f64 v[89:90], v[2:3], v[10:11], -v[12:13]
	ds_load_b128 v[2:5], v1 offset:1440
	scratch_load_b128 v[10:13], off, off offset:592
	v_add_f64 v[46:47], v[46:47], v[38:39]
	v_add_f64 v[67:68], v[67:68], v[40:41]
	ds_load_b128 v[38:41], v1 offset:1456
	v_fma_f64 v[65:66], v[65:66], v[14:15], v[69:70]
	v_fma_f64 v[63:64], v[63:64], v[14:15], -v[16:17]
	scratch_load_b128 v[14:17], off, off offset:608
	s_waitcnt vmcnt(10) lgkmcnt(1)
	v_mul_f64 v[91:92], v[2:3], v[20:21]
	v_mul_f64 v[20:21], v[4:5], v[20:21]
	s_waitcnt vmcnt(9) lgkmcnt(0)
	v_mul_f64 v[69:70], v[38:39], v[24:25]
	v_mul_f64 v[24:25], v[40:41], v[24:25]
	v_add_f64 v[46:47], v[46:47], v[89:90]
	v_add_f64 v[67:68], v[67:68], v[85:86]
	v_fma_f64 v[85:86], v[4:5], v[18:19], v[91:92]
	v_fma_f64 v[89:90], v[2:3], v[18:19], -v[20:21]
	ds_load_b128 v[2:5], v1 offset:1472
	scratch_load_b128 v[18:21], off, off offset:624
	v_fma_f64 v[40:41], v[40:41], v[22:23], v[69:70]
	v_fma_f64 v[38:39], v[38:39], v[22:23], -v[24:25]
	scratch_load_b128 v[22:25], off, off offset:640
	v_add_f64 v[46:47], v[46:47], v[63:64]
	v_add_f64 v[67:68], v[67:68], v[65:66]
	ds_load_b128 v[63:66], v1 offset:1488
	s_waitcnt vmcnt(10) lgkmcnt(1)
	v_mul_f64 v[91:92], v[2:3], v[28:29]
	v_mul_f64 v[28:29], v[4:5], v[28:29]
	s_waitcnt vmcnt(9) lgkmcnt(0)
	v_mul_f64 v[69:70], v[63:64], v[32:33]
	v_mul_f64 v[32:33], v[65:66], v[32:33]
	v_add_f64 v[46:47], v[46:47], v[89:90]
	v_add_f64 v[67:68], v[67:68], v[85:86]
	v_fma_f64 v[85:86], v[4:5], v[26:27], v[91:92]
	v_fma_f64 v[89:90], v[2:3], v[26:27], -v[28:29]
	ds_load_b128 v[2:5], v1 offset:1504
	scratch_load_b128 v[26:29], off, off offset:656
	v_fma_f64 v[65:66], v[65:66], v[30:31], v[69:70]
	v_fma_f64 v[63:64], v[63:64], v[30:31], -v[32:33]
	scratch_load_b128 v[30:33], off, off offset:672
	v_add_f64 v[46:47], v[46:47], v[38:39]
	v_add_f64 v[67:68], v[67:68], v[40:41]
	ds_load_b128 v[38:41], v1 offset:1520
	s_waitcnt vmcnt(10) lgkmcnt(1)
	v_mul_f64 v[91:92], v[2:3], v[36:37]
	v_mul_f64 v[36:37], v[4:5], v[36:37]
	s_waitcnt vmcnt(8) lgkmcnt(0)
	v_mul_f64 v[69:70], v[38:39], v[61:62]
	v_add_f64 v[46:47], v[46:47], v[89:90]
	v_add_f64 v[67:68], v[67:68], v[85:86]
	v_mul_f64 v[85:86], v[40:41], v[61:62]
	v_fma_f64 v[89:90], v[4:5], v[34:35], v[91:92]
	v_fma_f64 v[91:92], v[2:3], v[34:35], -v[36:37]
	ds_load_b128 v[2:5], v1 offset:1536
	scratch_load_b128 v[34:37], off, off offset:688
	v_fma_f64 v[69:70], v[40:41], v[59:60], v[69:70]
	v_add_f64 v[46:47], v[46:47], v[63:64]
	v_add_f64 v[65:66], v[67:68], v[65:66]
	ds_load_b128 v[61:64], v1 offset:1552
	v_fma_f64 v[59:60], v[38:39], v[59:60], -v[85:86]
	scratch_load_b128 v[38:41], off, off offset:704
	s_waitcnt vmcnt(9) lgkmcnt(1)
	v_mul_f64 v[67:68], v[2:3], v[44:45]
	v_mul_f64 v[44:45], v[4:5], v[44:45]
	s_waitcnt vmcnt(8) lgkmcnt(0)
	v_mul_f64 v[85:86], v[61:62], v[8:9]
	v_mul_f64 v[8:9], v[63:64], v[8:9]
	v_add_f64 v[46:47], v[46:47], v[91:92]
	v_add_f64 v[65:66], v[65:66], v[89:90]
	v_fma_f64 v[89:90], v[4:5], v[42:43], v[67:68]
	v_fma_f64 v[91:92], v[2:3], v[42:43], -v[44:45]
	ds_load_b128 v[2:5], v1 offset:1568
	scratch_load_b128 v[42:45], off, off offset:720
	v_fma_f64 v[63:64], v[63:64], v[6:7], v[85:86]
	v_fma_f64 v[61:62], v[61:62], v[6:7], -v[8:9]
	scratch_load_b128 v[6:9], off, off offset:736
	v_add_f64 v[46:47], v[46:47], v[59:60]
	v_add_f64 v[59:60], v[65:66], v[69:70]
	ds_load_b128 v[65:68], v1 offset:1584
	s_waitcnt vmcnt(9) lgkmcnt(1)
	v_mul_f64 v[69:70], v[2:3], v[12:13]
	v_mul_f64 v[12:13], v[4:5], v[12:13]
	s_waitcnt vmcnt(8) lgkmcnt(0)
	v_mul_f64 v[85:86], v[65:66], v[16:17]
	v_mul_f64 v[16:17], v[67:68], v[16:17]
	v_add_f64 v[46:47], v[46:47], v[91:92]
	v_add_f64 v[59:60], v[59:60], v[89:90]
	v_fma_f64 v[69:70], v[4:5], v[10:11], v[69:70]
	v_fma_f64 v[89:90], v[2:3], v[10:11], -v[12:13]
	ds_load_b128 v[2:5], v1 offset:1600
	scratch_load_b128 v[10:13], off, off offset:752
	v_fma_f64 v[67:68], v[67:68], v[14:15], v[85:86]
	v_fma_f64 v[65:66], v[65:66], v[14:15], -v[16:17]
	scratch_load_b128 v[14:17], off, off offset:768
	v_add_f64 v[46:47], v[46:47], v[61:62]
	v_add_f64 v[63:64], v[59:60], v[63:64]
	ds_load_b128 v[59:62], v1 offset:1616
	s_waitcnt vmcnt(9) lgkmcnt(1)
	v_mul_f64 v[91:92], v[2:3], v[20:21]
	v_mul_f64 v[20:21], v[4:5], v[20:21]
	v_add_f64 v[46:47], v[46:47], v[89:90]
	v_add_f64 v[63:64], v[63:64], v[69:70]
	s_waitcnt vmcnt(8) lgkmcnt(0)
	v_mul_f64 v[69:70], v[59:60], v[24:25]
	v_mul_f64 v[24:25], v[61:62], v[24:25]
	v_fma_f64 v[85:86], v[4:5], v[18:19], v[91:92]
	v_fma_f64 v[89:90], v[2:3], v[18:19], -v[20:21]
	ds_load_b128 v[2:5], v1 offset:1632
	scratch_load_b128 v[18:21], off, off offset:784
	v_add_f64 v[46:47], v[46:47], v[65:66]
	v_add_f64 v[67:68], v[63:64], v[67:68]
	ds_load_b128 v[63:66], v1 offset:1648
	s_waitcnt vmcnt(8) lgkmcnt(1)
	v_mul_f64 v[91:92], v[2:3], v[28:29]
	v_mul_f64 v[28:29], v[4:5], v[28:29]
	v_fma_f64 v[61:62], v[61:62], v[22:23], v[69:70]
	v_fma_f64 v[59:60], v[59:60], v[22:23], -v[24:25]
	scratch_load_b128 v[22:25], off, off offset:800
	s_waitcnt vmcnt(8) lgkmcnt(0)
	v_mul_f64 v[69:70], v[63:64], v[32:33]
	v_mul_f64 v[32:33], v[65:66], v[32:33]
	v_add_f64 v[46:47], v[46:47], v[89:90]
	v_add_f64 v[67:68], v[67:68], v[85:86]
	v_fma_f64 v[85:86], v[4:5], v[26:27], v[91:92]
	v_fma_f64 v[89:90], v[2:3], v[26:27], -v[28:29]
	ds_load_b128 v[2:5], v1 offset:1664
	scratch_load_b128 v[26:29], off, off offset:816
	v_fma_f64 v[65:66], v[65:66], v[30:31], v[69:70]
	v_fma_f64 v[63:64], v[63:64], v[30:31], -v[32:33]
	scratch_load_b128 v[30:33], off, off offset:832
	v_add_f64 v[46:47], v[46:47], v[59:60]
	v_add_f64 v[67:68], v[67:68], v[61:62]
	ds_load_b128 v[59:62], v1 offset:1680
	s_waitcnt vmcnt(9) lgkmcnt(1)
	v_mul_f64 v[91:92], v[2:3], v[36:37]
	v_mul_f64 v[36:37], v[4:5], v[36:37]
	s_waitcnt vmcnt(8) lgkmcnt(0)
	v_mul_f64 v[69:70], v[59:60], v[40:41]
	v_mul_f64 v[40:41], v[61:62], v[40:41]
	v_add_f64 v[46:47], v[46:47], v[89:90]
	v_add_f64 v[67:68], v[67:68], v[85:86]
	v_fma_f64 v[85:86], v[4:5], v[34:35], v[91:92]
	v_fma_f64 v[89:90], v[2:3], v[34:35], -v[36:37]
	ds_load_b128 v[2:5], v1 offset:1696
	scratch_load_b128 v[34:37], off, off offset:848
	v_fma_f64 v[61:62], v[61:62], v[38:39], v[69:70]
	v_fma_f64 v[59:60], v[59:60], v[38:39], -v[40:41]
	scratch_load_b128 v[38:41], off, off offset:864
	v_add_f64 v[46:47], v[46:47], v[63:64]
	v_add_f64 v[67:68], v[67:68], v[65:66]
	ds_load_b128 v[63:66], v1 offset:1712
	s_waitcnt vmcnt(9) lgkmcnt(1)
	v_mul_f64 v[91:92], v[2:3], v[44:45]
	v_mul_f64 v[44:45], v[4:5], v[44:45]
	;; [unrolled: 18-line block ×5, first 2 shown]
	s_waitcnt vmcnt(8) lgkmcnt(0)
	v_mul_f64 v[69:70], v[59:60], v[32:33]
	v_mul_f64 v[32:33], v[61:62], v[32:33]
	v_add_f64 v[46:47], v[46:47], v[89:90]
	v_add_f64 v[67:68], v[67:68], v[85:86]
	v_fma_f64 v[85:86], v[4:5], v[26:27], v[91:92]
	v_fma_f64 v[89:90], v[2:3], v[26:27], -v[28:29]
	ds_load_b128 v[2:5], v1 offset:1824
	ds_load_b128 v[26:29], v1 offset:1840
	v_fma_f64 v[61:62], v[61:62], v[30:31], v[69:70]
	v_fma_f64 v[30:31], v[59:60], v[30:31], -v[32:33]
	v_add_f64 v[46:47], v[46:47], v[63:64]
	v_add_f64 v[63:64], v[67:68], v[65:66]
	s_waitcnt vmcnt(7) lgkmcnt(1)
	v_mul_f64 v[65:66], v[2:3], v[36:37]
	v_mul_f64 v[36:37], v[4:5], v[36:37]
	s_waitcnt vmcnt(6) lgkmcnt(0)
	v_mul_f64 v[59:60], v[26:27], v[40:41]
	v_mul_f64 v[40:41], v[28:29], v[40:41]
	v_add_f64 v[32:33], v[46:47], v[89:90]
	v_add_f64 v[46:47], v[63:64], v[85:86]
	v_fma_f64 v[63:64], v[4:5], v[34:35], v[65:66]
	v_fma_f64 v[34:35], v[2:3], v[34:35], -v[36:37]
	v_fma_f64 v[28:29], v[28:29], v[38:39], v[59:60]
	v_fma_f64 v[26:27], v[26:27], v[38:39], -v[40:41]
	v_add_f64 v[36:37], v[32:33], v[30:31]
	v_add_f64 v[46:47], v[46:47], v[61:62]
	ds_load_b128 v[2:5], v1 offset:1856
	ds_load_b128 v[30:33], v1 offset:1872
	s_waitcnt vmcnt(5) lgkmcnt(1)
	v_mul_f64 v[61:62], v[2:3], v[44:45]
	v_mul_f64 v[44:45], v[4:5], v[44:45]
	s_waitcnt vmcnt(4) lgkmcnt(0)
	v_mul_f64 v[38:39], v[30:31], v[8:9]
	v_mul_f64 v[8:9], v[32:33], v[8:9]
	v_add_f64 v[34:35], v[36:37], v[34:35]
	v_add_f64 v[36:37], v[46:47], v[63:64]
	v_fma_f64 v[40:41], v[4:5], v[42:43], v[61:62]
	v_fma_f64 v[42:43], v[2:3], v[42:43], -v[44:45]
	v_fma_f64 v[32:33], v[32:33], v[6:7], v[38:39]
	v_fma_f64 v[6:7], v[30:31], v[6:7], -v[8:9]
	v_add_f64 v[34:35], v[34:35], v[26:27]
	v_add_f64 v[36:37], v[36:37], v[28:29]
	ds_load_b128 v[2:5], v1 offset:1888
	ds_load_b128 v[26:29], v1 offset:1904
	s_waitcnt vmcnt(3) lgkmcnt(1)
	v_mul_f64 v[44:45], v[2:3], v[12:13]
	v_mul_f64 v[12:13], v[4:5], v[12:13]
	v_add_f64 v[8:9], v[34:35], v[42:43]
	v_add_f64 v[30:31], v[36:37], v[40:41]
	s_waitcnt vmcnt(2) lgkmcnt(0)
	v_mul_f64 v[34:35], v[26:27], v[16:17]
	v_mul_f64 v[16:17], v[28:29], v[16:17]
	v_fma_f64 v[36:37], v[4:5], v[10:11], v[44:45]
	v_fma_f64 v[10:11], v[2:3], v[10:11], -v[12:13]
	v_add_f64 v[12:13], v[8:9], v[6:7]
	v_add_f64 v[30:31], v[30:31], v[32:33]
	ds_load_b128 v[2:5], v1 offset:1920
	ds_load_b128 v[6:9], v1 offset:1936
	v_fma_f64 v[28:29], v[28:29], v[14:15], v[34:35]
	v_fma_f64 v[14:15], v[26:27], v[14:15], -v[16:17]
	s_waitcnt vmcnt(1) lgkmcnt(1)
	v_mul_f64 v[32:33], v[2:3], v[20:21]
	v_mul_f64 v[20:21], v[4:5], v[20:21]
	s_waitcnt vmcnt(0) lgkmcnt(0)
	v_mul_f64 v[16:17], v[6:7], v[24:25]
	v_mul_f64 v[24:25], v[8:9], v[24:25]
	v_add_f64 v[10:11], v[12:13], v[10:11]
	v_add_f64 v[12:13], v[30:31], v[36:37]
	v_fma_f64 v[4:5], v[4:5], v[18:19], v[32:33]
	v_fma_f64 v[1:2], v[2:3], v[18:19], -v[20:21]
	v_fma_f64 v[8:9], v[8:9], v[22:23], v[16:17]
	v_fma_f64 v[6:7], v[6:7], v[22:23], -v[24:25]
	v_add_f64 v[10:11], v[10:11], v[14:15]
	v_add_f64 v[12:13], v[12:13], v[28:29]
	s_delay_alu instid0(VALU_DEP_2) | instskip(NEXT) | instid1(VALU_DEP_2)
	v_add_f64 v[1:2], v[10:11], v[1:2]
	v_add_f64 v[3:4], v[12:13], v[4:5]
	s_delay_alu instid0(VALU_DEP_2) | instskip(NEXT) | instid1(VALU_DEP_2)
	;; [unrolled: 3-line block ×3, first 2 shown]
	v_add_f64 v[1:2], v[55:56], -v[1:2]
	v_add_f64 v[3:4], v[57:58], -v[3:4]
	scratch_store_b128 off, v[1:4], off offset:384
	v_cmpx_lt_u32_e32 23, v171
	s_cbranch_execz .LBB60_345
; %bb.344:
	scratch_load_b128 v[1:4], v206, off
	v_mov_b32_e32 v5, 0
	s_delay_alu instid0(VALU_DEP_1)
	v_mov_b32_e32 v6, v5
	v_mov_b32_e32 v7, v5
	;; [unrolled: 1-line block ×3, first 2 shown]
	scratch_store_b128 off, v[5:8], off offset:368
	s_waitcnt vmcnt(0)
	ds_store_b128 v229, v[1:4]
.LBB60_345:
	s_or_b32 exec_lo, exec_lo, s2
	s_waitcnt lgkmcnt(0)
	s_waitcnt_vscnt null, 0x0
	s_barrier
	buffer_gl0_inv
	s_clause 0x7
	scratch_load_b128 v[2:5], off, off offset:384
	scratch_load_b128 v[6:9], off, off offset:400
	;; [unrolled: 1-line block ×8, first 2 shown]
	v_mov_b32_e32 v1, 0
	s_mov_b32 s2, exec_lo
	ds_load_b128 v[38:41], v1 offset:1360
	s_clause 0x1
	scratch_load_b128 v[34:37], off, off offset:512
	scratch_load_b128 v[42:45], off, off offset:368
	ds_load_b128 v[55:58], v1 offset:1376
	scratch_load_b128 v[59:62], off, off offset:528
	ds_load_b128 v[63:66], v1 offset:1408
	s_waitcnt vmcnt(10) lgkmcnt(2)
	v_mul_f64 v[46:47], v[40:41], v[4:5]
	v_mul_f64 v[4:5], v[38:39], v[4:5]
	s_delay_alu instid0(VALU_DEP_2) | instskip(NEXT) | instid1(VALU_DEP_2)
	v_fma_f64 v[46:47], v[38:39], v[2:3], -v[46:47]
	v_fma_f64 v[69:70], v[40:41], v[2:3], v[4:5]
	ds_load_b128 v[2:5], v1 offset:1392
	s_waitcnt vmcnt(9) lgkmcnt(2)
	v_mul_f64 v[67:68], v[55:56], v[8:9]
	v_mul_f64 v[8:9], v[57:58], v[8:9]
	scratch_load_b128 v[38:41], off, off offset:544
	s_waitcnt vmcnt(9) lgkmcnt(0)
	v_mul_f64 v[85:86], v[2:3], v[12:13]
	v_mul_f64 v[12:13], v[4:5], v[12:13]
	v_add_f64 v[46:47], v[46:47], 0
	v_fma_f64 v[57:58], v[57:58], v[6:7], v[67:68]
	v_fma_f64 v[55:56], v[55:56], v[6:7], -v[8:9]
	v_add_f64 v[67:68], v[69:70], 0
	scratch_load_b128 v[6:9], off, off offset:560
	v_fma_f64 v[85:86], v[4:5], v[10:11], v[85:86]
	v_fma_f64 v[89:90], v[2:3], v[10:11], -v[12:13]
	scratch_load_b128 v[10:13], off, off offset:576
	ds_load_b128 v[2:5], v1 offset:1424
	s_waitcnt vmcnt(10)
	v_mul_f64 v[69:70], v[63:64], v[16:17]
	v_mul_f64 v[16:17], v[65:66], v[16:17]
	v_add_f64 v[46:47], v[46:47], v[55:56]
	v_add_f64 v[67:68], v[67:68], v[57:58]
	ds_load_b128 v[55:58], v1 offset:1440
	s_waitcnt vmcnt(9) lgkmcnt(1)
	v_mul_f64 v[91:92], v[2:3], v[20:21]
	v_mul_f64 v[20:21], v[4:5], v[20:21]
	v_fma_f64 v[65:66], v[65:66], v[14:15], v[69:70]
	v_fma_f64 v[63:64], v[63:64], v[14:15], -v[16:17]
	scratch_load_b128 v[14:17], off, off offset:592
	v_add_f64 v[46:47], v[46:47], v[89:90]
	v_add_f64 v[67:68], v[67:68], v[85:86]
	v_fma_f64 v[85:86], v[4:5], v[18:19], v[91:92]
	v_fma_f64 v[89:90], v[2:3], v[18:19], -v[20:21]
	scratch_load_b128 v[18:21], off, off offset:608
	ds_load_b128 v[2:5], v1 offset:1456
	s_waitcnt vmcnt(10) lgkmcnt(1)
	v_mul_f64 v[69:70], v[55:56], v[24:25]
	v_mul_f64 v[24:25], v[57:58], v[24:25]
	s_waitcnt vmcnt(9) lgkmcnt(0)
	v_mul_f64 v[91:92], v[2:3], v[28:29]
	v_mul_f64 v[28:29], v[4:5], v[28:29]
	v_add_f64 v[46:47], v[46:47], v[63:64]
	v_add_f64 v[67:68], v[67:68], v[65:66]
	ds_load_b128 v[63:66], v1 offset:1472
	v_fma_f64 v[57:58], v[57:58], v[22:23], v[69:70]
	v_fma_f64 v[55:56], v[55:56], v[22:23], -v[24:25]
	scratch_load_b128 v[22:25], off, off offset:624
	v_add_f64 v[46:47], v[46:47], v[89:90]
	v_add_f64 v[67:68], v[67:68], v[85:86]
	v_fma_f64 v[85:86], v[4:5], v[26:27], v[91:92]
	v_fma_f64 v[89:90], v[2:3], v[26:27], -v[28:29]
	scratch_load_b128 v[26:29], off, off offset:640
	ds_load_b128 v[2:5], v1 offset:1488
	s_waitcnt vmcnt(10) lgkmcnt(1)
	v_mul_f64 v[69:70], v[63:64], v[32:33]
	v_mul_f64 v[32:33], v[65:66], v[32:33]
	s_waitcnt vmcnt(9) lgkmcnt(0)
	v_mul_f64 v[91:92], v[2:3], v[36:37]
	v_mul_f64 v[36:37], v[4:5], v[36:37]
	v_add_f64 v[46:47], v[46:47], v[55:56]
	v_add_f64 v[67:68], v[67:68], v[57:58]
	ds_load_b128 v[55:58], v1 offset:1504
	v_fma_f64 v[65:66], v[65:66], v[30:31], v[69:70]
	v_fma_f64 v[63:64], v[63:64], v[30:31], -v[32:33]
	scratch_load_b128 v[30:33], off, off offset:656
	v_add_f64 v[46:47], v[46:47], v[89:90]
	v_add_f64 v[67:68], v[67:68], v[85:86]
	v_fma_f64 v[89:90], v[4:5], v[34:35], v[91:92]
	v_fma_f64 v[91:92], v[2:3], v[34:35], -v[36:37]
	scratch_load_b128 v[34:37], off, off offset:672
	ds_load_b128 v[2:5], v1 offset:1520
	s_waitcnt vmcnt(9) lgkmcnt(1)
	v_mul_f64 v[69:70], v[55:56], v[61:62]
	v_mul_f64 v[85:86], v[57:58], v[61:62]
	v_add_f64 v[46:47], v[46:47], v[63:64]
	v_add_f64 v[65:66], v[67:68], v[65:66]
	ds_load_b128 v[61:64], v1 offset:1536
	v_fma_f64 v[69:70], v[57:58], v[59:60], v[69:70]
	v_fma_f64 v[59:60], v[55:56], v[59:60], -v[85:86]
	scratch_load_b128 v[55:58], off, off offset:688
	s_waitcnt vmcnt(9) lgkmcnt(1)
	v_mul_f64 v[67:68], v[2:3], v[40:41]
	v_mul_f64 v[40:41], v[4:5], v[40:41]
	v_add_f64 v[46:47], v[46:47], v[91:92]
	v_add_f64 v[65:66], v[65:66], v[89:90]
	s_delay_alu instid0(VALU_DEP_4) | instskip(NEXT) | instid1(VALU_DEP_4)
	v_fma_f64 v[89:90], v[4:5], v[38:39], v[67:68]
	v_fma_f64 v[91:92], v[2:3], v[38:39], -v[40:41]
	scratch_load_b128 v[38:41], off, off offset:704
	ds_load_b128 v[2:5], v1 offset:1552
	s_waitcnt vmcnt(9) lgkmcnt(1)
	v_mul_f64 v[85:86], v[61:62], v[8:9]
	v_mul_f64 v[8:9], v[63:64], v[8:9]
	v_add_f64 v[46:47], v[46:47], v[59:60]
	v_add_f64 v[59:60], v[65:66], v[69:70]
	s_waitcnt vmcnt(8) lgkmcnt(0)
	v_mul_f64 v[69:70], v[2:3], v[12:13]
	v_mul_f64 v[12:13], v[4:5], v[12:13]
	ds_load_b128 v[65:68], v1 offset:1568
	v_fma_f64 v[63:64], v[63:64], v[6:7], v[85:86]
	v_fma_f64 v[61:62], v[61:62], v[6:7], -v[8:9]
	scratch_load_b128 v[6:9], off, off offset:720
	v_add_f64 v[46:47], v[46:47], v[91:92]
	v_add_f64 v[59:60], v[59:60], v[89:90]
	v_fma_f64 v[69:70], v[4:5], v[10:11], v[69:70]
	v_fma_f64 v[89:90], v[2:3], v[10:11], -v[12:13]
	scratch_load_b128 v[10:13], off, off offset:736
	ds_load_b128 v[2:5], v1 offset:1584
	s_waitcnt vmcnt(9) lgkmcnt(1)
	v_mul_f64 v[85:86], v[65:66], v[16:17]
	v_mul_f64 v[16:17], v[67:68], v[16:17]
	s_waitcnt vmcnt(8) lgkmcnt(0)
	v_mul_f64 v[91:92], v[2:3], v[20:21]
	v_mul_f64 v[20:21], v[4:5], v[20:21]
	v_add_f64 v[46:47], v[46:47], v[61:62]
	v_add_f64 v[63:64], v[59:60], v[63:64]
	ds_load_b128 v[59:62], v1 offset:1600
	v_fma_f64 v[67:68], v[67:68], v[14:15], v[85:86]
	v_fma_f64 v[65:66], v[65:66], v[14:15], -v[16:17]
	scratch_load_b128 v[14:17], off, off offset:752
	v_fma_f64 v[85:86], v[4:5], v[18:19], v[91:92]
	v_add_f64 v[46:47], v[46:47], v[89:90]
	v_add_f64 v[63:64], v[63:64], v[69:70]
	v_fma_f64 v[89:90], v[2:3], v[18:19], -v[20:21]
	scratch_load_b128 v[18:21], off, off offset:768
	ds_load_b128 v[2:5], v1 offset:1616
	s_waitcnt vmcnt(9) lgkmcnt(1)
	v_mul_f64 v[69:70], v[59:60], v[24:25]
	v_mul_f64 v[24:25], v[61:62], v[24:25]
	s_waitcnt vmcnt(8) lgkmcnt(0)
	v_mul_f64 v[91:92], v[2:3], v[28:29]
	v_mul_f64 v[28:29], v[4:5], v[28:29]
	v_add_f64 v[46:47], v[46:47], v[65:66]
	v_add_f64 v[67:68], v[63:64], v[67:68]
	ds_load_b128 v[63:66], v1 offset:1632
	v_fma_f64 v[61:62], v[61:62], v[22:23], v[69:70]
	v_fma_f64 v[59:60], v[59:60], v[22:23], -v[24:25]
	scratch_load_b128 v[22:25], off, off offset:784
	v_add_f64 v[46:47], v[46:47], v[89:90]
	v_add_f64 v[67:68], v[67:68], v[85:86]
	v_fma_f64 v[85:86], v[4:5], v[26:27], v[91:92]
	v_fma_f64 v[89:90], v[2:3], v[26:27], -v[28:29]
	scratch_load_b128 v[26:29], off, off offset:800
	ds_load_b128 v[2:5], v1 offset:1648
	s_waitcnt vmcnt(9) lgkmcnt(1)
	v_mul_f64 v[69:70], v[63:64], v[32:33]
	v_mul_f64 v[32:33], v[65:66], v[32:33]
	s_waitcnt vmcnt(8) lgkmcnt(0)
	v_mul_f64 v[91:92], v[2:3], v[36:37]
	v_mul_f64 v[36:37], v[4:5], v[36:37]
	v_add_f64 v[46:47], v[46:47], v[59:60]
	v_add_f64 v[67:68], v[67:68], v[61:62]
	ds_load_b128 v[59:62], v1 offset:1664
	v_fma_f64 v[65:66], v[65:66], v[30:31], v[69:70]
	v_fma_f64 v[63:64], v[63:64], v[30:31], -v[32:33]
	scratch_load_b128 v[30:33], off, off offset:816
	v_add_f64 v[46:47], v[46:47], v[89:90]
	v_add_f64 v[67:68], v[67:68], v[85:86]
	v_fma_f64 v[85:86], v[4:5], v[34:35], v[91:92]
	;; [unrolled: 18-line block ×6, first 2 shown]
	v_fma_f64 v[89:90], v[2:3], v[26:27], -v[28:29]
	scratch_load_b128 v[26:29], off, off offset:960
	ds_load_b128 v[2:5], v1 offset:1808
	s_waitcnt vmcnt(9) lgkmcnt(1)
	v_mul_f64 v[69:70], v[59:60], v[32:33]
	v_mul_f64 v[32:33], v[61:62], v[32:33]
	s_waitcnt vmcnt(8) lgkmcnt(0)
	v_mul_f64 v[91:92], v[2:3], v[36:37]
	v_mul_f64 v[36:37], v[4:5], v[36:37]
	v_add_f64 v[46:47], v[46:47], v[63:64]
	v_add_f64 v[67:68], v[67:68], v[65:66]
	ds_load_b128 v[63:66], v1 offset:1824
	v_fma_f64 v[61:62], v[61:62], v[30:31], v[69:70]
	v_fma_f64 v[30:31], v[59:60], v[30:31], -v[32:33]
	s_waitcnt vmcnt(7) lgkmcnt(0)
	v_mul_f64 v[59:60], v[63:64], v[57:58]
	v_mul_f64 v[57:58], v[65:66], v[57:58]
	v_add_f64 v[32:33], v[46:47], v[89:90]
	v_add_f64 v[46:47], v[67:68], v[85:86]
	v_fma_f64 v[67:68], v[4:5], v[34:35], v[91:92]
	v_fma_f64 v[34:35], v[2:3], v[34:35], -v[36:37]
	v_fma_f64 v[59:60], v[65:66], v[55:56], v[59:60]
	v_fma_f64 v[55:56], v[63:64], v[55:56], -v[57:58]
	v_add_f64 v[36:37], v[32:33], v[30:31]
	v_add_f64 v[46:47], v[46:47], v[61:62]
	ds_load_b128 v[2:5], v1 offset:1840
	ds_load_b128 v[30:33], v1 offset:1856
	s_waitcnt vmcnt(6) lgkmcnt(1)
	v_mul_f64 v[61:62], v[2:3], v[40:41]
	v_mul_f64 v[40:41], v[4:5], v[40:41]
	v_add_f64 v[34:35], v[36:37], v[34:35]
	v_add_f64 v[36:37], v[46:47], v[67:68]
	s_waitcnt vmcnt(5) lgkmcnt(0)
	v_mul_f64 v[46:47], v[30:31], v[8:9]
	v_mul_f64 v[8:9], v[32:33], v[8:9]
	v_fma_f64 v[57:58], v[4:5], v[38:39], v[61:62]
	v_fma_f64 v[38:39], v[2:3], v[38:39], -v[40:41]
	v_add_f64 v[40:41], v[34:35], v[55:56]
	v_add_f64 v[55:56], v[36:37], v[59:60]
	ds_load_b128 v[2:5], v1 offset:1872
	ds_load_b128 v[34:37], v1 offset:1888
	v_fma_f64 v[32:33], v[32:33], v[6:7], v[46:47]
	v_fma_f64 v[6:7], v[30:31], v[6:7], -v[8:9]
	s_waitcnt vmcnt(4) lgkmcnt(1)
	v_mul_f64 v[59:60], v[2:3], v[12:13]
	v_mul_f64 v[12:13], v[4:5], v[12:13]
	v_add_f64 v[8:9], v[40:41], v[38:39]
	v_add_f64 v[30:31], v[55:56], v[57:58]
	s_waitcnt vmcnt(3) lgkmcnt(0)
	v_mul_f64 v[38:39], v[34:35], v[16:17]
	v_mul_f64 v[16:17], v[36:37], v[16:17]
	v_fma_f64 v[40:41], v[4:5], v[10:11], v[59:60]
	v_fma_f64 v[10:11], v[2:3], v[10:11], -v[12:13]
	v_add_f64 v[12:13], v[8:9], v[6:7]
	v_add_f64 v[30:31], v[30:31], v[32:33]
	ds_load_b128 v[2:5], v1 offset:1904
	ds_load_b128 v[6:9], v1 offset:1920
	v_fma_f64 v[36:37], v[36:37], v[14:15], v[38:39]
	v_fma_f64 v[14:15], v[34:35], v[14:15], -v[16:17]
	s_waitcnt vmcnt(2) lgkmcnt(1)
	v_mul_f64 v[32:33], v[2:3], v[20:21]
	v_mul_f64 v[20:21], v[4:5], v[20:21]
	s_waitcnt vmcnt(1) lgkmcnt(0)
	v_mul_f64 v[16:17], v[6:7], v[24:25]
	v_mul_f64 v[24:25], v[8:9], v[24:25]
	v_add_f64 v[10:11], v[12:13], v[10:11]
	v_add_f64 v[12:13], v[30:31], v[40:41]
	v_fma_f64 v[30:31], v[4:5], v[18:19], v[32:33]
	v_fma_f64 v[18:19], v[2:3], v[18:19], -v[20:21]
	ds_load_b128 v[2:5], v1 offset:1936
	v_fma_f64 v[8:9], v[8:9], v[22:23], v[16:17]
	v_fma_f64 v[6:7], v[6:7], v[22:23], -v[24:25]
	v_add_f64 v[10:11], v[10:11], v[14:15]
	v_add_f64 v[12:13], v[12:13], v[36:37]
	s_waitcnt vmcnt(0) lgkmcnt(0)
	v_mul_f64 v[14:15], v[2:3], v[28:29]
	v_mul_f64 v[20:21], v[4:5], v[28:29]
	s_delay_alu instid0(VALU_DEP_4) | instskip(NEXT) | instid1(VALU_DEP_4)
	v_add_f64 v[10:11], v[10:11], v[18:19]
	v_add_f64 v[12:13], v[12:13], v[30:31]
	s_delay_alu instid0(VALU_DEP_4) | instskip(NEXT) | instid1(VALU_DEP_4)
	v_fma_f64 v[4:5], v[4:5], v[26:27], v[14:15]
	v_fma_f64 v[2:3], v[2:3], v[26:27], -v[20:21]
	s_delay_alu instid0(VALU_DEP_4) | instskip(NEXT) | instid1(VALU_DEP_4)
	v_add_f64 v[6:7], v[10:11], v[6:7]
	v_add_f64 v[8:9], v[12:13], v[8:9]
	s_delay_alu instid0(VALU_DEP_2) | instskip(NEXT) | instid1(VALU_DEP_2)
	v_add_f64 v[2:3], v[6:7], v[2:3]
	v_add_f64 v[4:5], v[8:9], v[4:5]
	s_delay_alu instid0(VALU_DEP_2) | instskip(NEXT) | instid1(VALU_DEP_2)
	v_add_f64 v[2:3], v[42:43], -v[2:3]
	v_add_f64 v[4:5], v[44:45], -v[4:5]
	scratch_store_b128 off, v[2:5], off offset:368
	v_cmpx_lt_u32_e32 22, v171
	s_cbranch_execz .LBB60_347
; %bb.346:
	scratch_load_b32 v2, off, off offset:976 ; 4-byte Folded Reload
	v_mov_b32_e32 v3, v1
	v_mov_b32_e32 v4, v1
	s_waitcnt vmcnt(0)
	scratch_load_b128 v[5:8], v2, off
	v_mov_b32_e32 v2, v1
	scratch_store_b128 off, v[1:4], off offset:352
	s_waitcnt vmcnt(0)
	ds_store_b128 v229, v[5:8]
.LBB60_347:
	s_or_b32 exec_lo, exec_lo, s2
	s_waitcnt lgkmcnt(0)
	s_waitcnt_vscnt null, 0x0
	s_barrier
	buffer_gl0_inv
	s_clause 0x8
	scratch_load_b128 v[2:5], off, off offset:368
	scratch_load_b128 v[6:9], off, off offset:384
	;; [unrolled: 1-line block ×9, first 2 shown]
	ds_load_b128 v[42:45], v1 offset:1344
	ds_load_b128 v[38:41], v1 offset:1360
	s_clause 0x1
	scratch_load_b128 v[55:58], off, off offset:352
	scratch_load_b128 v[59:62], off, off offset:512
	s_mov_b32 s2, exec_lo
	ds_load_b128 v[63:66], v1 offset:1392
	s_waitcnt vmcnt(10) lgkmcnt(2)
	v_mul_f64 v[46:47], v[44:45], v[4:5]
	v_mul_f64 v[4:5], v[42:43], v[4:5]
	s_waitcnt vmcnt(9) lgkmcnt(1)
	v_mul_f64 v[67:68], v[38:39], v[8:9]
	v_mul_f64 v[8:9], v[40:41], v[8:9]
	s_delay_alu instid0(VALU_DEP_4) | instskip(NEXT) | instid1(VALU_DEP_4)
	v_fma_f64 v[46:47], v[42:43], v[2:3], -v[46:47]
	v_fma_f64 v[69:70], v[44:45], v[2:3], v[4:5]
	ds_load_b128 v[2:5], v1 offset:1376
	scratch_load_b128 v[42:45], off, off offset:528
	v_fma_f64 v[40:41], v[40:41], v[6:7], v[67:68]
	v_fma_f64 v[38:39], v[38:39], v[6:7], -v[8:9]
	scratch_load_b128 v[6:9], off, off offset:544
	s_waitcnt vmcnt(10) lgkmcnt(0)
	v_mul_f64 v[85:86], v[2:3], v[12:13]
	v_mul_f64 v[12:13], v[4:5], v[12:13]
	v_add_f64 v[46:47], v[46:47], 0
	v_add_f64 v[67:68], v[69:70], 0
	s_waitcnt vmcnt(9)
	v_mul_f64 v[69:70], v[63:64], v[16:17]
	v_mul_f64 v[16:17], v[65:66], v[16:17]
	v_fma_f64 v[85:86], v[4:5], v[10:11], v[85:86]
	v_fma_f64 v[89:90], v[2:3], v[10:11], -v[12:13]
	ds_load_b128 v[2:5], v1 offset:1408
	scratch_load_b128 v[10:13], off, off offset:560
	v_add_f64 v[46:47], v[46:47], v[38:39]
	v_add_f64 v[67:68], v[67:68], v[40:41]
	ds_load_b128 v[38:41], v1 offset:1424
	v_fma_f64 v[65:66], v[65:66], v[14:15], v[69:70]
	v_fma_f64 v[63:64], v[63:64], v[14:15], -v[16:17]
	scratch_load_b128 v[14:17], off, off offset:576
	s_waitcnt vmcnt(10) lgkmcnt(1)
	v_mul_f64 v[91:92], v[2:3], v[20:21]
	v_mul_f64 v[20:21], v[4:5], v[20:21]
	s_waitcnt vmcnt(9) lgkmcnt(0)
	v_mul_f64 v[69:70], v[38:39], v[24:25]
	v_mul_f64 v[24:25], v[40:41], v[24:25]
	v_add_f64 v[46:47], v[46:47], v[89:90]
	v_add_f64 v[67:68], v[67:68], v[85:86]
	v_fma_f64 v[85:86], v[4:5], v[18:19], v[91:92]
	v_fma_f64 v[89:90], v[2:3], v[18:19], -v[20:21]
	ds_load_b128 v[2:5], v1 offset:1440
	scratch_load_b128 v[18:21], off, off offset:592
	v_fma_f64 v[40:41], v[40:41], v[22:23], v[69:70]
	v_fma_f64 v[38:39], v[38:39], v[22:23], -v[24:25]
	scratch_load_b128 v[22:25], off, off offset:608
	v_add_f64 v[46:47], v[46:47], v[63:64]
	v_add_f64 v[67:68], v[67:68], v[65:66]
	ds_load_b128 v[63:66], v1 offset:1456
	s_waitcnt vmcnt(10) lgkmcnt(1)
	v_mul_f64 v[91:92], v[2:3], v[28:29]
	v_mul_f64 v[28:29], v[4:5], v[28:29]
	s_waitcnt vmcnt(9) lgkmcnt(0)
	v_mul_f64 v[69:70], v[63:64], v[32:33]
	v_mul_f64 v[32:33], v[65:66], v[32:33]
	v_add_f64 v[46:47], v[46:47], v[89:90]
	v_add_f64 v[67:68], v[67:68], v[85:86]
	v_fma_f64 v[85:86], v[4:5], v[26:27], v[91:92]
	v_fma_f64 v[89:90], v[2:3], v[26:27], -v[28:29]
	ds_load_b128 v[2:5], v1 offset:1472
	scratch_load_b128 v[26:29], off, off offset:624
	v_fma_f64 v[65:66], v[65:66], v[30:31], v[69:70]
	v_fma_f64 v[63:64], v[63:64], v[30:31], -v[32:33]
	scratch_load_b128 v[30:33], off, off offset:640
	v_add_f64 v[46:47], v[46:47], v[38:39]
	v_add_f64 v[67:68], v[67:68], v[40:41]
	ds_load_b128 v[38:41], v1 offset:1488
	s_waitcnt vmcnt(10) lgkmcnt(1)
	v_mul_f64 v[91:92], v[2:3], v[36:37]
	v_mul_f64 v[36:37], v[4:5], v[36:37]
	s_waitcnt vmcnt(8) lgkmcnt(0)
	v_mul_f64 v[69:70], v[38:39], v[61:62]
	v_add_f64 v[46:47], v[46:47], v[89:90]
	v_add_f64 v[67:68], v[67:68], v[85:86]
	v_mul_f64 v[85:86], v[40:41], v[61:62]
	v_fma_f64 v[89:90], v[4:5], v[34:35], v[91:92]
	v_fma_f64 v[91:92], v[2:3], v[34:35], -v[36:37]
	ds_load_b128 v[2:5], v1 offset:1504
	scratch_load_b128 v[34:37], off, off offset:656
	v_fma_f64 v[69:70], v[40:41], v[59:60], v[69:70]
	v_add_f64 v[46:47], v[46:47], v[63:64]
	v_add_f64 v[65:66], v[67:68], v[65:66]
	ds_load_b128 v[61:64], v1 offset:1520
	v_fma_f64 v[59:60], v[38:39], v[59:60], -v[85:86]
	scratch_load_b128 v[38:41], off, off offset:672
	s_waitcnt vmcnt(9) lgkmcnt(1)
	v_mul_f64 v[67:68], v[2:3], v[44:45]
	v_mul_f64 v[44:45], v[4:5], v[44:45]
	s_waitcnt vmcnt(8) lgkmcnt(0)
	v_mul_f64 v[85:86], v[61:62], v[8:9]
	v_mul_f64 v[8:9], v[63:64], v[8:9]
	v_add_f64 v[46:47], v[46:47], v[91:92]
	v_add_f64 v[65:66], v[65:66], v[89:90]
	v_fma_f64 v[89:90], v[4:5], v[42:43], v[67:68]
	v_fma_f64 v[91:92], v[2:3], v[42:43], -v[44:45]
	ds_load_b128 v[2:5], v1 offset:1536
	scratch_load_b128 v[42:45], off, off offset:688
	v_fma_f64 v[63:64], v[63:64], v[6:7], v[85:86]
	v_fma_f64 v[61:62], v[61:62], v[6:7], -v[8:9]
	scratch_load_b128 v[6:9], off, off offset:704
	v_add_f64 v[46:47], v[46:47], v[59:60]
	v_add_f64 v[59:60], v[65:66], v[69:70]
	ds_load_b128 v[65:68], v1 offset:1552
	s_waitcnt vmcnt(9) lgkmcnt(1)
	v_mul_f64 v[69:70], v[2:3], v[12:13]
	v_mul_f64 v[12:13], v[4:5], v[12:13]
	s_waitcnt vmcnt(8) lgkmcnt(0)
	v_mul_f64 v[85:86], v[65:66], v[16:17]
	v_mul_f64 v[16:17], v[67:68], v[16:17]
	v_add_f64 v[46:47], v[46:47], v[91:92]
	v_add_f64 v[59:60], v[59:60], v[89:90]
	v_fma_f64 v[69:70], v[4:5], v[10:11], v[69:70]
	v_fma_f64 v[89:90], v[2:3], v[10:11], -v[12:13]
	ds_load_b128 v[2:5], v1 offset:1568
	scratch_load_b128 v[10:13], off, off offset:720
	v_fma_f64 v[67:68], v[67:68], v[14:15], v[85:86]
	v_fma_f64 v[65:66], v[65:66], v[14:15], -v[16:17]
	scratch_load_b128 v[14:17], off, off offset:736
	v_add_f64 v[46:47], v[46:47], v[61:62]
	v_add_f64 v[63:64], v[59:60], v[63:64]
	ds_load_b128 v[59:62], v1 offset:1584
	s_waitcnt vmcnt(9) lgkmcnt(1)
	v_mul_f64 v[91:92], v[2:3], v[20:21]
	v_mul_f64 v[20:21], v[4:5], v[20:21]
	v_add_f64 v[46:47], v[46:47], v[89:90]
	v_add_f64 v[63:64], v[63:64], v[69:70]
	s_waitcnt vmcnt(8) lgkmcnt(0)
	v_mul_f64 v[69:70], v[59:60], v[24:25]
	v_mul_f64 v[24:25], v[61:62], v[24:25]
	v_fma_f64 v[85:86], v[4:5], v[18:19], v[91:92]
	v_fma_f64 v[89:90], v[2:3], v[18:19], -v[20:21]
	ds_load_b128 v[2:5], v1 offset:1600
	scratch_load_b128 v[18:21], off, off offset:752
	v_add_f64 v[46:47], v[46:47], v[65:66]
	v_add_f64 v[67:68], v[63:64], v[67:68]
	ds_load_b128 v[63:66], v1 offset:1616
	s_waitcnt vmcnt(8) lgkmcnt(1)
	v_mul_f64 v[91:92], v[2:3], v[28:29]
	v_mul_f64 v[28:29], v[4:5], v[28:29]
	v_fma_f64 v[61:62], v[61:62], v[22:23], v[69:70]
	v_fma_f64 v[59:60], v[59:60], v[22:23], -v[24:25]
	scratch_load_b128 v[22:25], off, off offset:768
	s_waitcnt vmcnt(8) lgkmcnt(0)
	v_mul_f64 v[69:70], v[63:64], v[32:33]
	v_mul_f64 v[32:33], v[65:66], v[32:33]
	v_add_f64 v[46:47], v[46:47], v[89:90]
	v_add_f64 v[67:68], v[67:68], v[85:86]
	v_fma_f64 v[85:86], v[4:5], v[26:27], v[91:92]
	v_fma_f64 v[89:90], v[2:3], v[26:27], -v[28:29]
	ds_load_b128 v[2:5], v1 offset:1632
	scratch_load_b128 v[26:29], off, off offset:784
	v_fma_f64 v[65:66], v[65:66], v[30:31], v[69:70]
	v_fma_f64 v[63:64], v[63:64], v[30:31], -v[32:33]
	scratch_load_b128 v[30:33], off, off offset:800
	v_add_f64 v[46:47], v[46:47], v[59:60]
	v_add_f64 v[67:68], v[67:68], v[61:62]
	ds_load_b128 v[59:62], v1 offset:1648
	s_waitcnt vmcnt(9) lgkmcnt(1)
	v_mul_f64 v[91:92], v[2:3], v[36:37]
	v_mul_f64 v[36:37], v[4:5], v[36:37]
	s_waitcnt vmcnt(8) lgkmcnt(0)
	v_mul_f64 v[69:70], v[59:60], v[40:41]
	v_mul_f64 v[40:41], v[61:62], v[40:41]
	v_add_f64 v[46:47], v[46:47], v[89:90]
	v_add_f64 v[67:68], v[67:68], v[85:86]
	v_fma_f64 v[85:86], v[4:5], v[34:35], v[91:92]
	v_fma_f64 v[89:90], v[2:3], v[34:35], -v[36:37]
	ds_load_b128 v[2:5], v1 offset:1664
	scratch_load_b128 v[34:37], off, off offset:816
	v_fma_f64 v[61:62], v[61:62], v[38:39], v[69:70]
	v_fma_f64 v[59:60], v[59:60], v[38:39], -v[40:41]
	scratch_load_b128 v[38:41], off, off offset:832
	v_add_f64 v[46:47], v[46:47], v[63:64]
	v_add_f64 v[67:68], v[67:68], v[65:66]
	ds_load_b128 v[63:66], v1 offset:1680
	s_waitcnt vmcnt(9) lgkmcnt(1)
	v_mul_f64 v[91:92], v[2:3], v[44:45]
	v_mul_f64 v[44:45], v[4:5], v[44:45]
	;; [unrolled: 18-line block ×6, first 2 shown]
	s_waitcnt vmcnt(8) lgkmcnt(0)
	v_mul_f64 v[69:70], v[63:64], v[40:41]
	v_mul_f64 v[40:41], v[65:66], v[40:41]
	v_add_f64 v[46:47], v[46:47], v[89:90]
	v_add_f64 v[67:68], v[67:68], v[85:86]
	v_fma_f64 v[85:86], v[4:5], v[34:35], v[91:92]
	v_fma_f64 v[89:90], v[2:3], v[34:35], -v[36:37]
	ds_load_b128 v[2:5], v1 offset:1824
	ds_load_b128 v[34:37], v1 offset:1840
	v_fma_f64 v[65:66], v[65:66], v[38:39], v[69:70]
	v_fma_f64 v[38:39], v[63:64], v[38:39], -v[40:41]
	v_add_f64 v[46:47], v[46:47], v[59:60]
	v_add_f64 v[59:60], v[67:68], v[61:62]
	s_waitcnt vmcnt(7) lgkmcnt(1)
	v_mul_f64 v[61:62], v[2:3], v[44:45]
	v_mul_f64 v[44:45], v[4:5], v[44:45]
	s_delay_alu instid0(VALU_DEP_4) | instskip(NEXT) | instid1(VALU_DEP_4)
	v_add_f64 v[40:41], v[46:47], v[89:90]
	v_add_f64 v[46:47], v[59:60], v[85:86]
	s_waitcnt vmcnt(6) lgkmcnt(0)
	v_mul_f64 v[59:60], v[34:35], v[8:9]
	v_mul_f64 v[8:9], v[36:37], v[8:9]
	v_fma_f64 v[61:62], v[4:5], v[42:43], v[61:62]
	v_fma_f64 v[42:43], v[2:3], v[42:43], -v[44:45]
	v_add_f64 v[44:45], v[40:41], v[38:39]
	v_add_f64 v[46:47], v[46:47], v[65:66]
	ds_load_b128 v[2:5], v1 offset:1856
	ds_load_b128 v[38:41], v1 offset:1872
	v_fma_f64 v[36:37], v[36:37], v[6:7], v[59:60]
	v_fma_f64 v[6:7], v[34:35], v[6:7], -v[8:9]
	s_waitcnt vmcnt(5) lgkmcnt(1)
	v_mul_f64 v[63:64], v[2:3], v[12:13]
	v_mul_f64 v[12:13], v[4:5], v[12:13]
	v_add_f64 v[8:9], v[44:45], v[42:43]
	v_add_f64 v[34:35], v[46:47], v[61:62]
	s_waitcnt vmcnt(4) lgkmcnt(0)
	v_mul_f64 v[42:43], v[38:39], v[16:17]
	v_mul_f64 v[16:17], v[40:41], v[16:17]
	v_fma_f64 v[44:45], v[4:5], v[10:11], v[63:64]
	v_fma_f64 v[10:11], v[2:3], v[10:11], -v[12:13]
	v_add_f64 v[12:13], v[8:9], v[6:7]
	v_add_f64 v[34:35], v[34:35], v[36:37]
	ds_load_b128 v[2:5], v1 offset:1888
	ds_load_b128 v[6:9], v1 offset:1904
	v_fma_f64 v[40:41], v[40:41], v[14:15], v[42:43]
	v_fma_f64 v[14:15], v[38:39], v[14:15], -v[16:17]
	s_waitcnt vmcnt(3) lgkmcnt(1)
	v_mul_f64 v[36:37], v[2:3], v[20:21]
	v_mul_f64 v[20:21], v[4:5], v[20:21]
	s_waitcnt vmcnt(2) lgkmcnt(0)
	v_mul_f64 v[16:17], v[6:7], v[24:25]
	v_mul_f64 v[24:25], v[8:9], v[24:25]
	v_add_f64 v[10:11], v[12:13], v[10:11]
	v_add_f64 v[12:13], v[34:35], v[44:45]
	v_fma_f64 v[34:35], v[4:5], v[18:19], v[36:37]
	v_fma_f64 v[18:19], v[2:3], v[18:19], -v[20:21]
	v_fma_f64 v[8:9], v[8:9], v[22:23], v[16:17]
	v_fma_f64 v[6:7], v[6:7], v[22:23], -v[24:25]
	v_add_f64 v[14:15], v[10:11], v[14:15]
	v_add_f64 v[20:21], v[12:13], v[40:41]
	ds_load_b128 v[2:5], v1 offset:1920
	ds_load_b128 v[10:13], v1 offset:1936
	s_waitcnt vmcnt(1) lgkmcnt(1)
	v_mul_f64 v[36:37], v[2:3], v[28:29]
	v_mul_f64 v[28:29], v[4:5], v[28:29]
	v_add_f64 v[14:15], v[14:15], v[18:19]
	v_add_f64 v[16:17], v[20:21], v[34:35]
	s_waitcnt vmcnt(0) lgkmcnt(0)
	v_mul_f64 v[18:19], v[10:11], v[32:33]
	v_mul_f64 v[20:21], v[12:13], v[32:33]
	v_fma_f64 v[4:5], v[4:5], v[26:27], v[36:37]
	v_fma_f64 v[1:2], v[2:3], v[26:27], -v[28:29]
	v_add_f64 v[6:7], v[14:15], v[6:7]
	v_add_f64 v[8:9], v[16:17], v[8:9]
	v_fma_f64 v[12:13], v[12:13], v[30:31], v[18:19]
	v_fma_f64 v[10:11], v[10:11], v[30:31], -v[20:21]
	s_delay_alu instid0(VALU_DEP_4) | instskip(NEXT) | instid1(VALU_DEP_4)
	v_add_f64 v[1:2], v[6:7], v[1:2]
	v_add_f64 v[3:4], v[8:9], v[4:5]
	s_delay_alu instid0(VALU_DEP_2) | instskip(NEXT) | instid1(VALU_DEP_2)
	v_add_f64 v[1:2], v[1:2], v[10:11]
	v_add_f64 v[3:4], v[3:4], v[12:13]
	s_delay_alu instid0(VALU_DEP_2) | instskip(NEXT) | instid1(VALU_DEP_2)
	v_add_f64 v[1:2], v[55:56], -v[1:2]
	v_add_f64 v[3:4], v[57:58], -v[3:4]
	scratch_store_b128 off, v[1:4], off offset:352
	v_cmpx_lt_u32_e32 21, v171
	s_cbranch_execz .LBB60_349
; %bb.348:
	scratch_load_b32 v1, off, off offset:980 ; 4-byte Folded Reload
	v_mov_b32_e32 v5, 0
	s_delay_alu instid0(VALU_DEP_1)
	v_mov_b32_e32 v6, v5
	v_mov_b32_e32 v7, v5
	;; [unrolled: 1-line block ×3, first 2 shown]
	s_waitcnt vmcnt(0)
	scratch_load_b128 v[1:4], v1, off
	scratch_store_b128 off, v[5:8], off offset:336
	s_waitcnt vmcnt(0)
	ds_store_b128 v229, v[1:4]
.LBB60_349:
	s_or_b32 exec_lo, exec_lo, s2
	s_waitcnt lgkmcnt(0)
	s_waitcnt_vscnt null, 0x0
	s_barrier
	buffer_gl0_inv
	s_clause 0x7
	scratch_load_b128 v[2:5], off, off offset:352
	scratch_load_b128 v[6:9], off, off offset:368
	;; [unrolled: 1-line block ×8, first 2 shown]
	v_mov_b32_e32 v1, 0
	s_mov_b32 s2, exec_lo
	ds_load_b128 v[38:41], v1 offset:1328
	s_clause 0x1
	scratch_load_b128 v[34:37], off, off offset:480
	scratch_load_b128 v[42:45], off, off offset:336
	ds_load_b128 v[55:58], v1 offset:1344
	scratch_load_b128 v[59:62], off, off offset:496
	ds_load_b128 v[63:66], v1 offset:1376
	s_waitcnt vmcnt(10) lgkmcnt(2)
	v_mul_f64 v[46:47], v[40:41], v[4:5]
	v_mul_f64 v[4:5], v[38:39], v[4:5]
	s_delay_alu instid0(VALU_DEP_2) | instskip(NEXT) | instid1(VALU_DEP_2)
	v_fma_f64 v[46:47], v[38:39], v[2:3], -v[46:47]
	v_fma_f64 v[69:70], v[40:41], v[2:3], v[4:5]
	ds_load_b128 v[2:5], v1 offset:1360
	s_waitcnt vmcnt(9) lgkmcnt(2)
	v_mul_f64 v[67:68], v[55:56], v[8:9]
	v_mul_f64 v[8:9], v[57:58], v[8:9]
	scratch_load_b128 v[38:41], off, off offset:512
	s_waitcnt vmcnt(9) lgkmcnt(0)
	v_mul_f64 v[85:86], v[2:3], v[12:13]
	v_mul_f64 v[12:13], v[4:5], v[12:13]
	v_add_f64 v[46:47], v[46:47], 0
	v_fma_f64 v[57:58], v[57:58], v[6:7], v[67:68]
	v_fma_f64 v[55:56], v[55:56], v[6:7], -v[8:9]
	v_add_f64 v[67:68], v[69:70], 0
	scratch_load_b128 v[6:9], off, off offset:528
	v_fma_f64 v[85:86], v[4:5], v[10:11], v[85:86]
	v_fma_f64 v[89:90], v[2:3], v[10:11], -v[12:13]
	scratch_load_b128 v[10:13], off, off offset:544
	ds_load_b128 v[2:5], v1 offset:1392
	s_waitcnt vmcnt(10)
	v_mul_f64 v[69:70], v[63:64], v[16:17]
	v_mul_f64 v[16:17], v[65:66], v[16:17]
	v_add_f64 v[46:47], v[46:47], v[55:56]
	v_add_f64 v[67:68], v[67:68], v[57:58]
	ds_load_b128 v[55:58], v1 offset:1408
	s_waitcnt vmcnt(9) lgkmcnt(1)
	v_mul_f64 v[91:92], v[2:3], v[20:21]
	v_mul_f64 v[20:21], v[4:5], v[20:21]
	v_fma_f64 v[65:66], v[65:66], v[14:15], v[69:70]
	v_fma_f64 v[63:64], v[63:64], v[14:15], -v[16:17]
	scratch_load_b128 v[14:17], off, off offset:560
	v_add_f64 v[46:47], v[46:47], v[89:90]
	v_add_f64 v[67:68], v[67:68], v[85:86]
	v_fma_f64 v[85:86], v[4:5], v[18:19], v[91:92]
	v_fma_f64 v[89:90], v[2:3], v[18:19], -v[20:21]
	scratch_load_b128 v[18:21], off, off offset:576
	ds_load_b128 v[2:5], v1 offset:1424
	s_waitcnt vmcnt(10) lgkmcnt(1)
	v_mul_f64 v[69:70], v[55:56], v[24:25]
	v_mul_f64 v[24:25], v[57:58], v[24:25]
	s_waitcnt vmcnt(9) lgkmcnt(0)
	v_mul_f64 v[91:92], v[2:3], v[28:29]
	v_mul_f64 v[28:29], v[4:5], v[28:29]
	v_add_f64 v[46:47], v[46:47], v[63:64]
	v_add_f64 v[67:68], v[67:68], v[65:66]
	ds_load_b128 v[63:66], v1 offset:1440
	v_fma_f64 v[57:58], v[57:58], v[22:23], v[69:70]
	v_fma_f64 v[55:56], v[55:56], v[22:23], -v[24:25]
	scratch_load_b128 v[22:25], off, off offset:592
	v_add_f64 v[46:47], v[46:47], v[89:90]
	v_add_f64 v[67:68], v[67:68], v[85:86]
	v_fma_f64 v[85:86], v[4:5], v[26:27], v[91:92]
	v_fma_f64 v[89:90], v[2:3], v[26:27], -v[28:29]
	scratch_load_b128 v[26:29], off, off offset:608
	ds_load_b128 v[2:5], v1 offset:1456
	s_waitcnt vmcnt(10) lgkmcnt(1)
	v_mul_f64 v[69:70], v[63:64], v[32:33]
	v_mul_f64 v[32:33], v[65:66], v[32:33]
	s_waitcnt vmcnt(9) lgkmcnt(0)
	v_mul_f64 v[91:92], v[2:3], v[36:37]
	v_mul_f64 v[36:37], v[4:5], v[36:37]
	v_add_f64 v[46:47], v[46:47], v[55:56]
	v_add_f64 v[67:68], v[67:68], v[57:58]
	ds_load_b128 v[55:58], v1 offset:1472
	v_fma_f64 v[65:66], v[65:66], v[30:31], v[69:70]
	v_fma_f64 v[63:64], v[63:64], v[30:31], -v[32:33]
	scratch_load_b128 v[30:33], off, off offset:624
	v_add_f64 v[46:47], v[46:47], v[89:90]
	v_add_f64 v[67:68], v[67:68], v[85:86]
	v_fma_f64 v[89:90], v[4:5], v[34:35], v[91:92]
	v_fma_f64 v[91:92], v[2:3], v[34:35], -v[36:37]
	scratch_load_b128 v[34:37], off, off offset:640
	ds_load_b128 v[2:5], v1 offset:1488
	s_waitcnt vmcnt(9) lgkmcnt(1)
	v_mul_f64 v[69:70], v[55:56], v[61:62]
	v_mul_f64 v[85:86], v[57:58], v[61:62]
	v_add_f64 v[46:47], v[46:47], v[63:64]
	v_add_f64 v[65:66], v[67:68], v[65:66]
	ds_load_b128 v[61:64], v1 offset:1504
	v_fma_f64 v[69:70], v[57:58], v[59:60], v[69:70]
	v_fma_f64 v[59:60], v[55:56], v[59:60], -v[85:86]
	scratch_load_b128 v[55:58], off, off offset:656
	s_waitcnt vmcnt(9) lgkmcnt(1)
	v_mul_f64 v[67:68], v[2:3], v[40:41]
	v_mul_f64 v[40:41], v[4:5], v[40:41]
	v_add_f64 v[46:47], v[46:47], v[91:92]
	v_add_f64 v[65:66], v[65:66], v[89:90]
	s_delay_alu instid0(VALU_DEP_4) | instskip(NEXT) | instid1(VALU_DEP_4)
	v_fma_f64 v[89:90], v[4:5], v[38:39], v[67:68]
	v_fma_f64 v[91:92], v[2:3], v[38:39], -v[40:41]
	scratch_load_b128 v[38:41], off, off offset:672
	ds_load_b128 v[2:5], v1 offset:1520
	s_waitcnt vmcnt(9) lgkmcnt(1)
	v_mul_f64 v[85:86], v[61:62], v[8:9]
	v_mul_f64 v[8:9], v[63:64], v[8:9]
	v_add_f64 v[46:47], v[46:47], v[59:60]
	v_add_f64 v[59:60], v[65:66], v[69:70]
	s_waitcnt vmcnt(8) lgkmcnt(0)
	v_mul_f64 v[69:70], v[2:3], v[12:13]
	v_mul_f64 v[12:13], v[4:5], v[12:13]
	ds_load_b128 v[65:68], v1 offset:1536
	v_fma_f64 v[63:64], v[63:64], v[6:7], v[85:86]
	v_fma_f64 v[61:62], v[61:62], v[6:7], -v[8:9]
	scratch_load_b128 v[6:9], off, off offset:688
	v_add_f64 v[46:47], v[46:47], v[91:92]
	v_add_f64 v[59:60], v[59:60], v[89:90]
	v_fma_f64 v[69:70], v[4:5], v[10:11], v[69:70]
	v_fma_f64 v[89:90], v[2:3], v[10:11], -v[12:13]
	scratch_load_b128 v[10:13], off, off offset:704
	ds_load_b128 v[2:5], v1 offset:1552
	s_waitcnt vmcnt(9) lgkmcnt(1)
	v_mul_f64 v[85:86], v[65:66], v[16:17]
	v_mul_f64 v[16:17], v[67:68], v[16:17]
	s_waitcnt vmcnt(8) lgkmcnt(0)
	v_mul_f64 v[91:92], v[2:3], v[20:21]
	v_mul_f64 v[20:21], v[4:5], v[20:21]
	v_add_f64 v[46:47], v[46:47], v[61:62]
	v_add_f64 v[63:64], v[59:60], v[63:64]
	ds_load_b128 v[59:62], v1 offset:1568
	v_fma_f64 v[67:68], v[67:68], v[14:15], v[85:86]
	v_fma_f64 v[65:66], v[65:66], v[14:15], -v[16:17]
	scratch_load_b128 v[14:17], off, off offset:720
	v_fma_f64 v[85:86], v[4:5], v[18:19], v[91:92]
	v_add_f64 v[46:47], v[46:47], v[89:90]
	v_add_f64 v[63:64], v[63:64], v[69:70]
	v_fma_f64 v[89:90], v[2:3], v[18:19], -v[20:21]
	scratch_load_b128 v[18:21], off, off offset:736
	ds_load_b128 v[2:5], v1 offset:1584
	s_waitcnt vmcnt(9) lgkmcnt(1)
	v_mul_f64 v[69:70], v[59:60], v[24:25]
	v_mul_f64 v[24:25], v[61:62], v[24:25]
	s_waitcnt vmcnt(8) lgkmcnt(0)
	v_mul_f64 v[91:92], v[2:3], v[28:29]
	v_mul_f64 v[28:29], v[4:5], v[28:29]
	v_add_f64 v[46:47], v[46:47], v[65:66]
	v_add_f64 v[67:68], v[63:64], v[67:68]
	ds_load_b128 v[63:66], v1 offset:1600
	v_fma_f64 v[61:62], v[61:62], v[22:23], v[69:70]
	v_fma_f64 v[59:60], v[59:60], v[22:23], -v[24:25]
	scratch_load_b128 v[22:25], off, off offset:752
	v_add_f64 v[46:47], v[46:47], v[89:90]
	v_add_f64 v[67:68], v[67:68], v[85:86]
	v_fma_f64 v[85:86], v[4:5], v[26:27], v[91:92]
	v_fma_f64 v[89:90], v[2:3], v[26:27], -v[28:29]
	scratch_load_b128 v[26:29], off, off offset:768
	ds_load_b128 v[2:5], v1 offset:1616
	s_waitcnt vmcnt(9) lgkmcnt(1)
	v_mul_f64 v[69:70], v[63:64], v[32:33]
	v_mul_f64 v[32:33], v[65:66], v[32:33]
	s_waitcnt vmcnt(8) lgkmcnt(0)
	v_mul_f64 v[91:92], v[2:3], v[36:37]
	v_mul_f64 v[36:37], v[4:5], v[36:37]
	v_add_f64 v[46:47], v[46:47], v[59:60]
	v_add_f64 v[67:68], v[67:68], v[61:62]
	ds_load_b128 v[59:62], v1 offset:1632
	v_fma_f64 v[65:66], v[65:66], v[30:31], v[69:70]
	v_fma_f64 v[63:64], v[63:64], v[30:31], -v[32:33]
	scratch_load_b128 v[30:33], off, off offset:784
	v_add_f64 v[46:47], v[46:47], v[89:90]
	v_add_f64 v[67:68], v[67:68], v[85:86]
	v_fma_f64 v[85:86], v[4:5], v[34:35], v[91:92]
	;; [unrolled: 18-line block ×7, first 2 shown]
	v_fma_f64 v[91:92], v[2:3], v[34:35], -v[36:37]
	scratch_load_b128 v[34:37], off, off offset:960
	ds_load_b128 v[2:5], v1 offset:1808
	s_waitcnt vmcnt(9) lgkmcnt(1)
	v_mul_f64 v[69:70], v[63:64], v[57:58]
	v_mul_f64 v[85:86], v[65:66], v[57:58]
	v_add_f64 v[46:47], v[46:47], v[59:60]
	v_add_f64 v[61:62], v[67:68], v[61:62]
	s_waitcnt vmcnt(8) lgkmcnt(0)
	v_mul_f64 v[67:68], v[2:3], v[40:41]
	v_mul_f64 v[40:41], v[4:5], v[40:41]
	ds_load_b128 v[57:60], v1 offset:1824
	v_fma_f64 v[65:66], v[65:66], v[55:56], v[69:70]
	v_fma_f64 v[55:56], v[63:64], v[55:56], -v[85:86]
	s_waitcnt vmcnt(7) lgkmcnt(0)
	v_mul_f64 v[63:64], v[57:58], v[8:9]
	v_mul_f64 v[8:9], v[59:60], v[8:9]
	v_add_f64 v[46:47], v[46:47], v[91:92]
	v_add_f64 v[61:62], v[61:62], v[89:90]
	v_fma_f64 v[67:68], v[4:5], v[38:39], v[67:68]
	v_fma_f64 v[69:70], v[2:3], v[38:39], -v[40:41]
	ds_load_b128 v[2:5], v1 offset:1840
	ds_load_b128 v[38:41], v1 offset:1856
	v_fma_f64 v[59:60], v[59:60], v[6:7], v[63:64]
	v_fma_f64 v[6:7], v[57:58], v[6:7], -v[8:9]
	v_add_f64 v[46:47], v[46:47], v[55:56]
	v_add_f64 v[55:56], v[61:62], v[65:66]
	s_waitcnt vmcnt(6) lgkmcnt(1)
	v_mul_f64 v[61:62], v[2:3], v[12:13]
	v_mul_f64 v[12:13], v[4:5], v[12:13]
	s_delay_alu instid0(VALU_DEP_4) | instskip(NEXT) | instid1(VALU_DEP_4)
	v_add_f64 v[8:9], v[46:47], v[69:70]
	v_add_f64 v[46:47], v[55:56], v[67:68]
	s_waitcnt vmcnt(5) lgkmcnt(0)
	v_mul_f64 v[55:56], v[38:39], v[16:17]
	v_mul_f64 v[16:17], v[40:41], v[16:17]
	v_fma_f64 v[57:58], v[4:5], v[10:11], v[61:62]
	v_fma_f64 v[10:11], v[2:3], v[10:11], -v[12:13]
	v_add_f64 v[12:13], v[8:9], v[6:7]
	v_add_f64 v[46:47], v[46:47], v[59:60]
	ds_load_b128 v[2:5], v1 offset:1872
	ds_load_b128 v[6:9], v1 offset:1888
	v_fma_f64 v[40:41], v[40:41], v[14:15], v[55:56]
	v_fma_f64 v[14:15], v[38:39], v[14:15], -v[16:17]
	s_waitcnt vmcnt(4) lgkmcnt(1)
	v_mul_f64 v[59:60], v[2:3], v[20:21]
	v_mul_f64 v[20:21], v[4:5], v[20:21]
	s_waitcnt vmcnt(3) lgkmcnt(0)
	v_mul_f64 v[16:17], v[6:7], v[24:25]
	v_mul_f64 v[24:25], v[8:9], v[24:25]
	v_add_f64 v[10:11], v[12:13], v[10:11]
	v_add_f64 v[12:13], v[46:47], v[57:58]
	v_fma_f64 v[38:39], v[4:5], v[18:19], v[59:60]
	v_fma_f64 v[18:19], v[2:3], v[18:19], -v[20:21]
	v_fma_f64 v[8:9], v[8:9], v[22:23], v[16:17]
	v_fma_f64 v[6:7], v[6:7], v[22:23], -v[24:25]
	v_add_f64 v[14:15], v[10:11], v[14:15]
	v_add_f64 v[20:21], v[12:13], v[40:41]
	ds_load_b128 v[2:5], v1 offset:1904
	ds_load_b128 v[10:13], v1 offset:1920
	s_waitcnt vmcnt(2) lgkmcnt(1)
	v_mul_f64 v[40:41], v[2:3], v[28:29]
	v_mul_f64 v[28:29], v[4:5], v[28:29]
	v_add_f64 v[14:15], v[14:15], v[18:19]
	v_add_f64 v[16:17], v[20:21], v[38:39]
	s_waitcnt vmcnt(1) lgkmcnt(0)
	v_mul_f64 v[18:19], v[10:11], v[32:33]
	v_mul_f64 v[20:21], v[12:13], v[32:33]
	v_fma_f64 v[22:23], v[4:5], v[26:27], v[40:41]
	v_fma_f64 v[24:25], v[2:3], v[26:27], -v[28:29]
	ds_load_b128 v[2:5], v1 offset:1936
	v_add_f64 v[6:7], v[14:15], v[6:7]
	v_add_f64 v[8:9], v[16:17], v[8:9]
	v_fma_f64 v[12:13], v[12:13], v[30:31], v[18:19]
	v_fma_f64 v[10:11], v[10:11], v[30:31], -v[20:21]
	s_waitcnt vmcnt(0) lgkmcnt(0)
	v_mul_f64 v[14:15], v[2:3], v[36:37]
	v_mul_f64 v[16:17], v[4:5], v[36:37]
	v_add_f64 v[6:7], v[6:7], v[24:25]
	v_add_f64 v[8:9], v[8:9], v[22:23]
	s_delay_alu instid0(VALU_DEP_4) | instskip(NEXT) | instid1(VALU_DEP_4)
	v_fma_f64 v[4:5], v[4:5], v[34:35], v[14:15]
	v_fma_f64 v[2:3], v[2:3], v[34:35], -v[16:17]
	s_delay_alu instid0(VALU_DEP_4) | instskip(NEXT) | instid1(VALU_DEP_4)
	v_add_f64 v[6:7], v[6:7], v[10:11]
	v_add_f64 v[8:9], v[8:9], v[12:13]
	s_delay_alu instid0(VALU_DEP_2) | instskip(NEXT) | instid1(VALU_DEP_2)
	v_add_f64 v[2:3], v[6:7], v[2:3]
	v_add_f64 v[4:5], v[8:9], v[4:5]
	s_delay_alu instid0(VALU_DEP_2) | instskip(NEXT) | instid1(VALU_DEP_2)
	v_add_f64 v[2:3], v[42:43], -v[2:3]
	v_add_f64 v[4:5], v[44:45], -v[4:5]
	scratch_store_b128 off, v[2:5], off offset:336
	v_cmpx_lt_u32_e32 20, v171
	s_cbranch_execz .LBB60_351
; %bb.350:
	scratch_load_b32 v2, off, off offset:984 ; 4-byte Folded Reload
	v_mov_b32_e32 v3, v1
	v_mov_b32_e32 v4, v1
	s_waitcnt vmcnt(0)
	scratch_load_b128 v[5:8], v2, off
	v_mov_b32_e32 v2, v1
	scratch_store_b128 off, v[1:4], off offset:320
	s_waitcnt vmcnt(0)
	ds_store_b128 v229, v[5:8]
.LBB60_351:
	s_or_b32 exec_lo, exec_lo, s2
	s_waitcnt lgkmcnt(0)
	s_waitcnt_vscnt null, 0x0
	s_barrier
	buffer_gl0_inv
	s_clause 0x8
	scratch_load_b128 v[2:5], off, off offset:336
	scratch_load_b128 v[6:9], off, off offset:352
	;; [unrolled: 1-line block ×9, first 2 shown]
	ds_load_b128 v[42:45], v1 offset:1312
	ds_load_b128 v[38:41], v1 offset:1328
	s_clause 0x1
	scratch_load_b128 v[55:58], off, off offset:320
	scratch_load_b128 v[59:62], off, off offset:480
	s_mov_b32 s2, exec_lo
	ds_load_b128 v[63:66], v1 offset:1360
	s_waitcnt vmcnt(10) lgkmcnt(2)
	v_mul_f64 v[46:47], v[44:45], v[4:5]
	v_mul_f64 v[4:5], v[42:43], v[4:5]
	s_waitcnt vmcnt(9) lgkmcnt(1)
	v_mul_f64 v[67:68], v[38:39], v[8:9]
	v_mul_f64 v[8:9], v[40:41], v[8:9]
	s_delay_alu instid0(VALU_DEP_4) | instskip(NEXT) | instid1(VALU_DEP_4)
	v_fma_f64 v[46:47], v[42:43], v[2:3], -v[46:47]
	v_fma_f64 v[69:70], v[44:45], v[2:3], v[4:5]
	ds_load_b128 v[2:5], v1 offset:1344
	scratch_load_b128 v[42:45], off, off offset:496
	v_fma_f64 v[40:41], v[40:41], v[6:7], v[67:68]
	v_fma_f64 v[38:39], v[38:39], v[6:7], -v[8:9]
	scratch_load_b128 v[6:9], off, off offset:512
	s_waitcnt vmcnt(10) lgkmcnt(0)
	v_mul_f64 v[85:86], v[2:3], v[12:13]
	v_mul_f64 v[12:13], v[4:5], v[12:13]
	v_add_f64 v[46:47], v[46:47], 0
	v_add_f64 v[67:68], v[69:70], 0
	s_waitcnt vmcnt(9)
	v_mul_f64 v[69:70], v[63:64], v[16:17]
	v_mul_f64 v[16:17], v[65:66], v[16:17]
	v_fma_f64 v[85:86], v[4:5], v[10:11], v[85:86]
	v_fma_f64 v[89:90], v[2:3], v[10:11], -v[12:13]
	ds_load_b128 v[2:5], v1 offset:1376
	scratch_load_b128 v[10:13], off, off offset:528
	v_add_f64 v[46:47], v[46:47], v[38:39]
	v_add_f64 v[67:68], v[67:68], v[40:41]
	ds_load_b128 v[38:41], v1 offset:1392
	v_fma_f64 v[65:66], v[65:66], v[14:15], v[69:70]
	v_fma_f64 v[63:64], v[63:64], v[14:15], -v[16:17]
	scratch_load_b128 v[14:17], off, off offset:544
	s_waitcnt vmcnt(10) lgkmcnt(1)
	v_mul_f64 v[91:92], v[2:3], v[20:21]
	v_mul_f64 v[20:21], v[4:5], v[20:21]
	s_waitcnt vmcnt(9) lgkmcnt(0)
	v_mul_f64 v[69:70], v[38:39], v[24:25]
	v_mul_f64 v[24:25], v[40:41], v[24:25]
	v_add_f64 v[46:47], v[46:47], v[89:90]
	v_add_f64 v[67:68], v[67:68], v[85:86]
	v_fma_f64 v[85:86], v[4:5], v[18:19], v[91:92]
	v_fma_f64 v[89:90], v[2:3], v[18:19], -v[20:21]
	ds_load_b128 v[2:5], v1 offset:1408
	scratch_load_b128 v[18:21], off, off offset:560
	v_fma_f64 v[40:41], v[40:41], v[22:23], v[69:70]
	v_fma_f64 v[38:39], v[38:39], v[22:23], -v[24:25]
	scratch_load_b128 v[22:25], off, off offset:576
	v_add_f64 v[46:47], v[46:47], v[63:64]
	v_add_f64 v[67:68], v[67:68], v[65:66]
	ds_load_b128 v[63:66], v1 offset:1424
	s_waitcnt vmcnt(10) lgkmcnt(1)
	v_mul_f64 v[91:92], v[2:3], v[28:29]
	v_mul_f64 v[28:29], v[4:5], v[28:29]
	s_waitcnt vmcnt(9) lgkmcnt(0)
	v_mul_f64 v[69:70], v[63:64], v[32:33]
	v_mul_f64 v[32:33], v[65:66], v[32:33]
	v_add_f64 v[46:47], v[46:47], v[89:90]
	v_add_f64 v[67:68], v[67:68], v[85:86]
	v_fma_f64 v[85:86], v[4:5], v[26:27], v[91:92]
	v_fma_f64 v[89:90], v[2:3], v[26:27], -v[28:29]
	ds_load_b128 v[2:5], v1 offset:1440
	scratch_load_b128 v[26:29], off, off offset:592
	v_fma_f64 v[65:66], v[65:66], v[30:31], v[69:70]
	v_fma_f64 v[63:64], v[63:64], v[30:31], -v[32:33]
	scratch_load_b128 v[30:33], off, off offset:608
	v_add_f64 v[46:47], v[46:47], v[38:39]
	v_add_f64 v[67:68], v[67:68], v[40:41]
	ds_load_b128 v[38:41], v1 offset:1456
	s_waitcnt vmcnt(10) lgkmcnt(1)
	v_mul_f64 v[91:92], v[2:3], v[36:37]
	v_mul_f64 v[36:37], v[4:5], v[36:37]
	s_waitcnt vmcnt(8) lgkmcnt(0)
	v_mul_f64 v[69:70], v[38:39], v[61:62]
	v_add_f64 v[46:47], v[46:47], v[89:90]
	v_add_f64 v[67:68], v[67:68], v[85:86]
	v_mul_f64 v[85:86], v[40:41], v[61:62]
	v_fma_f64 v[89:90], v[4:5], v[34:35], v[91:92]
	v_fma_f64 v[91:92], v[2:3], v[34:35], -v[36:37]
	ds_load_b128 v[2:5], v1 offset:1472
	scratch_load_b128 v[34:37], off, off offset:624
	v_fma_f64 v[69:70], v[40:41], v[59:60], v[69:70]
	v_add_f64 v[46:47], v[46:47], v[63:64]
	v_add_f64 v[65:66], v[67:68], v[65:66]
	ds_load_b128 v[61:64], v1 offset:1488
	v_fma_f64 v[59:60], v[38:39], v[59:60], -v[85:86]
	scratch_load_b128 v[38:41], off, off offset:640
	s_waitcnt vmcnt(9) lgkmcnt(1)
	v_mul_f64 v[67:68], v[2:3], v[44:45]
	v_mul_f64 v[44:45], v[4:5], v[44:45]
	s_waitcnt vmcnt(8) lgkmcnt(0)
	v_mul_f64 v[85:86], v[61:62], v[8:9]
	v_mul_f64 v[8:9], v[63:64], v[8:9]
	v_add_f64 v[46:47], v[46:47], v[91:92]
	v_add_f64 v[65:66], v[65:66], v[89:90]
	v_fma_f64 v[89:90], v[4:5], v[42:43], v[67:68]
	v_fma_f64 v[91:92], v[2:3], v[42:43], -v[44:45]
	ds_load_b128 v[2:5], v1 offset:1504
	scratch_load_b128 v[42:45], off, off offset:656
	v_fma_f64 v[63:64], v[63:64], v[6:7], v[85:86]
	v_fma_f64 v[61:62], v[61:62], v[6:7], -v[8:9]
	scratch_load_b128 v[6:9], off, off offset:672
	v_add_f64 v[46:47], v[46:47], v[59:60]
	v_add_f64 v[59:60], v[65:66], v[69:70]
	ds_load_b128 v[65:68], v1 offset:1520
	s_waitcnt vmcnt(9) lgkmcnt(1)
	v_mul_f64 v[69:70], v[2:3], v[12:13]
	v_mul_f64 v[12:13], v[4:5], v[12:13]
	s_waitcnt vmcnt(8) lgkmcnt(0)
	v_mul_f64 v[85:86], v[65:66], v[16:17]
	v_mul_f64 v[16:17], v[67:68], v[16:17]
	v_add_f64 v[46:47], v[46:47], v[91:92]
	v_add_f64 v[59:60], v[59:60], v[89:90]
	v_fma_f64 v[69:70], v[4:5], v[10:11], v[69:70]
	v_fma_f64 v[89:90], v[2:3], v[10:11], -v[12:13]
	ds_load_b128 v[2:5], v1 offset:1536
	scratch_load_b128 v[10:13], off, off offset:688
	v_fma_f64 v[67:68], v[67:68], v[14:15], v[85:86]
	v_fma_f64 v[65:66], v[65:66], v[14:15], -v[16:17]
	scratch_load_b128 v[14:17], off, off offset:704
	v_add_f64 v[46:47], v[46:47], v[61:62]
	v_add_f64 v[63:64], v[59:60], v[63:64]
	ds_load_b128 v[59:62], v1 offset:1552
	s_waitcnt vmcnt(9) lgkmcnt(1)
	v_mul_f64 v[91:92], v[2:3], v[20:21]
	v_mul_f64 v[20:21], v[4:5], v[20:21]
	v_add_f64 v[46:47], v[46:47], v[89:90]
	v_add_f64 v[63:64], v[63:64], v[69:70]
	s_waitcnt vmcnt(8) lgkmcnt(0)
	v_mul_f64 v[69:70], v[59:60], v[24:25]
	v_mul_f64 v[24:25], v[61:62], v[24:25]
	v_fma_f64 v[85:86], v[4:5], v[18:19], v[91:92]
	v_fma_f64 v[89:90], v[2:3], v[18:19], -v[20:21]
	ds_load_b128 v[2:5], v1 offset:1568
	scratch_load_b128 v[18:21], off, off offset:720
	v_add_f64 v[46:47], v[46:47], v[65:66]
	v_add_f64 v[67:68], v[63:64], v[67:68]
	ds_load_b128 v[63:66], v1 offset:1584
	s_waitcnt vmcnt(8) lgkmcnt(1)
	v_mul_f64 v[91:92], v[2:3], v[28:29]
	v_mul_f64 v[28:29], v[4:5], v[28:29]
	v_fma_f64 v[61:62], v[61:62], v[22:23], v[69:70]
	v_fma_f64 v[59:60], v[59:60], v[22:23], -v[24:25]
	scratch_load_b128 v[22:25], off, off offset:736
	s_waitcnt vmcnt(8) lgkmcnt(0)
	v_mul_f64 v[69:70], v[63:64], v[32:33]
	v_mul_f64 v[32:33], v[65:66], v[32:33]
	v_add_f64 v[46:47], v[46:47], v[89:90]
	v_add_f64 v[67:68], v[67:68], v[85:86]
	v_fma_f64 v[85:86], v[4:5], v[26:27], v[91:92]
	v_fma_f64 v[89:90], v[2:3], v[26:27], -v[28:29]
	ds_load_b128 v[2:5], v1 offset:1600
	scratch_load_b128 v[26:29], off, off offset:752
	v_fma_f64 v[65:66], v[65:66], v[30:31], v[69:70]
	v_fma_f64 v[63:64], v[63:64], v[30:31], -v[32:33]
	scratch_load_b128 v[30:33], off, off offset:768
	v_add_f64 v[46:47], v[46:47], v[59:60]
	v_add_f64 v[67:68], v[67:68], v[61:62]
	ds_load_b128 v[59:62], v1 offset:1616
	s_waitcnt vmcnt(9) lgkmcnt(1)
	v_mul_f64 v[91:92], v[2:3], v[36:37]
	v_mul_f64 v[36:37], v[4:5], v[36:37]
	s_waitcnt vmcnt(8) lgkmcnt(0)
	v_mul_f64 v[69:70], v[59:60], v[40:41]
	v_mul_f64 v[40:41], v[61:62], v[40:41]
	v_add_f64 v[46:47], v[46:47], v[89:90]
	v_add_f64 v[67:68], v[67:68], v[85:86]
	v_fma_f64 v[85:86], v[4:5], v[34:35], v[91:92]
	v_fma_f64 v[89:90], v[2:3], v[34:35], -v[36:37]
	ds_load_b128 v[2:5], v1 offset:1632
	scratch_load_b128 v[34:37], off, off offset:784
	v_fma_f64 v[61:62], v[61:62], v[38:39], v[69:70]
	v_fma_f64 v[59:60], v[59:60], v[38:39], -v[40:41]
	scratch_load_b128 v[38:41], off, off offset:800
	v_add_f64 v[46:47], v[46:47], v[63:64]
	v_add_f64 v[67:68], v[67:68], v[65:66]
	ds_load_b128 v[63:66], v1 offset:1648
	s_waitcnt vmcnt(9) lgkmcnt(1)
	v_mul_f64 v[91:92], v[2:3], v[44:45]
	v_mul_f64 v[44:45], v[4:5], v[44:45]
	;; [unrolled: 18-line block ×7, first 2 shown]
	s_waitcnt vmcnt(8) lgkmcnt(0)
	v_mul_f64 v[69:70], v[59:60], v[8:9]
	v_mul_f64 v[8:9], v[61:62], v[8:9]
	v_add_f64 v[46:47], v[46:47], v[89:90]
	v_add_f64 v[67:68], v[67:68], v[85:86]
	v_fma_f64 v[85:86], v[4:5], v[42:43], v[91:92]
	v_fma_f64 v[89:90], v[2:3], v[42:43], -v[44:45]
	ds_load_b128 v[2:5], v1 offset:1824
	ds_load_b128 v[42:45], v1 offset:1840
	v_fma_f64 v[61:62], v[61:62], v[6:7], v[69:70]
	v_fma_f64 v[6:7], v[59:60], v[6:7], -v[8:9]
	v_add_f64 v[46:47], v[46:47], v[63:64]
	v_add_f64 v[63:64], v[67:68], v[65:66]
	s_waitcnt vmcnt(7) lgkmcnt(1)
	v_mul_f64 v[65:66], v[2:3], v[12:13]
	v_mul_f64 v[12:13], v[4:5], v[12:13]
	s_waitcnt vmcnt(6) lgkmcnt(0)
	v_mul_f64 v[59:60], v[42:43], v[16:17]
	v_mul_f64 v[16:17], v[44:45], v[16:17]
	v_add_f64 v[8:9], v[46:47], v[89:90]
	v_add_f64 v[46:47], v[63:64], v[85:86]
	v_fma_f64 v[63:64], v[4:5], v[10:11], v[65:66]
	v_fma_f64 v[10:11], v[2:3], v[10:11], -v[12:13]
	v_fma_f64 v[44:45], v[44:45], v[14:15], v[59:60]
	v_fma_f64 v[14:15], v[42:43], v[14:15], -v[16:17]
	v_add_f64 v[12:13], v[8:9], v[6:7]
	v_add_f64 v[46:47], v[46:47], v[61:62]
	ds_load_b128 v[2:5], v1 offset:1856
	ds_load_b128 v[6:9], v1 offset:1872
	s_waitcnt vmcnt(5) lgkmcnt(1)
	v_mul_f64 v[61:62], v[2:3], v[20:21]
	v_mul_f64 v[20:21], v[4:5], v[20:21]
	s_waitcnt vmcnt(4) lgkmcnt(0)
	v_mul_f64 v[16:17], v[6:7], v[24:25]
	v_mul_f64 v[24:25], v[8:9], v[24:25]
	v_add_f64 v[10:11], v[12:13], v[10:11]
	v_add_f64 v[12:13], v[46:47], v[63:64]
	v_fma_f64 v[42:43], v[4:5], v[18:19], v[61:62]
	v_fma_f64 v[18:19], v[2:3], v[18:19], -v[20:21]
	v_fma_f64 v[8:9], v[8:9], v[22:23], v[16:17]
	v_fma_f64 v[6:7], v[6:7], v[22:23], -v[24:25]
	v_add_f64 v[14:15], v[10:11], v[14:15]
	v_add_f64 v[20:21], v[12:13], v[44:45]
	ds_load_b128 v[2:5], v1 offset:1888
	ds_load_b128 v[10:13], v1 offset:1904
	s_waitcnt vmcnt(3) lgkmcnt(1)
	v_mul_f64 v[44:45], v[2:3], v[28:29]
	v_mul_f64 v[28:29], v[4:5], v[28:29]
	v_add_f64 v[14:15], v[14:15], v[18:19]
	v_add_f64 v[16:17], v[20:21], v[42:43]
	s_waitcnt vmcnt(2) lgkmcnt(0)
	v_mul_f64 v[18:19], v[10:11], v[32:33]
	v_mul_f64 v[20:21], v[12:13], v[32:33]
	v_fma_f64 v[22:23], v[4:5], v[26:27], v[44:45]
	v_fma_f64 v[24:25], v[2:3], v[26:27], -v[28:29]
	v_add_f64 v[14:15], v[14:15], v[6:7]
	v_add_f64 v[16:17], v[16:17], v[8:9]
	ds_load_b128 v[2:5], v1 offset:1920
	ds_load_b128 v[6:9], v1 offset:1936
	v_fma_f64 v[12:13], v[12:13], v[30:31], v[18:19]
	v_fma_f64 v[10:11], v[10:11], v[30:31], -v[20:21]
	s_waitcnt vmcnt(1) lgkmcnt(1)
	v_mul_f64 v[26:27], v[2:3], v[36:37]
	v_mul_f64 v[28:29], v[4:5], v[36:37]
	s_waitcnt vmcnt(0) lgkmcnt(0)
	v_mul_f64 v[18:19], v[6:7], v[40:41]
	v_mul_f64 v[20:21], v[8:9], v[40:41]
	v_add_f64 v[14:15], v[14:15], v[24:25]
	v_add_f64 v[16:17], v[16:17], v[22:23]
	v_fma_f64 v[4:5], v[4:5], v[34:35], v[26:27]
	v_fma_f64 v[1:2], v[2:3], v[34:35], -v[28:29]
	v_fma_f64 v[8:9], v[8:9], v[38:39], v[18:19]
	v_fma_f64 v[6:7], v[6:7], v[38:39], -v[20:21]
	v_add_f64 v[10:11], v[14:15], v[10:11]
	v_add_f64 v[12:13], v[16:17], v[12:13]
	s_delay_alu instid0(VALU_DEP_2) | instskip(NEXT) | instid1(VALU_DEP_2)
	v_add_f64 v[1:2], v[10:11], v[1:2]
	v_add_f64 v[3:4], v[12:13], v[4:5]
	s_delay_alu instid0(VALU_DEP_2) | instskip(NEXT) | instid1(VALU_DEP_2)
	;; [unrolled: 3-line block ×3, first 2 shown]
	v_add_f64 v[1:2], v[55:56], -v[1:2]
	v_add_f64 v[3:4], v[57:58], -v[3:4]
	scratch_store_b128 off, v[1:4], off offset:320
	v_cmpx_lt_u32_e32 19, v171
	s_cbranch_execz .LBB60_353
; %bb.352:
	scratch_load_b32 v1, off, off offset:988 ; 4-byte Folded Reload
	v_mov_b32_e32 v5, 0
	s_delay_alu instid0(VALU_DEP_1)
	v_mov_b32_e32 v6, v5
	v_mov_b32_e32 v7, v5
	;; [unrolled: 1-line block ×3, first 2 shown]
	s_waitcnt vmcnt(0)
	scratch_load_b128 v[1:4], v1, off
	scratch_store_b128 off, v[5:8], off offset:304
	s_waitcnt vmcnt(0)
	ds_store_b128 v229, v[1:4]
.LBB60_353:
	s_or_b32 exec_lo, exec_lo, s2
	s_waitcnt lgkmcnt(0)
	s_waitcnt_vscnt null, 0x0
	s_barrier
	buffer_gl0_inv
	s_clause 0x7
	scratch_load_b128 v[2:5], off, off offset:320
	scratch_load_b128 v[6:9], off, off offset:336
	;; [unrolled: 1-line block ×8, first 2 shown]
	v_mov_b32_e32 v1, 0
	s_mov_b32 s2, exec_lo
	ds_load_b128 v[38:41], v1 offset:1296
	s_clause 0x1
	scratch_load_b128 v[34:37], off, off offset:448
	scratch_load_b128 v[42:45], off, off offset:304
	ds_load_b128 v[55:58], v1 offset:1312
	scratch_load_b128 v[59:62], off, off offset:464
	ds_load_b128 v[63:66], v1 offset:1344
	s_waitcnt vmcnt(10) lgkmcnt(2)
	v_mul_f64 v[46:47], v[40:41], v[4:5]
	v_mul_f64 v[4:5], v[38:39], v[4:5]
	s_delay_alu instid0(VALU_DEP_2) | instskip(NEXT) | instid1(VALU_DEP_2)
	v_fma_f64 v[46:47], v[38:39], v[2:3], -v[46:47]
	v_fma_f64 v[69:70], v[40:41], v[2:3], v[4:5]
	ds_load_b128 v[2:5], v1 offset:1328
	s_waitcnt vmcnt(9) lgkmcnt(2)
	v_mul_f64 v[67:68], v[55:56], v[8:9]
	v_mul_f64 v[8:9], v[57:58], v[8:9]
	scratch_load_b128 v[38:41], off, off offset:480
	s_waitcnt vmcnt(9) lgkmcnt(0)
	v_mul_f64 v[85:86], v[2:3], v[12:13]
	v_mul_f64 v[12:13], v[4:5], v[12:13]
	v_add_f64 v[46:47], v[46:47], 0
	v_fma_f64 v[57:58], v[57:58], v[6:7], v[67:68]
	v_fma_f64 v[55:56], v[55:56], v[6:7], -v[8:9]
	v_add_f64 v[67:68], v[69:70], 0
	scratch_load_b128 v[6:9], off, off offset:496
	v_fma_f64 v[85:86], v[4:5], v[10:11], v[85:86]
	v_fma_f64 v[89:90], v[2:3], v[10:11], -v[12:13]
	scratch_load_b128 v[10:13], off, off offset:512
	ds_load_b128 v[2:5], v1 offset:1360
	s_waitcnt vmcnt(10)
	v_mul_f64 v[69:70], v[63:64], v[16:17]
	v_mul_f64 v[16:17], v[65:66], v[16:17]
	v_add_f64 v[46:47], v[46:47], v[55:56]
	v_add_f64 v[67:68], v[67:68], v[57:58]
	ds_load_b128 v[55:58], v1 offset:1376
	s_waitcnt vmcnt(9) lgkmcnt(1)
	v_mul_f64 v[91:92], v[2:3], v[20:21]
	v_mul_f64 v[20:21], v[4:5], v[20:21]
	v_fma_f64 v[65:66], v[65:66], v[14:15], v[69:70]
	v_fma_f64 v[63:64], v[63:64], v[14:15], -v[16:17]
	scratch_load_b128 v[14:17], off, off offset:528
	v_add_f64 v[46:47], v[46:47], v[89:90]
	v_add_f64 v[67:68], v[67:68], v[85:86]
	v_fma_f64 v[85:86], v[4:5], v[18:19], v[91:92]
	v_fma_f64 v[89:90], v[2:3], v[18:19], -v[20:21]
	scratch_load_b128 v[18:21], off, off offset:544
	ds_load_b128 v[2:5], v1 offset:1392
	s_waitcnt vmcnt(10) lgkmcnt(1)
	v_mul_f64 v[69:70], v[55:56], v[24:25]
	v_mul_f64 v[24:25], v[57:58], v[24:25]
	s_waitcnt vmcnt(9) lgkmcnt(0)
	v_mul_f64 v[91:92], v[2:3], v[28:29]
	v_mul_f64 v[28:29], v[4:5], v[28:29]
	v_add_f64 v[46:47], v[46:47], v[63:64]
	v_add_f64 v[67:68], v[67:68], v[65:66]
	ds_load_b128 v[63:66], v1 offset:1408
	v_fma_f64 v[57:58], v[57:58], v[22:23], v[69:70]
	v_fma_f64 v[55:56], v[55:56], v[22:23], -v[24:25]
	scratch_load_b128 v[22:25], off, off offset:560
	v_add_f64 v[46:47], v[46:47], v[89:90]
	v_add_f64 v[67:68], v[67:68], v[85:86]
	v_fma_f64 v[85:86], v[4:5], v[26:27], v[91:92]
	v_fma_f64 v[89:90], v[2:3], v[26:27], -v[28:29]
	scratch_load_b128 v[26:29], off, off offset:576
	ds_load_b128 v[2:5], v1 offset:1424
	s_waitcnt vmcnt(10) lgkmcnt(1)
	v_mul_f64 v[69:70], v[63:64], v[32:33]
	v_mul_f64 v[32:33], v[65:66], v[32:33]
	s_waitcnt vmcnt(9) lgkmcnt(0)
	v_mul_f64 v[91:92], v[2:3], v[36:37]
	v_mul_f64 v[36:37], v[4:5], v[36:37]
	v_add_f64 v[46:47], v[46:47], v[55:56]
	v_add_f64 v[67:68], v[67:68], v[57:58]
	ds_load_b128 v[55:58], v1 offset:1440
	v_fma_f64 v[65:66], v[65:66], v[30:31], v[69:70]
	v_fma_f64 v[63:64], v[63:64], v[30:31], -v[32:33]
	scratch_load_b128 v[30:33], off, off offset:592
	v_add_f64 v[46:47], v[46:47], v[89:90]
	v_add_f64 v[67:68], v[67:68], v[85:86]
	v_fma_f64 v[89:90], v[4:5], v[34:35], v[91:92]
	v_fma_f64 v[91:92], v[2:3], v[34:35], -v[36:37]
	scratch_load_b128 v[34:37], off, off offset:608
	ds_load_b128 v[2:5], v1 offset:1456
	s_waitcnt vmcnt(9) lgkmcnt(1)
	v_mul_f64 v[69:70], v[55:56], v[61:62]
	v_mul_f64 v[85:86], v[57:58], v[61:62]
	v_add_f64 v[46:47], v[46:47], v[63:64]
	v_add_f64 v[65:66], v[67:68], v[65:66]
	ds_load_b128 v[61:64], v1 offset:1472
	v_fma_f64 v[69:70], v[57:58], v[59:60], v[69:70]
	v_fma_f64 v[59:60], v[55:56], v[59:60], -v[85:86]
	scratch_load_b128 v[55:58], off, off offset:624
	s_waitcnt vmcnt(9) lgkmcnt(1)
	v_mul_f64 v[67:68], v[2:3], v[40:41]
	v_mul_f64 v[40:41], v[4:5], v[40:41]
	v_add_f64 v[46:47], v[46:47], v[91:92]
	v_add_f64 v[65:66], v[65:66], v[89:90]
	s_delay_alu instid0(VALU_DEP_4) | instskip(NEXT) | instid1(VALU_DEP_4)
	v_fma_f64 v[89:90], v[4:5], v[38:39], v[67:68]
	v_fma_f64 v[91:92], v[2:3], v[38:39], -v[40:41]
	scratch_load_b128 v[38:41], off, off offset:640
	ds_load_b128 v[2:5], v1 offset:1488
	s_waitcnt vmcnt(9) lgkmcnt(1)
	v_mul_f64 v[85:86], v[61:62], v[8:9]
	v_mul_f64 v[8:9], v[63:64], v[8:9]
	v_add_f64 v[46:47], v[46:47], v[59:60]
	v_add_f64 v[59:60], v[65:66], v[69:70]
	s_waitcnt vmcnt(8) lgkmcnt(0)
	v_mul_f64 v[69:70], v[2:3], v[12:13]
	v_mul_f64 v[12:13], v[4:5], v[12:13]
	ds_load_b128 v[65:68], v1 offset:1504
	v_fma_f64 v[63:64], v[63:64], v[6:7], v[85:86]
	v_fma_f64 v[61:62], v[61:62], v[6:7], -v[8:9]
	scratch_load_b128 v[6:9], off, off offset:656
	v_add_f64 v[46:47], v[46:47], v[91:92]
	v_add_f64 v[59:60], v[59:60], v[89:90]
	v_fma_f64 v[69:70], v[4:5], v[10:11], v[69:70]
	v_fma_f64 v[89:90], v[2:3], v[10:11], -v[12:13]
	scratch_load_b128 v[10:13], off, off offset:672
	ds_load_b128 v[2:5], v1 offset:1520
	s_waitcnt vmcnt(9) lgkmcnt(1)
	v_mul_f64 v[85:86], v[65:66], v[16:17]
	v_mul_f64 v[16:17], v[67:68], v[16:17]
	s_waitcnt vmcnt(8) lgkmcnt(0)
	v_mul_f64 v[91:92], v[2:3], v[20:21]
	v_mul_f64 v[20:21], v[4:5], v[20:21]
	v_add_f64 v[46:47], v[46:47], v[61:62]
	v_add_f64 v[63:64], v[59:60], v[63:64]
	ds_load_b128 v[59:62], v1 offset:1536
	v_fma_f64 v[67:68], v[67:68], v[14:15], v[85:86]
	v_fma_f64 v[65:66], v[65:66], v[14:15], -v[16:17]
	scratch_load_b128 v[14:17], off, off offset:688
	v_fma_f64 v[85:86], v[4:5], v[18:19], v[91:92]
	v_add_f64 v[46:47], v[46:47], v[89:90]
	v_add_f64 v[63:64], v[63:64], v[69:70]
	v_fma_f64 v[89:90], v[2:3], v[18:19], -v[20:21]
	scratch_load_b128 v[18:21], off, off offset:704
	ds_load_b128 v[2:5], v1 offset:1552
	s_waitcnt vmcnt(9) lgkmcnt(1)
	v_mul_f64 v[69:70], v[59:60], v[24:25]
	v_mul_f64 v[24:25], v[61:62], v[24:25]
	s_waitcnt vmcnt(8) lgkmcnt(0)
	v_mul_f64 v[91:92], v[2:3], v[28:29]
	v_mul_f64 v[28:29], v[4:5], v[28:29]
	v_add_f64 v[46:47], v[46:47], v[65:66]
	v_add_f64 v[67:68], v[63:64], v[67:68]
	ds_load_b128 v[63:66], v1 offset:1568
	v_fma_f64 v[61:62], v[61:62], v[22:23], v[69:70]
	v_fma_f64 v[59:60], v[59:60], v[22:23], -v[24:25]
	scratch_load_b128 v[22:25], off, off offset:720
	v_add_f64 v[46:47], v[46:47], v[89:90]
	v_add_f64 v[67:68], v[67:68], v[85:86]
	v_fma_f64 v[85:86], v[4:5], v[26:27], v[91:92]
	v_fma_f64 v[89:90], v[2:3], v[26:27], -v[28:29]
	scratch_load_b128 v[26:29], off, off offset:736
	ds_load_b128 v[2:5], v1 offset:1584
	s_waitcnt vmcnt(9) lgkmcnt(1)
	v_mul_f64 v[69:70], v[63:64], v[32:33]
	v_mul_f64 v[32:33], v[65:66], v[32:33]
	s_waitcnt vmcnt(8) lgkmcnt(0)
	v_mul_f64 v[91:92], v[2:3], v[36:37]
	v_mul_f64 v[36:37], v[4:5], v[36:37]
	v_add_f64 v[46:47], v[46:47], v[59:60]
	v_add_f64 v[67:68], v[67:68], v[61:62]
	ds_load_b128 v[59:62], v1 offset:1600
	v_fma_f64 v[65:66], v[65:66], v[30:31], v[69:70]
	v_fma_f64 v[63:64], v[63:64], v[30:31], -v[32:33]
	scratch_load_b128 v[30:33], off, off offset:752
	v_add_f64 v[46:47], v[46:47], v[89:90]
	v_add_f64 v[67:68], v[67:68], v[85:86]
	v_fma_f64 v[85:86], v[4:5], v[34:35], v[91:92]
	;; [unrolled: 18-line block ×7, first 2 shown]
	v_fma_f64 v[91:92], v[2:3], v[34:35], -v[36:37]
	scratch_load_b128 v[34:37], off, off offset:928
	ds_load_b128 v[2:5], v1 offset:1776
	s_waitcnt vmcnt(9) lgkmcnt(1)
	v_mul_f64 v[69:70], v[63:64], v[57:58]
	v_mul_f64 v[85:86], v[65:66], v[57:58]
	v_add_f64 v[46:47], v[46:47], v[59:60]
	v_add_f64 v[61:62], v[67:68], v[61:62]
	s_waitcnt vmcnt(8) lgkmcnt(0)
	v_mul_f64 v[67:68], v[2:3], v[40:41]
	v_mul_f64 v[40:41], v[4:5], v[40:41]
	ds_load_b128 v[57:60], v1 offset:1792
	v_fma_f64 v[65:66], v[65:66], v[55:56], v[69:70]
	v_fma_f64 v[55:56], v[63:64], v[55:56], -v[85:86]
	v_add_f64 v[46:47], v[46:47], v[91:92]
	v_add_f64 v[69:70], v[61:62], v[89:90]
	scratch_load_b128 v[61:64], off, off offset:944
	v_fma_f64 v[89:90], v[4:5], v[38:39], v[67:68]
	v_fma_f64 v[91:92], v[2:3], v[38:39], -v[40:41]
	scratch_load_b128 v[38:41], off, off offset:960
	ds_load_b128 v[2:5], v1 offset:1808
	s_waitcnt vmcnt(9) lgkmcnt(1)
	v_mul_f64 v[85:86], v[57:58], v[8:9]
	v_mul_f64 v[8:9], v[59:60], v[8:9]
	v_add_f64 v[46:47], v[46:47], v[55:56]
	v_add_f64 v[55:56], v[69:70], v[65:66]
	s_waitcnt vmcnt(8) lgkmcnt(0)
	v_mul_f64 v[69:70], v[2:3], v[12:13]
	v_mul_f64 v[12:13], v[4:5], v[12:13]
	ds_load_b128 v[65:68], v1 offset:1824
	v_fma_f64 v[59:60], v[59:60], v[6:7], v[85:86]
	v_fma_f64 v[6:7], v[57:58], v[6:7], -v[8:9]
	v_add_f64 v[8:9], v[46:47], v[91:92]
	v_add_f64 v[46:47], v[55:56], v[89:90]
	s_waitcnt vmcnt(7) lgkmcnt(0)
	v_mul_f64 v[55:56], v[65:66], v[16:17]
	v_mul_f64 v[16:17], v[67:68], v[16:17]
	v_fma_f64 v[57:58], v[4:5], v[10:11], v[69:70]
	v_fma_f64 v[10:11], v[2:3], v[10:11], -v[12:13]
	v_add_f64 v[12:13], v[8:9], v[6:7]
	v_add_f64 v[46:47], v[46:47], v[59:60]
	ds_load_b128 v[2:5], v1 offset:1840
	ds_load_b128 v[6:9], v1 offset:1856
	v_fma_f64 v[55:56], v[67:68], v[14:15], v[55:56]
	v_fma_f64 v[14:15], v[65:66], v[14:15], -v[16:17]
	s_waitcnt vmcnt(6) lgkmcnt(1)
	v_mul_f64 v[59:60], v[2:3], v[20:21]
	v_mul_f64 v[20:21], v[4:5], v[20:21]
	s_waitcnt vmcnt(5) lgkmcnt(0)
	v_mul_f64 v[16:17], v[6:7], v[24:25]
	v_mul_f64 v[24:25], v[8:9], v[24:25]
	v_add_f64 v[10:11], v[12:13], v[10:11]
	v_add_f64 v[12:13], v[46:47], v[57:58]
	v_fma_f64 v[46:47], v[4:5], v[18:19], v[59:60]
	v_fma_f64 v[18:19], v[2:3], v[18:19], -v[20:21]
	v_fma_f64 v[8:9], v[8:9], v[22:23], v[16:17]
	v_fma_f64 v[6:7], v[6:7], v[22:23], -v[24:25]
	v_add_f64 v[14:15], v[10:11], v[14:15]
	v_add_f64 v[20:21], v[12:13], v[55:56]
	ds_load_b128 v[2:5], v1 offset:1872
	ds_load_b128 v[10:13], v1 offset:1888
	s_waitcnt vmcnt(4) lgkmcnt(1)
	v_mul_f64 v[55:56], v[2:3], v[28:29]
	v_mul_f64 v[28:29], v[4:5], v[28:29]
	v_add_f64 v[14:15], v[14:15], v[18:19]
	v_add_f64 v[16:17], v[20:21], v[46:47]
	s_waitcnt vmcnt(3) lgkmcnt(0)
	v_mul_f64 v[18:19], v[10:11], v[32:33]
	v_mul_f64 v[20:21], v[12:13], v[32:33]
	v_fma_f64 v[22:23], v[4:5], v[26:27], v[55:56]
	v_fma_f64 v[24:25], v[2:3], v[26:27], -v[28:29]
	v_add_f64 v[14:15], v[14:15], v[6:7]
	v_add_f64 v[16:17], v[16:17], v[8:9]
	ds_load_b128 v[2:5], v1 offset:1904
	ds_load_b128 v[6:9], v1 offset:1920
	v_fma_f64 v[12:13], v[12:13], v[30:31], v[18:19]
	v_fma_f64 v[10:11], v[10:11], v[30:31], -v[20:21]
	s_waitcnt vmcnt(2) lgkmcnt(1)
	v_mul_f64 v[26:27], v[2:3], v[36:37]
	v_mul_f64 v[28:29], v[4:5], v[36:37]
	v_add_f64 v[14:15], v[14:15], v[24:25]
	v_add_f64 v[16:17], v[16:17], v[22:23]
	s_waitcnt vmcnt(1) lgkmcnt(0)
	v_mul_f64 v[18:19], v[6:7], v[63:64]
	v_mul_f64 v[20:21], v[8:9], v[63:64]
	v_fma_f64 v[22:23], v[4:5], v[34:35], v[26:27]
	v_fma_f64 v[24:25], v[2:3], v[34:35], -v[28:29]
	ds_load_b128 v[2:5], v1 offset:1936
	v_add_f64 v[10:11], v[14:15], v[10:11]
	v_add_f64 v[12:13], v[16:17], v[12:13]
	s_waitcnt vmcnt(0) lgkmcnt(0)
	v_mul_f64 v[14:15], v[2:3], v[40:41]
	v_mul_f64 v[16:17], v[4:5], v[40:41]
	v_fma_f64 v[8:9], v[8:9], v[61:62], v[18:19]
	v_fma_f64 v[6:7], v[6:7], v[61:62], -v[20:21]
	v_add_f64 v[10:11], v[10:11], v[24:25]
	v_add_f64 v[12:13], v[12:13], v[22:23]
	v_fma_f64 v[4:5], v[4:5], v[38:39], v[14:15]
	v_fma_f64 v[2:3], v[2:3], v[38:39], -v[16:17]
	s_delay_alu instid0(VALU_DEP_4) | instskip(NEXT) | instid1(VALU_DEP_4)
	v_add_f64 v[6:7], v[10:11], v[6:7]
	v_add_f64 v[8:9], v[12:13], v[8:9]
	s_delay_alu instid0(VALU_DEP_2) | instskip(NEXT) | instid1(VALU_DEP_2)
	v_add_f64 v[2:3], v[6:7], v[2:3]
	v_add_f64 v[4:5], v[8:9], v[4:5]
	s_delay_alu instid0(VALU_DEP_2) | instskip(NEXT) | instid1(VALU_DEP_2)
	v_add_f64 v[2:3], v[42:43], -v[2:3]
	v_add_f64 v[4:5], v[44:45], -v[4:5]
	scratch_store_b128 off, v[2:5], off offset:304
	v_cmpx_lt_u32_e32 18, v171
	s_cbranch_execz .LBB60_355
; %bb.354:
	scratch_load_b32 v2, off, off offset:992 ; 4-byte Folded Reload
	v_mov_b32_e32 v3, v1
	v_mov_b32_e32 v4, v1
	s_waitcnt vmcnt(0)
	scratch_load_b128 v[5:8], v2, off
	v_mov_b32_e32 v2, v1
	scratch_store_b128 off, v[1:4], off offset:288
	s_waitcnt vmcnt(0)
	ds_store_b128 v229, v[5:8]
.LBB60_355:
	s_or_b32 exec_lo, exec_lo, s2
	s_waitcnt lgkmcnt(0)
	s_waitcnt_vscnt null, 0x0
	s_barrier
	buffer_gl0_inv
	s_clause 0x8
	scratch_load_b128 v[2:5], off, off offset:304
	scratch_load_b128 v[6:9], off, off offset:320
	;; [unrolled: 1-line block ×9, first 2 shown]
	ds_load_b128 v[42:45], v1 offset:1280
	ds_load_b128 v[38:41], v1 offset:1296
	s_clause 0x1
	scratch_load_b128 v[55:58], off, off offset:288
	scratch_load_b128 v[59:62], off, off offset:448
	s_mov_b32 s2, exec_lo
	ds_load_b128 v[63:66], v1 offset:1328
	s_waitcnt vmcnt(10) lgkmcnt(2)
	v_mul_f64 v[46:47], v[44:45], v[4:5]
	v_mul_f64 v[4:5], v[42:43], v[4:5]
	s_waitcnt vmcnt(9) lgkmcnt(1)
	v_mul_f64 v[67:68], v[38:39], v[8:9]
	v_mul_f64 v[8:9], v[40:41], v[8:9]
	s_delay_alu instid0(VALU_DEP_4) | instskip(NEXT) | instid1(VALU_DEP_4)
	v_fma_f64 v[46:47], v[42:43], v[2:3], -v[46:47]
	v_fma_f64 v[69:70], v[44:45], v[2:3], v[4:5]
	ds_load_b128 v[2:5], v1 offset:1312
	scratch_load_b128 v[42:45], off, off offset:464
	v_fma_f64 v[40:41], v[40:41], v[6:7], v[67:68]
	v_fma_f64 v[38:39], v[38:39], v[6:7], -v[8:9]
	scratch_load_b128 v[6:9], off, off offset:480
	s_waitcnt vmcnt(10) lgkmcnt(0)
	v_mul_f64 v[85:86], v[2:3], v[12:13]
	v_mul_f64 v[12:13], v[4:5], v[12:13]
	v_add_f64 v[46:47], v[46:47], 0
	v_add_f64 v[67:68], v[69:70], 0
	s_waitcnt vmcnt(9)
	v_mul_f64 v[69:70], v[63:64], v[16:17]
	v_mul_f64 v[16:17], v[65:66], v[16:17]
	v_fma_f64 v[85:86], v[4:5], v[10:11], v[85:86]
	v_fma_f64 v[89:90], v[2:3], v[10:11], -v[12:13]
	ds_load_b128 v[2:5], v1 offset:1344
	scratch_load_b128 v[10:13], off, off offset:496
	v_add_f64 v[46:47], v[46:47], v[38:39]
	v_add_f64 v[67:68], v[67:68], v[40:41]
	ds_load_b128 v[38:41], v1 offset:1360
	v_fma_f64 v[65:66], v[65:66], v[14:15], v[69:70]
	v_fma_f64 v[63:64], v[63:64], v[14:15], -v[16:17]
	scratch_load_b128 v[14:17], off, off offset:512
	s_waitcnt vmcnt(10) lgkmcnt(1)
	v_mul_f64 v[91:92], v[2:3], v[20:21]
	v_mul_f64 v[20:21], v[4:5], v[20:21]
	s_waitcnt vmcnt(9) lgkmcnt(0)
	v_mul_f64 v[69:70], v[38:39], v[24:25]
	v_mul_f64 v[24:25], v[40:41], v[24:25]
	v_add_f64 v[46:47], v[46:47], v[89:90]
	v_add_f64 v[67:68], v[67:68], v[85:86]
	v_fma_f64 v[85:86], v[4:5], v[18:19], v[91:92]
	v_fma_f64 v[89:90], v[2:3], v[18:19], -v[20:21]
	ds_load_b128 v[2:5], v1 offset:1376
	scratch_load_b128 v[18:21], off, off offset:528
	v_fma_f64 v[40:41], v[40:41], v[22:23], v[69:70]
	v_fma_f64 v[38:39], v[38:39], v[22:23], -v[24:25]
	scratch_load_b128 v[22:25], off, off offset:544
	v_add_f64 v[46:47], v[46:47], v[63:64]
	v_add_f64 v[67:68], v[67:68], v[65:66]
	ds_load_b128 v[63:66], v1 offset:1392
	s_waitcnt vmcnt(10) lgkmcnt(1)
	v_mul_f64 v[91:92], v[2:3], v[28:29]
	v_mul_f64 v[28:29], v[4:5], v[28:29]
	s_waitcnt vmcnt(9) lgkmcnt(0)
	v_mul_f64 v[69:70], v[63:64], v[32:33]
	v_mul_f64 v[32:33], v[65:66], v[32:33]
	v_add_f64 v[46:47], v[46:47], v[89:90]
	v_add_f64 v[67:68], v[67:68], v[85:86]
	v_fma_f64 v[85:86], v[4:5], v[26:27], v[91:92]
	v_fma_f64 v[89:90], v[2:3], v[26:27], -v[28:29]
	ds_load_b128 v[2:5], v1 offset:1408
	scratch_load_b128 v[26:29], off, off offset:560
	v_fma_f64 v[65:66], v[65:66], v[30:31], v[69:70]
	v_fma_f64 v[63:64], v[63:64], v[30:31], -v[32:33]
	scratch_load_b128 v[30:33], off, off offset:576
	v_add_f64 v[46:47], v[46:47], v[38:39]
	v_add_f64 v[67:68], v[67:68], v[40:41]
	ds_load_b128 v[38:41], v1 offset:1424
	s_waitcnt vmcnt(10) lgkmcnt(1)
	v_mul_f64 v[91:92], v[2:3], v[36:37]
	v_mul_f64 v[36:37], v[4:5], v[36:37]
	s_waitcnt vmcnt(8) lgkmcnt(0)
	v_mul_f64 v[69:70], v[38:39], v[61:62]
	v_add_f64 v[46:47], v[46:47], v[89:90]
	v_add_f64 v[67:68], v[67:68], v[85:86]
	v_mul_f64 v[85:86], v[40:41], v[61:62]
	v_fma_f64 v[89:90], v[4:5], v[34:35], v[91:92]
	v_fma_f64 v[91:92], v[2:3], v[34:35], -v[36:37]
	ds_load_b128 v[2:5], v1 offset:1440
	scratch_load_b128 v[34:37], off, off offset:592
	v_fma_f64 v[69:70], v[40:41], v[59:60], v[69:70]
	v_add_f64 v[46:47], v[46:47], v[63:64]
	v_add_f64 v[65:66], v[67:68], v[65:66]
	ds_load_b128 v[61:64], v1 offset:1456
	v_fma_f64 v[59:60], v[38:39], v[59:60], -v[85:86]
	scratch_load_b128 v[38:41], off, off offset:608
	s_waitcnt vmcnt(9) lgkmcnt(1)
	v_mul_f64 v[67:68], v[2:3], v[44:45]
	v_mul_f64 v[44:45], v[4:5], v[44:45]
	s_waitcnt vmcnt(8) lgkmcnt(0)
	v_mul_f64 v[85:86], v[61:62], v[8:9]
	v_mul_f64 v[8:9], v[63:64], v[8:9]
	v_add_f64 v[46:47], v[46:47], v[91:92]
	v_add_f64 v[65:66], v[65:66], v[89:90]
	v_fma_f64 v[89:90], v[4:5], v[42:43], v[67:68]
	v_fma_f64 v[91:92], v[2:3], v[42:43], -v[44:45]
	ds_load_b128 v[2:5], v1 offset:1472
	scratch_load_b128 v[42:45], off, off offset:624
	v_fma_f64 v[63:64], v[63:64], v[6:7], v[85:86]
	v_fma_f64 v[61:62], v[61:62], v[6:7], -v[8:9]
	scratch_load_b128 v[6:9], off, off offset:640
	v_add_f64 v[46:47], v[46:47], v[59:60]
	v_add_f64 v[59:60], v[65:66], v[69:70]
	ds_load_b128 v[65:68], v1 offset:1488
	s_waitcnt vmcnt(9) lgkmcnt(1)
	v_mul_f64 v[69:70], v[2:3], v[12:13]
	v_mul_f64 v[12:13], v[4:5], v[12:13]
	s_waitcnt vmcnt(8) lgkmcnt(0)
	v_mul_f64 v[85:86], v[65:66], v[16:17]
	v_mul_f64 v[16:17], v[67:68], v[16:17]
	v_add_f64 v[46:47], v[46:47], v[91:92]
	v_add_f64 v[59:60], v[59:60], v[89:90]
	v_fma_f64 v[69:70], v[4:5], v[10:11], v[69:70]
	v_fma_f64 v[89:90], v[2:3], v[10:11], -v[12:13]
	ds_load_b128 v[2:5], v1 offset:1504
	scratch_load_b128 v[10:13], off, off offset:656
	v_fma_f64 v[67:68], v[67:68], v[14:15], v[85:86]
	v_fma_f64 v[65:66], v[65:66], v[14:15], -v[16:17]
	scratch_load_b128 v[14:17], off, off offset:672
	v_add_f64 v[46:47], v[46:47], v[61:62]
	v_add_f64 v[63:64], v[59:60], v[63:64]
	ds_load_b128 v[59:62], v1 offset:1520
	s_waitcnt vmcnt(9) lgkmcnt(1)
	v_mul_f64 v[91:92], v[2:3], v[20:21]
	v_mul_f64 v[20:21], v[4:5], v[20:21]
	v_add_f64 v[46:47], v[46:47], v[89:90]
	v_add_f64 v[63:64], v[63:64], v[69:70]
	s_waitcnt vmcnt(8) lgkmcnt(0)
	v_mul_f64 v[69:70], v[59:60], v[24:25]
	v_mul_f64 v[24:25], v[61:62], v[24:25]
	v_fma_f64 v[85:86], v[4:5], v[18:19], v[91:92]
	v_fma_f64 v[89:90], v[2:3], v[18:19], -v[20:21]
	ds_load_b128 v[2:5], v1 offset:1536
	scratch_load_b128 v[18:21], off, off offset:688
	v_add_f64 v[46:47], v[46:47], v[65:66]
	v_add_f64 v[67:68], v[63:64], v[67:68]
	ds_load_b128 v[63:66], v1 offset:1552
	s_waitcnt vmcnt(8) lgkmcnt(1)
	v_mul_f64 v[91:92], v[2:3], v[28:29]
	v_mul_f64 v[28:29], v[4:5], v[28:29]
	v_fma_f64 v[61:62], v[61:62], v[22:23], v[69:70]
	v_fma_f64 v[59:60], v[59:60], v[22:23], -v[24:25]
	scratch_load_b128 v[22:25], off, off offset:704
	s_waitcnt vmcnt(8) lgkmcnt(0)
	v_mul_f64 v[69:70], v[63:64], v[32:33]
	v_mul_f64 v[32:33], v[65:66], v[32:33]
	v_add_f64 v[46:47], v[46:47], v[89:90]
	v_add_f64 v[67:68], v[67:68], v[85:86]
	v_fma_f64 v[85:86], v[4:5], v[26:27], v[91:92]
	v_fma_f64 v[89:90], v[2:3], v[26:27], -v[28:29]
	ds_load_b128 v[2:5], v1 offset:1568
	scratch_load_b128 v[26:29], off, off offset:720
	v_fma_f64 v[65:66], v[65:66], v[30:31], v[69:70]
	v_fma_f64 v[63:64], v[63:64], v[30:31], -v[32:33]
	scratch_load_b128 v[30:33], off, off offset:736
	v_add_f64 v[46:47], v[46:47], v[59:60]
	v_add_f64 v[67:68], v[67:68], v[61:62]
	ds_load_b128 v[59:62], v1 offset:1584
	s_waitcnt vmcnt(9) lgkmcnt(1)
	v_mul_f64 v[91:92], v[2:3], v[36:37]
	v_mul_f64 v[36:37], v[4:5], v[36:37]
	s_waitcnt vmcnt(8) lgkmcnt(0)
	v_mul_f64 v[69:70], v[59:60], v[40:41]
	v_mul_f64 v[40:41], v[61:62], v[40:41]
	v_add_f64 v[46:47], v[46:47], v[89:90]
	v_add_f64 v[67:68], v[67:68], v[85:86]
	v_fma_f64 v[85:86], v[4:5], v[34:35], v[91:92]
	v_fma_f64 v[89:90], v[2:3], v[34:35], -v[36:37]
	ds_load_b128 v[2:5], v1 offset:1600
	scratch_load_b128 v[34:37], off, off offset:752
	v_fma_f64 v[61:62], v[61:62], v[38:39], v[69:70]
	v_fma_f64 v[59:60], v[59:60], v[38:39], -v[40:41]
	scratch_load_b128 v[38:41], off, off offset:768
	v_add_f64 v[46:47], v[46:47], v[63:64]
	v_add_f64 v[67:68], v[67:68], v[65:66]
	ds_load_b128 v[63:66], v1 offset:1616
	s_waitcnt vmcnt(9) lgkmcnt(1)
	v_mul_f64 v[91:92], v[2:3], v[44:45]
	v_mul_f64 v[44:45], v[4:5], v[44:45]
	;; [unrolled: 18-line block ×8, first 2 shown]
	s_waitcnt vmcnt(8) lgkmcnt(0)
	v_mul_f64 v[69:70], v[63:64], v[16:17]
	v_mul_f64 v[16:17], v[65:66], v[16:17]
	v_add_f64 v[46:47], v[46:47], v[89:90]
	v_add_f64 v[67:68], v[67:68], v[85:86]
	v_fma_f64 v[85:86], v[4:5], v[10:11], v[91:92]
	v_fma_f64 v[89:90], v[2:3], v[10:11], -v[12:13]
	ds_load_b128 v[2:5], v1 offset:1824
	ds_load_b128 v[10:13], v1 offset:1840
	v_fma_f64 v[65:66], v[65:66], v[14:15], v[69:70]
	v_fma_f64 v[14:15], v[63:64], v[14:15], -v[16:17]
	v_add_f64 v[46:47], v[46:47], v[59:60]
	v_add_f64 v[59:60], v[67:68], v[61:62]
	s_waitcnt vmcnt(7) lgkmcnt(1)
	v_mul_f64 v[61:62], v[2:3], v[20:21]
	v_mul_f64 v[20:21], v[4:5], v[20:21]
	s_delay_alu instid0(VALU_DEP_4) | instskip(NEXT) | instid1(VALU_DEP_4)
	v_add_f64 v[16:17], v[46:47], v[89:90]
	v_add_f64 v[46:47], v[59:60], v[85:86]
	s_waitcnt vmcnt(6) lgkmcnt(0)
	v_mul_f64 v[59:60], v[10:11], v[24:25]
	v_mul_f64 v[24:25], v[12:13], v[24:25]
	v_fma_f64 v[61:62], v[4:5], v[18:19], v[61:62]
	v_fma_f64 v[18:19], v[2:3], v[18:19], -v[20:21]
	v_add_f64 v[20:21], v[16:17], v[14:15]
	v_add_f64 v[46:47], v[46:47], v[65:66]
	ds_load_b128 v[2:5], v1 offset:1856
	ds_load_b128 v[14:17], v1 offset:1872
	v_fma_f64 v[12:13], v[12:13], v[22:23], v[59:60]
	v_fma_f64 v[10:11], v[10:11], v[22:23], -v[24:25]
	s_waitcnt vmcnt(5) lgkmcnt(1)
	v_mul_f64 v[63:64], v[2:3], v[28:29]
	v_mul_f64 v[28:29], v[4:5], v[28:29]
	s_waitcnt vmcnt(4) lgkmcnt(0)
	v_mul_f64 v[22:23], v[14:15], v[32:33]
	v_mul_f64 v[24:25], v[16:17], v[32:33]
	v_add_f64 v[18:19], v[20:21], v[18:19]
	v_add_f64 v[20:21], v[46:47], v[61:62]
	v_fma_f64 v[32:33], v[4:5], v[26:27], v[63:64]
	v_fma_f64 v[26:27], v[2:3], v[26:27], -v[28:29]
	v_fma_f64 v[16:17], v[16:17], v[30:31], v[22:23]
	v_fma_f64 v[14:15], v[14:15], v[30:31], -v[24:25]
	v_add_f64 v[18:19], v[18:19], v[10:11]
	v_add_f64 v[20:21], v[20:21], v[12:13]
	ds_load_b128 v[2:5], v1 offset:1888
	ds_load_b128 v[10:13], v1 offset:1904
	s_waitcnt vmcnt(3) lgkmcnt(1)
	v_mul_f64 v[28:29], v[2:3], v[36:37]
	v_mul_f64 v[36:37], v[4:5], v[36:37]
	s_waitcnt vmcnt(2) lgkmcnt(0)
	v_mul_f64 v[22:23], v[10:11], v[40:41]
	v_mul_f64 v[24:25], v[12:13], v[40:41]
	v_add_f64 v[18:19], v[18:19], v[26:27]
	v_add_f64 v[20:21], v[20:21], v[32:33]
	v_fma_f64 v[26:27], v[4:5], v[34:35], v[28:29]
	v_fma_f64 v[28:29], v[2:3], v[34:35], -v[36:37]
	v_fma_f64 v[12:13], v[12:13], v[38:39], v[22:23]
	v_fma_f64 v[10:11], v[10:11], v[38:39], -v[24:25]
	v_add_f64 v[18:19], v[18:19], v[14:15]
	v_add_f64 v[20:21], v[20:21], v[16:17]
	ds_load_b128 v[2:5], v1 offset:1920
	ds_load_b128 v[14:17], v1 offset:1936
	s_waitcnt vmcnt(1) lgkmcnt(1)
	v_mul_f64 v[30:31], v[2:3], v[44:45]
	v_mul_f64 v[32:33], v[4:5], v[44:45]
	s_waitcnt vmcnt(0) lgkmcnt(0)
	v_mul_f64 v[22:23], v[14:15], v[8:9]
	v_mul_f64 v[8:9], v[16:17], v[8:9]
	v_add_f64 v[18:19], v[18:19], v[28:29]
	v_add_f64 v[20:21], v[20:21], v[26:27]
	v_fma_f64 v[4:5], v[4:5], v[42:43], v[30:31]
	v_fma_f64 v[1:2], v[2:3], v[42:43], -v[32:33]
	v_fma_f64 v[16:17], v[16:17], v[6:7], v[22:23]
	v_fma_f64 v[6:7], v[14:15], v[6:7], -v[8:9]
	v_add_f64 v[10:11], v[18:19], v[10:11]
	v_add_f64 v[12:13], v[20:21], v[12:13]
	s_delay_alu instid0(VALU_DEP_2) | instskip(NEXT) | instid1(VALU_DEP_2)
	v_add_f64 v[1:2], v[10:11], v[1:2]
	v_add_f64 v[3:4], v[12:13], v[4:5]
	s_delay_alu instid0(VALU_DEP_2) | instskip(NEXT) | instid1(VALU_DEP_2)
	;; [unrolled: 3-line block ×3, first 2 shown]
	v_add_f64 v[1:2], v[55:56], -v[1:2]
	v_add_f64 v[3:4], v[57:58], -v[3:4]
	scratch_store_b128 off, v[1:4], off offset:288
	v_cmpx_lt_u32_e32 17, v171
	s_cbranch_execz .LBB60_357
; %bb.356:
	scratch_load_b32 v1, off, off offset:996 ; 4-byte Folded Reload
	v_mov_b32_e32 v5, 0
	s_delay_alu instid0(VALU_DEP_1)
	v_mov_b32_e32 v6, v5
	v_mov_b32_e32 v7, v5
	;; [unrolled: 1-line block ×3, first 2 shown]
	s_waitcnt vmcnt(0)
	scratch_load_b128 v[1:4], v1, off
	scratch_store_b128 off, v[5:8], off offset:272
	s_waitcnt vmcnt(0)
	ds_store_b128 v229, v[1:4]
.LBB60_357:
	s_or_b32 exec_lo, exec_lo, s2
	s_waitcnt lgkmcnt(0)
	s_waitcnt_vscnt null, 0x0
	s_barrier
	buffer_gl0_inv
	s_clause 0x7
	scratch_load_b128 v[2:5], off, off offset:288
	scratch_load_b128 v[6:9], off, off offset:304
	;; [unrolled: 1-line block ×8, first 2 shown]
	v_mov_b32_e32 v1, 0
	s_mov_b32 s2, exec_lo
	ds_load_b128 v[38:41], v1 offset:1264
	s_clause 0x1
	scratch_load_b128 v[34:37], off, off offset:416
	scratch_load_b128 v[42:45], off, off offset:272
	ds_load_b128 v[55:58], v1 offset:1280
	scratch_load_b128 v[59:62], off, off offset:432
	ds_load_b128 v[63:66], v1 offset:1312
	s_waitcnt vmcnt(10) lgkmcnt(2)
	v_mul_f64 v[46:47], v[40:41], v[4:5]
	v_mul_f64 v[4:5], v[38:39], v[4:5]
	s_delay_alu instid0(VALU_DEP_2) | instskip(NEXT) | instid1(VALU_DEP_2)
	v_fma_f64 v[46:47], v[38:39], v[2:3], -v[46:47]
	v_fma_f64 v[69:70], v[40:41], v[2:3], v[4:5]
	ds_load_b128 v[2:5], v1 offset:1296
	s_waitcnt vmcnt(9) lgkmcnt(2)
	v_mul_f64 v[67:68], v[55:56], v[8:9]
	v_mul_f64 v[8:9], v[57:58], v[8:9]
	scratch_load_b128 v[38:41], off, off offset:448
	s_waitcnt vmcnt(9) lgkmcnt(0)
	v_mul_f64 v[85:86], v[2:3], v[12:13]
	v_mul_f64 v[12:13], v[4:5], v[12:13]
	v_add_f64 v[46:47], v[46:47], 0
	v_fma_f64 v[57:58], v[57:58], v[6:7], v[67:68]
	v_fma_f64 v[55:56], v[55:56], v[6:7], -v[8:9]
	v_add_f64 v[67:68], v[69:70], 0
	scratch_load_b128 v[6:9], off, off offset:464
	v_fma_f64 v[85:86], v[4:5], v[10:11], v[85:86]
	v_fma_f64 v[89:90], v[2:3], v[10:11], -v[12:13]
	scratch_load_b128 v[10:13], off, off offset:480
	ds_load_b128 v[2:5], v1 offset:1328
	s_waitcnt vmcnt(10)
	v_mul_f64 v[69:70], v[63:64], v[16:17]
	v_mul_f64 v[16:17], v[65:66], v[16:17]
	v_add_f64 v[46:47], v[46:47], v[55:56]
	v_add_f64 v[67:68], v[67:68], v[57:58]
	ds_load_b128 v[55:58], v1 offset:1344
	s_waitcnt vmcnt(9) lgkmcnt(1)
	v_mul_f64 v[91:92], v[2:3], v[20:21]
	v_mul_f64 v[20:21], v[4:5], v[20:21]
	v_fma_f64 v[65:66], v[65:66], v[14:15], v[69:70]
	v_fma_f64 v[63:64], v[63:64], v[14:15], -v[16:17]
	scratch_load_b128 v[14:17], off, off offset:496
	v_add_f64 v[46:47], v[46:47], v[89:90]
	v_add_f64 v[67:68], v[67:68], v[85:86]
	v_fma_f64 v[85:86], v[4:5], v[18:19], v[91:92]
	v_fma_f64 v[89:90], v[2:3], v[18:19], -v[20:21]
	scratch_load_b128 v[18:21], off, off offset:512
	ds_load_b128 v[2:5], v1 offset:1360
	s_waitcnt vmcnt(10) lgkmcnt(1)
	v_mul_f64 v[69:70], v[55:56], v[24:25]
	v_mul_f64 v[24:25], v[57:58], v[24:25]
	s_waitcnt vmcnt(9) lgkmcnt(0)
	v_mul_f64 v[91:92], v[2:3], v[28:29]
	v_mul_f64 v[28:29], v[4:5], v[28:29]
	v_add_f64 v[46:47], v[46:47], v[63:64]
	v_add_f64 v[67:68], v[67:68], v[65:66]
	ds_load_b128 v[63:66], v1 offset:1376
	v_fma_f64 v[57:58], v[57:58], v[22:23], v[69:70]
	v_fma_f64 v[55:56], v[55:56], v[22:23], -v[24:25]
	scratch_load_b128 v[22:25], off, off offset:528
	v_add_f64 v[46:47], v[46:47], v[89:90]
	v_add_f64 v[67:68], v[67:68], v[85:86]
	v_fma_f64 v[85:86], v[4:5], v[26:27], v[91:92]
	v_fma_f64 v[89:90], v[2:3], v[26:27], -v[28:29]
	scratch_load_b128 v[26:29], off, off offset:544
	ds_load_b128 v[2:5], v1 offset:1392
	s_waitcnt vmcnt(10) lgkmcnt(1)
	v_mul_f64 v[69:70], v[63:64], v[32:33]
	v_mul_f64 v[32:33], v[65:66], v[32:33]
	s_waitcnt vmcnt(9) lgkmcnt(0)
	v_mul_f64 v[91:92], v[2:3], v[36:37]
	v_mul_f64 v[36:37], v[4:5], v[36:37]
	v_add_f64 v[46:47], v[46:47], v[55:56]
	v_add_f64 v[67:68], v[67:68], v[57:58]
	ds_load_b128 v[55:58], v1 offset:1408
	v_fma_f64 v[65:66], v[65:66], v[30:31], v[69:70]
	v_fma_f64 v[63:64], v[63:64], v[30:31], -v[32:33]
	scratch_load_b128 v[30:33], off, off offset:560
	v_add_f64 v[46:47], v[46:47], v[89:90]
	v_add_f64 v[67:68], v[67:68], v[85:86]
	v_fma_f64 v[89:90], v[4:5], v[34:35], v[91:92]
	v_fma_f64 v[91:92], v[2:3], v[34:35], -v[36:37]
	scratch_load_b128 v[34:37], off, off offset:576
	ds_load_b128 v[2:5], v1 offset:1424
	s_waitcnt vmcnt(9) lgkmcnt(1)
	v_mul_f64 v[69:70], v[55:56], v[61:62]
	v_mul_f64 v[85:86], v[57:58], v[61:62]
	v_add_f64 v[46:47], v[46:47], v[63:64]
	v_add_f64 v[65:66], v[67:68], v[65:66]
	ds_load_b128 v[61:64], v1 offset:1440
	v_fma_f64 v[69:70], v[57:58], v[59:60], v[69:70]
	v_fma_f64 v[59:60], v[55:56], v[59:60], -v[85:86]
	scratch_load_b128 v[55:58], off, off offset:592
	s_waitcnt vmcnt(9) lgkmcnt(1)
	v_mul_f64 v[67:68], v[2:3], v[40:41]
	v_mul_f64 v[40:41], v[4:5], v[40:41]
	v_add_f64 v[46:47], v[46:47], v[91:92]
	v_add_f64 v[65:66], v[65:66], v[89:90]
	s_delay_alu instid0(VALU_DEP_4) | instskip(NEXT) | instid1(VALU_DEP_4)
	v_fma_f64 v[89:90], v[4:5], v[38:39], v[67:68]
	v_fma_f64 v[91:92], v[2:3], v[38:39], -v[40:41]
	scratch_load_b128 v[38:41], off, off offset:608
	ds_load_b128 v[2:5], v1 offset:1456
	s_waitcnt vmcnt(9) lgkmcnt(1)
	v_mul_f64 v[85:86], v[61:62], v[8:9]
	v_mul_f64 v[8:9], v[63:64], v[8:9]
	v_add_f64 v[46:47], v[46:47], v[59:60]
	v_add_f64 v[59:60], v[65:66], v[69:70]
	s_waitcnt vmcnt(8) lgkmcnt(0)
	v_mul_f64 v[69:70], v[2:3], v[12:13]
	v_mul_f64 v[12:13], v[4:5], v[12:13]
	ds_load_b128 v[65:68], v1 offset:1472
	v_fma_f64 v[63:64], v[63:64], v[6:7], v[85:86]
	v_fma_f64 v[61:62], v[61:62], v[6:7], -v[8:9]
	scratch_load_b128 v[6:9], off, off offset:624
	v_add_f64 v[46:47], v[46:47], v[91:92]
	v_add_f64 v[59:60], v[59:60], v[89:90]
	v_fma_f64 v[69:70], v[4:5], v[10:11], v[69:70]
	v_fma_f64 v[89:90], v[2:3], v[10:11], -v[12:13]
	scratch_load_b128 v[10:13], off, off offset:640
	ds_load_b128 v[2:5], v1 offset:1488
	s_waitcnt vmcnt(9) lgkmcnt(1)
	v_mul_f64 v[85:86], v[65:66], v[16:17]
	v_mul_f64 v[16:17], v[67:68], v[16:17]
	s_waitcnt vmcnt(8) lgkmcnt(0)
	v_mul_f64 v[91:92], v[2:3], v[20:21]
	v_mul_f64 v[20:21], v[4:5], v[20:21]
	v_add_f64 v[46:47], v[46:47], v[61:62]
	v_add_f64 v[63:64], v[59:60], v[63:64]
	ds_load_b128 v[59:62], v1 offset:1504
	v_fma_f64 v[67:68], v[67:68], v[14:15], v[85:86]
	v_fma_f64 v[65:66], v[65:66], v[14:15], -v[16:17]
	scratch_load_b128 v[14:17], off, off offset:656
	v_fma_f64 v[85:86], v[4:5], v[18:19], v[91:92]
	v_add_f64 v[46:47], v[46:47], v[89:90]
	v_add_f64 v[63:64], v[63:64], v[69:70]
	v_fma_f64 v[89:90], v[2:3], v[18:19], -v[20:21]
	scratch_load_b128 v[18:21], off, off offset:672
	ds_load_b128 v[2:5], v1 offset:1520
	s_waitcnt vmcnt(9) lgkmcnt(1)
	v_mul_f64 v[69:70], v[59:60], v[24:25]
	v_mul_f64 v[24:25], v[61:62], v[24:25]
	s_waitcnt vmcnt(8) lgkmcnt(0)
	v_mul_f64 v[91:92], v[2:3], v[28:29]
	v_mul_f64 v[28:29], v[4:5], v[28:29]
	v_add_f64 v[46:47], v[46:47], v[65:66]
	v_add_f64 v[67:68], v[63:64], v[67:68]
	ds_load_b128 v[63:66], v1 offset:1536
	v_fma_f64 v[61:62], v[61:62], v[22:23], v[69:70]
	v_fma_f64 v[59:60], v[59:60], v[22:23], -v[24:25]
	scratch_load_b128 v[22:25], off, off offset:688
	v_add_f64 v[46:47], v[46:47], v[89:90]
	v_add_f64 v[67:68], v[67:68], v[85:86]
	v_fma_f64 v[85:86], v[4:5], v[26:27], v[91:92]
	v_fma_f64 v[89:90], v[2:3], v[26:27], -v[28:29]
	scratch_load_b128 v[26:29], off, off offset:704
	ds_load_b128 v[2:5], v1 offset:1552
	s_waitcnt vmcnt(9) lgkmcnt(1)
	v_mul_f64 v[69:70], v[63:64], v[32:33]
	v_mul_f64 v[32:33], v[65:66], v[32:33]
	s_waitcnt vmcnt(8) lgkmcnt(0)
	v_mul_f64 v[91:92], v[2:3], v[36:37]
	v_mul_f64 v[36:37], v[4:5], v[36:37]
	v_add_f64 v[46:47], v[46:47], v[59:60]
	v_add_f64 v[67:68], v[67:68], v[61:62]
	ds_load_b128 v[59:62], v1 offset:1568
	v_fma_f64 v[65:66], v[65:66], v[30:31], v[69:70]
	v_fma_f64 v[63:64], v[63:64], v[30:31], -v[32:33]
	scratch_load_b128 v[30:33], off, off offset:720
	v_add_f64 v[46:47], v[46:47], v[89:90]
	v_add_f64 v[67:68], v[67:68], v[85:86]
	v_fma_f64 v[85:86], v[4:5], v[34:35], v[91:92]
	;; [unrolled: 18-line block ×7, first 2 shown]
	v_fma_f64 v[91:92], v[2:3], v[34:35], -v[36:37]
	scratch_load_b128 v[34:37], off, off offset:896
	ds_load_b128 v[2:5], v1 offset:1744
	s_waitcnt vmcnt(9) lgkmcnt(1)
	v_mul_f64 v[69:70], v[63:64], v[57:58]
	v_mul_f64 v[85:86], v[65:66], v[57:58]
	v_add_f64 v[46:47], v[46:47], v[59:60]
	v_add_f64 v[61:62], v[67:68], v[61:62]
	s_waitcnt vmcnt(8) lgkmcnt(0)
	v_mul_f64 v[67:68], v[2:3], v[40:41]
	v_mul_f64 v[40:41], v[4:5], v[40:41]
	ds_load_b128 v[57:60], v1 offset:1760
	v_fma_f64 v[65:66], v[65:66], v[55:56], v[69:70]
	v_fma_f64 v[55:56], v[63:64], v[55:56], -v[85:86]
	v_add_f64 v[46:47], v[46:47], v[91:92]
	v_add_f64 v[69:70], v[61:62], v[89:90]
	scratch_load_b128 v[61:64], off, off offset:912
	v_fma_f64 v[89:90], v[4:5], v[38:39], v[67:68]
	v_fma_f64 v[91:92], v[2:3], v[38:39], -v[40:41]
	scratch_load_b128 v[38:41], off, off offset:928
	ds_load_b128 v[2:5], v1 offset:1776
	s_waitcnt vmcnt(9) lgkmcnt(1)
	v_mul_f64 v[85:86], v[57:58], v[8:9]
	v_mul_f64 v[8:9], v[59:60], v[8:9]
	v_add_f64 v[46:47], v[46:47], v[55:56]
	v_add_f64 v[55:56], v[69:70], v[65:66]
	s_waitcnt vmcnt(8) lgkmcnt(0)
	v_mul_f64 v[69:70], v[2:3], v[12:13]
	v_mul_f64 v[12:13], v[4:5], v[12:13]
	ds_load_b128 v[65:68], v1 offset:1792
	v_fma_f64 v[59:60], v[59:60], v[6:7], v[85:86]
	v_fma_f64 v[57:58], v[57:58], v[6:7], -v[8:9]
	scratch_load_b128 v[6:9], off, off offset:944
	v_add_f64 v[46:47], v[46:47], v[91:92]
	v_add_f64 v[55:56], v[55:56], v[89:90]
	v_fma_f64 v[69:70], v[4:5], v[10:11], v[69:70]
	v_fma_f64 v[89:90], v[2:3], v[10:11], -v[12:13]
	scratch_load_b128 v[10:13], off, off offset:960
	ds_load_b128 v[2:5], v1 offset:1808
	s_waitcnt vmcnt(9) lgkmcnt(1)
	v_mul_f64 v[85:86], v[65:66], v[16:17]
	v_mul_f64 v[16:17], v[67:68], v[16:17]
	s_waitcnt vmcnt(8) lgkmcnt(0)
	v_mul_f64 v[91:92], v[2:3], v[20:21]
	v_mul_f64 v[20:21], v[4:5], v[20:21]
	v_add_f64 v[46:47], v[46:47], v[57:58]
	v_add_f64 v[59:60], v[55:56], v[59:60]
	ds_load_b128 v[55:58], v1 offset:1824
	v_fma_f64 v[67:68], v[67:68], v[14:15], v[85:86]
	v_fma_f64 v[14:15], v[65:66], v[14:15], -v[16:17]
	v_fma_f64 v[65:66], v[4:5], v[18:19], v[91:92]
	v_fma_f64 v[18:19], v[2:3], v[18:19], -v[20:21]
	v_add_f64 v[16:17], v[46:47], v[89:90]
	v_add_f64 v[46:47], v[59:60], v[69:70]
	s_waitcnt vmcnt(7) lgkmcnt(0)
	v_mul_f64 v[59:60], v[55:56], v[24:25]
	v_mul_f64 v[24:25], v[57:58], v[24:25]
	s_delay_alu instid0(VALU_DEP_4) | instskip(NEXT) | instid1(VALU_DEP_4)
	v_add_f64 v[20:21], v[16:17], v[14:15]
	v_add_f64 v[46:47], v[46:47], v[67:68]
	ds_load_b128 v[2:5], v1 offset:1840
	ds_load_b128 v[14:17], v1 offset:1856
	v_fma_f64 v[57:58], v[57:58], v[22:23], v[59:60]
	v_fma_f64 v[22:23], v[55:56], v[22:23], -v[24:25]
	s_waitcnt vmcnt(6) lgkmcnt(1)
	v_mul_f64 v[67:68], v[2:3], v[28:29]
	v_mul_f64 v[28:29], v[4:5], v[28:29]
	s_waitcnt vmcnt(5) lgkmcnt(0)
	v_mul_f64 v[24:25], v[14:15], v[32:33]
	v_mul_f64 v[32:33], v[16:17], v[32:33]
	v_add_f64 v[18:19], v[20:21], v[18:19]
	v_add_f64 v[20:21], v[46:47], v[65:66]
	v_fma_f64 v[46:47], v[4:5], v[26:27], v[67:68]
	v_fma_f64 v[26:27], v[2:3], v[26:27], -v[28:29]
	v_fma_f64 v[16:17], v[16:17], v[30:31], v[24:25]
	v_fma_f64 v[14:15], v[14:15], v[30:31], -v[32:33]
	v_add_f64 v[22:23], v[18:19], v[22:23]
	v_add_f64 v[28:29], v[20:21], v[57:58]
	ds_load_b128 v[2:5], v1 offset:1872
	ds_load_b128 v[18:21], v1 offset:1888
	s_waitcnt vmcnt(4) lgkmcnt(1)
	v_mul_f64 v[55:56], v[2:3], v[36:37]
	v_mul_f64 v[36:37], v[4:5], v[36:37]
	v_add_f64 v[22:23], v[22:23], v[26:27]
	v_add_f64 v[24:25], v[28:29], v[46:47]
	s_waitcnt vmcnt(3) lgkmcnt(0)
	v_mul_f64 v[26:27], v[18:19], v[63:64]
	v_mul_f64 v[28:29], v[20:21], v[63:64]
	v_fma_f64 v[30:31], v[4:5], v[34:35], v[55:56]
	v_fma_f64 v[32:33], v[2:3], v[34:35], -v[36:37]
	v_add_f64 v[22:23], v[22:23], v[14:15]
	v_add_f64 v[24:25], v[24:25], v[16:17]
	ds_load_b128 v[2:5], v1 offset:1904
	ds_load_b128 v[14:17], v1 offset:1920
	v_fma_f64 v[20:21], v[20:21], v[61:62], v[26:27]
	v_fma_f64 v[18:19], v[18:19], v[61:62], -v[28:29]
	s_waitcnt vmcnt(2) lgkmcnt(1)
	v_mul_f64 v[34:35], v[2:3], v[40:41]
	v_mul_f64 v[36:37], v[4:5], v[40:41]
	s_waitcnt vmcnt(1) lgkmcnt(0)
	v_mul_f64 v[26:27], v[14:15], v[8:9]
	v_mul_f64 v[8:9], v[16:17], v[8:9]
	v_add_f64 v[22:23], v[22:23], v[32:33]
	v_add_f64 v[24:25], v[24:25], v[30:31]
	v_fma_f64 v[28:29], v[4:5], v[38:39], v[34:35]
	v_fma_f64 v[30:31], v[2:3], v[38:39], -v[36:37]
	ds_load_b128 v[2:5], v1 offset:1936
	v_fma_f64 v[16:17], v[16:17], v[6:7], v[26:27]
	v_fma_f64 v[6:7], v[14:15], v[6:7], -v[8:9]
	v_add_f64 v[18:19], v[22:23], v[18:19]
	v_add_f64 v[20:21], v[24:25], v[20:21]
	s_waitcnt vmcnt(0) lgkmcnt(0)
	v_mul_f64 v[22:23], v[2:3], v[12:13]
	v_mul_f64 v[12:13], v[4:5], v[12:13]
	s_delay_alu instid0(VALU_DEP_4) | instskip(NEXT) | instid1(VALU_DEP_4)
	v_add_f64 v[8:9], v[18:19], v[30:31]
	v_add_f64 v[14:15], v[20:21], v[28:29]
	s_delay_alu instid0(VALU_DEP_4) | instskip(NEXT) | instid1(VALU_DEP_4)
	v_fma_f64 v[4:5], v[4:5], v[10:11], v[22:23]
	v_fma_f64 v[2:3], v[2:3], v[10:11], -v[12:13]
	s_delay_alu instid0(VALU_DEP_4) | instskip(NEXT) | instid1(VALU_DEP_4)
	v_add_f64 v[6:7], v[8:9], v[6:7]
	v_add_f64 v[8:9], v[14:15], v[16:17]
	s_delay_alu instid0(VALU_DEP_2) | instskip(NEXT) | instid1(VALU_DEP_2)
	v_add_f64 v[2:3], v[6:7], v[2:3]
	v_add_f64 v[4:5], v[8:9], v[4:5]
	s_delay_alu instid0(VALU_DEP_2) | instskip(NEXT) | instid1(VALU_DEP_2)
	v_add_f64 v[2:3], v[42:43], -v[2:3]
	v_add_f64 v[4:5], v[44:45], -v[4:5]
	scratch_store_b128 off, v[2:5], off offset:272
	v_cmpx_lt_u32_e32 16, v171
	s_cbranch_execz .LBB60_359
; %bb.358:
	scratch_load_b32 v2, off, off offset:1000 ; 4-byte Folded Reload
	v_mov_b32_e32 v3, v1
	v_mov_b32_e32 v4, v1
	s_waitcnt vmcnt(0)
	scratch_load_b128 v[5:8], v2, off
	v_mov_b32_e32 v2, v1
	scratch_store_b128 off, v[1:4], off offset:256
	s_waitcnt vmcnt(0)
	ds_store_b128 v229, v[5:8]
.LBB60_359:
	s_or_b32 exec_lo, exec_lo, s2
	s_waitcnt lgkmcnt(0)
	s_waitcnt_vscnt null, 0x0
	s_barrier
	buffer_gl0_inv
	s_clause 0x8
	scratch_load_b128 v[2:5], off, off offset:272
	scratch_load_b128 v[6:9], off, off offset:288
	;; [unrolled: 1-line block ×9, first 2 shown]
	ds_load_b128 v[42:45], v1 offset:1248
	ds_load_b128 v[38:41], v1 offset:1264
	s_clause 0x1
	scratch_load_b128 v[55:58], off, off offset:256
	scratch_load_b128 v[59:62], off, off offset:416
	s_mov_b32 s2, exec_lo
	ds_load_b128 v[63:66], v1 offset:1296
	s_waitcnt vmcnt(10) lgkmcnt(2)
	v_mul_f64 v[46:47], v[44:45], v[4:5]
	v_mul_f64 v[4:5], v[42:43], v[4:5]
	s_waitcnt vmcnt(9) lgkmcnt(1)
	v_mul_f64 v[67:68], v[38:39], v[8:9]
	v_mul_f64 v[8:9], v[40:41], v[8:9]
	s_delay_alu instid0(VALU_DEP_4) | instskip(NEXT) | instid1(VALU_DEP_4)
	v_fma_f64 v[46:47], v[42:43], v[2:3], -v[46:47]
	v_fma_f64 v[69:70], v[44:45], v[2:3], v[4:5]
	ds_load_b128 v[2:5], v1 offset:1280
	scratch_load_b128 v[42:45], off, off offset:432
	v_fma_f64 v[40:41], v[40:41], v[6:7], v[67:68]
	v_fma_f64 v[38:39], v[38:39], v[6:7], -v[8:9]
	scratch_load_b128 v[6:9], off, off offset:448
	s_waitcnt vmcnt(10) lgkmcnt(0)
	v_mul_f64 v[85:86], v[2:3], v[12:13]
	v_mul_f64 v[12:13], v[4:5], v[12:13]
	v_add_f64 v[46:47], v[46:47], 0
	v_add_f64 v[67:68], v[69:70], 0
	s_waitcnt vmcnt(9)
	v_mul_f64 v[69:70], v[63:64], v[16:17]
	v_mul_f64 v[16:17], v[65:66], v[16:17]
	v_fma_f64 v[85:86], v[4:5], v[10:11], v[85:86]
	v_fma_f64 v[89:90], v[2:3], v[10:11], -v[12:13]
	ds_load_b128 v[2:5], v1 offset:1312
	scratch_load_b128 v[10:13], off, off offset:464
	v_add_f64 v[46:47], v[46:47], v[38:39]
	v_add_f64 v[67:68], v[67:68], v[40:41]
	ds_load_b128 v[38:41], v1 offset:1328
	v_fma_f64 v[65:66], v[65:66], v[14:15], v[69:70]
	v_fma_f64 v[63:64], v[63:64], v[14:15], -v[16:17]
	scratch_load_b128 v[14:17], off, off offset:480
	s_waitcnt vmcnt(10) lgkmcnt(1)
	v_mul_f64 v[91:92], v[2:3], v[20:21]
	v_mul_f64 v[20:21], v[4:5], v[20:21]
	s_waitcnt vmcnt(9) lgkmcnt(0)
	v_mul_f64 v[69:70], v[38:39], v[24:25]
	v_mul_f64 v[24:25], v[40:41], v[24:25]
	v_add_f64 v[46:47], v[46:47], v[89:90]
	v_add_f64 v[67:68], v[67:68], v[85:86]
	v_fma_f64 v[85:86], v[4:5], v[18:19], v[91:92]
	v_fma_f64 v[89:90], v[2:3], v[18:19], -v[20:21]
	ds_load_b128 v[2:5], v1 offset:1344
	scratch_load_b128 v[18:21], off, off offset:496
	v_fma_f64 v[40:41], v[40:41], v[22:23], v[69:70]
	v_fma_f64 v[38:39], v[38:39], v[22:23], -v[24:25]
	scratch_load_b128 v[22:25], off, off offset:512
	v_add_f64 v[46:47], v[46:47], v[63:64]
	v_add_f64 v[67:68], v[67:68], v[65:66]
	ds_load_b128 v[63:66], v1 offset:1360
	s_waitcnt vmcnt(10) lgkmcnt(1)
	v_mul_f64 v[91:92], v[2:3], v[28:29]
	v_mul_f64 v[28:29], v[4:5], v[28:29]
	s_waitcnt vmcnt(9) lgkmcnt(0)
	v_mul_f64 v[69:70], v[63:64], v[32:33]
	v_mul_f64 v[32:33], v[65:66], v[32:33]
	v_add_f64 v[46:47], v[46:47], v[89:90]
	v_add_f64 v[67:68], v[67:68], v[85:86]
	v_fma_f64 v[85:86], v[4:5], v[26:27], v[91:92]
	v_fma_f64 v[89:90], v[2:3], v[26:27], -v[28:29]
	ds_load_b128 v[2:5], v1 offset:1376
	scratch_load_b128 v[26:29], off, off offset:528
	v_fma_f64 v[65:66], v[65:66], v[30:31], v[69:70]
	v_fma_f64 v[63:64], v[63:64], v[30:31], -v[32:33]
	scratch_load_b128 v[30:33], off, off offset:544
	v_add_f64 v[46:47], v[46:47], v[38:39]
	v_add_f64 v[67:68], v[67:68], v[40:41]
	ds_load_b128 v[38:41], v1 offset:1392
	s_waitcnt vmcnt(10) lgkmcnt(1)
	v_mul_f64 v[91:92], v[2:3], v[36:37]
	v_mul_f64 v[36:37], v[4:5], v[36:37]
	s_waitcnt vmcnt(8) lgkmcnt(0)
	v_mul_f64 v[69:70], v[38:39], v[61:62]
	v_add_f64 v[46:47], v[46:47], v[89:90]
	v_add_f64 v[67:68], v[67:68], v[85:86]
	v_mul_f64 v[85:86], v[40:41], v[61:62]
	v_fma_f64 v[89:90], v[4:5], v[34:35], v[91:92]
	v_fma_f64 v[91:92], v[2:3], v[34:35], -v[36:37]
	ds_load_b128 v[2:5], v1 offset:1408
	scratch_load_b128 v[34:37], off, off offset:560
	v_fma_f64 v[69:70], v[40:41], v[59:60], v[69:70]
	v_add_f64 v[46:47], v[46:47], v[63:64]
	v_add_f64 v[65:66], v[67:68], v[65:66]
	ds_load_b128 v[61:64], v1 offset:1424
	v_fma_f64 v[59:60], v[38:39], v[59:60], -v[85:86]
	scratch_load_b128 v[38:41], off, off offset:576
	s_waitcnt vmcnt(9) lgkmcnt(1)
	v_mul_f64 v[67:68], v[2:3], v[44:45]
	v_mul_f64 v[44:45], v[4:5], v[44:45]
	s_waitcnt vmcnt(8) lgkmcnt(0)
	v_mul_f64 v[85:86], v[61:62], v[8:9]
	v_mul_f64 v[8:9], v[63:64], v[8:9]
	v_add_f64 v[46:47], v[46:47], v[91:92]
	v_add_f64 v[65:66], v[65:66], v[89:90]
	v_fma_f64 v[89:90], v[4:5], v[42:43], v[67:68]
	v_fma_f64 v[91:92], v[2:3], v[42:43], -v[44:45]
	ds_load_b128 v[2:5], v1 offset:1440
	scratch_load_b128 v[42:45], off, off offset:592
	v_fma_f64 v[63:64], v[63:64], v[6:7], v[85:86]
	v_fma_f64 v[61:62], v[61:62], v[6:7], -v[8:9]
	scratch_load_b128 v[6:9], off, off offset:608
	v_add_f64 v[46:47], v[46:47], v[59:60]
	v_add_f64 v[59:60], v[65:66], v[69:70]
	ds_load_b128 v[65:68], v1 offset:1456
	s_waitcnt vmcnt(9) lgkmcnt(1)
	v_mul_f64 v[69:70], v[2:3], v[12:13]
	v_mul_f64 v[12:13], v[4:5], v[12:13]
	s_waitcnt vmcnt(8) lgkmcnt(0)
	v_mul_f64 v[85:86], v[65:66], v[16:17]
	v_mul_f64 v[16:17], v[67:68], v[16:17]
	v_add_f64 v[46:47], v[46:47], v[91:92]
	v_add_f64 v[59:60], v[59:60], v[89:90]
	v_fma_f64 v[69:70], v[4:5], v[10:11], v[69:70]
	v_fma_f64 v[89:90], v[2:3], v[10:11], -v[12:13]
	ds_load_b128 v[2:5], v1 offset:1472
	scratch_load_b128 v[10:13], off, off offset:624
	v_fma_f64 v[67:68], v[67:68], v[14:15], v[85:86]
	v_fma_f64 v[65:66], v[65:66], v[14:15], -v[16:17]
	scratch_load_b128 v[14:17], off, off offset:640
	v_add_f64 v[46:47], v[46:47], v[61:62]
	v_add_f64 v[63:64], v[59:60], v[63:64]
	ds_load_b128 v[59:62], v1 offset:1488
	s_waitcnt vmcnt(9) lgkmcnt(1)
	v_mul_f64 v[91:92], v[2:3], v[20:21]
	v_mul_f64 v[20:21], v[4:5], v[20:21]
	v_add_f64 v[46:47], v[46:47], v[89:90]
	v_add_f64 v[63:64], v[63:64], v[69:70]
	s_waitcnt vmcnt(8) lgkmcnt(0)
	v_mul_f64 v[69:70], v[59:60], v[24:25]
	v_mul_f64 v[24:25], v[61:62], v[24:25]
	v_fma_f64 v[85:86], v[4:5], v[18:19], v[91:92]
	v_fma_f64 v[89:90], v[2:3], v[18:19], -v[20:21]
	ds_load_b128 v[2:5], v1 offset:1504
	scratch_load_b128 v[18:21], off, off offset:656
	v_add_f64 v[46:47], v[46:47], v[65:66]
	v_add_f64 v[67:68], v[63:64], v[67:68]
	ds_load_b128 v[63:66], v1 offset:1520
	s_waitcnt vmcnt(8) lgkmcnt(1)
	v_mul_f64 v[91:92], v[2:3], v[28:29]
	v_mul_f64 v[28:29], v[4:5], v[28:29]
	v_fma_f64 v[61:62], v[61:62], v[22:23], v[69:70]
	v_fma_f64 v[59:60], v[59:60], v[22:23], -v[24:25]
	scratch_load_b128 v[22:25], off, off offset:672
	s_waitcnt vmcnt(8) lgkmcnt(0)
	v_mul_f64 v[69:70], v[63:64], v[32:33]
	v_mul_f64 v[32:33], v[65:66], v[32:33]
	v_add_f64 v[46:47], v[46:47], v[89:90]
	v_add_f64 v[67:68], v[67:68], v[85:86]
	v_fma_f64 v[85:86], v[4:5], v[26:27], v[91:92]
	v_fma_f64 v[89:90], v[2:3], v[26:27], -v[28:29]
	ds_load_b128 v[2:5], v1 offset:1536
	scratch_load_b128 v[26:29], off, off offset:688
	v_fma_f64 v[65:66], v[65:66], v[30:31], v[69:70]
	v_fma_f64 v[63:64], v[63:64], v[30:31], -v[32:33]
	scratch_load_b128 v[30:33], off, off offset:704
	v_add_f64 v[46:47], v[46:47], v[59:60]
	v_add_f64 v[67:68], v[67:68], v[61:62]
	ds_load_b128 v[59:62], v1 offset:1552
	s_waitcnt vmcnt(9) lgkmcnt(1)
	v_mul_f64 v[91:92], v[2:3], v[36:37]
	v_mul_f64 v[36:37], v[4:5], v[36:37]
	s_waitcnt vmcnt(8) lgkmcnt(0)
	v_mul_f64 v[69:70], v[59:60], v[40:41]
	v_mul_f64 v[40:41], v[61:62], v[40:41]
	v_add_f64 v[46:47], v[46:47], v[89:90]
	v_add_f64 v[67:68], v[67:68], v[85:86]
	v_fma_f64 v[85:86], v[4:5], v[34:35], v[91:92]
	v_fma_f64 v[89:90], v[2:3], v[34:35], -v[36:37]
	ds_load_b128 v[2:5], v1 offset:1568
	scratch_load_b128 v[34:37], off, off offset:720
	v_fma_f64 v[61:62], v[61:62], v[38:39], v[69:70]
	v_fma_f64 v[59:60], v[59:60], v[38:39], -v[40:41]
	scratch_load_b128 v[38:41], off, off offset:736
	v_add_f64 v[46:47], v[46:47], v[63:64]
	v_add_f64 v[67:68], v[67:68], v[65:66]
	ds_load_b128 v[63:66], v1 offset:1584
	s_waitcnt vmcnt(9) lgkmcnt(1)
	v_mul_f64 v[91:92], v[2:3], v[44:45]
	v_mul_f64 v[44:45], v[4:5], v[44:45]
	;; [unrolled: 18-line block ×9, first 2 shown]
	s_waitcnt vmcnt(8) lgkmcnt(0)
	v_mul_f64 v[69:70], v[59:60], v[24:25]
	v_mul_f64 v[24:25], v[61:62], v[24:25]
	v_add_f64 v[46:47], v[46:47], v[89:90]
	v_add_f64 v[67:68], v[67:68], v[85:86]
	v_fma_f64 v[85:86], v[4:5], v[18:19], v[91:92]
	v_fma_f64 v[89:90], v[2:3], v[18:19], -v[20:21]
	ds_load_b128 v[2:5], v1 offset:1824
	ds_load_b128 v[18:21], v1 offset:1840
	v_fma_f64 v[61:62], v[61:62], v[22:23], v[69:70]
	v_fma_f64 v[22:23], v[59:60], v[22:23], -v[24:25]
	v_add_f64 v[46:47], v[46:47], v[63:64]
	v_add_f64 v[63:64], v[67:68], v[65:66]
	s_waitcnt vmcnt(7) lgkmcnt(1)
	v_mul_f64 v[65:66], v[2:3], v[28:29]
	v_mul_f64 v[28:29], v[4:5], v[28:29]
	s_waitcnt vmcnt(6) lgkmcnt(0)
	v_mul_f64 v[59:60], v[18:19], v[32:33]
	v_mul_f64 v[32:33], v[20:21], v[32:33]
	v_add_f64 v[24:25], v[46:47], v[89:90]
	v_add_f64 v[46:47], v[63:64], v[85:86]
	v_fma_f64 v[63:64], v[4:5], v[26:27], v[65:66]
	v_fma_f64 v[26:27], v[2:3], v[26:27], -v[28:29]
	v_fma_f64 v[20:21], v[20:21], v[30:31], v[59:60]
	v_fma_f64 v[18:19], v[18:19], v[30:31], -v[32:33]
	v_add_f64 v[28:29], v[24:25], v[22:23]
	v_add_f64 v[46:47], v[46:47], v[61:62]
	ds_load_b128 v[2:5], v1 offset:1856
	ds_load_b128 v[22:25], v1 offset:1872
	s_waitcnt vmcnt(5) lgkmcnt(1)
	v_mul_f64 v[61:62], v[2:3], v[36:37]
	v_mul_f64 v[36:37], v[4:5], v[36:37]
	s_waitcnt vmcnt(4) lgkmcnt(0)
	v_mul_f64 v[30:31], v[22:23], v[40:41]
	v_mul_f64 v[32:33], v[24:25], v[40:41]
	v_add_f64 v[26:27], v[28:29], v[26:27]
	v_add_f64 v[28:29], v[46:47], v[63:64]
	v_fma_f64 v[40:41], v[4:5], v[34:35], v[61:62]
	v_fma_f64 v[34:35], v[2:3], v[34:35], -v[36:37]
	v_fma_f64 v[24:25], v[24:25], v[38:39], v[30:31]
	v_fma_f64 v[22:23], v[22:23], v[38:39], -v[32:33]
	v_add_f64 v[26:27], v[26:27], v[18:19]
	v_add_f64 v[28:29], v[28:29], v[20:21]
	ds_load_b128 v[2:5], v1 offset:1888
	ds_load_b128 v[18:21], v1 offset:1904
	;; [unrolled: 16-line block ×3, first 2 shown]
	s_waitcnt vmcnt(1) lgkmcnt(1)
	v_mul_f64 v[36:37], v[2:3], v[12:13]
	v_mul_f64 v[12:13], v[4:5], v[12:13]
	v_add_f64 v[8:9], v[26:27], v[34:35]
	v_add_f64 v[18:19], v[28:29], v[32:33]
	s_waitcnt vmcnt(0) lgkmcnt(0)
	v_mul_f64 v[26:27], v[22:23], v[16:17]
	v_mul_f64 v[16:17], v[24:25], v[16:17]
	v_fma_f64 v[4:5], v[4:5], v[10:11], v[36:37]
	v_fma_f64 v[1:2], v[2:3], v[10:11], -v[12:13]
	v_add_f64 v[6:7], v[8:9], v[6:7]
	v_add_f64 v[8:9], v[18:19], v[20:21]
	v_fma_f64 v[10:11], v[24:25], v[14:15], v[26:27]
	v_fma_f64 v[12:13], v[22:23], v[14:15], -v[16:17]
	s_delay_alu instid0(VALU_DEP_4) | instskip(NEXT) | instid1(VALU_DEP_4)
	v_add_f64 v[1:2], v[6:7], v[1:2]
	v_add_f64 v[3:4], v[8:9], v[4:5]
	s_delay_alu instid0(VALU_DEP_2) | instskip(NEXT) | instid1(VALU_DEP_2)
	v_add_f64 v[1:2], v[1:2], v[12:13]
	v_add_f64 v[3:4], v[3:4], v[10:11]
	s_delay_alu instid0(VALU_DEP_2) | instskip(NEXT) | instid1(VALU_DEP_2)
	v_add_f64 v[1:2], v[55:56], -v[1:2]
	v_add_f64 v[3:4], v[57:58], -v[3:4]
	scratch_store_b128 off, v[1:4], off offset:256
	v_cmpx_lt_u32_e32 15, v171
	s_cbranch_execz .LBB60_361
; %bb.360:
	scratch_load_b32 v1, off, off offset:1004 ; 4-byte Folded Reload
	v_mov_b32_e32 v5, 0
	s_delay_alu instid0(VALU_DEP_1)
	v_mov_b32_e32 v6, v5
	v_mov_b32_e32 v7, v5
	;; [unrolled: 1-line block ×3, first 2 shown]
	s_waitcnt vmcnt(0)
	scratch_load_b128 v[1:4], v1, off
	scratch_store_b128 off, v[5:8], off offset:240
	s_waitcnt vmcnt(0)
	ds_store_b128 v229, v[1:4]
.LBB60_361:
	s_or_b32 exec_lo, exec_lo, s2
	s_waitcnt lgkmcnt(0)
	s_waitcnt_vscnt null, 0x0
	s_barrier
	buffer_gl0_inv
	s_clause 0x7
	scratch_load_b128 v[2:5], off, off offset:256
	scratch_load_b128 v[6:9], off, off offset:272
	;; [unrolled: 1-line block ×8, first 2 shown]
	v_mov_b32_e32 v1, 0
	s_mov_b32 s2, exec_lo
	ds_load_b128 v[38:41], v1 offset:1232
	s_clause 0x1
	scratch_load_b128 v[34:37], off, off offset:384
	scratch_load_b128 v[42:45], off, off offset:240
	ds_load_b128 v[55:58], v1 offset:1248
	scratch_load_b128 v[59:62], off, off offset:400
	ds_load_b128 v[63:66], v1 offset:1280
	s_waitcnt vmcnt(10) lgkmcnt(2)
	v_mul_f64 v[46:47], v[40:41], v[4:5]
	v_mul_f64 v[4:5], v[38:39], v[4:5]
	s_delay_alu instid0(VALU_DEP_2) | instskip(NEXT) | instid1(VALU_DEP_2)
	v_fma_f64 v[46:47], v[38:39], v[2:3], -v[46:47]
	v_fma_f64 v[69:70], v[40:41], v[2:3], v[4:5]
	ds_load_b128 v[2:5], v1 offset:1264
	s_waitcnt vmcnt(9) lgkmcnt(2)
	v_mul_f64 v[67:68], v[55:56], v[8:9]
	v_mul_f64 v[8:9], v[57:58], v[8:9]
	scratch_load_b128 v[38:41], off, off offset:416
	s_waitcnt vmcnt(9) lgkmcnt(0)
	v_mul_f64 v[85:86], v[2:3], v[12:13]
	v_mul_f64 v[12:13], v[4:5], v[12:13]
	v_add_f64 v[46:47], v[46:47], 0
	v_fma_f64 v[57:58], v[57:58], v[6:7], v[67:68]
	v_fma_f64 v[55:56], v[55:56], v[6:7], -v[8:9]
	v_add_f64 v[67:68], v[69:70], 0
	scratch_load_b128 v[6:9], off, off offset:432
	v_fma_f64 v[85:86], v[4:5], v[10:11], v[85:86]
	v_fma_f64 v[89:90], v[2:3], v[10:11], -v[12:13]
	scratch_load_b128 v[10:13], off, off offset:448
	ds_load_b128 v[2:5], v1 offset:1296
	s_waitcnt vmcnt(10)
	v_mul_f64 v[69:70], v[63:64], v[16:17]
	v_mul_f64 v[16:17], v[65:66], v[16:17]
	v_add_f64 v[46:47], v[46:47], v[55:56]
	v_add_f64 v[67:68], v[67:68], v[57:58]
	ds_load_b128 v[55:58], v1 offset:1312
	s_waitcnt vmcnt(9) lgkmcnt(1)
	v_mul_f64 v[91:92], v[2:3], v[20:21]
	v_mul_f64 v[20:21], v[4:5], v[20:21]
	v_fma_f64 v[65:66], v[65:66], v[14:15], v[69:70]
	v_fma_f64 v[63:64], v[63:64], v[14:15], -v[16:17]
	scratch_load_b128 v[14:17], off, off offset:464
	v_add_f64 v[46:47], v[46:47], v[89:90]
	v_add_f64 v[67:68], v[67:68], v[85:86]
	v_fma_f64 v[85:86], v[4:5], v[18:19], v[91:92]
	v_fma_f64 v[89:90], v[2:3], v[18:19], -v[20:21]
	scratch_load_b128 v[18:21], off, off offset:480
	ds_load_b128 v[2:5], v1 offset:1328
	s_waitcnt vmcnt(10) lgkmcnt(1)
	v_mul_f64 v[69:70], v[55:56], v[24:25]
	v_mul_f64 v[24:25], v[57:58], v[24:25]
	s_waitcnt vmcnt(9) lgkmcnt(0)
	v_mul_f64 v[91:92], v[2:3], v[28:29]
	v_mul_f64 v[28:29], v[4:5], v[28:29]
	v_add_f64 v[46:47], v[46:47], v[63:64]
	v_add_f64 v[67:68], v[67:68], v[65:66]
	ds_load_b128 v[63:66], v1 offset:1344
	v_fma_f64 v[57:58], v[57:58], v[22:23], v[69:70]
	v_fma_f64 v[55:56], v[55:56], v[22:23], -v[24:25]
	scratch_load_b128 v[22:25], off, off offset:496
	v_add_f64 v[46:47], v[46:47], v[89:90]
	v_add_f64 v[67:68], v[67:68], v[85:86]
	v_fma_f64 v[85:86], v[4:5], v[26:27], v[91:92]
	v_fma_f64 v[89:90], v[2:3], v[26:27], -v[28:29]
	scratch_load_b128 v[26:29], off, off offset:512
	ds_load_b128 v[2:5], v1 offset:1360
	s_waitcnt vmcnt(10) lgkmcnt(1)
	v_mul_f64 v[69:70], v[63:64], v[32:33]
	v_mul_f64 v[32:33], v[65:66], v[32:33]
	s_waitcnt vmcnt(9) lgkmcnt(0)
	v_mul_f64 v[91:92], v[2:3], v[36:37]
	v_mul_f64 v[36:37], v[4:5], v[36:37]
	v_add_f64 v[46:47], v[46:47], v[55:56]
	v_add_f64 v[67:68], v[67:68], v[57:58]
	ds_load_b128 v[55:58], v1 offset:1376
	v_fma_f64 v[65:66], v[65:66], v[30:31], v[69:70]
	v_fma_f64 v[63:64], v[63:64], v[30:31], -v[32:33]
	scratch_load_b128 v[30:33], off, off offset:528
	v_add_f64 v[46:47], v[46:47], v[89:90]
	v_add_f64 v[67:68], v[67:68], v[85:86]
	v_fma_f64 v[89:90], v[4:5], v[34:35], v[91:92]
	v_fma_f64 v[91:92], v[2:3], v[34:35], -v[36:37]
	scratch_load_b128 v[34:37], off, off offset:544
	ds_load_b128 v[2:5], v1 offset:1392
	s_waitcnt vmcnt(9) lgkmcnt(1)
	v_mul_f64 v[69:70], v[55:56], v[61:62]
	v_mul_f64 v[85:86], v[57:58], v[61:62]
	v_add_f64 v[46:47], v[46:47], v[63:64]
	v_add_f64 v[65:66], v[67:68], v[65:66]
	ds_load_b128 v[61:64], v1 offset:1408
	v_fma_f64 v[69:70], v[57:58], v[59:60], v[69:70]
	v_fma_f64 v[59:60], v[55:56], v[59:60], -v[85:86]
	scratch_load_b128 v[55:58], off, off offset:560
	s_waitcnt vmcnt(9) lgkmcnt(1)
	v_mul_f64 v[67:68], v[2:3], v[40:41]
	v_mul_f64 v[40:41], v[4:5], v[40:41]
	v_add_f64 v[46:47], v[46:47], v[91:92]
	v_add_f64 v[65:66], v[65:66], v[89:90]
	s_delay_alu instid0(VALU_DEP_4) | instskip(NEXT) | instid1(VALU_DEP_4)
	v_fma_f64 v[89:90], v[4:5], v[38:39], v[67:68]
	v_fma_f64 v[91:92], v[2:3], v[38:39], -v[40:41]
	scratch_load_b128 v[38:41], off, off offset:576
	ds_load_b128 v[2:5], v1 offset:1424
	s_waitcnt vmcnt(9) lgkmcnt(1)
	v_mul_f64 v[85:86], v[61:62], v[8:9]
	v_mul_f64 v[8:9], v[63:64], v[8:9]
	v_add_f64 v[46:47], v[46:47], v[59:60]
	v_add_f64 v[59:60], v[65:66], v[69:70]
	s_waitcnt vmcnt(8) lgkmcnt(0)
	v_mul_f64 v[69:70], v[2:3], v[12:13]
	v_mul_f64 v[12:13], v[4:5], v[12:13]
	ds_load_b128 v[65:68], v1 offset:1440
	v_fma_f64 v[63:64], v[63:64], v[6:7], v[85:86]
	v_fma_f64 v[61:62], v[61:62], v[6:7], -v[8:9]
	scratch_load_b128 v[6:9], off, off offset:592
	v_add_f64 v[46:47], v[46:47], v[91:92]
	v_add_f64 v[59:60], v[59:60], v[89:90]
	v_fma_f64 v[69:70], v[4:5], v[10:11], v[69:70]
	v_fma_f64 v[89:90], v[2:3], v[10:11], -v[12:13]
	scratch_load_b128 v[10:13], off, off offset:608
	ds_load_b128 v[2:5], v1 offset:1456
	s_waitcnt vmcnt(9) lgkmcnt(1)
	v_mul_f64 v[85:86], v[65:66], v[16:17]
	v_mul_f64 v[16:17], v[67:68], v[16:17]
	s_waitcnt vmcnt(8) lgkmcnt(0)
	v_mul_f64 v[91:92], v[2:3], v[20:21]
	v_mul_f64 v[20:21], v[4:5], v[20:21]
	v_add_f64 v[46:47], v[46:47], v[61:62]
	v_add_f64 v[63:64], v[59:60], v[63:64]
	ds_load_b128 v[59:62], v1 offset:1472
	v_fma_f64 v[67:68], v[67:68], v[14:15], v[85:86]
	v_fma_f64 v[65:66], v[65:66], v[14:15], -v[16:17]
	scratch_load_b128 v[14:17], off, off offset:624
	v_fma_f64 v[85:86], v[4:5], v[18:19], v[91:92]
	v_add_f64 v[46:47], v[46:47], v[89:90]
	v_add_f64 v[63:64], v[63:64], v[69:70]
	v_fma_f64 v[89:90], v[2:3], v[18:19], -v[20:21]
	scratch_load_b128 v[18:21], off, off offset:640
	ds_load_b128 v[2:5], v1 offset:1488
	s_waitcnt vmcnt(9) lgkmcnt(1)
	v_mul_f64 v[69:70], v[59:60], v[24:25]
	v_mul_f64 v[24:25], v[61:62], v[24:25]
	s_waitcnt vmcnt(8) lgkmcnt(0)
	v_mul_f64 v[91:92], v[2:3], v[28:29]
	v_mul_f64 v[28:29], v[4:5], v[28:29]
	v_add_f64 v[46:47], v[46:47], v[65:66]
	v_add_f64 v[67:68], v[63:64], v[67:68]
	ds_load_b128 v[63:66], v1 offset:1504
	v_fma_f64 v[61:62], v[61:62], v[22:23], v[69:70]
	v_fma_f64 v[59:60], v[59:60], v[22:23], -v[24:25]
	scratch_load_b128 v[22:25], off, off offset:656
	v_add_f64 v[46:47], v[46:47], v[89:90]
	v_add_f64 v[67:68], v[67:68], v[85:86]
	v_fma_f64 v[85:86], v[4:5], v[26:27], v[91:92]
	v_fma_f64 v[89:90], v[2:3], v[26:27], -v[28:29]
	scratch_load_b128 v[26:29], off, off offset:672
	ds_load_b128 v[2:5], v1 offset:1520
	s_waitcnt vmcnt(9) lgkmcnt(1)
	v_mul_f64 v[69:70], v[63:64], v[32:33]
	v_mul_f64 v[32:33], v[65:66], v[32:33]
	s_waitcnt vmcnt(8) lgkmcnt(0)
	v_mul_f64 v[91:92], v[2:3], v[36:37]
	v_mul_f64 v[36:37], v[4:5], v[36:37]
	v_add_f64 v[46:47], v[46:47], v[59:60]
	v_add_f64 v[67:68], v[67:68], v[61:62]
	ds_load_b128 v[59:62], v1 offset:1536
	v_fma_f64 v[65:66], v[65:66], v[30:31], v[69:70]
	v_fma_f64 v[63:64], v[63:64], v[30:31], -v[32:33]
	scratch_load_b128 v[30:33], off, off offset:688
	v_add_f64 v[46:47], v[46:47], v[89:90]
	v_add_f64 v[67:68], v[67:68], v[85:86]
	v_fma_f64 v[85:86], v[4:5], v[34:35], v[91:92]
	;; [unrolled: 18-line block ×7, first 2 shown]
	v_fma_f64 v[91:92], v[2:3], v[34:35], -v[36:37]
	scratch_load_b128 v[34:37], off, off offset:864
	ds_load_b128 v[2:5], v1 offset:1712
	s_waitcnt vmcnt(9) lgkmcnt(1)
	v_mul_f64 v[69:70], v[63:64], v[57:58]
	v_mul_f64 v[85:86], v[65:66], v[57:58]
	v_add_f64 v[46:47], v[46:47], v[59:60]
	v_add_f64 v[61:62], v[67:68], v[61:62]
	s_waitcnt vmcnt(8) lgkmcnt(0)
	v_mul_f64 v[67:68], v[2:3], v[40:41]
	v_mul_f64 v[40:41], v[4:5], v[40:41]
	ds_load_b128 v[57:60], v1 offset:1728
	v_fma_f64 v[65:66], v[65:66], v[55:56], v[69:70]
	v_fma_f64 v[55:56], v[63:64], v[55:56], -v[85:86]
	v_add_f64 v[46:47], v[46:47], v[91:92]
	v_add_f64 v[69:70], v[61:62], v[89:90]
	scratch_load_b128 v[61:64], off, off offset:880
	v_fma_f64 v[89:90], v[4:5], v[38:39], v[67:68]
	v_fma_f64 v[91:92], v[2:3], v[38:39], -v[40:41]
	scratch_load_b128 v[38:41], off, off offset:896
	ds_load_b128 v[2:5], v1 offset:1744
	s_waitcnt vmcnt(9) lgkmcnt(1)
	v_mul_f64 v[85:86], v[57:58], v[8:9]
	v_mul_f64 v[8:9], v[59:60], v[8:9]
	v_add_f64 v[46:47], v[46:47], v[55:56]
	v_add_f64 v[55:56], v[69:70], v[65:66]
	s_waitcnt vmcnt(8) lgkmcnt(0)
	v_mul_f64 v[69:70], v[2:3], v[12:13]
	v_mul_f64 v[12:13], v[4:5], v[12:13]
	ds_load_b128 v[65:68], v1 offset:1760
	v_fma_f64 v[59:60], v[59:60], v[6:7], v[85:86]
	v_fma_f64 v[57:58], v[57:58], v[6:7], -v[8:9]
	scratch_load_b128 v[6:9], off, off offset:912
	v_add_f64 v[46:47], v[46:47], v[91:92]
	v_add_f64 v[55:56], v[55:56], v[89:90]
	v_fma_f64 v[69:70], v[4:5], v[10:11], v[69:70]
	v_fma_f64 v[89:90], v[2:3], v[10:11], -v[12:13]
	scratch_load_b128 v[10:13], off, off offset:928
	ds_load_b128 v[2:5], v1 offset:1776
	s_waitcnt vmcnt(9) lgkmcnt(1)
	v_mul_f64 v[85:86], v[65:66], v[16:17]
	v_mul_f64 v[16:17], v[67:68], v[16:17]
	s_waitcnt vmcnt(8) lgkmcnt(0)
	v_mul_f64 v[91:92], v[2:3], v[20:21]
	v_mul_f64 v[20:21], v[4:5], v[20:21]
	v_add_f64 v[46:47], v[46:47], v[57:58]
	v_add_f64 v[59:60], v[55:56], v[59:60]
	ds_load_b128 v[55:58], v1 offset:1792
	v_fma_f64 v[67:68], v[67:68], v[14:15], v[85:86]
	v_fma_f64 v[65:66], v[65:66], v[14:15], -v[16:17]
	scratch_load_b128 v[14:17], off, off offset:944
	v_fma_f64 v[85:86], v[4:5], v[18:19], v[91:92]
	v_add_f64 v[46:47], v[46:47], v[89:90]
	v_add_f64 v[59:60], v[59:60], v[69:70]
	v_fma_f64 v[89:90], v[2:3], v[18:19], -v[20:21]
	scratch_load_b128 v[18:21], off, off offset:960
	ds_load_b128 v[2:5], v1 offset:1808
	s_waitcnt vmcnt(9) lgkmcnt(1)
	v_mul_f64 v[69:70], v[55:56], v[24:25]
	v_mul_f64 v[24:25], v[57:58], v[24:25]
	s_waitcnt vmcnt(8) lgkmcnt(0)
	v_mul_f64 v[91:92], v[2:3], v[28:29]
	v_mul_f64 v[28:29], v[4:5], v[28:29]
	v_add_f64 v[46:47], v[46:47], v[65:66]
	v_add_f64 v[59:60], v[59:60], v[67:68]
	ds_load_b128 v[65:68], v1 offset:1824
	v_fma_f64 v[57:58], v[57:58], v[22:23], v[69:70]
	v_fma_f64 v[22:23], v[55:56], v[22:23], -v[24:25]
	s_waitcnt vmcnt(7) lgkmcnt(0)
	v_mul_f64 v[55:56], v[65:66], v[32:33]
	v_mul_f64 v[32:33], v[67:68], v[32:33]
	v_add_f64 v[24:25], v[46:47], v[89:90]
	v_add_f64 v[46:47], v[59:60], v[85:86]
	v_fma_f64 v[59:60], v[4:5], v[26:27], v[91:92]
	v_fma_f64 v[26:27], v[2:3], v[26:27], -v[28:29]
	v_fma_f64 v[55:56], v[67:68], v[30:31], v[55:56]
	v_fma_f64 v[30:31], v[65:66], v[30:31], -v[32:33]
	v_add_f64 v[28:29], v[24:25], v[22:23]
	v_add_f64 v[46:47], v[46:47], v[57:58]
	ds_load_b128 v[2:5], v1 offset:1840
	ds_load_b128 v[22:25], v1 offset:1856
	s_waitcnt vmcnt(6) lgkmcnt(1)
	v_mul_f64 v[57:58], v[2:3], v[36:37]
	v_mul_f64 v[36:37], v[4:5], v[36:37]
	v_add_f64 v[26:27], v[28:29], v[26:27]
	v_add_f64 v[28:29], v[46:47], v[59:60]
	s_waitcnt vmcnt(5) lgkmcnt(0)
	v_mul_f64 v[32:33], v[22:23], v[63:64]
	v_mul_f64 v[46:47], v[24:25], v[63:64]
	v_fma_f64 v[57:58], v[4:5], v[34:35], v[57:58]
	v_fma_f64 v[34:35], v[2:3], v[34:35], -v[36:37]
	v_add_f64 v[30:31], v[26:27], v[30:31]
	v_add_f64 v[36:37], v[28:29], v[55:56]
	ds_load_b128 v[2:5], v1 offset:1872
	ds_load_b128 v[26:29], v1 offset:1888
	v_fma_f64 v[24:25], v[24:25], v[61:62], v[32:33]
	v_fma_f64 v[22:23], v[22:23], v[61:62], -v[46:47]
	s_waitcnt vmcnt(4) lgkmcnt(1)
	v_mul_f64 v[55:56], v[2:3], v[40:41]
	v_mul_f64 v[40:41], v[4:5], v[40:41]
	v_add_f64 v[30:31], v[30:31], v[34:35]
	v_add_f64 v[32:33], v[36:37], v[57:58]
	s_waitcnt vmcnt(3) lgkmcnt(0)
	v_mul_f64 v[34:35], v[26:27], v[8:9]
	v_mul_f64 v[8:9], v[28:29], v[8:9]
	v_fma_f64 v[36:37], v[4:5], v[38:39], v[55:56]
	v_fma_f64 v[38:39], v[2:3], v[38:39], -v[40:41]
	v_add_f64 v[30:31], v[30:31], v[22:23]
	v_add_f64 v[32:33], v[32:33], v[24:25]
	ds_load_b128 v[2:5], v1 offset:1904
	ds_load_b128 v[22:25], v1 offset:1920
	v_fma_f64 v[28:29], v[28:29], v[6:7], v[34:35]
	v_fma_f64 v[6:7], v[26:27], v[6:7], -v[8:9]
	s_waitcnt vmcnt(2) lgkmcnt(1)
	v_mul_f64 v[40:41], v[2:3], v[12:13]
	v_mul_f64 v[12:13], v[4:5], v[12:13]
	v_add_f64 v[8:9], v[30:31], v[38:39]
	v_add_f64 v[26:27], v[32:33], v[36:37]
	s_waitcnt vmcnt(1) lgkmcnt(0)
	v_mul_f64 v[30:31], v[22:23], v[16:17]
	v_mul_f64 v[16:17], v[24:25], v[16:17]
	v_fma_f64 v[32:33], v[4:5], v[10:11], v[40:41]
	v_fma_f64 v[10:11], v[2:3], v[10:11], -v[12:13]
	ds_load_b128 v[2:5], v1 offset:1936
	v_add_f64 v[6:7], v[8:9], v[6:7]
	v_add_f64 v[8:9], v[26:27], v[28:29]
	v_fma_f64 v[24:25], v[24:25], v[14:15], v[30:31]
	v_fma_f64 v[14:15], v[22:23], v[14:15], -v[16:17]
	s_waitcnt vmcnt(0) lgkmcnt(0)
	v_mul_f64 v[12:13], v[2:3], v[20:21]
	v_mul_f64 v[20:21], v[4:5], v[20:21]
	v_add_f64 v[6:7], v[6:7], v[10:11]
	v_add_f64 v[8:9], v[8:9], v[32:33]
	s_delay_alu instid0(VALU_DEP_4) | instskip(NEXT) | instid1(VALU_DEP_4)
	v_fma_f64 v[4:5], v[4:5], v[18:19], v[12:13]
	v_fma_f64 v[2:3], v[2:3], v[18:19], -v[20:21]
	s_delay_alu instid0(VALU_DEP_4) | instskip(NEXT) | instid1(VALU_DEP_4)
	v_add_f64 v[6:7], v[6:7], v[14:15]
	v_add_f64 v[8:9], v[8:9], v[24:25]
	s_delay_alu instid0(VALU_DEP_2) | instskip(NEXT) | instid1(VALU_DEP_2)
	v_add_f64 v[2:3], v[6:7], v[2:3]
	v_add_f64 v[4:5], v[8:9], v[4:5]
	s_delay_alu instid0(VALU_DEP_2) | instskip(NEXT) | instid1(VALU_DEP_2)
	v_add_f64 v[2:3], v[42:43], -v[2:3]
	v_add_f64 v[4:5], v[44:45], -v[4:5]
	scratch_store_b128 off, v[2:5], off offset:240
	v_cmpx_lt_u32_e32 14, v171
	s_cbranch_execz .LBB60_363
; %bb.362:
	scratch_load_b32 v2, off, off offset:1008 ; 4-byte Folded Reload
	v_mov_b32_e32 v3, v1
	v_mov_b32_e32 v4, v1
	s_waitcnt vmcnt(0)
	scratch_load_b128 v[5:8], v2, off
	v_mov_b32_e32 v2, v1
	scratch_store_b128 off, v[1:4], off offset:224
	s_waitcnt vmcnt(0)
	ds_store_b128 v229, v[5:8]
.LBB60_363:
	s_or_b32 exec_lo, exec_lo, s2
	s_waitcnt lgkmcnt(0)
	s_waitcnt_vscnt null, 0x0
	s_barrier
	buffer_gl0_inv
	s_clause 0x8
	scratch_load_b128 v[2:5], off, off offset:240
	scratch_load_b128 v[6:9], off, off offset:256
	scratch_load_b128 v[10:13], off, off offset:272
	scratch_load_b128 v[14:17], off, off offset:288
	scratch_load_b128 v[18:21], off, off offset:304
	scratch_load_b128 v[22:25], off, off offset:320
	scratch_load_b128 v[26:29], off, off offset:336
	scratch_load_b128 v[30:33], off, off offset:352
	scratch_load_b128 v[34:37], off, off offset:368
	ds_load_b128 v[42:45], v1 offset:1216
	ds_load_b128 v[38:41], v1 offset:1232
	s_clause 0x1
	scratch_load_b128 v[55:58], off, off offset:224
	scratch_load_b128 v[59:62], off, off offset:384
	s_mov_b32 s2, exec_lo
	ds_load_b128 v[63:66], v1 offset:1264
	s_waitcnt vmcnt(10) lgkmcnt(2)
	v_mul_f64 v[46:47], v[44:45], v[4:5]
	v_mul_f64 v[4:5], v[42:43], v[4:5]
	s_waitcnt vmcnt(9) lgkmcnt(1)
	v_mul_f64 v[67:68], v[38:39], v[8:9]
	v_mul_f64 v[8:9], v[40:41], v[8:9]
	s_delay_alu instid0(VALU_DEP_4) | instskip(NEXT) | instid1(VALU_DEP_4)
	v_fma_f64 v[46:47], v[42:43], v[2:3], -v[46:47]
	v_fma_f64 v[69:70], v[44:45], v[2:3], v[4:5]
	ds_load_b128 v[2:5], v1 offset:1248
	scratch_load_b128 v[42:45], off, off offset:400
	v_fma_f64 v[40:41], v[40:41], v[6:7], v[67:68]
	v_fma_f64 v[38:39], v[38:39], v[6:7], -v[8:9]
	scratch_load_b128 v[6:9], off, off offset:416
	s_waitcnt vmcnt(10) lgkmcnt(0)
	v_mul_f64 v[85:86], v[2:3], v[12:13]
	v_mul_f64 v[12:13], v[4:5], v[12:13]
	v_add_f64 v[46:47], v[46:47], 0
	v_add_f64 v[67:68], v[69:70], 0
	s_waitcnt vmcnt(9)
	v_mul_f64 v[69:70], v[63:64], v[16:17]
	v_mul_f64 v[16:17], v[65:66], v[16:17]
	v_fma_f64 v[85:86], v[4:5], v[10:11], v[85:86]
	v_fma_f64 v[89:90], v[2:3], v[10:11], -v[12:13]
	ds_load_b128 v[2:5], v1 offset:1280
	scratch_load_b128 v[10:13], off, off offset:432
	v_add_f64 v[46:47], v[46:47], v[38:39]
	v_add_f64 v[67:68], v[67:68], v[40:41]
	ds_load_b128 v[38:41], v1 offset:1296
	v_fma_f64 v[65:66], v[65:66], v[14:15], v[69:70]
	v_fma_f64 v[63:64], v[63:64], v[14:15], -v[16:17]
	scratch_load_b128 v[14:17], off, off offset:448
	s_waitcnt vmcnt(10) lgkmcnt(1)
	v_mul_f64 v[91:92], v[2:3], v[20:21]
	v_mul_f64 v[20:21], v[4:5], v[20:21]
	s_waitcnt vmcnt(9) lgkmcnt(0)
	v_mul_f64 v[69:70], v[38:39], v[24:25]
	v_mul_f64 v[24:25], v[40:41], v[24:25]
	v_add_f64 v[46:47], v[46:47], v[89:90]
	v_add_f64 v[67:68], v[67:68], v[85:86]
	v_fma_f64 v[85:86], v[4:5], v[18:19], v[91:92]
	v_fma_f64 v[89:90], v[2:3], v[18:19], -v[20:21]
	ds_load_b128 v[2:5], v1 offset:1312
	scratch_load_b128 v[18:21], off, off offset:464
	v_fma_f64 v[40:41], v[40:41], v[22:23], v[69:70]
	v_fma_f64 v[38:39], v[38:39], v[22:23], -v[24:25]
	scratch_load_b128 v[22:25], off, off offset:480
	v_add_f64 v[46:47], v[46:47], v[63:64]
	v_add_f64 v[67:68], v[67:68], v[65:66]
	ds_load_b128 v[63:66], v1 offset:1328
	s_waitcnt vmcnt(10) lgkmcnt(1)
	v_mul_f64 v[91:92], v[2:3], v[28:29]
	v_mul_f64 v[28:29], v[4:5], v[28:29]
	s_waitcnt vmcnt(9) lgkmcnt(0)
	v_mul_f64 v[69:70], v[63:64], v[32:33]
	v_mul_f64 v[32:33], v[65:66], v[32:33]
	v_add_f64 v[46:47], v[46:47], v[89:90]
	v_add_f64 v[67:68], v[67:68], v[85:86]
	v_fma_f64 v[85:86], v[4:5], v[26:27], v[91:92]
	v_fma_f64 v[89:90], v[2:3], v[26:27], -v[28:29]
	ds_load_b128 v[2:5], v1 offset:1344
	scratch_load_b128 v[26:29], off, off offset:496
	v_fma_f64 v[65:66], v[65:66], v[30:31], v[69:70]
	v_fma_f64 v[63:64], v[63:64], v[30:31], -v[32:33]
	scratch_load_b128 v[30:33], off, off offset:512
	v_add_f64 v[46:47], v[46:47], v[38:39]
	v_add_f64 v[67:68], v[67:68], v[40:41]
	ds_load_b128 v[38:41], v1 offset:1360
	s_waitcnt vmcnt(10) lgkmcnt(1)
	v_mul_f64 v[91:92], v[2:3], v[36:37]
	v_mul_f64 v[36:37], v[4:5], v[36:37]
	s_waitcnt vmcnt(8) lgkmcnt(0)
	v_mul_f64 v[69:70], v[38:39], v[61:62]
	v_add_f64 v[46:47], v[46:47], v[89:90]
	v_add_f64 v[67:68], v[67:68], v[85:86]
	v_mul_f64 v[85:86], v[40:41], v[61:62]
	v_fma_f64 v[89:90], v[4:5], v[34:35], v[91:92]
	v_fma_f64 v[91:92], v[2:3], v[34:35], -v[36:37]
	ds_load_b128 v[2:5], v1 offset:1376
	scratch_load_b128 v[34:37], off, off offset:528
	v_fma_f64 v[69:70], v[40:41], v[59:60], v[69:70]
	v_add_f64 v[46:47], v[46:47], v[63:64]
	v_add_f64 v[65:66], v[67:68], v[65:66]
	ds_load_b128 v[61:64], v1 offset:1392
	v_fma_f64 v[59:60], v[38:39], v[59:60], -v[85:86]
	scratch_load_b128 v[38:41], off, off offset:544
	s_waitcnt vmcnt(9) lgkmcnt(1)
	v_mul_f64 v[67:68], v[2:3], v[44:45]
	v_mul_f64 v[44:45], v[4:5], v[44:45]
	s_waitcnt vmcnt(8) lgkmcnt(0)
	v_mul_f64 v[85:86], v[61:62], v[8:9]
	v_mul_f64 v[8:9], v[63:64], v[8:9]
	v_add_f64 v[46:47], v[46:47], v[91:92]
	v_add_f64 v[65:66], v[65:66], v[89:90]
	v_fma_f64 v[89:90], v[4:5], v[42:43], v[67:68]
	v_fma_f64 v[91:92], v[2:3], v[42:43], -v[44:45]
	ds_load_b128 v[2:5], v1 offset:1408
	scratch_load_b128 v[42:45], off, off offset:560
	v_fma_f64 v[63:64], v[63:64], v[6:7], v[85:86]
	v_fma_f64 v[61:62], v[61:62], v[6:7], -v[8:9]
	scratch_load_b128 v[6:9], off, off offset:576
	v_add_f64 v[46:47], v[46:47], v[59:60]
	v_add_f64 v[59:60], v[65:66], v[69:70]
	ds_load_b128 v[65:68], v1 offset:1424
	s_waitcnt vmcnt(9) lgkmcnt(1)
	v_mul_f64 v[69:70], v[2:3], v[12:13]
	v_mul_f64 v[12:13], v[4:5], v[12:13]
	s_waitcnt vmcnt(8) lgkmcnt(0)
	v_mul_f64 v[85:86], v[65:66], v[16:17]
	v_mul_f64 v[16:17], v[67:68], v[16:17]
	v_add_f64 v[46:47], v[46:47], v[91:92]
	v_add_f64 v[59:60], v[59:60], v[89:90]
	v_fma_f64 v[69:70], v[4:5], v[10:11], v[69:70]
	v_fma_f64 v[89:90], v[2:3], v[10:11], -v[12:13]
	ds_load_b128 v[2:5], v1 offset:1440
	scratch_load_b128 v[10:13], off, off offset:592
	v_fma_f64 v[67:68], v[67:68], v[14:15], v[85:86]
	v_fma_f64 v[65:66], v[65:66], v[14:15], -v[16:17]
	scratch_load_b128 v[14:17], off, off offset:608
	v_add_f64 v[46:47], v[46:47], v[61:62]
	v_add_f64 v[63:64], v[59:60], v[63:64]
	ds_load_b128 v[59:62], v1 offset:1456
	s_waitcnt vmcnt(9) lgkmcnt(1)
	v_mul_f64 v[91:92], v[2:3], v[20:21]
	v_mul_f64 v[20:21], v[4:5], v[20:21]
	v_add_f64 v[46:47], v[46:47], v[89:90]
	v_add_f64 v[63:64], v[63:64], v[69:70]
	s_waitcnt vmcnt(8) lgkmcnt(0)
	v_mul_f64 v[69:70], v[59:60], v[24:25]
	v_mul_f64 v[24:25], v[61:62], v[24:25]
	v_fma_f64 v[85:86], v[4:5], v[18:19], v[91:92]
	v_fma_f64 v[89:90], v[2:3], v[18:19], -v[20:21]
	ds_load_b128 v[2:5], v1 offset:1472
	scratch_load_b128 v[18:21], off, off offset:624
	v_add_f64 v[46:47], v[46:47], v[65:66]
	v_add_f64 v[67:68], v[63:64], v[67:68]
	ds_load_b128 v[63:66], v1 offset:1488
	s_waitcnt vmcnt(8) lgkmcnt(1)
	v_mul_f64 v[91:92], v[2:3], v[28:29]
	v_mul_f64 v[28:29], v[4:5], v[28:29]
	v_fma_f64 v[61:62], v[61:62], v[22:23], v[69:70]
	v_fma_f64 v[59:60], v[59:60], v[22:23], -v[24:25]
	scratch_load_b128 v[22:25], off, off offset:640
	s_waitcnt vmcnt(8) lgkmcnt(0)
	v_mul_f64 v[69:70], v[63:64], v[32:33]
	v_mul_f64 v[32:33], v[65:66], v[32:33]
	v_add_f64 v[46:47], v[46:47], v[89:90]
	v_add_f64 v[67:68], v[67:68], v[85:86]
	v_fma_f64 v[85:86], v[4:5], v[26:27], v[91:92]
	v_fma_f64 v[89:90], v[2:3], v[26:27], -v[28:29]
	ds_load_b128 v[2:5], v1 offset:1504
	scratch_load_b128 v[26:29], off, off offset:656
	v_fma_f64 v[65:66], v[65:66], v[30:31], v[69:70]
	v_fma_f64 v[63:64], v[63:64], v[30:31], -v[32:33]
	scratch_load_b128 v[30:33], off, off offset:672
	v_add_f64 v[46:47], v[46:47], v[59:60]
	v_add_f64 v[67:68], v[67:68], v[61:62]
	ds_load_b128 v[59:62], v1 offset:1520
	s_waitcnt vmcnt(9) lgkmcnt(1)
	v_mul_f64 v[91:92], v[2:3], v[36:37]
	v_mul_f64 v[36:37], v[4:5], v[36:37]
	s_waitcnt vmcnt(8) lgkmcnt(0)
	v_mul_f64 v[69:70], v[59:60], v[40:41]
	v_mul_f64 v[40:41], v[61:62], v[40:41]
	v_add_f64 v[46:47], v[46:47], v[89:90]
	v_add_f64 v[67:68], v[67:68], v[85:86]
	v_fma_f64 v[85:86], v[4:5], v[34:35], v[91:92]
	v_fma_f64 v[89:90], v[2:3], v[34:35], -v[36:37]
	ds_load_b128 v[2:5], v1 offset:1536
	scratch_load_b128 v[34:37], off, off offset:688
	v_fma_f64 v[61:62], v[61:62], v[38:39], v[69:70]
	v_fma_f64 v[59:60], v[59:60], v[38:39], -v[40:41]
	scratch_load_b128 v[38:41], off, off offset:704
	v_add_f64 v[46:47], v[46:47], v[63:64]
	v_add_f64 v[67:68], v[67:68], v[65:66]
	ds_load_b128 v[63:66], v1 offset:1552
	s_waitcnt vmcnt(9) lgkmcnt(1)
	v_mul_f64 v[91:92], v[2:3], v[44:45]
	v_mul_f64 v[44:45], v[4:5], v[44:45]
	;; [unrolled: 18-line block ×10, first 2 shown]
	s_waitcnt vmcnt(8) lgkmcnt(0)
	v_mul_f64 v[69:70], v[63:64], v[32:33]
	v_mul_f64 v[32:33], v[65:66], v[32:33]
	v_add_f64 v[46:47], v[46:47], v[89:90]
	v_add_f64 v[67:68], v[67:68], v[85:86]
	v_fma_f64 v[85:86], v[4:5], v[26:27], v[91:92]
	v_fma_f64 v[89:90], v[2:3], v[26:27], -v[28:29]
	ds_load_b128 v[2:5], v1 offset:1824
	ds_load_b128 v[26:29], v1 offset:1840
	v_fma_f64 v[65:66], v[65:66], v[30:31], v[69:70]
	v_fma_f64 v[30:31], v[63:64], v[30:31], -v[32:33]
	v_add_f64 v[46:47], v[46:47], v[59:60]
	v_add_f64 v[59:60], v[67:68], v[61:62]
	s_waitcnt vmcnt(7) lgkmcnt(1)
	v_mul_f64 v[61:62], v[2:3], v[36:37]
	v_mul_f64 v[36:37], v[4:5], v[36:37]
	s_delay_alu instid0(VALU_DEP_4) | instskip(NEXT) | instid1(VALU_DEP_4)
	v_add_f64 v[32:33], v[46:47], v[89:90]
	v_add_f64 v[46:47], v[59:60], v[85:86]
	s_waitcnt vmcnt(6) lgkmcnt(0)
	v_mul_f64 v[59:60], v[26:27], v[40:41]
	v_mul_f64 v[40:41], v[28:29], v[40:41]
	v_fma_f64 v[61:62], v[4:5], v[34:35], v[61:62]
	v_fma_f64 v[34:35], v[2:3], v[34:35], -v[36:37]
	v_add_f64 v[36:37], v[32:33], v[30:31]
	v_add_f64 v[46:47], v[46:47], v[65:66]
	ds_load_b128 v[2:5], v1 offset:1856
	ds_load_b128 v[30:33], v1 offset:1872
	v_fma_f64 v[28:29], v[28:29], v[38:39], v[59:60]
	v_fma_f64 v[26:27], v[26:27], v[38:39], -v[40:41]
	s_waitcnt vmcnt(5) lgkmcnt(1)
	v_mul_f64 v[63:64], v[2:3], v[44:45]
	v_mul_f64 v[44:45], v[4:5], v[44:45]
	s_waitcnt vmcnt(4) lgkmcnt(0)
	v_mul_f64 v[38:39], v[30:31], v[8:9]
	v_mul_f64 v[8:9], v[32:33], v[8:9]
	v_add_f64 v[34:35], v[36:37], v[34:35]
	v_add_f64 v[36:37], v[46:47], v[61:62]
	v_fma_f64 v[40:41], v[4:5], v[42:43], v[63:64]
	v_fma_f64 v[42:43], v[2:3], v[42:43], -v[44:45]
	v_fma_f64 v[32:33], v[32:33], v[6:7], v[38:39]
	v_fma_f64 v[6:7], v[30:31], v[6:7], -v[8:9]
	v_add_f64 v[34:35], v[34:35], v[26:27]
	v_add_f64 v[36:37], v[36:37], v[28:29]
	ds_load_b128 v[2:5], v1 offset:1888
	ds_load_b128 v[26:29], v1 offset:1904
	s_waitcnt vmcnt(3) lgkmcnt(1)
	v_mul_f64 v[44:45], v[2:3], v[12:13]
	v_mul_f64 v[12:13], v[4:5], v[12:13]
	v_add_f64 v[8:9], v[34:35], v[42:43]
	v_add_f64 v[30:31], v[36:37], v[40:41]
	s_waitcnt vmcnt(2) lgkmcnt(0)
	v_mul_f64 v[34:35], v[26:27], v[16:17]
	v_mul_f64 v[16:17], v[28:29], v[16:17]
	v_fma_f64 v[36:37], v[4:5], v[10:11], v[44:45]
	v_fma_f64 v[10:11], v[2:3], v[10:11], -v[12:13]
	v_add_f64 v[12:13], v[8:9], v[6:7]
	v_add_f64 v[30:31], v[30:31], v[32:33]
	ds_load_b128 v[2:5], v1 offset:1920
	ds_load_b128 v[6:9], v1 offset:1936
	v_fma_f64 v[28:29], v[28:29], v[14:15], v[34:35]
	v_fma_f64 v[14:15], v[26:27], v[14:15], -v[16:17]
	s_waitcnt vmcnt(1) lgkmcnt(1)
	v_mul_f64 v[32:33], v[2:3], v[20:21]
	v_mul_f64 v[20:21], v[4:5], v[20:21]
	s_waitcnt vmcnt(0) lgkmcnt(0)
	v_mul_f64 v[16:17], v[6:7], v[24:25]
	v_mul_f64 v[24:25], v[8:9], v[24:25]
	v_add_f64 v[10:11], v[12:13], v[10:11]
	v_add_f64 v[12:13], v[30:31], v[36:37]
	v_fma_f64 v[4:5], v[4:5], v[18:19], v[32:33]
	v_fma_f64 v[1:2], v[2:3], v[18:19], -v[20:21]
	v_fma_f64 v[8:9], v[8:9], v[22:23], v[16:17]
	v_fma_f64 v[6:7], v[6:7], v[22:23], -v[24:25]
	v_add_f64 v[10:11], v[10:11], v[14:15]
	v_add_f64 v[12:13], v[12:13], v[28:29]
	s_delay_alu instid0(VALU_DEP_2) | instskip(NEXT) | instid1(VALU_DEP_2)
	v_add_f64 v[1:2], v[10:11], v[1:2]
	v_add_f64 v[3:4], v[12:13], v[4:5]
	s_delay_alu instid0(VALU_DEP_2) | instskip(NEXT) | instid1(VALU_DEP_2)
	;; [unrolled: 3-line block ×3, first 2 shown]
	v_add_f64 v[1:2], v[55:56], -v[1:2]
	v_add_f64 v[3:4], v[57:58], -v[3:4]
	scratch_store_b128 off, v[1:4], off offset:224
	v_cmpx_lt_u32_e32 13, v171
	s_cbranch_execz .LBB60_365
; %bb.364:
	scratch_load_b32 v1, off, off offset:1012 ; 4-byte Folded Reload
	v_mov_b32_e32 v5, 0
	s_delay_alu instid0(VALU_DEP_1)
	v_mov_b32_e32 v6, v5
	v_mov_b32_e32 v7, v5
	;; [unrolled: 1-line block ×3, first 2 shown]
	s_waitcnt vmcnt(0)
	scratch_load_b128 v[1:4], v1, off
	scratch_store_b128 off, v[5:8], off offset:208
	s_waitcnt vmcnt(0)
	ds_store_b128 v229, v[1:4]
.LBB60_365:
	s_or_b32 exec_lo, exec_lo, s2
	s_waitcnt lgkmcnt(0)
	s_waitcnt_vscnt null, 0x0
	s_barrier
	buffer_gl0_inv
	s_clause 0x7
	scratch_load_b128 v[2:5], off, off offset:224
	scratch_load_b128 v[6:9], off, off offset:240
	;; [unrolled: 1-line block ×8, first 2 shown]
	v_mov_b32_e32 v1, 0
	s_mov_b32 s2, exec_lo
	ds_load_b128 v[38:41], v1 offset:1200
	s_clause 0x1
	scratch_load_b128 v[34:37], off, off offset:352
	scratch_load_b128 v[42:45], off, off offset:208
	ds_load_b128 v[55:58], v1 offset:1216
	scratch_load_b128 v[59:62], off, off offset:368
	ds_load_b128 v[63:66], v1 offset:1248
	s_waitcnt vmcnt(10) lgkmcnt(2)
	v_mul_f64 v[46:47], v[40:41], v[4:5]
	v_mul_f64 v[4:5], v[38:39], v[4:5]
	s_delay_alu instid0(VALU_DEP_2) | instskip(NEXT) | instid1(VALU_DEP_2)
	v_fma_f64 v[46:47], v[38:39], v[2:3], -v[46:47]
	v_fma_f64 v[69:70], v[40:41], v[2:3], v[4:5]
	ds_load_b128 v[2:5], v1 offset:1232
	s_waitcnt vmcnt(9) lgkmcnt(2)
	v_mul_f64 v[67:68], v[55:56], v[8:9]
	v_mul_f64 v[8:9], v[57:58], v[8:9]
	scratch_load_b128 v[38:41], off, off offset:384
	s_waitcnt vmcnt(9) lgkmcnt(0)
	v_mul_f64 v[85:86], v[2:3], v[12:13]
	v_mul_f64 v[12:13], v[4:5], v[12:13]
	v_add_f64 v[46:47], v[46:47], 0
	v_fma_f64 v[57:58], v[57:58], v[6:7], v[67:68]
	v_fma_f64 v[55:56], v[55:56], v[6:7], -v[8:9]
	v_add_f64 v[67:68], v[69:70], 0
	scratch_load_b128 v[6:9], off, off offset:400
	v_fma_f64 v[85:86], v[4:5], v[10:11], v[85:86]
	v_fma_f64 v[89:90], v[2:3], v[10:11], -v[12:13]
	scratch_load_b128 v[10:13], off, off offset:416
	ds_load_b128 v[2:5], v1 offset:1264
	s_waitcnt vmcnt(10)
	v_mul_f64 v[69:70], v[63:64], v[16:17]
	v_mul_f64 v[16:17], v[65:66], v[16:17]
	v_add_f64 v[46:47], v[46:47], v[55:56]
	v_add_f64 v[67:68], v[67:68], v[57:58]
	ds_load_b128 v[55:58], v1 offset:1280
	s_waitcnt vmcnt(9) lgkmcnt(1)
	v_mul_f64 v[91:92], v[2:3], v[20:21]
	v_mul_f64 v[20:21], v[4:5], v[20:21]
	v_fma_f64 v[65:66], v[65:66], v[14:15], v[69:70]
	v_fma_f64 v[63:64], v[63:64], v[14:15], -v[16:17]
	scratch_load_b128 v[14:17], off, off offset:432
	v_add_f64 v[46:47], v[46:47], v[89:90]
	v_add_f64 v[67:68], v[67:68], v[85:86]
	v_fma_f64 v[85:86], v[4:5], v[18:19], v[91:92]
	v_fma_f64 v[89:90], v[2:3], v[18:19], -v[20:21]
	scratch_load_b128 v[18:21], off, off offset:448
	ds_load_b128 v[2:5], v1 offset:1296
	s_waitcnt vmcnt(10) lgkmcnt(1)
	v_mul_f64 v[69:70], v[55:56], v[24:25]
	v_mul_f64 v[24:25], v[57:58], v[24:25]
	s_waitcnt vmcnt(9) lgkmcnt(0)
	v_mul_f64 v[91:92], v[2:3], v[28:29]
	v_mul_f64 v[28:29], v[4:5], v[28:29]
	v_add_f64 v[46:47], v[46:47], v[63:64]
	v_add_f64 v[67:68], v[67:68], v[65:66]
	ds_load_b128 v[63:66], v1 offset:1312
	v_fma_f64 v[57:58], v[57:58], v[22:23], v[69:70]
	v_fma_f64 v[55:56], v[55:56], v[22:23], -v[24:25]
	scratch_load_b128 v[22:25], off, off offset:464
	v_add_f64 v[46:47], v[46:47], v[89:90]
	v_add_f64 v[67:68], v[67:68], v[85:86]
	v_fma_f64 v[85:86], v[4:5], v[26:27], v[91:92]
	v_fma_f64 v[89:90], v[2:3], v[26:27], -v[28:29]
	scratch_load_b128 v[26:29], off, off offset:480
	ds_load_b128 v[2:5], v1 offset:1328
	s_waitcnt vmcnt(10) lgkmcnt(1)
	v_mul_f64 v[69:70], v[63:64], v[32:33]
	v_mul_f64 v[32:33], v[65:66], v[32:33]
	s_waitcnt vmcnt(9) lgkmcnt(0)
	v_mul_f64 v[91:92], v[2:3], v[36:37]
	v_mul_f64 v[36:37], v[4:5], v[36:37]
	v_add_f64 v[46:47], v[46:47], v[55:56]
	v_add_f64 v[67:68], v[67:68], v[57:58]
	ds_load_b128 v[55:58], v1 offset:1344
	v_fma_f64 v[65:66], v[65:66], v[30:31], v[69:70]
	v_fma_f64 v[63:64], v[63:64], v[30:31], -v[32:33]
	scratch_load_b128 v[30:33], off, off offset:496
	v_add_f64 v[46:47], v[46:47], v[89:90]
	v_add_f64 v[67:68], v[67:68], v[85:86]
	v_fma_f64 v[89:90], v[4:5], v[34:35], v[91:92]
	v_fma_f64 v[91:92], v[2:3], v[34:35], -v[36:37]
	scratch_load_b128 v[34:37], off, off offset:512
	ds_load_b128 v[2:5], v1 offset:1360
	s_waitcnt vmcnt(9) lgkmcnt(1)
	v_mul_f64 v[69:70], v[55:56], v[61:62]
	v_mul_f64 v[85:86], v[57:58], v[61:62]
	v_add_f64 v[46:47], v[46:47], v[63:64]
	v_add_f64 v[65:66], v[67:68], v[65:66]
	ds_load_b128 v[61:64], v1 offset:1376
	v_fma_f64 v[69:70], v[57:58], v[59:60], v[69:70]
	v_fma_f64 v[59:60], v[55:56], v[59:60], -v[85:86]
	scratch_load_b128 v[55:58], off, off offset:528
	s_waitcnt vmcnt(9) lgkmcnt(1)
	v_mul_f64 v[67:68], v[2:3], v[40:41]
	v_mul_f64 v[40:41], v[4:5], v[40:41]
	v_add_f64 v[46:47], v[46:47], v[91:92]
	v_add_f64 v[65:66], v[65:66], v[89:90]
	s_delay_alu instid0(VALU_DEP_4) | instskip(NEXT) | instid1(VALU_DEP_4)
	v_fma_f64 v[89:90], v[4:5], v[38:39], v[67:68]
	v_fma_f64 v[91:92], v[2:3], v[38:39], -v[40:41]
	scratch_load_b128 v[38:41], off, off offset:544
	ds_load_b128 v[2:5], v1 offset:1392
	s_waitcnt vmcnt(9) lgkmcnt(1)
	v_mul_f64 v[85:86], v[61:62], v[8:9]
	v_mul_f64 v[8:9], v[63:64], v[8:9]
	v_add_f64 v[46:47], v[46:47], v[59:60]
	v_add_f64 v[59:60], v[65:66], v[69:70]
	s_waitcnt vmcnt(8) lgkmcnt(0)
	v_mul_f64 v[69:70], v[2:3], v[12:13]
	v_mul_f64 v[12:13], v[4:5], v[12:13]
	ds_load_b128 v[65:68], v1 offset:1408
	v_fma_f64 v[63:64], v[63:64], v[6:7], v[85:86]
	v_fma_f64 v[61:62], v[61:62], v[6:7], -v[8:9]
	scratch_load_b128 v[6:9], off, off offset:560
	v_add_f64 v[46:47], v[46:47], v[91:92]
	v_add_f64 v[59:60], v[59:60], v[89:90]
	v_fma_f64 v[69:70], v[4:5], v[10:11], v[69:70]
	v_fma_f64 v[89:90], v[2:3], v[10:11], -v[12:13]
	scratch_load_b128 v[10:13], off, off offset:576
	ds_load_b128 v[2:5], v1 offset:1424
	s_waitcnt vmcnt(9) lgkmcnt(1)
	v_mul_f64 v[85:86], v[65:66], v[16:17]
	v_mul_f64 v[16:17], v[67:68], v[16:17]
	s_waitcnt vmcnt(8) lgkmcnt(0)
	v_mul_f64 v[91:92], v[2:3], v[20:21]
	v_mul_f64 v[20:21], v[4:5], v[20:21]
	v_add_f64 v[46:47], v[46:47], v[61:62]
	v_add_f64 v[63:64], v[59:60], v[63:64]
	ds_load_b128 v[59:62], v1 offset:1440
	v_fma_f64 v[67:68], v[67:68], v[14:15], v[85:86]
	v_fma_f64 v[65:66], v[65:66], v[14:15], -v[16:17]
	scratch_load_b128 v[14:17], off, off offset:592
	v_fma_f64 v[85:86], v[4:5], v[18:19], v[91:92]
	v_add_f64 v[46:47], v[46:47], v[89:90]
	v_add_f64 v[63:64], v[63:64], v[69:70]
	v_fma_f64 v[89:90], v[2:3], v[18:19], -v[20:21]
	scratch_load_b128 v[18:21], off, off offset:608
	ds_load_b128 v[2:5], v1 offset:1456
	s_waitcnt vmcnt(9) lgkmcnt(1)
	v_mul_f64 v[69:70], v[59:60], v[24:25]
	v_mul_f64 v[24:25], v[61:62], v[24:25]
	s_waitcnt vmcnt(8) lgkmcnt(0)
	v_mul_f64 v[91:92], v[2:3], v[28:29]
	v_mul_f64 v[28:29], v[4:5], v[28:29]
	v_add_f64 v[46:47], v[46:47], v[65:66]
	v_add_f64 v[67:68], v[63:64], v[67:68]
	ds_load_b128 v[63:66], v1 offset:1472
	v_fma_f64 v[61:62], v[61:62], v[22:23], v[69:70]
	v_fma_f64 v[59:60], v[59:60], v[22:23], -v[24:25]
	scratch_load_b128 v[22:25], off, off offset:624
	v_add_f64 v[46:47], v[46:47], v[89:90]
	v_add_f64 v[67:68], v[67:68], v[85:86]
	v_fma_f64 v[85:86], v[4:5], v[26:27], v[91:92]
	v_fma_f64 v[89:90], v[2:3], v[26:27], -v[28:29]
	scratch_load_b128 v[26:29], off, off offset:640
	ds_load_b128 v[2:5], v1 offset:1488
	s_waitcnt vmcnt(9) lgkmcnt(1)
	v_mul_f64 v[69:70], v[63:64], v[32:33]
	v_mul_f64 v[32:33], v[65:66], v[32:33]
	s_waitcnt vmcnt(8) lgkmcnt(0)
	v_mul_f64 v[91:92], v[2:3], v[36:37]
	v_mul_f64 v[36:37], v[4:5], v[36:37]
	v_add_f64 v[46:47], v[46:47], v[59:60]
	v_add_f64 v[67:68], v[67:68], v[61:62]
	ds_load_b128 v[59:62], v1 offset:1504
	v_fma_f64 v[65:66], v[65:66], v[30:31], v[69:70]
	v_fma_f64 v[63:64], v[63:64], v[30:31], -v[32:33]
	scratch_load_b128 v[30:33], off, off offset:656
	v_add_f64 v[46:47], v[46:47], v[89:90]
	v_add_f64 v[67:68], v[67:68], v[85:86]
	v_fma_f64 v[85:86], v[4:5], v[34:35], v[91:92]
	;; [unrolled: 18-line block ×7, first 2 shown]
	v_fma_f64 v[91:92], v[2:3], v[34:35], -v[36:37]
	scratch_load_b128 v[34:37], off, off offset:832
	ds_load_b128 v[2:5], v1 offset:1680
	s_waitcnt vmcnt(9) lgkmcnt(1)
	v_mul_f64 v[69:70], v[63:64], v[57:58]
	v_mul_f64 v[85:86], v[65:66], v[57:58]
	v_add_f64 v[46:47], v[46:47], v[59:60]
	v_add_f64 v[61:62], v[67:68], v[61:62]
	s_waitcnt vmcnt(8) lgkmcnt(0)
	v_mul_f64 v[67:68], v[2:3], v[40:41]
	v_mul_f64 v[40:41], v[4:5], v[40:41]
	ds_load_b128 v[57:60], v1 offset:1696
	v_fma_f64 v[65:66], v[65:66], v[55:56], v[69:70]
	v_fma_f64 v[55:56], v[63:64], v[55:56], -v[85:86]
	v_add_f64 v[46:47], v[46:47], v[91:92]
	v_add_f64 v[69:70], v[61:62], v[89:90]
	scratch_load_b128 v[61:64], off, off offset:848
	v_fma_f64 v[89:90], v[4:5], v[38:39], v[67:68]
	v_fma_f64 v[91:92], v[2:3], v[38:39], -v[40:41]
	scratch_load_b128 v[38:41], off, off offset:864
	ds_load_b128 v[2:5], v1 offset:1712
	s_waitcnt vmcnt(9) lgkmcnt(1)
	v_mul_f64 v[85:86], v[57:58], v[8:9]
	v_mul_f64 v[8:9], v[59:60], v[8:9]
	v_add_f64 v[46:47], v[46:47], v[55:56]
	v_add_f64 v[55:56], v[69:70], v[65:66]
	s_waitcnt vmcnt(8) lgkmcnt(0)
	v_mul_f64 v[69:70], v[2:3], v[12:13]
	v_mul_f64 v[12:13], v[4:5], v[12:13]
	ds_load_b128 v[65:68], v1 offset:1728
	v_fma_f64 v[59:60], v[59:60], v[6:7], v[85:86]
	v_fma_f64 v[57:58], v[57:58], v[6:7], -v[8:9]
	scratch_load_b128 v[6:9], off, off offset:880
	v_add_f64 v[46:47], v[46:47], v[91:92]
	v_add_f64 v[55:56], v[55:56], v[89:90]
	v_fma_f64 v[69:70], v[4:5], v[10:11], v[69:70]
	v_fma_f64 v[89:90], v[2:3], v[10:11], -v[12:13]
	scratch_load_b128 v[10:13], off, off offset:896
	ds_load_b128 v[2:5], v1 offset:1744
	s_waitcnt vmcnt(9) lgkmcnt(1)
	v_mul_f64 v[85:86], v[65:66], v[16:17]
	v_mul_f64 v[16:17], v[67:68], v[16:17]
	s_waitcnt vmcnt(8) lgkmcnt(0)
	v_mul_f64 v[91:92], v[2:3], v[20:21]
	v_mul_f64 v[20:21], v[4:5], v[20:21]
	v_add_f64 v[46:47], v[46:47], v[57:58]
	v_add_f64 v[59:60], v[55:56], v[59:60]
	ds_load_b128 v[55:58], v1 offset:1760
	v_fma_f64 v[67:68], v[67:68], v[14:15], v[85:86]
	v_fma_f64 v[65:66], v[65:66], v[14:15], -v[16:17]
	scratch_load_b128 v[14:17], off, off offset:912
	v_fma_f64 v[85:86], v[4:5], v[18:19], v[91:92]
	v_add_f64 v[46:47], v[46:47], v[89:90]
	v_add_f64 v[59:60], v[59:60], v[69:70]
	v_fma_f64 v[89:90], v[2:3], v[18:19], -v[20:21]
	scratch_load_b128 v[18:21], off, off offset:928
	ds_load_b128 v[2:5], v1 offset:1776
	s_waitcnt vmcnt(9) lgkmcnt(1)
	v_mul_f64 v[69:70], v[55:56], v[24:25]
	v_mul_f64 v[24:25], v[57:58], v[24:25]
	s_waitcnt vmcnt(8) lgkmcnt(0)
	v_mul_f64 v[91:92], v[2:3], v[28:29]
	v_mul_f64 v[28:29], v[4:5], v[28:29]
	v_add_f64 v[46:47], v[46:47], v[65:66]
	v_add_f64 v[59:60], v[59:60], v[67:68]
	ds_load_b128 v[65:68], v1 offset:1792
	v_fma_f64 v[57:58], v[57:58], v[22:23], v[69:70]
	v_fma_f64 v[55:56], v[55:56], v[22:23], -v[24:25]
	scratch_load_b128 v[22:25], off, off offset:944
	v_add_f64 v[46:47], v[46:47], v[89:90]
	v_add_f64 v[59:60], v[59:60], v[85:86]
	v_fma_f64 v[85:86], v[4:5], v[26:27], v[91:92]
	v_fma_f64 v[89:90], v[2:3], v[26:27], -v[28:29]
	scratch_load_b128 v[26:29], off, off offset:960
	ds_load_b128 v[2:5], v1 offset:1808
	s_waitcnt vmcnt(9) lgkmcnt(1)
	v_mul_f64 v[69:70], v[65:66], v[32:33]
	v_mul_f64 v[32:33], v[67:68], v[32:33]
	s_waitcnt vmcnt(8) lgkmcnt(0)
	v_mul_f64 v[91:92], v[2:3], v[36:37]
	v_mul_f64 v[36:37], v[4:5], v[36:37]
	v_add_f64 v[46:47], v[46:47], v[55:56]
	v_add_f64 v[59:60], v[59:60], v[57:58]
	ds_load_b128 v[55:58], v1 offset:1824
	v_fma_f64 v[67:68], v[67:68], v[30:31], v[69:70]
	v_fma_f64 v[30:31], v[65:66], v[30:31], -v[32:33]
	v_fma_f64 v[65:66], v[4:5], v[34:35], v[91:92]
	v_fma_f64 v[34:35], v[2:3], v[34:35], -v[36:37]
	v_add_f64 v[32:33], v[46:47], v[89:90]
	v_add_f64 v[46:47], v[59:60], v[85:86]
	s_waitcnt vmcnt(7) lgkmcnt(0)
	v_mul_f64 v[59:60], v[55:56], v[63:64]
	v_mul_f64 v[63:64], v[57:58], v[63:64]
	s_delay_alu instid0(VALU_DEP_4) | instskip(NEXT) | instid1(VALU_DEP_4)
	v_add_f64 v[36:37], v[32:33], v[30:31]
	v_add_f64 v[46:47], v[46:47], v[67:68]
	ds_load_b128 v[2:5], v1 offset:1840
	ds_load_b128 v[30:33], v1 offset:1856
	v_fma_f64 v[57:58], v[57:58], v[61:62], v[59:60]
	v_fma_f64 v[55:56], v[55:56], v[61:62], -v[63:64]
	s_waitcnt vmcnt(6) lgkmcnt(1)
	v_mul_f64 v[67:68], v[2:3], v[40:41]
	v_mul_f64 v[40:41], v[4:5], v[40:41]
	v_add_f64 v[34:35], v[36:37], v[34:35]
	v_add_f64 v[36:37], v[46:47], v[65:66]
	s_waitcnt vmcnt(5) lgkmcnt(0)
	v_mul_f64 v[46:47], v[30:31], v[8:9]
	v_mul_f64 v[8:9], v[32:33], v[8:9]
	v_fma_f64 v[59:60], v[4:5], v[38:39], v[67:68]
	v_fma_f64 v[38:39], v[2:3], v[38:39], -v[40:41]
	v_add_f64 v[40:41], v[34:35], v[55:56]
	v_add_f64 v[55:56], v[36:37], v[57:58]
	ds_load_b128 v[2:5], v1 offset:1872
	ds_load_b128 v[34:37], v1 offset:1888
	v_fma_f64 v[32:33], v[32:33], v[6:7], v[46:47]
	v_fma_f64 v[6:7], v[30:31], v[6:7], -v[8:9]
	s_waitcnt vmcnt(4) lgkmcnt(1)
	v_mul_f64 v[57:58], v[2:3], v[12:13]
	v_mul_f64 v[12:13], v[4:5], v[12:13]
	v_add_f64 v[8:9], v[40:41], v[38:39]
	v_add_f64 v[30:31], v[55:56], v[59:60]
	s_waitcnt vmcnt(3) lgkmcnt(0)
	v_mul_f64 v[38:39], v[34:35], v[16:17]
	v_mul_f64 v[16:17], v[36:37], v[16:17]
	v_fma_f64 v[40:41], v[4:5], v[10:11], v[57:58]
	v_fma_f64 v[10:11], v[2:3], v[10:11], -v[12:13]
	v_add_f64 v[12:13], v[8:9], v[6:7]
	v_add_f64 v[30:31], v[30:31], v[32:33]
	ds_load_b128 v[2:5], v1 offset:1904
	ds_load_b128 v[6:9], v1 offset:1920
	v_fma_f64 v[36:37], v[36:37], v[14:15], v[38:39]
	v_fma_f64 v[14:15], v[34:35], v[14:15], -v[16:17]
	s_waitcnt vmcnt(2) lgkmcnt(1)
	v_mul_f64 v[32:33], v[2:3], v[20:21]
	v_mul_f64 v[20:21], v[4:5], v[20:21]
	s_waitcnt vmcnt(1) lgkmcnt(0)
	v_mul_f64 v[16:17], v[6:7], v[24:25]
	v_mul_f64 v[24:25], v[8:9], v[24:25]
	v_add_f64 v[10:11], v[12:13], v[10:11]
	v_add_f64 v[12:13], v[30:31], v[40:41]
	v_fma_f64 v[30:31], v[4:5], v[18:19], v[32:33]
	v_fma_f64 v[18:19], v[2:3], v[18:19], -v[20:21]
	ds_load_b128 v[2:5], v1 offset:1936
	v_fma_f64 v[8:9], v[8:9], v[22:23], v[16:17]
	v_fma_f64 v[6:7], v[6:7], v[22:23], -v[24:25]
	v_add_f64 v[10:11], v[10:11], v[14:15]
	v_add_f64 v[12:13], v[12:13], v[36:37]
	s_waitcnt vmcnt(0) lgkmcnt(0)
	v_mul_f64 v[14:15], v[2:3], v[28:29]
	v_mul_f64 v[20:21], v[4:5], v[28:29]
	s_delay_alu instid0(VALU_DEP_4) | instskip(NEXT) | instid1(VALU_DEP_4)
	v_add_f64 v[10:11], v[10:11], v[18:19]
	v_add_f64 v[12:13], v[12:13], v[30:31]
	s_delay_alu instid0(VALU_DEP_4) | instskip(NEXT) | instid1(VALU_DEP_4)
	v_fma_f64 v[4:5], v[4:5], v[26:27], v[14:15]
	v_fma_f64 v[2:3], v[2:3], v[26:27], -v[20:21]
	s_delay_alu instid0(VALU_DEP_4) | instskip(NEXT) | instid1(VALU_DEP_4)
	v_add_f64 v[6:7], v[10:11], v[6:7]
	v_add_f64 v[8:9], v[12:13], v[8:9]
	s_delay_alu instid0(VALU_DEP_2) | instskip(NEXT) | instid1(VALU_DEP_2)
	v_add_f64 v[2:3], v[6:7], v[2:3]
	v_add_f64 v[4:5], v[8:9], v[4:5]
	s_delay_alu instid0(VALU_DEP_2) | instskip(NEXT) | instid1(VALU_DEP_2)
	v_add_f64 v[2:3], v[42:43], -v[2:3]
	v_add_f64 v[4:5], v[44:45], -v[4:5]
	scratch_store_b128 off, v[2:5], off offset:208
	v_cmpx_lt_u32_e32 12, v171
	s_cbranch_execz .LBB60_367
; %bb.366:
	scratch_load_b32 v2, off, off offset:1016 ; 4-byte Folded Reload
	v_mov_b32_e32 v3, v1
	v_mov_b32_e32 v4, v1
	s_waitcnt vmcnt(0)
	scratch_load_b128 v[5:8], v2, off
	v_mov_b32_e32 v2, v1
	scratch_store_b128 off, v[1:4], off offset:192
	s_waitcnt vmcnt(0)
	ds_store_b128 v229, v[5:8]
.LBB60_367:
	s_or_b32 exec_lo, exec_lo, s2
	s_waitcnt lgkmcnt(0)
	s_waitcnt_vscnt null, 0x0
	s_barrier
	buffer_gl0_inv
	s_clause 0x8
	scratch_load_b128 v[2:5], off, off offset:208
	scratch_load_b128 v[6:9], off, off offset:224
	;; [unrolled: 1-line block ×9, first 2 shown]
	ds_load_b128 v[42:45], v1 offset:1184
	ds_load_b128 v[38:41], v1 offset:1200
	s_clause 0x1
	scratch_load_b128 v[55:58], off, off offset:192
	scratch_load_b128 v[59:62], off, off offset:352
	s_mov_b32 s2, exec_lo
	ds_load_b128 v[63:66], v1 offset:1232
	s_waitcnt vmcnt(10) lgkmcnt(2)
	v_mul_f64 v[46:47], v[44:45], v[4:5]
	v_mul_f64 v[4:5], v[42:43], v[4:5]
	s_waitcnt vmcnt(9) lgkmcnt(1)
	v_mul_f64 v[67:68], v[38:39], v[8:9]
	v_mul_f64 v[8:9], v[40:41], v[8:9]
	s_delay_alu instid0(VALU_DEP_4) | instskip(NEXT) | instid1(VALU_DEP_4)
	v_fma_f64 v[46:47], v[42:43], v[2:3], -v[46:47]
	v_fma_f64 v[69:70], v[44:45], v[2:3], v[4:5]
	ds_load_b128 v[2:5], v1 offset:1216
	scratch_load_b128 v[42:45], off, off offset:368
	v_fma_f64 v[40:41], v[40:41], v[6:7], v[67:68]
	v_fma_f64 v[38:39], v[38:39], v[6:7], -v[8:9]
	scratch_load_b128 v[6:9], off, off offset:384
	s_waitcnt vmcnt(10) lgkmcnt(0)
	v_mul_f64 v[85:86], v[2:3], v[12:13]
	v_mul_f64 v[12:13], v[4:5], v[12:13]
	v_add_f64 v[46:47], v[46:47], 0
	v_add_f64 v[67:68], v[69:70], 0
	s_waitcnt vmcnt(9)
	v_mul_f64 v[69:70], v[63:64], v[16:17]
	v_mul_f64 v[16:17], v[65:66], v[16:17]
	v_fma_f64 v[85:86], v[4:5], v[10:11], v[85:86]
	v_fma_f64 v[89:90], v[2:3], v[10:11], -v[12:13]
	ds_load_b128 v[2:5], v1 offset:1248
	scratch_load_b128 v[10:13], off, off offset:400
	v_add_f64 v[46:47], v[46:47], v[38:39]
	v_add_f64 v[67:68], v[67:68], v[40:41]
	ds_load_b128 v[38:41], v1 offset:1264
	v_fma_f64 v[65:66], v[65:66], v[14:15], v[69:70]
	v_fma_f64 v[63:64], v[63:64], v[14:15], -v[16:17]
	scratch_load_b128 v[14:17], off, off offset:416
	s_waitcnt vmcnt(10) lgkmcnt(1)
	v_mul_f64 v[91:92], v[2:3], v[20:21]
	v_mul_f64 v[20:21], v[4:5], v[20:21]
	s_waitcnt vmcnt(9) lgkmcnt(0)
	v_mul_f64 v[69:70], v[38:39], v[24:25]
	v_mul_f64 v[24:25], v[40:41], v[24:25]
	v_add_f64 v[46:47], v[46:47], v[89:90]
	v_add_f64 v[67:68], v[67:68], v[85:86]
	v_fma_f64 v[85:86], v[4:5], v[18:19], v[91:92]
	v_fma_f64 v[89:90], v[2:3], v[18:19], -v[20:21]
	ds_load_b128 v[2:5], v1 offset:1280
	scratch_load_b128 v[18:21], off, off offset:432
	v_fma_f64 v[40:41], v[40:41], v[22:23], v[69:70]
	v_fma_f64 v[38:39], v[38:39], v[22:23], -v[24:25]
	scratch_load_b128 v[22:25], off, off offset:448
	v_add_f64 v[46:47], v[46:47], v[63:64]
	v_add_f64 v[67:68], v[67:68], v[65:66]
	ds_load_b128 v[63:66], v1 offset:1296
	s_waitcnt vmcnt(10) lgkmcnt(1)
	v_mul_f64 v[91:92], v[2:3], v[28:29]
	v_mul_f64 v[28:29], v[4:5], v[28:29]
	s_waitcnt vmcnt(9) lgkmcnt(0)
	v_mul_f64 v[69:70], v[63:64], v[32:33]
	v_mul_f64 v[32:33], v[65:66], v[32:33]
	v_add_f64 v[46:47], v[46:47], v[89:90]
	v_add_f64 v[67:68], v[67:68], v[85:86]
	v_fma_f64 v[85:86], v[4:5], v[26:27], v[91:92]
	v_fma_f64 v[89:90], v[2:3], v[26:27], -v[28:29]
	ds_load_b128 v[2:5], v1 offset:1312
	scratch_load_b128 v[26:29], off, off offset:464
	v_fma_f64 v[65:66], v[65:66], v[30:31], v[69:70]
	v_fma_f64 v[63:64], v[63:64], v[30:31], -v[32:33]
	scratch_load_b128 v[30:33], off, off offset:480
	v_add_f64 v[46:47], v[46:47], v[38:39]
	v_add_f64 v[67:68], v[67:68], v[40:41]
	ds_load_b128 v[38:41], v1 offset:1328
	s_waitcnt vmcnt(10) lgkmcnt(1)
	v_mul_f64 v[91:92], v[2:3], v[36:37]
	v_mul_f64 v[36:37], v[4:5], v[36:37]
	s_waitcnt vmcnt(8) lgkmcnt(0)
	v_mul_f64 v[69:70], v[38:39], v[61:62]
	v_add_f64 v[46:47], v[46:47], v[89:90]
	v_add_f64 v[67:68], v[67:68], v[85:86]
	v_mul_f64 v[85:86], v[40:41], v[61:62]
	v_fma_f64 v[89:90], v[4:5], v[34:35], v[91:92]
	v_fma_f64 v[91:92], v[2:3], v[34:35], -v[36:37]
	ds_load_b128 v[2:5], v1 offset:1344
	scratch_load_b128 v[34:37], off, off offset:496
	v_fma_f64 v[69:70], v[40:41], v[59:60], v[69:70]
	v_add_f64 v[46:47], v[46:47], v[63:64]
	v_add_f64 v[65:66], v[67:68], v[65:66]
	ds_load_b128 v[61:64], v1 offset:1360
	v_fma_f64 v[59:60], v[38:39], v[59:60], -v[85:86]
	scratch_load_b128 v[38:41], off, off offset:512
	s_waitcnt vmcnt(9) lgkmcnt(1)
	v_mul_f64 v[67:68], v[2:3], v[44:45]
	v_mul_f64 v[44:45], v[4:5], v[44:45]
	s_waitcnt vmcnt(8) lgkmcnt(0)
	v_mul_f64 v[85:86], v[61:62], v[8:9]
	v_mul_f64 v[8:9], v[63:64], v[8:9]
	v_add_f64 v[46:47], v[46:47], v[91:92]
	v_add_f64 v[65:66], v[65:66], v[89:90]
	v_fma_f64 v[89:90], v[4:5], v[42:43], v[67:68]
	v_fma_f64 v[91:92], v[2:3], v[42:43], -v[44:45]
	ds_load_b128 v[2:5], v1 offset:1376
	scratch_load_b128 v[42:45], off, off offset:528
	v_fma_f64 v[63:64], v[63:64], v[6:7], v[85:86]
	v_fma_f64 v[61:62], v[61:62], v[6:7], -v[8:9]
	scratch_load_b128 v[6:9], off, off offset:544
	v_add_f64 v[46:47], v[46:47], v[59:60]
	v_add_f64 v[59:60], v[65:66], v[69:70]
	ds_load_b128 v[65:68], v1 offset:1392
	s_waitcnt vmcnt(9) lgkmcnt(1)
	v_mul_f64 v[69:70], v[2:3], v[12:13]
	v_mul_f64 v[12:13], v[4:5], v[12:13]
	s_waitcnt vmcnt(8) lgkmcnt(0)
	v_mul_f64 v[85:86], v[65:66], v[16:17]
	v_mul_f64 v[16:17], v[67:68], v[16:17]
	v_add_f64 v[46:47], v[46:47], v[91:92]
	v_add_f64 v[59:60], v[59:60], v[89:90]
	v_fma_f64 v[69:70], v[4:5], v[10:11], v[69:70]
	v_fma_f64 v[89:90], v[2:3], v[10:11], -v[12:13]
	ds_load_b128 v[2:5], v1 offset:1408
	scratch_load_b128 v[10:13], off, off offset:560
	v_fma_f64 v[67:68], v[67:68], v[14:15], v[85:86]
	v_fma_f64 v[65:66], v[65:66], v[14:15], -v[16:17]
	scratch_load_b128 v[14:17], off, off offset:576
	v_add_f64 v[46:47], v[46:47], v[61:62]
	v_add_f64 v[63:64], v[59:60], v[63:64]
	ds_load_b128 v[59:62], v1 offset:1424
	s_waitcnt vmcnt(9) lgkmcnt(1)
	v_mul_f64 v[91:92], v[2:3], v[20:21]
	v_mul_f64 v[20:21], v[4:5], v[20:21]
	v_add_f64 v[46:47], v[46:47], v[89:90]
	v_add_f64 v[63:64], v[63:64], v[69:70]
	s_waitcnt vmcnt(8) lgkmcnt(0)
	v_mul_f64 v[69:70], v[59:60], v[24:25]
	v_mul_f64 v[24:25], v[61:62], v[24:25]
	v_fma_f64 v[85:86], v[4:5], v[18:19], v[91:92]
	v_fma_f64 v[89:90], v[2:3], v[18:19], -v[20:21]
	ds_load_b128 v[2:5], v1 offset:1440
	scratch_load_b128 v[18:21], off, off offset:592
	v_add_f64 v[46:47], v[46:47], v[65:66]
	v_add_f64 v[67:68], v[63:64], v[67:68]
	ds_load_b128 v[63:66], v1 offset:1456
	s_waitcnt vmcnt(8) lgkmcnt(1)
	v_mul_f64 v[91:92], v[2:3], v[28:29]
	v_mul_f64 v[28:29], v[4:5], v[28:29]
	v_fma_f64 v[61:62], v[61:62], v[22:23], v[69:70]
	v_fma_f64 v[59:60], v[59:60], v[22:23], -v[24:25]
	scratch_load_b128 v[22:25], off, off offset:608
	s_waitcnt vmcnt(8) lgkmcnt(0)
	v_mul_f64 v[69:70], v[63:64], v[32:33]
	v_mul_f64 v[32:33], v[65:66], v[32:33]
	v_add_f64 v[46:47], v[46:47], v[89:90]
	v_add_f64 v[67:68], v[67:68], v[85:86]
	v_fma_f64 v[85:86], v[4:5], v[26:27], v[91:92]
	v_fma_f64 v[89:90], v[2:3], v[26:27], -v[28:29]
	ds_load_b128 v[2:5], v1 offset:1472
	scratch_load_b128 v[26:29], off, off offset:624
	v_fma_f64 v[65:66], v[65:66], v[30:31], v[69:70]
	v_fma_f64 v[63:64], v[63:64], v[30:31], -v[32:33]
	scratch_load_b128 v[30:33], off, off offset:640
	v_add_f64 v[46:47], v[46:47], v[59:60]
	v_add_f64 v[67:68], v[67:68], v[61:62]
	ds_load_b128 v[59:62], v1 offset:1488
	s_waitcnt vmcnt(9) lgkmcnt(1)
	v_mul_f64 v[91:92], v[2:3], v[36:37]
	v_mul_f64 v[36:37], v[4:5], v[36:37]
	s_waitcnt vmcnt(8) lgkmcnt(0)
	v_mul_f64 v[69:70], v[59:60], v[40:41]
	v_mul_f64 v[40:41], v[61:62], v[40:41]
	v_add_f64 v[46:47], v[46:47], v[89:90]
	v_add_f64 v[67:68], v[67:68], v[85:86]
	v_fma_f64 v[85:86], v[4:5], v[34:35], v[91:92]
	v_fma_f64 v[89:90], v[2:3], v[34:35], -v[36:37]
	ds_load_b128 v[2:5], v1 offset:1504
	scratch_load_b128 v[34:37], off, off offset:656
	v_fma_f64 v[61:62], v[61:62], v[38:39], v[69:70]
	v_fma_f64 v[59:60], v[59:60], v[38:39], -v[40:41]
	scratch_load_b128 v[38:41], off, off offset:672
	v_add_f64 v[46:47], v[46:47], v[63:64]
	v_add_f64 v[67:68], v[67:68], v[65:66]
	ds_load_b128 v[63:66], v1 offset:1520
	s_waitcnt vmcnt(9) lgkmcnt(1)
	v_mul_f64 v[91:92], v[2:3], v[44:45]
	v_mul_f64 v[44:45], v[4:5], v[44:45]
	;; [unrolled: 18-line block ×11, first 2 shown]
	s_waitcnt vmcnt(8) lgkmcnt(0)
	v_mul_f64 v[69:70], v[59:60], v[40:41]
	v_mul_f64 v[40:41], v[61:62], v[40:41]
	v_add_f64 v[46:47], v[46:47], v[89:90]
	v_add_f64 v[67:68], v[67:68], v[85:86]
	v_fma_f64 v[85:86], v[4:5], v[34:35], v[91:92]
	v_fma_f64 v[89:90], v[2:3], v[34:35], -v[36:37]
	ds_load_b128 v[2:5], v1 offset:1824
	ds_load_b128 v[34:37], v1 offset:1840
	v_fma_f64 v[61:62], v[61:62], v[38:39], v[69:70]
	v_fma_f64 v[38:39], v[59:60], v[38:39], -v[40:41]
	v_add_f64 v[46:47], v[46:47], v[63:64]
	v_add_f64 v[63:64], v[67:68], v[65:66]
	s_waitcnt vmcnt(7) lgkmcnt(1)
	v_mul_f64 v[65:66], v[2:3], v[44:45]
	v_mul_f64 v[44:45], v[4:5], v[44:45]
	s_waitcnt vmcnt(6) lgkmcnt(0)
	v_mul_f64 v[59:60], v[34:35], v[8:9]
	v_mul_f64 v[8:9], v[36:37], v[8:9]
	v_add_f64 v[40:41], v[46:47], v[89:90]
	v_add_f64 v[46:47], v[63:64], v[85:86]
	v_fma_f64 v[63:64], v[4:5], v[42:43], v[65:66]
	v_fma_f64 v[42:43], v[2:3], v[42:43], -v[44:45]
	v_fma_f64 v[36:37], v[36:37], v[6:7], v[59:60]
	v_fma_f64 v[6:7], v[34:35], v[6:7], -v[8:9]
	v_add_f64 v[44:45], v[40:41], v[38:39]
	v_add_f64 v[46:47], v[46:47], v[61:62]
	ds_load_b128 v[2:5], v1 offset:1856
	ds_load_b128 v[38:41], v1 offset:1872
	s_waitcnt vmcnt(5) lgkmcnt(1)
	v_mul_f64 v[61:62], v[2:3], v[12:13]
	v_mul_f64 v[12:13], v[4:5], v[12:13]
	v_add_f64 v[8:9], v[44:45], v[42:43]
	v_add_f64 v[34:35], v[46:47], v[63:64]
	s_waitcnt vmcnt(4) lgkmcnt(0)
	v_mul_f64 v[42:43], v[38:39], v[16:17]
	v_mul_f64 v[16:17], v[40:41], v[16:17]
	v_fma_f64 v[44:45], v[4:5], v[10:11], v[61:62]
	v_fma_f64 v[10:11], v[2:3], v[10:11], -v[12:13]
	v_add_f64 v[12:13], v[8:9], v[6:7]
	v_add_f64 v[34:35], v[34:35], v[36:37]
	ds_load_b128 v[2:5], v1 offset:1888
	ds_load_b128 v[6:9], v1 offset:1904
	v_fma_f64 v[40:41], v[40:41], v[14:15], v[42:43]
	v_fma_f64 v[14:15], v[38:39], v[14:15], -v[16:17]
	s_waitcnt vmcnt(3) lgkmcnt(1)
	v_mul_f64 v[36:37], v[2:3], v[20:21]
	v_mul_f64 v[20:21], v[4:5], v[20:21]
	s_waitcnt vmcnt(2) lgkmcnt(0)
	v_mul_f64 v[16:17], v[6:7], v[24:25]
	v_mul_f64 v[24:25], v[8:9], v[24:25]
	v_add_f64 v[10:11], v[12:13], v[10:11]
	v_add_f64 v[12:13], v[34:35], v[44:45]
	v_fma_f64 v[34:35], v[4:5], v[18:19], v[36:37]
	v_fma_f64 v[18:19], v[2:3], v[18:19], -v[20:21]
	v_fma_f64 v[8:9], v[8:9], v[22:23], v[16:17]
	v_fma_f64 v[6:7], v[6:7], v[22:23], -v[24:25]
	v_add_f64 v[14:15], v[10:11], v[14:15]
	v_add_f64 v[20:21], v[12:13], v[40:41]
	ds_load_b128 v[2:5], v1 offset:1920
	ds_load_b128 v[10:13], v1 offset:1936
	s_waitcnt vmcnt(1) lgkmcnt(1)
	v_mul_f64 v[36:37], v[2:3], v[28:29]
	v_mul_f64 v[28:29], v[4:5], v[28:29]
	v_add_f64 v[14:15], v[14:15], v[18:19]
	v_add_f64 v[16:17], v[20:21], v[34:35]
	s_waitcnt vmcnt(0) lgkmcnt(0)
	v_mul_f64 v[18:19], v[10:11], v[32:33]
	v_mul_f64 v[20:21], v[12:13], v[32:33]
	v_fma_f64 v[4:5], v[4:5], v[26:27], v[36:37]
	v_fma_f64 v[1:2], v[2:3], v[26:27], -v[28:29]
	v_add_f64 v[6:7], v[14:15], v[6:7]
	v_add_f64 v[8:9], v[16:17], v[8:9]
	v_fma_f64 v[12:13], v[12:13], v[30:31], v[18:19]
	v_fma_f64 v[10:11], v[10:11], v[30:31], -v[20:21]
	s_delay_alu instid0(VALU_DEP_4) | instskip(NEXT) | instid1(VALU_DEP_4)
	v_add_f64 v[1:2], v[6:7], v[1:2]
	v_add_f64 v[3:4], v[8:9], v[4:5]
	s_delay_alu instid0(VALU_DEP_2) | instskip(NEXT) | instid1(VALU_DEP_2)
	v_add_f64 v[1:2], v[1:2], v[10:11]
	v_add_f64 v[3:4], v[3:4], v[12:13]
	s_delay_alu instid0(VALU_DEP_2) | instskip(NEXT) | instid1(VALU_DEP_2)
	v_add_f64 v[1:2], v[55:56], -v[1:2]
	v_add_f64 v[3:4], v[57:58], -v[3:4]
	scratch_store_b128 off, v[1:4], off offset:192
	v_cmpx_lt_u32_e32 11, v171
	s_cbranch_execz .LBB60_369
; %bb.368:
	scratch_load_b32 v1, off, off offset:1020 ; 4-byte Folded Reload
	v_mov_b32_e32 v5, 0
	s_delay_alu instid0(VALU_DEP_1)
	v_mov_b32_e32 v6, v5
	v_mov_b32_e32 v7, v5
	;; [unrolled: 1-line block ×3, first 2 shown]
	s_waitcnt vmcnt(0)
	scratch_load_b128 v[1:4], v1, off
	scratch_store_b128 off, v[5:8], off offset:176
	s_waitcnt vmcnt(0)
	ds_store_b128 v229, v[1:4]
.LBB60_369:
	s_or_b32 exec_lo, exec_lo, s2
	s_waitcnt lgkmcnt(0)
	s_waitcnt_vscnt null, 0x0
	s_barrier
	buffer_gl0_inv
	s_clause 0x7
	scratch_load_b128 v[2:5], off, off offset:192
	scratch_load_b128 v[6:9], off, off offset:208
	;; [unrolled: 1-line block ×8, first 2 shown]
	v_mov_b32_e32 v1, 0
	s_mov_b32 s2, exec_lo
	ds_load_b128 v[38:41], v1 offset:1168
	s_clause 0x1
	scratch_load_b128 v[34:37], off, off offset:320
	scratch_load_b128 v[42:45], off, off offset:176
	ds_load_b128 v[55:58], v1 offset:1184
	scratch_load_b128 v[59:62], off, off offset:336
	ds_load_b128 v[63:66], v1 offset:1216
	s_waitcnt vmcnt(10) lgkmcnt(2)
	v_mul_f64 v[46:47], v[40:41], v[4:5]
	v_mul_f64 v[4:5], v[38:39], v[4:5]
	s_delay_alu instid0(VALU_DEP_2) | instskip(NEXT) | instid1(VALU_DEP_2)
	v_fma_f64 v[46:47], v[38:39], v[2:3], -v[46:47]
	v_fma_f64 v[69:70], v[40:41], v[2:3], v[4:5]
	ds_load_b128 v[2:5], v1 offset:1200
	s_waitcnt vmcnt(9) lgkmcnt(2)
	v_mul_f64 v[67:68], v[55:56], v[8:9]
	v_mul_f64 v[8:9], v[57:58], v[8:9]
	scratch_load_b128 v[38:41], off, off offset:352
	s_waitcnt vmcnt(9) lgkmcnt(0)
	v_mul_f64 v[85:86], v[2:3], v[12:13]
	v_mul_f64 v[12:13], v[4:5], v[12:13]
	v_add_f64 v[46:47], v[46:47], 0
	v_fma_f64 v[57:58], v[57:58], v[6:7], v[67:68]
	v_fma_f64 v[55:56], v[55:56], v[6:7], -v[8:9]
	v_add_f64 v[67:68], v[69:70], 0
	scratch_load_b128 v[6:9], off, off offset:368
	v_fma_f64 v[85:86], v[4:5], v[10:11], v[85:86]
	v_fma_f64 v[89:90], v[2:3], v[10:11], -v[12:13]
	scratch_load_b128 v[10:13], off, off offset:384
	ds_load_b128 v[2:5], v1 offset:1232
	s_waitcnt vmcnt(10)
	v_mul_f64 v[69:70], v[63:64], v[16:17]
	v_mul_f64 v[16:17], v[65:66], v[16:17]
	v_add_f64 v[46:47], v[46:47], v[55:56]
	v_add_f64 v[67:68], v[67:68], v[57:58]
	ds_load_b128 v[55:58], v1 offset:1248
	s_waitcnt vmcnt(9) lgkmcnt(1)
	v_mul_f64 v[91:92], v[2:3], v[20:21]
	v_mul_f64 v[20:21], v[4:5], v[20:21]
	v_fma_f64 v[65:66], v[65:66], v[14:15], v[69:70]
	v_fma_f64 v[63:64], v[63:64], v[14:15], -v[16:17]
	scratch_load_b128 v[14:17], off, off offset:400
	v_add_f64 v[46:47], v[46:47], v[89:90]
	v_add_f64 v[67:68], v[67:68], v[85:86]
	v_fma_f64 v[85:86], v[4:5], v[18:19], v[91:92]
	v_fma_f64 v[89:90], v[2:3], v[18:19], -v[20:21]
	scratch_load_b128 v[18:21], off, off offset:416
	ds_load_b128 v[2:5], v1 offset:1264
	s_waitcnt vmcnt(10) lgkmcnt(1)
	v_mul_f64 v[69:70], v[55:56], v[24:25]
	v_mul_f64 v[24:25], v[57:58], v[24:25]
	s_waitcnt vmcnt(9) lgkmcnt(0)
	v_mul_f64 v[91:92], v[2:3], v[28:29]
	v_mul_f64 v[28:29], v[4:5], v[28:29]
	v_add_f64 v[46:47], v[46:47], v[63:64]
	v_add_f64 v[67:68], v[67:68], v[65:66]
	ds_load_b128 v[63:66], v1 offset:1280
	v_fma_f64 v[57:58], v[57:58], v[22:23], v[69:70]
	v_fma_f64 v[55:56], v[55:56], v[22:23], -v[24:25]
	scratch_load_b128 v[22:25], off, off offset:432
	v_add_f64 v[46:47], v[46:47], v[89:90]
	v_add_f64 v[67:68], v[67:68], v[85:86]
	v_fma_f64 v[85:86], v[4:5], v[26:27], v[91:92]
	v_fma_f64 v[89:90], v[2:3], v[26:27], -v[28:29]
	scratch_load_b128 v[26:29], off, off offset:448
	ds_load_b128 v[2:5], v1 offset:1296
	s_waitcnt vmcnt(10) lgkmcnt(1)
	v_mul_f64 v[69:70], v[63:64], v[32:33]
	v_mul_f64 v[32:33], v[65:66], v[32:33]
	s_waitcnt vmcnt(9) lgkmcnt(0)
	v_mul_f64 v[91:92], v[2:3], v[36:37]
	v_mul_f64 v[36:37], v[4:5], v[36:37]
	v_add_f64 v[46:47], v[46:47], v[55:56]
	v_add_f64 v[67:68], v[67:68], v[57:58]
	ds_load_b128 v[55:58], v1 offset:1312
	v_fma_f64 v[65:66], v[65:66], v[30:31], v[69:70]
	v_fma_f64 v[63:64], v[63:64], v[30:31], -v[32:33]
	scratch_load_b128 v[30:33], off, off offset:464
	v_add_f64 v[46:47], v[46:47], v[89:90]
	v_add_f64 v[67:68], v[67:68], v[85:86]
	v_fma_f64 v[89:90], v[4:5], v[34:35], v[91:92]
	v_fma_f64 v[91:92], v[2:3], v[34:35], -v[36:37]
	scratch_load_b128 v[34:37], off, off offset:480
	ds_load_b128 v[2:5], v1 offset:1328
	s_waitcnt vmcnt(9) lgkmcnt(1)
	v_mul_f64 v[69:70], v[55:56], v[61:62]
	v_mul_f64 v[85:86], v[57:58], v[61:62]
	v_add_f64 v[46:47], v[46:47], v[63:64]
	v_add_f64 v[65:66], v[67:68], v[65:66]
	ds_load_b128 v[61:64], v1 offset:1344
	v_fma_f64 v[69:70], v[57:58], v[59:60], v[69:70]
	v_fma_f64 v[59:60], v[55:56], v[59:60], -v[85:86]
	scratch_load_b128 v[55:58], off, off offset:496
	s_waitcnt vmcnt(9) lgkmcnt(1)
	v_mul_f64 v[67:68], v[2:3], v[40:41]
	v_mul_f64 v[40:41], v[4:5], v[40:41]
	v_add_f64 v[46:47], v[46:47], v[91:92]
	v_add_f64 v[65:66], v[65:66], v[89:90]
	s_delay_alu instid0(VALU_DEP_4) | instskip(NEXT) | instid1(VALU_DEP_4)
	v_fma_f64 v[89:90], v[4:5], v[38:39], v[67:68]
	v_fma_f64 v[91:92], v[2:3], v[38:39], -v[40:41]
	scratch_load_b128 v[38:41], off, off offset:512
	ds_load_b128 v[2:5], v1 offset:1360
	s_waitcnt vmcnt(9) lgkmcnt(1)
	v_mul_f64 v[85:86], v[61:62], v[8:9]
	v_mul_f64 v[8:9], v[63:64], v[8:9]
	v_add_f64 v[46:47], v[46:47], v[59:60]
	v_add_f64 v[59:60], v[65:66], v[69:70]
	s_waitcnt vmcnt(8) lgkmcnt(0)
	v_mul_f64 v[69:70], v[2:3], v[12:13]
	v_mul_f64 v[12:13], v[4:5], v[12:13]
	ds_load_b128 v[65:68], v1 offset:1376
	v_fma_f64 v[63:64], v[63:64], v[6:7], v[85:86]
	v_fma_f64 v[61:62], v[61:62], v[6:7], -v[8:9]
	scratch_load_b128 v[6:9], off, off offset:528
	v_add_f64 v[46:47], v[46:47], v[91:92]
	v_add_f64 v[59:60], v[59:60], v[89:90]
	v_fma_f64 v[69:70], v[4:5], v[10:11], v[69:70]
	v_fma_f64 v[89:90], v[2:3], v[10:11], -v[12:13]
	scratch_load_b128 v[10:13], off, off offset:544
	ds_load_b128 v[2:5], v1 offset:1392
	s_waitcnt vmcnt(9) lgkmcnt(1)
	v_mul_f64 v[85:86], v[65:66], v[16:17]
	v_mul_f64 v[16:17], v[67:68], v[16:17]
	s_waitcnt vmcnt(8) lgkmcnt(0)
	v_mul_f64 v[91:92], v[2:3], v[20:21]
	v_mul_f64 v[20:21], v[4:5], v[20:21]
	v_add_f64 v[46:47], v[46:47], v[61:62]
	v_add_f64 v[63:64], v[59:60], v[63:64]
	ds_load_b128 v[59:62], v1 offset:1408
	v_fma_f64 v[67:68], v[67:68], v[14:15], v[85:86]
	v_fma_f64 v[65:66], v[65:66], v[14:15], -v[16:17]
	scratch_load_b128 v[14:17], off, off offset:560
	v_fma_f64 v[85:86], v[4:5], v[18:19], v[91:92]
	v_add_f64 v[46:47], v[46:47], v[89:90]
	v_add_f64 v[63:64], v[63:64], v[69:70]
	v_fma_f64 v[89:90], v[2:3], v[18:19], -v[20:21]
	scratch_load_b128 v[18:21], off, off offset:576
	ds_load_b128 v[2:5], v1 offset:1424
	s_waitcnt vmcnt(9) lgkmcnt(1)
	v_mul_f64 v[69:70], v[59:60], v[24:25]
	v_mul_f64 v[24:25], v[61:62], v[24:25]
	s_waitcnt vmcnt(8) lgkmcnt(0)
	v_mul_f64 v[91:92], v[2:3], v[28:29]
	v_mul_f64 v[28:29], v[4:5], v[28:29]
	v_add_f64 v[46:47], v[46:47], v[65:66]
	v_add_f64 v[67:68], v[63:64], v[67:68]
	ds_load_b128 v[63:66], v1 offset:1440
	v_fma_f64 v[61:62], v[61:62], v[22:23], v[69:70]
	v_fma_f64 v[59:60], v[59:60], v[22:23], -v[24:25]
	scratch_load_b128 v[22:25], off, off offset:592
	v_add_f64 v[46:47], v[46:47], v[89:90]
	v_add_f64 v[67:68], v[67:68], v[85:86]
	v_fma_f64 v[85:86], v[4:5], v[26:27], v[91:92]
	v_fma_f64 v[89:90], v[2:3], v[26:27], -v[28:29]
	scratch_load_b128 v[26:29], off, off offset:608
	ds_load_b128 v[2:5], v1 offset:1456
	s_waitcnt vmcnt(9) lgkmcnt(1)
	v_mul_f64 v[69:70], v[63:64], v[32:33]
	v_mul_f64 v[32:33], v[65:66], v[32:33]
	s_waitcnt vmcnt(8) lgkmcnt(0)
	v_mul_f64 v[91:92], v[2:3], v[36:37]
	v_mul_f64 v[36:37], v[4:5], v[36:37]
	v_add_f64 v[46:47], v[46:47], v[59:60]
	v_add_f64 v[67:68], v[67:68], v[61:62]
	ds_load_b128 v[59:62], v1 offset:1472
	v_fma_f64 v[65:66], v[65:66], v[30:31], v[69:70]
	v_fma_f64 v[63:64], v[63:64], v[30:31], -v[32:33]
	scratch_load_b128 v[30:33], off, off offset:624
	v_add_f64 v[46:47], v[46:47], v[89:90]
	v_add_f64 v[67:68], v[67:68], v[85:86]
	v_fma_f64 v[85:86], v[4:5], v[34:35], v[91:92]
	;; [unrolled: 18-line block ×7, first 2 shown]
	v_fma_f64 v[91:92], v[2:3], v[34:35], -v[36:37]
	scratch_load_b128 v[34:37], off, off offset:800
	ds_load_b128 v[2:5], v1 offset:1648
	s_waitcnt vmcnt(9) lgkmcnt(1)
	v_mul_f64 v[69:70], v[63:64], v[57:58]
	v_mul_f64 v[85:86], v[65:66], v[57:58]
	v_add_f64 v[46:47], v[46:47], v[59:60]
	v_add_f64 v[61:62], v[67:68], v[61:62]
	s_waitcnt vmcnt(8) lgkmcnt(0)
	v_mul_f64 v[67:68], v[2:3], v[40:41]
	v_mul_f64 v[40:41], v[4:5], v[40:41]
	ds_load_b128 v[57:60], v1 offset:1664
	v_fma_f64 v[65:66], v[65:66], v[55:56], v[69:70]
	v_fma_f64 v[55:56], v[63:64], v[55:56], -v[85:86]
	v_add_f64 v[46:47], v[46:47], v[91:92]
	v_add_f64 v[69:70], v[61:62], v[89:90]
	scratch_load_b128 v[61:64], off, off offset:816
	v_fma_f64 v[89:90], v[4:5], v[38:39], v[67:68]
	v_fma_f64 v[91:92], v[2:3], v[38:39], -v[40:41]
	scratch_load_b128 v[38:41], off, off offset:832
	ds_load_b128 v[2:5], v1 offset:1680
	s_waitcnt vmcnt(9) lgkmcnt(1)
	v_mul_f64 v[85:86], v[57:58], v[8:9]
	v_mul_f64 v[8:9], v[59:60], v[8:9]
	v_add_f64 v[46:47], v[46:47], v[55:56]
	v_add_f64 v[55:56], v[69:70], v[65:66]
	s_waitcnt vmcnt(8) lgkmcnt(0)
	v_mul_f64 v[69:70], v[2:3], v[12:13]
	v_mul_f64 v[12:13], v[4:5], v[12:13]
	ds_load_b128 v[65:68], v1 offset:1696
	v_fma_f64 v[59:60], v[59:60], v[6:7], v[85:86]
	v_fma_f64 v[57:58], v[57:58], v[6:7], -v[8:9]
	scratch_load_b128 v[6:9], off, off offset:848
	v_add_f64 v[46:47], v[46:47], v[91:92]
	v_add_f64 v[55:56], v[55:56], v[89:90]
	v_fma_f64 v[69:70], v[4:5], v[10:11], v[69:70]
	v_fma_f64 v[89:90], v[2:3], v[10:11], -v[12:13]
	scratch_load_b128 v[10:13], off, off offset:864
	ds_load_b128 v[2:5], v1 offset:1712
	s_waitcnt vmcnt(9) lgkmcnt(1)
	v_mul_f64 v[85:86], v[65:66], v[16:17]
	v_mul_f64 v[16:17], v[67:68], v[16:17]
	s_waitcnt vmcnt(8) lgkmcnt(0)
	v_mul_f64 v[91:92], v[2:3], v[20:21]
	v_mul_f64 v[20:21], v[4:5], v[20:21]
	v_add_f64 v[46:47], v[46:47], v[57:58]
	v_add_f64 v[59:60], v[55:56], v[59:60]
	ds_load_b128 v[55:58], v1 offset:1728
	v_fma_f64 v[67:68], v[67:68], v[14:15], v[85:86]
	v_fma_f64 v[65:66], v[65:66], v[14:15], -v[16:17]
	scratch_load_b128 v[14:17], off, off offset:880
	v_fma_f64 v[85:86], v[4:5], v[18:19], v[91:92]
	v_add_f64 v[46:47], v[46:47], v[89:90]
	v_add_f64 v[59:60], v[59:60], v[69:70]
	v_fma_f64 v[89:90], v[2:3], v[18:19], -v[20:21]
	scratch_load_b128 v[18:21], off, off offset:896
	ds_load_b128 v[2:5], v1 offset:1744
	s_waitcnt vmcnt(9) lgkmcnt(1)
	v_mul_f64 v[69:70], v[55:56], v[24:25]
	v_mul_f64 v[24:25], v[57:58], v[24:25]
	s_waitcnt vmcnt(8) lgkmcnt(0)
	v_mul_f64 v[91:92], v[2:3], v[28:29]
	v_mul_f64 v[28:29], v[4:5], v[28:29]
	v_add_f64 v[46:47], v[46:47], v[65:66]
	v_add_f64 v[59:60], v[59:60], v[67:68]
	ds_load_b128 v[65:68], v1 offset:1760
	v_fma_f64 v[57:58], v[57:58], v[22:23], v[69:70]
	v_fma_f64 v[55:56], v[55:56], v[22:23], -v[24:25]
	scratch_load_b128 v[22:25], off, off offset:912
	v_add_f64 v[46:47], v[46:47], v[89:90]
	v_add_f64 v[59:60], v[59:60], v[85:86]
	v_fma_f64 v[85:86], v[4:5], v[26:27], v[91:92]
	v_fma_f64 v[89:90], v[2:3], v[26:27], -v[28:29]
	scratch_load_b128 v[26:29], off, off offset:928
	ds_load_b128 v[2:5], v1 offset:1776
	s_waitcnt vmcnt(9) lgkmcnt(1)
	v_mul_f64 v[69:70], v[65:66], v[32:33]
	v_mul_f64 v[32:33], v[67:68], v[32:33]
	s_waitcnt vmcnt(8) lgkmcnt(0)
	v_mul_f64 v[91:92], v[2:3], v[36:37]
	v_mul_f64 v[36:37], v[4:5], v[36:37]
	v_add_f64 v[46:47], v[46:47], v[55:56]
	v_add_f64 v[59:60], v[59:60], v[57:58]
	ds_load_b128 v[55:58], v1 offset:1792
	v_fma_f64 v[67:68], v[67:68], v[30:31], v[69:70]
	v_fma_f64 v[65:66], v[65:66], v[30:31], -v[32:33]
	scratch_load_b128 v[30:33], off, off offset:944
	v_add_f64 v[46:47], v[46:47], v[89:90]
	v_add_f64 v[59:60], v[59:60], v[85:86]
	v_fma_f64 v[89:90], v[4:5], v[34:35], v[91:92]
	v_fma_f64 v[91:92], v[2:3], v[34:35], -v[36:37]
	scratch_load_b128 v[34:37], off, off offset:960
	ds_load_b128 v[2:5], v1 offset:1808
	s_waitcnt vmcnt(9) lgkmcnt(1)
	v_mul_f64 v[69:70], v[55:56], v[63:64]
	v_mul_f64 v[85:86], v[57:58], v[63:64]
	v_add_f64 v[46:47], v[46:47], v[65:66]
	v_add_f64 v[59:60], v[59:60], v[67:68]
	s_waitcnt vmcnt(8) lgkmcnt(0)
	v_mul_f64 v[67:68], v[2:3], v[40:41]
	v_mul_f64 v[40:41], v[4:5], v[40:41]
	ds_load_b128 v[63:66], v1 offset:1824
	v_fma_f64 v[57:58], v[57:58], v[61:62], v[69:70]
	v_fma_f64 v[55:56], v[55:56], v[61:62], -v[85:86]
	s_waitcnt vmcnt(7) lgkmcnt(0)
	v_mul_f64 v[61:62], v[63:64], v[8:9]
	v_mul_f64 v[8:9], v[65:66], v[8:9]
	v_add_f64 v[46:47], v[46:47], v[91:92]
	v_add_f64 v[59:60], v[59:60], v[89:90]
	v_fma_f64 v[67:68], v[4:5], v[38:39], v[67:68]
	v_fma_f64 v[69:70], v[2:3], v[38:39], -v[40:41]
	ds_load_b128 v[2:5], v1 offset:1840
	ds_load_b128 v[38:41], v1 offset:1856
	v_add_f64 v[46:47], v[46:47], v[55:56]
	v_add_f64 v[55:56], v[59:60], v[57:58]
	s_waitcnt vmcnt(6) lgkmcnt(1)
	v_mul_f64 v[57:58], v[2:3], v[12:13]
	v_mul_f64 v[12:13], v[4:5], v[12:13]
	v_fma_f64 v[59:60], v[65:66], v[6:7], v[61:62]
	v_fma_f64 v[6:7], v[63:64], v[6:7], -v[8:9]
	v_add_f64 v[8:9], v[46:47], v[69:70]
	v_add_f64 v[46:47], v[55:56], v[67:68]
	s_waitcnt vmcnt(5) lgkmcnt(0)
	v_mul_f64 v[55:56], v[38:39], v[16:17]
	v_mul_f64 v[16:17], v[40:41], v[16:17]
	v_fma_f64 v[57:58], v[4:5], v[10:11], v[57:58]
	v_fma_f64 v[10:11], v[2:3], v[10:11], -v[12:13]
	v_add_f64 v[12:13], v[8:9], v[6:7]
	v_add_f64 v[46:47], v[46:47], v[59:60]
	ds_load_b128 v[2:5], v1 offset:1872
	ds_load_b128 v[6:9], v1 offset:1888
	v_fma_f64 v[40:41], v[40:41], v[14:15], v[55:56]
	v_fma_f64 v[14:15], v[38:39], v[14:15], -v[16:17]
	s_waitcnt vmcnt(4) lgkmcnt(1)
	v_mul_f64 v[59:60], v[2:3], v[20:21]
	v_mul_f64 v[20:21], v[4:5], v[20:21]
	s_waitcnt vmcnt(3) lgkmcnt(0)
	v_mul_f64 v[16:17], v[6:7], v[24:25]
	v_mul_f64 v[24:25], v[8:9], v[24:25]
	v_add_f64 v[10:11], v[12:13], v[10:11]
	v_add_f64 v[12:13], v[46:47], v[57:58]
	v_fma_f64 v[38:39], v[4:5], v[18:19], v[59:60]
	v_fma_f64 v[18:19], v[2:3], v[18:19], -v[20:21]
	v_fma_f64 v[8:9], v[8:9], v[22:23], v[16:17]
	v_fma_f64 v[6:7], v[6:7], v[22:23], -v[24:25]
	v_add_f64 v[14:15], v[10:11], v[14:15]
	v_add_f64 v[20:21], v[12:13], v[40:41]
	ds_load_b128 v[2:5], v1 offset:1904
	ds_load_b128 v[10:13], v1 offset:1920
	s_waitcnt vmcnt(2) lgkmcnt(1)
	v_mul_f64 v[40:41], v[2:3], v[28:29]
	v_mul_f64 v[28:29], v[4:5], v[28:29]
	v_add_f64 v[14:15], v[14:15], v[18:19]
	v_add_f64 v[16:17], v[20:21], v[38:39]
	s_waitcnt vmcnt(1) lgkmcnt(0)
	v_mul_f64 v[18:19], v[10:11], v[32:33]
	v_mul_f64 v[20:21], v[12:13], v[32:33]
	v_fma_f64 v[22:23], v[4:5], v[26:27], v[40:41]
	v_fma_f64 v[24:25], v[2:3], v[26:27], -v[28:29]
	ds_load_b128 v[2:5], v1 offset:1936
	v_add_f64 v[6:7], v[14:15], v[6:7]
	v_add_f64 v[8:9], v[16:17], v[8:9]
	v_fma_f64 v[12:13], v[12:13], v[30:31], v[18:19]
	v_fma_f64 v[10:11], v[10:11], v[30:31], -v[20:21]
	s_waitcnt vmcnt(0) lgkmcnt(0)
	v_mul_f64 v[14:15], v[2:3], v[36:37]
	v_mul_f64 v[16:17], v[4:5], v[36:37]
	v_add_f64 v[6:7], v[6:7], v[24:25]
	v_add_f64 v[8:9], v[8:9], v[22:23]
	s_delay_alu instid0(VALU_DEP_4) | instskip(NEXT) | instid1(VALU_DEP_4)
	v_fma_f64 v[4:5], v[4:5], v[34:35], v[14:15]
	v_fma_f64 v[2:3], v[2:3], v[34:35], -v[16:17]
	s_delay_alu instid0(VALU_DEP_4) | instskip(NEXT) | instid1(VALU_DEP_4)
	v_add_f64 v[6:7], v[6:7], v[10:11]
	v_add_f64 v[8:9], v[8:9], v[12:13]
	s_delay_alu instid0(VALU_DEP_2) | instskip(NEXT) | instid1(VALU_DEP_2)
	v_add_f64 v[2:3], v[6:7], v[2:3]
	v_add_f64 v[4:5], v[8:9], v[4:5]
	s_delay_alu instid0(VALU_DEP_2) | instskip(NEXT) | instid1(VALU_DEP_2)
	v_add_f64 v[2:3], v[42:43], -v[2:3]
	v_add_f64 v[4:5], v[44:45], -v[4:5]
	scratch_store_b128 off, v[2:5], off offset:176
	v_cmpx_lt_u32_e32 10, v171
	s_cbranch_execz .LBB60_371
; %bb.370:
	scratch_load_b128 v[5:8], v211, off
	v_mov_b32_e32 v2, v1
	v_mov_b32_e32 v3, v1
	;; [unrolled: 1-line block ×3, first 2 shown]
	scratch_store_b128 off, v[1:4], off offset:160
	s_waitcnt vmcnt(0)
	ds_store_b128 v229, v[5:8]
.LBB60_371:
	s_or_b32 exec_lo, exec_lo, s2
	s_waitcnt lgkmcnt(0)
	s_waitcnt_vscnt null, 0x0
	s_barrier
	buffer_gl0_inv
	s_clause 0x8
	scratch_load_b128 v[2:5], off, off offset:176
	scratch_load_b128 v[6:9], off, off offset:192
	;; [unrolled: 1-line block ×9, first 2 shown]
	ds_load_b128 v[42:45], v1 offset:1152
	ds_load_b128 v[38:41], v1 offset:1168
	s_clause 0x1
	scratch_load_b128 v[55:58], off, off offset:160
	scratch_load_b128 v[59:62], off, off offset:320
	s_mov_b32 s2, exec_lo
	ds_load_b128 v[63:66], v1 offset:1200
	s_waitcnt vmcnt(10) lgkmcnt(2)
	v_mul_f64 v[46:47], v[44:45], v[4:5]
	v_mul_f64 v[4:5], v[42:43], v[4:5]
	s_waitcnt vmcnt(9) lgkmcnt(1)
	v_mul_f64 v[67:68], v[38:39], v[8:9]
	v_mul_f64 v[8:9], v[40:41], v[8:9]
	s_delay_alu instid0(VALU_DEP_4) | instskip(NEXT) | instid1(VALU_DEP_4)
	v_fma_f64 v[46:47], v[42:43], v[2:3], -v[46:47]
	v_fma_f64 v[69:70], v[44:45], v[2:3], v[4:5]
	ds_load_b128 v[2:5], v1 offset:1184
	scratch_load_b128 v[42:45], off, off offset:336
	v_fma_f64 v[40:41], v[40:41], v[6:7], v[67:68]
	v_fma_f64 v[38:39], v[38:39], v[6:7], -v[8:9]
	scratch_load_b128 v[6:9], off, off offset:352
	s_waitcnt vmcnt(10) lgkmcnt(0)
	v_mul_f64 v[85:86], v[2:3], v[12:13]
	v_mul_f64 v[12:13], v[4:5], v[12:13]
	v_add_f64 v[46:47], v[46:47], 0
	v_add_f64 v[67:68], v[69:70], 0
	s_waitcnt vmcnt(9)
	v_mul_f64 v[69:70], v[63:64], v[16:17]
	v_mul_f64 v[16:17], v[65:66], v[16:17]
	v_fma_f64 v[85:86], v[4:5], v[10:11], v[85:86]
	v_fma_f64 v[89:90], v[2:3], v[10:11], -v[12:13]
	ds_load_b128 v[2:5], v1 offset:1216
	scratch_load_b128 v[10:13], off, off offset:368
	v_add_f64 v[46:47], v[46:47], v[38:39]
	v_add_f64 v[67:68], v[67:68], v[40:41]
	ds_load_b128 v[38:41], v1 offset:1232
	v_fma_f64 v[65:66], v[65:66], v[14:15], v[69:70]
	v_fma_f64 v[63:64], v[63:64], v[14:15], -v[16:17]
	scratch_load_b128 v[14:17], off, off offset:384
	s_waitcnt vmcnt(10) lgkmcnt(1)
	v_mul_f64 v[91:92], v[2:3], v[20:21]
	v_mul_f64 v[20:21], v[4:5], v[20:21]
	s_waitcnt vmcnt(9) lgkmcnt(0)
	v_mul_f64 v[69:70], v[38:39], v[24:25]
	v_mul_f64 v[24:25], v[40:41], v[24:25]
	v_add_f64 v[46:47], v[46:47], v[89:90]
	v_add_f64 v[67:68], v[67:68], v[85:86]
	v_fma_f64 v[85:86], v[4:5], v[18:19], v[91:92]
	v_fma_f64 v[89:90], v[2:3], v[18:19], -v[20:21]
	ds_load_b128 v[2:5], v1 offset:1248
	scratch_load_b128 v[18:21], off, off offset:400
	v_fma_f64 v[40:41], v[40:41], v[22:23], v[69:70]
	v_fma_f64 v[38:39], v[38:39], v[22:23], -v[24:25]
	scratch_load_b128 v[22:25], off, off offset:416
	v_add_f64 v[46:47], v[46:47], v[63:64]
	v_add_f64 v[67:68], v[67:68], v[65:66]
	ds_load_b128 v[63:66], v1 offset:1264
	s_waitcnt vmcnt(10) lgkmcnt(1)
	v_mul_f64 v[91:92], v[2:3], v[28:29]
	v_mul_f64 v[28:29], v[4:5], v[28:29]
	s_waitcnt vmcnt(9) lgkmcnt(0)
	v_mul_f64 v[69:70], v[63:64], v[32:33]
	v_mul_f64 v[32:33], v[65:66], v[32:33]
	v_add_f64 v[46:47], v[46:47], v[89:90]
	v_add_f64 v[67:68], v[67:68], v[85:86]
	v_fma_f64 v[85:86], v[4:5], v[26:27], v[91:92]
	v_fma_f64 v[89:90], v[2:3], v[26:27], -v[28:29]
	ds_load_b128 v[2:5], v1 offset:1280
	scratch_load_b128 v[26:29], off, off offset:432
	v_fma_f64 v[65:66], v[65:66], v[30:31], v[69:70]
	v_fma_f64 v[63:64], v[63:64], v[30:31], -v[32:33]
	scratch_load_b128 v[30:33], off, off offset:448
	v_add_f64 v[46:47], v[46:47], v[38:39]
	v_add_f64 v[67:68], v[67:68], v[40:41]
	ds_load_b128 v[38:41], v1 offset:1296
	s_waitcnt vmcnt(10) lgkmcnt(1)
	v_mul_f64 v[91:92], v[2:3], v[36:37]
	v_mul_f64 v[36:37], v[4:5], v[36:37]
	s_waitcnt vmcnt(8) lgkmcnt(0)
	v_mul_f64 v[69:70], v[38:39], v[61:62]
	v_add_f64 v[46:47], v[46:47], v[89:90]
	v_add_f64 v[67:68], v[67:68], v[85:86]
	v_mul_f64 v[85:86], v[40:41], v[61:62]
	v_fma_f64 v[89:90], v[4:5], v[34:35], v[91:92]
	v_fma_f64 v[91:92], v[2:3], v[34:35], -v[36:37]
	ds_load_b128 v[2:5], v1 offset:1312
	scratch_load_b128 v[34:37], off, off offset:464
	v_fma_f64 v[69:70], v[40:41], v[59:60], v[69:70]
	v_add_f64 v[46:47], v[46:47], v[63:64]
	v_add_f64 v[65:66], v[67:68], v[65:66]
	ds_load_b128 v[61:64], v1 offset:1328
	v_fma_f64 v[59:60], v[38:39], v[59:60], -v[85:86]
	scratch_load_b128 v[38:41], off, off offset:480
	s_waitcnt vmcnt(9) lgkmcnt(1)
	v_mul_f64 v[67:68], v[2:3], v[44:45]
	v_mul_f64 v[44:45], v[4:5], v[44:45]
	s_waitcnt vmcnt(8) lgkmcnt(0)
	v_mul_f64 v[85:86], v[61:62], v[8:9]
	v_mul_f64 v[8:9], v[63:64], v[8:9]
	v_add_f64 v[46:47], v[46:47], v[91:92]
	v_add_f64 v[65:66], v[65:66], v[89:90]
	v_fma_f64 v[89:90], v[4:5], v[42:43], v[67:68]
	v_fma_f64 v[91:92], v[2:3], v[42:43], -v[44:45]
	ds_load_b128 v[2:5], v1 offset:1344
	scratch_load_b128 v[42:45], off, off offset:496
	v_fma_f64 v[63:64], v[63:64], v[6:7], v[85:86]
	v_fma_f64 v[61:62], v[61:62], v[6:7], -v[8:9]
	scratch_load_b128 v[6:9], off, off offset:512
	v_add_f64 v[46:47], v[46:47], v[59:60]
	v_add_f64 v[59:60], v[65:66], v[69:70]
	ds_load_b128 v[65:68], v1 offset:1360
	s_waitcnt vmcnt(9) lgkmcnt(1)
	v_mul_f64 v[69:70], v[2:3], v[12:13]
	v_mul_f64 v[12:13], v[4:5], v[12:13]
	s_waitcnt vmcnt(8) lgkmcnt(0)
	v_mul_f64 v[85:86], v[65:66], v[16:17]
	v_mul_f64 v[16:17], v[67:68], v[16:17]
	v_add_f64 v[46:47], v[46:47], v[91:92]
	v_add_f64 v[59:60], v[59:60], v[89:90]
	v_fma_f64 v[69:70], v[4:5], v[10:11], v[69:70]
	v_fma_f64 v[89:90], v[2:3], v[10:11], -v[12:13]
	ds_load_b128 v[2:5], v1 offset:1376
	scratch_load_b128 v[10:13], off, off offset:528
	v_fma_f64 v[67:68], v[67:68], v[14:15], v[85:86]
	v_fma_f64 v[65:66], v[65:66], v[14:15], -v[16:17]
	scratch_load_b128 v[14:17], off, off offset:544
	v_add_f64 v[46:47], v[46:47], v[61:62]
	v_add_f64 v[63:64], v[59:60], v[63:64]
	ds_load_b128 v[59:62], v1 offset:1392
	s_waitcnt vmcnt(9) lgkmcnt(1)
	v_mul_f64 v[91:92], v[2:3], v[20:21]
	v_mul_f64 v[20:21], v[4:5], v[20:21]
	v_add_f64 v[46:47], v[46:47], v[89:90]
	v_add_f64 v[63:64], v[63:64], v[69:70]
	s_waitcnt vmcnt(8) lgkmcnt(0)
	v_mul_f64 v[69:70], v[59:60], v[24:25]
	v_mul_f64 v[24:25], v[61:62], v[24:25]
	v_fma_f64 v[85:86], v[4:5], v[18:19], v[91:92]
	v_fma_f64 v[89:90], v[2:3], v[18:19], -v[20:21]
	ds_load_b128 v[2:5], v1 offset:1408
	scratch_load_b128 v[18:21], off, off offset:560
	v_add_f64 v[46:47], v[46:47], v[65:66]
	v_add_f64 v[67:68], v[63:64], v[67:68]
	ds_load_b128 v[63:66], v1 offset:1424
	s_waitcnt vmcnt(8) lgkmcnt(1)
	v_mul_f64 v[91:92], v[2:3], v[28:29]
	v_mul_f64 v[28:29], v[4:5], v[28:29]
	v_fma_f64 v[61:62], v[61:62], v[22:23], v[69:70]
	v_fma_f64 v[59:60], v[59:60], v[22:23], -v[24:25]
	scratch_load_b128 v[22:25], off, off offset:576
	s_waitcnt vmcnt(8) lgkmcnt(0)
	v_mul_f64 v[69:70], v[63:64], v[32:33]
	v_mul_f64 v[32:33], v[65:66], v[32:33]
	v_add_f64 v[46:47], v[46:47], v[89:90]
	v_add_f64 v[67:68], v[67:68], v[85:86]
	v_fma_f64 v[85:86], v[4:5], v[26:27], v[91:92]
	v_fma_f64 v[89:90], v[2:3], v[26:27], -v[28:29]
	ds_load_b128 v[2:5], v1 offset:1440
	scratch_load_b128 v[26:29], off, off offset:592
	v_fma_f64 v[65:66], v[65:66], v[30:31], v[69:70]
	v_fma_f64 v[63:64], v[63:64], v[30:31], -v[32:33]
	scratch_load_b128 v[30:33], off, off offset:608
	v_add_f64 v[46:47], v[46:47], v[59:60]
	v_add_f64 v[67:68], v[67:68], v[61:62]
	ds_load_b128 v[59:62], v1 offset:1456
	s_waitcnt vmcnt(9) lgkmcnt(1)
	v_mul_f64 v[91:92], v[2:3], v[36:37]
	v_mul_f64 v[36:37], v[4:5], v[36:37]
	s_waitcnt vmcnt(8) lgkmcnt(0)
	v_mul_f64 v[69:70], v[59:60], v[40:41]
	v_mul_f64 v[40:41], v[61:62], v[40:41]
	v_add_f64 v[46:47], v[46:47], v[89:90]
	v_add_f64 v[67:68], v[67:68], v[85:86]
	v_fma_f64 v[85:86], v[4:5], v[34:35], v[91:92]
	v_fma_f64 v[89:90], v[2:3], v[34:35], -v[36:37]
	ds_load_b128 v[2:5], v1 offset:1472
	scratch_load_b128 v[34:37], off, off offset:624
	v_fma_f64 v[61:62], v[61:62], v[38:39], v[69:70]
	v_fma_f64 v[59:60], v[59:60], v[38:39], -v[40:41]
	scratch_load_b128 v[38:41], off, off offset:640
	v_add_f64 v[46:47], v[46:47], v[63:64]
	v_add_f64 v[67:68], v[67:68], v[65:66]
	ds_load_b128 v[63:66], v1 offset:1488
	s_waitcnt vmcnt(9) lgkmcnt(1)
	v_mul_f64 v[91:92], v[2:3], v[44:45]
	v_mul_f64 v[44:45], v[4:5], v[44:45]
	;; [unrolled: 18-line block ×12, first 2 shown]
	s_waitcnt vmcnt(8) lgkmcnt(0)
	v_mul_f64 v[69:70], v[63:64], v[8:9]
	v_mul_f64 v[8:9], v[65:66], v[8:9]
	v_add_f64 v[46:47], v[46:47], v[89:90]
	v_add_f64 v[67:68], v[67:68], v[85:86]
	v_fma_f64 v[85:86], v[4:5], v[42:43], v[91:92]
	v_fma_f64 v[89:90], v[2:3], v[42:43], -v[44:45]
	ds_load_b128 v[2:5], v1 offset:1824
	ds_load_b128 v[42:45], v1 offset:1840
	v_fma_f64 v[65:66], v[65:66], v[6:7], v[69:70]
	v_fma_f64 v[6:7], v[63:64], v[6:7], -v[8:9]
	v_add_f64 v[46:47], v[46:47], v[59:60]
	v_add_f64 v[59:60], v[67:68], v[61:62]
	s_waitcnt vmcnt(7) lgkmcnt(1)
	v_mul_f64 v[61:62], v[2:3], v[12:13]
	v_mul_f64 v[12:13], v[4:5], v[12:13]
	s_delay_alu instid0(VALU_DEP_4) | instskip(NEXT) | instid1(VALU_DEP_4)
	v_add_f64 v[8:9], v[46:47], v[89:90]
	v_add_f64 v[46:47], v[59:60], v[85:86]
	s_waitcnt vmcnt(6) lgkmcnt(0)
	v_mul_f64 v[59:60], v[42:43], v[16:17]
	v_mul_f64 v[16:17], v[44:45], v[16:17]
	v_fma_f64 v[61:62], v[4:5], v[10:11], v[61:62]
	v_fma_f64 v[10:11], v[2:3], v[10:11], -v[12:13]
	v_add_f64 v[12:13], v[8:9], v[6:7]
	v_add_f64 v[46:47], v[46:47], v[65:66]
	ds_load_b128 v[2:5], v1 offset:1856
	ds_load_b128 v[6:9], v1 offset:1872
	v_fma_f64 v[44:45], v[44:45], v[14:15], v[59:60]
	v_fma_f64 v[14:15], v[42:43], v[14:15], -v[16:17]
	s_waitcnt vmcnt(5) lgkmcnt(1)
	v_mul_f64 v[63:64], v[2:3], v[20:21]
	v_mul_f64 v[20:21], v[4:5], v[20:21]
	s_waitcnt vmcnt(4) lgkmcnt(0)
	v_mul_f64 v[16:17], v[6:7], v[24:25]
	v_mul_f64 v[24:25], v[8:9], v[24:25]
	v_add_f64 v[10:11], v[12:13], v[10:11]
	v_add_f64 v[12:13], v[46:47], v[61:62]
	v_fma_f64 v[42:43], v[4:5], v[18:19], v[63:64]
	v_fma_f64 v[18:19], v[2:3], v[18:19], -v[20:21]
	v_fma_f64 v[8:9], v[8:9], v[22:23], v[16:17]
	v_fma_f64 v[6:7], v[6:7], v[22:23], -v[24:25]
	v_add_f64 v[14:15], v[10:11], v[14:15]
	v_add_f64 v[20:21], v[12:13], v[44:45]
	ds_load_b128 v[2:5], v1 offset:1888
	ds_load_b128 v[10:13], v1 offset:1904
	s_waitcnt vmcnt(3) lgkmcnt(1)
	v_mul_f64 v[44:45], v[2:3], v[28:29]
	v_mul_f64 v[28:29], v[4:5], v[28:29]
	v_add_f64 v[14:15], v[14:15], v[18:19]
	v_add_f64 v[16:17], v[20:21], v[42:43]
	s_waitcnt vmcnt(2) lgkmcnt(0)
	v_mul_f64 v[18:19], v[10:11], v[32:33]
	v_mul_f64 v[20:21], v[12:13], v[32:33]
	v_fma_f64 v[22:23], v[4:5], v[26:27], v[44:45]
	v_fma_f64 v[24:25], v[2:3], v[26:27], -v[28:29]
	v_add_f64 v[14:15], v[14:15], v[6:7]
	v_add_f64 v[16:17], v[16:17], v[8:9]
	ds_load_b128 v[2:5], v1 offset:1920
	ds_load_b128 v[6:9], v1 offset:1936
	v_fma_f64 v[12:13], v[12:13], v[30:31], v[18:19]
	v_fma_f64 v[10:11], v[10:11], v[30:31], -v[20:21]
	s_waitcnt vmcnt(1) lgkmcnt(1)
	v_mul_f64 v[26:27], v[2:3], v[36:37]
	v_mul_f64 v[28:29], v[4:5], v[36:37]
	s_waitcnt vmcnt(0) lgkmcnt(0)
	v_mul_f64 v[18:19], v[6:7], v[40:41]
	v_mul_f64 v[20:21], v[8:9], v[40:41]
	v_add_f64 v[14:15], v[14:15], v[24:25]
	v_add_f64 v[16:17], v[16:17], v[22:23]
	v_fma_f64 v[4:5], v[4:5], v[34:35], v[26:27]
	v_fma_f64 v[1:2], v[2:3], v[34:35], -v[28:29]
	v_fma_f64 v[8:9], v[8:9], v[38:39], v[18:19]
	v_fma_f64 v[6:7], v[6:7], v[38:39], -v[20:21]
	v_add_f64 v[10:11], v[14:15], v[10:11]
	v_add_f64 v[12:13], v[16:17], v[12:13]
	s_delay_alu instid0(VALU_DEP_2) | instskip(NEXT) | instid1(VALU_DEP_2)
	v_add_f64 v[1:2], v[10:11], v[1:2]
	v_add_f64 v[3:4], v[12:13], v[4:5]
	s_delay_alu instid0(VALU_DEP_2) | instskip(NEXT) | instid1(VALU_DEP_2)
	;; [unrolled: 3-line block ×3, first 2 shown]
	v_add_f64 v[1:2], v[55:56], -v[1:2]
	v_add_f64 v[3:4], v[57:58], -v[3:4]
	scratch_store_b128 off, v[1:4], off offset:160
	v_cmpx_lt_u32_e32 9, v171
	s_cbranch_execz .LBB60_373
; %bb.372:
	scratch_load_b128 v[1:4], v212, off
	v_mov_b32_e32 v5, 0
	s_delay_alu instid0(VALU_DEP_1)
	v_mov_b32_e32 v6, v5
	v_mov_b32_e32 v7, v5
	;; [unrolled: 1-line block ×3, first 2 shown]
	scratch_store_b128 off, v[5:8], off offset:144
	s_waitcnt vmcnt(0)
	ds_store_b128 v229, v[1:4]
.LBB60_373:
	s_or_b32 exec_lo, exec_lo, s2
	s_waitcnt lgkmcnt(0)
	s_waitcnt_vscnt null, 0x0
	s_barrier
	buffer_gl0_inv
	s_clause 0x7
	scratch_load_b128 v[2:5], off, off offset:160
	scratch_load_b128 v[6:9], off, off offset:176
	;; [unrolled: 1-line block ×8, first 2 shown]
	v_mov_b32_e32 v1, 0
	s_mov_b32 s2, exec_lo
	ds_load_b128 v[38:41], v1 offset:1136
	s_clause 0x1
	scratch_load_b128 v[34:37], off, off offset:288
	scratch_load_b128 v[42:45], off, off offset:144
	ds_load_b128 v[55:58], v1 offset:1152
	scratch_load_b128 v[59:62], off, off offset:304
	ds_load_b128 v[63:66], v1 offset:1184
	s_waitcnt vmcnt(10) lgkmcnt(2)
	v_mul_f64 v[46:47], v[40:41], v[4:5]
	v_mul_f64 v[4:5], v[38:39], v[4:5]
	s_delay_alu instid0(VALU_DEP_2) | instskip(NEXT) | instid1(VALU_DEP_2)
	v_fma_f64 v[46:47], v[38:39], v[2:3], -v[46:47]
	v_fma_f64 v[69:70], v[40:41], v[2:3], v[4:5]
	ds_load_b128 v[2:5], v1 offset:1168
	s_waitcnt vmcnt(9) lgkmcnt(2)
	v_mul_f64 v[67:68], v[55:56], v[8:9]
	v_mul_f64 v[8:9], v[57:58], v[8:9]
	scratch_load_b128 v[38:41], off, off offset:320
	s_waitcnt vmcnt(9) lgkmcnt(0)
	v_mul_f64 v[85:86], v[2:3], v[12:13]
	v_mul_f64 v[12:13], v[4:5], v[12:13]
	v_add_f64 v[46:47], v[46:47], 0
	v_fma_f64 v[57:58], v[57:58], v[6:7], v[67:68]
	v_fma_f64 v[55:56], v[55:56], v[6:7], -v[8:9]
	v_add_f64 v[67:68], v[69:70], 0
	scratch_load_b128 v[6:9], off, off offset:336
	v_fma_f64 v[85:86], v[4:5], v[10:11], v[85:86]
	v_fma_f64 v[89:90], v[2:3], v[10:11], -v[12:13]
	scratch_load_b128 v[10:13], off, off offset:352
	ds_load_b128 v[2:5], v1 offset:1200
	s_waitcnt vmcnt(10)
	v_mul_f64 v[69:70], v[63:64], v[16:17]
	v_mul_f64 v[16:17], v[65:66], v[16:17]
	v_add_f64 v[46:47], v[46:47], v[55:56]
	v_add_f64 v[67:68], v[67:68], v[57:58]
	ds_load_b128 v[55:58], v1 offset:1216
	s_waitcnt vmcnt(9) lgkmcnt(1)
	v_mul_f64 v[91:92], v[2:3], v[20:21]
	v_mul_f64 v[20:21], v[4:5], v[20:21]
	v_fma_f64 v[65:66], v[65:66], v[14:15], v[69:70]
	v_fma_f64 v[63:64], v[63:64], v[14:15], -v[16:17]
	scratch_load_b128 v[14:17], off, off offset:368
	v_add_f64 v[46:47], v[46:47], v[89:90]
	v_add_f64 v[67:68], v[67:68], v[85:86]
	v_fma_f64 v[85:86], v[4:5], v[18:19], v[91:92]
	v_fma_f64 v[89:90], v[2:3], v[18:19], -v[20:21]
	scratch_load_b128 v[18:21], off, off offset:384
	ds_load_b128 v[2:5], v1 offset:1232
	s_waitcnt vmcnt(10) lgkmcnt(1)
	v_mul_f64 v[69:70], v[55:56], v[24:25]
	v_mul_f64 v[24:25], v[57:58], v[24:25]
	s_waitcnt vmcnt(9) lgkmcnt(0)
	v_mul_f64 v[91:92], v[2:3], v[28:29]
	v_mul_f64 v[28:29], v[4:5], v[28:29]
	v_add_f64 v[46:47], v[46:47], v[63:64]
	v_add_f64 v[67:68], v[67:68], v[65:66]
	ds_load_b128 v[63:66], v1 offset:1248
	v_fma_f64 v[57:58], v[57:58], v[22:23], v[69:70]
	v_fma_f64 v[55:56], v[55:56], v[22:23], -v[24:25]
	scratch_load_b128 v[22:25], off, off offset:400
	v_add_f64 v[46:47], v[46:47], v[89:90]
	v_add_f64 v[67:68], v[67:68], v[85:86]
	v_fma_f64 v[85:86], v[4:5], v[26:27], v[91:92]
	v_fma_f64 v[89:90], v[2:3], v[26:27], -v[28:29]
	scratch_load_b128 v[26:29], off, off offset:416
	ds_load_b128 v[2:5], v1 offset:1264
	s_waitcnt vmcnt(10) lgkmcnt(1)
	v_mul_f64 v[69:70], v[63:64], v[32:33]
	v_mul_f64 v[32:33], v[65:66], v[32:33]
	s_waitcnt vmcnt(9) lgkmcnt(0)
	v_mul_f64 v[91:92], v[2:3], v[36:37]
	v_mul_f64 v[36:37], v[4:5], v[36:37]
	v_add_f64 v[46:47], v[46:47], v[55:56]
	v_add_f64 v[67:68], v[67:68], v[57:58]
	ds_load_b128 v[55:58], v1 offset:1280
	v_fma_f64 v[65:66], v[65:66], v[30:31], v[69:70]
	v_fma_f64 v[63:64], v[63:64], v[30:31], -v[32:33]
	scratch_load_b128 v[30:33], off, off offset:432
	v_add_f64 v[46:47], v[46:47], v[89:90]
	v_add_f64 v[67:68], v[67:68], v[85:86]
	v_fma_f64 v[89:90], v[4:5], v[34:35], v[91:92]
	v_fma_f64 v[91:92], v[2:3], v[34:35], -v[36:37]
	scratch_load_b128 v[34:37], off, off offset:448
	ds_load_b128 v[2:5], v1 offset:1296
	s_waitcnt vmcnt(9) lgkmcnt(1)
	v_mul_f64 v[69:70], v[55:56], v[61:62]
	v_mul_f64 v[85:86], v[57:58], v[61:62]
	v_add_f64 v[46:47], v[46:47], v[63:64]
	v_add_f64 v[65:66], v[67:68], v[65:66]
	ds_load_b128 v[61:64], v1 offset:1312
	v_fma_f64 v[69:70], v[57:58], v[59:60], v[69:70]
	v_fma_f64 v[59:60], v[55:56], v[59:60], -v[85:86]
	scratch_load_b128 v[55:58], off, off offset:464
	s_waitcnt vmcnt(9) lgkmcnt(1)
	v_mul_f64 v[67:68], v[2:3], v[40:41]
	v_mul_f64 v[40:41], v[4:5], v[40:41]
	v_add_f64 v[46:47], v[46:47], v[91:92]
	v_add_f64 v[65:66], v[65:66], v[89:90]
	s_delay_alu instid0(VALU_DEP_4) | instskip(NEXT) | instid1(VALU_DEP_4)
	v_fma_f64 v[89:90], v[4:5], v[38:39], v[67:68]
	v_fma_f64 v[91:92], v[2:3], v[38:39], -v[40:41]
	scratch_load_b128 v[38:41], off, off offset:480
	ds_load_b128 v[2:5], v1 offset:1328
	s_waitcnt vmcnt(9) lgkmcnt(1)
	v_mul_f64 v[85:86], v[61:62], v[8:9]
	v_mul_f64 v[8:9], v[63:64], v[8:9]
	v_add_f64 v[46:47], v[46:47], v[59:60]
	v_add_f64 v[59:60], v[65:66], v[69:70]
	s_waitcnt vmcnt(8) lgkmcnt(0)
	v_mul_f64 v[69:70], v[2:3], v[12:13]
	v_mul_f64 v[12:13], v[4:5], v[12:13]
	ds_load_b128 v[65:68], v1 offset:1344
	v_fma_f64 v[63:64], v[63:64], v[6:7], v[85:86]
	v_fma_f64 v[61:62], v[61:62], v[6:7], -v[8:9]
	scratch_load_b128 v[6:9], off, off offset:496
	v_add_f64 v[46:47], v[46:47], v[91:92]
	v_add_f64 v[59:60], v[59:60], v[89:90]
	v_fma_f64 v[69:70], v[4:5], v[10:11], v[69:70]
	v_fma_f64 v[89:90], v[2:3], v[10:11], -v[12:13]
	scratch_load_b128 v[10:13], off, off offset:512
	ds_load_b128 v[2:5], v1 offset:1360
	s_waitcnt vmcnt(9) lgkmcnt(1)
	v_mul_f64 v[85:86], v[65:66], v[16:17]
	v_mul_f64 v[16:17], v[67:68], v[16:17]
	s_waitcnt vmcnt(8) lgkmcnt(0)
	v_mul_f64 v[91:92], v[2:3], v[20:21]
	v_mul_f64 v[20:21], v[4:5], v[20:21]
	v_add_f64 v[46:47], v[46:47], v[61:62]
	v_add_f64 v[63:64], v[59:60], v[63:64]
	ds_load_b128 v[59:62], v1 offset:1376
	v_fma_f64 v[67:68], v[67:68], v[14:15], v[85:86]
	v_fma_f64 v[65:66], v[65:66], v[14:15], -v[16:17]
	scratch_load_b128 v[14:17], off, off offset:528
	v_fma_f64 v[85:86], v[4:5], v[18:19], v[91:92]
	v_add_f64 v[46:47], v[46:47], v[89:90]
	v_add_f64 v[63:64], v[63:64], v[69:70]
	v_fma_f64 v[89:90], v[2:3], v[18:19], -v[20:21]
	scratch_load_b128 v[18:21], off, off offset:544
	ds_load_b128 v[2:5], v1 offset:1392
	s_waitcnt vmcnt(9) lgkmcnt(1)
	v_mul_f64 v[69:70], v[59:60], v[24:25]
	v_mul_f64 v[24:25], v[61:62], v[24:25]
	s_waitcnt vmcnt(8) lgkmcnt(0)
	v_mul_f64 v[91:92], v[2:3], v[28:29]
	v_mul_f64 v[28:29], v[4:5], v[28:29]
	v_add_f64 v[46:47], v[46:47], v[65:66]
	v_add_f64 v[67:68], v[63:64], v[67:68]
	ds_load_b128 v[63:66], v1 offset:1408
	v_fma_f64 v[61:62], v[61:62], v[22:23], v[69:70]
	v_fma_f64 v[59:60], v[59:60], v[22:23], -v[24:25]
	scratch_load_b128 v[22:25], off, off offset:560
	v_add_f64 v[46:47], v[46:47], v[89:90]
	v_add_f64 v[67:68], v[67:68], v[85:86]
	v_fma_f64 v[85:86], v[4:5], v[26:27], v[91:92]
	v_fma_f64 v[89:90], v[2:3], v[26:27], -v[28:29]
	scratch_load_b128 v[26:29], off, off offset:576
	ds_load_b128 v[2:5], v1 offset:1424
	s_waitcnt vmcnt(9) lgkmcnt(1)
	v_mul_f64 v[69:70], v[63:64], v[32:33]
	v_mul_f64 v[32:33], v[65:66], v[32:33]
	s_waitcnt vmcnt(8) lgkmcnt(0)
	v_mul_f64 v[91:92], v[2:3], v[36:37]
	v_mul_f64 v[36:37], v[4:5], v[36:37]
	v_add_f64 v[46:47], v[46:47], v[59:60]
	v_add_f64 v[67:68], v[67:68], v[61:62]
	ds_load_b128 v[59:62], v1 offset:1440
	v_fma_f64 v[65:66], v[65:66], v[30:31], v[69:70]
	v_fma_f64 v[63:64], v[63:64], v[30:31], -v[32:33]
	scratch_load_b128 v[30:33], off, off offset:592
	v_add_f64 v[46:47], v[46:47], v[89:90]
	v_add_f64 v[67:68], v[67:68], v[85:86]
	v_fma_f64 v[85:86], v[4:5], v[34:35], v[91:92]
	;; [unrolled: 18-line block ×7, first 2 shown]
	v_fma_f64 v[91:92], v[2:3], v[34:35], -v[36:37]
	scratch_load_b128 v[34:37], off, off offset:768
	ds_load_b128 v[2:5], v1 offset:1616
	s_waitcnt vmcnt(9) lgkmcnt(1)
	v_mul_f64 v[69:70], v[63:64], v[57:58]
	v_mul_f64 v[85:86], v[65:66], v[57:58]
	v_add_f64 v[46:47], v[46:47], v[59:60]
	v_add_f64 v[61:62], v[67:68], v[61:62]
	s_waitcnt vmcnt(8) lgkmcnt(0)
	v_mul_f64 v[67:68], v[2:3], v[40:41]
	v_mul_f64 v[40:41], v[4:5], v[40:41]
	ds_load_b128 v[57:60], v1 offset:1632
	v_fma_f64 v[65:66], v[65:66], v[55:56], v[69:70]
	v_fma_f64 v[55:56], v[63:64], v[55:56], -v[85:86]
	v_add_f64 v[46:47], v[46:47], v[91:92]
	v_add_f64 v[69:70], v[61:62], v[89:90]
	scratch_load_b128 v[61:64], off, off offset:784
	v_fma_f64 v[89:90], v[4:5], v[38:39], v[67:68]
	v_fma_f64 v[91:92], v[2:3], v[38:39], -v[40:41]
	scratch_load_b128 v[38:41], off, off offset:800
	ds_load_b128 v[2:5], v1 offset:1648
	s_waitcnt vmcnt(9) lgkmcnt(1)
	v_mul_f64 v[85:86], v[57:58], v[8:9]
	v_mul_f64 v[8:9], v[59:60], v[8:9]
	v_add_f64 v[46:47], v[46:47], v[55:56]
	v_add_f64 v[55:56], v[69:70], v[65:66]
	s_waitcnt vmcnt(8) lgkmcnt(0)
	v_mul_f64 v[69:70], v[2:3], v[12:13]
	v_mul_f64 v[12:13], v[4:5], v[12:13]
	ds_load_b128 v[65:68], v1 offset:1664
	v_fma_f64 v[59:60], v[59:60], v[6:7], v[85:86]
	v_fma_f64 v[57:58], v[57:58], v[6:7], -v[8:9]
	scratch_load_b128 v[6:9], off, off offset:816
	v_add_f64 v[46:47], v[46:47], v[91:92]
	v_add_f64 v[55:56], v[55:56], v[89:90]
	v_fma_f64 v[69:70], v[4:5], v[10:11], v[69:70]
	v_fma_f64 v[89:90], v[2:3], v[10:11], -v[12:13]
	scratch_load_b128 v[10:13], off, off offset:832
	ds_load_b128 v[2:5], v1 offset:1680
	s_waitcnt vmcnt(9) lgkmcnt(1)
	v_mul_f64 v[85:86], v[65:66], v[16:17]
	v_mul_f64 v[16:17], v[67:68], v[16:17]
	s_waitcnt vmcnt(8) lgkmcnt(0)
	v_mul_f64 v[91:92], v[2:3], v[20:21]
	v_mul_f64 v[20:21], v[4:5], v[20:21]
	v_add_f64 v[46:47], v[46:47], v[57:58]
	v_add_f64 v[59:60], v[55:56], v[59:60]
	ds_load_b128 v[55:58], v1 offset:1696
	v_fma_f64 v[67:68], v[67:68], v[14:15], v[85:86]
	v_fma_f64 v[65:66], v[65:66], v[14:15], -v[16:17]
	scratch_load_b128 v[14:17], off, off offset:848
	v_fma_f64 v[85:86], v[4:5], v[18:19], v[91:92]
	v_add_f64 v[46:47], v[46:47], v[89:90]
	v_add_f64 v[59:60], v[59:60], v[69:70]
	v_fma_f64 v[89:90], v[2:3], v[18:19], -v[20:21]
	scratch_load_b128 v[18:21], off, off offset:864
	ds_load_b128 v[2:5], v1 offset:1712
	s_waitcnt vmcnt(9) lgkmcnt(1)
	v_mul_f64 v[69:70], v[55:56], v[24:25]
	v_mul_f64 v[24:25], v[57:58], v[24:25]
	s_waitcnt vmcnt(8) lgkmcnt(0)
	v_mul_f64 v[91:92], v[2:3], v[28:29]
	v_mul_f64 v[28:29], v[4:5], v[28:29]
	v_add_f64 v[46:47], v[46:47], v[65:66]
	v_add_f64 v[59:60], v[59:60], v[67:68]
	ds_load_b128 v[65:68], v1 offset:1728
	v_fma_f64 v[57:58], v[57:58], v[22:23], v[69:70]
	v_fma_f64 v[55:56], v[55:56], v[22:23], -v[24:25]
	scratch_load_b128 v[22:25], off, off offset:880
	v_add_f64 v[46:47], v[46:47], v[89:90]
	v_add_f64 v[59:60], v[59:60], v[85:86]
	v_fma_f64 v[85:86], v[4:5], v[26:27], v[91:92]
	v_fma_f64 v[89:90], v[2:3], v[26:27], -v[28:29]
	scratch_load_b128 v[26:29], off, off offset:896
	ds_load_b128 v[2:5], v1 offset:1744
	s_waitcnt vmcnt(9) lgkmcnt(1)
	v_mul_f64 v[69:70], v[65:66], v[32:33]
	v_mul_f64 v[32:33], v[67:68], v[32:33]
	s_waitcnt vmcnt(8) lgkmcnt(0)
	v_mul_f64 v[91:92], v[2:3], v[36:37]
	v_mul_f64 v[36:37], v[4:5], v[36:37]
	v_add_f64 v[46:47], v[46:47], v[55:56]
	v_add_f64 v[59:60], v[59:60], v[57:58]
	ds_load_b128 v[55:58], v1 offset:1760
	v_fma_f64 v[67:68], v[67:68], v[30:31], v[69:70]
	v_fma_f64 v[65:66], v[65:66], v[30:31], -v[32:33]
	scratch_load_b128 v[30:33], off, off offset:912
	v_add_f64 v[46:47], v[46:47], v[89:90]
	v_add_f64 v[59:60], v[59:60], v[85:86]
	v_fma_f64 v[89:90], v[4:5], v[34:35], v[91:92]
	v_fma_f64 v[91:92], v[2:3], v[34:35], -v[36:37]
	scratch_load_b128 v[34:37], off, off offset:928
	ds_load_b128 v[2:5], v1 offset:1776
	s_waitcnt vmcnt(9) lgkmcnt(1)
	v_mul_f64 v[69:70], v[55:56], v[63:64]
	v_mul_f64 v[85:86], v[57:58], v[63:64]
	v_add_f64 v[46:47], v[46:47], v[65:66]
	v_add_f64 v[59:60], v[59:60], v[67:68]
	s_waitcnt vmcnt(8) lgkmcnt(0)
	v_mul_f64 v[67:68], v[2:3], v[40:41]
	v_mul_f64 v[40:41], v[4:5], v[40:41]
	ds_load_b128 v[63:66], v1 offset:1792
	v_fma_f64 v[69:70], v[57:58], v[61:62], v[69:70]
	v_fma_f64 v[61:62], v[55:56], v[61:62], -v[85:86]
	scratch_load_b128 v[55:58], off, off offset:944
	v_add_f64 v[46:47], v[46:47], v[91:92]
	v_add_f64 v[59:60], v[59:60], v[89:90]
	v_fma_f64 v[67:68], v[4:5], v[38:39], v[67:68]
	v_fma_f64 v[89:90], v[2:3], v[38:39], -v[40:41]
	scratch_load_b128 v[38:41], off, off offset:960
	ds_load_b128 v[2:5], v1 offset:1808
	s_waitcnt vmcnt(9) lgkmcnt(1)
	v_mul_f64 v[85:86], v[63:64], v[8:9]
	v_mul_f64 v[8:9], v[65:66], v[8:9]
	s_waitcnt vmcnt(8) lgkmcnt(0)
	v_mul_f64 v[91:92], v[2:3], v[12:13]
	v_mul_f64 v[12:13], v[4:5], v[12:13]
	v_add_f64 v[46:47], v[46:47], v[61:62]
	v_add_f64 v[69:70], v[59:60], v[69:70]
	ds_load_b128 v[59:62], v1 offset:1824
	v_fma_f64 v[65:66], v[65:66], v[6:7], v[85:86]
	v_fma_f64 v[6:7], v[63:64], v[6:7], -v[8:9]
	s_waitcnt vmcnt(7) lgkmcnt(0)
	v_mul_f64 v[63:64], v[59:60], v[16:17]
	v_mul_f64 v[16:17], v[61:62], v[16:17]
	v_add_f64 v[8:9], v[46:47], v[89:90]
	v_add_f64 v[46:47], v[69:70], v[67:68]
	v_fma_f64 v[67:68], v[4:5], v[10:11], v[91:92]
	v_fma_f64 v[10:11], v[2:3], v[10:11], -v[12:13]
	v_fma_f64 v[61:62], v[61:62], v[14:15], v[63:64]
	v_fma_f64 v[14:15], v[59:60], v[14:15], -v[16:17]
	v_add_f64 v[12:13], v[8:9], v[6:7]
	v_add_f64 v[46:47], v[46:47], v[65:66]
	ds_load_b128 v[2:5], v1 offset:1840
	ds_load_b128 v[6:9], v1 offset:1856
	s_waitcnt vmcnt(6) lgkmcnt(1)
	v_mul_f64 v[65:66], v[2:3], v[20:21]
	v_mul_f64 v[20:21], v[4:5], v[20:21]
	s_waitcnt vmcnt(5) lgkmcnt(0)
	v_mul_f64 v[16:17], v[6:7], v[24:25]
	v_mul_f64 v[24:25], v[8:9], v[24:25]
	v_add_f64 v[10:11], v[12:13], v[10:11]
	v_add_f64 v[12:13], v[46:47], v[67:68]
	v_fma_f64 v[46:47], v[4:5], v[18:19], v[65:66]
	v_fma_f64 v[18:19], v[2:3], v[18:19], -v[20:21]
	v_fma_f64 v[8:9], v[8:9], v[22:23], v[16:17]
	v_fma_f64 v[6:7], v[6:7], v[22:23], -v[24:25]
	v_add_f64 v[14:15], v[10:11], v[14:15]
	v_add_f64 v[20:21], v[12:13], v[61:62]
	ds_load_b128 v[2:5], v1 offset:1872
	ds_load_b128 v[10:13], v1 offset:1888
	s_waitcnt vmcnt(4) lgkmcnt(1)
	v_mul_f64 v[59:60], v[2:3], v[28:29]
	v_mul_f64 v[28:29], v[4:5], v[28:29]
	v_add_f64 v[14:15], v[14:15], v[18:19]
	v_add_f64 v[16:17], v[20:21], v[46:47]
	s_waitcnt vmcnt(3) lgkmcnt(0)
	v_mul_f64 v[18:19], v[10:11], v[32:33]
	v_mul_f64 v[20:21], v[12:13], v[32:33]
	v_fma_f64 v[22:23], v[4:5], v[26:27], v[59:60]
	v_fma_f64 v[24:25], v[2:3], v[26:27], -v[28:29]
	v_add_f64 v[14:15], v[14:15], v[6:7]
	v_add_f64 v[16:17], v[16:17], v[8:9]
	ds_load_b128 v[2:5], v1 offset:1904
	ds_load_b128 v[6:9], v1 offset:1920
	v_fma_f64 v[12:13], v[12:13], v[30:31], v[18:19]
	v_fma_f64 v[10:11], v[10:11], v[30:31], -v[20:21]
	s_waitcnt vmcnt(2) lgkmcnt(1)
	v_mul_f64 v[26:27], v[2:3], v[36:37]
	v_mul_f64 v[28:29], v[4:5], v[36:37]
	s_waitcnt vmcnt(1) lgkmcnt(0)
	v_mul_f64 v[18:19], v[6:7], v[57:58]
	v_mul_f64 v[20:21], v[8:9], v[57:58]
	v_add_f64 v[14:15], v[14:15], v[24:25]
	v_add_f64 v[16:17], v[16:17], v[22:23]
	v_fma_f64 v[22:23], v[4:5], v[34:35], v[26:27]
	v_fma_f64 v[24:25], v[2:3], v[34:35], -v[28:29]
	ds_load_b128 v[2:5], v1 offset:1936
	v_fma_f64 v[8:9], v[8:9], v[55:56], v[18:19]
	v_fma_f64 v[6:7], v[6:7], v[55:56], -v[20:21]
	v_add_f64 v[10:11], v[14:15], v[10:11]
	v_add_f64 v[12:13], v[16:17], v[12:13]
	s_waitcnt vmcnt(0) lgkmcnt(0)
	v_mul_f64 v[14:15], v[2:3], v[40:41]
	v_mul_f64 v[16:17], v[4:5], v[40:41]
	s_delay_alu instid0(VALU_DEP_4) | instskip(NEXT) | instid1(VALU_DEP_4)
	v_add_f64 v[10:11], v[10:11], v[24:25]
	v_add_f64 v[12:13], v[12:13], v[22:23]
	s_delay_alu instid0(VALU_DEP_4) | instskip(NEXT) | instid1(VALU_DEP_4)
	v_fma_f64 v[4:5], v[4:5], v[38:39], v[14:15]
	v_fma_f64 v[2:3], v[2:3], v[38:39], -v[16:17]
	s_delay_alu instid0(VALU_DEP_4) | instskip(NEXT) | instid1(VALU_DEP_4)
	v_add_f64 v[6:7], v[10:11], v[6:7]
	v_add_f64 v[8:9], v[12:13], v[8:9]
	s_delay_alu instid0(VALU_DEP_2) | instskip(NEXT) | instid1(VALU_DEP_2)
	v_add_f64 v[2:3], v[6:7], v[2:3]
	v_add_f64 v[4:5], v[8:9], v[4:5]
	s_delay_alu instid0(VALU_DEP_2) | instskip(NEXT) | instid1(VALU_DEP_2)
	v_add_f64 v[2:3], v[42:43], -v[2:3]
	v_add_f64 v[4:5], v[44:45], -v[4:5]
	scratch_store_b128 off, v[2:5], off offset:144
	v_cmpx_lt_u32_e32 8, v171
	s_cbranch_execz .LBB60_375
; %bb.374:
	scratch_load_b128 v[5:8], v213, off
	v_mov_b32_e32 v2, v1
	v_mov_b32_e32 v3, v1
	;; [unrolled: 1-line block ×3, first 2 shown]
	scratch_store_b128 off, v[1:4], off offset:128
	s_waitcnt vmcnt(0)
	ds_store_b128 v229, v[5:8]
.LBB60_375:
	s_or_b32 exec_lo, exec_lo, s2
	s_waitcnt lgkmcnt(0)
	s_waitcnt_vscnt null, 0x0
	s_barrier
	buffer_gl0_inv
	s_clause 0x8
	scratch_load_b128 v[2:5], off, off offset:144
	scratch_load_b128 v[6:9], off, off offset:160
	;; [unrolled: 1-line block ×9, first 2 shown]
	ds_load_b128 v[42:45], v1 offset:1120
	ds_load_b128 v[38:41], v1 offset:1136
	s_clause 0x1
	scratch_load_b128 v[55:58], off, off offset:128
	scratch_load_b128 v[59:62], off, off offset:288
	s_mov_b32 s2, exec_lo
	ds_load_b128 v[63:66], v1 offset:1168
	s_waitcnt vmcnt(10) lgkmcnt(2)
	v_mul_f64 v[46:47], v[44:45], v[4:5]
	v_mul_f64 v[4:5], v[42:43], v[4:5]
	s_waitcnt vmcnt(9) lgkmcnt(1)
	v_mul_f64 v[67:68], v[38:39], v[8:9]
	v_mul_f64 v[8:9], v[40:41], v[8:9]
	s_delay_alu instid0(VALU_DEP_4) | instskip(NEXT) | instid1(VALU_DEP_4)
	v_fma_f64 v[46:47], v[42:43], v[2:3], -v[46:47]
	v_fma_f64 v[69:70], v[44:45], v[2:3], v[4:5]
	ds_load_b128 v[2:5], v1 offset:1152
	scratch_load_b128 v[42:45], off, off offset:304
	v_fma_f64 v[40:41], v[40:41], v[6:7], v[67:68]
	v_fma_f64 v[38:39], v[38:39], v[6:7], -v[8:9]
	scratch_load_b128 v[6:9], off, off offset:320
	s_waitcnt vmcnt(10) lgkmcnt(0)
	v_mul_f64 v[85:86], v[2:3], v[12:13]
	v_mul_f64 v[12:13], v[4:5], v[12:13]
	v_add_f64 v[46:47], v[46:47], 0
	v_add_f64 v[67:68], v[69:70], 0
	s_waitcnt vmcnt(9)
	v_mul_f64 v[69:70], v[63:64], v[16:17]
	v_mul_f64 v[16:17], v[65:66], v[16:17]
	v_fma_f64 v[85:86], v[4:5], v[10:11], v[85:86]
	v_fma_f64 v[89:90], v[2:3], v[10:11], -v[12:13]
	ds_load_b128 v[2:5], v1 offset:1184
	scratch_load_b128 v[10:13], off, off offset:336
	v_add_f64 v[46:47], v[46:47], v[38:39]
	v_add_f64 v[67:68], v[67:68], v[40:41]
	ds_load_b128 v[38:41], v1 offset:1200
	v_fma_f64 v[65:66], v[65:66], v[14:15], v[69:70]
	v_fma_f64 v[63:64], v[63:64], v[14:15], -v[16:17]
	scratch_load_b128 v[14:17], off, off offset:352
	s_waitcnt vmcnt(10) lgkmcnt(1)
	v_mul_f64 v[91:92], v[2:3], v[20:21]
	v_mul_f64 v[20:21], v[4:5], v[20:21]
	s_waitcnt vmcnt(9) lgkmcnt(0)
	v_mul_f64 v[69:70], v[38:39], v[24:25]
	v_mul_f64 v[24:25], v[40:41], v[24:25]
	v_add_f64 v[46:47], v[46:47], v[89:90]
	v_add_f64 v[67:68], v[67:68], v[85:86]
	v_fma_f64 v[85:86], v[4:5], v[18:19], v[91:92]
	v_fma_f64 v[89:90], v[2:3], v[18:19], -v[20:21]
	ds_load_b128 v[2:5], v1 offset:1216
	scratch_load_b128 v[18:21], off, off offset:368
	v_fma_f64 v[40:41], v[40:41], v[22:23], v[69:70]
	v_fma_f64 v[38:39], v[38:39], v[22:23], -v[24:25]
	scratch_load_b128 v[22:25], off, off offset:384
	v_add_f64 v[46:47], v[46:47], v[63:64]
	v_add_f64 v[67:68], v[67:68], v[65:66]
	ds_load_b128 v[63:66], v1 offset:1232
	s_waitcnt vmcnt(10) lgkmcnt(1)
	v_mul_f64 v[91:92], v[2:3], v[28:29]
	v_mul_f64 v[28:29], v[4:5], v[28:29]
	s_waitcnt vmcnt(9) lgkmcnt(0)
	v_mul_f64 v[69:70], v[63:64], v[32:33]
	v_mul_f64 v[32:33], v[65:66], v[32:33]
	v_add_f64 v[46:47], v[46:47], v[89:90]
	v_add_f64 v[67:68], v[67:68], v[85:86]
	v_fma_f64 v[85:86], v[4:5], v[26:27], v[91:92]
	v_fma_f64 v[89:90], v[2:3], v[26:27], -v[28:29]
	ds_load_b128 v[2:5], v1 offset:1248
	scratch_load_b128 v[26:29], off, off offset:400
	v_fma_f64 v[65:66], v[65:66], v[30:31], v[69:70]
	v_fma_f64 v[63:64], v[63:64], v[30:31], -v[32:33]
	scratch_load_b128 v[30:33], off, off offset:416
	v_add_f64 v[46:47], v[46:47], v[38:39]
	v_add_f64 v[67:68], v[67:68], v[40:41]
	ds_load_b128 v[38:41], v1 offset:1264
	s_waitcnt vmcnt(10) lgkmcnt(1)
	v_mul_f64 v[91:92], v[2:3], v[36:37]
	v_mul_f64 v[36:37], v[4:5], v[36:37]
	s_waitcnt vmcnt(8) lgkmcnt(0)
	v_mul_f64 v[69:70], v[38:39], v[61:62]
	v_add_f64 v[46:47], v[46:47], v[89:90]
	v_add_f64 v[67:68], v[67:68], v[85:86]
	v_mul_f64 v[85:86], v[40:41], v[61:62]
	v_fma_f64 v[89:90], v[4:5], v[34:35], v[91:92]
	v_fma_f64 v[91:92], v[2:3], v[34:35], -v[36:37]
	ds_load_b128 v[2:5], v1 offset:1280
	scratch_load_b128 v[34:37], off, off offset:432
	v_fma_f64 v[69:70], v[40:41], v[59:60], v[69:70]
	v_add_f64 v[46:47], v[46:47], v[63:64]
	v_add_f64 v[65:66], v[67:68], v[65:66]
	ds_load_b128 v[61:64], v1 offset:1296
	v_fma_f64 v[59:60], v[38:39], v[59:60], -v[85:86]
	scratch_load_b128 v[38:41], off, off offset:448
	s_waitcnt vmcnt(9) lgkmcnt(1)
	v_mul_f64 v[67:68], v[2:3], v[44:45]
	v_mul_f64 v[44:45], v[4:5], v[44:45]
	s_waitcnt vmcnt(8) lgkmcnt(0)
	v_mul_f64 v[85:86], v[61:62], v[8:9]
	v_mul_f64 v[8:9], v[63:64], v[8:9]
	v_add_f64 v[46:47], v[46:47], v[91:92]
	v_add_f64 v[65:66], v[65:66], v[89:90]
	v_fma_f64 v[89:90], v[4:5], v[42:43], v[67:68]
	v_fma_f64 v[91:92], v[2:3], v[42:43], -v[44:45]
	ds_load_b128 v[2:5], v1 offset:1312
	scratch_load_b128 v[42:45], off, off offset:464
	v_fma_f64 v[63:64], v[63:64], v[6:7], v[85:86]
	v_fma_f64 v[61:62], v[61:62], v[6:7], -v[8:9]
	scratch_load_b128 v[6:9], off, off offset:480
	v_add_f64 v[46:47], v[46:47], v[59:60]
	v_add_f64 v[59:60], v[65:66], v[69:70]
	ds_load_b128 v[65:68], v1 offset:1328
	s_waitcnt vmcnt(9) lgkmcnt(1)
	v_mul_f64 v[69:70], v[2:3], v[12:13]
	v_mul_f64 v[12:13], v[4:5], v[12:13]
	s_waitcnt vmcnt(8) lgkmcnt(0)
	v_mul_f64 v[85:86], v[65:66], v[16:17]
	v_mul_f64 v[16:17], v[67:68], v[16:17]
	v_add_f64 v[46:47], v[46:47], v[91:92]
	v_add_f64 v[59:60], v[59:60], v[89:90]
	v_fma_f64 v[69:70], v[4:5], v[10:11], v[69:70]
	v_fma_f64 v[89:90], v[2:3], v[10:11], -v[12:13]
	ds_load_b128 v[2:5], v1 offset:1344
	scratch_load_b128 v[10:13], off, off offset:496
	v_fma_f64 v[67:68], v[67:68], v[14:15], v[85:86]
	v_fma_f64 v[65:66], v[65:66], v[14:15], -v[16:17]
	scratch_load_b128 v[14:17], off, off offset:512
	v_add_f64 v[46:47], v[46:47], v[61:62]
	v_add_f64 v[63:64], v[59:60], v[63:64]
	ds_load_b128 v[59:62], v1 offset:1360
	s_waitcnt vmcnt(9) lgkmcnt(1)
	v_mul_f64 v[91:92], v[2:3], v[20:21]
	v_mul_f64 v[20:21], v[4:5], v[20:21]
	v_add_f64 v[46:47], v[46:47], v[89:90]
	v_add_f64 v[63:64], v[63:64], v[69:70]
	s_waitcnt vmcnt(8) lgkmcnt(0)
	v_mul_f64 v[69:70], v[59:60], v[24:25]
	v_mul_f64 v[24:25], v[61:62], v[24:25]
	v_fma_f64 v[85:86], v[4:5], v[18:19], v[91:92]
	v_fma_f64 v[89:90], v[2:3], v[18:19], -v[20:21]
	ds_load_b128 v[2:5], v1 offset:1376
	scratch_load_b128 v[18:21], off, off offset:528
	v_add_f64 v[46:47], v[46:47], v[65:66]
	v_add_f64 v[67:68], v[63:64], v[67:68]
	ds_load_b128 v[63:66], v1 offset:1392
	s_waitcnt vmcnt(8) lgkmcnt(1)
	v_mul_f64 v[91:92], v[2:3], v[28:29]
	v_mul_f64 v[28:29], v[4:5], v[28:29]
	v_fma_f64 v[61:62], v[61:62], v[22:23], v[69:70]
	v_fma_f64 v[59:60], v[59:60], v[22:23], -v[24:25]
	scratch_load_b128 v[22:25], off, off offset:544
	s_waitcnt vmcnt(8) lgkmcnt(0)
	v_mul_f64 v[69:70], v[63:64], v[32:33]
	v_mul_f64 v[32:33], v[65:66], v[32:33]
	v_add_f64 v[46:47], v[46:47], v[89:90]
	v_add_f64 v[67:68], v[67:68], v[85:86]
	v_fma_f64 v[85:86], v[4:5], v[26:27], v[91:92]
	v_fma_f64 v[89:90], v[2:3], v[26:27], -v[28:29]
	ds_load_b128 v[2:5], v1 offset:1408
	scratch_load_b128 v[26:29], off, off offset:560
	v_fma_f64 v[65:66], v[65:66], v[30:31], v[69:70]
	v_fma_f64 v[63:64], v[63:64], v[30:31], -v[32:33]
	scratch_load_b128 v[30:33], off, off offset:576
	v_add_f64 v[46:47], v[46:47], v[59:60]
	v_add_f64 v[67:68], v[67:68], v[61:62]
	ds_load_b128 v[59:62], v1 offset:1424
	s_waitcnt vmcnt(9) lgkmcnt(1)
	v_mul_f64 v[91:92], v[2:3], v[36:37]
	v_mul_f64 v[36:37], v[4:5], v[36:37]
	s_waitcnt vmcnt(8) lgkmcnt(0)
	v_mul_f64 v[69:70], v[59:60], v[40:41]
	v_mul_f64 v[40:41], v[61:62], v[40:41]
	v_add_f64 v[46:47], v[46:47], v[89:90]
	v_add_f64 v[67:68], v[67:68], v[85:86]
	v_fma_f64 v[85:86], v[4:5], v[34:35], v[91:92]
	v_fma_f64 v[89:90], v[2:3], v[34:35], -v[36:37]
	ds_load_b128 v[2:5], v1 offset:1440
	scratch_load_b128 v[34:37], off, off offset:592
	v_fma_f64 v[61:62], v[61:62], v[38:39], v[69:70]
	v_fma_f64 v[59:60], v[59:60], v[38:39], -v[40:41]
	scratch_load_b128 v[38:41], off, off offset:608
	v_add_f64 v[46:47], v[46:47], v[63:64]
	v_add_f64 v[67:68], v[67:68], v[65:66]
	ds_load_b128 v[63:66], v1 offset:1456
	s_waitcnt vmcnt(9) lgkmcnt(1)
	v_mul_f64 v[91:92], v[2:3], v[44:45]
	v_mul_f64 v[44:45], v[4:5], v[44:45]
	;; [unrolled: 18-line block ×13, first 2 shown]
	s_waitcnt vmcnt(8) lgkmcnt(0)
	v_mul_f64 v[69:70], v[59:60], v[16:17]
	v_mul_f64 v[16:17], v[61:62], v[16:17]
	v_add_f64 v[46:47], v[46:47], v[89:90]
	v_add_f64 v[67:68], v[67:68], v[85:86]
	v_fma_f64 v[85:86], v[4:5], v[10:11], v[91:92]
	v_fma_f64 v[89:90], v[2:3], v[10:11], -v[12:13]
	ds_load_b128 v[2:5], v1 offset:1824
	ds_load_b128 v[10:13], v1 offset:1840
	v_fma_f64 v[61:62], v[61:62], v[14:15], v[69:70]
	v_fma_f64 v[14:15], v[59:60], v[14:15], -v[16:17]
	v_add_f64 v[46:47], v[46:47], v[63:64]
	v_add_f64 v[63:64], v[67:68], v[65:66]
	s_waitcnt vmcnt(7) lgkmcnt(1)
	v_mul_f64 v[65:66], v[2:3], v[20:21]
	v_mul_f64 v[20:21], v[4:5], v[20:21]
	s_waitcnt vmcnt(6) lgkmcnt(0)
	v_mul_f64 v[59:60], v[10:11], v[24:25]
	v_mul_f64 v[24:25], v[12:13], v[24:25]
	v_add_f64 v[16:17], v[46:47], v[89:90]
	v_add_f64 v[46:47], v[63:64], v[85:86]
	v_fma_f64 v[63:64], v[4:5], v[18:19], v[65:66]
	v_fma_f64 v[18:19], v[2:3], v[18:19], -v[20:21]
	v_fma_f64 v[12:13], v[12:13], v[22:23], v[59:60]
	v_fma_f64 v[10:11], v[10:11], v[22:23], -v[24:25]
	v_add_f64 v[20:21], v[16:17], v[14:15]
	v_add_f64 v[46:47], v[46:47], v[61:62]
	ds_load_b128 v[2:5], v1 offset:1856
	ds_load_b128 v[14:17], v1 offset:1872
	s_waitcnt vmcnt(5) lgkmcnt(1)
	v_mul_f64 v[61:62], v[2:3], v[28:29]
	v_mul_f64 v[28:29], v[4:5], v[28:29]
	s_waitcnt vmcnt(4) lgkmcnt(0)
	v_mul_f64 v[22:23], v[14:15], v[32:33]
	v_mul_f64 v[24:25], v[16:17], v[32:33]
	v_add_f64 v[18:19], v[20:21], v[18:19]
	v_add_f64 v[20:21], v[46:47], v[63:64]
	v_fma_f64 v[32:33], v[4:5], v[26:27], v[61:62]
	v_fma_f64 v[26:27], v[2:3], v[26:27], -v[28:29]
	v_fma_f64 v[16:17], v[16:17], v[30:31], v[22:23]
	v_fma_f64 v[14:15], v[14:15], v[30:31], -v[24:25]
	v_add_f64 v[18:19], v[18:19], v[10:11]
	v_add_f64 v[20:21], v[20:21], v[12:13]
	ds_load_b128 v[2:5], v1 offset:1888
	ds_load_b128 v[10:13], v1 offset:1904
	;; [unrolled: 16-line block ×3, first 2 shown]
	s_waitcnt vmcnt(1) lgkmcnt(1)
	v_mul_f64 v[30:31], v[2:3], v[44:45]
	v_mul_f64 v[32:33], v[4:5], v[44:45]
	s_waitcnt vmcnt(0) lgkmcnt(0)
	v_mul_f64 v[22:23], v[14:15], v[8:9]
	v_mul_f64 v[8:9], v[16:17], v[8:9]
	v_add_f64 v[18:19], v[18:19], v[28:29]
	v_add_f64 v[20:21], v[20:21], v[26:27]
	v_fma_f64 v[4:5], v[4:5], v[42:43], v[30:31]
	v_fma_f64 v[1:2], v[2:3], v[42:43], -v[32:33]
	v_fma_f64 v[16:17], v[16:17], v[6:7], v[22:23]
	v_fma_f64 v[6:7], v[14:15], v[6:7], -v[8:9]
	v_add_f64 v[10:11], v[18:19], v[10:11]
	v_add_f64 v[12:13], v[20:21], v[12:13]
	s_delay_alu instid0(VALU_DEP_2) | instskip(NEXT) | instid1(VALU_DEP_2)
	v_add_f64 v[1:2], v[10:11], v[1:2]
	v_add_f64 v[3:4], v[12:13], v[4:5]
	s_delay_alu instid0(VALU_DEP_2) | instskip(NEXT) | instid1(VALU_DEP_2)
	;; [unrolled: 3-line block ×3, first 2 shown]
	v_add_f64 v[1:2], v[55:56], -v[1:2]
	v_add_f64 v[3:4], v[57:58], -v[3:4]
	scratch_store_b128 off, v[1:4], off offset:128
	v_cmpx_lt_u32_e32 7, v171
	s_cbranch_execz .LBB60_377
; %bb.376:
	scratch_load_b128 v[1:4], v208, off
	v_mov_b32_e32 v5, 0
	s_delay_alu instid0(VALU_DEP_1)
	v_mov_b32_e32 v6, v5
	v_mov_b32_e32 v7, v5
	;; [unrolled: 1-line block ×3, first 2 shown]
	scratch_store_b128 off, v[5:8], off offset:112
	s_waitcnt vmcnt(0)
	ds_store_b128 v229, v[1:4]
.LBB60_377:
	s_or_b32 exec_lo, exec_lo, s2
	s_waitcnt lgkmcnt(0)
	s_waitcnt_vscnt null, 0x0
	s_barrier
	buffer_gl0_inv
	s_clause 0x7
	scratch_load_b128 v[2:5], off, off offset:128
	scratch_load_b128 v[6:9], off, off offset:144
	;; [unrolled: 1-line block ×8, first 2 shown]
	v_mov_b32_e32 v1, 0
	s_mov_b32 s2, exec_lo
	ds_load_b128 v[38:41], v1 offset:1104
	s_clause 0x1
	scratch_load_b128 v[34:37], off, off offset:256
	scratch_load_b128 v[42:45], off, off offset:112
	ds_load_b128 v[55:58], v1 offset:1120
	scratch_load_b128 v[59:62], off, off offset:272
	ds_load_b128 v[63:66], v1 offset:1152
	s_waitcnt vmcnt(10) lgkmcnt(2)
	v_mul_f64 v[46:47], v[40:41], v[4:5]
	v_mul_f64 v[4:5], v[38:39], v[4:5]
	s_delay_alu instid0(VALU_DEP_2) | instskip(NEXT) | instid1(VALU_DEP_2)
	v_fma_f64 v[46:47], v[38:39], v[2:3], -v[46:47]
	v_fma_f64 v[69:70], v[40:41], v[2:3], v[4:5]
	ds_load_b128 v[2:5], v1 offset:1136
	s_waitcnt vmcnt(9) lgkmcnt(2)
	v_mul_f64 v[67:68], v[55:56], v[8:9]
	v_mul_f64 v[8:9], v[57:58], v[8:9]
	scratch_load_b128 v[38:41], off, off offset:288
	s_waitcnt vmcnt(9) lgkmcnt(0)
	v_mul_f64 v[85:86], v[2:3], v[12:13]
	v_mul_f64 v[12:13], v[4:5], v[12:13]
	v_add_f64 v[46:47], v[46:47], 0
	v_fma_f64 v[57:58], v[57:58], v[6:7], v[67:68]
	v_fma_f64 v[55:56], v[55:56], v[6:7], -v[8:9]
	v_add_f64 v[67:68], v[69:70], 0
	scratch_load_b128 v[6:9], off, off offset:304
	v_fma_f64 v[85:86], v[4:5], v[10:11], v[85:86]
	v_fma_f64 v[89:90], v[2:3], v[10:11], -v[12:13]
	scratch_load_b128 v[10:13], off, off offset:320
	ds_load_b128 v[2:5], v1 offset:1168
	s_waitcnt vmcnt(10)
	v_mul_f64 v[69:70], v[63:64], v[16:17]
	v_mul_f64 v[16:17], v[65:66], v[16:17]
	v_add_f64 v[46:47], v[46:47], v[55:56]
	v_add_f64 v[67:68], v[67:68], v[57:58]
	ds_load_b128 v[55:58], v1 offset:1184
	s_waitcnt vmcnt(9) lgkmcnt(1)
	v_mul_f64 v[91:92], v[2:3], v[20:21]
	v_mul_f64 v[20:21], v[4:5], v[20:21]
	v_fma_f64 v[65:66], v[65:66], v[14:15], v[69:70]
	v_fma_f64 v[63:64], v[63:64], v[14:15], -v[16:17]
	scratch_load_b128 v[14:17], off, off offset:336
	v_add_f64 v[46:47], v[46:47], v[89:90]
	v_add_f64 v[67:68], v[67:68], v[85:86]
	v_fma_f64 v[85:86], v[4:5], v[18:19], v[91:92]
	v_fma_f64 v[89:90], v[2:3], v[18:19], -v[20:21]
	scratch_load_b128 v[18:21], off, off offset:352
	ds_load_b128 v[2:5], v1 offset:1200
	s_waitcnt vmcnt(10) lgkmcnt(1)
	v_mul_f64 v[69:70], v[55:56], v[24:25]
	v_mul_f64 v[24:25], v[57:58], v[24:25]
	s_waitcnt vmcnt(9) lgkmcnt(0)
	v_mul_f64 v[91:92], v[2:3], v[28:29]
	v_mul_f64 v[28:29], v[4:5], v[28:29]
	v_add_f64 v[46:47], v[46:47], v[63:64]
	v_add_f64 v[67:68], v[67:68], v[65:66]
	ds_load_b128 v[63:66], v1 offset:1216
	v_fma_f64 v[57:58], v[57:58], v[22:23], v[69:70]
	v_fma_f64 v[55:56], v[55:56], v[22:23], -v[24:25]
	scratch_load_b128 v[22:25], off, off offset:368
	v_add_f64 v[46:47], v[46:47], v[89:90]
	v_add_f64 v[67:68], v[67:68], v[85:86]
	v_fma_f64 v[85:86], v[4:5], v[26:27], v[91:92]
	v_fma_f64 v[89:90], v[2:3], v[26:27], -v[28:29]
	scratch_load_b128 v[26:29], off, off offset:384
	ds_load_b128 v[2:5], v1 offset:1232
	s_waitcnt vmcnt(10) lgkmcnt(1)
	v_mul_f64 v[69:70], v[63:64], v[32:33]
	v_mul_f64 v[32:33], v[65:66], v[32:33]
	s_waitcnt vmcnt(9) lgkmcnt(0)
	v_mul_f64 v[91:92], v[2:3], v[36:37]
	v_mul_f64 v[36:37], v[4:5], v[36:37]
	v_add_f64 v[46:47], v[46:47], v[55:56]
	v_add_f64 v[67:68], v[67:68], v[57:58]
	ds_load_b128 v[55:58], v1 offset:1248
	v_fma_f64 v[65:66], v[65:66], v[30:31], v[69:70]
	v_fma_f64 v[63:64], v[63:64], v[30:31], -v[32:33]
	scratch_load_b128 v[30:33], off, off offset:400
	v_add_f64 v[46:47], v[46:47], v[89:90]
	v_add_f64 v[67:68], v[67:68], v[85:86]
	v_fma_f64 v[89:90], v[4:5], v[34:35], v[91:92]
	v_fma_f64 v[91:92], v[2:3], v[34:35], -v[36:37]
	scratch_load_b128 v[34:37], off, off offset:416
	ds_load_b128 v[2:5], v1 offset:1264
	s_waitcnt vmcnt(9) lgkmcnt(1)
	v_mul_f64 v[69:70], v[55:56], v[61:62]
	v_mul_f64 v[85:86], v[57:58], v[61:62]
	v_add_f64 v[46:47], v[46:47], v[63:64]
	v_add_f64 v[65:66], v[67:68], v[65:66]
	ds_load_b128 v[61:64], v1 offset:1280
	v_fma_f64 v[69:70], v[57:58], v[59:60], v[69:70]
	v_fma_f64 v[59:60], v[55:56], v[59:60], -v[85:86]
	scratch_load_b128 v[55:58], off, off offset:432
	s_waitcnt vmcnt(9) lgkmcnt(1)
	v_mul_f64 v[67:68], v[2:3], v[40:41]
	v_mul_f64 v[40:41], v[4:5], v[40:41]
	v_add_f64 v[46:47], v[46:47], v[91:92]
	v_add_f64 v[65:66], v[65:66], v[89:90]
	s_delay_alu instid0(VALU_DEP_4) | instskip(NEXT) | instid1(VALU_DEP_4)
	v_fma_f64 v[89:90], v[4:5], v[38:39], v[67:68]
	v_fma_f64 v[91:92], v[2:3], v[38:39], -v[40:41]
	scratch_load_b128 v[38:41], off, off offset:448
	ds_load_b128 v[2:5], v1 offset:1296
	s_waitcnt vmcnt(9) lgkmcnt(1)
	v_mul_f64 v[85:86], v[61:62], v[8:9]
	v_mul_f64 v[8:9], v[63:64], v[8:9]
	v_add_f64 v[46:47], v[46:47], v[59:60]
	v_add_f64 v[59:60], v[65:66], v[69:70]
	s_waitcnt vmcnt(8) lgkmcnt(0)
	v_mul_f64 v[69:70], v[2:3], v[12:13]
	v_mul_f64 v[12:13], v[4:5], v[12:13]
	ds_load_b128 v[65:68], v1 offset:1312
	v_fma_f64 v[63:64], v[63:64], v[6:7], v[85:86]
	v_fma_f64 v[61:62], v[61:62], v[6:7], -v[8:9]
	scratch_load_b128 v[6:9], off, off offset:464
	v_add_f64 v[46:47], v[46:47], v[91:92]
	v_add_f64 v[59:60], v[59:60], v[89:90]
	v_fma_f64 v[69:70], v[4:5], v[10:11], v[69:70]
	v_fma_f64 v[89:90], v[2:3], v[10:11], -v[12:13]
	scratch_load_b128 v[10:13], off, off offset:480
	ds_load_b128 v[2:5], v1 offset:1328
	s_waitcnt vmcnt(9) lgkmcnt(1)
	v_mul_f64 v[85:86], v[65:66], v[16:17]
	v_mul_f64 v[16:17], v[67:68], v[16:17]
	s_waitcnt vmcnt(8) lgkmcnt(0)
	v_mul_f64 v[91:92], v[2:3], v[20:21]
	v_mul_f64 v[20:21], v[4:5], v[20:21]
	v_add_f64 v[46:47], v[46:47], v[61:62]
	v_add_f64 v[63:64], v[59:60], v[63:64]
	ds_load_b128 v[59:62], v1 offset:1344
	v_fma_f64 v[67:68], v[67:68], v[14:15], v[85:86]
	v_fma_f64 v[65:66], v[65:66], v[14:15], -v[16:17]
	scratch_load_b128 v[14:17], off, off offset:496
	v_fma_f64 v[85:86], v[4:5], v[18:19], v[91:92]
	v_add_f64 v[46:47], v[46:47], v[89:90]
	v_add_f64 v[63:64], v[63:64], v[69:70]
	v_fma_f64 v[89:90], v[2:3], v[18:19], -v[20:21]
	scratch_load_b128 v[18:21], off, off offset:512
	ds_load_b128 v[2:5], v1 offset:1360
	s_waitcnt vmcnt(9) lgkmcnt(1)
	v_mul_f64 v[69:70], v[59:60], v[24:25]
	v_mul_f64 v[24:25], v[61:62], v[24:25]
	s_waitcnt vmcnt(8) lgkmcnt(0)
	v_mul_f64 v[91:92], v[2:3], v[28:29]
	v_mul_f64 v[28:29], v[4:5], v[28:29]
	v_add_f64 v[46:47], v[46:47], v[65:66]
	v_add_f64 v[67:68], v[63:64], v[67:68]
	ds_load_b128 v[63:66], v1 offset:1376
	v_fma_f64 v[61:62], v[61:62], v[22:23], v[69:70]
	v_fma_f64 v[59:60], v[59:60], v[22:23], -v[24:25]
	scratch_load_b128 v[22:25], off, off offset:528
	v_add_f64 v[46:47], v[46:47], v[89:90]
	v_add_f64 v[67:68], v[67:68], v[85:86]
	v_fma_f64 v[85:86], v[4:5], v[26:27], v[91:92]
	v_fma_f64 v[89:90], v[2:3], v[26:27], -v[28:29]
	scratch_load_b128 v[26:29], off, off offset:544
	ds_load_b128 v[2:5], v1 offset:1392
	s_waitcnt vmcnt(9) lgkmcnt(1)
	v_mul_f64 v[69:70], v[63:64], v[32:33]
	v_mul_f64 v[32:33], v[65:66], v[32:33]
	s_waitcnt vmcnt(8) lgkmcnt(0)
	v_mul_f64 v[91:92], v[2:3], v[36:37]
	v_mul_f64 v[36:37], v[4:5], v[36:37]
	v_add_f64 v[46:47], v[46:47], v[59:60]
	v_add_f64 v[67:68], v[67:68], v[61:62]
	ds_load_b128 v[59:62], v1 offset:1408
	v_fma_f64 v[65:66], v[65:66], v[30:31], v[69:70]
	v_fma_f64 v[63:64], v[63:64], v[30:31], -v[32:33]
	scratch_load_b128 v[30:33], off, off offset:560
	v_add_f64 v[46:47], v[46:47], v[89:90]
	v_add_f64 v[67:68], v[67:68], v[85:86]
	v_fma_f64 v[85:86], v[4:5], v[34:35], v[91:92]
	;; [unrolled: 18-line block ×7, first 2 shown]
	v_fma_f64 v[91:92], v[2:3], v[34:35], -v[36:37]
	scratch_load_b128 v[34:37], off, off offset:736
	ds_load_b128 v[2:5], v1 offset:1584
	s_waitcnt vmcnt(9) lgkmcnt(1)
	v_mul_f64 v[69:70], v[63:64], v[57:58]
	v_mul_f64 v[85:86], v[65:66], v[57:58]
	v_add_f64 v[46:47], v[46:47], v[59:60]
	v_add_f64 v[61:62], v[67:68], v[61:62]
	s_waitcnt vmcnt(8) lgkmcnt(0)
	v_mul_f64 v[67:68], v[2:3], v[40:41]
	v_mul_f64 v[40:41], v[4:5], v[40:41]
	ds_load_b128 v[57:60], v1 offset:1600
	v_fma_f64 v[65:66], v[65:66], v[55:56], v[69:70]
	v_fma_f64 v[55:56], v[63:64], v[55:56], -v[85:86]
	v_add_f64 v[46:47], v[46:47], v[91:92]
	v_add_f64 v[69:70], v[61:62], v[89:90]
	scratch_load_b128 v[61:64], off, off offset:752
	v_fma_f64 v[89:90], v[4:5], v[38:39], v[67:68]
	v_fma_f64 v[91:92], v[2:3], v[38:39], -v[40:41]
	scratch_load_b128 v[38:41], off, off offset:768
	ds_load_b128 v[2:5], v1 offset:1616
	s_waitcnt vmcnt(9) lgkmcnt(1)
	v_mul_f64 v[85:86], v[57:58], v[8:9]
	v_mul_f64 v[8:9], v[59:60], v[8:9]
	v_add_f64 v[46:47], v[46:47], v[55:56]
	v_add_f64 v[55:56], v[69:70], v[65:66]
	s_waitcnt vmcnt(8) lgkmcnt(0)
	v_mul_f64 v[69:70], v[2:3], v[12:13]
	v_mul_f64 v[12:13], v[4:5], v[12:13]
	ds_load_b128 v[65:68], v1 offset:1632
	v_fma_f64 v[59:60], v[59:60], v[6:7], v[85:86]
	v_fma_f64 v[57:58], v[57:58], v[6:7], -v[8:9]
	scratch_load_b128 v[6:9], off, off offset:784
	v_add_f64 v[46:47], v[46:47], v[91:92]
	v_add_f64 v[55:56], v[55:56], v[89:90]
	v_fma_f64 v[69:70], v[4:5], v[10:11], v[69:70]
	v_fma_f64 v[89:90], v[2:3], v[10:11], -v[12:13]
	scratch_load_b128 v[10:13], off, off offset:800
	ds_load_b128 v[2:5], v1 offset:1648
	s_waitcnt vmcnt(9) lgkmcnt(1)
	v_mul_f64 v[85:86], v[65:66], v[16:17]
	v_mul_f64 v[16:17], v[67:68], v[16:17]
	s_waitcnt vmcnt(8) lgkmcnt(0)
	v_mul_f64 v[91:92], v[2:3], v[20:21]
	v_mul_f64 v[20:21], v[4:5], v[20:21]
	v_add_f64 v[46:47], v[46:47], v[57:58]
	v_add_f64 v[59:60], v[55:56], v[59:60]
	ds_load_b128 v[55:58], v1 offset:1664
	v_fma_f64 v[67:68], v[67:68], v[14:15], v[85:86]
	v_fma_f64 v[65:66], v[65:66], v[14:15], -v[16:17]
	scratch_load_b128 v[14:17], off, off offset:816
	v_fma_f64 v[85:86], v[4:5], v[18:19], v[91:92]
	v_add_f64 v[46:47], v[46:47], v[89:90]
	v_add_f64 v[59:60], v[59:60], v[69:70]
	v_fma_f64 v[89:90], v[2:3], v[18:19], -v[20:21]
	scratch_load_b128 v[18:21], off, off offset:832
	ds_load_b128 v[2:5], v1 offset:1680
	s_waitcnt vmcnt(9) lgkmcnt(1)
	v_mul_f64 v[69:70], v[55:56], v[24:25]
	v_mul_f64 v[24:25], v[57:58], v[24:25]
	s_waitcnt vmcnt(8) lgkmcnt(0)
	v_mul_f64 v[91:92], v[2:3], v[28:29]
	v_mul_f64 v[28:29], v[4:5], v[28:29]
	v_add_f64 v[46:47], v[46:47], v[65:66]
	v_add_f64 v[59:60], v[59:60], v[67:68]
	ds_load_b128 v[65:68], v1 offset:1696
	v_fma_f64 v[57:58], v[57:58], v[22:23], v[69:70]
	v_fma_f64 v[55:56], v[55:56], v[22:23], -v[24:25]
	scratch_load_b128 v[22:25], off, off offset:848
	v_add_f64 v[46:47], v[46:47], v[89:90]
	v_add_f64 v[59:60], v[59:60], v[85:86]
	v_fma_f64 v[85:86], v[4:5], v[26:27], v[91:92]
	v_fma_f64 v[89:90], v[2:3], v[26:27], -v[28:29]
	scratch_load_b128 v[26:29], off, off offset:864
	ds_load_b128 v[2:5], v1 offset:1712
	s_waitcnt vmcnt(9) lgkmcnt(1)
	v_mul_f64 v[69:70], v[65:66], v[32:33]
	v_mul_f64 v[32:33], v[67:68], v[32:33]
	s_waitcnt vmcnt(8) lgkmcnt(0)
	v_mul_f64 v[91:92], v[2:3], v[36:37]
	v_mul_f64 v[36:37], v[4:5], v[36:37]
	v_add_f64 v[46:47], v[46:47], v[55:56]
	v_add_f64 v[59:60], v[59:60], v[57:58]
	ds_load_b128 v[55:58], v1 offset:1728
	v_fma_f64 v[67:68], v[67:68], v[30:31], v[69:70]
	v_fma_f64 v[65:66], v[65:66], v[30:31], -v[32:33]
	scratch_load_b128 v[30:33], off, off offset:880
	v_add_f64 v[46:47], v[46:47], v[89:90]
	v_add_f64 v[59:60], v[59:60], v[85:86]
	v_fma_f64 v[89:90], v[4:5], v[34:35], v[91:92]
	v_fma_f64 v[91:92], v[2:3], v[34:35], -v[36:37]
	scratch_load_b128 v[34:37], off, off offset:896
	ds_load_b128 v[2:5], v1 offset:1744
	s_waitcnt vmcnt(9) lgkmcnt(1)
	v_mul_f64 v[69:70], v[55:56], v[63:64]
	v_mul_f64 v[85:86], v[57:58], v[63:64]
	v_add_f64 v[46:47], v[46:47], v[65:66]
	v_add_f64 v[59:60], v[59:60], v[67:68]
	s_waitcnt vmcnt(8) lgkmcnt(0)
	v_mul_f64 v[67:68], v[2:3], v[40:41]
	v_mul_f64 v[40:41], v[4:5], v[40:41]
	ds_load_b128 v[63:66], v1 offset:1760
	v_fma_f64 v[69:70], v[57:58], v[61:62], v[69:70]
	v_fma_f64 v[61:62], v[55:56], v[61:62], -v[85:86]
	scratch_load_b128 v[55:58], off, off offset:912
	v_add_f64 v[46:47], v[46:47], v[91:92]
	v_add_f64 v[59:60], v[59:60], v[89:90]
	v_fma_f64 v[67:68], v[4:5], v[38:39], v[67:68]
	v_fma_f64 v[89:90], v[2:3], v[38:39], -v[40:41]
	scratch_load_b128 v[38:41], off, off offset:928
	ds_load_b128 v[2:5], v1 offset:1776
	s_waitcnt vmcnt(9) lgkmcnt(1)
	v_mul_f64 v[85:86], v[63:64], v[8:9]
	v_mul_f64 v[8:9], v[65:66], v[8:9]
	s_waitcnt vmcnt(8) lgkmcnt(0)
	v_mul_f64 v[91:92], v[2:3], v[12:13]
	v_mul_f64 v[12:13], v[4:5], v[12:13]
	v_add_f64 v[46:47], v[46:47], v[61:62]
	v_add_f64 v[69:70], v[59:60], v[69:70]
	ds_load_b128 v[59:62], v1 offset:1792
	v_fma_f64 v[65:66], v[65:66], v[6:7], v[85:86]
	v_fma_f64 v[63:64], v[63:64], v[6:7], -v[8:9]
	scratch_load_b128 v[6:9], off, off offset:944
	v_fma_f64 v[85:86], v[4:5], v[10:11], v[91:92]
	v_add_f64 v[46:47], v[46:47], v[89:90]
	v_add_f64 v[67:68], v[69:70], v[67:68]
	v_fma_f64 v[89:90], v[2:3], v[10:11], -v[12:13]
	scratch_load_b128 v[10:13], off, off offset:960
	ds_load_b128 v[2:5], v1 offset:1808
	s_waitcnt vmcnt(9) lgkmcnt(1)
	v_mul_f64 v[69:70], v[59:60], v[16:17]
	v_mul_f64 v[16:17], v[61:62], v[16:17]
	s_waitcnt vmcnt(8) lgkmcnt(0)
	v_mul_f64 v[91:92], v[2:3], v[20:21]
	v_mul_f64 v[20:21], v[4:5], v[20:21]
	v_add_f64 v[46:47], v[46:47], v[63:64]
	v_add_f64 v[67:68], v[67:68], v[65:66]
	ds_load_b128 v[63:66], v1 offset:1824
	v_fma_f64 v[61:62], v[61:62], v[14:15], v[69:70]
	v_fma_f64 v[14:15], v[59:60], v[14:15], -v[16:17]
	s_waitcnt vmcnt(7) lgkmcnt(0)
	v_mul_f64 v[59:60], v[63:64], v[24:25]
	v_mul_f64 v[24:25], v[65:66], v[24:25]
	v_add_f64 v[16:17], v[46:47], v[89:90]
	v_add_f64 v[46:47], v[67:68], v[85:86]
	v_fma_f64 v[67:68], v[4:5], v[18:19], v[91:92]
	v_fma_f64 v[18:19], v[2:3], v[18:19], -v[20:21]
	v_fma_f64 v[59:60], v[65:66], v[22:23], v[59:60]
	v_fma_f64 v[22:23], v[63:64], v[22:23], -v[24:25]
	v_add_f64 v[20:21], v[16:17], v[14:15]
	v_add_f64 v[46:47], v[46:47], v[61:62]
	ds_load_b128 v[2:5], v1 offset:1840
	ds_load_b128 v[14:17], v1 offset:1856
	s_waitcnt vmcnt(6) lgkmcnt(1)
	v_mul_f64 v[61:62], v[2:3], v[28:29]
	v_mul_f64 v[28:29], v[4:5], v[28:29]
	s_waitcnt vmcnt(5) lgkmcnt(0)
	v_mul_f64 v[24:25], v[14:15], v[32:33]
	v_mul_f64 v[32:33], v[16:17], v[32:33]
	v_add_f64 v[18:19], v[20:21], v[18:19]
	v_add_f64 v[20:21], v[46:47], v[67:68]
	v_fma_f64 v[46:47], v[4:5], v[26:27], v[61:62]
	v_fma_f64 v[26:27], v[2:3], v[26:27], -v[28:29]
	v_fma_f64 v[16:17], v[16:17], v[30:31], v[24:25]
	v_fma_f64 v[14:15], v[14:15], v[30:31], -v[32:33]
	v_add_f64 v[22:23], v[18:19], v[22:23]
	v_add_f64 v[28:29], v[20:21], v[59:60]
	ds_load_b128 v[2:5], v1 offset:1872
	ds_load_b128 v[18:21], v1 offset:1888
	s_waitcnt vmcnt(4) lgkmcnt(1)
	v_mul_f64 v[59:60], v[2:3], v[36:37]
	v_mul_f64 v[36:37], v[4:5], v[36:37]
	v_add_f64 v[22:23], v[22:23], v[26:27]
	v_add_f64 v[24:25], v[28:29], v[46:47]
	s_waitcnt vmcnt(3) lgkmcnt(0)
	v_mul_f64 v[26:27], v[18:19], v[57:58]
	v_mul_f64 v[28:29], v[20:21], v[57:58]
	v_fma_f64 v[30:31], v[4:5], v[34:35], v[59:60]
	v_fma_f64 v[32:33], v[2:3], v[34:35], -v[36:37]
	v_add_f64 v[22:23], v[22:23], v[14:15]
	v_add_f64 v[24:25], v[24:25], v[16:17]
	ds_load_b128 v[2:5], v1 offset:1904
	ds_load_b128 v[14:17], v1 offset:1920
	v_fma_f64 v[20:21], v[20:21], v[55:56], v[26:27]
	v_fma_f64 v[18:19], v[18:19], v[55:56], -v[28:29]
	s_waitcnt vmcnt(2) lgkmcnt(1)
	v_mul_f64 v[34:35], v[2:3], v[40:41]
	v_mul_f64 v[36:37], v[4:5], v[40:41]
	s_waitcnt vmcnt(1) lgkmcnt(0)
	v_mul_f64 v[26:27], v[14:15], v[8:9]
	v_mul_f64 v[8:9], v[16:17], v[8:9]
	v_add_f64 v[22:23], v[22:23], v[32:33]
	v_add_f64 v[24:25], v[24:25], v[30:31]
	v_fma_f64 v[28:29], v[4:5], v[38:39], v[34:35]
	v_fma_f64 v[30:31], v[2:3], v[38:39], -v[36:37]
	ds_load_b128 v[2:5], v1 offset:1936
	v_fma_f64 v[16:17], v[16:17], v[6:7], v[26:27]
	v_fma_f64 v[6:7], v[14:15], v[6:7], -v[8:9]
	v_add_f64 v[18:19], v[22:23], v[18:19]
	v_add_f64 v[20:21], v[24:25], v[20:21]
	s_waitcnt vmcnt(0) lgkmcnt(0)
	v_mul_f64 v[22:23], v[2:3], v[12:13]
	v_mul_f64 v[12:13], v[4:5], v[12:13]
	s_delay_alu instid0(VALU_DEP_4) | instskip(NEXT) | instid1(VALU_DEP_4)
	v_add_f64 v[8:9], v[18:19], v[30:31]
	v_add_f64 v[14:15], v[20:21], v[28:29]
	s_delay_alu instid0(VALU_DEP_4) | instskip(NEXT) | instid1(VALU_DEP_4)
	v_fma_f64 v[4:5], v[4:5], v[10:11], v[22:23]
	v_fma_f64 v[2:3], v[2:3], v[10:11], -v[12:13]
	s_delay_alu instid0(VALU_DEP_4) | instskip(NEXT) | instid1(VALU_DEP_4)
	v_add_f64 v[6:7], v[8:9], v[6:7]
	v_add_f64 v[8:9], v[14:15], v[16:17]
	s_delay_alu instid0(VALU_DEP_2) | instskip(NEXT) | instid1(VALU_DEP_2)
	v_add_f64 v[2:3], v[6:7], v[2:3]
	v_add_f64 v[4:5], v[8:9], v[4:5]
	s_delay_alu instid0(VALU_DEP_2) | instskip(NEXT) | instid1(VALU_DEP_2)
	v_add_f64 v[2:3], v[42:43], -v[2:3]
	v_add_f64 v[4:5], v[44:45], -v[4:5]
	scratch_store_b128 off, v[2:5], off offset:112
	v_cmpx_lt_u32_e32 6, v171
	s_cbranch_execz .LBB60_379
; %bb.378:
	scratch_load_b128 v[5:8], v217, off
	v_mov_b32_e32 v2, v1
	v_mov_b32_e32 v3, v1
	;; [unrolled: 1-line block ×3, first 2 shown]
	scratch_store_b128 off, v[1:4], off offset:96
	s_waitcnt vmcnt(0)
	ds_store_b128 v229, v[5:8]
.LBB60_379:
	s_or_b32 exec_lo, exec_lo, s2
	s_waitcnt lgkmcnt(0)
	s_waitcnt_vscnt null, 0x0
	s_barrier
	buffer_gl0_inv
	s_clause 0x8
	scratch_load_b128 v[2:5], off, off offset:112
	scratch_load_b128 v[6:9], off, off offset:128
	scratch_load_b128 v[10:13], off, off offset:144
	scratch_load_b128 v[14:17], off, off offset:160
	scratch_load_b128 v[18:21], off, off offset:176
	scratch_load_b128 v[22:25], off, off offset:192
	scratch_load_b128 v[26:29], off, off offset:208
	scratch_load_b128 v[30:33], off, off offset:224
	scratch_load_b128 v[34:37], off, off offset:240
	ds_load_b128 v[42:45], v1 offset:1088
	ds_load_b128 v[38:41], v1 offset:1104
	s_clause 0x1
	scratch_load_b128 v[55:58], off, off offset:96
	scratch_load_b128 v[59:62], off, off offset:256
	s_mov_b32 s2, exec_lo
	ds_load_b128 v[63:66], v1 offset:1136
	s_waitcnt vmcnt(10) lgkmcnt(2)
	v_mul_f64 v[46:47], v[44:45], v[4:5]
	v_mul_f64 v[4:5], v[42:43], v[4:5]
	s_waitcnt vmcnt(9) lgkmcnt(1)
	v_mul_f64 v[67:68], v[38:39], v[8:9]
	v_mul_f64 v[8:9], v[40:41], v[8:9]
	s_delay_alu instid0(VALU_DEP_4) | instskip(NEXT) | instid1(VALU_DEP_4)
	v_fma_f64 v[46:47], v[42:43], v[2:3], -v[46:47]
	v_fma_f64 v[69:70], v[44:45], v[2:3], v[4:5]
	ds_load_b128 v[2:5], v1 offset:1120
	scratch_load_b128 v[42:45], off, off offset:272
	v_fma_f64 v[40:41], v[40:41], v[6:7], v[67:68]
	v_fma_f64 v[38:39], v[38:39], v[6:7], -v[8:9]
	scratch_load_b128 v[6:9], off, off offset:288
	s_waitcnt vmcnt(10) lgkmcnt(0)
	v_mul_f64 v[85:86], v[2:3], v[12:13]
	v_mul_f64 v[12:13], v[4:5], v[12:13]
	v_add_f64 v[46:47], v[46:47], 0
	v_add_f64 v[67:68], v[69:70], 0
	s_waitcnt vmcnt(9)
	v_mul_f64 v[69:70], v[63:64], v[16:17]
	v_mul_f64 v[16:17], v[65:66], v[16:17]
	v_fma_f64 v[85:86], v[4:5], v[10:11], v[85:86]
	v_fma_f64 v[89:90], v[2:3], v[10:11], -v[12:13]
	ds_load_b128 v[2:5], v1 offset:1152
	scratch_load_b128 v[10:13], off, off offset:304
	v_add_f64 v[46:47], v[46:47], v[38:39]
	v_add_f64 v[67:68], v[67:68], v[40:41]
	ds_load_b128 v[38:41], v1 offset:1168
	v_fma_f64 v[65:66], v[65:66], v[14:15], v[69:70]
	v_fma_f64 v[63:64], v[63:64], v[14:15], -v[16:17]
	scratch_load_b128 v[14:17], off, off offset:320
	s_waitcnt vmcnt(10) lgkmcnt(1)
	v_mul_f64 v[91:92], v[2:3], v[20:21]
	v_mul_f64 v[20:21], v[4:5], v[20:21]
	s_waitcnt vmcnt(9) lgkmcnt(0)
	v_mul_f64 v[69:70], v[38:39], v[24:25]
	v_mul_f64 v[24:25], v[40:41], v[24:25]
	v_add_f64 v[46:47], v[46:47], v[89:90]
	v_add_f64 v[67:68], v[67:68], v[85:86]
	v_fma_f64 v[85:86], v[4:5], v[18:19], v[91:92]
	v_fma_f64 v[89:90], v[2:3], v[18:19], -v[20:21]
	ds_load_b128 v[2:5], v1 offset:1184
	scratch_load_b128 v[18:21], off, off offset:336
	v_fma_f64 v[40:41], v[40:41], v[22:23], v[69:70]
	v_fma_f64 v[38:39], v[38:39], v[22:23], -v[24:25]
	scratch_load_b128 v[22:25], off, off offset:352
	v_add_f64 v[46:47], v[46:47], v[63:64]
	v_add_f64 v[67:68], v[67:68], v[65:66]
	ds_load_b128 v[63:66], v1 offset:1200
	s_waitcnt vmcnt(10) lgkmcnt(1)
	v_mul_f64 v[91:92], v[2:3], v[28:29]
	v_mul_f64 v[28:29], v[4:5], v[28:29]
	s_waitcnt vmcnt(9) lgkmcnt(0)
	v_mul_f64 v[69:70], v[63:64], v[32:33]
	v_mul_f64 v[32:33], v[65:66], v[32:33]
	v_add_f64 v[46:47], v[46:47], v[89:90]
	v_add_f64 v[67:68], v[67:68], v[85:86]
	v_fma_f64 v[85:86], v[4:5], v[26:27], v[91:92]
	v_fma_f64 v[89:90], v[2:3], v[26:27], -v[28:29]
	ds_load_b128 v[2:5], v1 offset:1216
	scratch_load_b128 v[26:29], off, off offset:368
	v_fma_f64 v[65:66], v[65:66], v[30:31], v[69:70]
	v_fma_f64 v[63:64], v[63:64], v[30:31], -v[32:33]
	scratch_load_b128 v[30:33], off, off offset:384
	v_add_f64 v[46:47], v[46:47], v[38:39]
	v_add_f64 v[67:68], v[67:68], v[40:41]
	ds_load_b128 v[38:41], v1 offset:1232
	s_waitcnt vmcnt(10) lgkmcnt(1)
	v_mul_f64 v[91:92], v[2:3], v[36:37]
	v_mul_f64 v[36:37], v[4:5], v[36:37]
	s_waitcnt vmcnt(8) lgkmcnt(0)
	v_mul_f64 v[69:70], v[38:39], v[61:62]
	v_add_f64 v[46:47], v[46:47], v[89:90]
	v_add_f64 v[67:68], v[67:68], v[85:86]
	v_mul_f64 v[85:86], v[40:41], v[61:62]
	v_fma_f64 v[89:90], v[4:5], v[34:35], v[91:92]
	v_fma_f64 v[91:92], v[2:3], v[34:35], -v[36:37]
	ds_load_b128 v[2:5], v1 offset:1248
	scratch_load_b128 v[34:37], off, off offset:400
	v_fma_f64 v[69:70], v[40:41], v[59:60], v[69:70]
	v_add_f64 v[46:47], v[46:47], v[63:64]
	v_add_f64 v[65:66], v[67:68], v[65:66]
	ds_load_b128 v[61:64], v1 offset:1264
	v_fma_f64 v[59:60], v[38:39], v[59:60], -v[85:86]
	scratch_load_b128 v[38:41], off, off offset:416
	s_waitcnt vmcnt(9) lgkmcnt(1)
	v_mul_f64 v[67:68], v[2:3], v[44:45]
	v_mul_f64 v[44:45], v[4:5], v[44:45]
	s_waitcnt vmcnt(8) lgkmcnt(0)
	v_mul_f64 v[85:86], v[61:62], v[8:9]
	v_mul_f64 v[8:9], v[63:64], v[8:9]
	v_add_f64 v[46:47], v[46:47], v[91:92]
	v_add_f64 v[65:66], v[65:66], v[89:90]
	v_fma_f64 v[89:90], v[4:5], v[42:43], v[67:68]
	v_fma_f64 v[91:92], v[2:3], v[42:43], -v[44:45]
	ds_load_b128 v[2:5], v1 offset:1280
	scratch_load_b128 v[42:45], off, off offset:432
	v_fma_f64 v[63:64], v[63:64], v[6:7], v[85:86]
	v_fma_f64 v[61:62], v[61:62], v[6:7], -v[8:9]
	scratch_load_b128 v[6:9], off, off offset:448
	v_add_f64 v[46:47], v[46:47], v[59:60]
	v_add_f64 v[59:60], v[65:66], v[69:70]
	ds_load_b128 v[65:68], v1 offset:1296
	s_waitcnt vmcnt(9) lgkmcnt(1)
	v_mul_f64 v[69:70], v[2:3], v[12:13]
	v_mul_f64 v[12:13], v[4:5], v[12:13]
	s_waitcnt vmcnt(8) lgkmcnt(0)
	v_mul_f64 v[85:86], v[65:66], v[16:17]
	v_mul_f64 v[16:17], v[67:68], v[16:17]
	v_add_f64 v[46:47], v[46:47], v[91:92]
	v_add_f64 v[59:60], v[59:60], v[89:90]
	v_fma_f64 v[69:70], v[4:5], v[10:11], v[69:70]
	v_fma_f64 v[89:90], v[2:3], v[10:11], -v[12:13]
	ds_load_b128 v[2:5], v1 offset:1312
	scratch_load_b128 v[10:13], off, off offset:464
	v_fma_f64 v[67:68], v[67:68], v[14:15], v[85:86]
	v_fma_f64 v[65:66], v[65:66], v[14:15], -v[16:17]
	scratch_load_b128 v[14:17], off, off offset:480
	v_add_f64 v[46:47], v[46:47], v[61:62]
	v_add_f64 v[63:64], v[59:60], v[63:64]
	ds_load_b128 v[59:62], v1 offset:1328
	s_waitcnt vmcnt(9) lgkmcnt(1)
	v_mul_f64 v[91:92], v[2:3], v[20:21]
	v_mul_f64 v[20:21], v[4:5], v[20:21]
	v_add_f64 v[46:47], v[46:47], v[89:90]
	v_add_f64 v[63:64], v[63:64], v[69:70]
	s_waitcnt vmcnt(8) lgkmcnt(0)
	v_mul_f64 v[69:70], v[59:60], v[24:25]
	v_mul_f64 v[24:25], v[61:62], v[24:25]
	v_fma_f64 v[85:86], v[4:5], v[18:19], v[91:92]
	v_fma_f64 v[89:90], v[2:3], v[18:19], -v[20:21]
	ds_load_b128 v[2:5], v1 offset:1344
	scratch_load_b128 v[18:21], off, off offset:496
	v_add_f64 v[46:47], v[46:47], v[65:66]
	v_add_f64 v[67:68], v[63:64], v[67:68]
	ds_load_b128 v[63:66], v1 offset:1360
	s_waitcnt vmcnt(8) lgkmcnt(1)
	v_mul_f64 v[91:92], v[2:3], v[28:29]
	v_mul_f64 v[28:29], v[4:5], v[28:29]
	v_fma_f64 v[61:62], v[61:62], v[22:23], v[69:70]
	v_fma_f64 v[59:60], v[59:60], v[22:23], -v[24:25]
	scratch_load_b128 v[22:25], off, off offset:512
	s_waitcnt vmcnt(8) lgkmcnt(0)
	v_mul_f64 v[69:70], v[63:64], v[32:33]
	v_mul_f64 v[32:33], v[65:66], v[32:33]
	v_add_f64 v[46:47], v[46:47], v[89:90]
	v_add_f64 v[67:68], v[67:68], v[85:86]
	v_fma_f64 v[85:86], v[4:5], v[26:27], v[91:92]
	v_fma_f64 v[89:90], v[2:3], v[26:27], -v[28:29]
	ds_load_b128 v[2:5], v1 offset:1376
	scratch_load_b128 v[26:29], off, off offset:528
	v_fma_f64 v[65:66], v[65:66], v[30:31], v[69:70]
	v_fma_f64 v[63:64], v[63:64], v[30:31], -v[32:33]
	scratch_load_b128 v[30:33], off, off offset:544
	v_add_f64 v[46:47], v[46:47], v[59:60]
	v_add_f64 v[67:68], v[67:68], v[61:62]
	ds_load_b128 v[59:62], v1 offset:1392
	s_waitcnt vmcnt(9) lgkmcnt(1)
	v_mul_f64 v[91:92], v[2:3], v[36:37]
	v_mul_f64 v[36:37], v[4:5], v[36:37]
	s_waitcnt vmcnt(8) lgkmcnt(0)
	v_mul_f64 v[69:70], v[59:60], v[40:41]
	v_mul_f64 v[40:41], v[61:62], v[40:41]
	v_add_f64 v[46:47], v[46:47], v[89:90]
	v_add_f64 v[67:68], v[67:68], v[85:86]
	v_fma_f64 v[85:86], v[4:5], v[34:35], v[91:92]
	v_fma_f64 v[89:90], v[2:3], v[34:35], -v[36:37]
	ds_load_b128 v[2:5], v1 offset:1408
	scratch_load_b128 v[34:37], off, off offset:560
	v_fma_f64 v[61:62], v[61:62], v[38:39], v[69:70]
	v_fma_f64 v[59:60], v[59:60], v[38:39], -v[40:41]
	scratch_load_b128 v[38:41], off, off offset:576
	v_add_f64 v[46:47], v[46:47], v[63:64]
	v_add_f64 v[67:68], v[67:68], v[65:66]
	ds_load_b128 v[63:66], v1 offset:1424
	s_waitcnt vmcnt(9) lgkmcnt(1)
	v_mul_f64 v[91:92], v[2:3], v[44:45]
	v_mul_f64 v[44:45], v[4:5], v[44:45]
	s_waitcnt vmcnt(8) lgkmcnt(0)
	v_mul_f64 v[69:70], v[63:64], v[8:9]
	v_mul_f64 v[8:9], v[65:66], v[8:9]
	v_add_f64 v[46:47], v[46:47], v[89:90]
	v_add_f64 v[67:68], v[67:68], v[85:86]
	v_fma_f64 v[85:86], v[4:5], v[42:43], v[91:92]
	v_fma_f64 v[89:90], v[2:3], v[42:43], -v[44:45]
	ds_load_b128 v[2:5], v1 offset:1440
	scratch_load_b128 v[42:45], off, off offset:592
	v_fma_f64 v[65:66], v[65:66], v[6:7], v[69:70]
	v_fma_f64 v[63:64], v[63:64], v[6:7], -v[8:9]
	scratch_load_b128 v[6:9], off, off offset:608
	v_add_f64 v[46:47], v[46:47], v[59:60]
	v_add_f64 v[67:68], v[67:68], v[61:62]
	ds_load_b128 v[59:62], v1 offset:1456
	s_waitcnt vmcnt(9) lgkmcnt(1)
	v_mul_f64 v[91:92], v[2:3], v[12:13]
	v_mul_f64 v[12:13], v[4:5], v[12:13]
	s_waitcnt vmcnt(8) lgkmcnt(0)
	v_mul_f64 v[69:70], v[59:60], v[16:17]
	v_mul_f64 v[16:17], v[61:62], v[16:17]
	v_add_f64 v[46:47], v[46:47], v[89:90]
	v_add_f64 v[67:68], v[67:68], v[85:86]
	v_fma_f64 v[85:86], v[4:5], v[10:11], v[91:92]
	v_fma_f64 v[89:90], v[2:3], v[10:11], -v[12:13]
	ds_load_b128 v[2:5], v1 offset:1472
	scratch_load_b128 v[10:13], off, off offset:624
	v_fma_f64 v[61:62], v[61:62], v[14:15], v[69:70]
	v_fma_f64 v[59:60], v[59:60], v[14:15], -v[16:17]
	scratch_load_b128 v[14:17], off, off offset:640
	v_add_f64 v[46:47], v[46:47], v[63:64]
	v_add_f64 v[67:68], v[67:68], v[65:66]
	ds_load_b128 v[63:66], v1 offset:1488
	s_waitcnt vmcnt(9) lgkmcnt(1)
	v_mul_f64 v[91:92], v[2:3], v[20:21]
	v_mul_f64 v[20:21], v[4:5], v[20:21]
	s_waitcnt vmcnt(8) lgkmcnt(0)
	v_mul_f64 v[69:70], v[63:64], v[24:25]
	v_mul_f64 v[24:25], v[65:66], v[24:25]
	v_add_f64 v[46:47], v[46:47], v[89:90]
	v_add_f64 v[67:68], v[67:68], v[85:86]
	v_fma_f64 v[85:86], v[4:5], v[18:19], v[91:92]
	v_fma_f64 v[89:90], v[2:3], v[18:19], -v[20:21]
	ds_load_b128 v[2:5], v1 offset:1504
	scratch_load_b128 v[18:21], off, off offset:656
	v_fma_f64 v[65:66], v[65:66], v[22:23], v[69:70]
	v_fma_f64 v[63:64], v[63:64], v[22:23], -v[24:25]
	scratch_load_b128 v[22:25], off, off offset:672
	v_add_f64 v[46:47], v[46:47], v[59:60]
	v_add_f64 v[67:68], v[67:68], v[61:62]
	ds_load_b128 v[59:62], v1 offset:1520
	s_waitcnt vmcnt(9) lgkmcnt(1)
	v_mul_f64 v[91:92], v[2:3], v[28:29]
	v_mul_f64 v[28:29], v[4:5], v[28:29]
	s_waitcnt vmcnt(8) lgkmcnt(0)
	v_mul_f64 v[69:70], v[59:60], v[32:33]
	v_mul_f64 v[32:33], v[61:62], v[32:33]
	v_add_f64 v[46:47], v[46:47], v[89:90]
	v_add_f64 v[67:68], v[67:68], v[85:86]
	v_fma_f64 v[85:86], v[4:5], v[26:27], v[91:92]
	v_fma_f64 v[89:90], v[2:3], v[26:27], -v[28:29]
	ds_load_b128 v[2:5], v1 offset:1536
	scratch_load_b128 v[26:29], off, off offset:688
	v_fma_f64 v[61:62], v[61:62], v[30:31], v[69:70]
	v_fma_f64 v[59:60], v[59:60], v[30:31], -v[32:33]
	scratch_load_b128 v[30:33], off, off offset:704
	v_add_f64 v[46:47], v[46:47], v[63:64]
	v_add_f64 v[67:68], v[67:68], v[65:66]
	ds_load_b128 v[63:66], v1 offset:1552
	s_waitcnt vmcnt(9) lgkmcnt(1)
	v_mul_f64 v[91:92], v[2:3], v[36:37]
	v_mul_f64 v[36:37], v[4:5], v[36:37]
	s_waitcnt vmcnt(8) lgkmcnt(0)
	v_mul_f64 v[69:70], v[63:64], v[40:41]
	v_mul_f64 v[40:41], v[65:66], v[40:41]
	v_add_f64 v[46:47], v[46:47], v[89:90]
	v_add_f64 v[67:68], v[67:68], v[85:86]
	v_fma_f64 v[85:86], v[4:5], v[34:35], v[91:92]
	v_fma_f64 v[89:90], v[2:3], v[34:35], -v[36:37]
	ds_load_b128 v[2:5], v1 offset:1568
	scratch_load_b128 v[34:37], off, off offset:720
	v_fma_f64 v[65:66], v[65:66], v[38:39], v[69:70]
	v_fma_f64 v[63:64], v[63:64], v[38:39], -v[40:41]
	scratch_load_b128 v[38:41], off, off offset:736
	v_add_f64 v[46:47], v[46:47], v[59:60]
	v_add_f64 v[67:68], v[67:68], v[61:62]
	ds_load_b128 v[59:62], v1 offset:1584
	s_waitcnt vmcnt(9) lgkmcnt(1)
	v_mul_f64 v[91:92], v[2:3], v[44:45]
	v_mul_f64 v[44:45], v[4:5], v[44:45]
	s_waitcnt vmcnt(8) lgkmcnt(0)
	v_mul_f64 v[69:70], v[59:60], v[8:9]
	v_mul_f64 v[8:9], v[61:62], v[8:9]
	v_add_f64 v[46:47], v[46:47], v[89:90]
	v_add_f64 v[67:68], v[67:68], v[85:86]
	v_fma_f64 v[85:86], v[4:5], v[42:43], v[91:92]
	v_fma_f64 v[89:90], v[2:3], v[42:43], -v[44:45]
	ds_load_b128 v[2:5], v1 offset:1600
	scratch_load_b128 v[42:45], off, off offset:752
	v_fma_f64 v[61:62], v[61:62], v[6:7], v[69:70]
	v_fma_f64 v[59:60], v[59:60], v[6:7], -v[8:9]
	scratch_load_b128 v[6:9], off, off offset:768
	v_add_f64 v[46:47], v[46:47], v[63:64]
	v_add_f64 v[67:68], v[67:68], v[65:66]
	ds_load_b128 v[63:66], v1 offset:1616
	s_waitcnt vmcnt(9) lgkmcnt(1)
	v_mul_f64 v[91:92], v[2:3], v[12:13]
	v_mul_f64 v[12:13], v[4:5], v[12:13]
	s_waitcnt vmcnt(8) lgkmcnt(0)
	v_mul_f64 v[69:70], v[63:64], v[16:17]
	v_mul_f64 v[16:17], v[65:66], v[16:17]
	v_add_f64 v[46:47], v[46:47], v[89:90]
	v_add_f64 v[67:68], v[67:68], v[85:86]
	v_fma_f64 v[85:86], v[4:5], v[10:11], v[91:92]
	v_fma_f64 v[89:90], v[2:3], v[10:11], -v[12:13]
	ds_load_b128 v[2:5], v1 offset:1632
	scratch_load_b128 v[10:13], off, off offset:784
	v_fma_f64 v[65:66], v[65:66], v[14:15], v[69:70]
	v_fma_f64 v[63:64], v[63:64], v[14:15], -v[16:17]
	scratch_load_b128 v[14:17], off, off offset:800
	v_add_f64 v[46:47], v[46:47], v[59:60]
	v_add_f64 v[67:68], v[67:68], v[61:62]
	ds_load_b128 v[59:62], v1 offset:1648
	s_waitcnt vmcnt(9) lgkmcnt(1)
	v_mul_f64 v[91:92], v[2:3], v[20:21]
	v_mul_f64 v[20:21], v[4:5], v[20:21]
	s_waitcnt vmcnt(8) lgkmcnt(0)
	v_mul_f64 v[69:70], v[59:60], v[24:25]
	v_mul_f64 v[24:25], v[61:62], v[24:25]
	v_add_f64 v[46:47], v[46:47], v[89:90]
	v_add_f64 v[67:68], v[67:68], v[85:86]
	v_fma_f64 v[85:86], v[4:5], v[18:19], v[91:92]
	v_fma_f64 v[89:90], v[2:3], v[18:19], -v[20:21]
	ds_load_b128 v[2:5], v1 offset:1664
	scratch_load_b128 v[18:21], off, off offset:816
	v_fma_f64 v[61:62], v[61:62], v[22:23], v[69:70]
	v_fma_f64 v[59:60], v[59:60], v[22:23], -v[24:25]
	scratch_load_b128 v[22:25], off, off offset:832
	v_add_f64 v[46:47], v[46:47], v[63:64]
	v_add_f64 v[67:68], v[67:68], v[65:66]
	ds_load_b128 v[63:66], v1 offset:1680
	s_waitcnt vmcnt(9) lgkmcnt(1)
	v_mul_f64 v[91:92], v[2:3], v[28:29]
	v_mul_f64 v[28:29], v[4:5], v[28:29]
	s_waitcnt vmcnt(8) lgkmcnt(0)
	v_mul_f64 v[69:70], v[63:64], v[32:33]
	v_mul_f64 v[32:33], v[65:66], v[32:33]
	v_add_f64 v[46:47], v[46:47], v[89:90]
	v_add_f64 v[67:68], v[67:68], v[85:86]
	v_fma_f64 v[85:86], v[4:5], v[26:27], v[91:92]
	v_fma_f64 v[89:90], v[2:3], v[26:27], -v[28:29]
	ds_load_b128 v[2:5], v1 offset:1696
	scratch_load_b128 v[26:29], off, off offset:848
	v_fma_f64 v[65:66], v[65:66], v[30:31], v[69:70]
	v_fma_f64 v[63:64], v[63:64], v[30:31], -v[32:33]
	scratch_load_b128 v[30:33], off, off offset:864
	v_add_f64 v[46:47], v[46:47], v[59:60]
	v_add_f64 v[67:68], v[67:68], v[61:62]
	ds_load_b128 v[59:62], v1 offset:1712
	s_waitcnt vmcnt(9) lgkmcnt(1)
	v_mul_f64 v[91:92], v[2:3], v[36:37]
	v_mul_f64 v[36:37], v[4:5], v[36:37]
	s_waitcnt vmcnt(8) lgkmcnt(0)
	v_mul_f64 v[69:70], v[59:60], v[40:41]
	v_mul_f64 v[40:41], v[61:62], v[40:41]
	v_add_f64 v[46:47], v[46:47], v[89:90]
	v_add_f64 v[67:68], v[67:68], v[85:86]
	v_fma_f64 v[85:86], v[4:5], v[34:35], v[91:92]
	v_fma_f64 v[89:90], v[2:3], v[34:35], -v[36:37]
	ds_load_b128 v[2:5], v1 offset:1728
	scratch_load_b128 v[34:37], off, off offset:880
	v_fma_f64 v[61:62], v[61:62], v[38:39], v[69:70]
	v_fma_f64 v[59:60], v[59:60], v[38:39], -v[40:41]
	scratch_load_b128 v[38:41], off, off offset:896
	v_add_f64 v[46:47], v[46:47], v[63:64]
	v_add_f64 v[67:68], v[67:68], v[65:66]
	ds_load_b128 v[63:66], v1 offset:1744
	s_waitcnt vmcnt(9) lgkmcnt(1)
	v_mul_f64 v[91:92], v[2:3], v[44:45]
	v_mul_f64 v[44:45], v[4:5], v[44:45]
	s_waitcnt vmcnt(8) lgkmcnt(0)
	v_mul_f64 v[69:70], v[63:64], v[8:9]
	v_mul_f64 v[8:9], v[65:66], v[8:9]
	v_add_f64 v[46:47], v[46:47], v[89:90]
	v_add_f64 v[67:68], v[67:68], v[85:86]
	v_fma_f64 v[85:86], v[4:5], v[42:43], v[91:92]
	v_fma_f64 v[89:90], v[2:3], v[42:43], -v[44:45]
	ds_load_b128 v[2:5], v1 offset:1760
	scratch_load_b128 v[42:45], off, off offset:912
	v_fma_f64 v[65:66], v[65:66], v[6:7], v[69:70]
	v_fma_f64 v[63:64], v[63:64], v[6:7], -v[8:9]
	scratch_load_b128 v[6:9], off, off offset:928
	v_add_f64 v[46:47], v[46:47], v[59:60]
	v_add_f64 v[67:68], v[67:68], v[61:62]
	ds_load_b128 v[59:62], v1 offset:1776
	s_waitcnt vmcnt(9) lgkmcnt(1)
	v_mul_f64 v[91:92], v[2:3], v[12:13]
	v_mul_f64 v[12:13], v[4:5], v[12:13]
	s_waitcnt vmcnt(8) lgkmcnt(0)
	v_mul_f64 v[69:70], v[59:60], v[16:17]
	v_mul_f64 v[16:17], v[61:62], v[16:17]
	v_add_f64 v[46:47], v[46:47], v[89:90]
	v_add_f64 v[67:68], v[67:68], v[85:86]
	v_fma_f64 v[85:86], v[4:5], v[10:11], v[91:92]
	v_fma_f64 v[89:90], v[2:3], v[10:11], -v[12:13]
	ds_load_b128 v[2:5], v1 offset:1792
	scratch_load_b128 v[10:13], off, off offset:944
	v_fma_f64 v[61:62], v[61:62], v[14:15], v[69:70]
	v_fma_f64 v[59:60], v[59:60], v[14:15], -v[16:17]
	scratch_load_b128 v[14:17], off, off offset:960
	v_add_f64 v[46:47], v[46:47], v[63:64]
	v_add_f64 v[67:68], v[67:68], v[65:66]
	ds_load_b128 v[63:66], v1 offset:1808
	s_waitcnt vmcnt(9) lgkmcnt(1)
	v_mul_f64 v[91:92], v[2:3], v[20:21]
	v_mul_f64 v[20:21], v[4:5], v[20:21]
	s_waitcnt vmcnt(8) lgkmcnt(0)
	v_mul_f64 v[69:70], v[63:64], v[24:25]
	v_mul_f64 v[24:25], v[65:66], v[24:25]
	v_add_f64 v[46:47], v[46:47], v[89:90]
	v_add_f64 v[67:68], v[67:68], v[85:86]
	v_fma_f64 v[85:86], v[4:5], v[18:19], v[91:92]
	v_fma_f64 v[89:90], v[2:3], v[18:19], -v[20:21]
	ds_load_b128 v[2:5], v1 offset:1824
	ds_load_b128 v[18:21], v1 offset:1840
	v_fma_f64 v[65:66], v[65:66], v[22:23], v[69:70]
	v_fma_f64 v[22:23], v[63:64], v[22:23], -v[24:25]
	v_add_f64 v[46:47], v[46:47], v[59:60]
	v_add_f64 v[59:60], v[67:68], v[61:62]
	s_waitcnt vmcnt(7) lgkmcnt(1)
	v_mul_f64 v[61:62], v[2:3], v[28:29]
	v_mul_f64 v[28:29], v[4:5], v[28:29]
	s_delay_alu instid0(VALU_DEP_4) | instskip(NEXT) | instid1(VALU_DEP_4)
	v_add_f64 v[24:25], v[46:47], v[89:90]
	v_add_f64 v[46:47], v[59:60], v[85:86]
	s_waitcnt vmcnt(6) lgkmcnt(0)
	v_mul_f64 v[59:60], v[18:19], v[32:33]
	v_mul_f64 v[32:33], v[20:21], v[32:33]
	v_fma_f64 v[61:62], v[4:5], v[26:27], v[61:62]
	v_fma_f64 v[26:27], v[2:3], v[26:27], -v[28:29]
	v_add_f64 v[28:29], v[24:25], v[22:23]
	v_add_f64 v[46:47], v[46:47], v[65:66]
	ds_load_b128 v[2:5], v1 offset:1856
	ds_load_b128 v[22:25], v1 offset:1872
	v_fma_f64 v[20:21], v[20:21], v[30:31], v[59:60]
	v_fma_f64 v[18:19], v[18:19], v[30:31], -v[32:33]
	s_waitcnt vmcnt(5) lgkmcnt(1)
	v_mul_f64 v[63:64], v[2:3], v[36:37]
	v_mul_f64 v[36:37], v[4:5], v[36:37]
	s_waitcnt vmcnt(4) lgkmcnt(0)
	v_mul_f64 v[30:31], v[22:23], v[40:41]
	v_mul_f64 v[32:33], v[24:25], v[40:41]
	v_add_f64 v[26:27], v[28:29], v[26:27]
	v_add_f64 v[28:29], v[46:47], v[61:62]
	v_fma_f64 v[40:41], v[4:5], v[34:35], v[63:64]
	v_fma_f64 v[34:35], v[2:3], v[34:35], -v[36:37]
	v_fma_f64 v[24:25], v[24:25], v[38:39], v[30:31]
	v_fma_f64 v[22:23], v[22:23], v[38:39], -v[32:33]
	v_add_f64 v[26:27], v[26:27], v[18:19]
	v_add_f64 v[28:29], v[28:29], v[20:21]
	ds_load_b128 v[2:5], v1 offset:1888
	ds_load_b128 v[18:21], v1 offset:1904
	s_waitcnt vmcnt(3) lgkmcnt(1)
	v_mul_f64 v[36:37], v[2:3], v[44:45]
	v_mul_f64 v[44:45], v[4:5], v[44:45]
	s_waitcnt vmcnt(2) lgkmcnt(0)
	v_mul_f64 v[30:31], v[18:19], v[8:9]
	v_mul_f64 v[8:9], v[20:21], v[8:9]
	v_add_f64 v[26:27], v[26:27], v[34:35]
	v_add_f64 v[28:29], v[28:29], v[40:41]
	v_fma_f64 v[32:33], v[4:5], v[42:43], v[36:37]
	v_fma_f64 v[34:35], v[2:3], v[42:43], -v[44:45]
	v_fma_f64 v[20:21], v[20:21], v[6:7], v[30:31]
	v_fma_f64 v[6:7], v[18:19], v[6:7], -v[8:9]
	v_add_f64 v[26:27], v[26:27], v[22:23]
	v_add_f64 v[28:29], v[28:29], v[24:25]
	ds_load_b128 v[2:5], v1 offset:1920
	ds_load_b128 v[22:25], v1 offset:1936
	s_waitcnt vmcnt(1) lgkmcnt(1)
	v_mul_f64 v[36:37], v[2:3], v[12:13]
	v_mul_f64 v[12:13], v[4:5], v[12:13]
	v_add_f64 v[8:9], v[26:27], v[34:35]
	v_add_f64 v[18:19], v[28:29], v[32:33]
	s_waitcnt vmcnt(0) lgkmcnt(0)
	v_mul_f64 v[26:27], v[22:23], v[16:17]
	v_mul_f64 v[16:17], v[24:25], v[16:17]
	v_fma_f64 v[4:5], v[4:5], v[10:11], v[36:37]
	v_fma_f64 v[1:2], v[2:3], v[10:11], -v[12:13]
	v_add_f64 v[6:7], v[8:9], v[6:7]
	v_add_f64 v[8:9], v[18:19], v[20:21]
	v_fma_f64 v[10:11], v[24:25], v[14:15], v[26:27]
	v_fma_f64 v[12:13], v[22:23], v[14:15], -v[16:17]
	s_delay_alu instid0(VALU_DEP_4) | instskip(NEXT) | instid1(VALU_DEP_4)
	v_add_f64 v[1:2], v[6:7], v[1:2]
	v_add_f64 v[3:4], v[8:9], v[4:5]
	s_delay_alu instid0(VALU_DEP_2) | instskip(NEXT) | instid1(VALU_DEP_2)
	v_add_f64 v[1:2], v[1:2], v[12:13]
	v_add_f64 v[3:4], v[3:4], v[10:11]
	s_delay_alu instid0(VALU_DEP_2) | instskip(NEXT) | instid1(VALU_DEP_2)
	v_add_f64 v[1:2], v[55:56], -v[1:2]
	v_add_f64 v[3:4], v[57:58], -v[3:4]
	scratch_store_b128 off, v[1:4], off offset:96
	v_cmpx_lt_u32_e32 5, v171
	s_cbranch_execz .LBB60_381
; %bb.380:
	scratch_load_b128 v[1:4], v218, off
	v_mov_b32_e32 v5, 0
	s_delay_alu instid0(VALU_DEP_1)
	v_mov_b32_e32 v6, v5
	v_mov_b32_e32 v7, v5
	;; [unrolled: 1-line block ×3, first 2 shown]
	scratch_store_b128 off, v[5:8], off offset:80
	s_waitcnt vmcnt(0)
	ds_store_b128 v229, v[1:4]
.LBB60_381:
	s_or_b32 exec_lo, exec_lo, s2
	s_waitcnt lgkmcnt(0)
	s_waitcnt_vscnt null, 0x0
	s_barrier
	buffer_gl0_inv
	s_clause 0x7
	scratch_load_b128 v[2:5], off, off offset:96
	scratch_load_b128 v[6:9], off, off offset:112
	;; [unrolled: 1-line block ×8, first 2 shown]
	v_mov_b32_e32 v1, 0
	s_mov_b32 s2, exec_lo
	ds_load_b128 v[38:41], v1 offset:1072
	s_clause 0x1
	scratch_load_b128 v[34:37], off, off offset:224
	scratch_load_b128 v[42:45], off, off offset:80
	ds_load_b128 v[55:58], v1 offset:1088
	scratch_load_b128 v[59:62], off, off offset:240
	ds_load_b128 v[63:66], v1 offset:1120
	s_waitcnt vmcnt(10) lgkmcnt(2)
	v_mul_f64 v[46:47], v[40:41], v[4:5]
	v_mul_f64 v[4:5], v[38:39], v[4:5]
	s_delay_alu instid0(VALU_DEP_2) | instskip(NEXT) | instid1(VALU_DEP_2)
	v_fma_f64 v[46:47], v[38:39], v[2:3], -v[46:47]
	v_fma_f64 v[69:70], v[40:41], v[2:3], v[4:5]
	ds_load_b128 v[2:5], v1 offset:1104
	s_waitcnt vmcnt(9) lgkmcnt(2)
	v_mul_f64 v[67:68], v[55:56], v[8:9]
	v_mul_f64 v[8:9], v[57:58], v[8:9]
	scratch_load_b128 v[38:41], off, off offset:256
	s_waitcnt vmcnt(9) lgkmcnt(0)
	v_mul_f64 v[85:86], v[2:3], v[12:13]
	v_mul_f64 v[12:13], v[4:5], v[12:13]
	v_add_f64 v[46:47], v[46:47], 0
	v_fma_f64 v[57:58], v[57:58], v[6:7], v[67:68]
	v_fma_f64 v[55:56], v[55:56], v[6:7], -v[8:9]
	v_add_f64 v[67:68], v[69:70], 0
	scratch_load_b128 v[6:9], off, off offset:272
	v_fma_f64 v[85:86], v[4:5], v[10:11], v[85:86]
	v_fma_f64 v[89:90], v[2:3], v[10:11], -v[12:13]
	scratch_load_b128 v[10:13], off, off offset:288
	ds_load_b128 v[2:5], v1 offset:1136
	s_waitcnt vmcnt(10)
	v_mul_f64 v[69:70], v[63:64], v[16:17]
	v_mul_f64 v[16:17], v[65:66], v[16:17]
	v_add_f64 v[46:47], v[46:47], v[55:56]
	v_add_f64 v[67:68], v[67:68], v[57:58]
	ds_load_b128 v[55:58], v1 offset:1152
	s_waitcnt vmcnt(9) lgkmcnt(1)
	v_mul_f64 v[91:92], v[2:3], v[20:21]
	v_mul_f64 v[20:21], v[4:5], v[20:21]
	v_fma_f64 v[65:66], v[65:66], v[14:15], v[69:70]
	v_fma_f64 v[63:64], v[63:64], v[14:15], -v[16:17]
	scratch_load_b128 v[14:17], off, off offset:304
	v_add_f64 v[46:47], v[46:47], v[89:90]
	v_add_f64 v[67:68], v[67:68], v[85:86]
	v_fma_f64 v[85:86], v[4:5], v[18:19], v[91:92]
	v_fma_f64 v[89:90], v[2:3], v[18:19], -v[20:21]
	scratch_load_b128 v[18:21], off, off offset:320
	ds_load_b128 v[2:5], v1 offset:1168
	s_waitcnt vmcnt(10) lgkmcnt(1)
	v_mul_f64 v[69:70], v[55:56], v[24:25]
	v_mul_f64 v[24:25], v[57:58], v[24:25]
	s_waitcnt vmcnt(9) lgkmcnt(0)
	v_mul_f64 v[91:92], v[2:3], v[28:29]
	v_mul_f64 v[28:29], v[4:5], v[28:29]
	v_add_f64 v[46:47], v[46:47], v[63:64]
	v_add_f64 v[67:68], v[67:68], v[65:66]
	ds_load_b128 v[63:66], v1 offset:1184
	v_fma_f64 v[57:58], v[57:58], v[22:23], v[69:70]
	v_fma_f64 v[55:56], v[55:56], v[22:23], -v[24:25]
	scratch_load_b128 v[22:25], off, off offset:336
	v_add_f64 v[46:47], v[46:47], v[89:90]
	v_add_f64 v[67:68], v[67:68], v[85:86]
	v_fma_f64 v[85:86], v[4:5], v[26:27], v[91:92]
	v_fma_f64 v[89:90], v[2:3], v[26:27], -v[28:29]
	scratch_load_b128 v[26:29], off, off offset:352
	ds_load_b128 v[2:5], v1 offset:1200
	s_waitcnt vmcnt(10) lgkmcnt(1)
	v_mul_f64 v[69:70], v[63:64], v[32:33]
	v_mul_f64 v[32:33], v[65:66], v[32:33]
	s_waitcnt vmcnt(9) lgkmcnt(0)
	v_mul_f64 v[91:92], v[2:3], v[36:37]
	v_mul_f64 v[36:37], v[4:5], v[36:37]
	v_add_f64 v[46:47], v[46:47], v[55:56]
	v_add_f64 v[67:68], v[67:68], v[57:58]
	ds_load_b128 v[55:58], v1 offset:1216
	v_fma_f64 v[65:66], v[65:66], v[30:31], v[69:70]
	v_fma_f64 v[63:64], v[63:64], v[30:31], -v[32:33]
	scratch_load_b128 v[30:33], off, off offset:368
	v_add_f64 v[46:47], v[46:47], v[89:90]
	v_add_f64 v[67:68], v[67:68], v[85:86]
	v_fma_f64 v[89:90], v[4:5], v[34:35], v[91:92]
	v_fma_f64 v[91:92], v[2:3], v[34:35], -v[36:37]
	scratch_load_b128 v[34:37], off, off offset:384
	ds_load_b128 v[2:5], v1 offset:1232
	s_waitcnt vmcnt(9) lgkmcnt(1)
	v_mul_f64 v[69:70], v[55:56], v[61:62]
	v_mul_f64 v[85:86], v[57:58], v[61:62]
	v_add_f64 v[46:47], v[46:47], v[63:64]
	v_add_f64 v[65:66], v[67:68], v[65:66]
	ds_load_b128 v[61:64], v1 offset:1248
	v_fma_f64 v[69:70], v[57:58], v[59:60], v[69:70]
	v_fma_f64 v[59:60], v[55:56], v[59:60], -v[85:86]
	scratch_load_b128 v[55:58], off, off offset:400
	s_waitcnt vmcnt(9) lgkmcnt(1)
	v_mul_f64 v[67:68], v[2:3], v[40:41]
	v_mul_f64 v[40:41], v[4:5], v[40:41]
	v_add_f64 v[46:47], v[46:47], v[91:92]
	v_add_f64 v[65:66], v[65:66], v[89:90]
	s_delay_alu instid0(VALU_DEP_4) | instskip(NEXT) | instid1(VALU_DEP_4)
	v_fma_f64 v[89:90], v[4:5], v[38:39], v[67:68]
	v_fma_f64 v[91:92], v[2:3], v[38:39], -v[40:41]
	scratch_load_b128 v[38:41], off, off offset:416
	ds_load_b128 v[2:5], v1 offset:1264
	s_waitcnt vmcnt(9) lgkmcnt(1)
	v_mul_f64 v[85:86], v[61:62], v[8:9]
	v_mul_f64 v[8:9], v[63:64], v[8:9]
	v_add_f64 v[46:47], v[46:47], v[59:60]
	v_add_f64 v[59:60], v[65:66], v[69:70]
	s_waitcnt vmcnt(8) lgkmcnt(0)
	v_mul_f64 v[69:70], v[2:3], v[12:13]
	v_mul_f64 v[12:13], v[4:5], v[12:13]
	ds_load_b128 v[65:68], v1 offset:1280
	v_fma_f64 v[63:64], v[63:64], v[6:7], v[85:86]
	v_fma_f64 v[61:62], v[61:62], v[6:7], -v[8:9]
	scratch_load_b128 v[6:9], off, off offset:432
	v_add_f64 v[46:47], v[46:47], v[91:92]
	v_add_f64 v[59:60], v[59:60], v[89:90]
	v_fma_f64 v[69:70], v[4:5], v[10:11], v[69:70]
	v_fma_f64 v[89:90], v[2:3], v[10:11], -v[12:13]
	scratch_load_b128 v[10:13], off, off offset:448
	ds_load_b128 v[2:5], v1 offset:1296
	s_waitcnt vmcnt(9) lgkmcnt(1)
	v_mul_f64 v[85:86], v[65:66], v[16:17]
	v_mul_f64 v[16:17], v[67:68], v[16:17]
	s_waitcnt vmcnt(8) lgkmcnt(0)
	v_mul_f64 v[91:92], v[2:3], v[20:21]
	v_mul_f64 v[20:21], v[4:5], v[20:21]
	v_add_f64 v[46:47], v[46:47], v[61:62]
	v_add_f64 v[63:64], v[59:60], v[63:64]
	ds_load_b128 v[59:62], v1 offset:1312
	v_fma_f64 v[67:68], v[67:68], v[14:15], v[85:86]
	v_fma_f64 v[65:66], v[65:66], v[14:15], -v[16:17]
	scratch_load_b128 v[14:17], off, off offset:464
	v_fma_f64 v[85:86], v[4:5], v[18:19], v[91:92]
	v_add_f64 v[46:47], v[46:47], v[89:90]
	v_add_f64 v[63:64], v[63:64], v[69:70]
	v_fma_f64 v[89:90], v[2:3], v[18:19], -v[20:21]
	scratch_load_b128 v[18:21], off, off offset:480
	ds_load_b128 v[2:5], v1 offset:1328
	s_waitcnt vmcnt(9) lgkmcnt(1)
	v_mul_f64 v[69:70], v[59:60], v[24:25]
	v_mul_f64 v[24:25], v[61:62], v[24:25]
	s_waitcnt vmcnt(8) lgkmcnt(0)
	v_mul_f64 v[91:92], v[2:3], v[28:29]
	v_mul_f64 v[28:29], v[4:5], v[28:29]
	v_add_f64 v[46:47], v[46:47], v[65:66]
	v_add_f64 v[67:68], v[63:64], v[67:68]
	ds_load_b128 v[63:66], v1 offset:1344
	v_fma_f64 v[61:62], v[61:62], v[22:23], v[69:70]
	v_fma_f64 v[59:60], v[59:60], v[22:23], -v[24:25]
	scratch_load_b128 v[22:25], off, off offset:496
	v_add_f64 v[46:47], v[46:47], v[89:90]
	v_add_f64 v[67:68], v[67:68], v[85:86]
	v_fma_f64 v[85:86], v[4:5], v[26:27], v[91:92]
	v_fma_f64 v[89:90], v[2:3], v[26:27], -v[28:29]
	scratch_load_b128 v[26:29], off, off offset:512
	ds_load_b128 v[2:5], v1 offset:1360
	s_waitcnt vmcnt(9) lgkmcnt(1)
	v_mul_f64 v[69:70], v[63:64], v[32:33]
	v_mul_f64 v[32:33], v[65:66], v[32:33]
	s_waitcnt vmcnt(8) lgkmcnt(0)
	v_mul_f64 v[91:92], v[2:3], v[36:37]
	v_mul_f64 v[36:37], v[4:5], v[36:37]
	v_add_f64 v[46:47], v[46:47], v[59:60]
	v_add_f64 v[67:68], v[67:68], v[61:62]
	ds_load_b128 v[59:62], v1 offset:1376
	v_fma_f64 v[65:66], v[65:66], v[30:31], v[69:70]
	v_fma_f64 v[63:64], v[63:64], v[30:31], -v[32:33]
	scratch_load_b128 v[30:33], off, off offset:528
	v_add_f64 v[46:47], v[46:47], v[89:90]
	v_add_f64 v[67:68], v[67:68], v[85:86]
	v_fma_f64 v[85:86], v[4:5], v[34:35], v[91:92]
	;; [unrolled: 18-line block ×7, first 2 shown]
	v_fma_f64 v[91:92], v[2:3], v[34:35], -v[36:37]
	scratch_load_b128 v[34:37], off, off offset:704
	ds_load_b128 v[2:5], v1 offset:1552
	s_waitcnt vmcnt(9) lgkmcnt(1)
	v_mul_f64 v[69:70], v[63:64], v[57:58]
	v_mul_f64 v[85:86], v[65:66], v[57:58]
	v_add_f64 v[46:47], v[46:47], v[59:60]
	v_add_f64 v[61:62], v[67:68], v[61:62]
	s_waitcnt vmcnt(8) lgkmcnt(0)
	v_mul_f64 v[67:68], v[2:3], v[40:41]
	v_mul_f64 v[40:41], v[4:5], v[40:41]
	ds_load_b128 v[57:60], v1 offset:1568
	v_fma_f64 v[65:66], v[65:66], v[55:56], v[69:70]
	v_fma_f64 v[55:56], v[63:64], v[55:56], -v[85:86]
	v_add_f64 v[46:47], v[46:47], v[91:92]
	v_add_f64 v[69:70], v[61:62], v[89:90]
	scratch_load_b128 v[61:64], off, off offset:720
	v_fma_f64 v[89:90], v[4:5], v[38:39], v[67:68]
	v_fma_f64 v[91:92], v[2:3], v[38:39], -v[40:41]
	scratch_load_b128 v[38:41], off, off offset:736
	ds_load_b128 v[2:5], v1 offset:1584
	s_waitcnt vmcnt(9) lgkmcnt(1)
	v_mul_f64 v[85:86], v[57:58], v[8:9]
	v_mul_f64 v[8:9], v[59:60], v[8:9]
	v_add_f64 v[46:47], v[46:47], v[55:56]
	v_add_f64 v[55:56], v[69:70], v[65:66]
	s_waitcnt vmcnt(8) lgkmcnt(0)
	v_mul_f64 v[69:70], v[2:3], v[12:13]
	v_mul_f64 v[12:13], v[4:5], v[12:13]
	ds_load_b128 v[65:68], v1 offset:1600
	v_fma_f64 v[59:60], v[59:60], v[6:7], v[85:86]
	v_fma_f64 v[57:58], v[57:58], v[6:7], -v[8:9]
	scratch_load_b128 v[6:9], off, off offset:752
	v_add_f64 v[46:47], v[46:47], v[91:92]
	v_add_f64 v[55:56], v[55:56], v[89:90]
	v_fma_f64 v[69:70], v[4:5], v[10:11], v[69:70]
	v_fma_f64 v[89:90], v[2:3], v[10:11], -v[12:13]
	scratch_load_b128 v[10:13], off, off offset:768
	ds_load_b128 v[2:5], v1 offset:1616
	s_waitcnt vmcnt(9) lgkmcnt(1)
	v_mul_f64 v[85:86], v[65:66], v[16:17]
	v_mul_f64 v[16:17], v[67:68], v[16:17]
	s_waitcnt vmcnt(8) lgkmcnt(0)
	v_mul_f64 v[91:92], v[2:3], v[20:21]
	v_mul_f64 v[20:21], v[4:5], v[20:21]
	v_add_f64 v[46:47], v[46:47], v[57:58]
	v_add_f64 v[59:60], v[55:56], v[59:60]
	ds_load_b128 v[55:58], v1 offset:1632
	v_fma_f64 v[67:68], v[67:68], v[14:15], v[85:86]
	v_fma_f64 v[65:66], v[65:66], v[14:15], -v[16:17]
	scratch_load_b128 v[14:17], off, off offset:784
	v_fma_f64 v[85:86], v[4:5], v[18:19], v[91:92]
	v_add_f64 v[46:47], v[46:47], v[89:90]
	v_add_f64 v[59:60], v[59:60], v[69:70]
	v_fma_f64 v[89:90], v[2:3], v[18:19], -v[20:21]
	scratch_load_b128 v[18:21], off, off offset:800
	ds_load_b128 v[2:5], v1 offset:1648
	s_waitcnt vmcnt(9) lgkmcnt(1)
	v_mul_f64 v[69:70], v[55:56], v[24:25]
	v_mul_f64 v[24:25], v[57:58], v[24:25]
	s_waitcnt vmcnt(8) lgkmcnt(0)
	v_mul_f64 v[91:92], v[2:3], v[28:29]
	v_mul_f64 v[28:29], v[4:5], v[28:29]
	v_add_f64 v[46:47], v[46:47], v[65:66]
	v_add_f64 v[59:60], v[59:60], v[67:68]
	ds_load_b128 v[65:68], v1 offset:1664
	v_fma_f64 v[57:58], v[57:58], v[22:23], v[69:70]
	v_fma_f64 v[55:56], v[55:56], v[22:23], -v[24:25]
	scratch_load_b128 v[22:25], off, off offset:816
	v_add_f64 v[46:47], v[46:47], v[89:90]
	v_add_f64 v[59:60], v[59:60], v[85:86]
	v_fma_f64 v[85:86], v[4:5], v[26:27], v[91:92]
	v_fma_f64 v[89:90], v[2:3], v[26:27], -v[28:29]
	scratch_load_b128 v[26:29], off, off offset:832
	ds_load_b128 v[2:5], v1 offset:1680
	s_waitcnt vmcnt(9) lgkmcnt(1)
	v_mul_f64 v[69:70], v[65:66], v[32:33]
	v_mul_f64 v[32:33], v[67:68], v[32:33]
	s_waitcnt vmcnt(8) lgkmcnt(0)
	v_mul_f64 v[91:92], v[2:3], v[36:37]
	v_mul_f64 v[36:37], v[4:5], v[36:37]
	v_add_f64 v[46:47], v[46:47], v[55:56]
	v_add_f64 v[59:60], v[59:60], v[57:58]
	ds_load_b128 v[55:58], v1 offset:1696
	v_fma_f64 v[67:68], v[67:68], v[30:31], v[69:70]
	v_fma_f64 v[65:66], v[65:66], v[30:31], -v[32:33]
	scratch_load_b128 v[30:33], off, off offset:848
	v_add_f64 v[46:47], v[46:47], v[89:90]
	v_add_f64 v[59:60], v[59:60], v[85:86]
	v_fma_f64 v[89:90], v[4:5], v[34:35], v[91:92]
	v_fma_f64 v[91:92], v[2:3], v[34:35], -v[36:37]
	scratch_load_b128 v[34:37], off, off offset:864
	ds_load_b128 v[2:5], v1 offset:1712
	s_waitcnt vmcnt(9) lgkmcnt(1)
	v_mul_f64 v[69:70], v[55:56], v[63:64]
	v_mul_f64 v[85:86], v[57:58], v[63:64]
	v_add_f64 v[46:47], v[46:47], v[65:66]
	v_add_f64 v[59:60], v[59:60], v[67:68]
	s_waitcnt vmcnt(8) lgkmcnt(0)
	v_mul_f64 v[67:68], v[2:3], v[40:41]
	v_mul_f64 v[40:41], v[4:5], v[40:41]
	ds_load_b128 v[63:66], v1 offset:1728
	v_fma_f64 v[69:70], v[57:58], v[61:62], v[69:70]
	v_fma_f64 v[61:62], v[55:56], v[61:62], -v[85:86]
	scratch_load_b128 v[55:58], off, off offset:880
	v_add_f64 v[46:47], v[46:47], v[91:92]
	v_add_f64 v[59:60], v[59:60], v[89:90]
	v_fma_f64 v[67:68], v[4:5], v[38:39], v[67:68]
	v_fma_f64 v[89:90], v[2:3], v[38:39], -v[40:41]
	scratch_load_b128 v[38:41], off, off offset:896
	ds_load_b128 v[2:5], v1 offset:1744
	s_waitcnt vmcnt(9) lgkmcnt(1)
	v_mul_f64 v[85:86], v[63:64], v[8:9]
	v_mul_f64 v[8:9], v[65:66], v[8:9]
	s_waitcnt vmcnt(8) lgkmcnt(0)
	v_mul_f64 v[91:92], v[2:3], v[12:13]
	v_mul_f64 v[12:13], v[4:5], v[12:13]
	v_add_f64 v[46:47], v[46:47], v[61:62]
	v_add_f64 v[69:70], v[59:60], v[69:70]
	ds_load_b128 v[59:62], v1 offset:1760
	v_fma_f64 v[65:66], v[65:66], v[6:7], v[85:86]
	v_fma_f64 v[63:64], v[63:64], v[6:7], -v[8:9]
	scratch_load_b128 v[6:9], off, off offset:912
	v_fma_f64 v[85:86], v[4:5], v[10:11], v[91:92]
	v_add_f64 v[46:47], v[46:47], v[89:90]
	v_add_f64 v[67:68], v[69:70], v[67:68]
	v_fma_f64 v[89:90], v[2:3], v[10:11], -v[12:13]
	scratch_load_b128 v[10:13], off, off offset:928
	ds_load_b128 v[2:5], v1 offset:1776
	s_waitcnt vmcnt(9) lgkmcnt(1)
	v_mul_f64 v[69:70], v[59:60], v[16:17]
	v_mul_f64 v[16:17], v[61:62], v[16:17]
	s_waitcnt vmcnt(8) lgkmcnt(0)
	v_mul_f64 v[91:92], v[2:3], v[20:21]
	v_mul_f64 v[20:21], v[4:5], v[20:21]
	v_add_f64 v[46:47], v[46:47], v[63:64]
	v_add_f64 v[67:68], v[67:68], v[65:66]
	ds_load_b128 v[63:66], v1 offset:1792
	v_fma_f64 v[61:62], v[61:62], v[14:15], v[69:70]
	v_fma_f64 v[59:60], v[59:60], v[14:15], -v[16:17]
	scratch_load_b128 v[14:17], off, off offset:944
	v_add_f64 v[46:47], v[46:47], v[89:90]
	v_add_f64 v[67:68], v[67:68], v[85:86]
	v_fma_f64 v[85:86], v[4:5], v[18:19], v[91:92]
	v_fma_f64 v[89:90], v[2:3], v[18:19], -v[20:21]
	scratch_load_b128 v[18:21], off, off offset:960
	ds_load_b128 v[2:5], v1 offset:1808
	s_waitcnt vmcnt(9) lgkmcnt(1)
	v_mul_f64 v[69:70], v[63:64], v[24:25]
	v_mul_f64 v[24:25], v[65:66], v[24:25]
	s_waitcnt vmcnt(8) lgkmcnt(0)
	v_mul_f64 v[91:92], v[2:3], v[28:29]
	v_mul_f64 v[28:29], v[4:5], v[28:29]
	v_add_f64 v[46:47], v[46:47], v[59:60]
	v_add_f64 v[67:68], v[67:68], v[61:62]
	ds_load_b128 v[59:62], v1 offset:1824
	v_fma_f64 v[65:66], v[65:66], v[22:23], v[69:70]
	v_fma_f64 v[22:23], v[63:64], v[22:23], -v[24:25]
	s_waitcnt vmcnt(7) lgkmcnt(0)
	v_mul_f64 v[63:64], v[59:60], v[32:33]
	v_mul_f64 v[32:33], v[61:62], v[32:33]
	v_add_f64 v[24:25], v[46:47], v[89:90]
	v_add_f64 v[46:47], v[67:68], v[85:86]
	v_fma_f64 v[67:68], v[4:5], v[26:27], v[91:92]
	v_fma_f64 v[26:27], v[2:3], v[26:27], -v[28:29]
	v_fma_f64 v[61:62], v[61:62], v[30:31], v[63:64]
	v_fma_f64 v[30:31], v[59:60], v[30:31], -v[32:33]
	v_add_f64 v[28:29], v[24:25], v[22:23]
	v_add_f64 v[46:47], v[46:47], v[65:66]
	ds_load_b128 v[2:5], v1 offset:1840
	ds_load_b128 v[22:25], v1 offset:1856
	s_waitcnt vmcnt(6) lgkmcnt(1)
	v_mul_f64 v[65:66], v[2:3], v[36:37]
	v_mul_f64 v[36:37], v[4:5], v[36:37]
	s_waitcnt vmcnt(5) lgkmcnt(0)
	v_mul_f64 v[32:33], v[22:23], v[57:58]
	v_add_f64 v[26:27], v[28:29], v[26:27]
	v_add_f64 v[28:29], v[46:47], v[67:68]
	v_mul_f64 v[46:47], v[24:25], v[57:58]
	v_fma_f64 v[57:58], v[4:5], v[34:35], v[65:66]
	v_fma_f64 v[34:35], v[2:3], v[34:35], -v[36:37]
	v_fma_f64 v[24:25], v[24:25], v[55:56], v[32:33]
	v_add_f64 v[30:31], v[26:27], v[30:31]
	v_add_f64 v[36:37], v[28:29], v[61:62]
	ds_load_b128 v[2:5], v1 offset:1872
	ds_load_b128 v[26:29], v1 offset:1888
	v_fma_f64 v[22:23], v[22:23], v[55:56], -v[46:47]
	s_waitcnt vmcnt(4) lgkmcnt(1)
	v_mul_f64 v[59:60], v[2:3], v[40:41]
	v_mul_f64 v[40:41], v[4:5], v[40:41]
	v_add_f64 v[30:31], v[30:31], v[34:35]
	v_add_f64 v[32:33], v[36:37], v[57:58]
	s_waitcnt vmcnt(3) lgkmcnt(0)
	v_mul_f64 v[34:35], v[26:27], v[8:9]
	v_mul_f64 v[8:9], v[28:29], v[8:9]
	v_fma_f64 v[36:37], v[4:5], v[38:39], v[59:60]
	v_fma_f64 v[38:39], v[2:3], v[38:39], -v[40:41]
	v_add_f64 v[30:31], v[30:31], v[22:23]
	v_add_f64 v[32:33], v[32:33], v[24:25]
	ds_load_b128 v[2:5], v1 offset:1904
	ds_load_b128 v[22:25], v1 offset:1920
	v_fma_f64 v[28:29], v[28:29], v[6:7], v[34:35]
	v_fma_f64 v[6:7], v[26:27], v[6:7], -v[8:9]
	s_waitcnt vmcnt(2) lgkmcnt(1)
	v_mul_f64 v[40:41], v[2:3], v[12:13]
	v_mul_f64 v[12:13], v[4:5], v[12:13]
	v_add_f64 v[8:9], v[30:31], v[38:39]
	v_add_f64 v[26:27], v[32:33], v[36:37]
	s_waitcnt vmcnt(1) lgkmcnt(0)
	v_mul_f64 v[30:31], v[22:23], v[16:17]
	v_mul_f64 v[16:17], v[24:25], v[16:17]
	v_fma_f64 v[32:33], v[4:5], v[10:11], v[40:41]
	v_fma_f64 v[10:11], v[2:3], v[10:11], -v[12:13]
	ds_load_b128 v[2:5], v1 offset:1936
	v_add_f64 v[6:7], v[8:9], v[6:7]
	v_add_f64 v[8:9], v[26:27], v[28:29]
	v_fma_f64 v[24:25], v[24:25], v[14:15], v[30:31]
	v_fma_f64 v[14:15], v[22:23], v[14:15], -v[16:17]
	s_waitcnt vmcnt(0) lgkmcnt(0)
	v_mul_f64 v[12:13], v[2:3], v[20:21]
	v_mul_f64 v[20:21], v[4:5], v[20:21]
	v_add_f64 v[6:7], v[6:7], v[10:11]
	v_add_f64 v[8:9], v[8:9], v[32:33]
	s_delay_alu instid0(VALU_DEP_4) | instskip(NEXT) | instid1(VALU_DEP_4)
	v_fma_f64 v[4:5], v[4:5], v[18:19], v[12:13]
	v_fma_f64 v[2:3], v[2:3], v[18:19], -v[20:21]
	s_delay_alu instid0(VALU_DEP_4) | instskip(NEXT) | instid1(VALU_DEP_4)
	v_add_f64 v[6:7], v[6:7], v[14:15]
	v_add_f64 v[8:9], v[8:9], v[24:25]
	s_delay_alu instid0(VALU_DEP_2) | instskip(NEXT) | instid1(VALU_DEP_2)
	v_add_f64 v[2:3], v[6:7], v[2:3]
	v_add_f64 v[4:5], v[8:9], v[4:5]
	s_delay_alu instid0(VALU_DEP_2) | instskip(NEXT) | instid1(VALU_DEP_2)
	v_add_f64 v[2:3], v[42:43], -v[2:3]
	v_add_f64 v[4:5], v[44:45], -v[4:5]
	scratch_store_b128 off, v[2:5], off offset:80
	v_cmpx_lt_u32_e32 4, v171
	s_cbranch_execz .LBB60_383
; %bb.382:
	scratch_load_b128 v[5:8], v219, off
	v_mov_b32_e32 v2, v1
	v_mov_b32_e32 v3, v1
	v_mov_b32_e32 v4, v1
	scratch_store_b128 off, v[1:4], off offset:64
	s_waitcnt vmcnt(0)
	ds_store_b128 v229, v[5:8]
.LBB60_383:
	s_or_b32 exec_lo, exec_lo, s2
	s_waitcnt lgkmcnt(0)
	s_waitcnt_vscnt null, 0x0
	s_barrier
	buffer_gl0_inv
	s_clause 0x8
	scratch_load_b128 v[2:5], off, off offset:80
	scratch_load_b128 v[6:9], off, off offset:96
	;; [unrolled: 1-line block ×9, first 2 shown]
	ds_load_b128 v[42:45], v1 offset:1056
	ds_load_b128 v[38:41], v1 offset:1072
	s_clause 0x1
	scratch_load_b128 v[55:58], off, off offset:64
	scratch_load_b128 v[59:62], off, off offset:224
	s_mov_b32 s2, exec_lo
	ds_load_b128 v[63:66], v1 offset:1104
	s_waitcnt vmcnt(10) lgkmcnt(2)
	v_mul_f64 v[46:47], v[44:45], v[4:5]
	v_mul_f64 v[4:5], v[42:43], v[4:5]
	s_waitcnt vmcnt(9) lgkmcnt(1)
	v_mul_f64 v[67:68], v[38:39], v[8:9]
	v_mul_f64 v[8:9], v[40:41], v[8:9]
	s_delay_alu instid0(VALU_DEP_4) | instskip(NEXT) | instid1(VALU_DEP_4)
	v_fma_f64 v[46:47], v[42:43], v[2:3], -v[46:47]
	v_fma_f64 v[69:70], v[44:45], v[2:3], v[4:5]
	ds_load_b128 v[2:5], v1 offset:1088
	scratch_load_b128 v[42:45], off, off offset:240
	v_fma_f64 v[40:41], v[40:41], v[6:7], v[67:68]
	v_fma_f64 v[38:39], v[38:39], v[6:7], -v[8:9]
	scratch_load_b128 v[6:9], off, off offset:256
	s_waitcnt vmcnt(10) lgkmcnt(0)
	v_mul_f64 v[85:86], v[2:3], v[12:13]
	v_mul_f64 v[12:13], v[4:5], v[12:13]
	v_add_f64 v[46:47], v[46:47], 0
	v_add_f64 v[67:68], v[69:70], 0
	s_waitcnt vmcnt(9)
	v_mul_f64 v[69:70], v[63:64], v[16:17]
	v_mul_f64 v[16:17], v[65:66], v[16:17]
	v_fma_f64 v[85:86], v[4:5], v[10:11], v[85:86]
	v_fma_f64 v[89:90], v[2:3], v[10:11], -v[12:13]
	ds_load_b128 v[2:5], v1 offset:1120
	scratch_load_b128 v[10:13], off, off offset:272
	v_add_f64 v[46:47], v[46:47], v[38:39]
	v_add_f64 v[67:68], v[67:68], v[40:41]
	ds_load_b128 v[38:41], v1 offset:1136
	v_fma_f64 v[65:66], v[65:66], v[14:15], v[69:70]
	v_fma_f64 v[63:64], v[63:64], v[14:15], -v[16:17]
	scratch_load_b128 v[14:17], off, off offset:288
	s_waitcnt vmcnt(10) lgkmcnt(1)
	v_mul_f64 v[91:92], v[2:3], v[20:21]
	v_mul_f64 v[20:21], v[4:5], v[20:21]
	s_waitcnt vmcnt(9) lgkmcnt(0)
	v_mul_f64 v[69:70], v[38:39], v[24:25]
	v_mul_f64 v[24:25], v[40:41], v[24:25]
	v_add_f64 v[46:47], v[46:47], v[89:90]
	v_add_f64 v[67:68], v[67:68], v[85:86]
	v_fma_f64 v[85:86], v[4:5], v[18:19], v[91:92]
	v_fma_f64 v[89:90], v[2:3], v[18:19], -v[20:21]
	ds_load_b128 v[2:5], v1 offset:1152
	scratch_load_b128 v[18:21], off, off offset:304
	v_fma_f64 v[40:41], v[40:41], v[22:23], v[69:70]
	v_fma_f64 v[38:39], v[38:39], v[22:23], -v[24:25]
	scratch_load_b128 v[22:25], off, off offset:320
	v_add_f64 v[46:47], v[46:47], v[63:64]
	v_add_f64 v[67:68], v[67:68], v[65:66]
	ds_load_b128 v[63:66], v1 offset:1168
	s_waitcnt vmcnt(10) lgkmcnt(1)
	v_mul_f64 v[91:92], v[2:3], v[28:29]
	v_mul_f64 v[28:29], v[4:5], v[28:29]
	s_waitcnt vmcnt(9) lgkmcnt(0)
	v_mul_f64 v[69:70], v[63:64], v[32:33]
	v_mul_f64 v[32:33], v[65:66], v[32:33]
	v_add_f64 v[46:47], v[46:47], v[89:90]
	v_add_f64 v[67:68], v[67:68], v[85:86]
	v_fma_f64 v[85:86], v[4:5], v[26:27], v[91:92]
	v_fma_f64 v[89:90], v[2:3], v[26:27], -v[28:29]
	ds_load_b128 v[2:5], v1 offset:1184
	scratch_load_b128 v[26:29], off, off offset:336
	v_fma_f64 v[65:66], v[65:66], v[30:31], v[69:70]
	v_fma_f64 v[63:64], v[63:64], v[30:31], -v[32:33]
	scratch_load_b128 v[30:33], off, off offset:352
	v_add_f64 v[46:47], v[46:47], v[38:39]
	v_add_f64 v[67:68], v[67:68], v[40:41]
	ds_load_b128 v[38:41], v1 offset:1200
	s_waitcnt vmcnt(10) lgkmcnt(1)
	v_mul_f64 v[91:92], v[2:3], v[36:37]
	v_mul_f64 v[36:37], v[4:5], v[36:37]
	s_waitcnt vmcnt(8) lgkmcnt(0)
	v_mul_f64 v[69:70], v[38:39], v[61:62]
	v_add_f64 v[46:47], v[46:47], v[89:90]
	v_add_f64 v[67:68], v[67:68], v[85:86]
	v_mul_f64 v[85:86], v[40:41], v[61:62]
	v_fma_f64 v[89:90], v[4:5], v[34:35], v[91:92]
	v_fma_f64 v[91:92], v[2:3], v[34:35], -v[36:37]
	ds_load_b128 v[2:5], v1 offset:1216
	scratch_load_b128 v[34:37], off, off offset:368
	v_fma_f64 v[69:70], v[40:41], v[59:60], v[69:70]
	v_add_f64 v[46:47], v[46:47], v[63:64]
	v_add_f64 v[65:66], v[67:68], v[65:66]
	ds_load_b128 v[61:64], v1 offset:1232
	v_fma_f64 v[59:60], v[38:39], v[59:60], -v[85:86]
	scratch_load_b128 v[38:41], off, off offset:384
	s_waitcnt vmcnt(9) lgkmcnt(1)
	v_mul_f64 v[67:68], v[2:3], v[44:45]
	v_mul_f64 v[44:45], v[4:5], v[44:45]
	s_waitcnt vmcnt(8) lgkmcnt(0)
	v_mul_f64 v[85:86], v[61:62], v[8:9]
	v_mul_f64 v[8:9], v[63:64], v[8:9]
	v_add_f64 v[46:47], v[46:47], v[91:92]
	v_add_f64 v[65:66], v[65:66], v[89:90]
	v_fma_f64 v[89:90], v[4:5], v[42:43], v[67:68]
	v_fma_f64 v[91:92], v[2:3], v[42:43], -v[44:45]
	ds_load_b128 v[2:5], v1 offset:1248
	scratch_load_b128 v[42:45], off, off offset:400
	v_fma_f64 v[63:64], v[63:64], v[6:7], v[85:86]
	v_fma_f64 v[61:62], v[61:62], v[6:7], -v[8:9]
	scratch_load_b128 v[6:9], off, off offset:416
	v_add_f64 v[46:47], v[46:47], v[59:60]
	v_add_f64 v[59:60], v[65:66], v[69:70]
	ds_load_b128 v[65:68], v1 offset:1264
	s_waitcnt vmcnt(9) lgkmcnt(1)
	v_mul_f64 v[69:70], v[2:3], v[12:13]
	v_mul_f64 v[12:13], v[4:5], v[12:13]
	s_waitcnt vmcnt(8) lgkmcnt(0)
	v_mul_f64 v[85:86], v[65:66], v[16:17]
	v_mul_f64 v[16:17], v[67:68], v[16:17]
	v_add_f64 v[46:47], v[46:47], v[91:92]
	v_add_f64 v[59:60], v[59:60], v[89:90]
	v_fma_f64 v[69:70], v[4:5], v[10:11], v[69:70]
	v_fma_f64 v[89:90], v[2:3], v[10:11], -v[12:13]
	ds_load_b128 v[2:5], v1 offset:1280
	scratch_load_b128 v[10:13], off, off offset:432
	v_fma_f64 v[67:68], v[67:68], v[14:15], v[85:86]
	v_fma_f64 v[65:66], v[65:66], v[14:15], -v[16:17]
	scratch_load_b128 v[14:17], off, off offset:448
	v_add_f64 v[46:47], v[46:47], v[61:62]
	v_add_f64 v[63:64], v[59:60], v[63:64]
	ds_load_b128 v[59:62], v1 offset:1296
	s_waitcnt vmcnt(9) lgkmcnt(1)
	v_mul_f64 v[91:92], v[2:3], v[20:21]
	v_mul_f64 v[20:21], v[4:5], v[20:21]
	v_add_f64 v[46:47], v[46:47], v[89:90]
	v_add_f64 v[63:64], v[63:64], v[69:70]
	s_waitcnt vmcnt(8) lgkmcnt(0)
	v_mul_f64 v[69:70], v[59:60], v[24:25]
	v_mul_f64 v[24:25], v[61:62], v[24:25]
	v_fma_f64 v[85:86], v[4:5], v[18:19], v[91:92]
	v_fma_f64 v[89:90], v[2:3], v[18:19], -v[20:21]
	ds_load_b128 v[2:5], v1 offset:1312
	scratch_load_b128 v[18:21], off, off offset:464
	v_add_f64 v[46:47], v[46:47], v[65:66]
	v_add_f64 v[67:68], v[63:64], v[67:68]
	ds_load_b128 v[63:66], v1 offset:1328
	s_waitcnt vmcnt(8) lgkmcnt(1)
	v_mul_f64 v[91:92], v[2:3], v[28:29]
	v_mul_f64 v[28:29], v[4:5], v[28:29]
	v_fma_f64 v[61:62], v[61:62], v[22:23], v[69:70]
	v_fma_f64 v[59:60], v[59:60], v[22:23], -v[24:25]
	scratch_load_b128 v[22:25], off, off offset:480
	s_waitcnt vmcnt(8) lgkmcnt(0)
	v_mul_f64 v[69:70], v[63:64], v[32:33]
	v_mul_f64 v[32:33], v[65:66], v[32:33]
	v_add_f64 v[46:47], v[46:47], v[89:90]
	v_add_f64 v[67:68], v[67:68], v[85:86]
	v_fma_f64 v[85:86], v[4:5], v[26:27], v[91:92]
	v_fma_f64 v[89:90], v[2:3], v[26:27], -v[28:29]
	ds_load_b128 v[2:5], v1 offset:1344
	scratch_load_b128 v[26:29], off, off offset:496
	v_fma_f64 v[65:66], v[65:66], v[30:31], v[69:70]
	v_fma_f64 v[63:64], v[63:64], v[30:31], -v[32:33]
	scratch_load_b128 v[30:33], off, off offset:512
	v_add_f64 v[46:47], v[46:47], v[59:60]
	v_add_f64 v[67:68], v[67:68], v[61:62]
	ds_load_b128 v[59:62], v1 offset:1360
	s_waitcnt vmcnt(9) lgkmcnt(1)
	v_mul_f64 v[91:92], v[2:3], v[36:37]
	v_mul_f64 v[36:37], v[4:5], v[36:37]
	s_waitcnt vmcnt(8) lgkmcnt(0)
	v_mul_f64 v[69:70], v[59:60], v[40:41]
	v_mul_f64 v[40:41], v[61:62], v[40:41]
	v_add_f64 v[46:47], v[46:47], v[89:90]
	v_add_f64 v[67:68], v[67:68], v[85:86]
	v_fma_f64 v[85:86], v[4:5], v[34:35], v[91:92]
	v_fma_f64 v[89:90], v[2:3], v[34:35], -v[36:37]
	ds_load_b128 v[2:5], v1 offset:1376
	scratch_load_b128 v[34:37], off, off offset:528
	v_fma_f64 v[61:62], v[61:62], v[38:39], v[69:70]
	v_fma_f64 v[59:60], v[59:60], v[38:39], -v[40:41]
	scratch_load_b128 v[38:41], off, off offset:544
	v_add_f64 v[46:47], v[46:47], v[63:64]
	v_add_f64 v[67:68], v[67:68], v[65:66]
	ds_load_b128 v[63:66], v1 offset:1392
	s_waitcnt vmcnt(9) lgkmcnt(1)
	v_mul_f64 v[91:92], v[2:3], v[44:45]
	v_mul_f64 v[44:45], v[4:5], v[44:45]
	s_waitcnt vmcnt(8) lgkmcnt(0)
	v_mul_f64 v[69:70], v[63:64], v[8:9]
	v_mul_f64 v[8:9], v[65:66], v[8:9]
	v_add_f64 v[46:47], v[46:47], v[89:90]
	v_add_f64 v[67:68], v[67:68], v[85:86]
	v_fma_f64 v[85:86], v[4:5], v[42:43], v[91:92]
	v_fma_f64 v[89:90], v[2:3], v[42:43], -v[44:45]
	ds_load_b128 v[2:5], v1 offset:1408
	scratch_load_b128 v[42:45], off, off offset:560
	v_fma_f64 v[65:66], v[65:66], v[6:7], v[69:70]
	v_fma_f64 v[63:64], v[63:64], v[6:7], -v[8:9]
	scratch_load_b128 v[6:9], off, off offset:576
	v_add_f64 v[46:47], v[46:47], v[59:60]
	v_add_f64 v[67:68], v[67:68], v[61:62]
	ds_load_b128 v[59:62], v1 offset:1424
	s_waitcnt vmcnt(9) lgkmcnt(1)
	v_mul_f64 v[91:92], v[2:3], v[12:13]
	v_mul_f64 v[12:13], v[4:5], v[12:13]
	s_waitcnt vmcnt(8) lgkmcnt(0)
	v_mul_f64 v[69:70], v[59:60], v[16:17]
	v_mul_f64 v[16:17], v[61:62], v[16:17]
	v_add_f64 v[46:47], v[46:47], v[89:90]
	v_add_f64 v[67:68], v[67:68], v[85:86]
	v_fma_f64 v[85:86], v[4:5], v[10:11], v[91:92]
	v_fma_f64 v[89:90], v[2:3], v[10:11], -v[12:13]
	ds_load_b128 v[2:5], v1 offset:1440
	scratch_load_b128 v[10:13], off, off offset:592
	v_fma_f64 v[61:62], v[61:62], v[14:15], v[69:70]
	v_fma_f64 v[59:60], v[59:60], v[14:15], -v[16:17]
	scratch_load_b128 v[14:17], off, off offset:608
	v_add_f64 v[46:47], v[46:47], v[63:64]
	v_add_f64 v[67:68], v[67:68], v[65:66]
	ds_load_b128 v[63:66], v1 offset:1456
	s_waitcnt vmcnt(9) lgkmcnt(1)
	v_mul_f64 v[91:92], v[2:3], v[20:21]
	v_mul_f64 v[20:21], v[4:5], v[20:21]
	s_waitcnt vmcnt(8) lgkmcnt(0)
	v_mul_f64 v[69:70], v[63:64], v[24:25]
	v_mul_f64 v[24:25], v[65:66], v[24:25]
	v_add_f64 v[46:47], v[46:47], v[89:90]
	v_add_f64 v[67:68], v[67:68], v[85:86]
	v_fma_f64 v[85:86], v[4:5], v[18:19], v[91:92]
	v_fma_f64 v[89:90], v[2:3], v[18:19], -v[20:21]
	ds_load_b128 v[2:5], v1 offset:1472
	scratch_load_b128 v[18:21], off, off offset:624
	v_fma_f64 v[65:66], v[65:66], v[22:23], v[69:70]
	v_fma_f64 v[63:64], v[63:64], v[22:23], -v[24:25]
	scratch_load_b128 v[22:25], off, off offset:640
	v_add_f64 v[46:47], v[46:47], v[59:60]
	v_add_f64 v[67:68], v[67:68], v[61:62]
	ds_load_b128 v[59:62], v1 offset:1488
	s_waitcnt vmcnt(9) lgkmcnt(1)
	v_mul_f64 v[91:92], v[2:3], v[28:29]
	v_mul_f64 v[28:29], v[4:5], v[28:29]
	s_waitcnt vmcnt(8) lgkmcnt(0)
	v_mul_f64 v[69:70], v[59:60], v[32:33]
	v_mul_f64 v[32:33], v[61:62], v[32:33]
	v_add_f64 v[46:47], v[46:47], v[89:90]
	v_add_f64 v[67:68], v[67:68], v[85:86]
	v_fma_f64 v[85:86], v[4:5], v[26:27], v[91:92]
	v_fma_f64 v[89:90], v[2:3], v[26:27], -v[28:29]
	ds_load_b128 v[2:5], v1 offset:1504
	scratch_load_b128 v[26:29], off, off offset:656
	v_fma_f64 v[61:62], v[61:62], v[30:31], v[69:70]
	v_fma_f64 v[59:60], v[59:60], v[30:31], -v[32:33]
	scratch_load_b128 v[30:33], off, off offset:672
	v_add_f64 v[46:47], v[46:47], v[63:64]
	v_add_f64 v[67:68], v[67:68], v[65:66]
	ds_load_b128 v[63:66], v1 offset:1520
	s_waitcnt vmcnt(9) lgkmcnt(1)
	v_mul_f64 v[91:92], v[2:3], v[36:37]
	v_mul_f64 v[36:37], v[4:5], v[36:37]
	s_waitcnt vmcnt(8) lgkmcnt(0)
	v_mul_f64 v[69:70], v[63:64], v[40:41]
	v_mul_f64 v[40:41], v[65:66], v[40:41]
	v_add_f64 v[46:47], v[46:47], v[89:90]
	v_add_f64 v[67:68], v[67:68], v[85:86]
	v_fma_f64 v[85:86], v[4:5], v[34:35], v[91:92]
	v_fma_f64 v[89:90], v[2:3], v[34:35], -v[36:37]
	ds_load_b128 v[2:5], v1 offset:1536
	scratch_load_b128 v[34:37], off, off offset:688
	v_fma_f64 v[65:66], v[65:66], v[38:39], v[69:70]
	v_fma_f64 v[63:64], v[63:64], v[38:39], -v[40:41]
	scratch_load_b128 v[38:41], off, off offset:704
	v_add_f64 v[46:47], v[46:47], v[59:60]
	v_add_f64 v[67:68], v[67:68], v[61:62]
	ds_load_b128 v[59:62], v1 offset:1552
	s_waitcnt vmcnt(9) lgkmcnt(1)
	v_mul_f64 v[91:92], v[2:3], v[44:45]
	v_mul_f64 v[44:45], v[4:5], v[44:45]
	s_waitcnt vmcnt(8) lgkmcnt(0)
	v_mul_f64 v[69:70], v[59:60], v[8:9]
	v_mul_f64 v[8:9], v[61:62], v[8:9]
	v_add_f64 v[46:47], v[46:47], v[89:90]
	v_add_f64 v[67:68], v[67:68], v[85:86]
	v_fma_f64 v[85:86], v[4:5], v[42:43], v[91:92]
	v_fma_f64 v[89:90], v[2:3], v[42:43], -v[44:45]
	ds_load_b128 v[2:5], v1 offset:1568
	scratch_load_b128 v[42:45], off, off offset:720
	v_fma_f64 v[61:62], v[61:62], v[6:7], v[69:70]
	v_fma_f64 v[59:60], v[59:60], v[6:7], -v[8:9]
	scratch_load_b128 v[6:9], off, off offset:736
	v_add_f64 v[46:47], v[46:47], v[63:64]
	v_add_f64 v[67:68], v[67:68], v[65:66]
	ds_load_b128 v[63:66], v1 offset:1584
	s_waitcnt vmcnt(9) lgkmcnt(1)
	v_mul_f64 v[91:92], v[2:3], v[12:13]
	v_mul_f64 v[12:13], v[4:5], v[12:13]
	s_waitcnt vmcnt(8) lgkmcnt(0)
	v_mul_f64 v[69:70], v[63:64], v[16:17]
	v_mul_f64 v[16:17], v[65:66], v[16:17]
	v_add_f64 v[46:47], v[46:47], v[89:90]
	v_add_f64 v[67:68], v[67:68], v[85:86]
	v_fma_f64 v[85:86], v[4:5], v[10:11], v[91:92]
	v_fma_f64 v[89:90], v[2:3], v[10:11], -v[12:13]
	ds_load_b128 v[2:5], v1 offset:1600
	scratch_load_b128 v[10:13], off, off offset:752
	v_fma_f64 v[65:66], v[65:66], v[14:15], v[69:70]
	v_fma_f64 v[63:64], v[63:64], v[14:15], -v[16:17]
	scratch_load_b128 v[14:17], off, off offset:768
	v_add_f64 v[46:47], v[46:47], v[59:60]
	v_add_f64 v[67:68], v[67:68], v[61:62]
	ds_load_b128 v[59:62], v1 offset:1616
	s_waitcnt vmcnt(9) lgkmcnt(1)
	v_mul_f64 v[91:92], v[2:3], v[20:21]
	v_mul_f64 v[20:21], v[4:5], v[20:21]
	s_waitcnt vmcnt(8) lgkmcnt(0)
	v_mul_f64 v[69:70], v[59:60], v[24:25]
	v_mul_f64 v[24:25], v[61:62], v[24:25]
	v_add_f64 v[46:47], v[46:47], v[89:90]
	v_add_f64 v[67:68], v[67:68], v[85:86]
	v_fma_f64 v[85:86], v[4:5], v[18:19], v[91:92]
	v_fma_f64 v[89:90], v[2:3], v[18:19], -v[20:21]
	ds_load_b128 v[2:5], v1 offset:1632
	scratch_load_b128 v[18:21], off, off offset:784
	v_fma_f64 v[61:62], v[61:62], v[22:23], v[69:70]
	v_fma_f64 v[59:60], v[59:60], v[22:23], -v[24:25]
	scratch_load_b128 v[22:25], off, off offset:800
	v_add_f64 v[46:47], v[46:47], v[63:64]
	v_add_f64 v[67:68], v[67:68], v[65:66]
	ds_load_b128 v[63:66], v1 offset:1648
	s_waitcnt vmcnt(9) lgkmcnt(1)
	v_mul_f64 v[91:92], v[2:3], v[28:29]
	v_mul_f64 v[28:29], v[4:5], v[28:29]
	s_waitcnt vmcnt(8) lgkmcnt(0)
	v_mul_f64 v[69:70], v[63:64], v[32:33]
	v_mul_f64 v[32:33], v[65:66], v[32:33]
	v_add_f64 v[46:47], v[46:47], v[89:90]
	v_add_f64 v[67:68], v[67:68], v[85:86]
	v_fma_f64 v[85:86], v[4:5], v[26:27], v[91:92]
	v_fma_f64 v[89:90], v[2:3], v[26:27], -v[28:29]
	ds_load_b128 v[2:5], v1 offset:1664
	scratch_load_b128 v[26:29], off, off offset:816
	v_fma_f64 v[65:66], v[65:66], v[30:31], v[69:70]
	v_fma_f64 v[63:64], v[63:64], v[30:31], -v[32:33]
	scratch_load_b128 v[30:33], off, off offset:832
	v_add_f64 v[46:47], v[46:47], v[59:60]
	v_add_f64 v[67:68], v[67:68], v[61:62]
	ds_load_b128 v[59:62], v1 offset:1680
	s_waitcnt vmcnt(9) lgkmcnt(1)
	v_mul_f64 v[91:92], v[2:3], v[36:37]
	v_mul_f64 v[36:37], v[4:5], v[36:37]
	s_waitcnt vmcnt(8) lgkmcnt(0)
	v_mul_f64 v[69:70], v[59:60], v[40:41]
	v_mul_f64 v[40:41], v[61:62], v[40:41]
	v_add_f64 v[46:47], v[46:47], v[89:90]
	v_add_f64 v[67:68], v[67:68], v[85:86]
	v_fma_f64 v[85:86], v[4:5], v[34:35], v[91:92]
	v_fma_f64 v[89:90], v[2:3], v[34:35], -v[36:37]
	ds_load_b128 v[2:5], v1 offset:1696
	scratch_load_b128 v[34:37], off, off offset:848
	v_fma_f64 v[61:62], v[61:62], v[38:39], v[69:70]
	v_fma_f64 v[59:60], v[59:60], v[38:39], -v[40:41]
	scratch_load_b128 v[38:41], off, off offset:864
	v_add_f64 v[46:47], v[46:47], v[63:64]
	v_add_f64 v[67:68], v[67:68], v[65:66]
	ds_load_b128 v[63:66], v1 offset:1712
	s_waitcnt vmcnt(9) lgkmcnt(1)
	v_mul_f64 v[91:92], v[2:3], v[44:45]
	v_mul_f64 v[44:45], v[4:5], v[44:45]
	s_waitcnt vmcnt(8) lgkmcnt(0)
	v_mul_f64 v[69:70], v[63:64], v[8:9]
	v_mul_f64 v[8:9], v[65:66], v[8:9]
	v_add_f64 v[46:47], v[46:47], v[89:90]
	v_add_f64 v[67:68], v[67:68], v[85:86]
	v_fma_f64 v[85:86], v[4:5], v[42:43], v[91:92]
	v_fma_f64 v[89:90], v[2:3], v[42:43], -v[44:45]
	ds_load_b128 v[2:5], v1 offset:1728
	scratch_load_b128 v[42:45], off, off offset:880
	v_fma_f64 v[65:66], v[65:66], v[6:7], v[69:70]
	v_fma_f64 v[63:64], v[63:64], v[6:7], -v[8:9]
	scratch_load_b128 v[6:9], off, off offset:896
	v_add_f64 v[46:47], v[46:47], v[59:60]
	v_add_f64 v[67:68], v[67:68], v[61:62]
	ds_load_b128 v[59:62], v1 offset:1744
	s_waitcnt vmcnt(9) lgkmcnt(1)
	v_mul_f64 v[91:92], v[2:3], v[12:13]
	v_mul_f64 v[12:13], v[4:5], v[12:13]
	s_waitcnt vmcnt(8) lgkmcnt(0)
	v_mul_f64 v[69:70], v[59:60], v[16:17]
	v_mul_f64 v[16:17], v[61:62], v[16:17]
	v_add_f64 v[46:47], v[46:47], v[89:90]
	v_add_f64 v[67:68], v[67:68], v[85:86]
	v_fma_f64 v[85:86], v[4:5], v[10:11], v[91:92]
	v_fma_f64 v[89:90], v[2:3], v[10:11], -v[12:13]
	ds_load_b128 v[2:5], v1 offset:1760
	scratch_load_b128 v[10:13], off, off offset:912
	v_fma_f64 v[61:62], v[61:62], v[14:15], v[69:70]
	v_fma_f64 v[59:60], v[59:60], v[14:15], -v[16:17]
	scratch_load_b128 v[14:17], off, off offset:928
	v_add_f64 v[46:47], v[46:47], v[63:64]
	v_add_f64 v[67:68], v[67:68], v[65:66]
	ds_load_b128 v[63:66], v1 offset:1776
	s_waitcnt vmcnt(9) lgkmcnt(1)
	v_mul_f64 v[91:92], v[2:3], v[20:21]
	v_mul_f64 v[20:21], v[4:5], v[20:21]
	s_waitcnt vmcnt(8) lgkmcnt(0)
	v_mul_f64 v[69:70], v[63:64], v[24:25]
	v_mul_f64 v[24:25], v[65:66], v[24:25]
	v_add_f64 v[46:47], v[46:47], v[89:90]
	v_add_f64 v[67:68], v[67:68], v[85:86]
	v_fma_f64 v[85:86], v[4:5], v[18:19], v[91:92]
	v_fma_f64 v[89:90], v[2:3], v[18:19], -v[20:21]
	ds_load_b128 v[2:5], v1 offset:1792
	scratch_load_b128 v[18:21], off, off offset:944
	v_fma_f64 v[65:66], v[65:66], v[22:23], v[69:70]
	v_fma_f64 v[63:64], v[63:64], v[22:23], -v[24:25]
	scratch_load_b128 v[22:25], off, off offset:960
	v_add_f64 v[46:47], v[46:47], v[59:60]
	v_add_f64 v[67:68], v[67:68], v[61:62]
	ds_load_b128 v[59:62], v1 offset:1808
	s_waitcnt vmcnt(9) lgkmcnt(1)
	v_mul_f64 v[91:92], v[2:3], v[28:29]
	v_mul_f64 v[28:29], v[4:5], v[28:29]
	s_waitcnt vmcnt(8) lgkmcnt(0)
	v_mul_f64 v[69:70], v[59:60], v[32:33]
	v_mul_f64 v[32:33], v[61:62], v[32:33]
	v_add_f64 v[46:47], v[46:47], v[89:90]
	v_add_f64 v[67:68], v[67:68], v[85:86]
	v_fma_f64 v[85:86], v[4:5], v[26:27], v[91:92]
	v_fma_f64 v[89:90], v[2:3], v[26:27], -v[28:29]
	ds_load_b128 v[2:5], v1 offset:1824
	ds_load_b128 v[26:29], v1 offset:1840
	v_fma_f64 v[61:62], v[61:62], v[30:31], v[69:70]
	v_fma_f64 v[30:31], v[59:60], v[30:31], -v[32:33]
	v_add_f64 v[46:47], v[46:47], v[63:64]
	v_add_f64 v[63:64], v[67:68], v[65:66]
	s_waitcnt vmcnt(7) lgkmcnt(1)
	v_mul_f64 v[65:66], v[2:3], v[36:37]
	v_mul_f64 v[36:37], v[4:5], v[36:37]
	s_waitcnt vmcnt(6) lgkmcnt(0)
	v_mul_f64 v[59:60], v[26:27], v[40:41]
	v_mul_f64 v[40:41], v[28:29], v[40:41]
	v_add_f64 v[32:33], v[46:47], v[89:90]
	v_add_f64 v[46:47], v[63:64], v[85:86]
	v_fma_f64 v[63:64], v[4:5], v[34:35], v[65:66]
	v_fma_f64 v[34:35], v[2:3], v[34:35], -v[36:37]
	v_fma_f64 v[28:29], v[28:29], v[38:39], v[59:60]
	v_fma_f64 v[26:27], v[26:27], v[38:39], -v[40:41]
	v_add_f64 v[36:37], v[32:33], v[30:31]
	v_add_f64 v[46:47], v[46:47], v[61:62]
	ds_load_b128 v[2:5], v1 offset:1856
	ds_load_b128 v[30:33], v1 offset:1872
	s_waitcnt vmcnt(5) lgkmcnt(1)
	v_mul_f64 v[61:62], v[2:3], v[44:45]
	v_mul_f64 v[44:45], v[4:5], v[44:45]
	s_waitcnt vmcnt(4) lgkmcnt(0)
	v_mul_f64 v[38:39], v[30:31], v[8:9]
	v_mul_f64 v[8:9], v[32:33], v[8:9]
	v_add_f64 v[34:35], v[36:37], v[34:35]
	v_add_f64 v[36:37], v[46:47], v[63:64]
	v_fma_f64 v[40:41], v[4:5], v[42:43], v[61:62]
	v_fma_f64 v[42:43], v[2:3], v[42:43], -v[44:45]
	v_fma_f64 v[32:33], v[32:33], v[6:7], v[38:39]
	v_fma_f64 v[6:7], v[30:31], v[6:7], -v[8:9]
	v_add_f64 v[34:35], v[34:35], v[26:27]
	v_add_f64 v[36:37], v[36:37], v[28:29]
	ds_load_b128 v[2:5], v1 offset:1888
	ds_load_b128 v[26:29], v1 offset:1904
	s_waitcnt vmcnt(3) lgkmcnt(1)
	v_mul_f64 v[44:45], v[2:3], v[12:13]
	v_mul_f64 v[12:13], v[4:5], v[12:13]
	v_add_f64 v[8:9], v[34:35], v[42:43]
	v_add_f64 v[30:31], v[36:37], v[40:41]
	s_waitcnt vmcnt(2) lgkmcnt(0)
	v_mul_f64 v[34:35], v[26:27], v[16:17]
	v_mul_f64 v[16:17], v[28:29], v[16:17]
	v_fma_f64 v[36:37], v[4:5], v[10:11], v[44:45]
	v_fma_f64 v[10:11], v[2:3], v[10:11], -v[12:13]
	v_add_f64 v[12:13], v[8:9], v[6:7]
	v_add_f64 v[30:31], v[30:31], v[32:33]
	ds_load_b128 v[2:5], v1 offset:1920
	ds_load_b128 v[6:9], v1 offset:1936
	v_fma_f64 v[28:29], v[28:29], v[14:15], v[34:35]
	v_fma_f64 v[14:15], v[26:27], v[14:15], -v[16:17]
	s_waitcnt vmcnt(1) lgkmcnt(1)
	v_mul_f64 v[32:33], v[2:3], v[20:21]
	v_mul_f64 v[20:21], v[4:5], v[20:21]
	s_waitcnt vmcnt(0) lgkmcnt(0)
	v_mul_f64 v[16:17], v[6:7], v[24:25]
	v_mul_f64 v[24:25], v[8:9], v[24:25]
	v_add_f64 v[10:11], v[12:13], v[10:11]
	v_add_f64 v[12:13], v[30:31], v[36:37]
	v_fma_f64 v[4:5], v[4:5], v[18:19], v[32:33]
	v_fma_f64 v[1:2], v[2:3], v[18:19], -v[20:21]
	v_fma_f64 v[8:9], v[8:9], v[22:23], v[16:17]
	v_fma_f64 v[6:7], v[6:7], v[22:23], -v[24:25]
	v_add_f64 v[10:11], v[10:11], v[14:15]
	v_add_f64 v[12:13], v[12:13], v[28:29]
	s_delay_alu instid0(VALU_DEP_2) | instskip(NEXT) | instid1(VALU_DEP_2)
	v_add_f64 v[1:2], v[10:11], v[1:2]
	v_add_f64 v[3:4], v[12:13], v[4:5]
	s_delay_alu instid0(VALU_DEP_2) | instskip(NEXT) | instid1(VALU_DEP_2)
	;; [unrolled: 3-line block ×3, first 2 shown]
	v_add_f64 v[1:2], v[55:56], -v[1:2]
	v_add_f64 v[3:4], v[57:58], -v[3:4]
	scratch_store_b128 off, v[1:4], off offset:64
	v_cmpx_lt_u32_e32 3, v171
	s_cbranch_execz .LBB60_385
; %bb.384:
	scratch_load_b128 v[1:4], v209, off
	v_mov_b32_e32 v5, 0
	s_delay_alu instid0(VALU_DEP_1)
	v_mov_b32_e32 v6, v5
	v_mov_b32_e32 v7, v5
	;; [unrolled: 1-line block ×3, first 2 shown]
	scratch_store_b128 off, v[5:8], off offset:48
	s_waitcnt vmcnt(0)
	ds_store_b128 v229, v[1:4]
.LBB60_385:
	s_or_b32 exec_lo, exec_lo, s2
	s_waitcnt lgkmcnt(0)
	s_waitcnt_vscnt null, 0x0
	s_barrier
	buffer_gl0_inv
	s_clause 0x7
	scratch_load_b128 v[2:5], off, off offset:64
	scratch_load_b128 v[6:9], off, off offset:80
	;; [unrolled: 1-line block ×8, first 2 shown]
	v_mov_b32_e32 v1, 0
	s_mov_b32 s2, exec_lo
	ds_load_b128 v[38:41], v1 offset:1040
	s_clause 0x1
	scratch_load_b128 v[34:37], off, off offset:192
	scratch_load_b128 v[42:45], off, off offset:48
	ds_load_b128 v[55:58], v1 offset:1056
	scratch_load_b128 v[59:62], off, off offset:208
	ds_load_b128 v[63:66], v1 offset:1088
	s_waitcnt vmcnt(10) lgkmcnt(2)
	v_mul_f64 v[46:47], v[40:41], v[4:5]
	v_mul_f64 v[4:5], v[38:39], v[4:5]
	s_delay_alu instid0(VALU_DEP_2) | instskip(NEXT) | instid1(VALU_DEP_2)
	v_fma_f64 v[46:47], v[38:39], v[2:3], -v[46:47]
	v_fma_f64 v[69:70], v[40:41], v[2:3], v[4:5]
	ds_load_b128 v[2:5], v1 offset:1072
	s_waitcnt vmcnt(9) lgkmcnt(2)
	v_mul_f64 v[67:68], v[55:56], v[8:9]
	v_mul_f64 v[8:9], v[57:58], v[8:9]
	scratch_load_b128 v[38:41], off, off offset:224
	s_waitcnt vmcnt(9) lgkmcnt(0)
	v_mul_f64 v[85:86], v[2:3], v[12:13]
	v_mul_f64 v[12:13], v[4:5], v[12:13]
	v_add_f64 v[46:47], v[46:47], 0
	v_fma_f64 v[57:58], v[57:58], v[6:7], v[67:68]
	v_fma_f64 v[55:56], v[55:56], v[6:7], -v[8:9]
	v_add_f64 v[67:68], v[69:70], 0
	scratch_load_b128 v[6:9], off, off offset:240
	v_fma_f64 v[85:86], v[4:5], v[10:11], v[85:86]
	v_fma_f64 v[89:90], v[2:3], v[10:11], -v[12:13]
	scratch_load_b128 v[10:13], off, off offset:256
	ds_load_b128 v[2:5], v1 offset:1104
	s_waitcnt vmcnt(10)
	v_mul_f64 v[69:70], v[63:64], v[16:17]
	v_mul_f64 v[16:17], v[65:66], v[16:17]
	v_add_f64 v[46:47], v[46:47], v[55:56]
	v_add_f64 v[67:68], v[67:68], v[57:58]
	ds_load_b128 v[55:58], v1 offset:1120
	s_waitcnt vmcnt(9) lgkmcnt(1)
	v_mul_f64 v[91:92], v[2:3], v[20:21]
	v_mul_f64 v[20:21], v[4:5], v[20:21]
	v_fma_f64 v[65:66], v[65:66], v[14:15], v[69:70]
	v_fma_f64 v[63:64], v[63:64], v[14:15], -v[16:17]
	scratch_load_b128 v[14:17], off, off offset:272
	v_add_f64 v[46:47], v[46:47], v[89:90]
	v_add_f64 v[67:68], v[67:68], v[85:86]
	v_fma_f64 v[85:86], v[4:5], v[18:19], v[91:92]
	v_fma_f64 v[89:90], v[2:3], v[18:19], -v[20:21]
	scratch_load_b128 v[18:21], off, off offset:288
	ds_load_b128 v[2:5], v1 offset:1136
	s_waitcnt vmcnt(10) lgkmcnt(1)
	v_mul_f64 v[69:70], v[55:56], v[24:25]
	v_mul_f64 v[24:25], v[57:58], v[24:25]
	s_waitcnt vmcnt(9) lgkmcnt(0)
	v_mul_f64 v[91:92], v[2:3], v[28:29]
	v_mul_f64 v[28:29], v[4:5], v[28:29]
	v_add_f64 v[46:47], v[46:47], v[63:64]
	v_add_f64 v[67:68], v[67:68], v[65:66]
	ds_load_b128 v[63:66], v1 offset:1152
	v_fma_f64 v[57:58], v[57:58], v[22:23], v[69:70]
	v_fma_f64 v[55:56], v[55:56], v[22:23], -v[24:25]
	scratch_load_b128 v[22:25], off, off offset:304
	v_add_f64 v[46:47], v[46:47], v[89:90]
	v_add_f64 v[67:68], v[67:68], v[85:86]
	v_fma_f64 v[85:86], v[4:5], v[26:27], v[91:92]
	v_fma_f64 v[89:90], v[2:3], v[26:27], -v[28:29]
	scratch_load_b128 v[26:29], off, off offset:320
	ds_load_b128 v[2:5], v1 offset:1168
	s_waitcnt vmcnt(10) lgkmcnt(1)
	v_mul_f64 v[69:70], v[63:64], v[32:33]
	v_mul_f64 v[32:33], v[65:66], v[32:33]
	s_waitcnt vmcnt(9) lgkmcnt(0)
	v_mul_f64 v[91:92], v[2:3], v[36:37]
	v_mul_f64 v[36:37], v[4:5], v[36:37]
	v_add_f64 v[46:47], v[46:47], v[55:56]
	v_add_f64 v[67:68], v[67:68], v[57:58]
	ds_load_b128 v[55:58], v1 offset:1184
	v_fma_f64 v[65:66], v[65:66], v[30:31], v[69:70]
	v_fma_f64 v[63:64], v[63:64], v[30:31], -v[32:33]
	scratch_load_b128 v[30:33], off, off offset:336
	v_add_f64 v[46:47], v[46:47], v[89:90]
	v_add_f64 v[67:68], v[67:68], v[85:86]
	v_fma_f64 v[89:90], v[4:5], v[34:35], v[91:92]
	v_fma_f64 v[91:92], v[2:3], v[34:35], -v[36:37]
	scratch_load_b128 v[34:37], off, off offset:352
	ds_load_b128 v[2:5], v1 offset:1200
	s_waitcnt vmcnt(9) lgkmcnt(1)
	v_mul_f64 v[69:70], v[55:56], v[61:62]
	v_mul_f64 v[85:86], v[57:58], v[61:62]
	v_add_f64 v[46:47], v[46:47], v[63:64]
	v_add_f64 v[65:66], v[67:68], v[65:66]
	ds_load_b128 v[61:64], v1 offset:1216
	v_fma_f64 v[69:70], v[57:58], v[59:60], v[69:70]
	v_fma_f64 v[59:60], v[55:56], v[59:60], -v[85:86]
	scratch_load_b128 v[55:58], off, off offset:368
	s_waitcnt vmcnt(9) lgkmcnt(1)
	v_mul_f64 v[67:68], v[2:3], v[40:41]
	v_mul_f64 v[40:41], v[4:5], v[40:41]
	v_add_f64 v[46:47], v[46:47], v[91:92]
	v_add_f64 v[65:66], v[65:66], v[89:90]
	s_delay_alu instid0(VALU_DEP_4) | instskip(NEXT) | instid1(VALU_DEP_4)
	v_fma_f64 v[89:90], v[4:5], v[38:39], v[67:68]
	v_fma_f64 v[91:92], v[2:3], v[38:39], -v[40:41]
	scratch_load_b128 v[38:41], off, off offset:384
	ds_load_b128 v[2:5], v1 offset:1232
	s_waitcnt vmcnt(9) lgkmcnt(1)
	v_mul_f64 v[85:86], v[61:62], v[8:9]
	v_mul_f64 v[8:9], v[63:64], v[8:9]
	v_add_f64 v[46:47], v[46:47], v[59:60]
	v_add_f64 v[59:60], v[65:66], v[69:70]
	s_waitcnt vmcnt(8) lgkmcnt(0)
	v_mul_f64 v[69:70], v[2:3], v[12:13]
	v_mul_f64 v[12:13], v[4:5], v[12:13]
	ds_load_b128 v[65:68], v1 offset:1248
	v_fma_f64 v[63:64], v[63:64], v[6:7], v[85:86]
	v_fma_f64 v[61:62], v[61:62], v[6:7], -v[8:9]
	scratch_load_b128 v[6:9], off, off offset:400
	v_add_f64 v[46:47], v[46:47], v[91:92]
	v_add_f64 v[59:60], v[59:60], v[89:90]
	v_fma_f64 v[69:70], v[4:5], v[10:11], v[69:70]
	v_fma_f64 v[89:90], v[2:3], v[10:11], -v[12:13]
	scratch_load_b128 v[10:13], off, off offset:416
	ds_load_b128 v[2:5], v1 offset:1264
	s_waitcnt vmcnt(9) lgkmcnt(1)
	v_mul_f64 v[85:86], v[65:66], v[16:17]
	v_mul_f64 v[16:17], v[67:68], v[16:17]
	s_waitcnt vmcnt(8) lgkmcnt(0)
	v_mul_f64 v[91:92], v[2:3], v[20:21]
	v_mul_f64 v[20:21], v[4:5], v[20:21]
	v_add_f64 v[46:47], v[46:47], v[61:62]
	v_add_f64 v[63:64], v[59:60], v[63:64]
	ds_load_b128 v[59:62], v1 offset:1280
	v_fma_f64 v[67:68], v[67:68], v[14:15], v[85:86]
	v_fma_f64 v[65:66], v[65:66], v[14:15], -v[16:17]
	scratch_load_b128 v[14:17], off, off offset:432
	v_fma_f64 v[85:86], v[4:5], v[18:19], v[91:92]
	v_add_f64 v[46:47], v[46:47], v[89:90]
	v_add_f64 v[63:64], v[63:64], v[69:70]
	v_fma_f64 v[89:90], v[2:3], v[18:19], -v[20:21]
	scratch_load_b128 v[18:21], off, off offset:448
	ds_load_b128 v[2:5], v1 offset:1296
	s_waitcnt vmcnt(9) lgkmcnt(1)
	v_mul_f64 v[69:70], v[59:60], v[24:25]
	v_mul_f64 v[24:25], v[61:62], v[24:25]
	s_waitcnt vmcnt(8) lgkmcnt(0)
	v_mul_f64 v[91:92], v[2:3], v[28:29]
	v_mul_f64 v[28:29], v[4:5], v[28:29]
	v_add_f64 v[46:47], v[46:47], v[65:66]
	v_add_f64 v[67:68], v[63:64], v[67:68]
	ds_load_b128 v[63:66], v1 offset:1312
	v_fma_f64 v[61:62], v[61:62], v[22:23], v[69:70]
	v_fma_f64 v[59:60], v[59:60], v[22:23], -v[24:25]
	scratch_load_b128 v[22:25], off, off offset:464
	v_add_f64 v[46:47], v[46:47], v[89:90]
	v_add_f64 v[67:68], v[67:68], v[85:86]
	v_fma_f64 v[85:86], v[4:5], v[26:27], v[91:92]
	v_fma_f64 v[89:90], v[2:3], v[26:27], -v[28:29]
	scratch_load_b128 v[26:29], off, off offset:480
	ds_load_b128 v[2:5], v1 offset:1328
	s_waitcnt vmcnt(9) lgkmcnt(1)
	v_mul_f64 v[69:70], v[63:64], v[32:33]
	v_mul_f64 v[32:33], v[65:66], v[32:33]
	s_waitcnt vmcnt(8) lgkmcnt(0)
	v_mul_f64 v[91:92], v[2:3], v[36:37]
	v_mul_f64 v[36:37], v[4:5], v[36:37]
	v_add_f64 v[46:47], v[46:47], v[59:60]
	v_add_f64 v[67:68], v[67:68], v[61:62]
	ds_load_b128 v[59:62], v1 offset:1344
	v_fma_f64 v[65:66], v[65:66], v[30:31], v[69:70]
	v_fma_f64 v[63:64], v[63:64], v[30:31], -v[32:33]
	scratch_load_b128 v[30:33], off, off offset:496
	v_add_f64 v[46:47], v[46:47], v[89:90]
	v_add_f64 v[67:68], v[67:68], v[85:86]
	v_fma_f64 v[85:86], v[4:5], v[34:35], v[91:92]
	;; [unrolled: 18-line block ×7, first 2 shown]
	v_fma_f64 v[91:92], v[2:3], v[34:35], -v[36:37]
	scratch_load_b128 v[34:37], off, off offset:672
	ds_load_b128 v[2:5], v1 offset:1520
	s_waitcnt vmcnt(9) lgkmcnt(1)
	v_mul_f64 v[69:70], v[63:64], v[57:58]
	v_mul_f64 v[85:86], v[65:66], v[57:58]
	v_add_f64 v[46:47], v[46:47], v[59:60]
	v_add_f64 v[61:62], v[67:68], v[61:62]
	s_waitcnt vmcnt(8) lgkmcnt(0)
	v_mul_f64 v[67:68], v[2:3], v[40:41]
	v_mul_f64 v[40:41], v[4:5], v[40:41]
	ds_load_b128 v[57:60], v1 offset:1536
	v_fma_f64 v[65:66], v[65:66], v[55:56], v[69:70]
	v_fma_f64 v[55:56], v[63:64], v[55:56], -v[85:86]
	v_add_f64 v[46:47], v[46:47], v[91:92]
	v_add_f64 v[69:70], v[61:62], v[89:90]
	scratch_load_b128 v[61:64], off, off offset:688
	v_fma_f64 v[89:90], v[4:5], v[38:39], v[67:68]
	v_fma_f64 v[91:92], v[2:3], v[38:39], -v[40:41]
	scratch_load_b128 v[38:41], off, off offset:704
	ds_load_b128 v[2:5], v1 offset:1552
	s_waitcnt vmcnt(9) lgkmcnt(1)
	v_mul_f64 v[85:86], v[57:58], v[8:9]
	v_mul_f64 v[8:9], v[59:60], v[8:9]
	v_add_f64 v[46:47], v[46:47], v[55:56]
	v_add_f64 v[55:56], v[69:70], v[65:66]
	s_waitcnt vmcnt(8) lgkmcnt(0)
	v_mul_f64 v[69:70], v[2:3], v[12:13]
	v_mul_f64 v[12:13], v[4:5], v[12:13]
	ds_load_b128 v[65:68], v1 offset:1568
	v_fma_f64 v[59:60], v[59:60], v[6:7], v[85:86]
	v_fma_f64 v[57:58], v[57:58], v[6:7], -v[8:9]
	scratch_load_b128 v[6:9], off, off offset:720
	v_add_f64 v[46:47], v[46:47], v[91:92]
	v_add_f64 v[55:56], v[55:56], v[89:90]
	v_fma_f64 v[69:70], v[4:5], v[10:11], v[69:70]
	v_fma_f64 v[89:90], v[2:3], v[10:11], -v[12:13]
	scratch_load_b128 v[10:13], off, off offset:736
	ds_load_b128 v[2:5], v1 offset:1584
	s_waitcnt vmcnt(9) lgkmcnt(1)
	v_mul_f64 v[85:86], v[65:66], v[16:17]
	v_mul_f64 v[16:17], v[67:68], v[16:17]
	s_waitcnt vmcnt(8) lgkmcnt(0)
	v_mul_f64 v[91:92], v[2:3], v[20:21]
	v_mul_f64 v[20:21], v[4:5], v[20:21]
	v_add_f64 v[46:47], v[46:47], v[57:58]
	v_add_f64 v[59:60], v[55:56], v[59:60]
	ds_load_b128 v[55:58], v1 offset:1600
	v_fma_f64 v[67:68], v[67:68], v[14:15], v[85:86]
	v_fma_f64 v[65:66], v[65:66], v[14:15], -v[16:17]
	scratch_load_b128 v[14:17], off, off offset:752
	v_fma_f64 v[85:86], v[4:5], v[18:19], v[91:92]
	v_add_f64 v[46:47], v[46:47], v[89:90]
	v_add_f64 v[59:60], v[59:60], v[69:70]
	v_fma_f64 v[89:90], v[2:3], v[18:19], -v[20:21]
	scratch_load_b128 v[18:21], off, off offset:768
	ds_load_b128 v[2:5], v1 offset:1616
	s_waitcnt vmcnt(9) lgkmcnt(1)
	v_mul_f64 v[69:70], v[55:56], v[24:25]
	v_mul_f64 v[24:25], v[57:58], v[24:25]
	s_waitcnt vmcnt(8) lgkmcnt(0)
	v_mul_f64 v[91:92], v[2:3], v[28:29]
	v_mul_f64 v[28:29], v[4:5], v[28:29]
	v_add_f64 v[46:47], v[46:47], v[65:66]
	v_add_f64 v[59:60], v[59:60], v[67:68]
	ds_load_b128 v[65:68], v1 offset:1632
	v_fma_f64 v[57:58], v[57:58], v[22:23], v[69:70]
	v_fma_f64 v[55:56], v[55:56], v[22:23], -v[24:25]
	scratch_load_b128 v[22:25], off, off offset:784
	v_add_f64 v[46:47], v[46:47], v[89:90]
	v_add_f64 v[59:60], v[59:60], v[85:86]
	v_fma_f64 v[85:86], v[4:5], v[26:27], v[91:92]
	v_fma_f64 v[89:90], v[2:3], v[26:27], -v[28:29]
	scratch_load_b128 v[26:29], off, off offset:800
	ds_load_b128 v[2:5], v1 offset:1648
	s_waitcnt vmcnt(9) lgkmcnt(1)
	v_mul_f64 v[69:70], v[65:66], v[32:33]
	v_mul_f64 v[32:33], v[67:68], v[32:33]
	s_waitcnt vmcnt(8) lgkmcnt(0)
	v_mul_f64 v[91:92], v[2:3], v[36:37]
	v_mul_f64 v[36:37], v[4:5], v[36:37]
	v_add_f64 v[46:47], v[46:47], v[55:56]
	v_add_f64 v[59:60], v[59:60], v[57:58]
	ds_load_b128 v[55:58], v1 offset:1664
	v_fma_f64 v[67:68], v[67:68], v[30:31], v[69:70]
	v_fma_f64 v[65:66], v[65:66], v[30:31], -v[32:33]
	scratch_load_b128 v[30:33], off, off offset:816
	v_add_f64 v[46:47], v[46:47], v[89:90]
	v_add_f64 v[59:60], v[59:60], v[85:86]
	v_fma_f64 v[89:90], v[4:5], v[34:35], v[91:92]
	v_fma_f64 v[91:92], v[2:3], v[34:35], -v[36:37]
	scratch_load_b128 v[34:37], off, off offset:832
	ds_load_b128 v[2:5], v1 offset:1680
	s_waitcnt vmcnt(9) lgkmcnt(1)
	v_mul_f64 v[69:70], v[55:56], v[63:64]
	v_mul_f64 v[85:86], v[57:58], v[63:64]
	v_add_f64 v[46:47], v[46:47], v[65:66]
	v_add_f64 v[59:60], v[59:60], v[67:68]
	s_waitcnt vmcnt(8) lgkmcnt(0)
	v_mul_f64 v[67:68], v[2:3], v[40:41]
	v_mul_f64 v[40:41], v[4:5], v[40:41]
	ds_load_b128 v[63:66], v1 offset:1696
	v_fma_f64 v[69:70], v[57:58], v[61:62], v[69:70]
	v_fma_f64 v[61:62], v[55:56], v[61:62], -v[85:86]
	scratch_load_b128 v[55:58], off, off offset:848
	v_add_f64 v[46:47], v[46:47], v[91:92]
	v_add_f64 v[59:60], v[59:60], v[89:90]
	v_fma_f64 v[67:68], v[4:5], v[38:39], v[67:68]
	v_fma_f64 v[89:90], v[2:3], v[38:39], -v[40:41]
	scratch_load_b128 v[38:41], off, off offset:864
	ds_load_b128 v[2:5], v1 offset:1712
	s_waitcnt vmcnt(9) lgkmcnt(1)
	v_mul_f64 v[85:86], v[63:64], v[8:9]
	v_mul_f64 v[8:9], v[65:66], v[8:9]
	s_waitcnt vmcnt(8) lgkmcnt(0)
	v_mul_f64 v[91:92], v[2:3], v[12:13]
	v_mul_f64 v[12:13], v[4:5], v[12:13]
	v_add_f64 v[46:47], v[46:47], v[61:62]
	v_add_f64 v[69:70], v[59:60], v[69:70]
	ds_load_b128 v[59:62], v1 offset:1728
	v_fma_f64 v[65:66], v[65:66], v[6:7], v[85:86]
	v_fma_f64 v[63:64], v[63:64], v[6:7], -v[8:9]
	scratch_load_b128 v[6:9], off, off offset:880
	v_fma_f64 v[85:86], v[4:5], v[10:11], v[91:92]
	v_add_f64 v[46:47], v[46:47], v[89:90]
	v_add_f64 v[67:68], v[69:70], v[67:68]
	v_fma_f64 v[89:90], v[2:3], v[10:11], -v[12:13]
	scratch_load_b128 v[10:13], off, off offset:896
	ds_load_b128 v[2:5], v1 offset:1744
	s_waitcnt vmcnt(9) lgkmcnt(1)
	v_mul_f64 v[69:70], v[59:60], v[16:17]
	v_mul_f64 v[16:17], v[61:62], v[16:17]
	s_waitcnt vmcnt(8) lgkmcnt(0)
	v_mul_f64 v[91:92], v[2:3], v[20:21]
	v_mul_f64 v[20:21], v[4:5], v[20:21]
	v_add_f64 v[46:47], v[46:47], v[63:64]
	v_add_f64 v[67:68], v[67:68], v[65:66]
	ds_load_b128 v[63:66], v1 offset:1760
	v_fma_f64 v[61:62], v[61:62], v[14:15], v[69:70]
	v_fma_f64 v[59:60], v[59:60], v[14:15], -v[16:17]
	scratch_load_b128 v[14:17], off, off offset:912
	v_add_f64 v[46:47], v[46:47], v[89:90]
	v_add_f64 v[67:68], v[67:68], v[85:86]
	v_fma_f64 v[85:86], v[4:5], v[18:19], v[91:92]
	v_fma_f64 v[89:90], v[2:3], v[18:19], -v[20:21]
	scratch_load_b128 v[18:21], off, off offset:928
	ds_load_b128 v[2:5], v1 offset:1776
	s_waitcnt vmcnt(9) lgkmcnt(1)
	v_mul_f64 v[69:70], v[63:64], v[24:25]
	v_mul_f64 v[24:25], v[65:66], v[24:25]
	s_waitcnt vmcnt(8) lgkmcnt(0)
	v_mul_f64 v[91:92], v[2:3], v[28:29]
	v_mul_f64 v[28:29], v[4:5], v[28:29]
	v_add_f64 v[46:47], v[46:47], v[59:60]
	v_add_f64 v[67:68], v[67:68], v[61:62]
	ds_load_b128 v[59:62], v1 offset:1792
	v_fma_f64 v[65:66], v[65:66], v[22:23], v[69:70]
	v_fma_f64 v[63:64], v[63:64], v[22:23], -v[24:25]
	scratch_load_b128 v[22:25], off, off offset:944
	v_add_f64 v[46:47], v[46:47], v[89:90]
	v_add_f64 v[67:68], v[67:68], v[85:86]
	v_fma_f64 v[85:86], v[4:5], v[26:27], v[91:92]
	v_fma_f64 v[89:90], v[2:3], v[26:27], -v[28:29]
	scratch_load_b128 v[26:29], off, off offset:960
	ds_load_b128 v[2:5], v1 offset:1808
	s_waitcnt vmcnt(9) lgkmcnt(1)
	v_mul_f64 v[69:70], v[59:60], v[32:33]
	v_mul_f64 v[32:33], v[61:62], v[32:33]
	s_waitcnt vmcnt(8) lgkmcnt(0)
	v_mul_f64 v[91:92], v[2:3], v[36:37]
	v_mul_f64 v[36:37], v[4:5], v[36:37]
	v_add_f64 v[46:47], v[46:47], v[63:64]
	v_add_f64 v[67:68], v[67:68], v[65:66]
	ds_load_b128 v[63:66], v1 offset:1824
	v_fma_f64 v[61:62], v[61:62], v[30:31], v[69:70]
	v_fma_f64 v[30:31], v[59:60], v[30:31], -v[32:33]
	s_waitcnt vmcnt(7) lgkmcnt(0)
	v_mul_f64 v[59:60], v[63:64], v[57:58]
	v_mul_f64 v[57:58], v[65:66], v[57:58]
	v_add_f64 v[32:33], v[46:47], v[89:90]
	v_add_f64 v[46:47], v[67:68], v[85:86]
	v_fma_f64 v[67:68], v[4:5], v[34:35], v[91:92]
	v_fma_f64 v[34:35], v[2:3], v[34:35], -v[36:37]
	v_fma_f64 v[59:60], v[65:66], v[55:56], v[59:60]
	v_fma_f64 v[55:56], v[63:64], v[55:56], -v[57:58]
	v_add_f64 v[36:37], v[32:33], v[30:31]
	v_add_f64 v[46:47], v[46:47], v[61:62]
	ds_load_b128 v[2:5], v1 offset:1840
	ds_load_b128 v[30:33], v1 offset:1856
	s_waitcnt vmcnt(6) lgkmcnt(1)
	v_mul_f64 v[61:62], v[2:3], v[40:41]
	v_mul_f64 v[40:41], v[4:5], v[40:41]
	v_add_f64 v[34:35], v[36:37], v[34:35]
	v_add_f64 v[36:37], v[46:47], v[67:68]
	s_waitcnt vmcnt(5) lgkmcnt(0)
	v_mul_f64 v[46:47], v[30:31], v[8:9]
	v_mul_f64 v[8:9], v[32:33], v[8:9]
	v_fma_f64 v[57:58], v[4:5], v[38:39], v[61:62]
	v_fma_f64 v[38:39], v[2:3], v[38:39], -v[40:41]
	v_add_f64 v[40:41], v[34:35], v[55:56]
	v_add_f64 v[55:56], v[36:37], v[59:60]
	ds_load_b128 v[2:5], v1 offset:1872
	ds_load_b128 v[34:37], v1 offset:1888
	v_fma_f64 v[32:33], v[32:33], v[6:7], v[46:47]
	v_fma_f64 v[6:7], v[30:31], v[6:7], -v[8:9]
	s_waitcnt vmcnt(4) lgkmcnt(1)
	v_mul_f64 v[59:60], v[2:3], v[12:13]
	v_mul_f64 v[12:13], v[4:5], v[12:13]
	v_add_f64 v[8:9], v[40:41], v[38:39]
	v_add_f64 v[30:31], v[55:56], v[57:58]
	s_waitcnt vmcnt(3) lgkmcnt(0)
	v_mul_f64 v[38:39], v[34:35], v[16:17]
	v_mul_f64 v[16:17], v[36:37], v[16:17]
	v_fma_f64 v[40:41], v[4:5], v[10:11], v[59:60]
	v_fma_f64 v[10:11], v[2:3], v[10:11], -v[12:13]
	v_add_f64 v[12:13], v[8:9], v[6:7]
	v_add_f64 v[30:31], v[30:31], v[32:33]
	ds_load_b128 v[2:5], v1 offset:1904
	ds_load_b128 v[6:9], v1 offset:1920
	v_fma_f64 v[36:37], v[36:37], v[14:15], v[38:39]
	v_fma_f64 v[14:15], v[34:35], v[14:15], -v[16:17]
	s_waitcnt vmcnt(2) lgkmcnt(1)
	v_mul_f64 v[32:33], v[2:3], v[20:21]
	v_mul_f64 v[20:21], v[4:5], v[20:21]
	s_waitcnt vmcnt(1) lgkmcnt(0)
	v_mul_f64 v[16:17], v[6:7], v[24:25]
	v_mul_f64 v[24:25], v[8:9], v[24:25]
	v_add_f64 v[10:11], v[12:13], v[10:11]
	v_add_f64 v[12:13], v[30:31], v[40:41]
	v_fma_f64 v[30:31], v[4:5], v[18:19], v[32:33]
	v_fma_f64 v[18:19], v[2:3], v[18:19], -v[20:21]
	ds_load_b128 v[2:5], v1 offset:1936
	v_fma_f64 v[8:9], v[8:9], v[22:23], v[16:17]
	v_fma_f64 v[6:7], v[6:7], v[22:23], -v[24:25]
	v_add_f64 v[10:11], v[10:11], v[14:15]
	v_add_f64 v[12:13], v[12:13], v[36:37]
	s_waitcnt vmcnt(0) lgkmcnt(0)
	v_mul_f64 v[14:15], v[2:3], v[28:29]
	v_mul_f64 v[20:21], v[4:5], v[28:29]
	s_delay_alu instid0(VALU_DEP_4) | instskip(NEXT) | instid1(VALU_DEP_4)
	v_add_f64 v[10:11], v[10:11], v[18:19]
	v_add_f64 v[12:13], v[12:13], v[30:31]
	s_delay_alu instid0(VALU_DEP_4) | instskip(NEXT) | instid1(VALU_DEP_4)
	v_fma_f64 v[4:5], v[4:5], v[26:27], v[14:15]
	v_fma_f64 v[2:3], v[2:3], v[26:27], -v[20:21]
	s_delay_alu instid0(VALU_DEP_4) | instskip(NEXT) | instid1(VALU_DEP_4)
	v_add_f64 v[6:7], v[10:11], v[6:7]
	v_add_f64 v[8:9], v[12:13], v[8:9]
	s_delay_alu instid0(VALU_DEP_2) | instskip(NEXT) | instid1(VALU_DEP_2)
	v_add_f64 v[2:3], v[6:7], v[2:3]
	v_add_f64 v[4:5], v[8:9], v[4:5]
	s_delay_alu instid0(VALU_DEP_2) | instskip(NEXT) | instid1(VALU_DEP_2)
	v_add_f64 v[2:3], v[42:43], -v[2:3]
	v_add_f64 v[4:5], v[44:45], -v[4:5]
	scratch_store_b128 off, v[2:5], off offset:48
	v_cmpx_lt_u32_e32 2, v171
	s_cbranch_execz .LBB60_387
; %bb.386:
	scratch_load_b128 v[5:8], v223, off
	v_mov_b32_e32 v2, v1
	v_mov_b32_e32 v3, v1
	;; [unrolled: 1-line block ×3, first 2 shown]
	scratch_store_b128 off, v[1:4], off offset:32
	s_waitcnt vmcnt(0)
	ds_store_b128 v229, v[5:8]
.LBB60_387:
	s_or_b32 exec_lo, exec_lo, s2
	s_waitcnt lgkmcnt(0)
	s_waitcnt_vscnt null, 0x0
	s_barrier
	buffer_gl0_inv
	s_clause 0x8
	scratch_load_b128 v[2:5], off, off offset:48
	scratch_load_b128 v[6:9], off, off offset:64
	;; [unrolled: 1-line block ×9, first 2 shown]
	ds_load_b128 v[42:45], v1 offset:1024
	ds_load_b128 v[38:41], v1 offset:1040
	s_clause 0x1
	scratch_load_b128 v[55:58], off, off offset:32
	scratch_load_b128 v[59:62], off, off offset:192
	s_mov_b32 s2, exec_lo
	ds_load_b128 v[63:66], v1 offset:1072
	s_waitcnt vmcnt(10) lgkmcnt(2)
	v_mul_f64 v[46:47], v[44:45], v[4:5]
	v_mul_f64 v[4:5], v[42:43], v[4:5]
	s_waitcnt vmcnt(9) lgkmcnt(1)
	v_mul_f64 v[67:68], v[38:39], v[8:9]
	v_mul_f64 v[8:9], v[40:41], v[8:9]
	s_delay_alu instid0(VALU_DEP_4) | instskip(NEXT) | instid1(VALU_DEP_4)
	v_fma_f64 v[46:47], v[42:43], v[2:3], -v[46:47]
	v_fma_f64 v[69:70], v[44:45], v[2:3], v[4:5]
	ds_load_b128 v[2:5], v1 offset:1056
	scratch_load_b128 v[42:45], off, off offset:208
	v_fma_f64 v[40:41], v[40:41], v[6:7], v[67:68]
	v_fma_f64 v[38:39], v[38:39], v[6:7], -v[8:9]
	scratch_load_b128 v[6:9], off, off offset:224
	s_waitcnt vmcnt(10) lgkmcnt(0)
	v_mul_f64 v[85:86], v[2:3], v[12:13]
	v_mul_f64 v[12:13], v[4:5], v[12:13]
	v_add_f64 v[46:47], v[46:47], 0
	v_add_f64 v[67:68], v[69:70], 0
	s_waitcnt vmcnt(9)
	v_mul_f64 v[69:70], v[63:64], v[16:17]
	v_mul_f64 v[16:17], v[65:66], v[16:17]
	v_fma_f64 v[85:86], v[4:5], v[10:11], v[85:86]
	v_fma_f64 v[89:90], v[2:3], v[10:11], -v[12:13]
	ds_load_b128 v[2:5], v1 offset:1088
	scratch_load_b128 v[10:13], off, off offset:240
	v_add_f64 v[46:47], v[46:47], v[38:39]
	v_add_f64 v[67:68], v[67:68], v[40:41]
	ds_load_b128 v[38:41], v1 offset:1104
	v_fma_f64 v[65:66], v[65:66], v[14:15], v[69:70]
	v_fma_f64 v[63:64], v[63:64], v[14:15], -v[16:17]
	scratch_load_b128 v[14:17], off, off offset:256
	s_waitcnt vmcnt(10) lgkmcnt(1)
	v_mul_f64 v[91:92], v[2:3], v[20:21]
	v_mul_f64 v[20:21], v[4:5], v[20:21]
	s_waitcnt vmcnt(9) lgkmcnt(0)
	v_mul_f64 v[69:70], v[38:39], v[24:25]
	v_mul_f64 v[24:25], v[40:41], v[24:25]
	v_add_f64 v[46:47], v[46:47], v[89:90]
	v_add_f64 v[67:68], v[67:68], v[85:86]
	v_fma_f64 v[85:86], v[4:5], v[18:19], v[91:92]
	v_fma_f64 v[89:90], v[2:3], v[18:19], -v[20:21]
	ds_load_b128 v[2:5], v1 offset:1120
	scratch_load_b128 v[18:21], off, off offset:272
	v_fma_f64 v[40:41], v[40:41], v[22:23], v[69:70]
	v_fma_f64 v[38:39], v[38:39], v[22:23], -v[24:25]
	scratch_load_b128 v[22:25], off, off offset:288
	v_add_f64 v[46:47], v[46:47], v[63:64]
	v_add_f64 v[67:68], v[67:68], v[65:66]
	ds_load_b128 v[63:66], v1 offset:1136
	s_waitcnt vmcnt(10) lgkmcnt(1)
	v_mul_f64 v[91:92], v[2:3], v[28:29]
	v_mul_f64 v[28:29], v[4:5], v[28:29]
	s_waitcnt vmcnt(9) lgkmcnt(0)
	v_mul_f64 v[69:70], v[63:64], v[32:33]
	v_mul_f64 v[32:33], v[65:66], v[32:33]
	v_add_f64 v[46:47], v[46:47], v[89:90]
	v_add_f64 v[67:68], v[67:68], v[85:86]
	v_fma_f64 v[85:86], v[4:5], v[26:27], v[91:92]
	v_fma_f64 v[89:90], v[2:3], v[26:27], -v[28:29]
	ds_load_b128 v[2:5], v1 offset:1152
	scratch_load_b128 v[26:29], off, off offset:304
	v_fma_f64 v[65:66], v[65:66], v[30:31], v[69:70]
	v_fma_f64 v[63:64], v[63:64], v[30:31], -v[32:33]
	scratch_load_b128 v[30:33], off, off offset:320
	v_add_f64 v[46:47], v[46:47], v[38:39]
	v_add_f64 v[67:68], v[67:68], v[40:41]
	ds_load_b128 v[38:41], v1 offset:1168
	s_waitcnt vmcnt(10) lgkmcnt(1)
	v_mul_f64 v[91:92], v[2:3], v[36:37]
	v_mul_f64 v[36:37], v[4:5], v[36:37]
	s_waitcnt vmcnt(8) lgkmcnt(0)
	v_mul_f64 v[69:70], v[38:39], v[61:62]
	v_add_f64 v[46:47], v[46:47], v[89:90]
	v_add_f64 v[67:68], v[67:68], v[85:86]
	v_mul_f64 v[85:86], v[40:41], v[61:62]
	v_fma_f64 v[89:90], v[4:5], v[34:35], v[91:92]
	v_fma_f64 v[91:92], v[2:3], v[34:35], -v[36:37]
	ds_load_b128 v[2:5], v1 offset:1184
	scratch_load_b128 v[34:37], off, off offset:336
	v_fma_f64 v[69:70], v[40:41], v[59:60], v[69:70]
	v_add_f64 v[46:47], v[46:47], v[63:64]
	v_add_f64 v[65:66], v[67:68], v[65:66]
	ds_load_b128 v[61:64], v1 offset:1200
	v_fma_f64 v[59:60], v[38:39], v[59:60], -v[85:86]
	scratch_load_b128 v[38:41], off, off offset:352
	s_waitcnt vmcnt(9) lgkmcnt(1)
	v_mul_f64 v[67:68], v[2:3], v[44:45]
	v_mul_f64 v[44:45], v[4:5], v[44:45]
	s_waitcnt vmcnt(8) lgkmcnt(0)
	v_mul_f64 v[85:86], v[61:62], v[8:9]
	v_mul_f64 v[8:9], v[63:64], v[8:9]
	v_add_f64 v[46:47], v[46:47], v[91:92]
	v_add_f64 v[65:66], v[65:66], v[89:90]
	v_fma_f64 v[89:90], v[4:5], v[42:43], v[67:68]
	v_fma_f64 v[91:92], v[2:3], v[42:43], -v[44:45]
	ds_load_b128 v[2:5], v1 offset:1216
	scratch_load_b128 v[42:45], off, off offset:368
	v_fma_f64 v[63:64], v[63:64], v[6:7], v[85:86]
	v_fma_f64 v[61:62], v[61:62], v[6:7], -v[8:9]
	scratch_load_b128 v[6:9], off, off offset:384
	v_add_f64 v[46:47], v[46:47], v[59:60]
	v_add_f64 v[59:60], v[65:66], v[69:70]
	ds_load_b128 v[65:68], v1 offset:1232
	s_waitcnt vmcnt(9) lgkmcnt(1)
	v_mul_f64 v[69:70], v[2:3], v[12:13]
	v_mul_f64 v[12:13], v[4:5], v[12:13]
	s_waitcnt vmcnt(8) lgkmcnt(0)
	v_mul_f64 v[85:86], v[65:66], v[16:17]
	v_mul_f64 v[16:17], v[67:68], v[16:17]
	v_add_f64 v[46:47], v[46:47], v[91:92]
	v_add_f64 v[59:60], v[59:60], v[89:90]
	v_fma_f64 v[69:70], v[4:5], v[10:11], v[69:70]
	v_fma_f64 v[89:90], v[2:3], v[10:11], -v[12:13]
	ds_load_b128 v[2:5], v1 offset:1248
	scratch_load_b128 v[10:13], off, off offset:400
	v_fma_f64 v[67:68], v[67:68], v[14:15], v[85:86]
	v_fma_f64 v[65:66], v[65:66], v[14:15], -v[16:17]
	scratch_load_b128 v[14:17], off, off offset:416
	v_add_f64 v[46:47], v[46:47], v[61:62]
	v_add_f64 v[63:64], v[59:60], v[63:64]
	ds_load_b128 v[59:62], v1 offset:1264
	s_waitcnt vmcnt(9) lgkmcnt(1)
	v_mul_f64 v[91:92], v[2:3], v[20:21]
	v_mul_f64 v[20:21], v[4:5], v[20:21]
	v_add_f64 v[46:47], v[46:47], v[89:90]
	v_add_f64 v[63:64], v[63:64], v[69:70]
	s_waitcnt vmcnt(8) lgkmcnt(0)
	v_mul_f64 v[69:70], v[59:60], v[24:25]
	v_mul_f64 v[24:25], v[61:62], v[24:25]
	v_fma_f64 v[85:86], v[4:5], v[18:19], v[91:92]
	v_fma_f64 v[89:90], v[2:3], v[18:19], -v[20:21]
	ds_load_b128 v[2:5], v1 offset:1280
	scratch_load_b128 v[18:21], off, off offset:432
	v_add_f64 v[46:47], v[46:47], v[65:66]
	v_add_f64 v[67:68], v[63:64], v[67:68]
	ds_load_b128 v[63:66], v1 offset:1296
	s_waitcnt vmcnt(8) lgkmcnt(1)
	v_mul_f64 v[91:92], v[2:3], v[28:29]
	v_mul_f64 v[28:29], v[4:5], v[28:29]
	v_fma_f64 v[61:62], v[61:62], v[22:23], v[69:70]
	v_fma_f64 v[59:60], v[59:60], v[22:23], -v[24:25]
	scratch_load_b128 v[22:25], off, off offset:448
	s_waitcnt vmcnt(8) lgkmcnt(0)
	v_mul_f64 v[69:70], v[63:64], v[32:33]
	v_mul_f64 v[32:33], v[65:66], v[32:33]
	v_add_f64 v[46:47], v[46:47], v[89:90]
	v_add_f64 v[67:68], v[67:68], v[85:86]
	v_fma_f64 v[85:86], v[4:5], v[26:27], v[91:92]
	v_fma_f64 v[89:90], v[2:3], v[26:27], -v[28:29]
	ds_load_b128 v[2:5], v1 offset:1312
	scratch_load_b128 v[26:29], off, off offset:464
	v_fma_f64 v[65:66], v[65:66], v[30:31], v[69:70]
	v_fma_f64 v[63:64], v[63:64], v[30:31], -v[32:33]
	scratch_load_b128 v[30:33], off, off offset:480
	v_add_f64 v[46:47], v[46:47], v[59:60]
	v_add_f64 v[67:68], v[67:68], v[61:62]
	ds_load_b128 v[59:62], v1 offset:1328
	s_waitcnt vmcnt(9) lgkmcnt(1)
	v_mul_f64 v[91:92], v[2:3], v[36:37]
	v_mul_f64 v[36:37], v[4:5], v[36:37]
	s_waitcnt vmcnt(8) lgkmcnt(0)
	v_mul_f64 v[69:70], v[59:60], v[40:41]
	v_mul_f64 v[40:41], v[61:62], v[40:41]
	v_add_f64 v[46:47], v[46:47], v[89:90]
	v_add_f64 v[67:68], v[67:68], v[85:86]
	v_fma_f64 v[85:86], v[4:5], v[34:35], v[91:92]
	v_fma_f64 v[89:90], v[2:3], v[34:35], -v[36:37]
	ds_load_b128 v[2:5], v1 offset:1344
	scratch_load_b128 v[34:37], off, off offset:496
	v_fma_f64 v[61:62], v[61:62], v[38:39], v[69:70]
	v_fma_f64 v[59:60], v[59:60], v[38:39], -v[40:41]
	scratch_load_b128 v[38:41], off, off offset:512
	v_add_f64 v[46:47], v[46:47], v[63:64]
	v_add_f64 v[67:68], v[67:68], v[65:66]
	ds_load_b128 v[63:66], v1 offset:1360
	s_waitcnt vmcnt(9) lgkmcnt(1)
	v_mul_f64 v[91:92], v[2:3], v[44:45]
	v_mul_f64 v[44:45], v[4:5], v[44:45]
	;; [unrolled: 18-line block ×16, first 2 shown]
	s_waitcnt vmcnt(8) lgkmcnt(0)
	v_mul_f64 v[69:70], v[63:64], v[40:41]
	v_mul_f64 v[40:41], v[65:66], v[40:41]
	v_add_f64 v[46:47], v[46:47], v[89:90]
	v_add_f64 v[67:68], v[67:68], v[85:86]
	v_fma_f64 v[85:86], v[4:5], v[34:35], v[91:92]
	v_fma_f64 v[89:90], v[2:3], v[34:35], -v[36:37]
	ds_load_b128 v[2:5], v1 offset:1824
	ds_load_b128 v[34:37], v1 offset:1840
	v_fma_f64 v[65:66], v[65:66], v[38:39], v[69:70]
	v_fma_f64 v[38:39], v[63:64], v[38:39], -v[40:41]
	v_add_f64 v[46:47], v[46:47], v[59:60]
	v_add_f64 v[59:60], v[67:68], v[61:62]
	s_waitcnt vmcnt(7) lgkmcnt(1)
	v_mul_f64 v[61:62], v[2:3], v[44:45]
	v_mul_f64 v[44:45], v[4:5], v[44:45]
	s_delay_alu instid0(VALU_DEP_4) | instskip(NEXT) | instid1(VALU_DEP_4)
	v_add_f64 v[40:41], v[46:47], v[89:90]
	v_add_f64 v[46:47], v[59:60], v[85:86]
	s_waitcnt vmcnt(6) lgkmcnt(0)
	v_mul_f64 v[59:60], v[34:35], v[8:9]
	v_mul_f64 v[8:9], v[36:37], v[8:9]
	v_fma_f64 v[61:62], v[4:5], v[42:43], v[61:62]
	v_fma_f64 v[42:43], v[2:3], v[42:43], -v[44:45]
	v_add_f64 v[44:45], v[40:41], v[38:39]
	v_add_f64 v[46:47], v[46:47], v[65:66]
	ds_load_b128 v[2:5], v1 offset:1856
	ds_load_b128 v[38:41], v1 offset:1872
	v_fma_f64 v[36:37], v[36:37], v[6:7], v[59:60]
	v_fma_f64 v[6:7], v[34:35], v[6:7], -v[8:9]
	s_waitcnt vmcnt(5) lgkmcnt(1)
	v_mul_f64 v[63:64], v[2:3], v[12:13]
	v_mul_f64 v[12:13], v[4:5], v[12:13]
	v_add_f64 v[8:9], v[44:45], v[42:43]
	v_add_f64 v[34:35], v[46:47], v[61:62]
	s_waitcnt vmcnt(4) lgkmcnt(0)
	v_mul_f64 v[42:43], v[38:39], v[16:17]
	v_mul_f64 v[16:17], v[40:41], v[16:17]
	v_fma_f64 v[44:45], v[4:5], v[10:11], v[63:64]
	v_fma_f64 v[10:11], v[2:3], v[10:11], -v[12:13]
	v_add_f64 v[12:13], v[8:9], v[6:7]
	v_add_f64 v[34:35], v[34:35], v[36:37]
	ds_load_b128 v[2:5], v1 offset:1888
	ds_load_b128 v[6:9], v1 offset:1904
	v_fma_f64 v[40:41], v[40:41], v[14:15], v[42:43]
	v_fma_f64 v[14:15], v[38:39], v[14:15], -v[16:17]
	s_waitcnt vmcnt(3) lgkmcnt(1)
	v_mul_f64 v[36:37], v[2:3], v[20:21]
	v_mul_f64 v[20:21], v[4:5], v[20:21]
	s_waitcnt vmcnt(2) lgkmcnt(0)
	v_mul_f64 v[16:17], v[6:7], v[24:25]
	v_mul_f64 v[24:25], v[8:9], v[24:25]
	v_add_f64 v[10:11], v[12:13], v[10:11]
	v_add_f64 v[12:13], v[34:35], v[44:45]
	v_fma_f64 v[34:35], v[4:5], v[18:19], v[36:37]
	v_fma_f64 v[18:19], v[2:3], v[18:19], -v[20:21]
	v_fma_f64 v[8:9], v[8:9], v[22:23], v[16:17]
	v_fma_f64 v[6:7], v[6:7], v[22:23], -v[24:25]
	v_add_f64 v[14:15], v[10:11], v[14:15]
	v_add_f64 v[20:21], v[12:13], v[40:41]
	ds_load_b128 v[2:5], v1 offset:1920
	ds_load_b128 v[10:13], v1 offset:1936
	s_waitcnt vmcnt(1) lgkmcnt(1)
	v_mul_f64 v[36:37], v[2:3], v[28:29]
	v_mul_f64 v[28:29], v[4:5], v[28:29]
	v_add_f64 v[14:15], v[14:15], v[18:19]
	v_add_f64 v[16:17], v[20:21], v[34:35]
	s_waitcnt vmcnt(0) lgkmcnt(0)
	v_mul_f64 v[18:19], v[10:11], v[32:33]
	v_mul_f64 v[20:21], v[12:13], v[32:33]
	v_fma_f64 v[4:5], v[4:5], v[26:27], v[36:37]
	v_fma_f64 v[1:2], v[2:3], v[26:27], -v[28:29]
	v_add_f64 v[6:7], v[14:15], v[6:7]
	v_add_f64 v[8:9], v[16:17], v[8:9]
	v_fma_f64 v[12:13], v[12:13], v[30:31], v[18:19]
	v_fma_f64 v[10:11], v[10:11], v[30:31], -v[20:21]
	s_delay_alu instid0(VALU_DEP_4) | instskip(NEXT) | instid1(VALU_DEP_4)
	v_add_f64 v[1:2], v[6:7], v[1:2]
	v_add_f64 v[3:4], v[8:9], v[4:5]
	s_delay_alu instid0(VALU_DEP_2) | instskip(NEXT) | instid1(VALU_DEP_2)
	v_add_f64 v[1:2], v[1:2], v[10:11]
	v_add_f64 v[3:4], v[3:4], v[12:13]
	s_delay_alu instid0(VALU_DEP_2) | instskip(NEXT) | instid1(VALU_DEP_2)
	v_add_f64 v[1:2], v[55:56], -v[1:2]
	v_add_f64 v[3:4], v[57:58], -v[3:4]
	scratch_store_b128 off, v[1:4], off offset:32
	v_cmpx_lt_u32_e32 1, v171
	s_cbranch_execz .LBB60_389
; %bb.388:
	scratch_load_b128 v[1:4], v224, off
	v_mov_b32_e32 v5, 0
	s_delay_alu instid0(VALU_DEP_1)
	v_mov_b32_e32 v6, v5
	v_mov_b32_e32 v7, v5
	;; [unrolled: 1-line block ×3, first 2 shown]
	scratch_store_b128 off, v[5:8], off offset:16
	s_waitcnt vmcnt(0)
	ds_store_b128 v229, v[1:4]
.LBB60_389:
	s_or_b32 exec_lo, exec_lo, s2
	s_waitcnt lgkmcnt(0)
	s_waitcnt_vscnt null, 0x0
	s_barrier
	buffer_gl0_inv
	s_clause 0x7
	scratch_load_b128 v[2:5], off, off offset:32
	scratch_load_b128 v[6:9], off, off offset:48
	;; [unrolled: 1-line block ×8, first 2 shown]
	v_dual_mov_b32 v94, v176 :: v_dual_mov_b32 v1, 0
	s_mov_b32 s2, exec_lo
	ds_load_b128 v[38:41], v1 offset:1008
	s_clause 0x1
	scratch_load_b128 v[34:37], off, off offset:160
	scratch_load_b128 v[42:45], off, off offset:16
	ds_load_b128 v[55:58], v1 offset:1024
	scratch_load_b128 v[59:62], off, off offset:176
	ds_load_b128 v[63:66], v1 offset:1056
	s_waitcnt vmcnt(10) lgkmcnt(2)
	v_mul_f64 v[46:47], v[40:41], v[4:5]
	v_mul_f64 v[4:5], v[38:39], v[4:5]
	s_delay_alu instid0(VALU_DEP_2) | instskip(NEXT) | instid1(VALU_DEP_2)
	v_fma_f64 v[46:47], v[38:39], v[2:3], -v[46:47]
	v_fma_f64 v[69:70], v[40:41], v[2:3], v[4:5]
	ds_load_b128 v[2:5], v1 offset:1040
	s_waitcnt vmcnt(9) lgkmcnt(2)
	v_mul_f64 v[67:68], v[55:56], v[8:9]
	v_mul_f64 v[8:9], v[57:58], v[8:9]
	scratch_load_b128 v[38:41], off, off offset:192
	s_waitcnt vmcnt(9) lgkmcnt(0)
	v_mul_f64 v[85:86], v[2:3], v[12:13]
	v_mul_f64 v[12:13], v[4:5], v[12:13]
	v_add_f64 v[46:47], v[46:47], 0
	v_fma_f64 v[57:58], v[57:58], v[6:7], v[67:68]
	v_fma_f64 v[55:56], v[55:56], v[6:7], -v[8:9]
	v_add_f64 v[67:68], v[69:70], 0
	scratch_load_b128 v[6:9], off, off offset:208
	v_fma_f64 v[85:86], v[4:5], v[10:11], v[85:86]
	v_fma_f64 v[89:90], v[2:3], v[10:11], -v[12:13]
	scratch_load_b128 v[10:13], off, off offset:224
	ds_load_b128 v[2:5], v1 offset:1072
	s_waitcnt vmcnt(10)
	v_mul_f64 v[69:70], v[63:64], v[16:17]
	v_mul_f64 v[16:17], v[65:66], v[16:17]
	v_add_f64 v[46:47], v[46:47], v[55:56]
	v_add_f64 v[67:68], v[67:68], v[57:58]
	ds_load_b128 v[55:58], v1 offset:1088
	s_waitcnt vmcnt(9) lgkmcnt(1)
	v_mul_f64 v[91:92], v[2:3], v[20:21]
	v_mul_f64 v[20:21], v[4:5], v[20:21]
	v_fma_f64 v[65:66], v[65:66], v[14:15], v[69:70]
	v_fma_f64 v[63:64], v[63:64], v[14:15], -v[16:17]
	scratch_load_b128 v[14:17], off, off offset:240
	v_add_f64 v[46:47], v[46:47], v[89:90]
	v_add_f64 v[67:68], v[67:68], v[85:86]
	v_fma_f64 v[85:86], v[4:5], v[18:19], v[91:92]
	v_fma_f64 v[89:90], v[2:3], v[18:19], -v[20:21]
	scratch_load_b128 v[18:21], off, off offset:256
	ds_load_b128 v[2:5], v1 offset:1104
	s_waitcnt vmcnt(10) lgkmcnt(1)
	v_mul_f64 v[69:70], v[55:56], v[24:25]
	v_mul_f64 v[24:25], v[57:58], v[24:25]
	s_waitcnt vmcnt(9) lgkmcnt(0)
	v_mul_f64 v[91:92], v[2:3], v[28:29]
	v_mul_f64 v[28:29], v[4:5], v[28:29]
	v_add_f64 v[46:47], v[46:47], v[63:64]
	v_add_f64 v[67:68], v[67:68], v[65:66]
	ds_load_b128 v[63:66], v1 offset:1120
	v_fma_f64 v[57:58], v[57:58], v[22:23], v[69:70]
	v_fma_f64 v[55:56], v[55:56], v[22:23], -v[24:25]
	scratch_load_b128 v[22:25], off, off offset:272
	v_add_f64 v[46:47], v[46:47], v[89:90]
	v_add_f64 v[67:68], v[67:68], v[85:86]
	v_fma_f64 v[85:86], v[4:5], v[26:27], v[91:92]
	v_fma_f64 v[89:90], v[2:3], v[26:27], -v[28:29]
	scratch_load_b128 v[26:29], off, off offset:288
	ds_load_b128 v[2:5], v1 offset:1136
	s_waitcnt vmcnt(10) lgkmcnt(1)
	v_mul_f64 v[69:70], v[63:64], v[32:33]
	v_mul_f64 v[32:33], v[65:66], v[32:33]
	s_waitcnt vmcnt(9) lgkmcnt(0)
	v_mul_f64 v[91:92], v[2:3], v[36:37]
	v_mul_f64 v[36:37], v[4:5], v[36:37]
	v_add_f64 v[46:47], v[46:47], v[55:56]
	v_add_f64 v[67:68], v[67:68], v[57:58]
	ds_load_b128 v[55:58], v1 offset:1152
	v_fma_f64 v[65:66], v[65:66], v[30:31], v[69:70]
	v_fma_f64 v[63:64], v[63:64], v[30:31], -v[32:33]
	scratch_load_b128 v[30:33], off, off offset:304
	v_add_f64 v[46:47], v[46:47], v[89:90]
	v_add_f64 v[67:68], v[67:68], v[85:86]
	v_fma_f64 v[89:90], v[4:5], v[34:35], v[91:92]
	v_fma_f64 v[91:92], v[2:3], v[34:35], -v[36:37]
	scratch_load_b128 v[34:37], off, off offset:320
	ds_load_b128 v[2:5], v1 offset:1168
	s_waitcnt vmcnt(9) lgkmcnt(1)
	v_mul_f64 v[69:70], v[55:56], v[61:62]
	v_mul_f64 v[85:86], v[57:58], v[61:62]
	v_add_f64 v[46:47], v[46:47], v[63:64]
	v_add_f64 v[65:66], v[67:68], v[65:66]
	ds_load_b128 v[61:64], v1 offset:1184
	v_fma_f64 v[69:70], v[57:58], v[59:60], v[69:70]
	v_fma_f64 v[59:60], v[55:56], v[59:60], -v[85:86]
	scratch_load_b128 v[55:58], off, off offset:336
	s_waitcnt vmcnt(9) lgkmcnt(1)
	v_mul_f64 v[67:68], v[2:3], v[40:41]
	v_mul_f64 v[40:41], v[4:5], v[40:41]
	v_add_f64 v[46:47], v[46:47], v[91:92]
	v_add_f64 v[65:66], v[65:66], v[89:90]
	s_delay_alu instid0(VALU_DEP_4) | instskip(NEXT) | instid1(VALU_DEP_4)
	v_fma_f64 v[89:90], v[4:5], v[38:39], v[67:68]
	v_fma_f64 v[91:92], v[2:3], v[38:39], -v[40:41]
	scratch_load_b128 v[38:41], off, off offset:352
	ds_load_b128 v[2:5], v1 offset:1200
	s_waitcnt vmcnt(9) lgkmcnt(1)
	v_mul_f64 v[85:86], v[61:62], v[8:9]
	v_mul_f64 v[8:9], v[63:64], v[8:9]
	v_add_f64 v[46:47], v[46:47], v[59:60]
	v_add_f64 v[59:60], v[65:66], v[69:70]
	s_waitcnt vmcnt(8) lgkmcnt(0)
	v_mul_f64 v[69:70], v[2:3], v[12:13]
	v_mul_f64 v[12:13], v[4:5], v[12:13]
	ds_load_b128 v[65:68], v1 offset:1216
	v_fma_f64 v[63:64], v[63:64], v[6:7], v[85:86]
	v_fma_f64 v[61:62], v[61:62], v[6:7], -v[8:9]
	scratch_load_b128 v[6:9], off, off offset:368
	v_add_f64 v[46:47], v[46:47], v[91:92]
	v_add_f64 v[59:60], v[59:60], v[89:90]
	v_fma_f64 v[69:70], v[4:5], v[10:11], v[69:70]
	v_fma_f64 v[89:90], v[2:3], v[10:11], -v[12:13]
	scratch_load_b128 v[10:13], off, off offset:384
	ds_load_b128 v[2:5], v1 offset:1232
	s_waitcnt vmcnt(9) lgkmcnt(1)
	v_mul_f64 v[85:86], v[65:66], v[16:17]
	v_mul_f64 v[16:17], v[67:68], v[16:17]
	s_waitcnt vmcnt(8) lgkmcnt(0)
	v_mul_f64 v[91:92], v[2:3], v[20:21]
	v_mul_f64 v[20:21], v[4:5], v[20:21]
	v_add_f64 v[46:47], v[46:47], v[61:62]
	v_add_f64 v[63:64], v[59:60], v[63:64]
	ds_load_b128 v[59:62], v1 offset:1248
	v_fma_f64 v[67:68], v[67:68], v[14:15], v[85:86]
	v_fma_f64 v[65:66], v[65:66], v[14:15], -v[16:17]
	scratch_load_b128 v[14:17], off, off offset:400
	v_fma_f64 v[85:86], v[4:5], v[18:19], v[91:92]
	v_add_f64 v[46:47], v[46:47], v[89:90]
	v_add_f64 v[63:64], v[63:64], v[69:70]
	v_fma_f64 v[89:90], v[2:3], v[18:19], -v[20:21]
	scratch_load_b128 v[18:21], off, off offset:416
	ds_load_b128 v[2:5], v1 offset:1264
	s_waitcnt vmcnt(9) lgkmcnt(1)
	v_mul_f64 v[69:70], v[59:60], v[24:25]
	v_mul_f64 v[24:25], v[61:62], v[24:25]
	s_waitcnt vmcnt(8) lgkmcnt(0)
	v_mul_f64 v[91:92], v[2:3], v[28:29]
	v_mul_f64 v[28:29], v[4:5], v[28:29]
	v_add_f64 v[46:47], v[46:47], v[65:66]
	v_add_f64 v[67:68], v[63:64], v[67:68]
	ds_load_b128 v[63:66], v1 offset:1280
	v_fma_f64 v[61:62], v[61:62], v[22:23], v[69:70]
	v_fma_f64 v[59:60], v[59:60], v[22:23], -v[24:25]
	scratch_load_b128 v[22:25], off, off offset:432
	v_add_f64 v[46:47], v[46:47], v[89:90]
	v_add_f64 v[67:68], v[67:68], v[85:86]
	v_fma_f64 v[85:86], v[4:5], v[26:27], v[91:92]
	v_fma_f64 v[89:90], v[2:3], v[26:27], -v[28:29]
	scratch_load_b128 v[26:29], off, off offset:448
	ds_load_b128 v[2:5], v1 offset:1296
	s_waitcnt vmcnt(9) lgkmcnt(1)
	v_mul_f64 v[69:70], v[63:64], v[32:33]
	v_mul_f64 v[32:33], v[65:66], v[32:33]
	s_waitcnt vmcnt(8) lgkmcnt(0)
	v_mul_f64 v[91:92], v[2:3], v[36:37]
	v_mul_f64 v[36:37], v[4:5], v[36:37]
	v_add_f64 v[46:47], v[46:47], v[59:60]
	v_add_f64 v[67:68], v[67:68], v[61:62]
	ds_load_b128 v[59:62], v1 offset:1312
	v_fma_f64 v[65:66], v[65:66], v[30:31], v[69:70]
	v_fma_f64 v[63:64], v[63:64], v[30:31], -v[32:33]
	scratch_load_b128 v[30:33], off, off offset:464
	v_add_f64 v[46:47], v[46:47], v[89:90]
	v_add_f64 v[67:68], v[67:68], v[85:86]
	v_fma_f64 v[85:86], v[4:5], v[34:35], v[91:92]
	;; [unrolled: 18-line block ×7, first 2 shown]
	v_fma_f64 v[91:92], v[2:3], v[34:35], -v[36:37]
	scratch_load_b128 v[34:37], off, off offset:640
	ds_load_b128 v[2:5], v1 offset:1488
	s_waitcnt vmcnt(9) lgkmcnt(1)
	v_mul_f64 v[69:70], v[63:64], v[57:58]
	v_mul_f64 v[85:86], v[65:66], v[57:58]
	v_add_f64 v[46:47], v[46:47], v[59:60]
	v_add_f64 v[61:62], v[67:68], v[61:62]
	s_waitcnt vmcnt(8) lgkmcnt(0)
	v_mul_f64 v[67:68], v[2:3], v[40:41]
	v_mul_f64 v[40:41], v[4:5], v[40:41]
	ds_load_b128 v[57:60], v1 offset:1504
	v_fma_f64 v[65:66], v[65:66], v[55:56], v[69:70]
	v_fma_f64 v[55:56], v[63:64], v[55:56], -v[85:86]
	v_add_f64 v[46:47], v[46:47], v[91:92]
	v_add_f64 v[69:70], v[61:62], v[89:90]
	scratch_load_b128 v[61:64], off, off offset:656
	v_fma_f64 v[89:90], v[4:5], v[38:39], v[67:68]
	v_fma_f64 v[91:92], v[2:3], v[38:39], -v[40:41]
	scratch_load_b128 v[38:41], off, off offset:672
	ds_load_b128 v[2:5], v1 offset:1520
	s_waitcnt vmcnt(9) lgkmcnt(1)
	v_mul_f64 v[85:86], v[57:58], v[8:9]
	v_mul_f64 v[8:9], v[59:60], v[8:9]
	v_add_f64 v[46:47], v[46:47], v[55:56]
	v_add_f64 v[55:56], v[69:70], v[65:66]
	s_waitcnt vmcnt(8) lgkmcnt(0)
	v_mul_f64 v[69:70], v[2:3], v[12:13]
	v_mul_f64 v[12:13], v[4:5], v[12:13]
	ds_load_b128 v[65:68], v1 offset:1536
	v_fma_f64 v[59:60], v[59:60], v[6:7], v[85:86]
	v_fma_f64 v[57:58], v[57:58], v[6:7], -v[8:9]
	scratch_load_b128 v[6:9], off, off offset:688
	v_add_f64 v[46:47], v[46:47], v[91:92]
	v_add_f64 v[55:56], v[55:56], v[89:90]
	v_fma_f64 v[69:70], v[4:5], v[10:11], v[69:70]
	v_fma_f64 v[89:90], v[2:3], v[10:11], -v[12:13]
	scratch_load_b128 v[10:13], off, off offset:704
	ds_load_b128 v[2:5], v1 offset:1552
	s_waitcnt vmcnt(9) lgkmcnt(1)
	v_mul_f64 v[85:86], v[65:66], v[16:17]
	v_mul_f64 v[16:17], v[67:68], v[16:17]
	s_waitcnt vmcnt(8) lgkmcnt(0)
	v_mul_f64 v[91:92], v[2:3], v[20:21]
	v_mul_f64 v[20:21], v[4:5], v[20:21]
	v_add_f64 v[46:47], v[46:47], v[57:58]
	v_add_f64 v[59:60], v[55:56], v[59:60]
	ds_load_b128 v[55:58], v1 offset:1568
	v_fma_f64 v[67:68], v[67:68], v[14:15], v[85:86]
	v_fma_f64 v[65:66], v[65:66], v[14:15], -v[16:17]
	scratch_load_b128 v[14:17], off, off offset:720
	v_fma_f64 v[85:86], v[4:5], v[18:19], v[91:92]
	v_add_f64 v[46:47], v[46:47], v[89:90]
	v_add_f64 v[59:60], v[59:60], v[69:70]
	v_fma_f64 v[89:90], v[2:3], v[18:19], -v[20:21]
	scratch_load_b128 v[18:21], off, off offset:736
	ds_load_b128 v[2:5], v1 offset:1584
	s_waitcnt vmcnt(9) lgkmcnt(1)
	v_mul_f64 v[69:70], v[55:56], v[24:25]
	v_mul_f64 v[24:25], v[57:58], v[24:25]
	s_waitcnt vmcnt(8) lgkmcnt(0)
	v_mul_f64 v[91:92], v[2:3], v[28:29]
	v_mul_f64 v[28:29], v[4:5], v[28:29]
	v_add_f64 v[46:47], v[46:47], v[65:66]
	v_add_f64 v[59:60], v[59:60], v[67:68]
	ds_load_b128 v[65:68], v1 offset:1600
	v_fma_f64 v[57:58], v[57:58], v[22:23], v[69:70]
	v_fma_f64 v[55:56], v[55:56], v[22:23], -v[24:25]
	scratch_load_b128 v[22:25], off, off offset:752
	v_add_f64 v[46:47], v[46:47], v[89:90]
	v_add_f64 v[59:60], v[59:60], v[85:86]
	v_fma_f64 v[85:86], v[4:5], v[26:27], v[91:92]
	v_fma_f64 v[89:90], v[2:3], v[26:27], -v[28:29]
	scratch_load_b128 v[26:29], off, off offset:768
	ds_load_b128 v[2:5], v1 offset:1616
	s_waitcnt vmcnt(9) lgkmcnt(1)
	v_mul_f64 v[69:70], v[65:66], v[32:33]
	v_mul_f64 v[32:33], v[67:68], v[32:33]
	s_waitcnt vmcnt(8) lgkmcnt(0)
	v_mul_f64 v[91:92], v[2:3], v[36:37]
	v_mul_f64 v[36:37], v[4:5], v[36:37]
	v_add_f64 v[46:47], v[46:47], v[55:56]
	v_add_f64 v[59:60], v[59:60], v[57:58]
	ds_load_b128 v[55:58], v1 offset:1632
	v_fma_f64 v[67:68], v[67:68], v[30:31], v[69:70]
	v_fma_f64 v[65:66], v[65:66], v[30:31], -v[32:33]
	scratch_load_b128 v[30:33], off, off offset:784
	v_add_f64 v[46:47], v[46:47], v[89:90]
	v_add_f64 v[59:60], v[59:60], v[85:86]
	v_fma_f64 v[89:90], v[4:5], v[34:35], v[91:92]
	v_fma_f64 v[91:92], v[2:3], v[34:35], -v[36:37]
	scratch_load_b128 v[34:37], off, off offset:800
	ds_load_b128 v[2:5], v1 offset:1648
	s_waitcnt vmcnt(9) lgkmcnt(1)
	v_mul_f64 v[69:70], v[55:56], v[63:64]
	v_mul_f64 v[85:86], v[57:58], v[63:64]
	v_add_f64 v[46:47], v[46:47], v[65:66]
	v_add_f64 v[59:60], v[59:60], v[67:68]
	s_waitcnt vmcnt(8) lgkmcnt(0)
	v_mul_f64 v[67:68], v[2:3], v[40:41]
	v_mul_f64 v[40:41], v[4:5], v[40:41]
	ds_load_b128 v[63:66], v1 offset:1664
	v_fma_f64 v[69:70], v[57:58], v[61:62], v[69:70]
	v_fma_f64 v[61:62], v[55:56], v[61:62], -v[85:86]
	scratch_load_b128 v[55:58], off, off offset:816
	v_add_f64 v[46:47], v[46:47], v[91:92]
	v_add_f64 v[59:60], v[59:60], v[89:90]
	v_fma_f64 v[67:68], v[4:5], v[38:39], v[67:68]
	v_fma_f64 v[89:90], v[2:3], v[38:39], -v[40:41]
	scratch_load_b128 v[38:41], off, off offset:832
	ds_load_b128 v[2:5], v1 offset:1680
	s_waitcnt vmcnt(9) lgkmcnt(1)
	v_mul_f64 v[85:86], v[63:64], v[8:9]
	v_mul_f64 v[8:9], v[65:66], v[8:9]
	s_waitcnt vmcnt(8) lgkmcnt(0)
	v_mul_f64 v[91:92], v[2:3], v[12:13]
	v_mul_f64 v[12:13], v[4:5], v[12:13]
	v_add_f64 v[46:47], v[46:47], v[61:62]
	v_add_f64 v[69:70], v[59:60], v[69:70]
	ds_load_b128 v[59:62], v1 offset:1696
	v_fma_f64 v[65:66], v[65:66], v[6:7], v[85:86]
	v_fma_f64 v[63:64], v[63:64], v[6:7], -v[8:9]
	scratch_load_b128 v[6:9], off, off offset:848
	v_fma_f64 v[85:86], v[4:5], v[10:11], v[91:92]
	v_add_f64 v[46:47], v[46:47], v[89:90]
	v_add_f64 v[67:68], v[69:70], v[67:68]
	v_fma_f64 v[89:90], v[2:3], v[10:11], -v[12:13]
	scratch_load_b128 v[10:13], off, off offset:864
	ds_load_b128 v[2:5], v1 offset:1712
	s_waitcnt vmcnt(9) lgkmcnt(1)
	v_mul_f64 v[69:70], v[59:60], v[16:17]
	v_mul_f64 v[16:17], v[61:62], v[16:17]
	s_waitcnt vmcnt(8) lgkmcnt(0)
	v_mul_f64 v[91:92], v[2:3], v[20:21]
	v_mul_f64 v[20:21], v[4:5], v[20:21]
	v_add_f64 v[46:47], v[46:47], v[63:64]
	v_add_f64 v[67:68], v[67:68], v[65:66]
	ds_load_b128 v[63:66], v1 offset:1728
	v_fma_f64 v[61:62], v[61:62], v[14:15], v[69:70]
	v_fma_f64 v[59:60], v[59:60], v[14:15], -v[16:17]
	scratch_load_b128 v[14:17], off, off offset:880
	v_add_f64 v[46:47], v[46:47], v[89:90]
	v_add_f64 v[67:68], v[67:68], v[85:86]
	v_fma_f64 v[85:86], v[4:5], v[18:19], v[91:92]
	v_fma_f64 v[89:90], v[2:3], v[18:19], -v[20:21]
	scratch_load_b128 v[18:21], off, off offset:896
	ds_load_b128 v[2:5], v1 offset:1744
	s_waitcnt vmcnt(9) lgkmcnt(1)
	v_mul_f64 v[69:70], v[63:64], v[24:25]
	v_mul_f64 v[24:25], v[65:66], v[24:25]
	s_waitcnt vmcnt(8) lgkmcnt(0)
	v_mul_f64 v[91:92], v[2:3], v[28:29]
	v_mul_f64 v[28:29], v[4:5], v[28:29]
	v_add_f64 v[46:47], v[46:47], v[59:60]
	v_add_f64 v[67:68], v[67:68], v[61:62]
	ds_load_b128 v[59:62], v1 offset:1760
	v_fma_f64 v[65:66], v[65:66], v[22:23], v[69:70]
	v_fma_f64 v[63:64], v[63:64], v[22:23], -v[24:25]
	scratch_load_b128 v[22:25], off, off offset:912
	v_add_f64 v[46:47], v[46:47], v[89:90]
	v_add_f64 v[67:68], v[67:68], v[85:86]
	v_fma_f64 v[85:86], v[4:5], v[26:27], v[91:92]
	;; [unrolled: 18-line block ×3, first 2 shown]
	v_fma_f64 v[91:92], v[2:3], v[34:35], -v[36:37]
	scratch_load_b128 v[34:37], off, off offset:960
	ds_load_b128 v[2:5], v1 offset:1808
	s_waitcnt vmcnt(9) lgkmcnt(1)
	v_mul_f64 v[69:70], v[63:64], v[57:58]
	v_mul_f64 v[85:86], v[65:66], v[57:58]
	v_add_f64 v[46:47], v[46:47], v[59:60]
	v_add_f64 v[61:62], v[67:68], v[61:62]
	s_waitcnt vmcnt(8) lgkmcnt(0)
	v_mul_f64 v[67:68], v[2:3], v[40:41]
	v_mul_f64 v[40:41], v[4:5], v[40:41]
	ds_load_b128 v[57:60], v1 offset:1824
	v_fma_f64 v[65:66], v[65:66], v[55:56], v[69:70]
	v_fma_f64 v[55:56], v[63:64], v[55:56], -v[85:86]
	s_waitcnt vmcnt(7) lgkmcnt(0)
	v_mul_f64 v[63:64], v[57:58], v[8:9]
	v_mul_f64 v[8:9], v[59:60], v[8:9]
	v_add_f64 v[46:47], v[46:47], v[91:92]
	v_add_f64 v[61:62], v[61:62], v[89:90]
	v_fma_f64 v[67:68], v[4:5], v[38:39], v[67:68]
	v_fma_f64 v[69:70], v[2:3], v[38:39], -v[40:41]
	ds_load_b128 v[2:5], v1 offset:1840
	ds_load_b128 v[38:41], v1 offset:1856
	v_fma_f64 v[59:60], v[59:60], v[6:7], v[63:64]
	v_fma_f64 v[6:7], v[57:58], v[6:7], -v[8:9]
	v_add_f64 v[46:47], v[46:47], v[55:56]
	v_add_f64 v[55:56], v[61:62], v[65:66]
	s_waitcnt vmcnt(6) lgkmcnt(1)
	v_mul_f64 v[61:62], v[2:3], v[12:13]
	v_mul_f64 v[12:13], v[4:5], v[12:13]
	s_delay_alu instid0(VALU_DEP_4) | instskip(NEXT) | instid1(VALU_DEP_4)
	v_add_f64 v[8:9], v[46:47], v[69:70]
	v_add_f64 v[46:47], v[55:56], v[67:68]
	s_waitcnt vmcnt(5) lgkmcnt(0)
	v_mul_f64 v[55:56], v[38:39], v[16:17]
	v_mul_f64 v[16:17], v[40:41], v[16:17]
	v_fma_f64 v[57:58], v[4:5], v[10:11], v[61:62]
	v_fma_f64 v[10:11], v[2:3], v[10:11], -v[12:13]
	v_add_f64 v[12:13], v[8:9], v[6:7]
	v_add_f64 v[46:47], v[46:47], v[59:60]
	ds_load_b128 v[2:5], v1 offset:1872
	ds_load_b128 v[6:9], v1 offset:1888
	v_fma_f64 v[40:41], v[40:41], v[14:15], v[55:56]
	v_fma_f64 v[14:15], v[38:39], v[14:15], -v[16:17]
	s_waitcnt vmcnt(4) lgkmcnt(1)
	v_mul_f64 v[59:60], v[2:3], v[20:21]
	v_mul_f64 v[20:21], v[4:5], v[20:21]
	s_waitcnt vmcnt(3) lgkmcnt(0)
	v_mul_f64 v[16:17], v[6:7], v[24:25]
	v_mul_f64 v[24:25], v[8:9], v[24:25]
	v_add_f64 v[10:11], v[12:13], v[10:11]
	v_add_f64 v[12:13], v[46:47], v[57:58]
	v_fma_f64 v[38:39], v[4:5], v[18:19], v[59:60]
	v_fma_f64 v[18:19], v[2:3], v[18:19], -v[20:21]
	v_fma_f64 v[8:9], v[8:9], v[22:23], v[16:17]
	v_fma_f64 v[6:7], v[6:7], v[22:23], -v[24:25]
	v_add_f64 v[14:15], v[10:11], v[14:15]
	v_add_f64 v[20:21], v[12:13], v[40:41]
	ds_load_b128 v[2:5], v1 offset:1904
	ds_load_b128 v[10:13], v1 offset:1920
	s_waitcnt vmcnt(2) lgkmcnt(1)
	v_mul_f64 v[40:41], v[2:3], v[28:29]
	v_mul_f64 v[28:29], v[4:5], v[28:29]
	v_add_f64 v[14:15], v[14:15], v[18:19]
	v_add_f64 v[16:17], v[20:21], v[38:39]
	s_waitcnt vmcnt(1) lgkmcnt(0)
	v_mul_f64 v[18:19], v[10:11], v[32:33]
	v_mul_f64 v[20:21], v[12:13], v[32:33]
	v_fma_f64 v[22:23], v[4:5], v[26:27], v[40:41]
	v_fma_f64 v[24:25], v[2:3], v[26:27], -v[28:29]
	ds_load_b128 v[2:5], v1 offset:1936
	v_add_f64 v[6:7], v[14:15], v[6:7]
	v_add_f64 v[8:9], v[16:17], v[8:9]
	v_fma_f64 v[12:13], v[12:13], v[30:31], v[18:19]
	v_fma_f64 v[10:11], v[10:11], v[30:31], -v[20:21]
	s_waitcnt vmcnt(0) lgkmcnt(0)
	v_mul_f64 v[14:15], v[2:3], v[36:37]
	v_mul_f64 v[16:17], v[4:5], v[36:37]
	v_add_f64 v[6:7], v[6:7], v[24:25]
	v_add_f64 v[8:9], v[8:9], v[22:23]
	s_delay_alu instid0(VALU_DEP_4) | instskip(NEXT) | instid1(VALU_DEP_4)
	v_fma_f64 v[4:5], v[4:5], v[34:35], v[14:15]
	v_fma_f64 v[2:3], v[2:3], v[34:35], -v[16:17]
	s_delay_alu instid0(VALU_DEP_4) | instskip(NEXT) | instid1(VALU_DEP_4)
	v_add_f64 v[6:7], v[6:7], v[10:11]
	v_add_f64 v[8:9], v[8:9], v[12:13]
	s_delay_alu instid0(VALU_DEP_2) | instskip(NEXT) | instid1(VALU_DEP_2)
	v_add_f64 v[2:3], v[6:7], v[2:3]
	v_add_f64 v[4:5], v[8:9], v[4:5]
	s_delay_alu instid0(VALU_DEP_2) | instskip(NEXT) | instid1(VALU_DEP_2)
	v_add_f64 v[2:3], v[42:43], -v[2:3]
	v_add_f64 v[4:5], v[44:45], -v[4:5]
	scratch_store_b128 off, v[2:5], off offset:16
	v_cmpx_ne_u32_e32 0, v171
	s_cbranch_execz .LBB60_391
; %bb.390:
	scratch_load_b128 v[5:8], off, off
	v_mov_b32_e32 v2, v1
	v_mov_b32_e32 v3, v1
	;; [unrolled: 1-line block ×3, first 2 shown]
	scratch_store_b128 off, v[1:4], off
	s_waitcnt vmcnt(0)
	ds_store_b128 v229, v[5:8]
.LBB60_391:
	s_or_b32 exec_lo, exec_lo, s2
	s_waitcnt lgkmcnt(0)
	s_waitcnt_vscnt null, 0x0
	s_barrier
	buffer_gl0_inv
	s_clause 0x8
	scratch_load_b128 v[2:5], off, off offset:16
	scratch_load_b128 v[6:9], off, off offset:32
	;; [unrolled: 1-line block ×9, first 2 shown]
	ds_load_b128 v[42:45], v1 offset:992
	ds_load_b128 v[38:41], v1 offset:1008
	s_clause 0x1
	scratch_load_b128 v[55:58], off, off
	scratch_load_b128 v[59:62], off, off offset:160
	v_dual_mov_b32 v93, v175 :: v_dual_mov_b32 v48, v172
	v_mov_b32_e32 v203, v173
	s_and_b32 vcc_lo, exec_lo, s20
	ds_load_b128 v[63:66], v1 offset:1040
	s_waitcnt vmcnt(10) lgkmcnt(2)
	v_mul_f64 v[46:47], v[44:45], v[4:5]
	v_mul_f64 v[4:5], v[42:43], v[4:5]
	s_waitcnt vmcnt(9) lgkmcnt(1)
	v_mul_f64 v[67:68], v[38:39], v[8:9]
	v_mul_f64 v[8:9], v[40:41], v[8:9]
	s_delay_alu instid0(VALU_DEP_4) | instskip(NEXT) | instid1(VALU_DEP_4)
	v_fma_f64 v[46:47], v[42:43], v[2:3], -v[46:47]
	v_fma_f64 v[69:70], v[44:45], v[2:3], v[4:5]
	ds_load_b128 v[2:5], v1 offset:1024
	scratch_load_b128 v[42:45], off, off offset:176
	v_fma_f64 v[40:41], v[40:41], v[6:7], v[67:68]
	v_fma_f64 v[38:39], v[38:39], v[6:7], -v[8:9]
	scratch_load_b128 v[6:9], off, off offset:192
	s_waitcnt vmcnt(10) lgkmcnt(0)
	v_mul_f64 v[85:86], v[2:3], v[12:13]
	v_mul_f64 v[12:13], v[4:5], v[12:13]
	v_add_f64 v[46:47], v[46:47], 0
	v_add_f64 v[67:68], v[69:70], 0
	s_waitcnt vmcnt(9)
	v_mul_f64 v[69:70], v[63:64], v[16:17]
	v_mul_f64 v[16:17], v[65:66], v[16:17]
	v_fma_f64 v[85:86], v[4:5], v[10:11], v[85:86]
	v_fma_f64 v[89:90], v[2:3], v[10:11], -v[12:13]
	ds_load_b128 v[2:5], v1 offset:1056
	scratch_load_b128 v[10:13], off, off offset:208
	v_add_f64 v[46:47], v[46:47], v[38:39]
	v_add_f64 v[67:68], v[67:68], v[40:41]
	ds_load_b128 v[38:41], v1 offset:1072
	v_fma_f64 v[65:66], v[65:66], v[14:15], v[69:70]
	v_fma_f64 v[63:64], v[63:64], v[14:15], -v[16:17]
	scratch_load_b128 v[14:17], off, off offset:224
	s_waitcnt vmcnt(10) lgkmcnt(1)
	v_mul_f64 v[91:92], v[2:3], v[20:21]
	v_mul_f64 v[20:21], v[4:5], v[20:21]
	s_waitcnt vmcnt(9) lgkmcnt(0)
	v_mul_f64 v[69:70], v[38:39], v[24:25]
	v_mul_f64 v[24:25], v[40:41], v[24:25]
	v_add_f64 v[46:47], v[46:47], v[89:90]
	v_add_f64 v[67:68], v[67:68], v[85:86]
	v_fma_f64 v[85:86], v[4:5], v[18:19], v[91:92]
	v_fma_f64 v[89:90], v[2:3], v[18:19], -v[20:21]
	ds_load_b128 v[2:5], v1 offset:1088
	scratch_load_b128 v[18:21], off, off offset:240
	v_fma_f64 v[40:41], v[40:41], v[22:23], v[69:70]
	v_fma_f64 v[38:39], v[38:39], v[22:23], -v[24:25]
	scratch_load_b128 v[22:25], off, off offset:256
	v_add_f64 v[46:47], v[46:47], v[63:64]
	v_add_f64 v[67:68], v[67:68], v[65:66]
	ds_load_b128 v[63:66], v1 offset:1104
	s_waitcnt vmcnt(10) lgkmcnt(1)
	v_mul_f64 v[91:92], v[2:3], v[28:29]
	v_mul_f64 v[28:29], v[4:5], v[28:29]
	s_waitcnt vmcnt(9) lgkmcnt(0)
	v_mul_f64 v[69:70], v[63:64], v[32:33]
	v_mul_f64 v[32:33], v[65:66], v[32:33]
	v_add_f64 v[46:47], v[46:47], v[89:90]
	v_add_f64 v[67:68], v[67:68], v[85:86]
	v_fma_f64 v[85:86], v[4:5], v[26:27], v[91:92]
	v_fma_f64 v[89:90], v[2:3], v[26:27], -v[28:29]
	ds_load_b128 v[2:5], v1 offset:1120
	scratch_load_b128 v[26:29], off, off offset:272
	v_fma_f64 v[65:66], v[65:66], v[30:31], v[69:70]
	v_fma_f64 v[63:64], v[63:64], v[30:31], -v[32:33]
	scratch_load_b128 v[30:33], off, off offset:288
	v_add_f64 v[46:47], v[46:47], v[38:39]
	v_add_f64 v[67:68], v[67:68], v[40:41]
	ds_load_b128 v[38:41], v1 offset:1136
	s_waitcnt vmcnt(10) lgkmcnt(1)
	v_mul_f64 v[91:92], v[2:3], v[36:37]
	v_mul_f64 v[36:37], v[4:5], v[36:37]
	s_waitcnt vmcnt(8) lgkmcnt(0)
	v_mul_f64 v[69:70], v[38:39], v[61:62]
	v_add_f64 v[46:47], v[46:47], v[89:90]
	v_add_f64 v[67:68], v[67:68], v[85:86]
	v_mul_f64 v[85:86], v[40:41], v[61:62]
	v_fma_f64 v[89:90], v[4:5], v[34:35], v[91:92]
	v_fma_f64 v[91:92], v[2:3], v[34:35], -v[36:37]
	ds_load_b128 v[2:5], v1 offset:1152
	scratch_load_b128 v[34:37], off, off offset:304
	v_fma_f64 v[69:70], v[40:41], v[59:60], v[69:70]
	v_add_f64 v[46:47], v[46:47], v[63:64]
	v_add_f64 v[65:66], v[67:68], v[65:66]
	ds_load_b128 v[61:64], v1 offset:1168
	v_fma_f64 v[59:60], v[38:39], v[59:60], -v[85:86]
	scratch_load_b128 v[38:41], off, off offset:320
	s_waitcnt vmcnt(9) lgkmcnt(1)
	v_mul_f64 v[67:68], v[2:3], v[44:45]
	v_mul_f64 v[44:45], v[4:5], v[44:45]
	s_waitcnt vmcnt(8) lgkmcnt(0)
	v_mul_f64 v[85:86], v[61:62], v[8:9]
	v_mul_f64 v[8:9], v[63:64], v[8:9]
	v_add_f64 v[46:47], v[46:47], v[91:92]
	v_add_f64 v[65:66], v[65:66], v[89:90]
	v_fma_f64 v[89:90], v[4:5], v[42:43], v[67:68]
	v_fma_f64 v[91:92], v[2:3], v[42:43], -v[44:45]
	ds_load_b128 v[2:5], v1 offset:1184
	scratch_load_b128 v[42:45], off, off offset:336
	v_fma_f64 v[63:64], v[63:64], v[6:7], v[85:86]
	v_fma_f64 v[61:62], v[61:62], v[6:7], -v[8:9]
	scratch_load_b128 v[6:9], off, off offset:352
	v_add_f64 v[46:47], v[46:47], v[59:60]
	v_add_f64 v[59:60], v[65:66], v[69:70]
	ds_load_b128 v[65:68], v1 offset:1200
	s_waitcnt vmcnt(9) lgkmcnt(1)
	v_mul_f64 v[69:70], v[2:3], v[12:13]
	v_mul_f64 v[12:13], v[4:5], v[12:13]
	s_waitcnt vmcnt(8) lgkmcnt(0)
	v_mul_f64 v[85:86], v[65:66], v[16:17]
	v_mul_f64 v[16:17], v[67:68], v[16:17]
	v_add_f64 v[46:47], v[46:47], v[91:92]
	v_add_f64 v[59:60], v[59:60], v[89:90]
	v_fma_f64 v[69:70], v[4:5], v[10:11], v[69:70]
	v_fma_f64 v[89:90], v[2:3], v[10:11], -v[12:13]
	ds_load_b128 v[2:5], v1 offset:1216
	scratch_load_b128 v[10:13], off, off offset:368
	v_fma_f64 v[67:68], v[67:68], v[14:15], v[85:86]
	v_fma_f64 v[65:66], v[65:66], v[14:15], -v[16:17]
	scratch_load_b128 v[14:17], off, off offset:384
	v_add_f64 v[46:47], v[46:47], v[61:62]
	v_add_f64 v[63:64], v[59:60], v[63:64]
	ds_load_b128 v[59:62], v1 offset:1232
	s_waitcnt vmcnt(9) lgkmcnt(1)
	v_mul_f64 v[91:92], v[2:3], v[20:21]
	v_mul_f64 v[20:21], v[4:5], v[20:21]
	v_add_f64 v[46:47], v[46:47], v[89:90]
	v_add_f64 v[63:64], v[63:64], v[69:70]
	s_waitcnt vmcnt(8) lgkmcnt(0)
	v_mul_f64 v[69:70], v[59:60], v[24:25]
	v_mul_f64 v[24:25], v[61:62], v[24:25]
	v_fma_f64 v[85:86], v[4:5], v[18:19], v[91:92]
	v_fma_f64 v[89:90], v[2:3], v[18:19], -v[20:21]
	ds_load_b128 v[2:5], v1 offset:1248
	scratch_load_b128 v[18:21], off, off offset:400
	v_add_f64 v[46:47], v[46:47], v[65:66]
	v_add_f64 v[67:68], v[63:64], v[67:68]
	ds_load_b128 v[63:66], v1 offset:1264
	s_waitcnt vmcnt(8) lgkmcnt(1)
	v_mul_f64 v[91:92], v[2:3], v[28:29]
	v_mul_f64 v[28:29], v[4:5], v[28:29]
	v_fma_f64 v[61:62], v[61:62], v[22:23], v[69:70]
	v_fma_f64 v[59:60], v[59:60], v[22:23], -v[24:25]
	scratch_load_b128 v[22:25], off, off offset:416
	s_waitcnt vmcnt(8) lgkmcnt(0)
	v_mul_f64 v[69:70], v[63:64], v[32:33]
	v_mul_f64 v[32:33], v[65:66], v[32:33]
	v_add_f64 v[46:47], v[46:47], v[89:90]
	v_add_f64 v[67:68], v[67:68], v[85:86]
	v_fma_f64 v[85:86], v[4:5], v[26:27], v[91:92]
	v_fma_f64 v[89:90], v[2:3], v[26:27], -v[28:29]
	ds_load_b128 v[2:5], v1 offset:1280
	scratch_load_b128 v[26:29], off, off offset:432
	v_fma_f64 v[65:66], v[65:66], v[30:31], v[69:70]
	v_fma_f64 v[63:64], v[63:64], v[30:31], -v[32:33]
	scratch_load_b128 v[30:33], off, off offset:448
	v_add_f64 v[46:47], v[46:47], v[59:60]
	v_add_f64 v[67:68], v[67:68], v[61:62]
	ds_load_b128 v[59:62], v1 offset:1296
	s_waitcnt vmcnt(9) lgkmcnt(1)
	v_mul_f64 v[91:92], v[2:3], v[36:37]
	v_mul_f64 v[36:37], v[4:5], v[36:37]
	s_waitcnt vmcnt(8) lgkmcnt(0)
	v_mul_f64 v[69:70], v[59:60], v[40:41]
	v_mul_f64 v[40:41], v[61:62], v[40:41]
	v_add_f64 v[46:47], v[46:47], v[89:90]
	v_add_f64 v[67:68], v[67:68], v[85:86]
	v_fma_f64 v[85:86], v[4:5], v[34:35], v[91:92]
	v_fma_f64 v[89:90], v[2:3], v[34:35], -v[36:37]
	ds_load_b128 v[2:5], v1 offset:1312
	scratch_load_b128 v[34:37], off, off offset:464
	v_fma_f64 v[61:62], v[61:62], v[38:39], v[69:70]
	v_fma_f64 v[59:60], v[59:60], v[38:39], -v[40:41]
	scratch_load_b128 v[38:41], off, off offset:480
	v_add_f64 v[46:47], v[46:47], v[63:64]
	v_add_f64 v[67:68], v[67:68], v[65:66]
	ds_load_b128 v[63:66], v1 offset:1328
	s_waitcnt vmcnt(9) lgkmcnt(1)
	v_mul_f64 v[91:92], v[2:3], v[44:45]
	v_mul_f64 v[44:45], v[4:5], v[44:45]
	s_waitcnt vmcnt(8) lgkmcnt(0)
	v_mul_f64 v[69:70], v[63:64], v[8:9]
	v_mul_f64 v[8:9], v[65:66], v[8:9]
	v_add_f64 v[46:47], v[46:47], v[89:90]
	v_add_f64 v[67:68], v[67:68], v[85:86]
	v_fma_f64 v[85:86], v[4:5], v[42:43], v[91:92]
	v_fma_f64 v[89:90], v[2:3], v[42:43], -v[44:45]
	ds_load_b128 v[2:5], v1 offset:1344
	scratch_load_b128 v[42:45], off, off offset:496
	v_fma_f64 v[65:66], v[65:66], v[6:7], v[69:70]
	v_fma_f64 v[63:64], v[63:64], v[6:7], -v[8:9]
	scratch_load_b128 v[6:9], off, off offset:512
	v_add_f64 v[46:47], v[46:47], v[59:60]
	v_add_f64 v[67:68], v[67:68], v[61:62]
	ds_load_b128 v[59:62], v1 offset:1360
	s_waitcnt vmcnt(9) lgkmcnt(1)
	v_mul_f64 v[91:92], v[2:3], v[12:13]
	v_mul_f64 v[12:13], v[4:5], v[12:13]
	s_waitcnt vmcnt(8) lgkmcnt(0)
	v_mul_f64 v[69:70], v[59:60], v[16:17]
	v_mul_f64 v[16:17], v[61:62], v[16:17]
	v_add_f64 v[46:47], v[46:47], v[89:90]
	v_add_f64 v[67:68], v[67:68], v[85:86]
	v_fma_f64 v[85:86], v[4:5], v[10:11], v[91:92]
	v_fma_f64 v[89:90], v[2:3], v[10:11], -v[12:13]
	ds_load_b128 v[2:5], v1 offset:1376
	scratch_load_b128 v[10:13], off, off offset:528
	v_fma_f64 v[61:62], v[61:62], v[14:15], v[69:70]
	v_fma_f64 v[59:60], v[59:60], v[14:15], -v[16:17]
	scratch_load_b128 v[14:17], off, off offset:544
	v_add_f64 v[46:47], v[46:47], v[63:64]
	v_add_f64 v[67:68], v[67:68], v[65:66]
	ds_load_b128 v[63:66], v1 offset:1392
	s_waitcnt vmcnt(9) lgkmcnt(1)
	v_mul_f64 v[91:92], v[2:3], v[20:21]
	v_mul_f64 v[20:21], v[4:5], v[20:21]
	s_waitcnt vmcnt(8) lgkmcnt(0)
	v_mul_f64 v[69:70], v[63:64], v[24:25]
	v_mul_f64 v[24:25], v[65:66], v[24:25]
	v_add_f64 v[46:47], v[46:47], v[89:90]
	v_add_f64 v[67:68], v[67:68], v[85:86]
	v_fma_f64 v[85:86], v[4:5], v[18:19], v[91:92]
	v_fma_f64 v[89:90], v[2:3], v[18:19], -v[20:21]
	ds_load_b128 v[2:5], v1 offset:1408
	scratch_load_b128 v[18:21], off, off offset:560
	v_fma_f64 v[65:66], v[65:66], v[22:23], v[69:70]
	v_fma_f64 v[63:64], v[63:64], v[22:23], -v[24:25]
	scratch_load_b128 v[22:25], off, off offset:576
	v_add_f64 v[46:47], v[46:47], v[59:60]
	v_add_f64 v[67:68], v[67:68], v[61:62]
	ds_load_b128 v[59:62], v1 offset:1424
	s_waitcnt vmcnt(9) lgkmcnt(1)
	v_mul_f64 v[91:92], v[2:3], v[28:29]
	v_mul_f64 v[28:29], v[4:5], v[28:29]
	s_waitcnt vmcnt(8) lgkmcnt(0)
	v_mul_f64 v[69:70], v[59:60], v[32:33]
	v_mul_f64 v[32:33], v[61:62], v[32:33]
	v_add_f64 v[46:47], v[46:47], v[89:90]
	v_add_f64 v[67:68], v[67:68], v[85:86]
	v_fma_f64 v[85:86], v[4:5], v[26:27], v[91:92]
	v_fma_f64 v[89:90], v[2:3], v[26:27], -v[28:29]
	ds_load_b128 v[2:5], v1 offset:1440
	scratch_load_b128 v[26:29], off, off offset:592
	v_fma_f64 v[61:62], v[61:62], v[30:31], v[69:70]
	v_fma_f64 v[59:60], v[59:60], v[30:31], -v[32:33]
	scratch_load_b128 v[30:33], off, off offset:608
	v_add_f64 v[46:47], v[46:47], v[63:64]
	v_add_f64 v[67:68], v[67:68], v[65:66]
	ds_load_b128 v[63:66], v1 offset:1456
	s_waitcnt vmcnt(9) lgkmcnt(1)
	v_mul_f64 v[91:92], v[2:3], v[36:37]
	v_mul_f64 v[36:37], v[4:5], v[36:37]
	s_waitcnt vmcnt(8) lgkmcnt(0)
	v_mul_f64 v[69:70], v[63:64], v[40:41]
	v_mul_f64 v[40:41], v[65:66], v[40:41]
	v_add_f64 v[46:47], v[46:47], v[89:90]
	v_add_f64 v[67:68], v[67:68], v[85:86]
	v_fma_f64 v[85:86], v[4:5], v[34:35], v[91:92]
	v_fma_f64 v[89:90], v[2:3], v[34:35], -v[36:37]
	ds_load_b128 v[2:5], v1 offset:1472
	scratch_load_b128 v[34:37], off, off offset:624
	v_fma_f64 v[65:66], v[65:66], v[38:39], v[69:70]
	v_fma_f64 v[63:64], v[63:64], v[38:39], -v[40:41]
	scratch_load_b128 v[38:41], off, off offset:640
	v_add_f64 v[46:47], v[46:47], v[59:60]
	v_add_f64 v[67:68], v[67:68], v[61:62]
	ds_load_b128 v[59:62], v1 offset:1488
	s_waitcnt vmcnt(9) lgkmcnt(1)
	v_mul_f64 v[91:92], v[2:3], v[44:45]
	v_mul_f64 v[44:45], v[4:5], v[44:45]
	s_waitcnt vmcnt(8) lgkmcnt(0)
	v_mul_f64 v[69:70], v[59:60], v[8:9]
	v_mul_f64 v[8:9], v[61:62], v[8:9]
	v_add_f64 v[46:47], v[46:47], v[89:90]
	v_add_f64 v[67:68], v[67:68], v[85:86]
	v_fma_f64 v[85:86], v[4:5], v[42:43], v[91:92]
	v_fma_f64 v[89:90], v[2:3], v[42:43], -v[44:45]
	ds_load_b128 v[2:5], v1 offset:1504
	scratch_load_b128 v[42:45], off, off offset:656
	v_fma_f64 v[61:62], v[61:62], v[6:7], v[69:70]
	v_fma_f64 v[59:60], v[59:60], v[6:7], -v[8:9]
	scratch_load_b128 v[6:9], off, off offset:672
	v_add_f64 v[46:47], v[46:47], v[63:64]
	v_add_f64 v[67:68], v[67:68], v[65:66]
	ds_load_b128 v[63:66], v1 offset:1520
	s_waitcnt vmcnt(9) lgkmcnt(1)
	v_mul_f64 v[91:92], v[2:3], v[12:13]
	v_mul_f64 v[12:13], v[4:5], v[12:13]
	s_waitcnt vmcnt(8) lgkmcnt(0)
	v_mul_f64 v[69:70], v[63:64], v[16:17]
	v_mul_f64 v[16:17], v[65:66], v[16:17]
	v_add_f64 v[46:47], v[46:47], v[89:90]
	v_add_f64 v[67:68], v[67:68], v[85:86]
	v_fma_f64 v[85:86], v[4:5], v[10:11], v[91:92]
	v_fma_f64 v[89:90], v[2:3], v[10:11], -v[12:13]
	ds_load_b128 v[2:5], v1 offset:1536
	scratch_load_b128 v[10:13], off, off offset:688
	v_fma_f64 v[65:66], v[65:66], v[14:15], v[69:70]
	v_fma_f64 v[63:64], v[63:64], v[14:15], -v[16:17]
	scratch_load_b128 v[14:17], off, off offset:704
	v_add_f64 v[46:47], v[46:47], v[59:60]
	v_add_f64 v[67:68], v[67:68], v[61:62]
	ds_load_b128 v[59:62], v1 offset:1552
	s_waitcnt vmcnt(9) lgkmcnt(1)
	v_mul_f64 v[91:92], v[2:3], v[20:21]
	v_mul_f64 v[20:21], v[4:5], v[20:21]
	s_waitcnt vmcnt(8) lgkmcnt(0)
	v_mul_f64 v[69:70], v[59:60], v[24:25]
	v_mul_f64 v[24:25], v[61:62], v[24:25]
	v_add_f64 v[46:47], v[46:47], v[89:90]
	v_add_f64 v[67:68], v[67:68], v[85:86]
	v_fma_f64 v[85:86], v[4:5], v[18:19], v[91:92]
	v_fma_f64 v[89:90], v[2:3], v[18:19], -v[20:21]
	ds_load_b128 v[2:5], v1 offset:1568
	scratch_load_b128 v[18:21], off, off offset:720
	v_fma_f64 v[61:62], v[61:62], v[22:23], v[69:70]
	v_fma_f64 v[59:60], v[59:60], v[22:23], -v[24:25]
	scratch_load_b128 v[22:25], off, off offset:736
	v_add_f64 v[46:47], v[46:47], v[63:64]
	v_add_f64 v[67:68], v[67:68], v[65:66]
	ds_load_b128 v[63:66], v1 offset:1584
	s_waitcnt vmcnt(9) lgkmcnt(1)
	v_mul_f64 v[91:92], v[2:3], v[28:29]
	v_mul_f64 v[28:29], v[4:5], v[28:29]
	s_waitcnt vmcnt(8) lgkmcnt(0)
	v_mul_f64 v[69:70], v[63:64], v[32:33]
	v_mul_f64 v[32:33], v[65:66], v[32:33]
	v_add_f64 v[46:47], v[46:47], v[89:90]
	v_add_f64 v[67:68], v[67:68], v[85:86]
	v_fma_f64 v[85:86], v[4:5], v[26:27], v[91:92]
	v_fma_f64 v[89:90], v[2:3], v[26:27], -v[28:29]
	ds_load_b128 v[2:5], v1 offset:1600
	scratch_load_b128 v[26:29], off, off offset:752
	v_fma_f64 v[65:66], v[65:66], v[30:31], v[69:70]
	v_fma_f64 v[63:64], v[63:64], v[30:31], -v[32:33]
	scratch_load_b128 v[30:33], off, off offset:768
	v_add_f64 v[46:47], v[46:47], v[59:60]
	v_add_f64 v[67:68], v[67:68], v[61:62]
	ds_load_b128 v[59:62], v1 offset:1616
	s_waitcnt vmcnt(9) lgkmcnt(1)
	v_mul_f64 v[91:92], v[2:3], v[36:37]
	v_mul_f64 v[36:37], v[4:5], v[36:37]
	s_waitcnt vmcnt(8) lgkmcnt(0)
	v_mul_f64 v[69:70], v[59:60], v[40:41]
	v_mul_f64 v[40:41], v[61:62], v[40:41]
	v_add_f64 v[46:47], v[46:47], v[89:90]
	v_add_f64 v[67:68], v[67:68], v[85:86]
	v_fma_f64 v[85:86], v[4:5], v[34:35], v[91:92]
	v_fma_f64 v[89:90], v[2:3], v[34:35], -v[36:37]
	ds_load_b128 v[2:5], v1 offset:1632
	scratch_load_b128 v[34:37], off, off offset:784
	v_fma_f64 v[61:62], v[61:62], v[38:39], v[69:70]
	v_fma_f64 v[59:60], v[59:60], v[38:39], -v[40:41]
	scratch_load_b128 v[38:41], off, off offset:800
	v_add_f64 v[46:47], v[46:47], v[63:64]
	v_add_f64 v[67:68], v[67:68], v[65:66]
	ds_load_b128 v[63:66], v1 offset:1648
	s_waitcnt vmcnt(9) lgkmcnt(1)
	v_mul_f64 v[91:92], v[2:3], v[44:45]
	v_mul_f64 v[44:45], v[4:5], v[44:45]
	s_waitcnt vmcnt(8) lgkmcnt(0)
	v_mul_f64 v[69:70], v[63:64], v[8:9]
	v_mul_f64 v[8:9], v[65:66], v[8:9]
	v_add_f64 v[46:47], v[46:47], v[89:90]
	v_add_f64 v[67:68], v[67:68], v[85:86]
	v_fma_f64 v[85:86], v[4:5], v[42:43], v[91:92]
	v_fma_f64 v[89:90], v[2:3], v[42:43], -v[44:45]
	ds_load_b128 v[2:5], v1 offset:1664
	scratch_load_b128 v[42:45], off, off offset:816
	v_fma_f64 v[65:66], v[65:66], v[6:7], v[69:70]
	v_fma_f64 v[63:64], v[63:64], v[6:7], -v[8:9]
	scratch_load_b128 v[6:9], off, off offset:832
	v_add_f64 v[46:47], v[46:47], v[59:60]
	v_add_f64 v[67:68], v[67:68], v[61:62]
	ds_load_b128 v[59:62], v1 offset:1680
	s_waitcnt vmcnt(9) lgkmcnt(1)
	v_mul_f64 v[91:92], v[2:3], v[12:13]
	v_mul_f64 v[12:13], v[4:5], v[12:13]
	s_waitcnt vmcnt(8) lgkmcnt(0)
	v_mul_f64 v[69:70], v[59:60], v[16:17]
	v_mul_f64 v[16:17], v[61:62], v[16:17]
	v_add_f64 v[46:47], v[46:47], v[89:90]
	v_add_f64 v[67:68], v[67:68], v[85:86]
	v_fma_f64 v[85:86], v[4:5], v[10:11], v[91:92]
	v_fma_f64 v[89:90], v[2:3], v[10:11], -v[12:13]
	ds_load_b128 v[2:5], v1 offset:1696
	scratch_load_b128 v[10:13], off, off offset:848
	v_fma_f64 v[61:62], v[61:62], v[14:15], v[69:70]
	v_fma_f64 v[59:60], v[59:60], v[14:15], -v[16:17]
	scratch_load_b128 v[14:17], off, off offset:864
	v_add_f64 v[46:47], v[46:47], v[63:64]
	v_add_f64 v[67:68], v[67:68], v[65:66]
	ds_load_b128 v[63:66], v1 offset:1712
	s_waitcnt vmcnt(9) lgkmcnt(1)
	v_mul_f64 v[91:92], v[2:3], v[20:21]
	v_mul_f64 v[20:21], v[4:5], v[20:21]
	s_waitcnt vmcnt(8) lgkmcnt(0)
	v_mul_f64 v[69:70], v[63:64], v[24:25]
	v_mul_f64 v[24:25], v[65:66], v[24:25]
	v_add_f64 v[46:47], v[46:47], v[89:90]
	v_add_f64 v[67:68], v[67:68], v[85:86]
	v_fma_f64 v[85:86], v[4:5], v[18:19], v[91:92]
	v_fma_f64 v[89:90], v[2:3], v[18:19], -v[20:21]
	ds_load_b128 v[2:5], v1 offset:1728
	scratch_load_b128 v[18:21], off, off offset:880
	v_fma_f64 v[65:66], v[65:66], v[22:23], v[69:70]
	v_fma_f64 v[63:64], v[63:64], v[22:23], -v[24:25]
	scratch_load_b128 v[22:25], off, off offset:896
	v_add_f64 v[46:47], v[46:47], v[59:60]
	v_add_f64 v[67:68], v[67:68], v[61:62]
	ds_load_b128 v[59:62], v1 offset:1744
	s_waitcnt vmcnt(9) lgkmcnt(1)
	v_mul_f64 v[91:92], v[2:3], v[28:29]
	v_mul_f64 v[28:29], v[4:5], v[28:29]
	s_waitcnt vmcnt(8) lgkmcnt(0)
	v_mul_f64 v[69:70], v[59:60], v[32:33]
	v_mul_f64 v[32:33], v[61:62], v[32:33]
	v_add_f64 v[46:47], v[46:47], v[89:90]
	v_add_f64 v[67:68], v[67:68], v[85:86]
	v_fma_f64 v[85:86], v[4:5], v[26:27], v[91:92]
	v_fma_f64 v[89:90], v[2:3], v[26:27], -v[28:29]
	ds_load_b128 v[2:5], v1 offset:1760
	scratch_load_b128 v[26:29], off, off offset:912
	v_fma_f64 v[61:62], v[61:62], v[30:31], v[69:70]
	v_fma_f64 v[59:60], v[59:60], v[30:31], -v[32:33]
	scratch_load_b128 v[30:33], off, off offset:928
	v_add_f64 v[46:47], v[46:47], v[63:64]
	v_add_f64 v[67:68], v[67:68], v[65:66]
	ds_load_b128 v[63:66], v1 offset:1776
	s_waitcnt vmcnt(9) lgkmcnt(1)
	v_mul_f64 v[91:92], v[2:3], v[36:37]
	v_mul_f64 v[36:37], v[4:5], v[36:37]
	s_waitcnt vmcnt(8) lgkmcnt(0)
	v_mul_f64 v[69:70], v[63:64], v[40:41]
	v_mul_f64 v[40:41], v[65:66], v[40:41]
	v_add_f64 v[46:47], v[46:47], v[89:90]
	v_add_f64 v[67:68], v[67:68], v[85:86]
	v_fma_f64 v[85:86], v[4:5], v[34:35], v[91:92]
	v_fma_f64 v[89:90], v[2:3], v[34:35], -v[36:37]
	ds_load_b128 v[2:5], v1 offset:1792
	scratch_load_b128 v[34:37], off, off offset:944
	v_fma_f64 v[65:66], v[65:66], v[38:39], v[69:70]
	v_fma_f64 v[63:64], v[63:64], v[38:39], -v[40:41]
	scratch_load_b128 v[38:41], off, off offset:960
	v_add_f64 v[46:47], v[46:47], v[59:60]
	v_add_f64 v[67:68], v[67:68], v[61:62]
	ds_load_b128 v[59:62], v1 offset:1808
	s_waitcnt vmcnt(9) lgkmcnt(1)
	v_mul_f64 v[91:92], v[2:3], v[44:45]
	v_mul_f64 v[44:45], v[4:5], v[44:45]
	s_waitcnt vmcnt(8) lgkmcnt(0)
	v_mul_f64 v[69:70], v[59:60], v[8:9]
	v_mul_f64 v[8:9], v[61:62], v[8:9]
	v_add_f64 v[46:47], v[46:47], v[89:90]
	v_add_f64 v[67:68], v[67:68], v[85:86]
	v_fma_f64 v[85:86], v[4:5], v[42:43], v[91:92]
	v_fma_f64 v[89:90], v[2:3], v[42:43], -v[44:45]
	ds_load_b128 v[2:5], v1 offset:1824
	ds_load_b128 v[42:45], v1 offset:1840
	v_fma_f64 v[61:62], v[61:62], v[6:7], v[69:70]
	v_fma_f64 v[6:7], v[59:60], v[6:7], -v[8:9]
	v_add_f64 v[46:47], v[46:47], v[63:64]
	v_add_f64 v[63:64], v[67:68], v[65:66]
	s_waitcnt vmcnt(7) lgkmcnt(1)
	v_mul_f64 v[65:66], v[2:3], v[12:13]
	v_mul_f64 v[12:13], v[4:5], v[12:13]
	s_waitcnt vmcnt(6) lgkmcnt(0)
	v_mul_f64 v[59:60], v[42:43], v[16:17]
	v_mul_f64 v[16:17], v[44:45], v[16:17]
	v_add_f64 v[8:9], v[46:47], v[89:90]
	v_add_f64 v[46:47], v[63:64], v[85:86]
	v_fma_f64 v[63:64], v[4:5], v[10:11], v[65:66]
	v_fma_f64 v[10:11], v[2:3], v[10:11], -v[12:13]
	v_fma_f64 v[44:45], v[44:45], v[14:15], v[59:60]
	v_fma_f64 v[14:15], v[42:43], v[14:15], -v[16:17]
	v_add_f64 v[12:13], v[8:9], v[6:7]
	v_add_f64 v[46:47], v[46:47], v[61:62]
	ds_load_b128 v[2:5], v1 offset:1856
	ds_load_b128 v[6:9], v1 offset:1872
	s_waitcnt vmcnt(5) lgkmcnt(1)
	v_mul_f64 v[61:62], v[2:3], v[20:21]
	v_mul_f64 v[20:21], v[4:5], v[20:21]
	s_waitcnt vmcnt(4) lgkmcnt(0)
	v_mul_f64 v[16:17], v[6:7], v[24:25]
	v_mul_f64 v[24:25], v[8:9], v[24:25]
	v_add_f64 v[10:11], v[12:13], v[10:11]
	v_add_f64 v[12:13], v[46:47], v[63:64]
	v_fma_f64 v[42:43], v[4:5], v[18:19], v[61:62]
	v_fma_f64 v[18:19], v[2:3], v[18:19], -v[20:21]
	v_fma_f64 v[8:9], v[8:9], v[22:23], v[16:17]
	v_fma_f64 v[6:7], v[6:7], v[22:23], -v[24:25]
	v_add_f64 v[14:15], v[10:11], v[14:15]
	v_add_f64 v[20:21], v[12:13], v[44:45]
	ds_load_b128 v[2:5], v1 offset:1888
	ds_load_b128 v[10:13], v1 offset:1904
	s_waitcnt vmcnt(3) lgkmcnt(1)
	v_mul_f64 v[44:45], v[2:3], v[28:29]
	v_mul_f64 v[28:29], v[4:5], v[28:29]
	v_add_f64 v[14:15], v[14:15], v[18:19]
	v_add_f64 v[16:17], v[20:21], v[42:43]
	s_waitcnt vmcnt(2) lgkmcnt(0)
	v_mul_f64 v[18:19], v[10:11], v[32:33]
	v_mul_f64 v[20:21], v[12:13], v[32:33]
	v_fma_f64 v[22:23], v[4:5], v[26:27], v[44:45]
	v_fma_f64 v[24:25], v[2:3], v[26:27], -v[28:29]
	v_add_f64 v[14:15], v[14:15], v[6:7]
	v_add_f64 v[16:17], v[16:17], v[8:9]
	ds_load_b128 v[2:5], v1 offset:1920
	ds_load_b128 v[6:9], v1 offset:1936
	v_fma_f64 v[12:13], v[12:13], v[30:31], v[18:19]
	v_fma_f64 v[10:11], v[10:11], v[30:31], -v[20:21]
	s_waitcnt vmcnt(1) lgkmcnt(1)
	v_mul_f64 v[26:27], v[2:3], v[36:37]
	v_mul_f64 v[28:29], v[4:5], v[36:37]
	s_waitcnt vmcnt(0) lgkmcnt(0)
	v_mul_f64 v[18:19], v[6:7], v[40:41]
	v_mul_f64 v[20:21], v[8:9], v[40:41]
	v_add_f64 v[14:15], v[14:15], v[24:25]
	v_add_f64 v[16:17], v[16:17], v[22:23]
	v_fma_f64 v[4:5], v[4:5], v[34:35], v[26:27]
	v_fma_f64 v[1:2], v[2:3], v[34:35], -v[28:29]
	v_fma_f64 v[8:9], v[8:9], v[38:39], v[18:19]
	v_fma_f64 v[6:7], v[6:7], v[38:39], -v[20:21]
	v_add_f64 v[10:11], v[14:15], v[10:11]
	v_add_f64 v[12:13], v[16:17], v[12:13]
	s_delay_alu instid0(VALU_DEP_2) | instskip(NEXT) | instid1(VALU_DEP_2)
	v_add_f64 v[1:2], v[10:11], v[1:2]
	v_add_f64 v[3:4], v[12:13], v[4:5]
	s_delay_alu instid0(VALU_DEP_2) | instskip(NEXT) | instid1(VALU_DEP_2)
	;; [unrolled: 3-line block ×3, first 2 shown]
	v_add_f64 v[1:2], v[55:56], -v[1:2]
	v_add_f64 v[3:4], v[57:58], -v[3:4]
	scratch_store_b128 off, v[1:4], off
	s_cbranch_vccz .LBB60_513
; %bb.392:
	v_dual_mov_b32 v1, s16 :: v_dual_mov_b32 v2, s17
	s_load_b64 s[0:1], s[0:1], 0x4
	flat_load_b32 v1, v[1:2] offset:236
	v_bfe_u32 v2, v0, 10, 10
	v_bfe_u32 v0, v0, 20, 10
	s_waitcnt lgkmcnt(0)
	s_lshr_b32 s0, s0, 16
	s_delay_alu instid0(VALU_DEP_2) | instskip(SKIP_1) | instid1(SALU_CYCLE_1)
	v_mul_u32_u24_e32 v2, s1, v2
	s_mul_i32 s0, s0, s1
	v_mul_u32_u24_e32 v3, s0, v171
	s_delay_alu instid0(VALU_DEP_1) | instskip(NEXT) | instid1(VALU_DEP_1)
	v_add3_u32 v0, v3, v2, v0
	v_lshl_add_u32 v0, v0, 4, 0x7a8
	s_waitcnt vmcnt(0)
	v_cmp_ne_u32_e32 vcc_lo, 60, v1
	s_mov_b32 s0, exec_lo
	v_mov_b32_e32 v10, v253
	s_and_b32 s1, s0, vcc_lo
	s_delay_alu instid0(SALU_CYCLE_1)
	s_mov_b32 exec_lo, s1
	s_cbranch_execz .LBB60_394
; %bb.393:
	v_lshl_add_u32 v9, v1, 4, 0
	s_clause 0x1
	scratch_load_b128 v[1:4], v10, off
	scratch_load_b128 v[5:8], v9, off offset:-16
	s_waitcnt vmcnt(1)
	ds_store_2addr_b64 v0, v[1:2], v[3:4] offset1:1
	s_waitcnt vmcnt(0)
	s_clause 0x1
	scratch_store_b128 v10, v[5:8], off
	scratch_store_b128 v9, v[1:4], off offset:-16
.LBB60_394:
	s_or_b32 exec_lo, exec_lo, s0
	v_dual_mov_b32 v1, s16 :: v_dual_mov_b32 v2, s17
	flat_load_b32 v1, v[1:2] offset:232
	s_waitcnt vmcnt(0) lgkmcnt(0)
	v_cmp_ne_u32_e32 vcc_lo, 59, v1
	s_mov_b32 s0, exec_lo
	v_dual_mov_b32 v10, v203 :: v_dual_mov_b32 v11, v205
	v_dual_mov_b32 v12, v93 :: v_dual_mov_b32 v13, v94
	;; [unrolled: 1-line block ×6, first 2 shown]
	s_and_b32 s1, s0, vcc_lo
	s_delay_alu instid0(SALU_CYCLE_1)
	s_mov_b32 exec_lo, s1
	s_cbranch_execz .LBB60_396
; %bb.395:
	v_lshl_add_u32 v9, v1, 4, 0
	s_clause 0x1
	scratch_load_b128 v[1:4], v10, off
	scratch_load_b128 v[5:8], v9, off offset:-16
	s_waitcnt vmcnt(1)
	ds_store_2addr_b64 v0, v[1:2], v[3:4] offset1:1
	s_waitcnt vmcnt(0)
	s_clause 0x1
	scratch_store_b128 v10, v[5:8], off
	scratch_store_b128 v9, v[1:4], off offset:-16
.LBB60_396:
	s_or_b32 exec_lo, exec_lo, s0
	v_dual_mov_b32 v1, s16 :: v_dual_mov_b32 v2, s17
	s_mov_b32 s0, exec_lo
	flat_load_b32 v1, v[1:2] offset:228
	s_waitcnt vmcnt(0) lgkmcnt(0)
	v_cmpx_ne_u32_e32 58, v1
	s_cbranch_execz .LBB60_398
; %bb.397:
	v_lshl_add_u32 v9, v1, 4, 0
	s_clause 0x1
	scratch_load_b128 v[1:4], v11, off
	scratch_load_b128 v[5:8], v9, off offset:-16
	s_waitcnt vmcnt(1)
	ds_store_2addr_b64 v0, v[1:2], v[3:4] offset1:1
	s_waitcnt vmcnt(0)
	s_clause 0x1
	scratch_store_b128 v11, v[5:8], off
	scratch_store_b128 v9, v[1:4], off offset:-16
.LBB60_398:
	s_or_b32 exec_lo, exec_lo, s0
	v_dual_mov_b32 v1, s16 :: v_dual_mov_b32 v2, s17
	s_mov_b32 s0, exec_lo
	flat_load_b32 v1, v[1:2] offset:224
	s_waitcnt vmcnt(0) lgkmcnt(0)
	v_cmpx_ne_u32_e32 57, v1
	;; [unrolled: 19-line block ×36, first 2 shown]
	s_cbranch_execz .LBB60_468
; %bb.467:
	scratch_load_b32 v10, off, off offset:976 ; 4-byte Folded Reload
	v_lshl_add_u32 v9, v1, 4, 0
	s_waitcnt vmcnt(0)
	s_clause 0x1
	scratch_load_b128 v[1:4], v10, off
	scratch_load_b128 v[5:8], v9, off offset:-16
	s_waitcnt vmcnt(1)
	ds_store_2addr_b64 v0, v[1:2], v[3:4] offset1:1
	s_waitcnt vmcnt(0)
	s_clause 0x1
	scratch_store_b128 v10, v[5:8], off
	scratch_store_b128 v9, v[1:4], off offset:-16
.LBB60_468:
	s_or_b32 exec_lo, exec_lo, s0
	v_dual_mov_b32 v1, s16 :: v_dual_mov_b32 v2, s17
	s_mov_b32 s0, exec_lo
	flat_load_b32 v1, v[1:2] offset:84
	s_waitcnt vmcnt(0) lgkmcnt(0)
	v_cmpx_ne_u32_e32 22, v1
	s_cbranch_execz .LBB60_470
; %bb.469:
	scratch_load_b32 v10, off, off offset:980 ; 4-byte Folded Reload
	v_lshl_add_u32 v9, v1, 4, 0
	s_waitcnt vmcnt(0)
	s_clause 0x1
	scratch_load_b128 v[1:4], v10, off
	scratch_load_b128 v[5:8], v9, off offset:-16
	s_waitcnt vmcnt(1)
	ds_store_2addr_b64 v0, v[1:2], v[3:4] offset1:1
	s_waitcnt vmcnt(0)
	s_clause 0x1
	scratch_store_b128 v10, v[5:8], off
	scratch_store_b128 v9, v[1:4], off offset:-16
.LBB60_470:
	s_or_b32 exec_lo, exec_lo, s0
	v_dual_mov_b32 v1, s16 :: v_dual_mov_b32 v2, s17
	s_mov_b32 s0, exec_lo
	flat_load_b32 v1, v[1:2] offset:80
	s_waitcnt vmcnt(0) lgkmcnt(0)
	v_cmpx_ne_u32_e32 21, v1
	;; [unrolled: 21-line block ×12, first 2 shown]
	s_cbranch_execz .LBB60_492
; %bb.491:
	v_lshl_add_u32 v9, v1, 4, 0
	s_clause 0x1
	scratch_load_b128 v[1:4], v211, off
	scratch_load_b128 v[5:8], v9, off offset:-16
	s_waitcnt vmcnt(1)
	ds_store_2addr_b64 v0, v[1:2], v[3:4] offset1:1
	s_waitcnt vmcnt(0)
	s_clause 0x1
	scratch_store_b128 v211, v[5:8], off
	scratch_store_b128 v9, v[1:4], off offset:-16
.LBB60_492:
	s_or_b32 exec_lo, exec_lo, s0
	v_dual_mov_b32 v1, s16 :: v_dual_mov_b32 v2, s17
	s_mov_b32 s0, exec_lo
	flat_load_b32 v1, v[1:2] offset:36
	s_waitcnt vmcnt(0) lgkmcnt(0)
	v_cmpx_ne_u32_e32 10, v1
	s_cbranch_execz .LBB60_494
; %bb.493:
	v_lshl_add_u32 v9, v1, 4, 0
	s_clause 0x1
	scratch_load_b128 v[1:4], v212, off
	scratch_load_b128 v[5:8], v9, off offset:-16
	s_waitcnt vmcnt(1)
	ds_store_2addr_b64 v0, v[1:2], v[3:4] offset1:1
	s_waitcnt vmcnt(0)
	s_clause 0x1
	scratch_store_b128 v212, v[5:8], off
	scratch_store_b128 v9, v[1:4], off offset:-16
.LBB60_494:
	s_or_b32 exec_lo, exec_lo, s0
	v_dual_mov_b32 v1, s16 :: v_dual_mov_b32 v2, s17
	s_mov_b32 s0, exec_lo
	flat_load_b32 v1, v[1:2] offset:32
	s_waitcnt vmcnt(0) lgkmcnt(0)
	v_cmpx_ne_u32_e32 9, v1
	s_cbranch_execz .LBB60_496
; %bb.495:
	v_lshl_add_u32 v9, v1, 4, 0
	s_clause 0x1
	scratch_load_b128 v[1:4], v213, off
	scratch_load_b128 v[5:8], v9, off offset:-16
	s_waitcnt vmcnt(1)
	ds_store_2addr_b64 v0, v[1:2], v[3:4] offset1:1
	s_waitcnt vmcnt(0)
	s_clause 0x1
	scratch_store_b128 v213, v[5:8], off
	scratch_store_b128 v9, v[1:4], off offset:-16
.LBB60_496:
	s_or_b32 exec_lo, exec_lo, s0
	v_dual_mov_b32 v1, s16 :: v_dual_mov_b32 v2, s17
	s_mov_b32 s0, exec_lo
	flat_load_b32 v1, v[1:2] offset:28
	s_waitcnt vmcnt(0) lgkmcnt(0)
	v_cmpx_ne_u32_e32 8, v1
	s_cbranch_execz .LBB60_498
; %bb.497:
	v_lshl_add_u32 v9, v1, 4, 0
	s_clause 0x1
	scratch_load_b128 v[1:4], v208, off
	scratch_load_b128 v[5:8], v9, off offset:-16
	s_waitcnt vmcnt(1)
	ds_store_2addr_b64 v0, v[1:2], v[3:4] offset1:1
	s_waitcnt vmcnt(0)
	s_clause 0x1
	scratch_store_b128 v208, v[5:8], off
	scratch_store_b128 v9, v[1:4], off offset:-16
.LBB60_498:
	s_or_b32 exec_lo, exec_lo, s0
	v_dual_mov_b32 v1, s16 :: v_dual_mov_b32 v2, s17
	s_mov_b32 s0, exec_lo
	flat_load_b32 v1, v[1:2] offset:24
	s_waitcnt vmcnt(0) lgkmcnt(0)
	v_cmpx_ne_u32_e32 7, v1
	s_cbranch_execz .LBB60_500
; %bb.499:
	v_lshl_add_u32 v9, v1, 4, 0
	s_clause 0x1
	scratch_load_b128 v[1:4], v217, off
	scratch_load_b128 v[5:8], v9, off offset:-16
	s_waitcnt vmcnt(1)
	ds_store_2addr_b64 v0, v[1:2], v[3:4] offset1:1
	s_waitcnt vmcnt(0)
	s_clause 0x1
	scratch_store_b128 v217, v[5:8], off
	scratch_store_b128 v9, v[1:4], off offset:-16
.LBB60_500:
	s_or_b32 exec_lo, exec_lo, s0
	v_dual_mov_b32 v1, s16 :: v_dual_mov_b32 v2, s17
	s_mov_b32 s0, exec_lo
	flat_load_b32 v1, v[1:2] offset:20
	s_waitcnt vmcnt(0) lgkmcnt(0)
	v_cmpx_ne_u32_e32 6, v1
	s_cbranch_execz .LBB60_502
; %bb.501:
	v_lshl_add_u32 v9, v1, 4, 0
	s_clause 0x1
	scratch_load_b128 v[1:4], v218, off
	scratch_load_b128 v[5:8], v9, off offset:-16
	s_waitcnt vmcnt(1)
	ds_store_2addr_b64 v0, v[1:2], v[3:4] offset1:1
	s_waitcnt vmcnt(0)
	s_clause 0x1
	scratch_store_b128 v218, v[5:8], off
	scratch_store_b128 v9, v[1:4], off offset:-16
.LBB60_502:
	s_or_b32 exec_lo, exec_lo, s0
	v_dual_mov_b32 v1, s16 :: v_dual_mov_b32 v2, s17
	s_mov_b32 s0, exec_lo
	flat_load_b32 v1, v[1:2] offset:16
	s_waitcnt vmcnt(0) lgkmcnt(0)
	v_cmpx_ne_u32_e32 5, v1
	s_cbranch_execz .LBB60_504
; %bb.503:
	v_lshl_add_u32 v9, v1, 4, 0
	s_clause 0x1
	scratch_load_b128 v[1:4], v219, off
	scratch_load_b128 v[5:8], v9, off offset:-16
	s_waitcnt vmcnt(1)
	ds_store_2addr_b64 v0, v[1:2], v[3:4] offset1:1
	s_waitcnt vmcnt(0)
	s_clause 0x1
	scratch_store_b128 v219, v[5:8], off
	scratch_store_b128 v9, v[1:4], off offset:-16
.LBB60_504:
	s_or_b32 exec_lo, exec_lo, s0
	v_dual_mov_b32 v1, s16 :: v_dual_mov_b32 v2, s17
	s_mov_b32 s0, exec_lo
	flat_load_b32 v1, v[1:2] offset:12
	s_waitcnt vmcnt(0) lgkmcnt(0)
	v_cmpx_ne_u32_e32 4, v1
	s_cbranch_execz .LBB60_506
; %bb.505:
	v_lshl_add_u32 v9, v1, 4, 0
	s_clause 0x1
	scratch_load_b128 v[1:4], v209, off
	scratch_load_b128 v[5:8], v9, off offset:-16
	s_waitcnt vmcnt(1)
	ds_store_2addr_b64 v0, v[1:2], v[3:4] offset1:1
	s_waitcnt vmcnt(0)
	s_clause 0x1
	scratch_store_b128 v209, v[5:8], off
	scratch_store_b128 v9, v[1:4], off offset:-16
.LBB60_506:
	s_or_b32 exec_lo, exec_lo, s0
	v_dual_mov_b32 v1, s16 :: v_dual_mov_b32 v2, s17
	s_mov_b32 s0, exec_lo
	flat_load_b32 v1, v[1:2] offset:8
	s_waitcnt vmcnt(0) lgkmcnt(0)
	v_cmpx_ne_u32_e32 3, v1
	s_cbranch_execz .LBB60_508
; %bb.507:
	v_lshl_add_u32 v9, v1, 4, 0
	s_clause 0x1
	scratch_load_b128 v[1:4], v223, off
	scratch_load_b128 v[5:8], v9, off offset:-16
	s_waitcnt vmcnt(1)
	ds_store_2addr_b64 v0, v[1:2], v[3:4] offset1:1
	s_waitcnt vmcnt(0)
	s_clause 0x1
	scratch_store_b128 v223, v[5:8], off
	scratch_store_b128 v9, v[1:4], off offset:-16
.LBB60_508:
	s_or_b32 exec_lo, exec_lo, s0
	v_dual_mov_b32 v1, s16 :: v_dual_mov_b32 v2, s17
	s_mov_b32 s0, exec_lo
	flat_load_b32 v1, v[1:2] offset:4
	s_waitcnt vmcnt(0) lgkmcnt(0)
	v_cmpx_ne_u32_e32 2, v1
	s_cbranch_execz .LBB60_510
; %bb.509:
	v_lshl_add_u32 v9, v1, 4, 0
	s_clause 0x1
	scratch_load_b128 v[1:4], v224, off
	scratch_load_b128 v[5:8], v9, off offset:-16
	s_waitcnt vmcnt(1)
	ds_store_2addr_b64 v0, v[1:2], v[3:4] offset1:1
	s_waitcnt vmcnt(0)
	s_clause 0x1
	scratch_store_b128 v224, v[5:8], off
	scratch_store_b128 v9, v[1:4], off offset:-16
.LBB60_510:
	s_or_b32 exec_lo, exec_lo, s0
	v_dual_mov_b32 v1, s16 :: v_dual_mov_b32 v2, s17
	s_mov_b32 s0, exec_lo
	flat_load_b32 v1, v[1:2]
	s_waitcnt vmcnt(0) lgkmcnt(0)
	v_cmpx_ne_u32_e32 1, v1
	s_cbranch_execz .LBB60_512
; %bb.511:
	v_lshl_add_u32 v9, v1, 4, 0
	scratch_load_b128 v[1:4], off, off
	scratch_load_b128 v[5:8], v9, off offset:-16
	s_waitcnt vmcnt(1)
	ds_store_2addr_b64 v0, v[1:2], v[3:4] offset1:1
	s_waitcnt vmcnt(0)
	scratch_store_b128 off, v[5:8], off
	scratch_store_b128 v9, v[1:4], off offset:-16
.LBB60_512:
	s_or_b32 exec_lo, exec_lo, s0
.LBB60_513:
	scratch_load_b128 v[0:3], off, off
	s_clause 0x9
	scratch_load_b128 v[4:7], v224, off
	scratch_load_b128 v[8:11], v223, off
	;; [unrolled: 1-line block ×10, first 2 shown]
	scratch_load_b32 v44, off, off offset:1020 ; 4-byte Folded Reload
	s_waitcnt vmcnt(0)
	scratch_load_b128 v[55:58], v44, off
	scratch_load_b32 v44, off, off offset:1016 ; 4-byte Folded Reload
	s_waitcnt vmcnt(0)
	scratch_load_b128 v[59:62], v44, off
	;; [unrolled: 3-line block ×11, first 2 shown]
	scratch_load_b32 v85, off, off offset:976 ; 4-byte Folded Reload
	global_store_b128 v[53:54], v[0:3], off
	s_waitcnt vmcnt(0)
	s_clause 0x2
	scratch_load_b128 v[171:174], v85, off
	scratch_load_b128 v[0:3], v206, off
	scratch_load_b128 v[175:178], v201, off
	global_store_b128 v[95:96], v[4:7], off
	s_clause 0x1
	scratch_load_b128 v[4:7], v226, off
	scratch_load_b128 v[223:226], v225, off
	global_store_b128 v[97:98], v[8:11], off
	s_clause 0x1
	scratch_load_b128 v[8:11], v199, off
	scratch_load_b128 v[217:220], v220, off
	;; [unrolled: 4-line block ×4, first 2 shown]
	scratch_load_b64 v[53:54], off, off offset:1024 ; 8-byte Folded Reload
	s_waitcnt vmcnt(0)
	global_store_b128 v[53:54], v[20:23], off
	s_clause 0x1
	scratch_load_b128 v[20:23], v179, off
	scratch_load_b128 v[199:202], v202, off
	scratch_load_b64 v[53:54], off, off offset:1032 ; 8-byte Folded Reload
	s_waitcnt vmcnt(0)
	global_store_b128 v[53:54], v[24:27], off
	s_clause 0x1
	scratch_load_b128 v[24:27], v198, off
	scratch_load_b128 v[195:198], v196, off
	global_store_b128 v[81:82], v[28:31], off
	s_clause 0x1
	scratch_load_b128 v[28:31], v192, off
	scratch_load_b128 v[191:194], v191, off
	scratch_load_b64 v[53:54], off, off offset:1040 ; 8-byte Folded Reload
	s_waitcnt vmcnt(0)
	global_store_b128 v[53:54], v[32:35], off
	s_clause 0x1
	scratch_load_b128 v[32:35], v190, off
	scratch_load_b128 v[179:182], v189, off
	global_store_b128 v[71:72], v[36:39], off
	s_clause 0x1
	scratch_load_b128 v[36:39], v188, off
	scratch_load_b128 v[187:190], v187, off
	;; [unrolled: 4-line block ×8, first 2 shown]
	scratch_load_b64 v[69:70], off, off offset:1048 ; 8-byte Folded Reload
	s_waitcnt vmcnt(0)
	global_store_b128 v[69:70], v[233:236], off
	s_clause 0x1
	scratch_load_b128 v[231:234], v94, off
	scratch_load_b128 v[91:94], v93, off
	scratch_load_b64 v[69:70], off, off offset:1056 ; 8-byte Folded Reload
	s_waitcnt vmcnt(0)
	global_store_b128 v[69:70], v[237:240], off
	s_clause 0x1
	scratch_load_b128 v[235:238], v205, off
	scratch_load_b128 v[95:98], v203, off
	;; [unrolled: 6-line block ×3, first 2 shown]
	scratch_load_b64 v[69:70], off, off offset:1072 ; 8-byte Folded Reload
	s_waitcnt vmcnt(0)
	global_store_b128 v[69:70], v[245:248], off
	scratch_load_b64 v[69:70], off, off offset:1080 ; 8-byte Folded Reload
	s_waitcnt vmcnt(0)
	global_store_b128 v[69:70], v[249:252], off
	;; [unrolled: 3-line block ×3, first 2 shown]
	scratch_load_b64 v[44:45], off, off offset:1096 ; 8-byte Folded Reload
	s_waitcnt vmcnt(0)
	s_clause 0x1
	global_store_b128 v[44:45], v[171:174], off
	global_store_b128 v[254:255], v[0:3], off
	scratch_load_b64 v[0:1], off, off offset:1104 ; 8-byte Folded Reload
	s_waitcnt vmcnt(0)
	s_clause 0x1f
	global_store_b128 v[0:1], v[175:178], off
	global_store_b128 v[103:104], v[4:7], off
	;; [unrolled: 1-line block ×32, first 2 shown]
	s_clause 0x4
	global_store_b128 v[165:166], v[91:94], off
	global_store_b128 v[167:168], v[235:238], off
	;; [unrolled: 1-line block ×5, first 2 shown]
	s_endpgm
	.section	.rodata,"a",@progbits
	.p2align	6, 0x0
	.amdhsa_kernel _ZN9rocsolver6v33100L18getri_kernel_smallILi61E19rocblas_complex_numIdEPS3_EEvT1_iilPiilS6_bb
		.amdhsa_group_segment_fixed_size 2984
		.amdhsa_private_segment_fixed_size 1120
		.amdhsa_kernarg_size 60
		.amdhsa_user_sgpr_count 15
		.amdhsa_user_sgpr_dispatch_ptr 1
		.amdhsa_user_sgpr_queue_ptr 0
		.amdhsa_user_sgpr_kernarg_segment_ptr 1
		.amdhsa_user_sgpr_dispatch_id 0
		.amdhsa_user_sgpr_private_segment_size 0
		.amdhsa_wavefront_size32 1
		.amdhsa_uses_dynamic_stack 0
		.amdhsa_enable_private_segment 1
		.amdhsa_system_sgpr_workgroup_id_x 1
		.amdhsa_system_sgpr_workgroup_id_y 0
		.amdhsa_system_sgpr_workgroup_id_z 0
		.amdhsa_system_sgpr_workgroup_info 0
		.amdhsa_system_vgpr_workitem_id 2
		.amdhsa_next_free_vgpr 256
		.amdhsa_next_free_sgpr 67
		.amdhsa_reserve_vcc 1
		.amdhsa_float_round_mode_32 0
		.amdhsa_float_round_mode_16_64 0
		.amdhsa_float_denorm_mode_32 3
		.amdhsa_float_denorm_mode_16_64 3
		.amdhsa_dx10_clamp 1
		.amdhsa_ieee_mode 1
		.amdhsa_fp16_overflow 0
		.amdhsa_workgroup_processor_mode 1
		.amdhsa_memory_ordered 1
		.amdhsa_forward_progress 0
		.amdhsa_shared_vgpr_count 0
		.amdhsa_exception_fp_ieee_invalid_op 0
		.amdhsa_exception_fp_denorm_src 0
		.amdhsa_exception_fp_ieee_div_zero 0
		.amdhsa_exception_fp_ieee_overflow 0
		.amdhsa_exception_fp_ieee_underflow 0
		.amdhsa_exception_fp_ieee_inexact 0
		.amdhsa_exception_int_div_zero 0
	.end_amdhsa_kernel
	.section	.text._ZN9rocsolver6v33100L18getri_kernel_smallILi61E19rocblas_complex_numIdEPS3_EEvT1_iilPiilS6_bb,"axG",@progbits,_ZN9rocsolver6v33100L18getri_kernel_smallILi61E19rocblas_complex_numIdEPS3_EEvT1_iilPiilS6_bb,comdat
.Lfunc_end60:
	.size	_ZN9rocsolver6v33100L18getri_kernel_smallILi61E19rocblas_complex_numIdEPS3_EEvT1_iilPiilS6_bb, .Lfunc_end60-_ZN9rocsolver6v33100L18getri_kernel_smallILi61E19rocblas_complex_numIdEPS3_EEvT1_iilPiilS6_bb
                                        ; -- End function
	.section	.AMDGPU.csdata,"",@progbits
; Kernel info:
; codeLenInByte = 163544
; NumSgprs: 69
; NumVgprs: 256
; ScratchSize: 1120
; MemoryBound: 0
; FloatMode: 240
; IeeeMode: 1
; LDSByteSize: 2984 bytes/workgroup (compile time only)
; SGPRBlocks: 8
; VGPRBlocks: 31
; NumSGPRsForWavesPerEU: 69
; NumVGPRsForWavesPerEU: 256
; Occupancy: 5
; WaveLimiterHint : 1
; COMPUTE_PGM_RSRC2:SCRATCH_EN: 1
; COMPUTE_PGM_RSRC2:USER_SGPR: 15
; COMPUTE_PGM_RSRC2:TRAP_HANDLER: 0
; COMPUTE_PGM_RSRC2:TGID_X_EN: 1
; COMPUTE_PGM_RSRC2:TGID_Y_EN: 0
; COMPUTE_PGM_RSRC2:TGID_Z_EN: 0
; COMPUTE_PGM_RSRC2:TIDIG_COMP_CNT: 2
	.section	.text._ZN9rocsolver6v33100L18getri_kernel_smallILi62E19rocblas_complex_numIdEPS3_EEvT1_iilPiilS6_bb,"axG",@progbits,_ZN9rocsolver6v33100L18getri_kernel_smallILi62E19rocblas_complex_numIdEPS3_EEvT1_iilPiilS6_bb,comdat
	.globl	_ZN9rocsolver6v33100L18getri_kernel_smallILi62E19rocblas_complex_numIdEPS3_EEvT1_iilPiilS6_bb ; -- Begin function _ZN9rocsolver6v33100L18getri_kernel_smallILi62E19rocblas_complex_numIdEPS3_EEvT1_iilPiilS6_bb
	.p2align	8
	.type	_ZN9rocsolver6v33100L18getri_kernel_smallILi62E19rocblas_complex_numIdEPS3_EEvT1_iilPiilS6_bb,@function
_ZN9rocsolver6v33100L18getri_kernel_smallILi62E19rocblas_complex_numIdEPS3_EEvT1_iilPiilS6_bb: ; @_ZN9rocsolver6v33100L18getri_kernel_smallILi62E19rocblas_complex_numIdEPS3_EEvT1_iilPiilS6_bb
; %bb.0:
	v_and_b32_e32 v174, 0x3ff, v0
	s_mov_b32 s4, exec_lo
	s_delay_alu instid0(VALU_DEP_1)
	v_cmpx_gt_u32_e32 62, v174
	s_cbranch_execz .LBB61_274
; %bb.1:
	s_mov_b32 s18, s15
	s_clause 0x2
	s_load_b32 s21, s[2:3], 0x38
	s_load_b128 s[12:15], s[2:3], 0x10
	s_load_b128 s[4:7], s[2:3], 0x28
                                        ; implicit-def: $sgpr16_sgpr17
	s_waitcnt lgkmcnt(0)
	s_bitcmp1_b32 s21, 8
	s_cselect_b32 s20, -1, 0
	s_bfe_u32 s8, s21, 0x10008
	s_ashr_i32 s19, s18, 31
	s_cmp_eq_u32 s8, 0
	s_cbranch_scc1 .LBB61_3
; %bb.2:
	s_load_b32 s8, s[2:3], 0x20
	s_mul_i32 s5, s18, s5
	s_mul_hi_u32 s9, s18, s4
	s_mul_i32 s10, s19, s4
	s_add_i32 s5, s9, s5
	s_mul_i32 s4, s18, s4
	s_add_i32 s5, s5, s10
	s_delay_alu instid0(SALU_CYCLE_1)
	s_lshl_b64 s[4:5], s[4:5], 2
	s_waitcnt lgkmcnt(0)
	s_ashr_i32 s9, s8, 31
	s_add_u32 s10, s14, s4
	s_addc_u32 s11, s15, s5
	s_lshl_b64 s[4:5], s[8:9], 2
	s_delay_alu instid0(SALU_CYCLE_1)
	s_add_u32 s16, s10, s4
	s_addc_u32 s17, s11, s5
.LBB61_3:
	s_load_b128 s[8:11], s[2:3], 0x0
	s_mul_i32 s4, s18, s13
	s_mul_hi_u32 s5, s18, s12
	s_mul_i32 s3, s19, s12
	s_add_i32 s4, s5, s4
	s_mul_i32 s2, s18, s12
	s_add_i32 s3, s4, s3
	v_lshlrev_b32_e32 v13, 4, v174
	s_lshl_b64 s[2:3], s[2:3], 4
	s_movk_i32 s12, 0xd0
	s_movk_i32 s13, 0xe0
	;; [unrolled: 1-line block ×11, first 2 shown]
	s_waitcnt lgkmcnt(0)
	v_add3_u32 v2, s11, s11, v174
	s_ashr_i32 s5, s10, 31
	s_mov_b32 s4, s10
	s_add_u32 s8, s8, s2
	s_addc_u32 s9, s9, s3
	v_add_nc_u32_e32 v1, s11, v2
	s_lshl_b64 s[2:3], s[4:5], 4
	v_ashrrev_i32_e32 v3, 31, v2
	s_add_u32 s2, s8, s2
	s_addc_u32 s3, s9, s3
	v_add_nc_u32_e32 v5, s11, v1
	global_load_b128 v[7:10], v13, s[2:3]
	v_add_co_u32 v50, s8, s2, v13
	v_lshlrev_b64 v[14:15], 4, v[2:3]
	v_add_nc_u32_e32 v4, s11, v5
	v_ashrrev_i32_e32 v2, 31, v1
	s_mov_b32 s4, s11
	s_ashr_i32 s5, s11, 31
	v_ashrrev_i32_e32 v6, 31, v5
	v_add_nc_u32_e32 v11, s11, v4
	v_add_co_ci_u32_e64 v51, null, s3, 0, s8
	s_lshl_b64 s[4:5], s[4:5], 4
	v_lshlrev_b64 v[1:2], 4, v[1:2]
	s_delay_alu instid0(VALU_DEP_3) | instskip(SKIP_3) | instid1(VALU_DEP_4)
	v_add_nc_u32_e32 v26, s11, v11
	v_add_co_u32 v16, vcc_lo, v50, s4
	v_lshlrev_b64 v[22:23], 4, v[5:6]
	v_ashrrev_i32_e32 v5, 31, v4
	v_add_nc_u32_e32 v28, s11, v26
	v_add_co_ci_u32_e32 v17, vcc_lo, s5, v51, vcc_lo
	v_add_co_u32 v18, vcc_lo, s2, v14
	s_delay_alu instid0(VALU_DEP_3)
	v_add_nc_u32_e32 v34, s11, v28
	v_add_co_ci_u32_e32 v19, vcc_lo, s3, v15, vcc_lo
	v_add_co_u32 v1, vcc_lo, s2, v1
	v_lshlrev_b64 v[5:6], 4, v[4:5]
	v_ashrrev_i32_e32 v12, 31, v11
	v_add_co_ci_u32_e32 v2, vcc_lo, s3, v2, vcc_lo
	v_add_nc_u32_e32 v36, s11, v34
	v_add_co_u32 v22, vcc_lo, s2, v22
	v_ashrrev_i32_e32 v27, 31, v26
	v_add_co_ci_u32_e32 v23, vcc_lo, s3, v23, vcc_lo
	v_lshlrev_b64 v[11:12], 4, v[11:12]
	s_clause 0x3
	scratch_store_b64 off, v[16:17], off offset:1204
	scratch_store_b64 off, v[18:19], off offset:1212
	;; [unrolled: 1-line block ×4, first 2 shown]
	global_load_b128 v[14:17], v[16:17], off
	v_add_co_u32 v30, vcc_lo, s2, v5
	s_clause 0x1
	global_load_b128 v[18:21], v[18:19], off
	global_load_b128 v[22:25], v[22:23], off
	v_add_nc_u32_e32 v42, s11, v36
	v_add_co_ci_u32_e32 v31, vcc_lo, s3, v6, vcc_lo
	v_lshlrev_b64 v[5:6], 4, v[26:27]
	v_ashrrev_i32_e32 v29, 31, v28
	v_add_co_u32 v32, vcc_lo, s2, v11
	v_ashrrev_i32_e32 v35, 31, v34
	v_add_nc_u32_e32 v44, s11, v42
	v_add_co_ci_u32_e32 v33, vcc_lo, s3, v12, vcc_lo
	v_lshlrev_b64 v[38:39], 4, v[28:29]
	v_add_co_u32 v40, vcc_lo, s2, v5
	v_add_co_ci_u32_e32 v41, vcc_lo, s3, v6, vcc_lo
	v_lshlrev_b64 v[5:6], 4, v[34:35]
	v_ashrrev_i32_e32 v37, 31, v36
	v_add_nc_u32_e32 v52, s11, v44
	v_add_co_u32 v38, vcc_lo, s2, v38
	v_ashrrev_i32_e32 v43, 31, v42
	v_add_co_ci_u32_e32 v39, vcc_lo, s3, v39, vcc_lo
	v_lshlrev_b64 v[46:47], 4, v[36:37]
	v_add_co_u32 v48, vcc_lo, s2, v5
	v_ashrrev_i32_e32 v45, 31, v44
	v_add_nc_u32_e32 v54, s11, v52
	v_add_co_ci_u32_e32 v49, vcc_lo, s3, v6, vcc_lo
	v_lshlrev_b64 v[5:6], 4, v[42:43]
	v_add_co_u32 v46, vcc_lo, s2, v46
	v_lshlrev_b64 v[74:75], 4, v[44:45]
	v_ashrrev_i32_e32 v53, 31, v52
	v_add_nc_u32_e32 v78, s11, v54
	v_add_co_ci_u32_e32 v47, vcc_lo, s3, v47, vcc_lo
	v_add_co_u32 v56, vcc_lo, s2, v5
	v_ashrrev_i32_e32 v55, 31, v54
	v_add_co_ci_u32_e32 v57, vcc_lo, s3, v6, vcc_lo
	v_lshlrev_b64 v[5:6], 4, v[52:53]
	v_add_nc_u32_e32 v80, s11, v78
	v_add_co_u32 v58, vcc_lo, s2, v74
	v_add_co_ci_u32_e32 v59, vcc_lo, s3, v75, vcc_lo
	v_lshlrev_b64 v[53:54], 4, v[54:55]
	v_ashrrev_i32_e32 v79, 31, v78
	v_add_nc_u32_e32 v82, s11, v80
	v_add_co_u32 v55, vcc_lo, s2, v5
	s_clause 0x3
	scratch_store_b64 off, v[48:49], off offset:1268
	scratch_store_b64 off, v[46:47], off offset:1276
	;; [unrolled: 1-line block ×4, first 2 shown]
	s_clause 0x1
	global_load_b128 v[138:141], v[56:57], off
	global_load_b128 v[142:145], v[58:59], off
	v_add_co_ci_u32_e32 v56, vcc_lo, s3, v6, vcc_lo
	v_ashrrev_i32_e32 v81, 31, v80
	v_add_co_u32 v57, vcc_lo, s2, v53
	global_load_b128 v[1:4], v[1:2], off
	v_lshlrev_b64 v[5:6], 4, v[78:79]
	v_add_nc_u32_e32 v84, s11, v82
	global_load_b128 v[26:29], v[30:31], off
	v_add_co_ci_u32_e32 v58, vcc_lo, s3, v54, vcc_lo
	s_clause 0x3
	scratch_store_b64 off, v[30:31], off offset:1236
	scratch_store_b64 off, v[32:33], off offset:1244
	;; [unrolled: 1-line block ×4, first 2 shown]
	s_clause 0x4
	global_load_b128 v[34:37], v[40:41], off
	global_load_b128 v[42:45], v[48:49], off
	;; [unrolled: 1-line block ×5, first 2 shown]
	v_lshlrev_b64 v[86:87], 4, v[80:81]
	v_ashrrev_i32_e32 v83, 31, v82
	v_add_nc_u32_e32 v11, s11, v84
	scratch_store_b64 off, v[55:56], off offset:1300 ; 8-byte Folded Spill
	s_clause 0x1
	global_load_b128 v[146:149], v[55:56], off
	global_load_b128 v[150:153], v[57:58], off
	v_add_co_u32 v55, vcc_lo, s2, v5
	v_add_co_ci_u32_e32 v56, vcc_lo, s3, v6, vcc_lo
	v_ashrrev_i32_e32 v85, 31, v84
	scratch_store_b64 off, v[57:58], off offset:1308 ; 8-byte Folded Spill
	v_add_co_u32 v57, vcc_lo, s2, v86
	v_lshlrev_b64 v[5:6], 4, v[82:83]
	v_add_nc_u32_e32 v88, s11, v11
	v_add_co_ci_u32_e32 v58, vcc_lo, s3, v87, vcc_lo
	scratch_store_b64 off, v[55:56], off offset:1316 ; 8-byte Folded Spill
	v_lshlrev_b64 v[86:87], 4, v[84:85]
	v_ashrrev_i32_e32 v12, 31, v11
	scratch_store_b64 off, v[57:58], off offset:1324 ; 8-byte Folded Spill
	v_add_nc_u32_e32 v90, s11, v88
	s_clause 0x1
	global_load_b128 v[154:157], v[55:56], off
	global_load_b128 v[158:161], v[57:58], off
	v_add_co_u32 v55, vcc_lo, s2, v5
	v_add_co_ci_u32_e32 v56, vcc_lo, s3, v6, vcc_lo
	v_ashrrev_i32_e32 v89, 31, v88
	v_add_co_u32 v57, vcc_lo, s2, v86
	v_lshlrev_b64 v[5:6], 4, v[11:12]
	v_add_nc_u32_e32 v92, s11, v90
	v_add_co_ci_u32_e32 v58, vcc_lo, s3, v87, vcc_lo
	v_lshlrev_b64 v[11:12], 4, v[88:89]
	v_ashrrev_i32_e32 v91, 31, v90
	s_delay_alu instid0(VALU_DEP_4)
	v_add_nc_u32_e32 v94, s11, v92
	scratch_store_b64 off, v[55:56], off offset:1332 ; 8-byte Folded Spill
	s_clause 0x1
	global_load_b128 v[162:165], v[55:56], off
	global_load_b128 v[166:169], v[57:58], off
	v_add_co_u32 v55, vcc_lo, s2, v5
	v_add_co_ci_u32_e32 v56, vcc_lo, s3, v6, vcc_lo
	v_ashrrev_i32_e32 v93, 31, v92
	scratch_store_b64 off, v[57:58], off offset:1340 ; 8-byte Folded Spill
	v_add_co_u32 v57, vcc_lo, s2, v11
	v_lshlrev_b64 v[5:6], 4, v[90:91]
	v_add_nc_u32_e32 v96, s11, v94
	v_add_co_ci_u32_e32 v58, vcc_lo, s3, v12, vcc_lo
	scratch_store_b64 off, v[55:56], off offset:1348 ; 8-byte Folded Spill
	v_lshlrev_b64 v[11:12], 4, v[92:93]
	v_ashrrev_i32_e32 v95, 31, v94
	scratch_store_b64 off, v[57:58], off offset:1356 ; 8-byte Folded Spill
	v_add_nc_u32_e32 v98, s11, v96
	s_clause 0x1
	global_load_b128 v[170:173], v[55:56], off
	global_load_b128 v[175:178], v[57:58], off
	v_add_co_u32 v55, vcc_lo, s2, v5
	v_add_co_ci_u32_e32 v56, vcc_lo, s3, v6, vcc_lo
	v_ashrrev_i32_e32 v97, 31, v96
	v_add_co_u32 v57, vcc_lo, s2, v11
	v_lshlrev_b64 v[5:6], 4, v[94:95]
	v_add_nc_u32_e32 v100, s11, v98
	v_add_co_ci_u32_e32 v58, vcc_lo, s3, v12, vcc_lo
	v_lshlrev_b64 v[11:12], 4, v[96:97]
	v_ashrrev_i32_e32 v99, 31, v98
	s_delay_alu instid0(VALU_DEP_4)
	v_add_nc_u32_e32 v52, s11, v100
	scratch_store_b64 off, v[55:56], off offset:1364 ; 8-byte Folded Spill
	s_clause 0x1
	global_load_b128 v[179:182], v[55:56], off
	global_load_b128 v[183:186], v[57:58], off
	v_add_co_u32 v55, vcc_lo, s2, v5
	v_add_co_ci_u32_e32 v56, vcc_lo, s3, v6, vcc_lo
	scratch_store_b64 off, v[57:58], off offset:1372 ; 8-byte Folded Spill
	v_add_co_u32 v57, vcc_lo, s2, v11
	v_lshlrev_b64 v[5:6], 4, v[98:99]
	v_ashrrev_i32_e32 v101, 31, v100
	v_add_nc_u32_e32 v104, s11, v52
	v_add_co_ci_u32_e32 v58, vcc_lo, s3, v12, vcc_lo
	scratch_store_b64 off, v[55:56], off offset:1380 ; 8-byte Folded Spill
	v_ashrrev_i32_e32 v53, 31, v52
	v_lshlrev_b64 v[11:12], 4, v[100:101]
	scratch_store_b64 off, v[57:58], off offset:1388 ; 8-byte Folded Spill
	v_add_nc_u32_e32 v108, s11, v104
	s_clause 0x1
	global_load_b128 v[187:190], v[55:56], off
	global_load_b128 v[191:194], v[57:58], off
	v_add_co_u32 v55, vcc_lo, s2, v5
	v_add_co_ci_u32_e32 v56, vcc_lo, s3, v6, vcc_lo
	v_lshlrev_b64 v[5:6], 4, v[52:53]
	v_ashrrev_i32_e32 v105, 31, v104
	v_add_co_u32 v57, vcc_lo, s2, v11
	v_ashrrev_i32_e32 v109, 31, v108
	v_add_co_ci_u32_e32 v58, vcc_lo, s3, v12, vcc_lo
	s_delay_alu instid0(VALU_DEP_4)
	v_lshlrev_b64 v[11:12], 4, v[104:105]
	v_add_co_u32 v59, vcc_lo, s2, v5
	v_add_co_ci_u32_e32 v60, vcc_lo, s3, v6, vcc_lo
	v_lshlrev_b64 v[5:6], 4, v[108:109]
	v_add_nc_u32_e32 v112, s11, v108
	v_add_co_u32 v11, vcc_lo, s2, v11
	v_add_co_ci_u32_e32 v12, vcc_lo, s3, v12, vcc_lo
	s_delay_alu instid0(VALU_DEP_4) | instskip(NEXT) | instid1(VALU_DEP_4)
	v_add_co_u32 v5, vcc_lo, s2, v5
	v_add_nc_u32_e32 v54, s11, v112
	v_add_co_ci_u32_e32 v6, vcc_lo, s3, v6, vcc_lo
	s_clause 0x2
	global_load_b128 v[195:198], v[55:56], off
	global_load_b128 v[199:202], v[57:58], off
	;; [unrolled: 1-line block ×3, first 2 shown]
	v_add_nc_u32_e32 v114, s11, v54
	s_clause 0x1
	global_load_b128 v[207:210], v[11:12], off
	global_load_b128 v[211:214], v[5:6], off
	s_clause 0x3
	scratch_store_b64 off, v[55:56], off offset:1396
	scratch_store_b64 off, v[57:58], off offset:1404
	;; [unrolled: 1-line block ×4, first 2 shown]
	v_add_nc_u32_e32 v116, s11, v114
	v_ashrrev_i32_e32 v113, 31, v112
	v_ashrrev_i32_e32 v55, 31, v54
	;; [unrolled: 1-line block ×3, first 2 shown]
	s_movk_i32 s4, 0x70
	v_add_nc_u32_e32 v118, s11, v116
	v_ashrrev_i32_e32 v117, 31, v116
	s_movk_i32 s5, 0x80
	s_movk_i32 s8, 0x90
	;; [unrolled: 1-line block ×3, first 2 shown]
	v_add_nc_u32_e32 v120, s11, v118
	v_ashrrev_i32_e32 v119, 31, v118
	s_movk_i32 s10, 0xb0
	s_movk_i32 s33, 0x1b0
	;; [unrolled: 1-line block ×3, first 2 shown]
	v_add_nc_u32_e32 v122, s11, v120
	v_ashrrev_i32_e32 v121, 31, v120
	v_lshlrev_b64 v[127:128], 4, v[118:119]
	s_movk_i32 s35, 0x1d0
	s_movk_i32 s36, 0x1e0
	v_add_nc_u32_e32 v124, s11, v122
	v_ashrrev_i32_e32 v123, 31, v122
	s_movk_i32 s37, 0x1f0
	s_movk_i32 s38, 0x200
	;; [unrolled: 1-line block ×3, first 2 shown]
	v_add_nc_u32_e32 v126, s11, v124
	v_ashrrev_i32_e32 v125, 31, v124
	s_movk_i32 s40, 0x220
	s_movk_i32 s41, 0x230
	;; [unrolled: 1-line block ×3, first 2 shown]
	v_add_nc_u32_e32 v90, s11, v126
	s_movk_i32 s43, 0x250
	s_movk_i32 s44, 0x260
	;; [unrolled: 1-line block ×4, first 2 shown]
	v_add_nc_u32_e32 v130, s11, v90
	v_ashrrev_i32_e32 v91, 31, v90
	s_movk_i32 s47, 0x290
	s_movk_i32 s48, 0x2a0
	s_movk_i32 s49, 0x2b0
	v_add_nc_u32_e32 v132, s11, v130
	v_ashrrev_i32_e32 v131, 31, v130
	s_movk_i32 s50, 0x2c0
	s_movk_i32 s51, 0x2d0
	s_movk_i32 s52, 0x2e0
	v_add_nc_u32_e32 v134, s11, v132
	v_ashrrev_i32_e32 v133, 31, v132
	s_movk_i32 s53, 0x2f0
	s_movk_i32 s54, 0x300
	s_movk_i32 s55, 0x310
	v_add_nc_u32_e32 v136, s11, v134
	v_ashrrev_i32_e32 v135, 31, v134
	s_movk_i32 s56, 0x320
	s_movk_i32 s57, 0x330
	s_movk_i32 s58, 0x340
	v_add_nc_u32_e32 v215, s11, v136
	v_ashrrev_i32_e32 v137, 31, v136
	s_movk_i32 s59, 0x350
	s_movk_i32 s60, 0x360
	s_movk_i32 s61, 0x370
	v_add_nc_u32_e32 v217, s11, v215
	v_ashrrev_i32_e32 v216, 31, v215
	s_movk_i32 s62, 0x380
	s_movk_i32 s63, 0x390
	s_movk_i32 s64, 0x3a0
	v_add_nc_u32_e32 v219, s11, v217
	v_ashrrev_i32_e32 v218, 31, v217
	s_movk_i32 s65, 0x3b0
	s_movk_i32 s27, 0x160
	s_movk_i32 s28, 0x170
	v_add_nc_u32_e32 v221, s11, v219
	v_ashrrev_i32_e32 v220, 31, v219
	s_movk_i32 s29, 0x180
	s_movk_i32 s66, 0x3c0
	s_movk_i32 s67, 0x3d0
	v_add_nc_u32_e32 v52, s11, v221
	v_ashrrev_i32_e32 v222, 31, v221
	s_bitcmp0_b32 s21, 0
	s_delay_alu instid0(VALU_DEP_2) | instskip(NEXT) | instid1(VALU_DEP_1)
	v_add_nc_u32_e32 v223, s11, v52
	v_add_nc_u32_e32 v225, s11, v223
	v_ashrrev_i32_e32 v224, 31, v223
	s_delay_alu instid0(VALU_DEP_2) | instskip(SKIP_1) | instid1(VALU_DEP_2)
	v_add_nc_u32_e32 v227, s11, v225
	v_ashrrev_i32_e32 v226, 31, v225
	v_add_nc_u32_e32 v229, s11, v227
	v_ashrrev_i32_e32 v228, 31, v227
	s_delay_alu instid0(VALU_DEP_2) | instskip(SKIP_1) | instid1(VALU_DEP_2)
	v_add_nc_u32_e32 v56, s11, v229
	v_ashrrev_i32_e32 v230, 31, v229
	;; [unrolled: 5-line block ×5, first 2 shown]
	v_add_nc_u32_e32 v70, s11, v68
	v_ashrrev_i32_e32 v69, 31, v68
	s_delay_alu instid0(VALU_DEP_2) | instskip(SKIP_1) | instid1(VALU_DEP_1)
	v_add_nc_u32_e32 v5, s11, v70
	s_movk_i32 s11, 0xc0
	v_ashrrev_i32_e32 v6, 31, v5
	s_delay_alu instid0(VALU_DEP_1) | instskip(NEXT) | instid1(VALU_DEP_1)
	v_lshlrev_b64 v[5:6], 4, v[5:6]
	v_add_co_u32 v5, vcc_lo, s2, v5
	s_delay_alu instid0(VALU_DEP_2)
	v_add_co_ci_u32_e32 v6, vcc_lo, s3, v6, vcc_lo
	scratch_store_b64 off, v[11:12], off offset:1428 ; 8-byte Folded Spill
	v_lshlrev_b64 v[11:12], 4, v[112:113]
	scratch_store_b64 off, v[5:6], off offset:1412 ; 8-byte Folded Spill
	global_load_b128 v[236:239], v[5:6], off
	v_add_co_u32 v11, vcc_lo, s2, v11
	v_add_co_ci_u32_e32 v12, vcc_lo, s3, v12, vcc_lo
	s_waitcnt vmcnt(30)
	s_clause 0x1
	scratch_store_b128 off, v[7:10], off
	scratch_store_b64 off, v[11:12], off offset:1444
	global_load_b128 v[5:8], v[11:12], off
	v_lshlrev_b64 v[9:10], 4, v[54:55]
	v_lshlrev_b64 v[11:12], 4, v[114:115]
	;; [unrolled: 1-line block ×3, first 2 shown]
	s_delay_alu instid0(VALU_DEP_3) | instskip(NEXT) | instid1(VALU_DEP_4)
	v_add_co_u32 v9, vcc_lo, s2, v9
	v_add_co_ci_u32_e32 v10, vcc_lo, s3, v10, vcc_lo
	s_delay_alu instid0(VALU_DEP_4)
	v_add_co_u32 v71, vcc_lo, s2, v11
	v_add_co_ci_u32_e32 v72, vcc_lo, s3, v12, vcc_lo
	s_waitcnt vmcnt(30)
	scratch_store_b128 off, v[14:17], off offset:16
	s_waitcnt vmcnt(29)
	s_clause 0x1
	scratch_store_b128 off, v[18:21], off offset:32
	scratch_store_b64 off, v[9:10], off offset:1452
	v_add_co_u32 v18, vcc_lo, s2, v53
	v_add_co_ci_u32_e32 v19, vcc_lo, s3, v54, vcc_lo
	v_lshlrev_b64 v[53:54], 4, v[120:121]
	v_add_co_u32 v120, vcc_lo, s2, v127
	v_add_co_ci_u32_e32 v121, vcc_lo, s3, v128, vcc_lo
	v_lshlrev_b64 v[128:129], 4, v[122:123]
	s_delay_alu instid0(VALU_DEP_4)
	v_add_co_u32 v122, vcc_lo, s2, v53
	v_add_co_ci_u32_e32 v123, vcc_lo, s3, v54, vcc_lo
	v_lshlrev_b64 v[53:54], 4, v[124:125]
	v_ashrrev_i32_e32 v127, 31, v126
	v_add_co_u32 v124, vcc_lo, s2, v128
	v_add_co_ci_u32_e32 v125, vcc_lo, s3, v129, vcc_lo
	s_delay_alu instid0(VALU_DEP_3) | instskip(SKIP_3) | instid1(VALU_DEP_4)
	v_lshlrev_b64 v[128:129], 4, v[126:127]
	v_add_co_u32 v126, vcc_lo, s2, v53
	v_add_co_ci_u32_e32 v127, vcc_lo, s3, v54, vcc_lo
	v_lshlrev_b64 v[53:54], 4, v[90:91]
	v_add_co_u32 v128, vcc_lo, s2, v128
	v_add_co_ci_u32_e32 v129, vcc_lo, s3, v129, vcc_lo
	v_lshlrev_b64 v[90:91], 4, v[130:131]
	s_delay_alu instid0(VALU_DEP_4)
	v_add_co_u32 v130, vcc_lo, s2, v53
	s_clause 0x1
	global_load_b128 v[9:12], v[9:10], off
	global_load_b128 v[14:17], v[71:72], off
	v_add_co_ci_u32_e32 v131, vcc_lo, s3, v54, vcc_lo
	v_lshlrev_b64 v[53:54], 4, v[132:133]
	v_add_co_u32 v132, vcc_lo, s2, v90
	v_add_co_ci_u32_e32 v133, vcc_lo, s3, v91, vcc_lo
	v_lshlrev_b64 v[90:91], 4, v[134:135]
	s_delay_alu instid0(VALU_DEP_4)
	v_add_co_u32 v134, vcc_lo, s2, v53
	v_add_co_ci_u32_e32 v135, vcc_lo, s3, v54, vcc_lo
	v_lshlrev_b64 v[53:54], 4, v[136:137]
	scratch_store_b64 off, v[71:72], off offset:1460 ; 8-byte Folded Spill
	s_waitcnt vmcnt(27)
	s_clause 0x2
	scratch_store_b128 off, v[1:4], off offset:48
	scratch_store_b128 off, v[22:25], off offset:64
	scratch_store_b64 off, v[18:19], off offset:1468
	s_clause 0x1
	global_load_b128 v[1:4], v[18:19], off
	global_load_b128 v[18:21], v[120:121], off
	s_waitcnt vmcnt(28)
	scratch_store_b128 off, v[26:29], off offset:80
	s_waitcnt vmcnt(24)
	scratch_store_b128 off, v[30:33], off offset:96
	v_add_co_u32 v136, vcc_lo, s2, v90
	s_clause 0x1
	global_load_b128 v[22:25], v[122:123], off
	global_load_b128 v[26:29], v[124:125], off
	s_clause 0x1
	scratch_store_b128 off, v[34:37], off offset:112
	scratch_store_b128 off, v[38:41], off offset:128
	s_clause 0x1
	global_load_b128 v[30:33], v[126:127], off
	global_load_b128 v[34:37], v[128:129], off
	scratch_store_b128 off, v[42:45], off offset:144
	s_waitcnt vmcnt(27)
	scratch_store_b128 off, v[46:49], off offset:160
	v_add_co_ci_u32_e32 v137, vcc_lo, s3, v91, vcc_lo
	v_lshlrev_b64 v[90:91], 4, v[215:216]
	s_clause 0x1
	global_load_b128 v[38:41], v[130:131], off
	global_load_b128 v[42:45], v[132:133], off
	s_clause 0x1
	scratch_store_b128 off, v[138:141], off offset:176
	scratch_store_b128 off, v[142:145], off offset:192
	v_add_co_u32 v138, vcc_lo, s2, v53
	v_add_co_ci_u32_e32 v139, vcc_lo, s3, v54, vcc_lo
	v_lshlrev_b64 v[53:54], 4, v[217:218]
	v_add_co_u32 v140, vcc_lo, s2, v90
	v_add_co_ci_u32_e32 v141, vcc_lo, s3, v91, vcc_lo
	v_lshlrev_b64 v[90:91], 4, v[219:220]
	s_delay_alu instid0(VALU_DEP_4) | instskip(SKIP_4) | instid1(VALU_DEP_4)
	v_add_co_u32 v142, vcc_lo, s2, v53
	v_ashrrev_i32_e32 v53, 31, v52
	v_add_co_ci_u32_e32 v143, vcc_lo, s3, v54, vcc_lo
	v_lshlrev_b64 v[54:55], 4, v[221:222]
	v_add_co_u32 v144, vcc_lo, s2, v90
	v_lshlrev_b64 v[52:53], 4, v[52:53]
	v_add_co_ci_u32_e32 v145, vcc_lo, s3, v91, vcc_lo
	s_clause 0x1
	global_load_b128 v[46:49], v[134:135], off
	global_load_b128 v[231:234], v[136:137], off
	s_waitcnt vmcnt(30)
	scratch_store_b128 off, v[146:149], off offset:208
	s_waitcnt vmcnt(29)
	scratch_store_b128 off, v[150:153], off offset:224
	v_add_co_u32 v146, vcc_lo, s2, v54
	v_add_co_ci_u32_e32 v147, vcc_lo, s3, v55, vcc_lo
	v_lshlrev_b64 v[54:55], 4, v[223:224]
	v_add_co_u32 v148, vcc_lo, s2, v52
	v_add_co_ci_u32_e32 v149, vcc_lo, s3, v53, vcc_lo
	v_lshlrev_b64 v[52:53], 4, v[225:226]
	s_delay_alu instid0(VALU_DEP_4) | instskip(SKIP_2) | instid1(VALU_DEP_4)
	v_add_co_u32 v150, vcc_lo, s2, v54
	v_add_co_ci_u32_e32 v151, vcc_lo, s3, v55, vcc_lo
	v_lshlrev_b64 v[54:55], 4, v[227:228]
	v_add_co_u32 v152, vcc_lo, s2, v52
	v_add_co_ci_u32_e32 v153, vcc_lo, s3, v53, vcc_lo
	v_lshlrev_b64 v[52:53], 4, v[229:230]
	s_clause 0x1
	global_load_b128 v[240:243], v[138:139], off
	global_load_b128 v[244:247], v[140:141], off
	s_waitcnt vmcnt(30)
	scratch_store_b128 off, v[154:157], off offset:240
	s_waitcnt vmcnt(29)
	scratch_store_b128 off, v[158:161], off offset:256
	v_add_co_u32 v154, vcc_lo, s2, v54
	v_add_co_ci_u32_e32 v155, vcc_lo, s3, v55, vcc_lo
	v_lshlrev_b64 v[54:55], 4, v[56:57]
	v_add_co_u32 v156, vcc_lo, s2, v52
	v_add_co_ci_u32_e32 v157, vcc_lo, s3, v53, vcc_lo
	v_lshlrev_b64 v[52:53], 4, v[58:59]
	s_delay_alu instid0(VALU_DEP_4) | instskip(SKIP_2) | instid1(VALU_DEP_4)
	v_add_co_u32 v158, vcc_lo, s2, v54
	v_add_co_ci_u32_e32 v159, vcc_lo, s3, v55, vcc_lo
	v_lshlrev_b64 v[54:55], 4, v[62:63]
	v_add_co_u32 v160, vcc_lo, s2, v52
	v_add_co_ci_u32_e32 v161, vcc_lo, s3, v53, vcc_lo
	v_lshlrev_b64 v[52:53], 4, v[60:61]
	s_clause 0x1
	global_load_b128 v[248:251], v[142:143], off
	global_load_b128 v[252:255], v[144:145], off
	s_waitcnt vmcnt(30)
	scratch_store_b128 off, v[162:165], off offset:272
	s_waitcnt vmcnt(29)
	scratch_store_b128 off, v[166:169], off offset:288
	s_clause 0x1
	global_load_b128 v[215:218], v[146:147], off
	global_load_b128 v[219:222], v[148:149], off
	s_waitcnt vmcnt(30)
	scratch_store_b128 off, v[170:173], off offset:304
	s_waitcnt vmcnt(29)
	scratch_store_b128 off, v[175:178], off offset:320
	s_clause 0x1
	global_load_b128 v[175:178], v[150:151], off
	global_load_b128 v[223:226], v[152:153], off
	v_add_co_u32 v162, vcc_lo, s2, v52
	v_add_co_ci_u32_e32 v163, vcc_lo, s3, v53, vcc_lo
	v_lshlrev_b64 v[52:53], 4, v[64:65]
	v_add_co_u32 v164, vcc_lo, s2, v54
	v_add_co_ci_u32_e32 v165, vcc_lo, s3, v55, vcc_lo
	v_lshlrev_b64 v[54:55], 4, v[66:67]
	s_delay_alu instid0(VALU_DEP_4) | instskip(SKIP_2) | instid1(VALU_DEP_4)
	v_add_co_u32 v166, vcc_lo, s2, v52
	v_add_co_ci_u32_e32 v167, vcc_lo, s3, v53, vcc_lo
	v_lshlrev_b64 v[52:53], 4, v[68:69]
	v_add_co_u32 v168, vcc_lo, s2, v54
	v_add_co_ci_u32_e32 v169, vcc_lo, s3, v55, vcc_lo
	s_waitcnt vmcnt(30)
	scratch_store_b128 off, v[179:182], off offset:336
	s_waitcnt vmcnt(29)
	scratch_store_b128 off, v[183:186], off offset:352
	v_add_co_u32 v170, vcc_lo, s2, v52
	s_clause 0x1
	global_load_b128 v[181:184], v[154:155], off
	global_load_b128 v[227:230], v[156:157], off
	s_waitcnt vmcnt(30)
	scratch_store_b128 off, v[187:190], off offset:368
	s_waitcnt vmcnt(29)
	scratch_store_b128 off, v[191:194], off offset:384
	s_waitcnt vmcnt(28)
	scratch_store_b128 off, v[195:198], off offset:400
	s_waitcnt vmcnt(27)
	scratch_store_b128 off, v[199:202], off offset:416
	s_waitcnt vmcnt(26)
	scratch_store_b128 off, v[203:206], off offset:432
	s_waitcnt vmcnt(25)
	scratch_store_b128 off, v[207:210], off offset:448
	s_waitcnt vmcnt(24)
	scratch_store_b128 off, v[211:214], off offset:464
	v_add_co_ci_u32_e32 v171, vcc_lo, s3, v53, vcc_lo
	s_clause 0x6
	global_load_b128 v[194:197], v[158:159], off
	global_load_b128 v[198:201], v[160:161], off
	;; [unrolled: 1-line block ×7, first 2 shown]
	v_ashrrev_i32_e32 v71, 31, v70
	v_add_nc_u32_e64 v193, s27, 0
	v_add_nc_u32_e64 v214, s28, 0
	s_delay_alu instid0(VALU_DEP_3) | instskip(NEXT) | instid1(VALU_DEP_1)
	v_lshlrev_b64 v[56:57], 4, v[70:71]
	v_add_co_u32 v172, vcc_lo, s2, v56
	s_delay_alu instid0(VALU_DEP_2)
	v_add_co_ci_u32_e32 v173, vcc_lo, s3, v57, vcc_lo
	s_movk_i32 s2, 0x50
	s_movk_i32 s3, 0x60
	s_waitcnt vmcnt(29)
	scratch_store_b128 off, v[5:8], off offset:480
	global_load_b128 v[5:8], v[172:173], off
	s_waitcnt vmcnt(29)
	scratch_store_b128 off, v[9:12], off offset:496
	v_add_nc_u32_e64 v9, s2, 0
	scratch_store_b32 off, v9, off offset:1184 ; 4-byte Folded Spill
	v_add_nc_u32_e64 v9, s3, 0
	scratch_store_b32 off, v9, off offset:1176 ; 4-byte Folded Spill
	s_waitcnt vmcnt(28)
	scratch_store_b128 off, v[14:17], off offset:512
	v_add_nc_u32_e64 v9, s4, 0
	s_mov_b32 s3, -1
	scratch_store_b32 off, v9, off offset:1172 ; 4-byte Folded Spill
	v_add_nc_u32_e64 v9, s5, 0
	scratch_store_b32 off, v9, off offset:1168 ; 4-byte Folded Spill
	v_add_nc_u32_e64 v9, s8, 0
	scratch_store_b32 off, v9, off offset:1160 ; 4-byte Folded Spill
	v_add_nc_u32_e64 v9, s9, 0
	scratch_store_b32 off, v9, off offset:1152 ; 4-byte Folded Spill
	s_waitcnt vmcnt(27)
	scratch_store_b128 off, v[1:4], off offset:528
	v_add_nc_u32_e64 v1, s10, 0
	scratch_store_b32 off, v1, off offset:1148 ; 4-byte Folded Spill
	v_add_nc_u32_e64 v1, s11, 0
	scratch_store_b32 off, v1, off offset:1144 ; 4-byte Folded Spill
	v_add_nc_u32_e64 v1, s12, 0
	scratch_store_b32 off, v1, off offset:1136 ; 4-byte Folded Spill
	v_add_nc_u32_e64 v1, s13, 0
	scratch_store_b32 off, v1, off offset:1128 ; 4-byte Folded Spill
	s_waitcnt vmcnt(26)
	scratch_store_b128 off, v[18:21], off offset:544
	v_add_nc_u32_e64 v1, s14, 0
	;; [unrolled: 10-line block ×3, first 2 shown]
	scratch_store_b32 off, v1, off offset:1100 ; 4-byte Folded Spill
	v_add_nc_u32_e64 v1, s25, 0
	scratch_store_b32 off, v1, off offset:1096 ; 4-byte Folded Spill
	v_add_nc_u32_e64 v1, s26, 0
	scratch_store_b32 off, v1, off offset:1088 ; 4-byte Folded Spill
	s_waitcnt vmcnt(24)
	scratch_store_b128 off, v[26:29], off offset:576
	s_waitcnt vmcnt(23)
	scratch_store_b128 off, v[30:33], off offset:592
	;; [unrolled: 2-line block ×24, first 2 shown]
	v_add_nc_u32_e64 v1, s30, 0
	v_add_nc_u32_e64 v219, s29, 0
	;; [unrolled: 1-line block ×3, first 2 shown]
	scratch_store_b32 off, v1, off offset:1200 ; 4-byte Folded Spill
	v_add_nc_u32_e64 v1, s31, 0
	scratch_store_b32 off, v1, off offset:1196 ; 4-byte Folded Spill
	v_add_nc_u32_e64 v1, s33, 0
	scratch_store_b32 off, v1, off offset:1192 ; 4-byte Folded Spill
	v_add_nc_u32_e64 v1, s34, 0
	scratch_store_b32 off, v1, off offset:1188 ; 4-byte Folded Spill
	v_add_nc_u32_e64 v1, s35, 0
	scratch_store_b32 off, v1, off offset:1180 ; 4-byte Folded Spill
	v_add_nc_u32_e64 v1, s36, 0
	scratch_store_b32 off, v1, off offset:1164 ; 4-byte Folded Spill
	v_add_nc_u32_e64 v1, s37, 0
	scratch_store_b32 off, v1, off offset:1156 ; 4-byte Folded Spill
	v_add_nc_u32_e64 v1, s38, 0
	scratch_store_b32 off, v1, off offset:1140 ; 4-byte Folded Spill
	v_add_nc_u32_e64 v1, s39, 0
	scratch_store_b32 off, v1, off offset:1132 ; 4-byte Folded Spill
	v_add_nc_u32_e64 v1, s40, 0
	scratch_store_b32 off, v1, off offset:1116 ; 4-byte Folded Spill
	v_add_nc_u32_e64 v1, s41, 0
	scratch_store_b32 off, v1, off offset:1108 ; 4-byte Folded Spill
	v_add_nc_u32_e64 v1, s42, 0
	scratch_store_b32 off, v1, off offset:1092 ; 4-byte Folded Spill
	v_add_nc_u32_e64 v1, s43, 0
	scratch_store_b32 off, v1, off offset:1084 ; 4-byte Folded Spill
	v_add_nc_u32_e64 v1, s44, 0
	scratch_store_b32 off, v1, off offset:1080 ; 4-byte Folded Spill
	v_add_nc_u32_e64 v1, s45, 0
	scratch_store_b32 off, v1, off offset:1076 ; 4-byte Folded Spill
	v_add_nc_u32_e64 v1, s46, 0
	scratch_store_b32 off, v1, off offset:1072 ; 4-byte Folded Spill
	v_add_nc_u32_e64 v1, s47, 0
	scratch_store_b32 off, v1, off offset:1068 ; 4-byte Folded Spill
	v_add_nc_u32_e64 v1, s48, 0
	scratch_store_b32 off, v1, off offset:1064 ; 4-byte Folded Spill
	v_add_nc_u32_e64 v1, s49, 0
	scratch_store_b32 off, v1, off offset:1060 ; 4-byte Folded Spill
	v_add_nc_u32_e64 v1, s50, 0
	scratch_store_b32 off, v1, off offset:1056 ; 4-byte Folded Spill
	v_add_nc_u32_e64 v1, s51, 0
	scratch_store_b32 off, v1, off offset:1052 ; 4-byte Folded Spill
	v_add_nc_u32_e64 v1, s52, 0
	scratch_store_b32 off, v1, off offset:1048 ; 4-byte Folded Spill
	v_add_nc_u32_e64 v1, s53, 0
	scratch_store_b32 off, v1, off offset:1044 ; 4-byte Folded Spill
	v_add_nc_u32_e64 v1, s54, 0
	scratch_store_b32 off, v1, off offset:1040 ; 4-byte Folded Spill
	v_add_nc_u32_e64 v1, s55, 0
	scratch_store_b32 off, v1, off offset:1036 ; 4-byte Folded Spill
	v_add_nc_u32_e64 v1, s56, 0
	scratch_store_b32 off, v1, off offset:1032 ; 4-byte Folded Spill
	v_add_nc_u32_e64 v1, s57, 0
	scratch_store_b32 off, v1, off offset:1028 ; 4-byte Folded Spill
	v_add_nc_u32_e64 v1, s58, 0
	scratch_store_b32 off, v1, off offset:1024 ; 4-byte Folded Spill
	v_add_nc_u32_e64 v1, s59, 0
	scratch_store_b32 off, v1, off offset:1020 ; 4-byte Folded Spill
	v_add_nc_u32_e64 v1, s60, 0
	scratch_store_b32 off, v1, off offset:1016 ; 4-byte Folded Spill
	v_add_nc_u32_e64 v1, s61, 0
	scratch_store_b32 off, v1, off offset:1012 ; 4-byte Folded Spill
	v_add_nc_u32_e64 v1, s62, 0
	scratch_store_b32 off, v1, off offset:1008 ; 4-byte Folded Spill
	v_add_nc_u32_e64 v1, s63, 0
	scratch_store_b32 off, v1, off offset:1004 ; 4-byte Folded Spill
	v_add_nc_u32_e64 v1, s64, 0
	scratch_store_b32 off, v1, off offset:1000 ; 4-byte Folded Spill
	v_add_nc_u32_e64 v1, s65, 0
	scratch_store_b32 off, v1, off offset:996 ; 4-byte Folded Spill
	v_add_nc_u32_e64 v1, s66, 0
	scratch_store_b32 off, v1, off offset:992 ; 4-byte Folded Spill
	s_waitcnt vmcnt(0)
	s_clause 0x1
	scratch_store_b128 off, v[5:8], off offset:960
	scratch_store_b128 off, v[236:239], off offset:976
	s_cbranch_scc1 .LBB61_272
; %bb.4:
	v_cmp_eq_u32_e64 s2, 0, v174
	s_delay_alu instid0(VALU_DEP_1)
	s_and_saveexec_b32 s3, s2
	s_cbranch_execz .LBB61_6
; %bb.5:
	v_mov_b32_e32 v1, 0
	ds_store_b32 v1, v1 offset:1984
.LBB61_6:
	s_or_b32 exec_lo, exec_lo, s3
	s_waitcnt lgkmcnt(0)
	s_waitcnt_vscnt null, 0x0
	s_barrier
	buffer_gl0_inv
	scratch_load_b128 v[1:4], v13, off
	s_waitcnt vmcnt(0)
	v_cmp_eq_f64_e32 vcc_lo, 0, v[1:2]
	v_cmp_eq_f64_e64 s3, 0, v[3:4]
	s_delay_alu instid0(VALU_DEP_1) | instskip(NEXT) | instid1(SALU_CYCLE_1)
	s_and_b32 s3, vcc_lo, s3
	s_and_saveexec_b32 s4, s3
	s_cbranch_execz .LBB61_10
; %bb.7:
	v_mov_b32_e32 v1, 0
	s_mov_b32 s5, 0
	ds_load_b32 v2, v1 offset:1984
	s_waitcnt lgkmcnt(0)
	v_readfirstlane_b32 s3, v2
	v_add_nc_u32_e32 v2, 1, v174
	s_delay_alu instid0(VALU_DEP_2) | instskip(NEXT) | instid1(VALU_DEP_1)
	s_cmp_eq_u32 s3, 0
	v_cmp_gt_i32_e32 vcc_lo, s3, v2
	s_cselect_b32 s8, -1, 0
	s_delay_alu instid0(SALU_CYCLE_1) | instskip(NEXT) | instid1(SALU_CYCLE_1)
	s_or_b32 s8, s8, vcc_lo
	s_and_b32 exec_lo, exec_lo, s8
	s_cbranch_execz .LBB61_10
; %bb.8:
	v_mov_b32_e32 v3, s3
.LBB61_9:                               ; =>This Inner Loop Header: Depth=1
	ds_cmpstore_rtn_b32 v3, v1, v2, v3 offset:1984
	s_waitcnt lgkmcnt(0)
	v_cmp_ne_u32_e32 vcc_lo, 0, v3
	v_cmp_le_i32_e64 s3, v3, v2
	s_delay_alu instid0(VALU_DEP_1) | instskip(NEXT) | instid1(SALU_CYCLE_1)
	s_and_b32 s3, vcc_lo, s3
	s_and_b32 s3, exec_lo, s3
	s_delay_alu instid0(SALU_CYCLE_1) | instskip(NEXT) | instid1(SALU_CYCLE_1)
	s_or_b32 s5, s3, s5
	s_and_not1_b32 exec_lo, exec_lo, s5
	s_cbranch_execnz .LBB61_9
.LBB61_10:
	s_or_b32 exec_lo, exec_lo, s4
	v_mov_b32_e32 v1, 0
	s_barrier
	buffer_gl0_inv
	ds_load_b32 v2, v1 offset:1984
	s_and_saveexec_b32 s3, s2
	s_cbranch_execz .LBB61_12
; %bb.11:
	s_lshl_b64 s[4:5], s[18:19], 2
	s_delay_alu instid0(SALU_CYCLE_1)
	s_add_u32 s4, s6, s4
	s_addc_u32 s5, s7, s5
	s_waitcnt lgkmcnt(0)
	global_store_b32 v1, v2, s[4:5]
.LBB61_12:
	s_or_b32 exec_lo, exec_lo, s3
	s_waitcnt lgkmcnt(0)
	v_cmp_ne_u32_e32 vcc_lo, 0, v2
	s_mov_b32 s3, 0
	s_cbranch_vccnz .LBB61_272
; %bb.13:
	v_add_nc_u32_e32 v14, 0, v13
                                        ; implicit-def: $vgpr9_vgpr10
	scratch_load_b128 v[1:4], v14, off
	s_waitcnt vmcnt(0)
	v_mov_b32_e32 v5, v1
	v_cmp_gt_f64_e32 vcc_lo, 0, v[1:2]
	v_xor_b32_e32 v6, 0x80000000, v2
	v_xor_b32_e32 v7, 0x80000000, v4
	s_delay_alu instid0(VALU_DEP_2) | instskip(SKIP_1) | instid1(VALU_DEP_3)
	v_cndmask_b32_e32 v6, v2, v6, vcc_lo
	v_cmp_gt_f64_e32 vcc_lo, 0, v[3:4]
	v_dual_cndmask_b32 v8, v4, v7 :: v_dual_mov_b32 v7, v3
	s_delay_alu instid0(VALU_DEP_1) | instskip(SKIP_1) | instid1(SALU_CYCLE_1)
	v_cmp_ngt_f64_e32 vcc_lo, v[5:6], v[7:8]
                                        ; implicit-def: $vgpr5_vgpr6
	s_and_saveexec_b32 s3, vcc_lo
	s_xor_b32 s3, exec_lo, s3
	s_cbranch_execz .LBB61_15
; %bb.14:
	v_div_scale_f64 v[5:6], null, v[3:4], v[3:4], v[1:2]
	v_div_scale_f64 v[11:12], vcc_lo, v[1:2], v[3:4], v[1:2]
	s_delay_alu instid0(VALU_DEP_2) | instskip(SKIP_2) | instid1(VALU_DEP_1)
	v_rcp_f64_e32 v[7:8], v[5:6]
	s_waitcnt_depctr 0xfff
	v_fma_f64 v[9:10], -v[5:6], v[7:8], 1.0
	v_fma_f64 v[7:8], v[7:8], v[9:10], v[7:8]
	s_delay_alu instid0(VALU_DEP_1) | instskip(NEXT) | instid1(VALU_DEP_1)
	v_fma_f64 v[9:10], -v[5:6], v[7:8], 1.0
	v_fma_f64 v[7:8], v[7:8], v[9:10], v[7:8]
	s_delay_alu instid0(VALU_DEP_1) | instskip(NEXT) | instid1(VALU_DEP_1)
	v_mul_f64 v[9:10], v[11:12], v[7:8]
	v_fma_f64 v[5:6], -v[5:6], v[9:10], v[11:12]
	s_delay_alu instid0(VALU_DEP_1) | instskip(NEXT) | instid1(VALU_DEP_1)
	v_div_fmas_f64 v[5:6], v[5:6], v[7:8], v[9:10]
	v_div_fixup_f64 v[5:6], v[5:6], v[3:4], v[1:2]
	s_delay_alu instid0(VALU_DEP_1) | instskip(NEXT) | instid1(VALU_DEP_1)
	v_fma_f64 v[1:2], v[1:2], v[5:6], v[3:4]
	v_div_scale_f64 v[3:4], null, v[1:2], v[1:2], 1.0
	v_div_scale_f64 v[11:12], vcc_lo, 1.0, v[1:2], 1.0
	s_delay_alu instid0(VALU_DEP_2) | instskip(SKIP_2) | instid1(VALU_DEP_1)
	v_rcp_f64_e32 v[7:8], v[3:4]
	s_waitcnt_depctr 0xfff
	v_fma_f64 v[9:10], -v[3:4], v[7:8], 1.0
	v_fma_f64 v[7:8], v[7:8], v[9:10], v[7:8]
	s_delay_alu instid0(VALU_DEP_1) | instskip(NEXT) | instid1(VALU_DEP_1)
	v_fma_f64 v[9:10], -v[3:4], v[7:8], 1.0
	v_fma_f64 v[7:8], v[7:8], v[9:10], v[7:8]
	s_delay_alu instid0(VALU_DEP_1) | instskip(NEXT) | instid1(VALU_DEP_1)
	v_mul_f64 v[9:10], v[11:12], v[7:8]
	v_fma_f64 v[3:4], -v[3:4], v[9:10], v[11:12]
	s_delay_alu instid0(VALU_DEP_1) | instskip(NEXT) | instid1(VALU_DEP_1)
	v_div_fmas_f64 v[3:4], v[3:4], v[7:8], v[9:10]
	v_div_fixup_f64 v[7:8], v[3:4], v[1:2], 1.0
                                        ; implicit-def: $vgpr1_vgpr2
	s_delay_alu instid0(VALU_DEP_1) | instskip(SKIP_1) | instid1(VALU_DEP_2)
	v_mul_f64 v[5:6], v[5:6], v[7:8]
	v_xor_b32_e32 v8, 0x80000000, v8
	v_xor_b32_e32 v10, 0x80000000, v6
	s_delay_alu instid0(VALU_DEP_3)
	v_mov_b32_e32 v9, v5
.LBB61_15:
	s_and_not1_saveexec_b32 s3, s3
	s_cbranch_execz .LBB61_17
; %bb.16:
	v_div_scale_f64 v[5:6], null, v[1:2], v[1:2], v[3:4]
	v_div_scale_f64 v[11:12], vcc_lo, v[3:4], v[1:2], v[3:4]
	s_delay_alu instid0(VALU_DEP_2) | instskip(SKIP_2) | instid1(VALU_DEP_1)
	v_rcp_f64_e32 v[7:8], v[5:6]
	s_waitcnt_depctr 0xfff
	v_fma_f64 v[9:10], -v[5:6], v[7:8], 1.0
	v_fma_f64 v[7:8], v[7:8], v[9:10], v[7:8]
	s_delay_alu instid0(VALU_DEP_1) | instskip(NEXT) | instid1(VALU_DEP_1)
	v_fma_f64 v[9:10], -v[5:6], v[7:8], 1.0
	v_fma_f64 v[7:8], v[7:8], v[9:10], v[7:8]
	s_delay_alu instid0(VALU_DEP_1) | instskip(NEXT) | instid1(VALU_DEP_1)
	v_mul_f64 v[9:10], v[11:12], v[7:8]
	v_fma_f64 v[5:6], -v[5:6], v[9:10], v[11:12]
	s_delay_alu instid0(VALU_DEP_1) | instskip(NEXT) | instid1(VALU_DEP_1)
	v_div_fmas_f64 v[5:6], v[5:6], v[7:8], v[9:10]
	v_div_fixup_f64 v[7:8], v[5:6], v[1:2], v[3:4]
	s_delay_alu instid0(VALU_DEP_1) | instskip(NEXT) | instid1(VALU_DEP_1)
	v_fma_f64 v[1:2], v[3:4], v[7:8], v[1:2]
	v_div_scale_f64 v[3:4], null, v[1:2], v[1:2], 1.0
	s_delay_alu instid0(VALU_DEP_1) | instskip(SKIP_2) | instid1(VALU_DEP_1)
	v_rcp_f64_e32 v[5:6], v[3:4]
	s_waitcnt_depctr 0xfff
	v_fma_f64 v[9:10], -v[3:4], v[5:6], 1.0
	v_fma_f64 v[5:6], v[5:6], v[9:10], v[5:6]
	s_delay_alu instid0(VALU_DEP_1) | instskip(NEXT) | instid1(VALU_DEP_1)
	v_fma_f64 v[9:10], -v[3:4], v[5:6], 1.0
	v_fma_f64 v[5:6], v[5:6], v[9:10], v[5:6]
	v_div_scale_f64 v[9:10], vcc_lo, 1.0, v[1:2], 1.0
	s_delay_alu instid0(VALU_DEP_1) | instskip(NEXT) | instid1(VALU_DEP_1)
	v_mul_f64 v[11:12], v[9:10], v[5:6]
	v_fma_f64 v[3:4], -v[3:4], v[11:12], v[9:10]
	s_delay_alu instid0(VALU_DEP_1) | instskip(NEXT) | instid1(VALU_DEP_1)
	v_div_fmas_f64 v[3:4], v[3:4], v[5:6], v[11:12]
	v_div_fixup_f64 v[5:6], v[3:4], v[1:2], 1.0
	s_delay_alu instid0(VALU_DEP_1)
	v_mul_f64 v[7:8], v[7:8], -v[5:6]
	v_xor_b32_e32 v10, 0x80000000, v6
	v_mov_b32_e32 v9, v5
.LBB61_17:
	s_or_b32 exec_lo, exec_lo, s3
	v_add_nc_u32_e64 v1, 0, 16
	scratch_store_b128 v14, v[5:8], off
	v_xor_b32_e32 v12, 0x80000000, v8
	v_mov_b32_e32 v11, v7
	v_add_nc_u32_e32 v5, 0x3e0, v13
	scratch_load_b128 v[1:4], v1, off
	ds_store_b128 v13, v[9:12]
	s_waitcnt vmcnt(0)
	ds_store_b128 v13, v[1:4] offset:992
	s_waitcnt lgkmcnt(0)
	s_waitcnt_vscnt null, 0x0
	s_barrier
	buffer_gl0_inv
	s_and_saveexec_b32 s3, s2
	s_cbranch_execz .LBB61_19
; %bb.18:
	scratch_load_b128 v[1:4], v14, off
	ds_load_b128 v[6:9], v5
	v_mov_b32_e32 v10, 0
	ds_load_b128 v[15:18], v10 offset:16
	s_waitcnt vmcnt(0) lgkmcnt(1)
	v_mul_f64 v[10:11], v[6:7], v[3:4]
	v_mul_f64 v[3:4], v[8:9], v[3:4]
	s_delay_alu instid0(VALU_DEP_2) | instskip(NEXT) | instid1(VALU_DEP_2)
	v_fma_f64 v[8:9], v[8:9], v[1:2], v[10:11]
	v_fma_f64 v[1:2], v[6:7], v[1:2], -v[3:4]
	s_delay_alu instid0(VALU_DEP_2) | instskip(NEXT) | instid1(VALU_DEP_2)
	v_add_f64 v[3:4], v[8:9], 0
	v_add_f64 v[1:2], v[1:2], 0
	s_waitcnt lgkmcnt(0)
	s_delay_alu instid0(VALU_DEP_2) | instskip(NEXT) | instid1(VALU_DEP_2)
	v_mul_f64 v[6:7], v[3:4], v[17:18]
	v_mul_f64 v[8:9], v[1:2], v[17:18]
	s_delay_alu instid0(VALU_DEP_2) | instskip(NEXT) | instid1(VALU_DEP_2)
	v_fma_f64 v[1:2], v[1:2], v[15:16], -v[6:7]
	v_fma_f64 v[3:4], v[3:4], v[15:16], v[8:9]
	scratch_store_b128 off, v[1:4], off offset:16
.LBB61_19:
	s_or_b32 exec_lo, exec_lo, s3
	v_add_nc_u32_e64 v1, 0, 32
	s_waitcnt_vscnt null, 0x0
	s_barrier
	buffer_gl0_inv
	v_cmp_gt_u32_e32 vcc_lo, 2, v174
	scratch_load_b128 v[1:4], v1, off
	s_waitcnt vmcnt(0)
	ds_store_b128 v5, v[1:4]
	s_waitcnt lgkmcnt(0)
	s_barrier
	buffer_gl0_inv
	s_and_saveexec_b32 s3, vcc_lo
	s_cbranch_execz .LBB61_23
; %bb.20:
	scratch_load_b128 v[1:4], v14, off
	ds_load_b128 v[6:9], v5
	s_waitcnt vmcnt(0) lgkmcnt(0)
	v_mul_f64 v[10:11], v[8:9], v[3:4]
	v_mul_f64 v[3:4], v[6:7], v[3:4]
	s_delay_alu instid0(VALU_DEP_2) | instskip(NEXT) | instid1(VALU_DEP_2)
	v_fma_f64 v[6:7], v[6:7], v[1:2], -v[10:11]
	v_fma_f64 v[3:4], v[8:9], v[1:2], v[3:4]
	s_delay_alu instid0(VALU_DEP_2) | instskip(NEXT) | instid1(VALU_DEP_2)
	v_add_f64 v[1:2], v[6:7], 0
	v_add_f64 v[3:4], v[3:4], 0
	s_and_saveexec_b32 s4, s2
	s_cbranch_execz .LBB61_22
; %bb.21:
	scratch_load_b128 v[6:9], off, off offset:16
	v_mov_b32_e32 v10, 0
	ds_load_b128 v[15:18], v10 offset:1008
	s_waitcnt vmcnt(0) lgkmcnt(0)
	v_mul_f64 v[10:11], v[15:16], v[8:9]
	v_mul_f64 v[8:9], v[17:18], v[8:9]
	s_delay_alu instid0(VALU_DEP_2) | instskip(NEXT) | instid1(VALU_DEP_2)
	v_fma_f64 v[10:11], v[17:18], v[6:7], v[10:11]
	v_fma_f64 v[6:7], v[15:16], v[6:7], -v[8:9]
	s_delay_alu instid0(VALU_DEP_2) | instskip(NEXT) | instid1(VALU_DEP_2)
	v_add_f64 v[3:4], v[3:4], v[10:11]
	v_add_f64 v[1:2], v[1:2], v[6:7]
.LBB61_22:
	s_or_b32 exec_lo, exec_lo, s4
	v_mov_b32_e32 v6, 0
	ds_load_b128 v[6:9], v6 offset:32
	s_waitcnt lgkmcnt(0)
	v_mul_f64 v[10:11], v[3:4], v[8:9]
	v_mul_f64 v[8:9], v[1:2], v[8:9]
	s_delay_alu instid0(VALU_DEP_2) | instskip(NEXT) | instid1(VALU_DEP_2)
	v_fma_f64 v[1:2], v[1:2], v[6:7], -v[10:11]
	v_fma_f64 v[3:4], v[3:4], v[6:7], v[8:9]
	scratch_store_b128 off, v[1:4], off offset:32
.LBB61_23:
	s_or_b32 exec_lo, exec_lo, s3
	v_add_nc_u32_e64 v1, 0, 48
	s_waitcnt_vscnt null, 0x0
	s_barrier
	buffer_gl0_inv
	v_add_nc_u32_e32 v6, -1, v174
	scratch_load_b128 v[1:4], v1, off
	s_mov_b32 s4, exec_lo
	s_waitcnt vmcnt(0)
	ds_store_b128 v5, v[1:4]
	s_waitcnt lgkmcnt(0)
	s_barrier
	buffer_gl0_inv
	v_cmpx_gt_u32_e32 3, v174
	s_cbranch_execz .LBB61_27
; %bb.24:
	v_dual_mov_b32 v1, 0 :: v_dual_add_nc_u32 v8, 0x3e0, v13
	v_dual_mov_b32 v2, 0 :: v_dual_add_nc_u32 v7, -1, v174
	v_or_b32_e32 v9, 8, v14
	s_mov_b32 s5, 0
	s_delay_alu instid0(VALU_DEP_2)
	v_dual_mov_b32 v4, v2 :: v_dual_mov_b32 v3, v1
	.p2align	6
.LBB61_25:                              ; =>This Inner Loop Header: Depth=1
	scratch_load_b128 v[15:18], v9, off offset:-8
	ds_load_b128 v[19:22], v8
	v_add_nc_u32_e32 v7, 1, v7
	v_add_nc_u32_e32 v8, 16, v8
	;; [unrolled: 1-line block ×3, first 2 shown]
	s_delay_alu instid0(VALU_DEP_3) | instskip(NEXT) | instid1(VALU_DEP_1)
	v_cmp_lt_u32_e64 s3, 1, v7
	s_or_b32 s5, s3, s5
	s_waitcnt vmcnt(0) lgkmcnt(0)
	v_mul_f64 v[10:11], v[21:22], v[17:18]
	v_mul_f64 v[17:18], v[19:20], v[17:18]
	s_delay_alu instid0(VALU_DEP_2) | instskip(NEXT) | instid1(VALU_DEP_2)
	v_fma_f64 v[10:11], v[19:20], v[15:16], -v[10:11]
	v_fma_f64 v[15:16], v[21:22], v[15:16], v[17:18]
	s_delay_alu instid0(VALU_DEP_2) | instskip(NEXT) | instid1(VALU_DEP_2)
	v_add_f64 v[3:4], v[3:4], v[10:11]
	v_add_f64 v[1:2], v[1:2], v[15:16]
	s_and_not1_b32 exec_lo, exec_lo, s5
	s_cbranch_execnz .LBB61_25
; %bb.26:
	s_or_b32 exec_lo, exec_lo, s5
	v_mov_b32_e32 v7, 0
	ds_load_b128 v[7:10], v7 offset:48
	s_waitcnt lgkmcnt(0)
	v_mul_f64 v[11:12], v[1:2], v[9:10]
	v_mul_f64 v[15:16], v[3:4], v[9:10]
	s_delay_alu instid0(VALU_DEP_2) | instskip(NEXT) | instid1(VALU_DEP_2)
	v_fma_f64 v[9:10], v[3:4], v[7:8], -v[11:12]
	v_fma_f64 v[11:12], v[1:2], v[7:8], v[15:16]
	scratch_store_b128 off, v[9:12], off offset:48
.LBB61_27:
	s_or_b32 exec_lo, exec_lo, s4
	v_add_nc_u32_e64 v1, 0, 64
	s_waitcnt_vscnt null, 0x0
	s_barrier
	buffer_gl0_inv
	v_cmp_gt_u32_e64 s3, 4, v174
	scratch_load_b128 v[1:4], v1, off
	s_waitcnt vmcnt(0)
	ds_store_b128 v5, v[1:4]
	s_waitcnt lgkmcnt(0)
	s_barrier
	buffer_gl0_inv
	s_and_saveexec_b32 s5, s3
	s_cbranch_execz .LBB61_31
; %bb.28:
	v_dual_mov_b32 v1, 0 :: v_dual_add_nc_u32 v8, 0x3e0, v13
	v_dual_mov_b32 v2, 0 :: v_dual_add_nc_u32 v7, -1, v174
	v_or_b32_e32 v9, 8, v14
	s_mov_b32 s8, 0
	s_delay_alu instid0(VALU_DEP_2)
	v_dual_mov_b32 v4, v2 :: v_dual_mov_b32 v3, v1
	.p2align	6
.LBB61_29:                              ; =>This Inner Loop Header: Depth=1
	scratch_load_b128 v[15:18], v9, off offset:-8
	ds_load_b128 v[19:22], v8
	v_add_nc_u32_e32 v7, 1, v7
	v_add_nc_u32_e32 v8, 16, v8
	;; [unrolled: 1-line block ×3, first 2 shown]
	s_delay_alu instid0(VALU_DEP_3) | instskip(NEXT) | instid1(VALU_DEP_1)
	v_cmp_lt_u32_e64 s4, 2, v7
	s_or_b32 s8, s4, s8
	s_waitcnt vmcnt(0) lgkmcnt(0)
	v_mul_f64 v[10:11], v[21:22], v[17:18]
	v_mul_f64 v[17:18], v[19:20], v[17:18]
	s_delay_alu instid0(VALU_DEP_2) | instskip(NEXT) | instid1(VALU_DEP_2)
	v_fma_f64 v[10:11], v[19:20], v[15:16], -v[10:11]
	v_fma_f64 v[15:16], v[21:22], v[15:16], v[17:18]
	s_delay_alu instid0(VALU_DEP_2) | instskip(NEXT) | instid1(VALU_DEP_2)
	v_add_f64 v[3:4], v[3:4], v[10:11]
	v_add_f64 v[1:2], v[1:2], v[15:16]
	s_and_not1_b32 exec_lo, exec_lo, s8
	s_cbranch_execnz .LBB61_29
; %bb.30:
	s_or_b32 exec_lo, exec_lo, s8
	v_mov_b32_e32 v7, 0
	ds_load_b128 v[7:10], v7 offset:64
	s_waitcnt lgkmcnt(0)
	v_mul_f64 v[11:12], v[1:2], v[9:10]
	v_mul_f64 v[15:16], v[3:4], v[9:10]
	s_delay_alu instid0(VALU_DEP_2) | instskip(NEXT) | instid1(VALU_DEP_2)
	v_fma_f64 v[9:10], v[3:4], v[7:8], -v[11:12]
	v_fma_f64 v[11:12], v[1:2], v[7:8], v[15:16]
	scratch_store_b128 off, v[9:12], off offset:64
.LBB61_31:
	s_or_b32 exec_lo, exec_lo, s5
	s_waitcnt_vscnt null, 0x0
	s_barrier
	buffer_gl0_inv
	scratch_load_b32 v1, off, off offset:1184 ; 4-byte Folded Reload
	s_mov_b32 s5, exec_lo
	s_waitcnt vmcnt(0)
	scratch_load_b128 v[1:4], v1, off
	s_waitcnt vmcnt(0)
	ds_store_b128 v5, v[1:4]
	s_waitcnt lgkmcnt(0)
	s_barrier
	buffer_gl0_inv
	v_cmpx_gt_u32_e32 5, v174
	s_cbranch_execz .LBB61_35
; %bb.32:
	v_dual_mov_b32 v1, 0 :: v_dual_add_nc_u32 v8, 0x3e0, v13
	v_dual_mov_b32 v2, 0 :: v_dual_add_nc_u32 v7, -1, v174
	v_or_b32_e32 v9, 8, v14
	s_mov_b32 s8, 0
	s_delay_alu instid0(VALU_DEP_2)
	v_dual_mov_b32 v4, v2 :: v_dual_mov_b32 v3, v1
	.p2align	6
.LBB61_33:                              ; =>This Inner Loop Header: Depth=1
	scratch_load_b128 v[15:18], v9, off offset:-8
	ds_load_b128 v[19:22], v8
	v_add_nc_u32_e32 v7, 1, v7
	v_add_nc_u32_e32 v8, 16, v8
	v_add_nc_u32_e32 v9, 16, v9
	s_delay_alu instid0(VALU_DEP_3) | instskip(NEXT) | instid1(VALU_DEP_1)
	v_cmp_lt_u32_e64 s4, 3, v7
	s_or_b32 s8, s4, s8
	s_waitcnt vmcnt(0) lgkmcnt(0)
	v_mul_f64 v[10:11], v[21:22], v[17:18]
	v_mul_f64 v[17:18], v[19:20], v[17:18]
	s_delay_alu instid0(VALU_DEP_2) | instskip(NEXT) | instid1(VALU_DEP_2)
	v_fma_f64 v[10:11], v[19:20], v[15:16], -v[10:11]
	v_fma_f64 v[15:16], v[21:22], v[15:16], v[17:18]
	s_delay_alu instid0(VALU_DEP_2) | instskip(NEXT) | instid1(VALU_DEP_2)
	v_add_f64 v[3:4], v[3:4], v[10:11]
	v_add_f64 v[1:2], v[1:2], v[15:16]
	s_and_not1_b32 exec_lo, exec_lo, s8
	s_cbranch_execnz .LBB61_33
; %bb.34:
	s_or_b32 exec_lo, exec_lo, s8
	v_mov_b32_e32 v7, 0
	ds_load_b128 v[7:10], v7 offset:80
	s_waitcnt lgkmcnt(0)
	v_mul_f64 v[11:12], v[1:2], v[9:10]
	v_mul_f64 v[15:16], v[3:4], v[9:10]
	s_delay_alu instid0(VALU_DEP_2) | instskip(NEXT) | instid1(VALU_DEP_2)
	v_fma_f64 v[9:10], v[3:4], v[7:8], -v[11:12]
	v_fma_f64 v[11:12], v[1:2], v[7:8], v[15:16]
	scratch_store_b128 off, v[9:12], off offset:80
.LBB61_35:
	s_or_b32 exec_lo, exec_lo, s5
	s_waitcnt_vscnt null, 0x0
	s_barrier
	buffer_gl0_inv
	scratch_load_b32 v1, off, off offset:1176 ; 4-byte Folded Reload
	v_cmp_gt_u32_e64 s4, 6, v174
	s_waitcnt vmcnt(0)
	scratch_load_b128 v[1:4], v1, off
	s_waitcnt vmcnt(0)
	ds_store_b128 v5, v[1:4]
	s_waitcnt lgkmcnt(0)
	s_barrier
	buffer_gl0_inv
	s_and_saveexec_b32 s8, s4
	s_cbranch_execz .LBB61_39
; %bb.36:
	v_dual_mov_b32 v1, 0 :: v_dual_add_nc_u32 v8, 0x3e0, v13
	v_dual_mov_b32 v2, 0 :: v_dual_add_nc_u32 v7, -1, v174
	v_or_b32_e32 v9, 8, v14
	s_mov_b32 s9, 0
	s_delay_alu instid0(VALU_DEP_2)
	v_dual_mov_b32 v4, v2 :: v_dual_mov_b32 v3, v1
	.p2align	6
.LBB61_37:                              ; =>This Inner Loop Header: Depth=1
	scratch_load_b128 v[15:18], v9, off offset:-8
	ds_load_b128 v[19:22], v8
	v_add_nc_u32_e32 v7, 1, v7
	v_add_nc_u32_e32 v8, 16, v8
	;; [unrolled: 1-line block ×3, first 2 shown]
	s_delay_alu instid0(VALU_DEP_3) | instskip(NEXT) | instid1(VALU_DEP_1)
	v_cmp_lt_u32_e64 s5, 4, v7
	s_or_b32 s9, s5, s9
	s_waitcnt vmcnt(0) lgkmcnt(0)
	v_mul_f64 v[10:11], v[21:22], v[17:18]
	v_mul_f64 v[17:18], v[19:20], v[17:18]
	s_delay_alu instid0(VALU_DEP_2) | instskip(NEXT) | instid1(VALU_DEP_2)
	v_fma_f64 v[10:11], v[19:20], v[15:16], -v[10:11]
	v_fma_f64 v[15:16], v[21:22], v[15:16], v[17:18]
	s_delay_alu instid0(VALU_DEP_2) | instskip(NEXT) | instid1(VALU_DEP_2)
	v_add_f64 v[3:4], v[3:4], v[10:11]
	v_add_f64 v[1:2], v[1:2], v[15:16]
	s_and_not1_b32 exec_lo, exec_lo, s9
	s_cbranch_execnz .LBB61_37
; %bb.38:
	s_or_b32 exec_lo, exec_lo, s9
	v_mov_b32_e32 v7, 0
	ds_load_b128 v[7:10], v7 offset:96
	s_waitcnt lgkmcnt(0)
	v_mul_f64 v[11:12], v[1:2], v[9:10]
	v_mul_f64 v[15:16], v[3:4], v[9:10]
	s_delay_alu instid0(VALU_DEP_2) | instskip(NEXT) | instid1(VALU_DEP_2)
	v_fma_f64 v[9:10], v[3:4], v[7:8], -v[11:12]
	v_fma_f64 v[11:12], v[1:2], v[7:8], v[15:16]
	scratch_store_b128 off, v[9:12], off offset:96
.LBB61_39:
	s_or_b32 exec_lo, exec_lo, s8
	s_waitcnt_vscnt null, 0x0
	s_barrier
	buffer_gl0_inv
	scratch_load_b32 v1, off, off offset:1172 ; 4-byte Folded Reload
	s_mov_b32 s8, exec_lo
	s_waitcnt vmcnt(0)
	scratch_load_b128 v[1:4], v1, off
	s_waitcnt vmcnt(0)
	ds_store_b128 v5, v[1:4]
	s_waitcnt lgkmcnt(0)
	s_barrier
	buffer_gl0_inv
	v_cmpx_gt_u32_e32 7, v174
	s_cbranch_execz .LBB61_43
; %bb.40:
	v_dual_mov_b32 v1, 0 :: v_dual_add_nc_u32 v8, 0x3e0, v13
	v_dual_mov_b32 v2, 0 :: v_dual_add_nc_u32 v7, -1, v174
	v_or_b32_e32 v9, 8, v14
	s_mov_b32 s9, 0
	s_delay_alu instid0(VALU_DEP_2)
	v_dual_mov_b32 v4, v2 :: v_dual_mov_b32 v3, v1
	.p2align	6
.LBB61_41:                              ; =>This Inner Loop Header: Depth=1
	scratch_load_b128 v[15:18], v9, off offset:-8
	ds_load_b128 v[19:22], v8
	v_add_nc_u32_e32 v7, 1, v7
	v_add_nc_u32_e32 v8, 16, v8
	;; [unrolled: 1-line block ×3, first 2 shown]
	s_delay_alu instid0(VALU_DEP_3) | instskip(NEXT) | instid1(VALU_DEP_1)
	v_cmp_lt_u32_e64 s5, 5, v7
	s_or_b32 s9, s5, s9
	s_waitcnt vmcnt(0) lgkmcnt(0)
	v_mul_f64 v[10:11], v[21:22], v[17:18]
	v_mul_f64 v[17:18], v[19:20], v[17:18]
	s_delay_alu instid0(VALU_DEP_2) | instskip(NEXT) | instid1(VALU_DEP_2)
	v_fma_f64 v[10:11], v[19:20], v[15:16], -v[10:11]
	v_fma_f64 v[15:16], v[21:22], v[15:16], v[17:18]
	s_delay_alu instid0(VALU_DEP_2) | instskip(NEXT) | instid1(VALU_DEP_2)
	v_add_f64 v[3:4], v[3:4], v[10:11]
	v_add_f64 v[1:2], v[1:2], v[15:16]
	s_and_not1_b32 exec_lo, exec_lo, s9
	s_cbranch_execnz .LBB61_41
; %bb.42:
	s_or_b32 exec_lo, exec_lo, s9
	v_mov_b32_e32 v7, 0
	ds_load_b128 v[7:10], v7 offset:112
	s_waitcnt lgkmcnt(0)
	v_mul_f64 v[11:12], v[1:2], v[9:10]
	v_mul_f64 v[15:16], v[3:4], v[9:10]
	s_delay_alu instid0(VALU_DEP_2) | instskip(NEXT) | instid1(VALU_DEP_2)
	v_fma_f64 v[9:10], v[3:4], v[7:8], -v[11:12]
	v_fma_f64 v[11:12], v[1:2], v[7:8], v[15:16]
	scratch_store_b128 off, v[9:12], off offset:112
.LBB61_43:
	s_or_b32 exec_lo, exec_lo, s8
	s_waitcnt_vscnt null, 0x0
	s_barrier
	buffer_gl0_inv
	scratch_load_b32 v1, off, off offset:1168 ; 4-byte Folded Reload
	s_mov_b32 s8, exec_lo
	s_waitcnt vmcnt(0)
	scratch_load_b128 v[1:4], v1, off
	s_waitcnt vmcnt(0)
	ds_store_b128 v5, v[1:4]
	s_waitcnt lgkmcnt(0)
	s_barrier
	buffer_gl0_inv
	v_cmpx_gt_u32_e32 8, v174
	s_cbranch_execz .LBB61_59
; %bb.44:
	scratch_load_b128 v[1:4], v14, off
	ds_load_b128 v[7:10], v5
	s_mov_b32 s9, exec_lo
	s_waitcnt vmcnt(0) lgkmcnt(0)
	v_mul_f64 v[11:12], v[9:10], v[3:4]
	v_mul_f64 v[3:4], v[7:8], v[3:4]
	s_delay_alu instid0(VALU_DEP_2) | instskip(NEXT) | instid1(VALU_DEP_2)
	v_fma_f64 v[7:8], v[7:8], v[1:2], -v[11:12]
	v_fma_f64 v[1:2], v[9:10], v[1:2], v[3:4]
	s_delay_alu instid0(VALU_DEP_2) | instskip(NEXT) | instid1(VALU_DEP_2)
	v_add_f64 v[3:4], v[7:8], 0
	v_add_f64 v[1:2], v[1:2], 0
	v_cmpx_ne_u32_e32 7, v174
	s_cbranch_execz .LBB61_58
; %bb.45:
	scratch_load_b128 v[7:10], v14, off offset:16
	ds_load_b128 v[15:18], v5 offset:16
	s_waitcnt vmcnt(0) lgkmcnt(0)
	v_mul_f64 v[11:12], v[17:18], v[9:10]
	v_mul_f64 v[9:10], v[15:16], v[9:10]
	s_delay_alu instid0(VALU_DEP_2) | instskip(NEXT) | instid1(VALU_DEP_2)
	v_fma_f64 v[11:12], v[15:16], v[7:8], -v[11:12]
	v_fma_f64 v[7:8], v[17:18], v[7:8], v[9:10]
	s_delay_alu instid0(VALU_DEP_2) | instskip(NEXT) | instid1(VALU_DEP_2)
	v_add_f64 v[3:4], v[3:4], v[11:12]
	v_add_f64 v[1:2], v[1:2], v[7:8]
	s_and_saveexec_b32 s5, s4
	s_cbranch_execz .LBB61_57
; %bb.46:
	scratch_load_b128 v[7:10], v14, off offset:32
	ds_load_b128 v[15:18], v5 offset:32
	s_mov_b32 s10, exec_lo
	s_waitcnt vmcnt(0) lgkmcnt(0)
	v_mul_f64 v[11:12], v[17:18], v[9:10]
	v_mul_f64 v[9:10], v[15:16], v[9:10]
	s_delay_alu instid0(VALU_DEP_2) | instskip(NEXT) | instid1(VALU_DEP_2)
	v_fma_f64 v[11:12], v[15:16], v[7:8], -v[11:12]
	v_fma_f64 v[7:8], v[17:18], v[7:8], v[9:10]
	s_delay_alu instid0(VALU_DEP_2) | instskip(NEXT) | instid1(VALU_DEP_2)
	v_add_f64 v[3:4], v[3:4], v[11:12]
	v_add_f64 v[1:2], v[1:2], v[7:8]
	v_cmpx_ne_u32_e32 5, v174
	s_cbranch_execz .LBB61_56
; %bb.47:
	scratch_load_b128 v[7:10], v14, off offset:48
	ds_load_b128 v[15:18], v5 offset:48
	s_waitcnt vmcnt(0) lgkmcnt(0)
	v_mul_f64 v[11:12], v[17:18], v[9:10]
	v_mul_f64 v[9:10], v[15:16], v[9:10]
	s_delay_alu instid0(VALU_DEP_2) | instskip(NEXT) | instid1(VALU_DEP_2)
	v_fma_f64 v[11:12], v[15:16], v[7:8], -v[11:12]
	v_fma_f64 v[7:8], v[17:18], v[7:8], v[9:10]
	s_delay_alu instid0(VALU_DEP_2) | instskip(NEXT) | instid1(VALU_DEP_2)
	v_add_f64 v[3:4], v[3:4], v[11:12]
	v_add_f64 v[1:2], v[1:2], v[7:8]
	s_and_saveexec_b32 s4, s3
	s_cbranch_execz .LBB61_55
; %bb.48:
	scratch_load_b128 v[7:10], v14, off offset:64
	ds_load_b128 v[15:18], v5 offset:64
	s_mov_b32 s11, exec_lo
	s_waitcnt vmcnt(0) lgkmcnt(0)
	v_mul_f64 v[11:12], v[17:18], v[9:10]
	v_mul_f64 v[9:10], v[15:16], v[9:10]
	s_delay_alu instid0(VALU_DEP_2) | instskip(NEXT) | instid1(VALU_DEP_2)
	v_fma_f64 v[11:12], v[15:16], v[7:8], -v[11:12]
	v_fma_f64 v[7:8], v[17:18], v[7:8], v[9:10]
	s_delay_alu instid0(VALU_DEP_2) | instskip(NEXT) | instid1(VALU_DEP_2)
	v_add_f64 v[3:4], v[3:4], v[11:12]
	v_add_f64 v[1:2], v[1:2], v[7:8]
	v_cmpx_ne_u32_e32 3, v174
	s_cbranch_execz .LBB61_54
; %bb.49:
	scratch_load_b128 v[7:10], v14, off offset:80
	ds_load_b128 v[15:18], v5 offset:80
	s_waitcnt vmcnt(0) lgkmcnt(0)
	v_mul_f64 v[11:12], v[17:18], v[9:10]
	v_mul_f64 v[9:10], v[15:16], v[9:10]
	s_delay_alu instid0(VALU_DEP_2) | instskip(NEXT) | instid1(VALU_DEP_2)
	v_fma_f64 v[11:12], v[15:16], v[7:8], -v[11:12]
	v_fma_f64 v[7:8], v[17:18], v[7:8], v[9:10]
	s_delay_alu instid0(VALU_DEP_2) | instskip(NEXT) | instid1(VALU_DEP_2)
	v_add_f64 v[3:4], v[3:4], v[11:12]
	v_add_f64 v[1:2], v[1:2], v[7:8]
	s_and_saveexec_b32 s3, vcc_lo
	s_cbranch_execz .LBB61_53
; %bb.50:
	scratch_load_b128 v[7:10], v14, off offset:96
	ds_load_b128 v[15:18], v5 offset:96
	s_waitcnt vmcnt(0) lgkmcnt(0)
	v_mul_f64 v[11:12], v[17:18], v[9:10]
	v_mul_f64 v[9:10], v[15:16], v[9:10]
	s_delay_alu instid0(VALU_DEP_2) | instskip(NEXT) | instid1(VALU_DEP_2)
	v_fma_f64 v[11:12], v[15:16], v[7:8], -v[11:12]
	v_fma_f64 v[7:8], v[17:18], v[7:8], v[9:10]
	s_delay_alu instid0(VALU_DEP_2) | instskip(NEXT) | instid1(VALU_DEP_2)
	v_add_f64 v[3:4], v[3:4], v[11:12]
	v_add_f64 v[1:2], v[1:2], v[7:8]
	s_and_saveexec_b32 s12, s2
	s_cbranch_execz .LBB61_52
; %bb.51:
	scratch_load_b128 v[7:10], v14, off offset:112
	ds_load_b128 v[15:18], v5 offset:112
	s_waitcnt vmcnt(0) lgkmcnt(0)
	v_mul_f64 v[11:12], v[17:18], v[9:10]
	v_mul_f64 v[9:10], v[15:16], v[9:10]
	s_delay_alu instid0(VALU_DEP_2) | instskip(NEXT) | instid1(VALU_DEP_2)
	v_fma_f64 v[11:12], v[15:16], v[7:8], -v[11:12]
	v_fma_f64 v[7:8], v[17:18], v[7:8], v[9:10]
	s_delay_alu instid0(VALU_DEP_2) | instskip(NEXT) | instid1(VALU_DEP_2)
	v_add_f64 v[3:4], v[3:4], v[11:12]
	v_add_f64 v[1:2], v[1:2], v[7:8]
.LBB61_52:
	s_or_b32 exec_lo, exec_lo, s12
.LBB61_53:
	s_delay_alu instid0(SALU_CYCLE_1)
	s_or_b32 exec_lo, exec_lo, s3
.LBB61_54:
	s_delay_alu instid0(SALU_CYCLE_1)
	s_or_b32 exec_lo, exec_lo, s11
.LBB61_55:
	s_delay_alu instid0(SALU_CYCLE_1)
	s_or_b32 exec_lo, exec_lo, s4
.LBB61_56:
	s_delay_alu instid0(SALU_CYCLE_1)
	s_or_b32 exec_lo, exec_lo, s10
.LBB61_57:
	s_delay_alu instid0(SALU_CYCLE_1)
	s_or_b32 exec_lo, exec_lo, s5
.LBB61_58:
	s_delay_alu instid0(SALU_CYCLE_1)
	s_or_b32 exec_lo, exec_lo, s9
	v_mov_b32_e32 v7, 0
	ds_load_b128 v[7:10], v7 offset:128
	s_waitcnt lgkmcnt(0)
	v_mul_f64 v[11:12], v[1:2], v[9:10]
	v_mul_f64 v[15:16], v[3:4], v[9:10]
	s_delay_alu instid0(VALU_DEP_2) | instskip(NEXT) | instid1(VALU_DEP_2)
	v_fma_f64 v[9:10], v[3:4], v[7:8], -v[11:12]
	v_fma_f64 v[11:12], v[1:2], v[7:8], v[15:16]
	scratch_store_b128 off, v[9:12], off offset:128
.LBB61_59:
	s_or_b32 exec_lo, exec_lo, s8
	s_waitcnt_vscnt null, 0x0
	s_barrier
	buffer_gl0_inv
	scratch_load_b32 v1, off, off offset:1160 ; 4-byte Folded Reload
	s_mov_b32 s2, exec_lo
	s_waitcnt vmcnt(0)
	scratch_load_b128 v[1:4], v1, off
	s_waitcnt vmcnt(0)
	ds_store_b128 v5, v[1:4]
	s_waitcnt lgkmcnt(0)
	s_barrier
	buffer_gl0_inv
	v_cmpx_gt_u32_e32 9, v174
	s_cbranch_execz .LBB61_63
; %bb.60:
	v_dual_mov_b32 v1, 0 :: v_dual_add_nc_u32 v8, 0x3e0, v13
	v_dual_mov_b32 v2, 0 :: v_dual_add_nc_u32 v7, -1, v174
	v_or_b32_e32 v9, 8, v14
	s_mov_b32 s3, 0
	s_delay_alu instid0(VALU_DEP_2)
	v_dual_mov_b32 v4, v2 :: v_dual_mov_b32 v3, v1
	.p2align	6
.LBB61_61:                              ; =>This Inner Loop Header: Depth=1
	scratch_load_b128 v[15:18], v9, off offset:-8
	ds_load_b128 v[19:22], v8
	v_add_nc_u32_e32 v7, 1, v7
	v_add_nc_u32_e32 v8, 16, v8
	;; [unrolled: 1-line block ×3, first 2 shown]
	s_delay_alu instid0(VALU_DEP_3) | instskip(SKIP_4) | instid1(VALU_DEP_2)
	v_cmp_lt_u32_e32 vcc_lo, 7, v7
	s_or_b32 s3, vcc_lo, s3
	s_waitcnt vmcnt(0) lgkmcnt(0)
	v_mul_f64 v[10:11], v[21:22], v[17:18]
	v_mul_f64 v[17:18], v[19:20], v[17:18]
	v_fma_f64 v[10:11], v[19:20], v[15:16], -v[10:11]
	s_delay_alu instid0(VALU_DEP_2) | instskip(NEXT) | instid1(VALU_DEP_2)
	v_fma_f64 v[15:16], v[21:22], v[15:16], v[17:18]
	v_add_f64 v[3:4], v[3:4], v[10:11]
	s_delay_alu instid0(VALU_DEP_2)
	v_add_f64 v[1:2], v[1:2], v[15:16]
	s_and_not1_b32 exec_lo, exec_lo, s3
	s_cbranch_execnz .LBB61_61
; %bb.62:
	s_or_b32 exec_lo, exec_lo, s3
	v_mov_b32_e32 v7, 0
	ds_load_b128 v[7:10], v7 offset:144
	s_waitcnt lgkmcnt(0)
	v_mul_f64 v[11:12], v[1:2], v[9:10]
	v_mul_f64 v[15:16], v[3:4], v[9:10]
	s_delay_alu instid0(VALU_DEP_2) | instskip(NEXT) | instid1(VALU_DEP_2)
	v_fma_f64 v[9:10], v[3:4], v[7:8], -v[11:12]
	v_fma_f64 v[11:12], v[1:2], v[7:8], v[15:16]
	scratch_store_b128 off, v[9:12], off offset:144
.LBB61_63:
	s_or_b32 exec_lo, exec_lo, s2
	s_waitcnt_vscnt null, 0x0
	s_barrier
	buffer_gl0_inv
	scratch_load_b32 v1, off, off offset:1152 ; 4-byte Folded Reload
	s_mov_b32 s2, exec_lo
	s_waitcnt vmcnt(0)
	scratch_load_b128 v[1:4], v1, off
	s_waitcnt vmcnt(0)
	ds_store_b128 v5, v[1:4]
	s_waitcnt lgkmcnt(0)
	s_barrier
	buffer_gl0_inv
	v_cmpx_gt_u32_e32 10, v174
	s_cbranch_execz .LBB61_67
; %bb.64:
	v_dual_mov_b32 v1, 0 :: v_dual_add_nc_u32 v8, 0x3e0, v13
	v_dual_mov_b32 v2, 0 :: v_dual_add_nc_u32 v7, -1, v174
	v_or_b32_e32 v9, 8, v14
	s_mov_b32 s3, 0
	s_delay_alu instid0(VALU_DEP_2)
	v_dual_mov_b32 v4, v2 :: v_dual_mov_b32 v3, v1
	.p2align	6
.LBB61_65:                              ; =>This Inner Loop Header: Depth=1
	scratch_load_b128 v[15:18], v9, off offset:-8
	ds_load_b128 v[19:22], v8
	v_add_nc_u32_e32 v7, 1, v7
	v_add_nc_u32_e32 v8, 16, v8
	;; [unrolled: 1-line block ×3, first 2 shown]
	s_delay_alu instid0(VALU_DEP_3) | instskip(SKIP_4) | instid1(VALU_DEP_2)
	v_cmp_lt_u32_e32 vcc_lo, 8, v7
	s_or_b32 s3, vcc_lo, s3
	s_waitcnt vmcnt(0) lgkmcnt(0)
	v_mul_f64 v[10:11], v[21:22], v[17:18]
	v_mul_f64 v[17:18], v[19:20], v[17:18]
	v_fma_f64 v[10:11], v[19:20], v[15:16], -v[10:11]
	s_delay_alu instid0(VALU_DEP_2) | instskip(NEXT) | instid1(VALU_DEP_2)
	v_fma_f64 v[15:16], v[21:22], v[15:16], v[17:18]
	v_add_f64 v[3:4], v[3:4], v[10:11]
	s_delay_alu instid0(VALU_DEP_2)
	v_add_f64 v[1:2], v[1:2], v[15:16]
	s_and_not1_b32 exec_lo, exec_lo, s3
	s_cbranch_execnz .LBB61_65
; %bb.66:
	s_or_b32 exec_lo, exec_lo, s3
	v_mov_b32_e32 v7, 0
	ds_load_b128 v[7:10], v7 offset:160
	s_waitcnt lgkmcnt(0)
	v_mul_f64 v[11:12], v[1:2], v[9:10]
	v_mul_f64 v[15:16], v[3:4], v[9:10]
	s_delay_alu instid0(VALU_DEP_2) | instskip(NEXT) | instid1(VALU_DEP_2)
	v_fma_f64 v[9:10], v[3:4], v[7:8], -v[11:12]
	v_fma_f64 v[11:12], v[1:2], v[7:8], v[15:16]
	scratch_store_b128 off, v[9:12], off offset:160
.LBB61_67:
	s_or_b32 exec_lo, exec_lo, s2
	s_waitcnt_vscnt null, 0x0
	s_barrier
	buffer_gl0_inv
	scratch_load_b32 v1, off, off offset:1148 ; 4-byte Folded Reload
	s_mov_b32 s2, exec_lo
	s_waitcnt vmcnt(0)
	scratch_load_b128 v[1:4], v1, off
	s_waitcnt vmcnt(0)
	ds_store_b128 v5, v[1:4]
	s_waitcnt lgkmcnt(0)
	s_barrier
	buffer_gl0_inv
	v_cmpx_gt_u32_e32 11, v174
	s_cbranch_execz .LBB61_71
; %bb.68:
	v_dual_mov_b32 v1, 0 :: v_dual_add_nc_u32 v8, 0x3e0, v13
	v_dual_mov_b32 v2, 0 :: v_dual_add_nc_u32 v7, -1, v174
	v_or_b32_e32 v9, 8, v14
	s_mov_b32 s3, 0
	s_delay_alu instid0(VALU_DEP_2)
	v_dual_mov_b32 v4, v2 :: v_dual_mov_b32 v3, v1
	.p2align	6
.LBB61_69:                              ; =>This Inner Loop Header: Depth=1
	scratch_load_b128 v[15:18], v9, off offset:-8
	ds_load_b128 v[19:22], v8
	v_add_nc_u32_e32 v7, 1, v7
	v_add_nc_u32_e32 v8, 16, v8
	;; [unrolled: 1-line block ×3, first 2 shown]
	s_delay_alu instid0(VALU_DEP_3) | instskip(SKIP_4) | instid1(VALU_DEP_2)
	v_cmp_lt_u32_e32 vcc_lo, 9, v7
	s_or_b32 s3, vcc_lo, s3
	s_waitcnt vmcnt(0) lgkmcnt(0)
	v_mul_f64 v[10:11], v[21:22], v[17:18]
	v_mul_f64 v[17:18], v[19:20], v[17:18]
	v_fma_f64 v[10:11], v[19:20], v[15:16], -v[10:11]
	s_delay_alu instid0(VALU_DEP_2) | instskip(NEXT) | instid1(VALU_DEP_2)
	v_fma_f64 v[15:16], v[21:22], v[15:16], v[17:18]
	v_add_f64 v[3:4], v[3:4], v[10:11]
	s_delay_alu instid0(VALU_DEP_2)
	v_add_f64 v[1:2], v[1:2], v[15:16]
	s_and_not1_b32 exec_lo, exec_lo, s3
	s_cbranch_execnz .LBB61_69
; %bb.70:
	s_or_b32 exec_lo, exec_lo, s3
	v_mov_b32_e32 v7, 0
	ds_load_b128 v[7:10], v7 offset:176
	s_waitcnt lgkmcnt(0)
	v_mul_f64 v[11:12], v[1:2], v[9:10]
	v_mul_f64 v[15:16], v[3:4], v[9:10]
	s_delay_alu instid0(VALU_DEP_2) | instskip(NEXT) | instid1(VALU_DEP_2)
	v_fma_f64 v[9:10], v[3:4], v[7:8], -v[11:12]
	v_fma_f64 v[11:12], v[1:2], v[7:8], v[15:16]
	scratch_store_b128 off, v[9:12], off offset:176
.LBB61_71:
	s_or_b32 exec_lo, exec_lo, s2
	s_waitcnt_vscnt null, 0x0
	s_barrier
	buffer_gl0_inv
	scratch_load_b32 v1, off, off offset:1144 ; 4-byte Folded Reload
	s_mov_b32 s2, exec_lo
	s_waitcnt vmcnt(0)
	scratch_load_b128 v[1:4], v1, off
	s_waitcnt vmcnt(0)
	ds_store_b128 v5, v[1:4]
	s_waitcnt lgkmcnt(0)
	s_barrier
	buffer_gl0_inv
	v_cmpx_gt_u32_e32 12, v174
	s_cbranch_execz .LBB61_75
; %bb.72:
	v_dual_mov_b32 v1, 0 :: v_dual_add_nc_u32 v8, 0x3e0, v13
	v_dual_mov_b32 v2, 0 :: v_dual_add_nc_u32 v7, -1, v174
	v_or_b32_e32 v9, 8, v14
	s_mov_b32 s3, 0
	s_delay_alu instid0(VALU_DEP_2)
	v_dual_mov_b32 v4, v2 :: v_dual_mov_b32 v3, v1
	.p2align	6
.LBB61_73:                              ; =>This Inner Loop Header: Depth=1
	scratch_load_b128 v[15:18], v9, off offset:-8
	ds_load_b128 v[19:22], v8
	v_add_nc_u32_e32 v7, 1, v7
	v_add_nc_u32_e32 v8, 16, v8
	;; [unrolled: 1-line block ×3, first 2 shown]
	s_delay_alu instid0(VALU_DEP_3) | instskip(SKIP_4) | instid1(VALU_DEP_2)
	v_cmp_lt_u32_e32 vcc_lo, 10, v7
	s_or_b32 s3, vcc_lo, s3
	s_waitcnt vmcnt(0) lgkmcnt(0)
	v_mul_f64 v[10:11], v[21:22], v[17:18]
	v_mul_f64 v[17:18], v[19:20], v[17:18]
	v_fma_f64 v[10:11], v[19:20], v[15:16], -v[10:11]
	s_delay_alu instid0(VALU_DEP_2) | instskip(NEXT) | instid1(VALU_DEP_2)
	v_fma_f64 v[15:16], v[21:22], v[15:16], v[17:18]
	v_add_f64 v[3:4], v[3:4], v[10:11]
	s_delay_alu instid0(VALU_DEP_2)
	v_add_f64 v[1:2], v[1:2], v[15:16]
	s_and_not1_b32 exec_lo, exec_lo, s3
	s_cbranch_execnz .LBB61_73
; %bb.74:
	s_or_b32 exec_lo, exec_lo, s3
	v_mov_b32_e32 v7, 0
	ds_load_b128 v[7:10], v7 offset:192
	s_waitcnt lgkmcnt(0)
	v_mul_f64 v[11:12], v[1:2], v[9:10]
	v_mul_f64 v[15:16], v[3:4], v[9:10]
	s_delay_alu instid0(VALU_DEP_2) | instskip(NEXT) | instid1(VALU_DEP_2)
	v_fma_f64 v[9:10], v[3:4], v[7:8], -v[11:12]
	v_fma_f64 v[11:12], v[1:2], v[7:8], v[15:16]
	scratch_store_b128 off, v[9:12], off offset:192
.LBB61_75:
	s_or_b32 exec_lo, exec_lo, s2
	s_waitcnt_vscnt null, 0x0
	s_barrier
	buffer_gl0_inv
	scratch_load_b32 v1, off, off offset:1136 ; 4-byte Folded Reload
	s_mov_b32 s2, exec_lo
	s_waitcnt vmcnt(0)
	scratch_load_b128 v[1:4], v1, off
	s_waitcnt vmcnt(0)
	ds_store_b128 v5, v[1:4]
	s_waitcnt lgkmcnt(0)
	s_barrier
	buffer_gl0_inv
	v_cmpx_gt_u32_e32 13, v174
	s_cbranch_execz .LBB61_79
; %bb.76:
	v_dual_mov_b32 v1, 0 :: v_dual_add_nc_u32 v8, 0x3e0, v13
	v_dual_mov_b32 v2, 0 :: v_dual_add_nc_u32 v7, -1, v174
	v_or_b32_e32 v9, 8, v14
	s_mov_b32 s3, 0
	s_delay_alu instid0(VALU_DEP_2)
	v_dual_mov_b32 v4, v2 :: v_dual_mov_b32 v3, v1
	.p2align	6
.LBB61_77:                              ; =>This Inner Loop Header: Depth=1
	scratch_load_b128 v[15:18], v9, off offset:-8
	ds_load_b128 v[19:22], v8
	v_add_nc_u32_e32 v7, 1, v7
	v_add_nc_u32_e32 v8, 16, v8
	;; [unrolled: 1-line block ×3, first 2 shown]
	s_delay_alu instid0(VALU_DEP_3) | instskip(SKIP_4) | instid1(VALU_DEP_2)
	v_cmp_lt_u32_e32 vcc_lo, 11, v7
	s_or_b32 s3, vcc_lo, s3
	s_waitcnt vmcnt(0) lgkmcnt(0)
	v_mul_f64 v[10:11], v[21:22], v[17:18]
	v_mul_f64 v[17:18], v[19:20], v[17:18]
	v_fma_f64 v[10:11], v[19:20], v[15:16], -v[10:11]
	s_delay_alu instid0(VALU_DEP_2) | instskip(NEXT) | instid1(VALU_DEP_2)
	v_fma_f64 v[15:16], v[21:22], v[15:16], v[17:18]
	v_add_f64 v[3:4], v[3:4], v[10:11]
	s_delay_alu instid0(VALU_DEP_2)
	v_add_f64 v[1:2], v[1:2], v[15:16]
	s_and_not1_b32 exec_lo, exec_lo, s3
	s_cbranch_execnz .LBB61_77
; %bb.78:
	s_or_b32 exec_lo, exec_lo, s3
	v_mov_b32_e32 v7, 0
	ds_load_b128 v[7:10], v7 offset:208
	s_waitcnt lgkmcnt(0)
	v_mul_f64 v[11:12], v[1:2], v[9:10]
	v_mul_f64 v[15:16], v[3:4], v[9:10]
	s_delay_alu instid0(VALU_DEP_2) | instskip(NEXT) | instid1(VALU_DEP_2)
	v_fma_f64 v[9:10], v[3:4], v[7:8], -v[11:12]
	v_fma_f64 v[11:12], v[1:2], v[7:8], v[15:16]
	scratch_store_b128 off, v[9:12], off offset:208
.LBB61_79:
	s_or_b32 exec_lo, exec_lo, s2
	s_waitcnt_vscnt null, 0x0
	s_barrier
	buffer_gl0_inv
	scratch_load_b32 v1, off, off offset:1128 ; 4-byte Folded Reload
	s_mov_b32 s2, exec_lo
	s_waitcnt vmcnt(0)
	scratch_load_b128 v[1:4], v1, off
	s_waitcnt vmcnt(0)
	ds_store_b128 v5, v[1:4]
	s_waitcnt lgkmcnt(0)
	s_barrier
	buffer_gl0_inv
	v_cmpx_gt_u32_e32 14, v174
	s_cbranch_execz .LBB61_83
; %bb.80:
	v_dual_mov_b32 v1, 0 :: v_dual_add_nc_u32 v8, 0x3e0, v13
	v_dual_mov_b32 v2, 0 :: v_dual_add_nc_u32 v7, -1, v174
	v_or_b32_e32 v9, 8, v14
	s_mov_b32 s3, 0
	s_delay_alu instid0(VALU_DEP_2)
	v_dual_mov_b32 v4, v2 :: v_dual_mov_b32 v3, v1
	.p2align	6
.LBB61_81:                              ; =>This Inner Loop Header: Depth=1
	scratch_load_b128 v[15:18], v9, off offset:-8
	ds_load_b128 v[19:22], v8
	v_add_nc_u32_e32 v7, 1, v7
	v_add_nc_u32_e32 v8, 16, v8
	;; [unrolled: 1-line block ×3, first 2 shown]
	s_delay_alu instid0(VALU_DEP_3) | instskip(SKIP_4) | instid1(VALU_DEP_2)
	v_cmp_lt_u32_e32 vcc_lo, 12, v7
	s_or_b32 s3, vcc_lo, s3
	s_waitcnt vmcnt(0) lgkmcnt(0)
	v_mul_f64 v[10:11], v[21:22], v[17:18]
	v_mul_f64 v[17:18], v[19:20], v[17:18]
	v_fma_f64 v[10:11], v[19:20], v[15:16], -v[10:11]
	s_delay_alu instid0(VALU_DEP_2) | instskip(NEXT) | instid1(VALU_DEP_2)
	v_fma_f64 v[15:16], v[21:22], v[15:16], v[17:18]
	v_add_f64 v[3:4], v[3:4], v[10:11]
	s_delay_alu instid0(VALU_DEP_2)
	v_add_f64 v[1:2], v[1:2], v[15:16]
	s_and_not1_b32 exec_lo, exec_lo, s3
	s_cbranch_execnz .LBB61_81
; %bb.82:
	s_or_b32 exec_lo, exec_lo, s3
	v_mov_b32_e32 v7, 0
	ds_load_b128 v[7:10], v7 offset:224
	s_waitcnt lgkmcnt(0)
	v_mul_f64 v[11:12], v[1:2], v[9:10]
	v_mul_f64 v[15:16], v[3:4], v[9:10]
	s_delay_alu instid0(VALU_DEP_2) | instskip(NEXT) | instid1(VALU_DEP_2)
	v_fma_f64 v[9:10], v[3:4], v[7:8], -v[11:12]
	v_fma_f64 v[11:12], v[1:2], v[7:8], v[15:16]
	scratch_store_b128 off, v[9:12], off offset:224
.LBB61_83:
	s_or_b32 exec_lo, exec_lo, s2
	s_waitcnt_vscnt null, 0x0
	s_barrier
	buffer_gl0_inv
	scratch_load_b32 v1, off, off offset:1124 ; 4-byte Folded Reload
	s_mov_b32 s2, exec_lo
	s_waitcnt vmcnt(0)
	scratch_load_b128 v[1:4], v1, off
	s_waitcnt vmcnt(0)
	ds_store_b128 v5, v[1:4]
	s_waitcnt lgkmcnt(0)
	s_barrier
	buffer_gl0_inv
	v_cmpx_gt_u32_e32 15, v174
	s_cbranch_execz .LBB61_87
; %bb.84:
	v_dual_mov_b32 v1, 0 :: v_dual_add_nc_u32 v8, 0x3e0, v13
	v_dual_mov_b32 v2, 0 :: v_dual_add_nc_u32 v7, -1, v174
	v_or_b32_e32 v9, 8, v14
	s_mov_b32 s3, 0
	s_delay_alu instid0(VALU_DEP_2)
	v_dual_mov_b32 v4, v2 :: v_dual_mov_b32 v3, v1
	.p2align	6
.LBB61_85:                              ; =>This Inner Loop Header: Depth=1
	scratch_load_b128 v[15:18], v9, off offset:-8
	ds_load_b128 v[19:22], v8
	v_add_nc_u32_e32 v7, 1, v7
	v_add_nc_u32_e32 v8, 16, v8
	;; [unrolled: 1-line block ×3, first 2 shown]
	s_delay_alu instid0(VALU_DEP_3) | instskip(SKIP_4) | instid1(VALU_DEP_2)
	v_cmp_lt_u32_e32 vcc_lo, 13, v7
	s_or_b32 s3, vcc_lo, s3
	s_waitcnt vmcnt(0) lgkmcnt(0)
	v_mul_f64 v[10:11], v[21:22], v[17:18]
	v_mul_f64 v[17:18], v[19:20], v[17:18]
	v_fma_f64 v[10:11], v[19:20], v[15:16], -v[10:11]
	s_delay_alu instid0(VALU_DEP_2) | instskip(NEXT) | instid1(VALU_DEP_2)
	v_fma_f64 v[15:16], v[21:22], v[15:16], v[17:18]
	v_add_f64 v[3:4], v[3:4], v[10:11]
	s_delay_alu instid0(VALU_DEP_2)
	v_add_f64 v[1:2], v[1:2], v[15:16]
	s_and_not1_b32 exec_lo, exec_lo, s3
	s_cbranch_execnz .LBB61_85
; %bb.86:
	s_or_b32 exec_lo, exec_lo, s3
	v_mov_b32_e32 v7, 0
	ds_load_b128 v[7:10], v7 offset:240
	s_waitcnt lgkmcnt(0)
	v_mul_f64 v[11:12], v[1:2], v[9:10]
	v_mul_f64 v[15:16], v[3:4], v[9:10]
	s_delay_alu instid0(VALU_DEP_2) | instskip(NEXT) | instid1(VALU_DEP_2)
	v_fma_f64 v[9:10], v[3:4], v[7:8], -v[11:12]
	v_fma_f64 v[11:12], v[1:2], v[7:8], v[15:16]
	scratch_store_b128 off, v[9:12], off offset:240
.LBB61_87:
	s_or_b32 exec_lo, exec_lo, s2
	s_waitcnt_vscnt null, 0x0
	s_barrier
	buffer_gl0_inv
	scratch_load_b32 v1, off, off offset:1120 ; 4-byte Folded Reload
	s_mov_b32 s2, exec_lo
	s_waitcnt vmcnt(0)
	scratch_load_b128 v[1:4], v1, off
	s_waitcnt vmcnt(0)
	ds_store_b128 v5, v[1:4]
	s_waitcnt lgkmcnt(0)
	s_barrier
	buffer_gl0_inv
	v_cmpx_gt_u32_e32 16, v174
	s_cbranch_execz .LBB61_91
; %bb.88:
	v_dual_mov_b32 v1, 0 :: v_dual_add_nc_u32 v8, 0x3e0, v13
	v_dual_mov_b32 v2, 0 :: v_dual_add_nc_u32 v7, -1, v174
	v_or_b32_e32 v9, 8, v14
	s_mov_b32 s3, 0
	s_delay_alu instid0(VALU_DEP_2)
	v_dual_mov_b32 v4, v2 :: v_dual_mov_b32 v3, v1
	.p2align	6
.LBB61_89:                              ; =>This Inner Loop Header: Depth=1
	scratch_load_b128 v[15:18], v9, off offset:-8
	ds_load_b128 v[19:22], v8
	v_add_nc_u32_e32 v7, 1, v7
	v_add_nc_u32_e32 v8, 16, v8
	;; [unrolled: 1-line block ×3, first 2 shown]
	s_delay_alu instid0(VALU_DEP_3) | instskip(SKIP_4) | instid1(VALU_DEP_2)
	v_cmp_lt_u32_e32 vcc_lo, 14, v7
	s_or_b32 s3, vcc_lo, s3
	s_waitcnt vmcnt(0) lgkmcnt(0)
	v_mul_f64 v[10:11], v[21:22], v[17:18]
	v_mul_f64 v[17:18], v[19:20], v[17:18]
	v_fma_f64 v[10:11], v[19:20], v[15:16], -v[10:11]
	s_delay_alu instid0(VALU_DEP_2) | instskip(NEXT) | instid1(VALU_DEP_2)
	v_fma_f64 v[15:16], v[21:22], v[15:16], v[17:18]
	v_add_f64 v[3:4], v[3:4], v[10:11]
	s_delay_alu instid0(VALU_DEP_2)
	v_add_f64 v[1:2], v[1:2], v[15:16]
	s_and_not1_b32 exec_lo, exec_lo, s3
	s_cbranch_execnz .LBB61_89
; %bb.90:
	s_or_b32 exec_lo, exec_lo, s3
	v_mov_b32_e32 v7, 0
	ds_load_b128 v[7:10], v7 offset:256
	s_waitcnt lgkmcnt(0)
	v_mul_f64 v[11:12], v[1:2], v[9:10]
	v_mul_f64 v[15:16], v[3:4], v[9:10]
	s_delay_alu instid0(VALU_DEP_2) | instskip(NEXT) | instid1(VALU_DEP_2)
	v_fma_f64 v[9:10], v[3:4], v[7:8], -v[11:12]
	v_fma_f64 v[11:12], v[1:2], v[7:8], v[15:16]
	scratch_store_b128 off, v[9:12], off offset:256
.LBB61_91:
	s_or_b32 exec_lo, exec_lo, s2
	s_waitcnt_vscnt null, 0x0
	s_barrier
	buffer_gl0_inv
	scratch_load_b32 v1, off, off offset:1112 ; 4-byte Folded Reload
	s_mov_b32 s2, exec_lo
	s_waitcnt vmcnt(0)
	scratch_load_b128 v[1:4], v1, off
	s_waitcnt vmcnt(0)
	ds_store_b128 v5, v[1:4]
	s_waitcnt lgkmcnt(0)
	s_barrier
	buffer_gl0_inv
	v_cmpx_gt_u32_e32 17, v174
	s_cbranch_execz .LBB61_95
; %bb.92:
	v_dual_mov_b32 v1, 0 :: v_dual_add_nc_u32 v8, 0x3e0, v13
	v_dual_mov_b32 v2, 0 :: v_dual_add_nc_u32 v7, -1, v174
	v_or_b32_e32 v9, 8, v14
	s_mov_b32 s3, 0
	s_delay_alu instid0(VALU_DEP_2)
	v_dual_mov_b32 v4, v2 :: v_dual_mov_b32 v3, v1
	.p2align	6
.LBB61_93:                              ; =>This Inner Loop Header: Depth=1
	scratch_load_b128 v[15:18], v9, off offset:-8
	ds_load_b128 v[19:22], v8
	v_add_nc_u32_e32 v7, 1, v7
	v_add_nc_u32_e32 v8, 16, v8
	;; [unrolled: 1-line block ×3, first 2 shown]
	s_delay_alu instid0(VALU_DEP_3) | instskip(SKIP_4) | instid1(VALU_DEP_2)
	v_cmp_lt_u32_e32 vcc_lo, 15, v7
	s_or_b32 s3, vcc_lo, s3
	s_waitcnt vmcnt(0) lgkmcnt(0)
	v_mul_f64 v[10:11], v[21:22], v[17:18]
	v_mul_f64 v[17:18], v[19:20], v[17:18]
	v_fma_f64 v[10:11], v[19:20], v[15:16], -v[10:11]
	s_delay_alu instid0(VALU_DEP_2) | instskip(NEXT) | instid1(VALU_DEP_2)
	v_fma_f64 v[15:16], v[21:22], v[15:16], v[17:18]
	v_add_f64 v[3:4], v[3:4], v[10:11]
	s_delay_alu instid0(VALU_DEP_2)
	v_add_f64 v[1:2], v[1:2], v[15:16]
	s_and_not1_b32 exec_lo, exec_lo, s3
	s_cbranch_execnz .LBB61_93
; %bb.94:
	s_or_b32 exec_lo, exec_lo, s3
	v_mov_b32_e32 v7, 0
	ds_load_b128 v[7:10], v7 offset:272
	s_waitcnt lgkmcnt(0)
	v_mul_f64 v[11:12], v[1:2], v[9:10]
	v_mul_f64 v[15:16], v[3:4], v[9:10]
	s_delay_alu instid0(VALU_DEP_2) | instskip(NEXT) | instid1(VALU_DEP_2)
	v_fma_f64 v[9:10], v[3:4], v[7:8], -v[11:12]
	v_fma_f64 v[11:12], v[1:2], v[7:8], v[15:16]
	scratch_store_b128 off, v[9:12], off offset:272
.LBB61_95:
	s_or_b32 exec_lo, exec_lo, s2
	s_waitcnt_vscnt null, 0x0
	s_barrier
	buffer_gl0_inv
	scratch_load_b32 v1, off, off offset:1104 ; 4-byte Folded Reload
	s_mov_b32 s2, exec_lo
	s_waitcnt vmcnt(0)
	scratch_load_b128 v[1:4], v1, off
	s_waitcnt vmcnt(0)
	ds_store_b128 v5, v[1:4]
	s_waitcnt lgkmcnt(0)
	s_barrier
	buffer_gl0_inv
	v_cmpx_gt_u32_e32 18, v174
	s_cbranch_execz .LBB61_99
; %bb.96:
	v_dual_mov_b32 v1, 0 :: v_dual_add_nc_u32 v8, 0x3e0, v13
	v_dual_mov_b32 v2, 0 :: v_dual_add_nc_u32 v7, -1, v174
	v_or_b32_e32 v9, 8, v14
	s_mov_b32 s3, 0
	s_delay_alu instid0(VALU_DEP_2)
	v_dual_mov_b32 v4, v2 :: v_dual_mov_b32 v3, v1
	.p2align	6
.LBB61_97:                              ; =>This Inner Loop Header: Depth=1
	scratch_load_b128 v[15:18], v9, off offset:-8
	ds_load_b128 v[19:22], v8
	v_add_nc_u32_e32 v7, 1, v7
	v_add_nc_u32_e32 v8, 16, v8
	;; [unrolled: 1-line block ×3, first 2 shown]
	s_delay_alu instid0(VALU_DEP_3) | instskip(SKIP_4) | instid1(VALU_DEP_2)
	v_cmp_lt_u32_e32 vcc_lo, 16, v7
	s_or_b32 s3, vcc_lo, s3
	s_waitcnt vmcnt(0) lgkmcnt(0)
	v_mul_f64 v[10:11], v[21:22], v[17:18]
	v_mul_f64 v[17:18], v[19:20], v[17:18]
	v_fma_f64 v[10:11], v[19:20], v[15:16], -v[10:11]
	s_delay_alu instid0(VALU_DEP_2) | instskip(NEXT) | instid1(VALU_DEP_2)
	v_fma_f64 v[15:16], v[21:22], v[15:16], v[17:18]
	v_add_f64 v[3:4], v[3:4], v[10:11]
	s_delay_alu instid0(VALU_DEP_2)
	v_add_f64 v[1:2], v[1:2], v[15:16]
	s_and_not1_b32 exec_lo, exec_lo, s3
	s_cbranch_execnz .LBB61_97
; %bb.98:
	s_or_b32 exec_lo, exec_lo, s3
	v_mov_b32_e32 v7, 0
	ds_load_b128 v[7:10], v7 offset:288
	s_waitcnt lgkmcnt(0)
	v_mul_f64 v[11:12], v[1:2], v[9:10]
	v_mul_f64 v[15:16], v[3:4], v[9:10]
	s_delay_alu instid0(VALU_DEP_2) | instskip(NEXT) | instid1(VALU_DEP_2)
	v_fma_f64 v[9:10], v[3:4], v[7:8], -v[11:12]
	v_fma_f64 v[11:12], v[1:2], v[7:8], v[15:16]
	scratch_store_b128 off, v[9:12], off offset:288
.LBB61_99:
	s_or_b32 exec_lo, exec_lo, s2
	s_waitcnt_vscnt null, 0x0
	s_barrier
	buffer_gl0_inv
	scratch_load_b32 v1, off, off offset:1100 ; 4-byte Folded Reload
	s_mov_b32 s2, exec_lo
	s_waitcnt vmcnt(0)
	scratch_load_b128 v[1:4], v1, off
	s_waitcnt vmcnt(0)
	ds_store_b128 v5, v[1:4]
	s_waitcnt lgkmcnt(0)
	s_barrier
	buffer_gl0_inv
	v_cmpx_gt_u32_e32 19, v174
	s_cbranch_execz .LBB61_103
; %bb.100:
	v_dual_mov_b32 v1, 0 :: v_dual_add_nc_u32 v8, 0x3e0, v13
	v_dual_mov_b32 v2, 0 :: v_dual_add_nc_u32 v7, -1, v174
	v_or_b32_e32 v9, 8, v14
	s_mov_b32 s3, 0
	s_delay_alu instid0(VALU_DEP_2)
	v_dual_mov_b32 v4, v2 :: v_dual_mov_b32 v3, v1
	.p2align	6
.LBB61_101:                             ; =>This Inner Loop Header: Depth=1
	scratch_load_b128 v[15:18], v9, off offset:-8
	ds_load_b128 v[19:22], v8
	v_add_nc_u32_e32 v7, 1, v7
	v_add_nc_u32_e32 v8, 16, v8
	;; [unrolled: 1-line block ×3, first 2 shown]
	s_delay_alu instid0(VALU_DEP_3) | instskip(SKIP_4) | instid1(VALU_DEP_2)
	v_cmp_lt_u32_e32 vcc_lo, 17, v7
	s_or_b32 s3, vcc_lo, s3
	s_waitcnt vmcnt(0) lgkmcnt(0)
	v_mul_f64 v[10:11], v[21:22], v[17:18]
	v_mul_f64 v[17:18], v[19:20], v[17:18]
	v_fma_f64 v[10:11], v[19:20], v[15:16], -v[10:11]
	s_delay_alu instid0(VALU_DEP_2) | instskip(NEXT) | instid1(VALU_DEP_2)
	v_fma_f64 v[15:16], v[21:22], v[15:16], v[17:18]
	v_add_f64 v[3:4], v[3:4], v[10:11]
	s_delay_alu instid0(VALU_DEP_2)
	v_add_f64 v[1:2], v[1:2], v[15:16]
	s_and_not1_b32 exec_lo, exec_lo, s3
	s_cbranch_execnz .LBB61_101
; %bb.102:
	s_or_b32 exec_lo, exec_lo, s3
	v_mov_b32_e32 v7, 0
	ds_load_b128 v[7:10], v7 offset:304
	s_waitcnt lgkmcnt(0)
	v_mul_f64 v[11:12], v[1:2], v[9:10]
	v_mul_f64 v[15:16], v[3:4], v[9:10]
	s_delay_alu instid0(VALU_DEP_2) | instskip(NEXT) | instid1(VALU_DEP_2)
	v_fma_f64 v[9:10], v[3:4], v[7:8], -v[11:12]
	v_fma_f64 v[11:12], v[1:2], v[7:8], v[15:16]
	scratch_store_b128 off, v[9:12], off offset:304
.LBB61_103:
	s_or_b32 exec_lo, exec_lo, s2
	s_waitcnt_vscnt null, 0x0
	s_barrier
	buffer_gl0_inv
	scratch_load_b32 v1, off, off offset:1096 ; 4-byte Folded Reload
	s_mov_b32 s2, exec_lo
	s_waitcnt vmcnt(0)
	scratch_load_b128 v[1:4], v1, off
	s_waitcnt vmcnt(0)
	ds_store_b128 v5, v[1:4]
	s_waitcnt lgkmcnt(0)
	s_barrier
	buffer_gl0_inv
	v_cmpx_gt_u32_e32 20, v174
	s_cbranch_execz .LBB61_107
; %bb.104:
	v_dual_mov_b32 v1, 0 :: v_dual_add_nc_u32 v8, 0x3e0, v13
	v_dual_mov_b32 v2, 0 :: v_dual_add_nc_u32 v7, -1, v174
	v_or_b32_e32 v9, 8, v14
	s_mov_b32 s3, 0
	s_delay_alu instid0(VALU_DEP_2)
	v_dual_mov_b32 v4, v2 :: v_dual_mov_b32 v3, v1
	.p2align	6
.LBB61_105:                             ; =>This Inner Loop Header: Depth=1
	scratch_load_b128 v[15:18], v9, off offset:-8
	ds_load_b128 v[19:22], v8
	v_add_nc_u32_e32 v7, 1, v7
	v_add_nc_u32_e32 v8, 16, v8
	;; [unrolled: 1-line block ×3, first 2 shown]
	s_delay_alu instid0(VALU_DEP_3) | instskip(SKIP_4) | instid1(VALU_DEP_2)
	v_cmp_lt_u32_e32 vcc_lo, 18, v7
	s_or_b32 s3, vcc_lo, s3
	s_waitcnt vmcnt(0) lgkmcnt(0)
	v_mul_f64 v[10:11], v[21:22], v[17:18]
	v_mul_f64 v[17:18], v[19:20], v[17:18]
	v_fma_f64 v[10:11], v[19:20], v[15:16], -v[10:11]
	s_delay_alu instid0(VALU_DEP_2) | instskip(NEXT) | instid1(VALU_DEP_2)
	v_fma_f64 v[15:16], v[21:22], v[15:16], v[17:18]
	v_add_f64 v[3:4], v[3:4], v[10:11]
	s_delay_alu instid0(VALU_DEP_2)
	v_add_f64 v[1:2], v[1:2], v[15:16]
	s_and_not1_b32 exec_lo, exec_lo, s3
	s_cbranch_execnz .LBB61_105
; %bb.106:
	s_or_b32 exec_lo, exec_lo, s3
	v_mov_b32_e32 v7, 0
	ds_load_b128 v[7:10], v7 offset:320
	s_waitcnt lgkmcnt(0)
	v_mul_f64 v[11:12], v[1:2], v[9:10]
	v_mul_f64 v[15:16], v[3:4], v[9:10]
	s_delay_alu instid0(VALU_DEP_2) | instskip(NEXT) | instid1(VALU_DEP_2)
	v_fma_f64 v[9:10], v[3:4], v[7:8], -v[11:12]
	v_fma_f64 v[11:12], v[1:2], v[7:8], v[15:16]
	scratch_store_b128 off, v[9:12], off offset:320
.LBB61_107:
	s_or_b32 exec_lo, exec_lo, s2
	s_waitcnt_vscnt null, 0x0
	s_barrier
	buffer_gl0_inv
	scratch_load_b32 v1, off, off offset:1088 ; 4-byte Folded Reload
	s_mov_b32 s2, exec_lo
	s_waitcnt vmcnt(0)
	scratch_load_b128 v[1:4], v1, off
	s_waitcnt vmcnt(0)
	ds_store_b128 v5, v[1:4]
	s_waitcnt lgkmcnt(0)
	s_barrier
	buffer_gl0_inv
	v_cmpx_gt_u32_e32 21, v174
	s_cbranch_execz .LBB61_111
; %bb.108:
	v_dual_mov_b32 v1, 0 :: v_dual_add_nc_u32 v8, 0x3e0, v13
	v_dual_mov_b32 v2, 0 :: v_dual_add_nc_u32 v7, -1, v174
	v_or_b32_e32 v9, 8, v14
	s_mov_b32 s3, 0
	s_delay_alu instid0(VALU_DEP_2)
	v_dual_mov_b32 v4, v2 :: v_dual_mov_b32 v3, v1
	.p2align	6
.LBB61_109:                             ; =>This Inner Loop Header: Depth=1
	scratch_load_b128 v[15:18], v9, off offset:-8
	ds_load_b128 v[19:22], v8
	v_add_nc_u32_e32 v7, 1, v7
	v_add_nc_u32_e32 v8, 16, v8
	v_add_nc_u32_e32 v9, 16, v9
	s_delay_alu instid0(VALU_DEP_3) | instskip(SKIP_4) | instid1(VALU_DEP_2)
	v_cmp_lt_u32_e32 vcc_lo, 19, v7
	s_or_b32 s3, vcc_lo, s3
	s_waitcnt vmcnt(0) lgkmcnt(0)
	v_mul_f64 v[10:11], v[21:22], v[17:18]
	v_mul_f64 v[17:18], v[19:20], v[17:18]
	v_fma_f64 v[10:11], v[19:20], v[15:16], -v[10:11]
	s_delay_alu instid0(VALU_DEP_2) | instskip(NEXT) | instid1(VALU_DEP_2)
	v_fma_f64 v[15:16], v[21:22], v[15:16], v[17:18]
	v_add_f64 v[3:4], v[3:4], v[10:11]
	s_delay_alu instid0(VALU_DEP_2)
	v_add_f64 v[1:2], v[1:2], v[15:16]
	s_and_not1_b32 exec_lo, exec_lo, s3
	s_cbranch_execnz .LBB61_109
; %bb.110:
	s_or_b32 exec_lo, exec_lo, s3
	v_mov_b32_e32 v7, 0
	ds_load_b128 v[7:10], v7 offset:336
	s_waitcnt lgkmcnt(0)
	v_mul_f64 v[11:12], v[1:2], v[9:10]
	v_mul_f64 v[15:16], v[3:4], v[9:10]
	s_delay_alu instid0(VALU_DEP_2) | instskip(NEXT) | instid1(VALU_DEP_2)
	v_fma_f64 v[9:10], v[3:4], v[7:8], -v[11:12]
	v_fma_f64 v[11:12], v[1:2], v[7:8], v[15:16]
	scratch_store_b128 off, v[9:12], off offset:336
.LBB61_111:
	s_or_b32 exec_lo, exec_lo, s2
	s_waitcnt_vscnt null, 0x0
	s_barrier
	buffer_gl0_inv
	scratch_load_b128 v[1:4], v193, off
	s_mov_b32 s2, exec_lo
	s_waitcnt vmcnt(0)
	ds_store_b128 v5, v[1:4]
	s_waitcnt lgkmcnt(0)
	s_barrier
	buffer_gl0_inv
	v_cmpx_gt_u32_e32 22, v174
	s_cbranch_execz .LBB61_115
; %bb.112:
	v_dual_mov_b32 v1, 0 :: v_dual_add_nc_u32 v8, 0x3e0, v13
	v_dual_mov_b32 v2, 0 :: v_dual_add_nc_u32 v7, -1, v174
	v_or_b32_e32 v9, 8, v14
	s_mov_b32 s3, 0
	s_delay_alu instid0(VALU_DEP_2)
	v_dual_mov_b32 v4, v2 :: v_dual_mov_b32 v3, v1
	.p2align	6
.LBB61_113:                             ; =>This Inner Loop Header: Depth=1
	scratch_load_b128 v[15:18], v9, off offset:-8
	ds_load_b128 v[19:22], v8
	v_add_nc_u32_e32 v7, 1, v7
	v_add_nc_u32_e32 v8, 16, v8
	;; [unrolled: 1-line block ×3, first 2 shown]
	s_delay_alu instid0(VALU_DEP_3) | instskip(SKIP_4) | instid1(VALU_DEP_2)
	v_cmp_lt_u32_e32 vcc_lo, 20, v7
	s_or_b32 s3, vcc_lo, s3
	s_waitcnt vmcnt(0) lgkmcnt(0)
	v_mul_f64 v[10:11], v[21:22], v[17:18]
	v_mul_f64 v[17:18], v[19:20], v[17:18]
	v_fma_f64 v[10:11], v[19:20], v[15:16], -v[10:11]
	s_delay_alu instid0(VALU_DEP_2) | instskip(NEXT) | instid1(VALU_DEP_2)
	v_fma_f64 v[15:16], v[21:22], v[15:16], v[17:18]
	v_add_f64 v[3:4], v[3:4], v[10:11]
	s_delay_alu instid0(VALU_DEP_2)
	v_add_f64 v[1:2], v[1:2], v[15:16]
	s_and_not1_b32 exec_lo, exec_lo, s3
	s_cbranch_execnz .LBB61_113
; %bb.114:
	s_or_b32 exec_lo, exec_lo, s3
	v_mov_b32_e32 v7, 0
	ds_load_b128 v[7:10], v7 offset:352
	s_waitcnt lgkmcnt(0)
	v_mul_f64 v[11:12], v[1:2], v[9:10]
	v_mul_f64 v[15:16], v[3:4], v[9:10]
	s_delay_alu instid0(VALU_DEP_2) | instskip(NEXT) | instid1(VALU_DEP_2)
	v_fma_f64 v[9:10], v[3:4], v[7:8], -v[11:12]
	v_fma_f64 v[11:12], v[1:2], v[7:8], v[15:16]
	scratch_store_b128 off, v[9:12], off offset:352
.LBB61_115:
	s_or_b32 exec_lo, exec_lo, s2
	s_waitcnt_vscnt null, 0x0
	s_barrier
	buffer_gl0_inv
	scratch_load_b128 v[1:4], v214, off
	s_mov_b32 s2, exec_lo
	s_waitcnt vmcnt(0)
	ds_store_b128 v5, v[1:4]
	s_waitcnt lgkmcnt(0)
	s_barrier
	buffer_gl0_inv
	v_cmpx_gt_u32_e32 23, v174
	s_cbranch_execz .LBB61_119
; %bb.116:
	v_dual_mov_b32 v1, 0 :: v_dual_add_nc_u32 v8, 0x3e0, v13
	v_dual_mov_b32 v2, 0 :: v_dual_add_nc_u32 v7, -1, v174
	v_or_b32_e32 v9, 8, v14
	s_mov_b32 s3, 0
	s_delay_alu instid0(VALU_DEP_2)
	v_dual_mov_b32 v4, v2 :: v_dual_mov_b32 v3, v1
	.p2align	6
.LBB61_117:                             ; =>This Inner Loop Header: Depth=1
	scratch_load_b128 v[15:18], v9, off offset:-8
	ds_load_b128 v[19:22], v8
	v_add_nc_u32_e32 v7, 1, v7
	v_add_nc_u32_e32 v8, 16, v8
	;; [unrolled: 1-line block ×3, first 2 shown]
	s_delay_alu instid0(VALU_DEP_3) | instskip(SKIP_4) | instid1(VALU_DEP_2)
	v_cmp_lt_u32_e32 vcc_lo, 21, v7
	s_or_b32 s3, vcc_lo, s3
	s_waitcnt vmcnt(0) lgkmcnt(0)
	v_mul_f64 v[10:11], v[21:22], v[17:18]
	v_mul_f64 v[17:18], v[19:20], v[17:18]
	v_fma_f64 v[10:11], v[19:20], v[15:16], -v[10:11]
	s_delay_alu instid0(VALU_DEP_2) | instskip(NEXT) | instid1(VALU_DEP_2)
	v_fma_f64 v[15:16], v[21:22], v[15:16], v[17:18]
	v_add_f64 v[3:4], v[3:4], v[10:11]
	s_delay_alu instid0(VALU_DEP_2)
	v_add_f64 v[1:2], v[1:2], v[15:16]
	s_and_not1_b32 exec_lo, exec_lo, s3
	s_cbranch_execnz .LBB61_117
; %bb.118:
	s_or_b32 exec_lo, exec_lo, s3
	v_mov_b32_e32 v7, 0
	ds_load_b128 v[7:10], v7 offset:368
	s_waitcnt lgkmcnt(0)
	v_mul_f64 v[11:12], v[1:2], v[9:10]
	v_mul_f64 v[15:16], v[3:4], v[9:10]
	s_delay_alu instid0(VALU_DEP_2) | instskip(NEXT) | instid1(VALU_DEP_2)
	v_fma_f64 v[9:10], v[3:4], v[7:8], -v[11:12]
	v_fma_f64 v[11:12], v[1:2], v[7:8], v[15:16]
	scratch_store_b128 off, v[9:12], off offset:368
.LBB61_119:
	s_or_b32 exec_lo, exec_lo, s2
	s_waitcnt_vscnt null, 0x0
	s_barrier
	buffer_gl0_inv
	scratch_load_b128 v[1:4], v219, off
	s_mov_b32 s2, exec_lo
	s_waitcnt vmcnt(0)
	ds_store_b128 v5, v[1:4]
	s_waitcnt lgkmcnt(0)
	s_barrier
	buffer_gl0_inv
	v_cmpx_gt_u32_e32 24, v174
	s_cbranch_execz .LBB61_123
; %bb.120:
	v_dual_mov_b32 v1, 0 :: v_dual_add_nc_u32 v8, 0x3e0, v13
	v_dual_mov_b32 v2, 0 :: v_dual_add_nc_u32 v7, -1, v174
	v_or_b32_e32 v9, 8, v14
	s_mov_b32 s3, 0
	s_delay_alu instid0(VALU_DEP_2)
	v_dual_mov_b32 v4, v2 :: v_dual_mov_b32 v3, v1
	.p2align	6
.LBB61_121:                             ; =>This Inner Loop Header: Depth=1
	scratch_load_b128 v[15:18], v9, off offset:-8
	ds_load_b128 v[19:22], v8
	v_add_nc_u32_e32 v7, 1, v7
	v_add_nc_u32_e32 v8, 16, v8
	;; [unrolled: 1-line block ×3, first 2 shown]
	s_delay_alu instid0(VALU_DEP_3) | instskip(SKIP_4) | instid1(VALU_DEP_2)
	v_cmp_lt_u32_e32 vcc_lo, 22, v7
	s_or_b32 s3, vcc_lo, s3
	s_waitcnt vmcnt(0) lgkmcnt(0)
	v_mul_f64 v[10:11], v[21:22], v[17:18]
	v_mul_f64 v[17:18], v[19:20], v[17:18]
	v_fma_f64 v[10:11], v[19:20], v[15:16], -v[10:11]
	s_delay_alu instid0(VALU_DEP_2) | instskip(NEXT) | instid1(VALU_DEP_2)
	v_fma_f64 v[15:16], v[21:22], v[15:16], v[17:18]
	v_add_f64 v[3:4], v[3:4], v[10:11]
	s_delay_alu instid0(VALU_DEP_2)
	v_add_f64 v[1:2], v[1:2], v[15:16]
	s_and_not1_b32 exec_lo, exec_lo, s3
	s_cbranch_execnz .LBB61_121
; %bb.122:
	s_or_b32 exec_lo, exec_lo, s3
	v_mov_b32_e32 v7, 0
	ds_load_b128 v[7:10], v7 offset:384
	s_waitcnt lgkmcnt(0)
	v_mul_f64 v[11:12], v[1:2], v[9:10]
	v_mul_f64 v[15:16], v[3:4], v[9:10]
	s_delay_alu instid0(VALU_DEP_2) | instskip(NEXT) | instid1(VALU_DEP_2)
	v_fma_f64 v[9:10], v[3:4], v[7:8], -v[11:12]
	v_fma_f64 v[11:12], v[1:2], v[7:8], v[15:16]
	scratch_store_b128 off, v[9:12], off offset:384
.LBB61_123:
	s_or_b32 exec_lo, exec_lo, s2
	s_waitcnt_vscnt null, 0x0
	s_barrier
	buffer_gl0_inv
	scratch_load_b32 v1, off, off offset:1200 ; 4-byte Folded Reload
	s_mov_b32 s2, exec_lo
	s_waitcnt vmcnt(0)
	scratch_load_b128 v[1:4], v1, off
	s_waitcnt vmcnt(0)
	ds_store_b128 v5, v[1:4]
	s_waitcnt lgkmcnt(0)
	s_barrier
	buffer_gl0_inv
	v_cmpx_gt_u32_e32 25, v174
	s_cbranch_execz .LBB61_127
; %bb.124:
	v_dual_mov_b32 v1, 0 :: v_dual_add_nc_u32 v8, 0x3e0, v13
	v_dual_mov_b32 v2, 0 :: v_dual_add_nc_u32 v7, -1, v174
	v_or_b32_e32 v9, 8, v14
	s_mov_b32 s3, 0
	s_delay_alu instid0(VALU_DEP_2)
	v_dual_mov_b32 v4, v2 :: v_dual_mov_b32 v3, v1
	.p2align	6
.LBB61_125:                             ; =>This Inner Loop Header: Depth=1
	scratch_load_b128 v[15:18], v9, off offset:-8
	ds_load_b128 v[19:22], v8
	v_add_nc_u32_e32 v7, 1, v7
	v_add_nc_u32_e32 v8, 16, v8
	;; [unrolled: 1-line block ×3, first 2 shown]
	s_delay_alu instid0(VALU_DEP_3) | instskip(SKIP_4) | instid1(VALU_DEP_2)
	v_cmp_lt_u32_e32 vcc_lo, 23, v7
	s_or_b32 s3, vcc_lo, s3
	s_waitcnt vmcnt(0) lgkmcnt(0)
	v_mul_f64 v[10:11], v[21:22], v[17:18]
	v_mul_f64 v[17:18], v[19:20], v[17:18]
	v_fma_f64 v[10:11], v[19:20], v[15:16], -v[10:11]
	s_delay_alu instid0(VALU_DEP_2) | instskip(NEXT) | instid1(VALU_DEP_2)
	v_fma_f64 v[15:16], v[21:22], v[15:16], v[17:18]
	v_add_f64 v[3:4], v[3:4], v[10:11]
	s_delay_alu instid0(VALU_DEP_2)
	v_add_f64 v[1:2], v[1:2], v[15:16]
	s_and_not1_b32 exec_lo, exec_lo, s3
	s_cbranch_execnz .LBB61_125
; %bb.126:
	s_or_b32 exec_lo, exec_lo, s3
	v_mov_b32_e32 v7, 0
	ds_load_b128 v[7:10], v7 offset:400
	s_waitcnt lgkmcnt(0)
	v_mul_f64 v[11:12], v[1:2], v[9:10]
	v_mul_f64 v[15:16], v[3:4], v[9:10]
	s_delay_alu instid0(VALU_DEP_2) | instskip(NEXT) | instid1(VALU_DEP_2)
	v_fma_f64 v[9:10], v[3:4], v[7:8], -v[11:12]
	v_fma_f64 v[11:12], v[1:2], v[7:8], v[15:16]
	scratch_store_b128 off, v[9:12], off offset:400
.LBB61_127:
	s_or_b32 exec_lo, exec_lo, s2
	s_waitcnt_vscnt null, 0x0
	s_barrier
	buffer_gl0_inv
	scratch_load_b32 v1, off, off offset:1196 ; 4-byte Folded Reload
	s_mov_b32 s2, exec_lo
	s_waitcnt vmcnt(0)
	scratch_load_b128 v[1:4], v1, off
	s_waitcnt vmcnt(0)
	ds_store_b128 v5, v[1:4]
	s_waitcnt lgkmcnt(0)
	s_barrier
	buffer_gl0_inv
	v_cmpx_gt_u32_e32 26, v174
	s_cbranch_execz .LBB61_131
; %bb.128:
	v_dual_mov_b32 v1, 0 :: v_dual_add_nc_u32 v8, 0x3e0, v13
	v_dual_mov_b32 v2, 0 :: v_dual_add_nc_u32 v7, -1, v174
	v_or_b32_e32 v9, 8, v14
	s_mov_b32 s3, 0
	s_delay_alu instid0(VALU_DEP_2)
	v_dual_mov_b32 v4, v2 :: v_dual_mov_b32 v3, v1
	.p2align	6
.LBB61_129:                             ; =>This Inner Loop Header: Depth=1
	scratch_load_b128 v[15:18], v9, off offset:-8
	ds_load_b128 v[19:22], v8
	v_add_nc_u32_e32 v7, 1, v7
	v_add_nc_u32_e32 v8, 16, v8
	;; [unrolled: 1-line block ×3, first 2 shown]
	s_delay_alu instid0(VALU_DEP_3) | instskip(SKIP_4) | instid1(VALU_DEP_2)
	v_cmp_lt_u32_e32 vcc_lo, 24, v7
	s_or_b32 s3, vcc_lo, s3
	s_waitcnt vmcnt(0) lgkmcnt(0)
	v_mul_f64 v[10:11], v[21:22], v[17:18]
	v_mul_f64 v[17:18], v[19:20], v[17:18]
	v_fma_f64 v[10:11], v[19:20], v[15:16], -v[10:11]
	s_delay_alu instid0(VALU_DEP_2) | instskip(NEXT) | instid1(VALU_DEP_2)
	v_fma_f64 v[15:16], v[21:22], v[15:16], v[17:18]
	v_add_f64 v[3:4], v[3:4], v[10:11]
	s_delay_alu instid0(VALU_DEP_2)
	v_add_f64 v[1:2], v[1:2], v[15:16]
	s_and_not1_b32 exec_lo, exec_lo, s3
	s_cbranch_execnz .LBB61_129
; %bb.130:
	s_or_b32 exec_lo, exec_lo, s3
	v_mov_b32_e32 v7, 0
	ds_load_b128 v[7:10], v7 offset:416
	s_waitcnt lgkmcnt(0)
	v_mul_f64 v[11:12], v[1:2], v[9:10]
	v_mul_f64 v[15:16], v[3:4], v[9:10]
	s_delay_alu instid0(VALU_DEP_2) | instskip(NEXT) | instid1(VALU_DEP_2)
	v_fma_f64 v[9:10], v[3:4], v[7:8], -v[11:12]
	v_fma_f64 v[11:12], v[1:2], v[7:8], v[15:16]
	scratch_store_b128 off, v[9:12], off offset:416
.LBB61_131:
	s_or_b32 exec_lo, exec_lo, s2
	s_waitcnt_vscnt null, 0x0
	s_barrier
	buffer_gl0_inv
	scratch_load_b32 v1, off, off offset:1192 ; 4-byte Folded Reload
	s_mov_b32 s2, exec_lo
	s_waitcnt vmcnt(0)
	scratch_load_b128 v[1:4], v1, off
	s_waitcnt vmcnt(0)
	ds_store_b128 v5, v[1:4]
	s_waitcnt lgkmcnt(0)
	s_barrier
	buffer_gl0_inv
	v_cmpx_gt_u32_e32 27, v174
	s_cbranch_execz .LBB61_135
; %bb.132:
	v_dual_mov_b32 v1, 0 :: v_dual_add_nc_u32 v8, 0x3e0, v13
	v_dual_mov_b32 v2, 0 :: v_dual_add_nc_u32 v7, -1, v174
	v_or_b32_e32 v9, 8, v14
	s_mov_b32 s3, 0
	s_delay_alu instid0(VALU_DEP_2)
	v_dual_mov_b32 v4, v2 :: v_dual_mov_b32 v3, v1
	.p2align	6
.LBB61_133:                             ; =>This Inner Loop Header: Depth=1
	scratch_load_b128 v[15:18], v9, off offset:-8
	ds_load_b128 v[19:22], v8
	v_add_nc_u32_e32 v7, 1, v7
	v_add_nc_u32_e32 v8, 16, v8
	v_add_nc_u32_e32 v9, 16, v9
	s_delay_alu instid0(VALU_DEP_3) | instskip(SKIP_4) | instid1(VALU_DEP_2)
	v_cmp_lt_u32_e32 vcc_lo, 25, v7
	s_or_b32 s3, vcc_lo, s3
	s_waitcnt vmcnt(0) lgkmcnt(0)
	v_mul_f64 v[10:11], v[21:22], v[17:18]
	v_mul_f64 v[17:18], v[19:20], v[17:18]
	v_fma_f64 v[10:11], v[19:20], v[15:16], -v[10:11]
	s_delay_alu instid0(VALU_DEP_2) | instskip(NEXT) | instid1(VALU_DEP_2)
	v_fma_f64 v[15:16], v[21:22], v[15:16], v[17:18]
	v_add_f64 v[3:4], v[3:4], v[10:11]
	s_delay_alu instid0(VALU_DEP_2)
	v_add_f64 v[1:2], v[1:2], v[15:16]
	s_and_not1_b32 exec_lo, exec_lo, s3
	s_cbranch_execnz .LBB61_133
; %bb.134:
	s_or_b32 exec_lo, exec_lo, s3
	v_mov_b32_e32 v7, 0
	ds_load_b128 v[7:10], v7 offset:432
	s_waitcnt lgkmcnt(0)
	v_mul_f64 v[11:12], v[1:2], v[9:10]
	v_mul_f64 v[15:16], v[3:4], v[9:10]
	s_delay_alu instid0(VALU_DEP_2) | instskip(NEXT) | instid1(VALU_DEP_2)
	v_fma_f64 v[9:10], v[3:4], v[7:8], -v[11:12]
	v_fma_f64 v[11:12], v[1:2], v[7:8], v[15:16]
	scratch_store_b128 off, v[9:12], off offset:432
.LBB61_135:
	s_or_b32 exec_lo, exec_lo, s2
	s_waitcnt_vscnt null, 0x0
	s_barrier
	buffer_gl0_inv
	scratch_load_b32 v1, off, off offset:1188 ; 4-byte Folded Reload
	s_mov_b32 s2, exec_lo
	s_waitcnt vmcnt(0)
	scratch_load_b128 v[1:4], v1, off
	s_waitcnt vmcnt(0)
	ds_store_b128 v5, v[1:4]
	s_waitcnt lgkmcnt(0)
	s_barrier
	buffer_gl0_inv
	v_cmpx_gt_u32_e32 28, v174
	s_cbranch_execz .LBB61_139
; %bb.136:
	v_dual_mov_b32 v1, 0 :: v_dual_add_nc_u32 v8, 0x3e0, v13
	v_dual_mov_b32 v2, 0 :: v_dual_add_nc_u32 v7, -1, v174
	v_or_b32_e32 v9, 8, v14
	s_mov_b32 s3, 0
	s_delay_alu instid0(VALU_DEP_2)
	v_dual_mov_b32 v4, v2 :: v_dual_mov_b32 v3, v1
	.p2align	6
.LBB61_137:                             ; =>This Inner Loop Header: Depth=1
	scratch_load_b128 v[15:18], v9, off offset:-8
	ds_load_b128 v[19:22], v8
	v_add_nc_u32_e32 v7, 1, v7
	v_add_nc_u32_e32 v8, 16, v8
	;; [unrolled: 1-line block ×3, first 2 shown]
	s_delay_alu instid0(VALU_DEP_3) | instskip(SKIP_4) | instid1(VALU_DEP_2)
	v_cmp_lt_u32_e32 vcc_lo, 26, v7
	s_or_b32 s3, vcc_lo, s3
	s_waitcnt vmcnt(0) lgkmcnt(0)
	v_mul_f64 v[10:11], v[21:22], v[17:18]
	v_mul_f64 v[17:18], v[19:20], v[17:18]
	v_fma_f64 v[10:11], v[19:20], v[15:16], -v[10:11]
	s_delay_alu instid0(VALU_DEP_2) | instskip(NEXT) | instid1(VALU_DEP_2)
	v_fma_f64 v[15:16], v[21:22], v[15:16], v[17:18]
	v_add_f64 v[3:4], v[3:4], v[10:11]
	s_delay_alu instid0(VALU_DEP_2)
	v_add_f64 v[1:2], v[1:2], v[15:16]
	s_and_not1_b32 exec_lo, exec_lo, s3
	s_cbranch_execnz .LBB61_137
; %bb.138:
	s_or_b32 exec_lo, exec_lo, s3
	v_mov_b32_e32 v7, 0
	ds_load_b128 v[7:10], v7 offset:448
	s_waitcnt lgkmcnt(0)
	v_mul_f64 v[11:12], v[1:2], v[9:10]
	v_mul_f64 v[15:16], v[3:4], v[9:10]
	s_delay_alu instid0(VALU_DEP_2) | instskip(NEXT) | instid1(VALU_DEP_2)
	v_fma_f64 v[9:10], v[3:4], v[7:8], -v[11:12]
	v_fma_f64 v[11:12], v[1:2], v[7:8], v[15:16]
	scratch_store_b128 off, v[9:12], off offset:448
.LBB61_139:
	s_or_b32 exec_lo, exec_lo, s2
	s_waitcnt_vscnt null, 0x0
	s_barrier
	buffer_gl0_inv
	scratch_load_b32 v1, off, off offset:1180 ; 4-byte Folded Reload
	s_mov_b32 s2, exec_lo
	s_waitcnt vmcnt(0)
	scratch_load_b128 v[1:4], v1, off
	s_waitcnt vmcnt(0)
	ds_store_b128 v5, v[1:4]
	s_waitcnt lgkmcnt(0)
	s_barrier
	buffer_gl0_inv
	v_cmpx_gt_u32_e32 29, v174
	s_cbranch_execz .LBB61_143
; %bb.140:
	v_dual_mov_b32 v1, 0 :: v_dual_add_nc_u32 v8, 0x3e0, v13
	v_dual_mov_b32 v2, 0 :: v_dual_add_nc_u32 v7, -1, v174
	v_or_b32_e32 v9, 8, v14
	s_mov_b32 s3, 0
	s_delay_alu instid0(VALU_DEP_2)
	v_dual_mov_b32 v4, v2 :: v_dual_mov_b32 v3, v1
	.p2align	6
.LBB61_141:                             ; =>This Inner Loop Header: Depth=1
	scratch_load_b128 v[15:18], v9, off offset:-8
	ds_load_b128 v[19:22], v8
	v_add_nc_u32_e32 v7, 1, v7
	v_add_nc_u32_e32 v8, 16, v8
	;; [unrolled: 1-line block ×3, first 2 shown]
	s_delay_alu instid0(VALU_DEP_3) | instskip(SKIP_4) | instid1(VALU_DEP_2)
	v_cmp_lt_u32_e32 vcc_lo, 27, v7
	s_or_b32 s3, vcc_lo, s3
	s_waitcnt vmcnt(0) lgkmcnt(0)
	v_mul_f64 v[10:11], v[21:22], v[17:18]
	v_mul_f64 v[17:18], v[19:20], v[17:18]
	v_fma_f64 v[10:11], v[19:20], v[15:16], -v[10:11]
	s_delay_alu instid0(VALU_DEP_2) | instskip(NEXT) | instid1(VALU_DEP_2)
	v_fma_f64 v[15:16], v[21:22], v[15:16], v[17:18]
	v_add_f64 v[3:4], v[3:4], v[10:11]
	s_delay_alu instid0(VALU_DEP_2)
	v_add_f64 v[1:2], v[1:2], v[15:16]
	s_and_not1_b32 exec_lo, exec_lo, s3
	s_cbranch_execnz .LBB61_141
; %bb.142:
	s_or_b32 exec_lo, exec_lo, s3
	v_mov_b32_e32 v7, 0
	ds_load_b128 v[7:10], v7 offset:464
	s_waitcnt lgkmcnt(0)
	v_mul_f64 v[11:12], v[1:2], v[9:10]
	v_mul_f64 v[15:16], v[3:4], v[9:10]
	s_delay_alu instid0(VALU_DEP_2) | instskip(NEXT) | instid1(VALU_DEP_2)
	v_fma_f64 v[9:10], v[3:4], v[7:8], -v[11:12]
	v_fma_f64 v[11:12], v[1:2], v[7:8], v[15:16]
	scratch_store_b128 off, v[9:12], off offset:464
.LBB61_143:
	s_or_b32 exec_lo, exec_lo, s2
	s_waitcnt_vscnt null, 0x0
	s_barrier
	buffer_gl0_inv
	scratch_load_b32 v1, off, off offset:1164 ; 4-byte Folded Reload
	s_mov_b32 s2, exec_lo
	s_waitcnt vmcnt(0)
	scratch_load_b128 v[1:4], v1, off
	s_waitcnt vmcnt(0)
	ds_store_b128 v5, v[1:4]
	s_waitcnt lgkmcnt(0)
	s_barrier
	buffer_gl0_inv
	v_cmpx_gt_u32_e32 30, v174
	s_cbranch_execz .LBB61_147
; %bb.144:
	v_dual_mov_b32 v1, 0 :: v_dual_add_nc_u32 v8, 0x3e0, v13
	v_dual_mov_b32 v2, 0 :: v_dual_add_nc_u32 v7, -1, v174
	v_or_b32_e32 v9, 8, v14
	s_mov_b32 s3, 0
	s_delay_alu instid0(VALU_DEP_2)
	v_dual_mov_b32 v4, v2 :: v_dual_mov_b32 v3, v1
	.p2align	6
.LBB61_145:                             ; =>This Inner Loop Header: Depth=1
	scratch_load_b128 v[15:18], v9, off offset:-8
	ds_load_b128 v[19:22], v8
	v_add_nc_u32_e32 v7, 1, v7
	v_add_nc_u32_e32 v8, 16, v8
	;; [unrolled: 1-line block ×3, first 2 shown]
	s_delay_alu instid0(VALU_DEP_3) | instskip(SKIP_4) | instid1(VALU_DEP_2)
	v_cmp_lt_u32_e32 vcc_lo, 28, v7
	s_or_b32 s3, vcc_lo, s3
	s_waitcnt vmcnt(0) lgkmcnt(0)
	v_mul_f64 v[10:11], v[21:22], v[17:18]
	v_mul_f64 v[17:18], v[19:20], v[17:18]
	v_fma_f64 v[10:11], v[19:20], v[15:16], -v[10:11]
	s_delay_alu instid0(VALU_DEP_2) | instskip(NEXT) | instid1(VALU_DEP_2)
	v_fma_f64 v[15:16], v[21:22], v[15:16], v[17:18]
	v_add_f64 v[3:4], v[3:4], v[10:11]
	s_delay_alu instid0(VALU_DEP_2)
	v_add_f64 v[1:2], v[1:2], v[15:16]
	s_and_not1_b32 exec_lo, exec_lo, s3
	s_cbranch_execnz .LBB61_145
; %bb.146:
	s_or_b32 exec_lo, exec_lo, s3
	v_mov_b32_e32 v7, 0
	ds_load_b128 v[7:10], v7 offset:480
	s_waitcnt lgkmcnt(0)
	v_mul_f64 v[11:12], v[1:2], v[9:10]
	v_mul_f64 v[15:16], v[3:4], v[9:10]
	s_delay_alu instid0(VALU_DEP_2) | instskip(NEXT) | instid1(VALU_DEP_2)
	v_fma_f64 v[9:10], v[3:4], v[7:8], -v[11:12]
	v_fma_f64 v[11:12], v[1:2], v[7:8], v[15:16]
	scratch_store_b128 off, v[9:12], off offset:480
.LBB61_147:
	s_or_b32 exec_lo, exec_lo, s2
	s_waitcnt_vscnt null, 0x0
	s_barrier
	buffer_gl0_inv
	scratch_load_b32 v1, off, off offset:1156 ; 4-byte Folded Reload
	s_mov_b32 s2, exec_lo
	s_waitcnt vmcnt(0)
	scratch_load_b128 v[1:4], v1, off
	s_waitcnt vmcnt(0)
	ds_store_b128 v5, v[1:4]
	s_waitcnt lgkmcnt(0)
	s_barrier
	buffer_gl0_inv
	v_cmpx_gt_u32_e32 31, v174
	s_cbranch_execz .LBB61_151
; %bb.148:
	v_dual_mov_b32 v1, 0 :: v_dual_add_nc_u32 v8, 0x3e0, v13
	v_dual_mov_b32 v2, 0 :: v_dual_add_nc_u32 v7, -1, v174
	v_or_b32_e32 v9, 8, v14
	s_mov_b32 s3, 0
	s_delay_alu instid0(VALU_DEP_2)
	v_dual_mov_b32 v4, v2 :: v_dual_mov_b32 v3, v1
	.p2align	6
.LBB61_149:                             ; =>This Inner Loop Header: Depth=1
	scratch_load_b128 v[15:18], v9, off offset:-8
	ds_load_b128 v[19:22], v8
	v_add_nc_u32_e32 v7, 1, v7
	v_add_nc_u32_e32 v8, 16, v8
	;; [unrolled: 1-line block ×3, first 2 shown]
	s_delay_alu instid0(VALU_DEP_3) | instskip(SKIP_4) | instid1(VALU_DEP_2)
	v_cmp_lt_u32_e32 vcc_lo, 29, v7
	s_or_b32 s3, vcc_lo, s3
	s_waitcnt vmcnt(0) lgkmcnt(0)
	v_mul_f64 v[10:11], v[21:22], v[17:18]
	v_mul_f64 v[17:18], v[19:20], v[17:18]
	v_fma_f64 v[10:11], v[19:20], v[15:16], -v[10:11]
	s_delay_alu instid0(VALU_DEP_2) | instskip(NEXT) | instid1(VALU_DEP_2)
	v_fma_f64 v[15:16], v[21:22], v[15:16], v[17:18]
	v_add_f64 v[3:4], v[3:4], v[10:11]
	s_delay_alu instid0(VALU_DEP_2)
	v_add_f64 v[1:2], v[1:2], v[15:16]
	s_and_not1_b32 exec_lo, exec_lo, s3
	s_cbranch_execnz .LBB61_149
; %bb.150:
	s_or_b32 exec_lo, exec_lo, s3
	v_mov_b32_e32 v7, 0
	ds_load_b128 v[7:10], v7 offset:496
	s_waitcnt lgkmcnt(0)
	v_mul_f64 v[11:12], v[1:2], v[9:10]
	v_mul_f64 v[15:16], v[3:4], v[9:10]
	s_delay_alu instid0(VALU_DEP_2) | instskip(NEXT) | instid1(VALU_DEP_2)
	v_fma_f64 v[9:10], v[3:4], v[7:8], -v[11:12]
	v_fma_f64 v[11:12], v[1:2], v[7:8], v[15:16]
	scratch_store_b128 off, v[9:12], off offset:496
.LBB61_151:
	s_or_b32 exec_lo, exec_lo, s2
	s_waitcnt_vscnt null, 0x0
	s_barrier
	buffer_gl0_inv
	scratch_load_b32 v1, off, off offset:1140 ; 4-byte Folded Reload
	s_mov_b32 s2, exec_lo
	s_waitcnt vmcnt(0)
	scratch_load_b128 v[1:4], v1, off
	s_waitcnt vmcnt(0)
	ds_store_b128 v5, v[1:4]
	s_waitcnt lgkmcnt(0)
	s_barrier
	buffer_gl0_inv
	v_cmpx_gt_u32_e32 32, v174
	s_cbranch_execz .LBB61_155
; %bb.152:
	v_dual_mov_b32 v1, 0 :: v_dual_add_nc_u32 v8, 0x3e0, v13
	v_dual_mov_b32 v2, 0 :: v_dual_add_nc_u32 v7, -1, v174
	v_or_b32_e32 v9, 8, v14
	s_mov_b32 s3, 0
	s_delay_alu instid0(VALU_DEP_2)
	v_dual_mov_b32 v4, v2 :: v_dual_mov_b32 v3, v1
	.p2align	6
.LBB61_153:                             ; =>This Inner Loop Header: Depth=1
	scratch_load_b128 v[15:18], v9, off offset:-8
	ds_load_b128 v[19:22], v8
	v_add_nc_u32_e32 v7, 1, v7
	v_add_nc_u32_e32 v8, 16, v8
	v_add_nc_u32_e32 v9, 16, v9
	s_delay_alu instid0(VALU_DEP_3) | instskip(SKIP_4) | instid1(VALU_DEP_2)
	v_cmp_lt_u32_e32 vcc_lo, 30, v7
	s_or_b32 s3, vcc_lo, s3
	s_waitcnt vmcnt(0) lgkmcnt(0)
	v_mul_f64 v[10:11], v[21:22], v[17:18]
	v_mul_f64 v[17:18], v[19:20], v[17:18]
	v_fma_f64 v[10:11], v[19:20], v[15:16], -v[10:11]
	s_delay_alu instid0(VALU_DEP_2) | instskip(NEXT) | instid1(VALU_DEP_2)
	v_fma_f64 v[15:16], v[21:22], v[15:16], v[17:18]
	v_add_f64 v[3:4], v[3:4], v[10:11]
	s_delay_alu instid0(VALU_DEP_2)
	v_add_f64 v[1:2], v[1:2], v[15:16]
	s_and_not1_b32 exec_lo, exec_lo, s3
	s_cbranch_execnz .LBB61_153
; %bb.154:
	s_or_b32 exec_lo, exec_lo, s3
	v_mov_b32_e32 v7, 0
	ds_load_b128 v[7:10], v7 offset:512
	s_waitcnt lgkmcnt(0)
	v_mul_f64 v[11:12], v[1:2], v[9:10]
	v_mul_f64 v[15:16], v[3:4], v[9:10]
	s_delay_alu instid0(VALU_DEP_2) | instskip(NEXT) | instid1(VALU_DEP_2)
	v_fma_f64 v[9:10], v[3:4], v[7:8], -v[11:12]
	v_fma_f64 v[11:12], v[1:2], v[7:8], v[15:16]
	scratch_store_b128 off, v[9:12], off offset:512
.LBB61_155:
	s_or_b32 exec_lo, exec_lo, s2
	s_waitcnt_vscnt null, 0x0
	s_barrier
	buffer_gl0_inv
	scratch_load_b32 v1, off, off offset:1132 ; 4-byte Folded Reload
	s_mov_b32 s2, exec_lo
	s_waitcnt vmcnt(0)
	scratch_load_b128 v[1:4], v1, off
	s_waitcnt vmcnt(0)
	ds_store_b128 v5, v[1:4]
	s_waitcnt lgkmcnt(0)
	s_barrier
	buffer_gl0_inv
	v_cmpx_gt_u32_e32 33, v174
	s_cbranch_execz .LBB61_159
; %bb.156:
	v_dual_mov_b32 v1, 0 :: v_dual_add_nc_u32 v8, 0x3e0, v13
	v_dual_mov_b32 v2, 0 :: v_dual_add_nc_u32 v7, -1, v174
	v_or_b32_e32 v9, 8, v14
	s_mov_b32 s3, 0
	s_delay_alu instid0(VALU_DEP_2)
	v_dual_mov_b32 v4, v2 :: v_dual_mov_b32 v3, v1
	.p2align	6
.LBB61_157:                             ; =>This Inner Loop Header: Depth=1
	scratch_load_b128 v[15:18], v9, off offset:-8
	ds_load_b128 v[19:22], v8
	v_add_nc_u32_e32 v7, 1, v7
	v_add_nc_u32_e32 v8, 16, v8
	;; [unrolled: 1-line block ×3, first 2 shown]
	s_delay_alu instid0(VALU_DEP_3) | instskip(SKIP_4) | instid1(VALU_DEP_2)
	v_cmp_lt_u32_e32 vcc_lo, 31, v7
	s_or_b32 s3, vcc_lo, s3
	s_waitcnt vmcnt(0) lgkmcnt(0)
	v_mul_f64 v[10:11], v[21:22], v[17:18]
	v_mul_f64 v[17:18], v[19:20], v[17:18]
	v_fma_f64 v[10:11], v[19:20], v[15:16], -v[10:11]
	s_delay_alu instid0(VALU_DEP_2) | instskip(NEXT) | instid1(VALU_DEP_2)
	v_fma_f64 v[15:16], v[21:22], v[15:16], v[17:18]
	v_add_f64 v[3:4], v[3:4], v[10:11]
	s_delay_alu instid0(VALU_DEP_2)
	v_add_f64 v[1:2], v[1:2], v[15:16]
	s_and_not1_b32 exec_lo, exec_lo, s3
	s_cbranch_execnz .LBB61_157
; %bb.158:
	s_or_b32 exec_lo, exec_lo, s3
	v_mov_b32_e32 v7, 0
	ds_load_b128 v[7:10], v7 offset:528
	s_waitcnt lgkmcnt(0)
	v_mul_f64 v[11:12], v[1:2], v[9:10]
	v_mul_f64 v[15:16], v[3:4], v[9:10]
	s_delay_alu instid0(VALU_DEP_2) | instskip(NEXT) | instid1(VALU_DEP_2)
	v_fma_f64 v[9:10], v[3:4], v[7:8], -v[11:12]
	v_fma_f64 v[11:12], v[1:2], v[7:8], v[15:16]
	scratch_store_b128 off, v[9:12], off offset:528
.LBB61_159:
	s_or_b32 exec_lo, exec_lo, s2
	s_waitcnt_vscnt null, 0x0
	s_barrier
	buffer_gl0_inv
	scratch_load_b32 v1, off, off offset:1116 ; 4-byte Folded Reload
	s_mov_b32 s2, exec_lo
	s_waitcnt vmcnt(0)
	scratch_load_b128 v[1:4], v1, off
	s_waitcnt vmcnt(0)
	ds_store_b128 v5, v[1:4]
	s_waitcnt lgkmcnt(0)
	s_barrier
	buffer_gl0_inv
	v_cmpx_gt_u32_e32 34, v174
	s_cbranch_execz .LBB61_163
; %bb.160:
	v_dual_mov_b32 v1, 0 :: v_dual_add_nc_u32 v8, 0x3e0, v13
	v_dual_mov_b32 v2, 0 :: v_dual_add_nc_u32 v7, -1, v174
	v_or_b32_e32 v9, 8, v14
	s_mov_b32 s3, 0
	s_delay_alu instid0(VALU_DEP_2)
	v_dual_mov_b32 v4, v2 :: v_dual_mov_b32 v3, v1
	.p2align	6
.LBB61_161:                             ; =>This Inner Loop Header: Depth=1
	scratch_load_b128 v[15:18], v9, off offset:-8
	ds_load_b128 v[19:22], v8
	v_add_nc_u32_e32 v7, 1, v7
	v_add_nc_u32_e32 v8, 16, v8
	;; [unrolled: 1-line block ×3, first 2 shown]
	s_delay_alu instid0(VALU_DEP_3) | instskip(SKIP_4) | instid1(VALU_DEP_2)
	v_cmp_lt_u32_e32 vcc_lo, 32, v7
	s_or_b32 s3, vcc_lo, s3
	s_waitcnt vmcnt(0) lgkmcnt(0)
	v_mul_f64 v[10:11], v[21:22], v[17:18]
	v_mul_f64 v[17:18], v[19:20], v[17:18]
	v_fma_f64 v[10:11], v[19:20], v[15:16], -v[10:11]
	s_delay_alu instid0(VALU_DEP_2) | instskip(NEXT) | instid1(VALU_DEP_2)
	v_fma_f64 v[15:16], v[21:22], v[15:16], v[17:18]
	v_add_f64 v[3:4], v[3:4], v[10:11]
	s_delay_alu instid0(VALU_DEP_2)
	v_add_f64 v[1:2], v[1:2], v[15:16]
	s_and_not1_b32 exec_lo, exec_lo, s3
	s_cbranch_execnz .LBB61_161
; %bb.162:
	s_or_b32 exec_lo, exec_lo, s3
	v_mov_b32_e32 v7, 0
	ds_load_b128 v[7:10], v7 offset:544
	s_waitcnt lgkmcnt(0)
	v_mul_f64 v[11:12], v[1:2], v[9:10]
	v_mul_f64 v[15:16], v[3:4], v[9:10]
	s_delay_alu instid0(VALU_DEP_2) | instskip(NEXT) | instid1(VALU_DEP_2)
	v_fma_f64 v[9:10], v[3:4], v[7:8], -v[11:12]
	v_fma_f64 v[11:12], v[1:2], v[7:8], v[15:16]
	scratch_store_b128 off, v[9:12], off offset:544
.LBB61_163:
	s_or_b32 exec_lo, exec_lo, s2
	s_waitcnt_vscnt null, 0x0
	s_barrier
	buffer_gl0_inv
	scratch_load_b32 v1, off, off offset:1108 ; 4-byte Folded Reload
	s_mov_b32 s2, exec_lo
	s_waitcnt vmcnt(0)
	scratch_load_b128 v[1:4], v1, off
	s_waitcnt vmcnt(0)
	ds_store_b128 v5, v[1:4]
	s_waitcnt lgkmcnt(0)
	s_barrier
	buffer_gl0_inv
	v_cmpx_gt_u32_e32 35, v174
	s_cbranch_execz .LBB61_167
; %bb.164:
	v_dual_mov_b32 v1, 0 :: v_dual_add_nc_u32 v8, 0x3e0, v13
	v_dual_mov_b32 v2, 0 :: v_dual_add_nc_u32 v7, -1, v174
	v_or_b32_e32 v9, 8, v14
	s_mov_b32 s3, 0
	s_delay_alu instid0(VALU_DEP_2)
	v_dual_mov_b32 v4, v2 :: v_dual_mov_b32 v3, v1
	.p2align	6
.LBB61_165:                             ; =>This Inner Loop Header: Depth=1
	scratch_load_b128 v[15:18], v9, off offset:-8
	ds_load_b128 v[19:22], v8
	v_add_nc_u32_e32 v7, 1, v7
	v_add_nc_u32_e32 v8, 16, v8
	;; [unrolled: 1-line block ×3, first 2 shown]
	s_delay_alu instid0(VALU_DEP_3) | instskip(SKIP_4) | instid1(VALU_DEP_2)
	v_cmp_lt_u32_e32 vcc_lo, 33, v7
	s_or_b32 s3, vcc_lo, s3
	s_waitcnt vmcnt(0) lgkmcnt(0)
	v_mul_f64 v[10:11], v[21:22], v[17:18]
	v_mul_f64 v[17:18], v[19:20], v[17:18]
	v_fma_f64 v[10:11], v[19:20], v[15:16], -v[10:11]
	s_delay_alu instid0(VALU_DEP_2) | instskip(NEXT) | instid1(VALU_DEP_2)
	v_fma_f64 v[15:16], v[21:22], v[15:16], v[17:18]
	v_add_f64 v[3:4], v[3:4], v[10:11]
	s_delay_alu instid0(VALU_DEP_2)
	v_add_f64 v[1:2], v[1:2], v[15:16]
	s_and_not1_b32 exec_lo, exec_lo, s3
	s_cbranch_execnz .LBB61_165
; %bb.166:
	s_or_b32 exec_lo, exec_lo, s3
	v_mov_b32_e32 v7, 0
	ds_load_b128 v[7:10], v7 offset:560
	s_waitcnt lgkmcnt(0)
	v_mul_f64 v[11:12], v[1:2], v[9:10]
	v_mul_f64 v[15:16], v[3:4], v[9:10]
	s_delay_alu instid0(VALU_DEP_2) | instskip(NEXT) | instid1(VALU_DEP_2)
	v_fma_f64 v[9:10], v[3:4], v[7:8], -v[11:12]
	v_fma_f64 v[11:12], v[1:2], v[7:8], v[15:16]
	scratch_store_b128 off, v[9:12], off offset:560
.LBB61_167:
	s_or_b32 exec_lo, exec_lo, s2
	s_waitcnt_vscnt null, 0x0
	s_barrier
	buffer_gl0_inv
	scratch_load_b32 v1, off, off offset:1092 ; 4-byte Folded Reload
	s_mov_b32 s2, exec_lo
	s_waitcnt vmcnt(0)
	scratch_load_b128 v[1:4], v1, off
	s_waitcnt vmcnt(0)
	ds_store_b128 v5, v[1:4]
	s_waitcnt lgkmcnt(0)
	s_barrier
	buffer_gl0_inv
	v_cmpx_gt_u32_e32 36, v174
	s_cbranch_execz .LBB61_171
; %bb.168:
	v_dual_mov_b32 v1, 0 :: v_dual_add_nc_u32 v8, 0x3e0, v13
	v_dual_mov_b32 v2, 0 :: v_dual_add_nc_u32 v7, -1, v174
	v_or_b32_e32 v9, 8, v14
	s_mov_b32 s3, 0
	s_delay_alu instid0(VALU_DEP_2)
	v_dual_mov_b32 v4, v2 :: v_dual_mov_b32 v3, v1
	.p2align	6
.LBB61_169:                             ; =>This Inner Loop Header: Depth=1
	scratch_load_b128 v[15:18], v9, off offset:-8
	ds_load_b128 v[19:22], v8
	v_add_nc_u32_e32 v7, 1, v7
	v_add_nc_u32_e32 v8, 16, v8
	;; [unrolled: 1-line block ×3, first 2 shown]
	s_delay_alu instid0(VALU_DEP_3) | instskip(SKIP_4) | instid1(VALU_DEP_2)
	v_cmp_lt_u32_e32 vcc_lo, 34, v7
	s_or_b32 s3, vcc_lo, s3
	s_waitcnt vmcnt(0) lgkmcnt(0)
	v_mul_f64 v[10:11], v[21:22], v[17:18]
	v_mul_f64 v[17:18], v[19:20], v[17:18]
	v_fma_f64 v[10:11], v[19:20], v[15:16], -v[10:11]
	s_delay_alu instid0(VALU_DEP_2) | instskip(NEXT) | instid1(VALU_DEP_2)
	v_fma_f64 v[15:16], v[21:22], v[15:16], v[17:18]
	v_add_f64 v[3:4], v[3:4], v[10:11]
	s_delay_alu instid0(VALU_DEP_2)
	v_add_f64 v[1:2], v[1:2], v[15:16]
	s_and_not1_b32 exec_lo, exec_lo, s3
	s_cbranch_execnz .LBB61_169
; %bb.170:
	s_or_b32 exec_lo, exec_lo, s3
	v_mov_b32_e32 v7, 0
	ds_load_b128 v[7:10], v7 offset:576
	s_waitcnt lgkmcnt(0)
	v_mul_f64 v[11:12], v[1:2], v[9:10]
	v_mul_f64 v[15:16], v[3:4], v[9:10]
	s_delay_alu instid0(VALU_DEP_2) | instskip(NEXT) | instid1(VALU_DEP_2)
	v_fma_f64 v[9:10], v[3:4], v[7:8], -v[11:12]
	v_fma_f64 v[11:12], v[1:2], v[7:8], v[15:16]
	scratch_store_b128 off, v[9:12], off offset:576
.LBB61_171:
	s_or_b32 exec_lo, exec_lo, s2
	s_waitcnt_vscnt null, 0x0
	s_barrier
	buffer_gl0_inv
	scratch_load_b32 v1, off, off offset:1084 ; 4-byte Folded Reload
	s_mov_b32 s2, exec_lo
	s_waitcnt vmcnt(0)
	scratch_load_b128 v[1:4], v1, off
	s_waitcnt vmcnt(0)
	ds_store_b128 v5, v[1:4]
	s_waitcnt lgkmcnt(0)
	s_barrier
	buffer_gl0_inv
	v_cmpx_gt_u32_e32 37, v174
	s_cbranch_execz .LBB61_175
; %bb.172:
	v_dual_mov_b32 v1, 0 :: v_dual_add_nc_u32 v8, 0x3e0, v13
	v_dual_mov_b32 v2, 0 :: v_dual_add_nc_u32 v7, -1, v174
	v_or_b32_e32 v9, 8, v14
	s_mov_b32 s3, 0
	s_delay_alu instid0(VALU_DEP_2)
	v_dual_mov_b32 v4, v2 :: v_dual_mov_b32 v3, v1
	.p2align	6
.LBB61_173:                             ; =>This Inner Loop Header: Depth=1
	scratch_load_b128 v[15:18], v9, off offset:-8
	ds_load_b128 v[19:22], v8
	v_add_nc_u32_e32 v7, 1, v7
	v_add_nc_u32_e32 v8, 16, v8
	;; [unrolled: 1-line block ×3, first 2 shown]
	s_delay_alu instid0(VALU_DEP_3) | instskip(SKIP_4) | instid1(VALU_DEP_2)
	v_cmp_lt_u32_e32 vcc_lo, 35, v7
	s_or_b32 s3, vcc_lo, s3
	s_waitcnt vmcnt(0) lgkmcnt(0)
	v_mul_f64 v[10:11], v[21:22], v[17:18]
	v_mul_f64 v[17:18], v[19:20], v[17:18]
	v_fma_f64 v[10:11], v[19:20], v[15:16], -v[10:11]
	s_delay_alu instid0(VALU_DEP_2) | instskip(NEXT) | instid1(VALU_DEP_2)
	v_fma_f64 v[15:16], v[21:22], v[15:16], v[17:18]
	v_add_f64 v[3:4], v[3:4], v[10:11]
	s_delay_alu instid0(VALU_DEP_2)
	v_add_f64 v[1:2], v[1:2], v[15:16]
	s_and_not1_b32 exec_lo, exec_lo, s3
	s_cbranch_execnz .LBB61_173
; %bb.174:
	s_or_b32 exec_lo, exec_lo, s3
	v_mov_b32_e32 v7, 0
	ds_load_b128 v[7:10], v7 offset:592
	s_waitcnt lgkmcnt(0)
	v_mul_f64 v[11:12], v[1:2], v[9:10]
	v_mul_f64 v[15:16], v[3:4], v[9:10]
	s_delay_alu instid0(VALU_DEP_2) | instskip(NEXT) | instid1(VALU_DEP_2)
	v_fma_f64 v[9:10], v[3:4], v[7:8], -v[11:12]
	v_fma_f64 v[11:12], v[1:2], v[7:8], v[15:16]
	scratch_store_b128 off, v[9:12], off offset:592
.LBB61_175:
	s_or_b32 exec_lo, exec_lo, s2
	s_waitcnt_vscnt null, 0x0
	s_barrier
	buffer_gl0_inv
	scratch_load_b32 v1, off, off offset:1080 ; 4-byte Folded Reload
	s_mov_b32 s2, exec_lo
	s_waitcnt vmcnt(0)
	scratch_load_b128 v[1:4], v1, off
	s_waitcnt vmcnt(0)
	ds_store_b128 v5, v[1:4]
	s_waitcnt lgkmcnt(0)
	s_barrier
	buffer_gl0_inv
	v_cmpx_gt_u32_e32 38, v174
	s_cbranch_execz .LBB61_179
; %bb.176:
	v_dual_mov_b32 v1, 0 :: v_dual_add_nc_u32 v8, 0x3e0, v13
	v_dual_mov_b32 v2, 0 :: v_dual_add_nc_u32 v7, -1, v174
	v_or_b32_e32 v9, 8, v14
	s_mov_b32 s3, 0
	s_delay_alu instid0(VALU_DEP_2)
	v_dual_mov_b32 v4, v2 :: v_dual_mov_b32 v3, v1
	.p2align	6
.LBB61_177:                             ; =>This Inner Loop Header: Depth=1
	scratch_load_b128 v[15:18], v9, off offset:-8
	ds_load_b128 v[19:22], v8
	v_add_nc_u32_e32 v7, 1, v7
	v_add_nc_u32_e32 v8, 16, v8
	;; [unrolled: 1-line block ×3, first 2 shown]
	s_delay_alu instid0(VALU_DEP_3) | instskip(SKIP_4) | instid1(VALU_DEP_2)
	v_cmp_lt_u32_e32 vcc_lo, 36, v7
	s_or_b32 s3, vcc_lo, s3
	s_waitcnt vmcnt(0) lgkmcnt(0)
	v_mul_f64 v[10:11], v[21:22], v[17:18]
	v_mul_f64 v[17:18], v[19:20], v[17:18]
	v_fma_f64 v[10:11], v[19:20], v[15:16], -v[10:11]
	s_delay_alu instid0(VALU_DEP_2) | instskip(NEXT) | instid1(VALU_DEP_2)
	v_fma_f64 v[15:16], v[21:22], v[15:16], v[17:18]
	v_add_f64 v[3:4], v[3:4], v[10:11]
	s_delay_alu instid0(VALU_DEP_2)
	v_add_f64 v[1:2], v[1:2], v[15:16]
	s_and_not1_b32 exec_lo, exec_lo, s3
	s_cbranch_execnz .LBB61_177
; %bb.178:
	s_or_b32 exec_lo, exec_lo, s3
	v_mov_b32_e32 v7, 0
	ds_load_b128 v[7:10], v7 offset:608
	s_waitcnt lgkmcnt(0)
	v_mul_f64 v[11:12], v[1:2], v[9:10]
	v_mul_f64 v[15:16], v[3:4], v[9:10]
	s_delay_alu instid0(VALU_DEP_2) | instskip(NEXT) | instid1(VALU_DEP_2)
	v_fma_f64 v[9:10], v[3:4], v[7:8], -v[11:12]
	v_fma_f64 v[11:12], v[1:2], v[7:8], v[15:16]
	scratch_store_b128 off, v[9:12], off offset:608
.LBB61_179:
	s_or_b32 exec_lo, exec_lo, s2
	s_waitcnt_vscnt null, 0x0
	s_barrier
	buffer_gl0_inv
	scratch_load_b32 v1, off, off offset:1076 ; 4-byte Folded Reload
	s_mov_b32 s2, exec_lo
	s_waitcnt vmcnt(0)
	scratch_load_b128 v[1:4], v1, off
	s_waitcnt vmcnt(0)
	ds_store_b128 v5, v[1:4]
	s_waitcnt lgkmcnt(0)
	s_barrier
	buffer_gl0_inv
	v_cmpx_gt_u32_e32 39, v174
	s_cbranch_execz .LBB61_183
; %bb.180:
	v_dual_mov_b32 v1, 0 :: v_dual_add_nc_u32 v8, 0x3e0, v13
	v_dual_mov_b32 v2, 0 :: v_dual_add_nc_u32 v7, -1, v174
	v_or_b32_e32 v9, 8, v14
	s_mov_b32 s3, 0
	s_delay_alu instid0(VALU_DEP_2)
	v_dual_mov_b32 v4, v2 :: v_dual_mov_b32 v3, v1
	.p2align	6
.LBB61_181:                             ; =>This Inner Loop Header: Depth=1
	scratch_load_b128 v[15:18], v9, off offset:-8
	ds_load_b128 v[19:22], v8
	v_add_nc_u32_e32 v7, 1, v7
	v_add_nc_u32_e32 v8, 16, v8
	;; [unrolled: 1-line block ×3, first 2 shown]
	s_delay_alu instid0(VALU_DEP_3) | instskip(SKIP_4) | instid1(VALU_DEP_2)
	v_cmp_lt_u32_e32 vcc_lo, 37, v7
	s_or_b32 s3, vcc_lo, s3
	s_waitcnt vmcnt(0) lgkmcnt(0)
	v_mul_f64 v[10:11], v[21:22], v[17:18]
	v_mul_f64 v[17:18], v[19:20], v[17:18]
	v_fma_f64 v[10:11], v[19:20], v[15:16], -v[10:11]
	s_delay_alu instid0(VALU_DEP_2) | instskip(NEXT) | instid1(VALU_DEP_2)
	v_fma_f64 v[15:16], v[21:22], v[15:16], v[17:18]
	v_add_f64 v[3:4], v[3:4], v[10:11]
	s_delay_alu instid0(VALU_DEP_2)
	v_add_f64 v[1:2], v[1:2], v[15:16]
	s_and_not1_b32 exec_lo, exec_lo, s3
	s_cbranch_execnz .LBB61_181
; %bb.182:
	s_or_b32 exec_lo, exec_lo, s3
	v_mov_b32_e32 v7, 0
	ds_load_b128 v[7:10], v7 offset:624
	s_waitcnt lgkmcnt(0)
	v_mul_f64 v[11:12], v[1:2], v[9:10]
	v_mul_f64 v[15:16], v[3:4], v[9:10]
	s_delay_alu instid0(VALU_DEP_2) | instskip(NEXT) | instid1(VALU_DEP_2)
	v_fma_f64 v[9:10], v[3:4], v[7:8], -v[11:12]
	v_fma_f64 v[11:12], v[1:2], v[7:8], v[15:16]
	scratch_store_b128 off, v[9:12], off offset:624
.LBB61_183:
	s_or_b32 exec_lo, exec_lo, s2
	s_waitcnt_vscnt null, 0x0
	s_barrier
	buffer_gl0_inv
	scratch_load_b32 v1, off, off offset:1072 ; 4-byte Folded Reload
	s_mov_b32 s2, exec_lo
	s_waitcnt vmcnt(0)
	scratch_load_b128 v[1:4], v1, off
	s_waitcnt vmcnt(0)
	ds_store_b128 v5, v[1:4]
	s_waitcnt lgkmcnt(0)
	s_barrier
	buffer_gl0_inv
	v_cmpx_gt_u32_e32 40, v174
	s_cbranch_execz .LBB61_187
; %bb.184:
	v_dual_mov_b32 v1, 0 :: v_dual_add_nc_u32 v8, 0x3e0, v13
	v_dual_mov_b32 v2, 0 :: v_dual_add_nc_u32 v7, -1, v174
	v_or_b32_e32 v9, 8, v14
	s_mov_b32 s3, 0
	s_delay_alu instid0(VALU_DEP_2)
	v_dual_mov_b32 v4, v2 :: v_dual_mov_b32 v3, v1
	.p2align	6
.LBB61_185:                             ; =>This Inner Loop Header: Depth=1
	scratch_load_b128 v[15:18], v9, off offset:-8
	ds_load_b128 v[19:22], v8
	v_add_nc_u32_e32 v7, 1, v7
	v_add_nc_u32_e32 v8, 16, v8
	;; [unrolled: 1-line block ×3, first 2 shown]
	s_delay_alu instid0(VALU_DEP_3) | instskip(SKIP_4) | instid1(VALU_DEP_2)
	v_cmp_lt_u32_e32 vcc_lo, 38, v7
	s_or_b32 s3, vcc_lo, s3
	s_waitcnt vmcnt(0) lgkmcnt(0)
	v_mul_f64 v[10:11], v[21:22], v[17:18]
	v_mul_f64 v[17:18], v[19:20], v[17:18]
	v_fma_f64 v[10:11], v[19:20], v[15:16], -v[10:11]
	s_delay_alu instid0(VALU_DEP_2) | instskip(NEXT) | instid1(VALU_DEP_2)
	v_fma_f64 v[15:16], v[21:22], v[15:16], v[17:18]
	v_add_f64 v[3:4], v[3:4], v[10:11]
	s_delay_alu instid0(VALU_DEP_2)
	v_add_f64 v[1:2], v[1:2], v[15:16]
	s_and_not1_b32 exec_lo, exec_lo, s3
	s_cbranch_execnz .LBB61_185
; %bb.186:
	s_or_b32 exec_lo, exec_lo, s3
	v_mov_b32_e32 v7, 0
	ds_load_b128 v[7:10], v7 offset:640
	s_waitcnt lgkmcnt(0)
	v_mul_f64 v[11:12], v[1:2], v[9:10]
	v_mul_f64 v[15:16], v[3:4], v[9:10]
	s_delay_alu instid0(VALU_DEP_2) | instskip(NEXT) | instid1(VALU_DEP_2)
	v_fma_f64 v[9:10], v[3:4], v[7:8], -v[11:12]
	v_fma_f64 v[11:12], v[1:2], v[7:8], v[15:16]
	scratch_store_b128 off, v[9:12], off offset:640
.LBB61_187:
	s_or_b32 exec_lo, exec_lo, s2
	s_waitcnt_vscnt null, 0x0
	s_barrier
	buffer_gl0_inv
	scratch_load_b32 v1, off, off offset:1068 ; 4-byte Folded Reload
	s_mov_b32 s2, exec_lo
	s_waitcnt vmcnt(0)
	scratch_load_b128 v[1:4], v1, off
	s_waitcnt vmcnt(0)
	ds_store_b128 v5, v[1:4]
	s_waitcnt lgkmcnt(0)
	s_barrier
	buffer_gl0_inv
	v_cmpx_gt_u32_e32 41, v174
	s_cbranch_execz .LBB61_191
; %bb.188:
	v_dual_mov_b32 v1, 0 :: v_dual_add_nc_u32 v8, 0x3e0, v13
	v_dual_mov_b32 v2, 0 :: v_dual_add_nc_u32 v7, -1, v174
	v_or_b32_e32 v9, 8, v14
	s_mov_b32 s3, 0
	s_delay_alu instid0(VALU_DEP_2)
	v_dual_mov_b32 v4, v2 :: v_dual_mov_b32 v3, v1
	.p2align	6
.LBB61_189:                             ; =>This Inner Loop Header: Depth=1
	scratch_load_b128 v[15:18], v9, off offset:-8
	ds_load_b128 v[19:22], v8
	v_add_nc_u32_e32 v7, 1, v7
	v_add_nc_u32_e32 v8, 16, v8
	;; [unrolled: 1-line block ×3, first 2 shown]
	s_delay_alu instid0(VALU_DEP_3) | instskip(SKIP_4) | instid1(VALU_DEP_2)
	v_cmp_lt_u32_e32 vcc_lo, 39, v7
	s_or_b32 s3, vcc_lo, s3
	s_waitcnt vmcnt(0) lgkmcnt(0)
	v_mul_f64 v[10:11], v[21:22], v[17:18]
	v_mul_f64 v[17:18], v[19:20], v[17:18]
	v_fma_f64 v[10:11], v[19:20], v[15:16], -v[10:11]
	s_delay_alu instid0(VALU_DEP_2) | instskip(NEXT) | instid1(VALU_DEP_2)
	v_fma_f64 v[15:16], v[21:22], v[15:16], v[17:18]
	v_add_f64 v[3:4], v[3:4], v[10:11]
	s_delay_alu instid0(VALU_DEP_2)
	v_add_f64 v[1:2], v[1:2], v[15:16]
	s_and_not1_b32 exec_lo, exec_lo, s3
	s_cbranch_execnz .LBB61_189
; %bb.190:
	s_or_b32 exec_lo, exec_lo, s3
	v_mov_b32_e32 v7, 0
	ds_load_b128 v[7:10], v7 offset:656
	s_waitcnt lgkmcnt(0)
	v_mul_f64 v[11:12], v[1:2], v[9:10]
	v_mul_f64 v[15:16], v[3:4], v[9:10]
	s_delay_alu instid0(VALU_DEP_2) | instskip(NEXT) | instid1(VALU_DEP_2)
	v_fma_f64 v[9:10], v[3:4], v[7:8], -v[11:12]
	v_fma_f64 v[11:12], v[1:2], v[7:8], v[15:16]
	scratch_store_b128 off, v[9:12], off offset:656
.LBB61_191:
	s_or_b32 exec_lo, exec_lo, s2
	s_waitcnt_vscnt null, 0x0
	s_barrier
	buffer_gl0_inv
	scratch_load_b32 v1, off, off offset:1064 ; 4-byte Folded Reload
	s_mov_b32 s2, exec_lo
	s_waitcnt vmcnt(0)
	scratch_load_b128 v[1:4], v1, off
	s_waitcnt vmcnt(0)
	ds_store_b128 v5, v[1:4]
	s_waitcnt lgkmcnt(0)
	s_barrier
	buffer_gl0_inv
	v_cmpx_gt_u32_e32 42, v174
	s_cbranch_execz .LBB61_195
; %bb.192:
	v_dual_mov_b32 v1, 0 :: v_dual_add_nc_u32 v8, 0x3e0, v13
	v_dual_mov_b32 v2, 0 :: v_dual_add_nc_u32 v7, -1, v174
	v_or_b32_e32 v9, 8, v14
	s_mov_b32 s3, 0
	s_delay_alu instid0(VALU_DEP_2)
	v_dual_mov_b32 v4, v2 :: v_dual_mov_b32 v3, v1
	.p2align	6
.LBB61_193:                             ; =>This Inner Loop Header: Depth=1
	scratch_load_b128 v[15:18], v9, off offset:-8
	ds_load_b128 v[19:22], v8
	v_add_nc_u32_e32 v7, 1, v7
	v_add_nc_u32_e32 v8, 16, v8
	;; [unrolled: 1-line block ×3, first 2 shown]
	s_delay_alu instid0(VALU_DEP_3) | instskip(SKIP_4) | instid1(VALU_DEP_2)
	v_cmp_lt_u32_e32 vcc_lo, 40, v7
	s_or_b32 s3, vcc_lo, s3
	s_waitcnt vmcnt(0) lgkmcnt(0)
	v_mul_f64 v[10:11], v[21:22], v[17:18]
	v_mul_f64 v[17:18], v[19:20], v[17:18]
	v_fma_f64 v[10:11], v[19:20], v[15:16], -v[10:11]
	s_delay_alu instid0(VALU_DEP_2) | instskip(NEXT) | instid1(VALU_DEP_2)
	v_fma_f64 v[15:16], v[21:22], v[15:16], v[17:18]
	v_add_f64 v[3:4], v[3:4], v[10:11]
	s_delay_alu instid0(VALU_DEP_2)
	v_add_f64 v[1:2], v[1:2], v[15:16]
	s_and_not1_b32 exec_lo, exec_lo, s3
	s_cbranch_execnz .LBB61_193
; %bb.194:
	s_or_b32 exec_lo, exec_lo, s3
	v_mov_b32_e32 v7, 0
	ds_load_b128 v[7:10], v7 offset:672
	s_waitcnt lgkmcnt(0)
	v_mul_f64 v[11:12], v[1:2], v[9:10]
	v_mul_f64 v[15:16], v[3:4], v[9:10]
	s_delay_alu instid0(VALU_DEP_2) | instskip(NEXT) | instid1(VALU_DEP_2)
	v_fma_f64 v[9:10], v[3:4], v[7:8], -v[11:12]
	v_fma_f64 v[11:12], v[1:2], v[7:8], v[15:16]
	scratch_store_b128 off, v[9:12], off offset:672
.LBB61_195:
	s_or_b32 exec_lo, exec_lo, s2
	s_waitcnt_vscnt null, 0x0
	s_barrier
	buffer_gl0_inv
	scratch_load_b32 v1, off, off offset:1060 ; 4-byte Folded Reload
	s_mov_b32 s2, exec_lo
	s_waitcnt vmcnt(0)
	scratch_load_b128 v[1:4], v1, off
	s_waitcnt vmcnt(0)
	ds_store_b128 v5, v[1:4]
	s_waitcnt lgkmcnt(0)
	s_barrier
	buffer_gl0_inv
	v_cmpx_gt_u32_e32 43, v174
	s_cbranch_execz .LBB61_199
; %bb.196:
	v_dual_mov_b32 v1, 0 :: v_dual_add_nc_u32 v8, 0x3e0, v13
	v_dual_mov_b32 v2, 0 :: v_dual_add_nc_u32 v7, -1, v174
	v_or_b32_e32 v9, 8, v14
	s_mov_b32 s3, 0
	s_delay_alu instid0(VALU_DEP_2)
	v_dual_mov_b32 v4, v2 :: v_dual_mov_b32 v3, v1
	.p2align	6
.LBB61_197:                             ; =>This Inner Loop Header: Depth=1
	scratch_load_b128 v[15:18], v9, off offset:-8
	ds_load_b128 v[19:22], v8
	v_add_nc_u32_e32 v7, 1, v7
	v_add_nc_u32_e32 v8, 16, v8
	;; [unrolled: 1-line block ×3, first 2 shown]
	s_delay_alu instid0(VALU_DEP_3) | instskip(SKIP_4) | instid1(VALU_DEP_2)
	v_cmp_lt_u32_e32 vcc_lo, 41, v7
	s_or_b32 s3, vcc_lo, s3
	s_waitcnt vmcnt(0) lgkmcnt(0)
	v_mul_f64 v[10:11], v[21:22], v[17:18]
	v_mul_f64 v[17:18], v[19:20], v[17:18]
	v_fma_f64 v[10:11], v[19:20], v[15:16], -v[10:11]
	s_delay_alu instid0(VALU_DEP_2) | instskip(NEXT) | instid1(VALU_DEP_2)
	v_fma_f64 v[15:16], v[21:22], v[15:16], v[17:18]
	v_add_f64 v[3:4], v[3:4], v[10:11]
	s_delay_alu instid0(VALU_DEP_2)
	v_add_f64 v[1:2], v[1:2], v[15:16]
	s_and_not1_b32 exec_lo, exec_lo, s3
	s_cbranch_execnz .LBB61_197
; %bb.198:
	s_or_b32 exec_lo, exec_lo, s3
	v_mov_b32_e32 v7, 0
	ds_load_b128 v[7:10], v7 offset:688
	s_waitcnt lgkmcnt(0)
	v_mul_f64 v[11:12], v[1:2], v[9:10]
	v_mul_f64 v[15:16], v[3:4], v[9:10]
	s_delay_alu instid0(VALU_DEP_2) | instskip(NEXT) | instid1(VALU_DEP_2)
	v_fma_f64 v[9:10], v[3:4], v[7:8], -v[11:12]
	v_fma_f64 v[11:12], v[1:2], v[7:8], v[15:16]
	scratch_store_b128 off, v[9:12], off offset:688
.LBB61_199:
	s_or_b32 exec_lo, exec_lo, s2
	s_waitcnt_vscnt null, 0x0
	s_barrier
	buffer_gl0_inv
	scratch_load_b32 v1, off, off offset:1056 ; 4-byte Folded Reload
	s_mov_b32 s2, exec_lo
	s_waitcnt vmcnt(0)
	scratch_load_b128 v[1:4], v1, off
	s_waitcnt vmcnt(0)
	ds_store_b128 v5, v[1:4]
	s_waitcnt lgkmcnt(0)
	s_barrier
	buffer_gl0_inv
	v_cmpx_gt_u32_e32 44, v174
	s_cbranch_execz .LBB61_203
; %bb.200:
	v_dual_mov_b32 v1, 0 :: v_dual_add_nc_u32 v8, 0x3e0, v13
	v_dual_mov_b32 v2, 0 :: v_dual_add_nc_u32 v7, -1, v174
	v_or_b32_e32 v9, 8, v14
	s_mov_b32 s3, 0
	s_delay_alu instid0(VALU_DEP_2)
	v_dual_mov_b32 v4, v2 :: v_dual_mov_b32 v3, v1
	.p2align	6
.LBB61_201:                             ; =>This Inner Loop Header: Depth=1
	scratch_load_b128 v[15:18], v9, off offset:-8
	ds_load_b128 v[19:22], v8
	v_add_nc_u32_e32 v7, 1, v7
	v_add_nc_u32_e32 v8, 16, v8
	;; [unrolled: 1-line block ×3, first 2 shown]
	s_delay_alu instid0(VALU_DEP_3) | instskip(SKIP_4) | instid1(VALU_DEP_2)
	v_cmp_lt_u32_e32 vcc_lo, 42, v7
	s_or_b32 s3, vcc_lo, s3
	s_waitcnt vmcnt(0) lgkmcnt(0)
	v_mul_f64 v[10:11], v[21:22], v[17:18]
	v_mul_f64 v[17:18], v[19:20], v[17:18]
	v_fma_f64 v[10:11], v[19:20], v[15:16], -v[10:11]
	s_delay_alu instid0(VALU_DEP_2) | instskip(NEXT) | instid1(VALU_DEP_2)
	v_fma_f64 v[15:16], v[21:22], v[15:16], v[17:18]
	v_add_f64 v[3:4], v[3:4], v[10:11]
	s_delay_alu instid0(VALU_DEP_2)
	v_add_f64 v[1:2], v[1:2], v[15:16]
	s_and_not1_b32 exec_lo, exec_lo, s3
	s_cbranch_execnz .LBB61_201
; %bb.202:
	s_or_b32 exec_lo, exec_lo, s3
	v_mov_b32_e32 v7, 0
	ds_load_b128 v[7:10], v7 offset:704
	s_waitcnt lgkmcnt(0)
	v_mul_f64 v[11:12], v[1:2], v[9:10]
	v_mul_f64 v[15:16], v[3:4], v[9:10]
	s_delay_alu instid0(VALU_DEP_2) | instskip(NEXT) | instid1(VALU_DEP_2)
	v_fma_f64 v[9:10], v[3:4], v[7:8], -v[11:12]
	v_fma_f64 v[11:12], v[1:2], v[7:8], v[15:16]
	scratch_store_b128 off, v[9:12], off offset:704
.LBB61_203:
	s_or_b32 exec_lo, exec_lo, s2
	s_waitcnt_vscnt null, 0x0
	s_barrier
	buffer_gl0_inv
	scratch_load_b32 v1, off, off offset:1052 ; 4-byte Folded Reload
	s_mov_b32 s2, exec_lo
	s_waitcnt vmcnt(0)
	scratch_load_b128 v[1:4], v1, off
	s_waitcnt vmcnt(0)
	ds_store_b128 v5, v[1:4]
	s_waitcnt lgkmcnt(0)
	s_barrier
	buffer_gl0_inv
	v_cmpx_gt_u32_e32 45, v174
	s_cbranch_execz .LBB61_207
; %bb.204:
	v_dual_mov_b32 v1, 0 :: v_dual_add_nc_u32 v8, 0x3e0, v13
	v_dual_mov_b32 v2, 0 :: v_dual_add_nc_u32 v7, -1, v174
	v_or_b32_e32 v9, 8, v14
	s_mov_b32 s3, 0
	s_delay_alu instid0(VALU_DEP_2)
	v_dual_mov_b32 v4, v2 :: v_dual_mov_b32 v3, v1
	.p2align	6
.LBB61_205:                             ; =>This Inner Loop Header: Depth=1
	scratch_load_b128 v[15:18], v9, off offset:-8
	ds_load_b128 v[19:22], v8
	v_add_nc_u32_e32 v7, 1, v7
	v_add_nc_u32_e32 v8, 16, v8
	v_add_nc_u32_e32 v9, 16, v9
	s_delay_alu instid0(VALU_DEP_3) | instskip(SKIP_4) | instid1(VALU_DEP_2)
	v_cmp_lt_u32_e32 vcc_lo, 43, v7
	s_or_b32 s3, vcc_lo, s3
	s_waitcnt vmcnt(0) lgkmcnt(0)
	v_mul_f64 v[10:11], v[21:22], v[17:18]
	v_mul_f64 v[17:18], v[19:20], v[17:18]
	v_fma_f64 v[10:11], v[19:20], v[15:16], -v[10:11]
	s_delay_alu instid0(VALU_DEP_2) | instskip(NEXT) | instid1(VALU_DEP_2)
	v_fma_f64 v[15:16], v[21:22], v[15:16], v[17:18]
	v_add_f64 v[3:4], v[3:4], v[10:11]
	s_delay_alu instid0(VALU_DEP_2)
	v_add_f64 v[1:2], v[1:2], v[15:16]
	s_and_not1_b32 exec_lo, exec_lo, s3
	s_cbranch_execnz .LBB61_205
; %bb.206:
	s_or_b32 exec_lo, exec_lo, s3
	v_mov_b32_e32 v7, 0
	ds_load_b128 v[7:10], v7 offset:720
	s_waitcnt lgkmcnt(0)
	v_mul_f64 v[11:12], v[1:2], v[9:10]
	v_mul_f64 v[15:16], v[3:4], v[9:10]
	s_delay_alu instid0(VALU_DEP_2) | instskip(NEXT) | instid1(VALU_DEP_2)
	v_fma_f64 v[9:10], v[3:4], v[7:8], -v[11:12]
	v_fma_f64 v[11:12], v[1:2], v[7:8], v[15:16]
	scratch_store_b128 off, v[9:12], off offset:720
.LBB61_207:
	s_or_b32 exec_lo, exec_lo, s2
	s_waitcnt_vscnt null, 0x0
	s_barrier
	buffer_gl0_inv
	scratch_load_b32 v1, off, off offset:1048 ; 4-byte Folded Reload
	s_mov_b32 s2, exec_lo
	s_waitcnt vmcnt(0)
	scratch_load_b128 v[1:4], v1, off
	s_waitcnt vmcnt(0)
	ds_store_b128 v5, v[1:4]
	s_waitcnt lgkmcnt(0)
	s_barrier
	buffer_gl0_inv
	v_cmpx_gt_u32_e32 46, v174
	s_cbranch_execz .LBB61_211
; %bb.208:
	v_dual_mov_b32 v1, 0 :: v_dual_add_nc_u32 v8, 0x3e0, v13
	v_dual_mov_b32 v2, 0 :: v_dual_add_nc_u32 v7, -1, v174
	v_or_b32_e32 v9, 8, v14
	s_mov_b32 s3, 0
	s_delay_alu instid0(VALU_DEP_2)
	v_dual_mov_b32 v4, v2 :: v_dual_mov_b32 v3, v1
	.p2align	6
.LBB61_209:                             ; =>This Inner Loop Header: Depth=1
	scratch_load_b128 v[15:18], v9, off offset:-8
	ds_load_b128 v[19:22], v8
	v_add_nc_u32_e32 v7, 1, v7
	v_add_nc_u32_e32 v8, 16, v8
	;; [unrolled: 1-line block ×3, first 2 shown]
	s_delay_alu instid0(VALU_DEP_3) | instskip(SKIP_4) | instid1(VALU_DEP_2)
	v_cmp_lt_u32_e32 vcc_lo, 44, v7
	s_or_b32 s3, vcc_lo, s3
	s_waitcnt vmcnt(0) lgkmcnt(0)
	v_mul_f64 v[10:11], v[21:22], v[17:18]
	v_mul_f64 v[17:18], v[19:20], v[17:18]
	v_fma_f64 v[10:11], v[19:20], v[15:16], -v[10:11]
	s_delay_alu instid0(VALU_DEP_2) | instskip(NEXT) | instid1(VALU_DEP_2)
	v_fma_f64 v[15:16], v[21:22], v[15:16], v[17:18]
	v_add_f64 v[3:4], v[3:4], v[10:11]
	s_delay_alu instid0(VALU_DEP_2)
	v_add_f64 v[1:2], v[1:2], v[15:16]
	s_and_not1_b32 exec_lo, exec_lo, s3
	s_cbranch_execnz .LBB61_209
; %bb.210:
	s_or_b32 exec_lo, exec_lo, s3
	v_mov_b32_e32 v7, 0
	ds_load_b128 v[7:10], v7 offset:736
	s_waitcnt lgkmcnt(0)
	v_mul_f64 v[11:12], v[1:2], v[9:10]
	v_mul_f64 v[15:16], v[3:4], v[9:10]
	s_delay_alu instid0(VALU_DEP_2) | instskip(NEXT) | instid1(VALU_DEP_2)
	v_fma_f64 v[9:10], v[3:4], v[7:8], -v[11:12]
	v_fma_f64 v[11:12], v[1:2], v[7:8], v[15:16]
	scratch_store_b128 off, v[9:12], off offset:736
.LBB61_211:
	s_or_b32 exec_lo, exec_lo, s2
	s_waitcnt_vscnt null, 0x0
	s_barrier
	buffer_gl0_inv
	scratch_load_b32 v1, off, off offset:1044 ; 4-byte Folded Reload
	s_mov_b32 s2, exec_lo
	s_waitcnt vmcnt(0)
	scratch_load_b128 v[1:4], v1, off
	s_waitcnt vmcnt(0)
	ds_store_b128 v5, v[1:4]
	s_waitcnt lgkmcnt(0)
	s_barrier
	buffer_gl0_inv
	v_cmpx_gt_u32_e32 47, v174
	s_cbranch_execz .LBB61_215
; %bb.212:
	v_dual_mov_b32 v1, 0 :: v_dual_add_nc_u32 v8, 0x3e0, v13
	v_dual_mov_b32 v2, 0 :: v_dual_add_nc_u32 v7, -1, v174
	v_or_b32_e32 v9, 8, v14
	s_mov_b32 s3, 0
	s_delay_alu instid0(VALU_DEP_2)
	v_dual_mov_b32 v4, v2 :: v_dual_mov_b32 v3, v1
	.p2align	6
.LBB61_213:                             ; =>This Inner Loop Header: Depth=1
	scratch_load_b128 v[15:18], v9, off offset:-8
	ds_load_b128 v[19:22], v8
	v_add_nc_u32_e32 v7, 1, v7
	v_add_nc_u32_e32 v8, 16, v8
	;; [unrolled: 1-line block ×3, first 2 shown]
	s_delay_alu instid0(VALU_DEP_3) | instskip(SKIP_4) | instid1(VALU_DEP_2)
	v_cmp_lt_u32_e32 vcc_lo, 45, v7
	s_or_b32 s3, vcc_lo, s3
	s_waitcnt vmcnt(0) lgkmcnt(0)
	v_mul_f64 v[10:11], v[21:22], v[17:18]
	v_mul_f64 v[17:18], v[19:20], v[17:18]
	v_fma_f64 v[10:11], v[19:20], v[15:16], -v[10:11]
	s_delay_alu instid0(VALU_DEP_2) | instskip(NEXT) | instid1(VALU_DEP_2)
	v_fma_f64 v[15:16], v[21:22], v[15:16], v[17:18]
	v_add_f64 v[3:4], v[3:4], v[10:11]
	s_delay_alu instid0(VALU_DEP_2)
	v_add_f64 v[1:2], v[1:2], v[15:16]
	s_and_not1_b32 exec_lo, exec_lo, s3
	s_cbranch_execnz .LBB61_213
; %bb.214:
	s_or_b32 exec_lo, exec_lo, s3
	v_mov_b32_e32 v7, 0
	ds_load_b128 v[7:10], v7 offset:752
	s_waitcnt lgkmcnt(0)
	v_mul_f64 v[11:12], v[1:2], v[9:10]
	v_mul_f64 v[15:16], v[3:4], v[9:10]
	s_delay_alu instid0(VALU_DEP_2) | instskip(NEXT) | instid1(VALU_DEP_2)
	v_fma_f64 v[9:10], v[3:4], v[7:8], -v[11:12]
	v_fma_f64 v[11:12], v[1:2], v[7:8], v[15:16]
	scratch_store_b128 off, v[9:12], off offset:752
.LBB61_215:
	s_or_b32 exec_lo, exec_lo, s2
	s_waitcnt_vscnt null, 0x0
	s_barrier
	buffer_gl0_inv
	scratch_load_b32 v1, off, off offset:1040 ; 4-byte Folded Reload
	s_mov_b32 s2, exec_lo
	s_waitcnt vmcnt(0)
	scratch_load_b128 v[1:4], v1, off
	s_waitcnt vmcnt(0)
	ds_store_b128 v5, v[1:4]
	s_waitcnt lgkmcnt(0)
	s_barrier
	buffer_gl0_inv
	v_cmpx_gt_u32_e32 48, v174
	s_cbranch_execz .LBB61_219
; %bb.216:
	v_dual_mov_b32 v1, 0 :: v_dual_add_nc_u32 v8, 0x3e0, v13
	v_dual_mov_b32 v2, 0 :: v_dual_add_nc_u32 v7, -1, v174
	v_or_b32_e32 v9, 8, v14
	s_mov_b32 s3, 0
	s_delay_alu instid0(VALU_DEP_2)
	v_dual_mov_b32 v4, v2 :: v_dual_mov_b32 v3, v1
	.p2align	6
.LBB61_217:                             ; =>This Inner Loop Header: Depth=1
	scratch_load_b128 v[15:18], v9, off offset:-8
	ds_load_b128 v[19:22], v8
	v_add_nc_u32_e32 v7, 1, v7
	v_add_nc_u32_e32 v8, 16, v8
	v_add_nc_u32_e32 v9, 16, v9
	s_delay_alu instid0(VALU_DEP_3) | instskip(SKIP_4) | instid1(VALU_DEP_2)
	v_cmp_lt_u32_e32 vcc_lo, 46, v7
	s_or_b32 s3, vcc_lo, s3
	s_waitcnt vmcnt(0) lgkmcnt(0)
	v_mul_f64 v[10:11], v[21:22], v[17:18]
	v_mul_f64 v[17:18], v[19:20], v[17:18]
	v_fma_f64 v[10:11], v[19:20], v[15:16], -v[10:11]
	s_delay_alu instid0(VALU_DEP_2) | instskip(NEXT) | instid1(VALU_DEP_2)
	v_fma_f64 v[15:16], v[21:22], v[15:16], v[17:18]
	v_add_f64 v[3:4], v[3:4], v[10:11]
	s_delay_alu instid0(VALU_DEP_2)
	v_add_f64 v[1:2], v[1:2], v[15:16]
	s_and_not1_b32 exec_lo, exec_lo, s3
	s_cbranch_execnz .LBB61_217
; %bb.218:
	s_or_b32 exec_lo, exec_lo, s3
	v_mov_b32_e32 v7, 0
	ds_load_b128 v[7:10], v7 offset:768
	s_waitcnt lgkmcnt(0)
	v_mul_f64 v[11:12], v[1:2], v[9:10]
	v_mul_f64 v[15:16], v[3:4], v[9:10]
	s_delay_alu instid0(VALU_DEP_2) | instskip(NEXT) | instid1(VALU_DEP_2)
	v_fma_f64 v[9:10], v[3:4], v[7:8], -v[11:12]
	v_fma_f64 v[11:12], v[1:2], v[7:8], v[15:16]
	scratch_store_b128 off, v[9:12], off offset:768
.LBB61_219:
	s_or_b32 exec_lo, exec_lo, s2
	s_waitcnt_vscnt null, 0x0
	s_barrier
	buffer_gl0_inv
	scratch_load_b32 v1, off, off offset:1036 ; 4-byte Folded Reload
	s_mov_b32 s2, exec_lo
	s_waitcnt vmcnt(0)
	scratch_load_b128 v[1:4], v1, off
	s_waitcnt vmcnt(0)
	ds_store_b128 v5, v[1:4]
	s_waitcnt lgkmcnt(0)
	s_barrier
	buffer_gl0_inv
	v_cmpx_gt_u32_e32 49, v174
	s_cbranch_execz .LBB61_223
; %bb.220:
	v_dual_mov_b32 v1, 0 :: v_dual_add_nc_u32 v8, 0x3e0, v13
	v_dual_mov_b32 v2, 0 :: v_dual_add_nc_u32 v7, -1, v174
	v_or_b32_e32 v9, 8, v14
	s_mov_b32 s3, 0
	s_delay_alu instid0(VALU_DEP_2)
	v_dual_mov_b32 v4, v2 :: v_dual_mov_b32 v3, v1
	.p2align	6
.LBB61_221:                             ; =>This Inner Loop Header: Depth=1
	scratch_load_b128 v[15:18], v9, off offset:-8
	ds_load_b128 v[19:22], v8
	v_add_nc_u32_e32 v7, 1, v7
	v_add_nc_u32_e32 v8, 16, v8
	;; [unrolled: 1-line block ×3, first 2 shown]
	s_delay_alu instid0(VALU_DEP_3) | instskip(SKIP_4) | instid1(VALU_DEP_2)
	v_cmp_lt_u32_e32 vcc_lo, 47, v7
	s_or_b32 s3, vcc_lo, s3
	s_waitcnt vmcnt(0) lgkmcnt(0)
	v_mul_f64 v[10:11], v[21:22], v[17:18]
	v_mul_f64 v[17:18], v[19:20], v[17:18]
	v_fma_f64 v[10:11], v[19:20], v[15:16], -v[10:11]
	s_delay_alu instid0(VALU_DEP_2) | instskip(NEXT) | instid1(VALU_DEP_2)
	v_fma_f64 v[15:16], v[21:22], v[15:16], v[17:18]
	v_add_f64 v[3:4], v[3:4], v[10:11]
	s_delay_alu instid0(VALU_DEP_2)
	v_add_f64 v[1:2], v[1:2], v[15:16]
	s_and_not1_b32 exec_lo, exec_lo, s3
	s_cbranch_execnz .LBB61_221
; %bb.222:
	s_or_b32 exec_lo, exec_lo, s3
	v_mov_b32_e32 v7, 0
	ds_load_b128 v[7:10], v7 offset:784
	s_waitcnt lgkmcnt(0)
	v_mul_f64 v[11:12], v[1:2], v[9:10]
	v_mul_f64 v[15:16], v[3:4], v[9:10]
	s_delay_alu instid0(VALU_DEP_2) | instskip(NEXT) | instid1(VALU_DEP_2)
	v_fma_f64 v[9:10], v[3:4], v[7:8], -v[11:12]
	v_fma_f64 v[11:12], v[1:2], v[7:8], v[15:16]
	scratch_store_b128 off, v[9:12], off offset:784
.LBB61_223:
	s_or_b32 exec_lo, exec_lo, s2
	s_waitcnt_vscnt null, 0x0
	s_barrier
	buffer_gl0_inv
	scratch_load_b32 v1, off, off offset:1032 ; 4-byte Folded Reload
	s_mov_b32 s2, exec_lo
	s_waitcnt vmcnt(0)
	scratch_load_b128 v[1:4], v1, off
	s_waitcnt vmcnt(0)
	ds_store_b128 v5, v[1:4]
	s_waitcnt lgkmcnt(0)
	s_barrier
	buffer_gl0_inv
	v_cmpx_gt_u32_e32 50, v174
	s_cbranch_execz .LBB61_227
; %bb.224:
	v_dual_mov_b32 v1, 0 :: v_dual_add_nc_u32 v8, 0x3e0, v13
	v_dual_mov_b32 v2, 0 :: v_dual_add_nc_u32 v7, -1, v174
	v_or_b32_e32 v9, 8, v14
	s_mov_b32 s3, 0
	s_delay_alu instid0(VALU_DEP_2)
	v_dual_mov_b32 v4, v2 :: v_dual_mov_b32 v3, v1
	.p2align	6
.LBB61_225:                             ; =>This Inner Loop Header: Depth=1
	scratch_load_b128 v[15:18], v9, off offset:-8
	ds_load_b128 v[19:22], v8
	v_add_nc_u32_e32 v7, 1, v7
	v_add_nc_u32_e32 v8, 16, v8
	;; [unrolled: 1-line block ×3, first 2 shown]
	s_delay_alu instid0(VALU_DEP_3) | instskip(SKIP_4) | instid1(VALU_DEP_2)
	v_cmp_lt_u32_e32 vcc_lo, 48, v7
	s_or_b32 s3, vcc_lo, s3
	s_waitcnt vmcnt(0) lgkmcnt(0)
	v_mul_f64 v[10:11], v[21:22], v[17:18]
	v_mul_f64 v[17:18], v[19:20], v[17:18]
	v_fma_f64 v[10:11], v[19:20], v[15:16], -v[10:11]
	s_delay_alu instid0(VALU_DEP_2) | instskip(NEXT) | instid1(VALU_DEP_2)
	v_fma_f64 v[15:16], v[21:22], v[15:16], v[17:18]
	v_add_f64 v[3:4], v[3:4], v[10:11]
	s_delay_alu instid0(VALU_DEP_2)
	v_add_f64 v[1:2], v[1:2], v[15:16]
	s_and_not1_b32 exec_lo, exec_lo, s3
	s_cbranch_execnz .LBB61_225
; %bb.226:
	s_or_b32 exec_lo, exec_lo, s3
	v_mov_b32_e32 v7, 0
	ds_load_b128 v[7:10], v7 offset:800
	s_waitcnt lgkmcnt(0)
	v_mul_f64 v[11:12], v[1:2], v[9:10]
	v_mul_f64 v[15:16], v[3:4], v[9:10]
	s_delay_alu instid0(VALU_DEP_2) | instskip(NEXT) | instid1(VALU_DEP_2)
	v_fma_f64 v[9:10], v[3:4], v[7:8], -v[11:12]
	v_fma_f64 v[11:12], v[1:2], v[7:8], v[15:16]
	scratch_store_b128 off, v[9:12], off offset:800
.LBB61_227:
	s_or_b32 exec_lo, exec_lo, s2
	s_waitcnt_vscnt null, 0x0
	s_barrier
	buffer_gl0_inv
	scratch_load_b32 v1, off, off offset:1028 ; 4-byte Folded Reload
	s_mov_b32 s2, exec_lo
	s_waitcnt vmcnt(0)
	scratch_load_b128 v[1:4], v1, off
	s_waitcnt vmcnt(0)
	ds_store_b128 v5, v[1:4]
	s_waitcnt lgkmcnt(0)
	s_barrier
	buffer_gl0_inv
	v_cmpx_gt_u32_e32 51, v174
	s_cbranch_execz .LBB61_231
; %bb.228:
	v_dual_mov_b32 v1, 0 :: v_dual_add_nc_u32 v8, 0x3e0, v13
	v_dual_mov_b32 v2, 0 :: v_dual_add_nc_u32 v7, -1, v174
	v_or_b32_e32 v9, 8, v14
	s_mov_b32 s3, 0
	s_delay_alu instid0(VALU_DEP_2)
	v_dual_mov_b32 v4, v2 :: v_dual_mov_b32 v3, v1
	.p2align	6
.LBB61_229:                             ; =>This Inner Loop Header: Depth=1
	scratch_load_b128 v[15:18], v9, off offset:-8
	ds_load_b128 v[19:22], v8
	v_add_nc_u32_e32 v7, 1, v7
	v_add_nc_u32_e32 v8, 16, v8
	;; [unrolled: 1-line block ×3, first 2 shown]
	s_delay_alu instid0(VALU_DEP_3) | instskip(SKIP_4) | instid1(VALU_DEP_2)
	v_cmp_lt_u32_e32 vcc_lo, 49, v7
	s_or_b32 s3, vcc_lo, s3
	s_waitcnt vmcnt(0) lgkmcnt(0)
	v_mul_f64 v[10:11], v[21:22], v[17:18]
	v_mul_f64 v[17:18], v[19:20], v[17:18]
	v_fma_f64 v[10:11], v[19:20], v[15:16], -v[10:11]
	s_delay_alu instid0(VALU_DEP_2) | instskip(NEXT) | instid1(VALU_DEP_2)
	v_fma_f64 v[15:16], v[21:22], v[15:16], v[17:18]
	v_add_f64 v[3:4], v[3:4], v[10:11]
	s_delay_alu instid0(VALU_DEP_2)
	v_add_f64 v[1:2], v[1:2], v[15:16]
	s_and_not1_b32 exec_lo, exec_lo, s3
	s_cbranch_execnz .LBB61_229
; %bb.230:
	s_or_b32 exec_lo, exec_lo, s3
	v_mov_b32_e32 v7, 0
	ds_load_b128 v[7:10], v7 offset:816
	s_waitcnt lgkmcnt(0)
	v_mul_f64 v[11:12], v[1:2], v[9:10]
	v_mul_f64 v[15:16], v[3:4], v[9:10]
	s_delay_alu instid0(VALU_DEP_2) | instskip(NEXT) | instid1(VALU_DEP_2)
	v_fma_f64 v[9:10], v[3:4], v[7:8], -v[11:12]
	v_fma_f64 v[11:12], v[1:2], v[7:8], v[15:16]
	scratch_store_b128 off, v[9:12], off offset:816
.LBB61_231:
	s_or_b32 exec_lo, exec_lo, s2
	s_waitcnt_vscnt null, 0x0
	s_barrier
	buffer_gl0_inv
	scratch_load_b32 v1, off, off offset:1024 ; 4-byte Folded Reload
	s_mov_b32 s2, exec_lo
	s_waitcnt vmcnt(0)
	scratch_load_b128 v[1:4], v1, off
	s_waitcnt vmcnt(0)
	ds_store_b128 v5, v[1:4]
	s_waitcnt lgkmcnt(0)
	s_barrier
	buffer_gl0_inv
	v_cmpx_gt_u32_e32 52, v174
	s_cbranch_execz .LBB61_235
; %bb.232:
	v_dual_mov_b32 v1, 0 :: v_dual_add_nc_u32 v8, 0x3e0, v13
	v_dual_mov_b32 v2, 0 :: v_dual_add_nc_u32 v7, -1, v174
	v_or_b32_e32 v9, 8, v14
	s_mov_b32 s3, 0
	s_delay_alu instid0(VALU_DEP_2)
	v_dual_mov_b32 v4, v2 :: v_dual_mov_b32 v3, v1
	.p2align	6
.LBB61_233:                             ; =>This Inner Loop Header: Depth=1
	scratch_load_b128 v[15:18], v9, off offset:-8
	ds_load_b128 v[19:22], v8
	v_add_nc_u32_e32 v7, 1, v7
	v_add_nc_u32_e32 v8, 16, v8
	v_add_nc_u32_e32 v9, 16, v9
	s_delay_alu instid0(VALU_DEP_3) | instskip(SKIP_4) | instid1(VALU_DEP_2)
	v_cmp_lt_u32_e32 vcc_lo, 50, v7
	s_or_b32 s3, vcc_lo, s3
	s_waitcnt vmcnt(0) lgkmcnt(0)
	v_mul_f64 v[10:11], v[21:22], v[17:18]
	v_mul_f64 v[17:18], v[19:20], v[17:18]
	v_fma_f64 v[10:11], v[19:20], v[15:16], -v[10:11]
	s_delay_alu instid0(VALU_DEP_2) | instskip(NEXT) | instid1(VALU_DEP_2)
	v_fma_f64 v[15:16], v[21:22], v[15:16], v[17:18]
	v_add_f64 v[3:4], v[3:4], v[10:11]
	s_delay_alu instid0(VALU_DEP_2)
	v_add_f64 v[1:2], v[1:2], v[15:16]
	s_and_not1_b32 exec_lo, exec_lo, s3
	s_cbranch_execnz .LBB61_233
; %bb.234:
	s_or_b32 exec_lo, exec_lo, s3
	v_mov_b32_e32 v7, 0
	ds_load_b128 v[7:10], v7 offset:832
	s_waitcnt lgkmcnt(0)
	v_mul_f64 v[11:12], v[1:2], v[9:10]
	v_mul_f64 v[15:16], v[3:4], v[9:10]
	s_delay_alu instid0(VALU_DEP_2) | instskip(NEXT) | instid1(VALU_DEP_2)
	v_fma_f64 v[9:10], v[3:4], v[7:8], -v[11:12]
	v_fma_f64 v[11:12], v[1:2], v[7:8], v[15:16]
	scratch_store_b128 off, v[9:12], off offset:832
.LBB61_235:
	s_or_b32 exec_lo, exec_lo, s2
	s_waitcnt_vscnt null, 0x0
	s_barrier
	buffer_gl0_inv
	scratch_load_b32 v1, off, off offset:1020 ; 4-byte Folded Reload
	s_mov_b32 s2, exec_lo
	s_waitcnt vmcnt(0)
	scratch_load_b128 v[1:4], v1, off
	s_waitcnt vmcnt(0)
	ds_store_b128 v5, v[1:4]
	s_waitcnt lgkmcnt(0)
	s_barrier
	buffer_gl0_inv
	v_cmpx_gt_u32_e32 53, v174
	s_cbranch_execz .LBB61_239
; %bb.236:
	v_dual_mov_b32 v1, 0 :: v_dual_add_nc_u32 v8, 0x3e0, v13
	v_dual_mov_b32 v2, 0 :: v_dual_add_nc_u32 v7, -1, v174
	v_or_b32_e32 v9, 8, v14
	s_mov_b32 s3, 0
	s_delay_alu instid0(VALU_DEP_2)
	v_dual_mov_b32 v4, v2 :: v_dual_mov_b32 v3, v1
	.p2align	6
.LBB61_237:                             ; =>This Inner Loop Header: Depth=1
	scratch_load_b128 v[15:18], v9, off offset:-8
	ds_load_b128 v[19:22], v8
	v_add_nc_u32_e32 v7, 1, v7
	v_add_nc_u32_e32 v8, 16, v8
	;; [unrolled: 1-line block ×3, first 2 shown]
	s_delay_alu instid0(VALU_DEP_3) | instskip(SKIP_4) | instid1(VALU_DEP_2)
	v_cmp_lt_u32_e32 vcc_lo, 51, v7
	s_or_b32 s3, vcc_lo, s3
	s_waitcnt vmcnt(0) lgkmcnt(0)
	v_mul_f64 v[10:11], v[21:22], v[17:18]
	v_mul_f64 v[17:18], v[19:20], v[17:18]
	v_fma_f64 v[10:11], v[19:20], v[15:16], -v[10:11]
	s_delay_alu instid0(VALU_DEP_2) | instskip(NEXT) | instid1(VALU_DEP_2)
	v_fma_f64 v[15:16], v[21:22], v[15:16], v[17:18]
	v_add_f64 v[3:4], v[3:4], v[10:11]
	s_delay_alu instid0(VALU_DEP_2)
	v_add_f64 v[1:2], v[1:2], v[15:16]
	s_and_not1_b32 exec_lo, exec_lo, s3
	s_cbranch_execnz .LBB61_237
; %bb.238:
	s_or_b32 exec_lo, exec_lo, s3
	v_mov_b32_e32 v7, 0
	ds_load_b128 v[7:10], v7 offset:848
	s_waitcnt lgkmcnt(0)
	v_mul_f64 v[11:12], v[1:2], v[9:10]
	v_mul_f64 v[15:16], v[3:4], v[9:10]
	s_delay_alu instid0(VALU_DEP_2) | instskip(NEXT) | instid1(VALU_DEP_2)
	v_fma_f64 v[9:10], v[3:4], v[7:8], -v[11:12]
	v_fma_f64 v[11:12], v[1:2], v[7:8], v[15:16]
	scratch_store_b128 off, v[9:12], off offset:848
.LBB61_239:
	s_or_b32 exec_lo, exec_lo, s2
	s_waitcnt_vscnt null, 0x0
	s_barrier
	buffer_gl0_inv
	scratch_load_b32 v1, off, off offset:1016 ; 4-byte Folded Reload
	s_mov_b32 s2, exec_lo
	s_waitcnt vmcnt(0)
	scratch_load_b128 v[1:4], v1, off
	s_waitcnt vmcnt(0)
	ds_store_b128 v5, v[1:4]
	s_waitcnt lgkmcnt(0)
	s_barrier
	buffer_gl0_inv
	v_cmpx_gt_u32_e32 54, v174
	s_cbranch_execz .LBB61_243
; %bb.240:
	v_dual_mov_b32 v1, 0 :: v_dual_add_nc_u32 v8, 0x3e0, v13
	v_dual_mov_b32 v2, 0 :: v_dual_add_nc_u32 v7, -1, v174
	v_or_b32_e32 v9, 8, v14
	s_mov_b32 s3, 0
	s_delay_alu instid0(VALU_DEP_2)
	v_dual_mov_b32 v4, v2 :: v_dual_mov_b32 v3, v1
	.p2align	6
.LBB61_241:                             ; =>This Inner Loop Header: Depth=1
	scratch_load_b128 v[15:18], v9, off offset:-8
	ds_load_b128 v[19:22], v8
	v_add_nc_u32_e32 v7, 1, v7
	v_add_nc_u32_e32 v8, 16, v8
	;; [unrolled: 1-line block ×3, first 2 shown]
	s_delay_alu instid0(VALU_DEP_3) | instskip(SKIP_4) | instid1(VALU_DEP_2)
	v_cmp_lt_u32_e32 vcc_lo, 52, v7
	s_or_b32 s3, vcc_lo, s3
	s_waitcnt vmcnt(0) lgkmcnt(0)
	v_mul_f64 v[10:11], v[21:22], v[17:18]
	v_mul_f64 v[17:18], v[19:20], v[17:18]
	v_fma_f64 v[10:11], v[19:20], v[15:16], -v[10:11]
	s_delay_alu instid0(VALU_DEP_2) | instskip(NEXT) | instid1(VALU_DEP_2)
	v_fma_f64 v[15:16], v[21:22], v[15:16], v[17:18]
	v_add_f64 v[3:4], v[3:4], v[10:11]
	s_delay_alu instid0(VALU_DEP_2)
	v_add_f64 v[1:2], v[1:2], v[15:16]
	s_and_not1_b32 exec_lo, exec_lo, s3
	s_cbranch_execnz .LBB61_241
; %bb.242:
	s_or_b32 exec_lo, exec_lo, s3
	v_mov_b32_e32 v7, 0
	ds_load_b128 v[7:10], v7 offset:864
	s_waitcnt lgkmcnt(0)
	v_mul_f64 v[11:12], v[1:2], v[9:10]
	v_mul_f64 v[15:16], v[3:4], v[9:10]
	s_delay_alu instid0(VALU_DEP_2) | instskip(NEXT) | instid1(VALU_DEP_2)
	v_fma_f64 v[9:10], v[3:4], v[7:8], -v[11:12]
	v_fma_f64 v[11:12], v[1:2], v[7:8], v[15:16]
	scratch_store_b128 off, v[9:12], off offset:864
.LBB61_243:
	s_or_b32 exec_lo, exec_lo, s2
	s_waitcnt_vscnt null, 0x0
	s_barrier
	buffer_gl0_inv
	scratch_load_b32 v1, off, off offset:1012 ; 4-byte Folded Reload
	s_mov_b32 s2, exec_lo
	s_waitcnt vmcnt(0)
	scratch_load_b128 v[1:4], v1, off
	s_waitcnt vmcnt(0)
	ds_store_b128 v5, v[1:4]
	s_waitcnt lgkmcnt(0)
	s_barrier
	buffer_gl0_inv
	v_cmpx_gt_u32_e32 55, v174
	s_cbranch_execz .LBB61_247
; %bb.244:
	v_dual_mov_b32 v1, 0 :: v_dual_add_nc_u32 v8, 0x3e0, v13
	v_dual_mov_b32 v2, 0 :: v_dual_add_nc_u32 v7, -1, v174
	v_or_b32_e32 v9, 8, v14
	s_mov_b32 s3, 0
	s_delay_alu instid0(VALU_DEP_2)
	v_dual_mov_b32 v4, v2 :: v_dual_mov_b32 v3, v1
	.p2align	6
.LBB61_245:                             ; =>This Inner Loop Header: Depth=1
	scratch_load_b128 v[15:18], v9, off offset:-8
	ds_load_b128 v[19:22], v8
	v_add_nc_u32_e32 v7, 1, v7
	v_add_nc_u32_e32 v8, 16, v8
	;; [unrolled: 1-line block ×3, first 2 shown]
	s_delay_alu instid0(VALU_DEP_3) | instskip(SKIP_4) | instid1(VALU_DEP_2)
	v_cmp_lt_u32_e32 vcc_lo, 53, v7
	s_or_b32 s3, vcc_lo, s3
	s_waitcnt vmcnt(0) lgkmcnt(0)
	v_mul_f64 v[10:11], v[21:22], v[17:18]
	v_mul_f64 v[17:18], v[19:20], v[17:18]
	v_fma_f64 v[10:11], v[19:20], v[15:16], -v[10:11]
	s_delay_alu instid0(VALU_DEP_2) | instskip(NEXT) | instid1(VALU_DEP_2)
	v_fma_f64 v[15:16], v[21:22], v[15:16], v[17:18]
	v_add_f64 v[3:4], v[3:4], v[10:11]
	s_delay_alu instid0(VALU_DEP_2)
	v_add_f64 v[1:2], v[1:2], v[15:16]
	s_and_not1_b32 exec_lo, exec_lo, s3
	s_cbranch_execnz .LBB61_245
; %bb.246:
	s_or_b32 exec_lo, exec_lo, s3
	v_mov_b32_e32 v7, 0
	ds_load_b128 v[7:10], v7 offset:880
	s_waitcnt lgkmcnt(0)
	v_mul_f64 v[11:12], v[1:2], v[9:10]
	v_mul_f64 v[15:16], v[3:4], v[9:10]
	s_delay_alu instid0(VALU_DEP_2) | instskip(NEXT) | instid1(VALU_DEP_2)
	v_fma_f64 v[9:10], v[3:4], v[7:8], -v[11:12]
	v_fma_f64 v[11:12], v[1:2], v[7:8], v[15:16]
	scratch_store_b128 off, v[9:12], off offset:880
.LBB61_247:
	s_or_b32 exec_lo, exec_lo, s2
	s_waitcnt_vscnt null, 0x0
	s_barrier
	buffer_gl0_inv
	scratch_load_b32 v1, off, off offset:1008 ; 4-byte Folded Reload
	s_mov_b32 s2, exec_lo
	s_waitcnt vmcnt(0)
	scratch_load_b128 v[1:4], v1, off
	s_waitcnt vmcnt(0)
	ds_store_b128 v5, v[1:4]
	s_waitcnt lgkmcnt(0)
	s_barrier
	buffer_gl0_inv
	v_cmpx_gt_u32_e32 56, v174
	s_cbranch_execz .LBB61_251
; %bb.248:
	v_dual_mov_b32 v1, 0 :: v_dual_add_nc_u32 v8, 0x3e0, v13
	v_dual_mov_b32 v2, 0 :: v_dual_add_nc_u32 v7, -1, v174
	v_or_b32_e32 v9, 8, v14
	s_mov_b32 s3, 0
	s_delay_alu instid0(VALU_DEP_2)
	v_dual_mov_b32 v4, v2 :: v_dual_mov_b32 v3, v1
	.p2align	6
.LBB61_249:                             ; =>This Inner Loop Header: Depth=1
	scratch_load_b128 v[15:18], v9, off offset:-8
	ds_load_b128 v[19:22], v8
	v_add_nc_u32_e32 v7, 1, v7
	v_add_nc_u32_e32 v8, 16, v8
	;; [unrolled: 1-line block ×3, first 2 shown]
	s_delay_alu instid0(VALU_DEP_3) | instskip(SKIP_4) | instid1(VALU_DEP_2)
	v_cmp_lt_u32_e32 vcc_lo, 54, v7
	s_or_b32 s3, vcc_lo, s3
	s_waitcnt vmcnt(0) lgkmcnt(0)
	v_mul_f64 v[10:11], v[21:22], v[17:18]
	v_mul_f64 v[17:18], v[19:20], v[17:18]
	v_fma_f64 v[10:11], v[19:20], v[15:16], -v[10:11]
	s_delay_alu instid0(VALU_DEP_2) | instskip(NEXT) | instid1(VALU_DEP_2)
	v_fma_f64 v[15:16], v[21:22], v[15:16], v[17:18]
	v_add_f64 v[3:4], v[3:4], v[10:11]
	s_delay_alu instid0(VALU_DEP_2)
	v_add_f64 v[1:2], v[1:2], v[15:16]
	s_and_not1_b32 exec_lo, exec_lo, s3
	s_cbranch_execnz .LBB61_249
; %bb.250:
	s_or_b32 exec_lo, exec_lo, s3
	v_mov_b32_e32 v7, 0
	ds_load_b128 v[7:10], v7 offset:896
	s_waitcnt lgkmcnt(0)
	v_mul_f64 v[11:12], v[1:2], v[9:10]
	v_mul_f64 v[15:16], v[3:4], v[9:10]
	s_delay_alu instid0(VALU_DEP_2) | instskip(NEXT) | instid1(VALU_DEP_2)
	v_fma_f64 v[9:10], v[3:4], v[7:8], -v[11:12]
	v_fma_f64 v[11:12], v[1:2], v[7:8], v[15:16]
	scratch_store_b128 off, v[9:12], off offset:896
.LBB61_251:
	s_or_b32 exec_lo, exec_lo, s2
	s_waitcnt_vscnt null, 0x0
	s_barrier
	buffer_gl0_inv
	scratch_load_b32 v1, off, off offset:1004 ; 4-byte Folded Reload
	s_mov_b32 s2, exec_lo
	s_waitcnt vmcnt(0)
	scratch_load_b128 v[1:4], v1, off
	s_waitcnt vmcnt(0)
	ds_store_b128 v5, v[1:4]
	s_waitcnt lgkmcnt(0)
	s_barrier
	buffer_gl0_inv
	v_cmpx_gt_u32_e32 57, v174
	s_cbranch_execz .LBB61_255
; %bb.252:
	v_dual_mov_b32 v1, 0 :: v_dual_add_nc_u32 v8, 0x3e0, v13
	v_dual_mov_b32 v2, 0 :: v_dual_add_nc_u32 v7, -1, v174
	v_or_b32_e32 v9, 8, v14
	s_mov_b32 s3, 0
	s_delay_alu instid0(VALU_DEP_2)
	v_dual_mov_b32 v4, v2 :: v_dual_mov_b32 v3, v1
	.p2align	6
.LBB61_253:                             ; =>This Inner Loop Header: Depth=1
	scratch_load_b128 v[15:18], v9, off offset:-8
	ds_load_b128 v[19:22], v8
	v_add_nc_u32_e32 v7, 1, v7
	v_add_nc_u32_e32 v8, 16, v8
	;; [unrolled: 1-line block ×3, first 2 shown]
	s_delay_alu instid0(VALU_DEP_3) | instskip(SKIP_4) | instid1(VALU_DEP_2)
	v_cmp_lt_u32_e32 vcc_lo, 55, v7
	s_or_b32 s3, vcc_lo, s3
	s_waitcnt vmcnt(0) lgkmcnt(0)
	v_mul_f64 v[10:11], v[21:22], v[17:18]
	v_mul_f64 v[17:18], v[19:20], v[17:18]
	v_fma_f64 v[10:11], v[19:20], v[15:16], -v[10:11]
	s_delay_alu instid0(VALU_DEP_2) | instskip(NEXT) | instid1(VALU_DEP_2)
	v_fma_f64 v[15:16], v[21:22], v[15:16], v[17:18]
	v_add_f64 v[3:4], v[3:4], v[10:11]
	s_delay_alu instid0(VALU_DEP_2)
	v_add_f64 v[1:2], v[1:2], v[15:16]
	s_and_not1_b32 exec_lo, exec_lo, s3
	s_cbranch_execnz .LBB61_253
; %bb.254:
	s_or_b32 exec_lo, exec_lo, s3
	v_mov_b32_e32 v7, 0
	ds_load_b128 v[7:10], v7 offset:912
	s_waitcnt lgkmcnt(0)
	v_mul_f64 v[11:12], v[1:2], v[9:10]
	v_mul_f64 v[15:16], v[3:4], v[9:10]
	s_delay_alu instid0(VALU_DEP_2) | instskip(NEXT) | instid1(VALU_DEP_2)
	v_fma_f64 v[9:10], v[3:4], v[7:8], -v[11:12]
	v_fma_f64 v[11:12], v[1:2], v[7:8], v[15:16]
	scratch_store_b128 off, v[9:12], off offset:912
.LBB61_255:
	s_or_b32 exec_lo, exec_lo, s2
	s_waitcnt_vscnt null, 0x0
	s_barrier
	buffer_gl0_inv
	scratch_load_b32 v1, off, off offset:1000 ; 4-byte Folded Reload
	s_mov_b32 s2, exec_lo
	s_waitcnt vmcnt(0)
	scratch_load_b128 v[1:4], v1, off
	s_waitcnt vmcnt(0)
	ds_store_b128 v5, v[1:4]
	s_waitcnt lgkmcnt(0)
	s_barrier
	buffer_gl0_inv
	v_cmpx_gt_u32_e32 58, v174
	s_cbranch_execz .LBB61_259
; %bb.256:
	v_dual_mov_b32 v1, 0 :: v_dual_add_nc_u32 v8, 0x3e0, v13
	v_dual_mov_b32 v2, 0 :: v_dual_add_nc_u32 v7, -1, v174
	v_or_b32_e32 v9, 8, v14
	s_mov_b32 s3, 0
	s_delay_alu instid0(VALU_DEP_2)
	v_dual_mov_b32 v4, v2 :: v_dual_mov_b32 v3, v1
	.p2align	6
.LBB61_257:                             ; =>This Inner Loop Header: Depth=1
	scratch_load_b128 v[15:18], v9, off offset:-8
	ds_load_b128 v[19:22], v8
	v_add_nc_u32_e32 v7, 1, v7
	v_add_nc_u32_e32 v8, 16, v8
	;; [unrolled: 1-line block ×3, first 2 shown]
	s_delay_alu instid0(VALU_DEP_3) | instskip(SKIP_4) | instid1(VALU_DEP_2)
	v_cmp_lt_u32_e32 vcc_lo, 56, v7
	s_or_b32 s3, vcc_lo, s3
	s_waitcnt vmcnt(0) lgkmcnt(0)
	v_mul_f64 v[10:11], v[21:22], v[17:18]
	v_mul_f64 v[17:18], v[19:20], v[17:18]
	v_fma_f64 v[10:11], v[19:20], v[15:16], -v[10:11]
	s_delay_alu instid0(VALU_DEP_2) | instskip(NEXT) | instid1(VALU_DEP_2)
	v_fma_f64 v[15:16], v[21:22], v[15:16], v[17:18]
	v_add_f64 v[3:4], v[3:4], v[10:11]
	s_delay_alu instid0(VALU_DEP_2)
	v_add_f64 v[1:2], v[1:2], v[15:16]
	s_and_not1_b32 exec_lo, exec_lo, s3
	s_cbranch_execnz .LBB61_257
; %bb.258:
	s_or_b32 exec_lo, exec_lo, s3
	v_mov_b32_e32 v7, 0
	ds_load_b128 v[7:10], v7 offset:928
	s_waitcnt lgkmcnt(0)
	v_mul_f64 v[11:12], v[1:2], v[9:10]
	v_mul_f64 v[15:16], v[3:4], v[9:10]
	s_delay_alu instid0(VALU_DEP_2) | instskip(NEXT) | instid1(VALU_DEP_2)
	v_fma_f64 v[9:10], v[3:4], v[7:8], -v[11:12]
	v_fma_f64 v[11:12], v[1:2], v[7:8], v[15:16]
	scratch_store_b128 off, v[9:12], off offset:928
.LBB61_259:
	s_or_b32 exec_lo, exec_lo, s2
	s_waitcnt_vscnt null, 0x0
	s_barrier
	buffer_gl0_inv
	scratch_load_b32 v1, off, off offset:996 ; 4-byte Folded Reload
	s_mov_b32 s2, exec_lo
	s_waitcnt vmcnt(0)
	scratch_load_b128 v[1:4], v1, off
	s_waitcnt vmcnt(0)
	ds_store_b128 v5, v[1:4]
	s_waitcnt lgkmcnt(0)
	s_barrier
	buffer_gl0_inv
	v_cmpx_gt_u32_e32 59, v174
	s_cbranch_execz .LBB61_263
; %bb.260:
	v_dual_mov_b32 v1, 0 :: v_dual_add_nc_u32 v8, 0x3e0, v13
	v_dual_mov_b32 v2, 0 :: v_dual_add_nc_u32 v7, -1, v174
	v_or_b32_e32 v9, 8, v14
	s_mov_b32 s3, 0
	s_delay_alu instid0(VALU_DEP_2)
	v_dual_mov_b32 v4, v2 :: v_dual_mov_b32 v3, v1
	.p2align	6
.LBB61_261:                             ; =>This Inner Loop Header: Depth=1
	scratch_load_b128 v[15:18], v9, off offset:-8
	ds_load_b128 v[19:22], v8
	v_add_nc_u32_e32 v7, 1, v7
	v_add_nc_u32_e32 v8, 16, v8
	;; [unrolled: 1-line block ×3, first 2 shown]
	s_delay_alu instid0(VALU_DEP_3) | instskip(SKIP_4) | instid1(VALU_DEP_2)
	v_cmp_lt_u32_e32 vcc_lo, 57, v7
	s_or_b32 s3, vcc_lo, s3
	s_waitcnt vmcnt(0) lgkmcnt(0)
	v_mul_f64 v[10:11], v[21:22], v[17:18]
	v_mul_f64 v[17:18], v[19:20], v[17:18]
	v_fma_f64 v[10:11], v[19:20], v[15:16], -v[10:11]
	s_delay_alu instid0(VALU_DEP_2) | instskip(NEXT) | instid1(VALU_DEP_2)
	v_fma_f64 v[15:16], v[21:22], v[15:16], v[17:18]
	v_add_f64 v[3:4], v[3:4], v[10:11]
	s_delay_alu instid0(VALU_DEP_2)
	v_add_f64 v[1:2], v[1:2], v[15:16]
	s_and_not1_b32 exec_lo, exec_lo, s3
	s_cbranch_execnz .LBB61_261
; %bb.262:
	s_or_b32 exec_lo, exec_lo, s3
	v_mov_b32_e32 v7, 0
	ds_load_b128 v[7:10], v7 offset:944
	s_waitcnt lgkmcnt(0)
	v_mul_f64 v[11:12], v[1:2], v[9:10]
	v_mul_f64 v[15:16], v[3:4], v[9:10]
	s_delay_alu instid0(VALU_DEP_2) | instskip(NEXT) | instid1(VALU_DEP_2)
	v_fma_f64 v[9:10], v[3:4], v[7:8], -v[11:12]
	v_fma_f64 v[11:12], v[1:2], v[7:8], v[15:16]
	scratch_store_b128 off, v[9:12], off offset:944
.LBB61_263:
	s_or_b32 exec_lo, exec_lo, s2
	s_waitcnt_vscnt null, 0x0
	s_barrier
	buffer_gl0_inv
	scratch_load_b32 v1, off, off offset:992 ; 4-byte Folded Reload
	s_mov_b32 s2, exec_lo
	s_waitcnt vmcnt(0)
	scratch_load_b128 v[1:4], v1, off
	s_waitcnt vmcnt(0)
	ds_store_b128 v5, v[1:4]
	s_waitcnt lgkmcnt(0)
	s_barrier
	buffer_gl0_inv
	v_cmpx_gt_u32_e32 60, v174
	s_cbranch_execz .LBB61_267
; %bb.264:
	v_dual_mov_b32 v1, 0 :: v_dual_add_nc_u32 v8, 0x3e0, v13
	v_dual_mov_b32 v2, 0 :: v_dual_add_nc_u32 v7, -1, v174
	v_or_b32_e32 v9, 8, v14
	s_mov_b32 s3, 0
	s_delay_alu instid0(VALU_DEP_2)
	v_dual_mov_b32 v4, v2 :: v_dual_mov_b32 v3, v1
	.p2align	6
.LBB61_265:                             ; =>This Inner Loop Header: Depth=1
	scratch_load_b128 v[10:13], v9, off offset:-8
	ds_load_b128 v[15:18], v8
	v_add_nc_u32_e32 v7, 1, v7
	v_add_nc_u32_e32 v8, 16, v8
	;; [unrolled: 1-line block ×3, first 2 shown]
	s_delay_alu instid0(VALU_DEP_3) | instskip(SKIP_4) | instid1(VALU_DEP_2)
	v_cmp_lt_u32_e32 vcc_lo, 58, v7
	s_or_b32 s3, vcc_lo, s3
	s_waitcnt vmcnt(0) lgkmcnt(0)
	v_mul_f64 v[19:20], v[17:18], v[12:13]
	v_mul_f64 v[12:13], v[15:16], v[12:13]
	v_fma_f64 v[15:16], v[15:16], v[10:11], -v[19:20]
	s_delay_alu instid0(VALU_DEP_2) | instskip(NEXT) | instid1(VALU_DEP_2)
	v_fma_f64 v[10:11], v[17:18], v[10:11], v[12:13]
	v_add_f64 v[3:4], v[3:4], v[15:16]
	s_delay_alu instid0(VALU_DEP_2)
	v_add_f64 v[1:2], v[1:2], v[10:11]
	s_and_not1_b32 exec_lo, exec_lo, s3
	s_cbranch_execnz .LBB61_265
; %bb.266:
	s_or_b32 exec_lo, exec_lo, s3
	v_mov_b32_e32 v7, 0
	ds_load_b128 v[7:10], v7 offset:960
	s_waitcnt lgkmcnt(0)
	v_mul_f64 v[11:12], v[1:2], v[9:10]
	v_mul_f64 v[15:16], v[3:4], v[9:10]
	s_delay_alu instid0(VALU_DEP_2) | instskip(NEXT) | instid1(VALU_DEP_2)
	v_fma_f64 v[9:10], v[3:4], v[7:8], -v[11:12]
	v_fma_f64 v[11:12], v[1:2], v[7:8], v[15:16]
	scratch_store_b128 off, v[9:12], off offset:960
.LBB61_267:
	s_or_b32 exec_lo, exec_lo, s2
	s_waitcnt_vscnt null, 0x0
	s_barrier
	buffer_gl0_inv
	scratch_load_b128 v[1:4], v255, off
	s_mov_b32 s2, exec_lo
	s_waitcnt vmcnt(0)
	ds_store_b128 v5, v[1:4]
	s_waitcnt lgkmcnt(0)
	s_barrier
	buffer_gl0_inv
	v_cmpx_ne_u32_e32 61, v174
	s_cbranch_execz .LBB61_271
; %bb.268:
	v_mov_b32_e32 v1, 0
	v_mov_b32_e32 v2, 0
	v_or_b32_e32 v7, 8, v14
	s_mov_b32 s3, 0
	s_delay_alu instid0(VALU_DEP_2)
	v_dual_mov_b32 v4, v2 :: v_dual_mov_b32 v3, v1
	.p2align	6
.LBB61_269:                             ; =>This Inner Loop Header: Depth=1
	scratch_load_b128 v[8:11], v7, off offset:-8
	ds_load_b128 v[12:15], v5
	v_add_nc_u32_e32 v6, 1, v6
	v_add_nc_u32_e32 v5, 16, v5
	;; [unrolled: 1-line block ×3, first 2 shown]
	s_delay_alu instid0(VALU_DEP_3) | instskip(SKIP_4) | instid1(VALU_DEP_2)
	v_cmp_lt_u32_e32 vcc_lo, 59, v6
	s_or_b32 s3, vcc_lo, s3
	s_waitcnt vmcnt(0) lgkmcnt(0)
	v_mul_f64 v[16:17], v[14:15], v[10:11]
	v_mul_f64 v[10:11], v[12:13], v[10:11]
	v_fma_f64 v[12:13], v[12:13], v[8:9], -v[16:17]
	s_delay_alu instid0(VALU_DEP_2) | instskip(NEXT) | instid1(VALU_DEP_2)
	v_fma_f64 v[8:9], v[14:15], v[8:9], v[10:11]
	v_add_f64 v[3:4], v[3:4], v[12:13]
	s_delay_alu instid0(VALU_DEP_2)
	v_add_f64 v[1:2], v[1:2], v[8:9]
	s_and_not1_b32 exec_lo, exec_lo, s3
	s_cbranch_execnz .LBB61_269
; %bb.270:
	s_or_b32 exec_lo, exec_lo, s3
	v_mov_b32_e32 v5, 0
	ds_load_b128 v[5:8], v5 offset:976
	s_waitcnt lgkmcnt(0)
	v_mul_f64 v[9:10], v[1:2], v[7:8]
	v_mul_f64 v[7:8], v[3:4], v[7:8]
	s_delay_alu instid0(VALU_DEP_2) | instskip(NEXT) | instid1(VALU_DEP_2)
	v_fma_f64 v[3:4], v[3:4], v[5:6], -v[9:10]
	v_fma_f64 v[5:6], v[1:2], v[5:6], v[7:8]
	scratch_store_b128 off, v[3:6], off offset:976
.LBB61_271:
	s_or_b32 exec_lo, exec_lo, s2
	s_mov_b32 s3, -1
	s_waitcnt_vscnt null, 0x0
	s_barrier
	buffer_gl0_inv
.LBB61_272:
	s_and_b32 vcc_lo, exec_lo, s3
	s_cbranch_vccz .LBB61_274
; %bb.273:
	s_lshl_b64 s[2:3], s[18:19], 2
	v_mov_b32_e32 v1, 0
	s_add_u32 s2, s6, s2
	s_addc_u32 s3, s7, s3
	global_load_b32 v1, v1, s[2:3]
	s_waitcnt vmcnt(0)
	v_cmp_ne_u32_e32 vcc_lo, 0, v1
	s_cbranch_vccz .LBB61_275
.LBB61_274:
	s_endpgm
.LBB61_275:
	v_lshl_add_u32 v236, v174, 4, 0x3e0
	s_mov_b32 s2, exec_lo
	v_cmpx_eq_u32_e32 61, v174
	s_cbranch_execz .LBB61_277
; %bb.276:
	scratch_load_b32 v1, off, off offset:992 ; 4-byte Folded Reload
	v_mov_b32_e32 v5, 0
	s_delay_alu instid0(VALU_DEP_1)
	v_mov_b32_e32 v6, v5
	v_mov_b32_e32 v7, v5
	;; [unrolled: 1-line block ×3, first 2 shown]
	s_waitcnt vmcnt(0)
	scratch_load_b128 v[1:4], v1, off
	scratch_store_b128 off, v[5:8], off offset:960
	s_waitcnt vmcnt(0)
	ds_store_b128 v236, v[1:4]
.LBB61_277:
	s_or_b32 exec_lo, exec_lo, s2
	s_waitcnt lgkmcnt(0)
	s_waitcnt_vscnt null, 0x0
	s_barrier
	buffer_gl0_inv
	s_clause 0x1
	scratch_load_b128 v[2:5], off, off offset:976
	scratch_load_b128 v[6:9], off, off offset:960
	v_mov_b32_e32 v1, 0
	s_mov_b32 s2, exec_lo
	ds_load_b128 v[10:13], v1 offset:1968
	s_waitcnt vmcnt(1) lgkmcnt(0)
	v_mul_f64 v[14:15], v[12:13], v[4:5]
	v_mul_f64 v[4:5], v[10:11], v[4:5]
	s_delay_alu instid0(VALU_DEP_2) | instskip(NEXT) | instid1(VALU_DEP_2)
	v_fma_f64 v[10:11], v[10:11], v[2:3], -v[14:15]
	v_fma_f64 v[2:3], v[12:13], v[2:3], v[4:5]
	s_delay_alu instid0(VALU_DEP_2) | instskip(NEXT) | instid1(VALU_DEP_2)
	v_add_f64 v[4:5], v[10:11], 0
	v_add_f64 v[10:11], v[2:3], 0
	s_waitcnt vmcnt(0)
	s_delay_alu instid0(VALU_DEP_2) | instskip(NEXT) | instid1(VALU_DEP_2)
	v_add_f64 v[2:3], v[6:7], -v[4:5]
	v_add_f64 v[4:5], v[8:9], -v[10:11]
	scratch_store_b128 off, v[2:5], off offset:960
	v_cmpx_lt_u32_e32 59, v174
	s_cbranch_execz .LBB61_279
; %bb.278:
	scratch_load_b32 v2, off, off offset:996 ; 4-byte Folded Reload
	v_mov_b32_e32 v3, v1
	v_mov_b32_e32 v4, v1
	s_waitcnt vmcnt(0)
	scratch_load_b128 v[5:8], v2, off
	v_mov_b32_e32 v2, v1
	scratch_store_b128 off, v[1:4], off offset:944
	s_waitcnt vmcnt(0)
	ds_store_b128 v236, v[5:8]
.LBB61_279:
	s_or_b32 exec_lo, exec_lo, s2
	s_waitcnt lgkmcnt(0)
	s_waitcnt_vscnt null, 0x0
	s_barrier
	buffer_gl0_inv
	s_clause 0x2
	scratch_load_b128 v[2:5], off, off offset:960
	scratch_load_b128 v[6:9], off, off offset:976
	;; [unrolled: 1-line block ×3, first 2 shown]
	ds_load_b128 v[14:17], v1 offset:1952
	ds_load_b128 v[18:21], v1 offset:1968
	s_mov_b32 s2, exec_lo
	s_waitcnt vmcnt(2) lgkmcnt(1)
	v_mul_f64 v[22:23], v[16:17], v[4:5]
	v_mul_f64 v[4:5], v[14:15], v[4:5]
	s_waitcnt vmcnt(1) lgkmcnt(0)
	v_mul_f64 v[24:25], v[18:19], v[8:9]
	v_mul_f64 v[8:9], v[20:21], v[8:9]
	s_delay_alu instid0(VALU_DEP_4) | instskip(NEXT) | instid1(VALU_DEP_4)
	v_fma_f64 v[14:15], v[14:15], v[2:3], -v[22:23]
	v_fma_f64 v[1:2], v[16:17], v[2:3], v[4:5]
	s_delay_alu instid0(VALU_DEP_4) | instskip(NEXT) | instid1(VALU_DEP_4)
	v_fma_f64 v[3:4], v[20:21], v[6:7], v[24:25]
	v_fma_f64 v[5:6], v[18:19], v[6:7], -v[8:9]
	s_delay_alu instid0(VALU_DEP_4) | instskip(NEXT) | instid1(VALU_DEP_4)
	v_add_f64 v[7:8], v[14:15], 0
	v_add_f64 v[1:2], v[1:2], 0
	s_delay_alu instid0(VALU_DEP_2) | instskip(NEXT) | instid1(VALU_DEP_2)
	v_add_f64 v[5:6], v[7:8], v[5:6]
	v_add_f64 v[3:4], v[1:2], v[3:4]
	s_waitcnt vmcnt(0)
	s_delay_alu instid0(VALU_DEP_2) | instskip(NEXT) | instid1(VALU_DEP_2)
	v_add_f64 v[1:2], v[10:11], -v[5:6]
	v_add_f64 v[3:4], v[12:13], -v[3:4]
	scratch_store_b128 off, v[1:4], off offset:944
	v_cmpx_lt_u32_e32 58, v174
	s_cbranch_execz .LBB61_281
; %bb.280:
	scratch_load_b32 v1, off, off offset:1000 ; 4-byte Folded Reload
	v_mov_b32_e32 v5, 0
	s_delay_alu instid0(VALU_DEP_1)
	v_mov_b32_e32 v6, v5
	v_mov_b32_e32 v7, v5
	;; [unrolled: 1-line block ×3, first 2 shown]
	s_waitcnt vmcnt(0)
	scratch_load_b128 v[1:4], v1, off
	scratch_store_b128 off, v[5:8], off offset:928
	s_waitcnt vmcnt(0)
	ds_store_b128 v236, v[1:4]
.LBB61_281:
	s_or_b32 exec_lo, exec_lo, s2
	s_waitcnt lgkmcnt(0)
	s_waitcnt_vscnt null, 0x0
	s_barrier
	buffer_gl0_inv
	s_clause 0x3
	scratch_load_b128 v[2:5], off, off offset:944
	scratch_load_b128 v[6:9], off, off offset:960
	;; [unrolled: 1-line block ×4, first 2 shown]
	v_mov_b32_e32 v1, 0
	ds_load_b128 v[18:21], v1 offset:1936
	ds_load_b128 v[22:25], v1 offset:1952
	s_mov_b32 s2, exec_lo
	s_waitcnt vmcnt(3) lgkmcnt(1)
	v_mul_f64 v[26:27], v[20:21], v[4:5]
	v_mul_f64 v[4:5], v[18:19], v[4:5]
	s_waitcnt vmcnt(2) lgkmcnt(0)
	v_mul_f64 v[28:29], v[22:23], v[8:9]
	v_mul_f64 v[8:9], v[24:25], v[8:9]
	s_delay_alu instid0(VALU_DEP_4) | instskip(NEXT) | instid1(VALU_DEP_4)
	v_fma_f64 v[18:19], v[18:19], v[2:3], -v[26:27]
	v_fma_f64 v[20:21], v[20:21], v[2:3], v[4:5]
	ds_load_b128 v[2:5], v1 offset:1968
	v_fma_f64 v[24:25], v[24:25], v[6:7], v[28:29]
	v_fma_f64 v[6:7], v[22:23], v[6:7], -v[8:9]
	s_waitcnt vmcnt(1) lgkmcnt(0)
	v_mul_f64 v[26:27], v[2:3], v[12:13]
	v_mul_f64 v[12:13], v[4:5], v[12:13]
	v_add_f64 v[8:9], v[18:19], 0
	v_add_f64 v[18:19], v[20:21], 0
	s_delay_alu instid0(VALU_DEP_4) | instskip(NEXT) | instid1(VALU_DEP_4)
	v_fma_f64 v[4:5], v[4:5], v[10:11], v[26:27]
	v_fma_f64 v[2:3], v[2:3], v[10:11], -v[12:13]
	s_delay_alu instid0(VALU_DEP_4) | instskip(NEXT) | instid1(VALU_DEP_4)
	v_add_f64 v[6:7], v[8:9], v[6:7]
	v_add_f64 v[8:9], v[18:19], v[24:25]
	s_delay_alu instid0(VALU_DEP_2) | instskip(NEXT) | instid1(VALU_DEP_2)
	v_add_f64 v[2:3], v[6:7], v[2:3]
	v_add_f64 v[4:5], v[8:9], v[4:5]
	s_waitcnt vmcnt(0)
	s_delay_alu instid0(VALU_DEP_2) | instskip(NEXT) | instid1(VALU_DEP_2)
	v_add_f64 v[2:3], v[14:15], -v[2:3]
	v_add_f64 v[4:5], v[16:17], -v[4:5]
	scratch_store_b128 off, v[2:5], off offset:928
	v_cmpx_lt_u32_e32 57, v174
	s_cbranch_execz .LBB61_283
; %bb.282:
	scratch_load_b32 v2, off, off offset:1004 ; 4-byte Folded Reload
	v_mov_b32_e32 v3, v1
	v_mov_b32_e32 v4, v1
	s_waitcnt vmcnt(0)
	scratch_load_b128 v[5:8], v2, off
	v_mov_b32_e32 v2, v1
	scratch_store_b128 off, v[1:4], off offset:912
	s_waitcnt vmcnt(0)
	ds_store_b128 v236, v[5:8]
.LBB61_283:
	s_or_b32 exec_lo, exec_lo, s2
	s_waitcnt lgkmcnt(0)
	s_waitcnt_vscnt null, 0x0
	s_barrier
	buffer_gl0_inv
	s_clause 0x4
	scratch_load_b128 v[2:5], off, off offset:928
	scratch_load_b128 v[6:9], off, off offset:944
	scratch_load_b128 v[10:13], off, off offset:960
	scratch_load_b128 v[14:17], off, off offset:976
	scratch_load_b128 v[18:21], off, off offset:912
	ds_load_b128 v[22:25], v1 offset:1920
	ds_load_b128 v[26:29], v1 offset:1936
	s_mov_b32 s2, exec_lo
	s_waitcnt vmcnt(4) lgkmcnt(1)
	v_mul_f64 v[30:31], v[24:25], v[4:5]
	v_mul_f64 v[4:5], v[22:23], v[4:5]
	s_waitcnt vmcnt(3) lgkmcnt(0)
	v_mul_f64 v[32:33], v[26:27], v[8:9]
	v_mul_f64 v[8:9], v[28:29], v[8:9]
	s_delay_alu instid0(VALU_DEP_4) | instskip(NEXT) | instid1(VALU_DEP_4)
	v_fma_f64 v[30:31], v[22:23], v[2:3], -v[30:31]
	v_fma_f64 v[34:35], v[24:25], v[2:3], v[4:5]
	ds_load_b128 v[2:5], v1 offset:1952
	ds_load_b128 v[22:25], v1 offset:1968
	v_fma_f64 v[28:29], v[28:29], v[6:7], v[32:33]
	v_fma_f64 v[6:7], v[26:27], v[6:7], -v[8:9]
	s_waitcnt vmcnt(2) lgkmcnt(1)
	v_mul_f64 v[36:37], v[2:3], v[12:13]
	v_mul_f64 v[12:13], v[4:5], v[12:13]
	v_add_f64 v[8:9], v[30:31], 0
	v_add_f64 v[26:27], v[34:35], 0
	s_waitcnt vmcnt(1) lgkmcnt(0)
	v_mul_f64 v[30:31], v[22:23], v[16:17]
	v_mul_f64 v[16:17], v[24:25], v[16:17]
	v_fma_f64 v[4:5], v[4:5], v[10:11], v[36:37]
	v_fma_f64 v[1:2], v[2:3], v[10:11], -v[12:13]
	v_add_f64 v[6:7], v[8:9], v[6:7]
	v_add_f64 v[8:9], v[26:27], v[28:29]
	v_fma_f64 v[10:11], v[24:25], v[14:15], v[30:31]
	v_fma_f64 v[12:13], v[22:23], v[14:15], -v[16:17]
	s_delay_alu instid0(VALU_DEP_4) | instskip(NEXT) | instid1(VALU_DEP_4)
	v_add_f64 v[1:2], v[6:7], v[1:2]
	v_add_f64 v[3:4], v[8:9], v[4:5]
	s_delay_alu instid0(VALU_DEP_2) | instskip(NEXT) | instid1(VALU_DEP_2)
	v_add_f64 v[1:2], v[1:2], v[12:13]
	v_add_f64 v[3:4], v[3:4], v[10:11]
	s_waitcnt vmcnt(0)
	s_delay_alu instid0(VALU_DEP_2) | instskip(NEXT) | instid1(VALU_DEP_2)
	v_add_f64 v[1:2], v[18:19], -v[1:2]
	v_add_f64 v[3:4], v[20:21], -v[3:4]
	scratch_store_b128 off, v[1:4], off offset:912
	v_cmpx_lt_u32_e32 56, v174
	s_cbranch_execz .LBB61_285
; %bb.284:
	scratch_load_b32 v1, off, off offset:1008 ; 4-byte Folded Reload
	v_mov_b32_e32 v5, 0
	s_delay_alu instid0(VALU_DEP_1)
	v_mov_b32_e32 v6, v5
	v_mov_b32_e32 v7, v5
	v_mov_b32_e32 v8, v5
	s_waitcnt vmcnt(0)
	scratch_load_b128 v[1:4], v1, off
	scratch_store_b128 off, v[5:8], off offset:896
	s_waitcnt vmcnt(0)
	ds_store_b128 v236, v[1:4]
.LBB61_285:
	s_or_b32 exec_lo, exec_lo, s2
	s_waitcnt lgkmcnt(0)
	s_waitcnt_vscnt null, 0x0
	s_barrier
	buffer_gl0_inv
	s_clause 0x5
	scratch_load_b128 v[2:5], off, off offset:912
	scratch_load_b128 v[6:9], off, off offset:928
	;; [unrolled: 1-line block ×6, first 2 shown]
	v_mov_b32_e32 v1, 0
	ds_load_b128 v[26:29], v1 offset:1904
	ds_load_b128 v[30:33], v1 offset:1920
	s_mov_b32 s2, exec_lo
	s_waitcnt vmcnt(5) lgkmcnt(1)
	v_mul_f64 v[34:35], v[28:29], v[4:5]
	v_mul_f64 v[4:5], v[26:27], v[4:5]
	s_waitcnt vmcnt(4) lgkmcnt(0)
	v_mul_f64 v[36:37], v[30:31], v[8:9]
	v_mul_f64 v[8:9], v[32:33], v[8:9]
	s_delay_alu instid0(VALU_DEP_4) | instskip(NEXT) | instid1(VALU_DEP_4)
	v_fma_f64 v[34:35], v[26:27], v[2:3], -v[34:35]
	v_fma_f64 v[38:39], v[28:29], v[2:3], v[4:5]
	ds_load_b128 v[2:5], v1 offset:1936
	ds_load_b128 v[26:29], v1 offset:1952
	v_fma_f64 v[32:33], v[32:33], v[6:7], v[36:37]
	v_fma_f64 v[6:7], v[30:31], v[6:7], -v[8:9]
	s_waitcnt vmcnt(3) lgkmcnt(1)
	v_mul_f64 v[40:41], v[2:3], v[12:13]
	v_mul_f64 v[12:13], v[4:5], v[12:13]
	v_add_f64 v[8:9], v[34:35], 0
	v_add_f64 v[30:31], v[38:39], 0
	s_waitcnt vmcnt(2) lgkmcnt(0)
	v_mul_f64 v[34:35], v[26:27], v[16:17]
	v_mul_f64 v[16:17], v[28:29], v[16:17]
	v_fma_f64 v[36:37], v[4:5], v[10:11], v[40:41]
	v_fma_f64 v[10:11], v[2:3], v[10:11], -v[12:13]
	ds_load_b128 v[2:5], v1 offset:1968
	v_add_f64 v[6:7], v[8:9], v[6:7]
	v_add_f64 v[8:9], v[30:31], v[32:33]
	v_fma_f64 v[28:29], v[28:29], v[14:15], v[34:35]
	v_fma_f64 v[14:15], v[26:27], v[14:15], -v[16:17]
	s_waitcnt vmcnt(1) lgkmcnt(0)
	v_mul_f64 v[12:13], v[2:3], v[20:21]
	v_mul_f64 v[20:21], v[4:5], v[20:21]
	v_add_f64 v[6:7], v[6:7], v[10:11]
	v_add_f64 v[8:9], v[8:9], v[36:37]
	s_delay_alu instid0(VALU_DEP_4) | instskip(NEXT) | instid1(VALU_DEP_4)
	v_fma_f64 v[4:5], v[4:5], v[18:19], v[12:13]
	v_fma_f64 v[2:3], v[2:3], v[18:19], -v[20:21]
	s_delay_alu instid0(VALU_DEP_4) | instskip(NEXT) | instid1(VALU_DEP_4)
	v_add_f64 v[6:7], v[6:7], v[14:15]
	v_add_f64 v[8:9], v[8:9], v[28:29]
	s_delay_alu instid0(VALU_DEP_2) | instskip(NEXT) | instid1(VALU_DEP_2)
	v_add_f64 v[2:3], v[6:7], v[2:3]
	v_add_f64 v[4:5], v[8:9], v[4:5]
	s_waitcnt vmcnt(0)
	s_delay_alu instid0(VALU_DEP_2) | instskip(NEXT) | instid1(VALU_DEP_2)
	v_add_f64 v[2:3], v[22:23], -v[2:3]
	v_add_f64 v[4:5], v[24:25], -v[4:5]
	scratch_store_b128 off, v[2:5], off offset:896
	v_cmpx_lt_u32_e32 55, v174
	s_cbranch_execz .LBB61_287
; %bb.286:
	scratch_load_b32 v2, off, off offset:1012 ; 4-byte Folded Reload
	v_mov_b32_e32 v3, v1
	v_mov_b32_e32 v4, v1
	s_waitcnt vmcnt(0)
	scratch_load_b128 v[5:8], v2, off
	v_mov_b32_e32 v2, v1
	scratch_store_b128 off, v[1:4], off offset:880
	s_waitcnt vmcnt(0)
	ds_store_b128 v236, v[5:8]
.LBB61_287:
	s_or_b32 exec_lo, exec_lo, s2
	s_waitcnt lgkmcnt(0)
	s_waitcnt_vscnt null, 0x0
	s_barrier
	buffer_gl0_inv
	s_clause 0x5
	scratch_load_b128 v[2:5], off, off offset:896
	scratch_load_b128 v[6:9], off, off offset:912
	;; [unrolled: 1-line block ×6, first 2 shown]
	ds_load_b128 v[26:29], v1 offset:1888
	ds_load_b128 v[34:37], v1 offset:1904
	scratch_load_b128 v[30:33], off, off offset:880
	s_mov_b32 s2, exec_lo
	s_waitcnt vmcnt(6) lgkmcnt(1)
	v_mul_f64 v[38:39], v[28:29], v[4:5]
	v_mul_f64 v[4:5], v[26:27], v[4:5]
	s_waitcnt vmcnt(5) lgkmcnt(0)
	v_mul_f64 v[40:41], v[34:35], v[8:9]
	v_mul_f64 v[8:9], v[36:37], v[8:9]
	s_delay_alu instid0(VALU_DEP_4) | instskip(NEXT) | instid1(VALU_DEP_4)
	v_fma_f64 v[38:39], v[26:27], v[2:3], -v[38:39]
	v_fma_f64 v[42:43], v[28:29], v[2:3], v[4:5]
	ds_load_b128 v[2:5], v1 offset:1920
	ds_load_b128 v[26:29], v1 offset:1936
	v_fma_f64 v[36:37], v[36:37], v[6:7], v[40:41]
	v_fma_f64 v[6:7], v[34:35], v[6:7], -v[8:9]
	s_waitcnt vmcnt(4) lgkmcnt(1)
	v_mul_f64 v[44:45], v[2:3], v[12:13]
	v_mul_f64 v[12:13], v[4:5], v[12:13]
	v_add_f64 v[8:9], v[38:39], 0
	v_add_f64 v[34:35], v[42:43], 0
	s_waitcnt vmcnt(3) lgkmcnt(0)
	v_mul_f64 v[38:39], v[26:27], v[16:17]
	v_mul_f64 v[16:17], v[28:29], v[16:17]
	v_fma_f64 v[40:41], v[4:5], v[10:11], v[44:45]
	v_fma_f64 v[10:11], v[2:3], v[10:11], -v[12:13]
	v_add_f64 v[12:13], v[8:9], v[6:7]
	v_add_f64 v[34:35], v[34:35], v[36:37]
	ds_load_b128 v[2:5], v1 offset:1952
	ds_load_b128 v[6:9], v1 offset:1968
	v_fma_f64 v[28:29], v[28:29], v[14:15], v[38:39]
	v_fma_f64 v[14:15], v[26:27], v[14:15], -v[16:17]
	s_waitcnt vmcnt(2) lgkmcnt(1)
	v_mul_f64 v[36:37], v[2:3], v[20:21]
	v_mul_f64 v[20:21], v[4:5], v[20:21]
	s_waitcnt vmcnt(1) lgkmcnt(0)
	v_mul_f64 v[16:17], v[6:7], v[24:25]
	v_mul_f64 v[24:25], v[8:9], v[24:25]
	v_add_f64 v[10:11], v[12:13], v[10:11]
	v_add_f64 v[12:13], v[34:35], v[40:41]
	v_fma_f64 v[4:5], v[4:5], v[18:19], v[36:37]
	v_fma_f64 v[1:2], v[2:3], v[18:19], -v[20:21]
	v_fma_f64 v[8:9], v[8:9], v[22:23], v[16:17]
	v_fma_f64 v[6:7], v[6:7], v[22:23], -v[24:25]
	v_add_f64 v[10:11], v[10:11], v[14:15]
	v_add_f64 v[12:13], v[12:13], v[28:29]
	s_delay_alu instid0(VALU_DEP_2) | instskip(NEXT) | instid1(VALU_DEP_2)
	v_add_f64 v[1:2], v[10:11], v[1:2]
	v_add_f64 v[3:4], v[12:13], v[4:5]
	s_delay_alu instid0(VALU_DEP_2) | instskip(NEXT) | instid1(VALU_DEP_2)
	v_add_f64 v[1:2], v[1:2], v[6:7]
	v_add_f64 v[3:4], v[3:4], v[8:9]
	s_waitcnt vmcnt(0)
	s_delay_alu instid0(VALU_DEP_2) | instskip(NEXT) | instid1(VALU_DEP_2)
	v_add_f64 v[1:2], v[30:31], -v[1:2]
	v_add_f64 v[3:4], v[32:33], -v[3:4]
	scratch_store_b128 off, v[1:4], off offset:880
	v_cmpx_lt_u32_e32 54, v174
	s_cbranch_execz .LBB61_289
; %bb.288:
	scratch_load_b32 v1, off, off offset:1016 ; 4-byte Folded Reload
	v_mov_b32_e32 v5, 0
	s_delay_alu instid0(VALU_DEP_1)
	v_mov_b32_e32 v6, v5
	v_mov_b32_e32 v7, v5
	;; [unrolled: 1-line block ×3, first 2 shown]
	s_waitcnt vmcnt(0)
	scratch_load_b128 v[1:4], v1, off
	scratch_store_b128 off, v[5:8], off offset:864
	s_waitcnt vmcnt(0)
	ds_store_b128 v236, v[1:4]
.LBB61_289:
	s_or_b32 exec_lo, exec_lo, s2
	s_waitcnt lgkmcnt(0)
	s_waitcnt_vscnt null, 0x0
	s_barrier
	buffer_gl0_inv
	s_clause 0x6
	scratch_load_b128 v[2:5], off, off offset:880
	scratch_load_b128 v[6:9], off, off offset:896
	;; [unrolled: 1-line block ×7, first 2 shown]
	v_mov_b32_e32 v1, 0
	scratch_load_b128 v[34:37], off, off offset:864
	s_mov_b32 s2, exec_lo
	ds_load_b128 v[30:33], v1 offset:1872
	ds_load_b128 v[38:41], v1 offset:1888
	s_waitcnt vmcnt(7) lgkmcnt(1)
	v_mul_f64 v[42:43], v[32:33], v[4:5]
	v_mul_f64 v[4:5], v[30:31], v[4:5]
	s_waitcnt vmcnt(6) lgkmcnt(0)
	v_mul_f64 v[44:45], v[38:39], v[8:9]
	v_mul_f64 v[8:9], v[40:41], v[8:9]
	s_delay_alu instid0(VALU_DEP_4) | instskip(NEXT) | instid1(VALU_DEP_4)
	v_fma_f64 v[42:43], v[30:31], v[2:3], -v[42:43]
	v_fma_f64 v[46:47], v[32:33], v[2:3], v[4:5]
	ds_load_b128 v[2:5], v1 offset:1904
	ds_load_b128 v[30:33], v1 offset:1920
	v_fma_f64 v[40:41], v[40:41], v[6:7], v[44:45]
	v_fma_f64 v[6:7], v[38:39], v[6:7], -v[8:9]
	s_waitcnt vmcnt(5) lgkmcnt(1)
	v_mul_f64 v[48:49], v[2:3], v[12:13]
	v_mul_f64 v[12:13], v[4:5], v[12:13]
	v_add_f64 v[8:9], v[42:43], 0
	v_add_f64 v[38:39], v[46:47], 0
	s_waitcnt vmcnt(4) lgkmcnt(0)
	v_mul_f64 v[42:43], v[30:31], v[16:17]
	v_mul_f64 v[16:17], v[32:33], v[16:17]
	v_fma_f64 v[44:45], v[4:5], v[10:11], v[48:49]
	v_fma_f64 v[10:11], v[2:3], v[10:11], -v[12:13]
	v_add_f64 v[12:13], v[8:9], v[6:7]
	v_add_f64 v[38:39], v[38:39], v[40:41]
	ds_load_b128 v[2:5], v1 offset:1936
	ds_load_b128 v[6:9], v1 offset:1952
	v_fma_f64 v[32:33], v[32:33], v[14:15], v[42:43]
	v_fma_f64 v[14:15], v[30:31], v[14:15], -v[16:17]
	s_waitcnt vmcnt(3) lgkmcnt(1)
	v_mul_f64 v[40:41], v[2:3], v[20:21]
	v_mul_f64 v[20:21], v[4:5], v[20:21]
	s_waitcnt vmcnt(2) lgkmcnt(0)
	v_mul_f64 v[16:17], v[6:7], v[24:25]
	v_mul_f64 v[24:25], v[8:9], v[24:25]
	v_add_f64 v[10:11], v[12:13], v[10:11]
	v_add_f64 v[12:13], v[38:39], v[44:45]
	v_fma_f64 v[30:31], v[4:5], v[18:19], v[40:41]
	v_fma_f64 v[18:19], v[2:3], v[18:19], -v[20:21]
	ds_load_b128 v[2:5], v1 offset:1968
	v_fma_f64 v[8:9], v[8:9], v[22:23], v[16:17]
	v_fma_f64 v[6:7], v[6:7], v[22:23], -v[24:25]
	v_add_f64 v[10:11], v[10:11], v[14:15]
	v_add_f64 v[12:13], v[12:13], v[32:33]
	s_waitcnt vmcnt(1) lgkmcnt(0)
	v_mul_f64 v[14:15], v[2:3], v[28:29]
	v_mul_f64 v[20:21], v[4:5], v[28:29]
	s_delay_alu instid0(VALU_DEP_4) | instskip(NEXT) | instid1(VALU_DEP_4)
	v_add_f64 v[10:11], v[10:11], v[18:19]
	v_add_f64 v[12:13], v[12:13], v[30:31]
	s_delay_alu instid0(VALU_DEP_4) | instskip(NEXT) | instid1(VALU_DEP_4)
	v_fma_f64 v[4:5], v[4:5], v[26:27], v[14:15]
	v_fma_f64 v[2:3], v[2:3], v[26:27], -v[20:21]
	s_delay_alu instid0(VALU_DEP_4) | instskip(NEXT) | instid1(VALU_DEP_4)
	v_add_f64 v[6:7], v[10:11], v[6:7]
	v_add_f64 v[8:9], v[12:13], v[8:9]
	s_delay_alu instid0(VALU_DEP_2) | instskip(NEXT) | instid1(VALU_DEP_2)
	v_add_f64 v[2:3], v[6:7], v[2:3]
	v_add_f64 v[4:5], v[8:9], v[4:5]
	s_waitcnt vmcnt(0)
	s_delay_alu instid0(VALU_DEP_2) | instskip(NEXT) | instid1(VALU_DEP_2)
	v_add_f64 v[2:3], v[34:35], -v[2:3]
	v_add_f64 v[4:5], v[36:37], -v[4:5]
	scratch_store_b128 off, v[2:5], off offset:864
	v_cmpx_lt_u32_e32 53, v174
	s_cbranch_execz .LBB61_291
; %bb.290:
	scratch_load_b32 v2, off, off offset:1020 ; 4-byte Folded Reload
	v_mov_b32_e32 v3, v1
	v_mov_b32_e32 v4, v1
	s_waitcnt vmcnt(0)
	scratch_load_b128 v[5:8], v2, off
	v_mov_b32_e32 v2, v1
	scratch_store_b128 off, v[1:4], off offset:848
	s_waitcnt vmcnt(0)
	ds_store_b128 v236, v[5:8]
.LBB61_291:
	s_or_b32 exec_lo, exec_lo, s2
	s_waitcnt lgkmcnt(0)
	s_waitcnt_vscnt null, 0x0
	s_barrier
	buffer_gl0_inv
	s_clause 0x7
	scratch_load_b128 v[2:5], off, off offset:864
	scratch_load_b128 v[6:9], off, off offset:880
	;; [unrolled: 1-line block ×8, first 2 shown]
	ds_load_b128 v[34:37], v1 offset:1856
	ds_load_b128 v[38:41], v1 offset:1872
	s_mov_b32 s2, exec_lo
	s_waitcnt vmcnt(7) lgkmcnt(1)
	v_mul_f64 v[42:43], v[36:37], v[4:5]
	v_mul_f64 v[4:5], v[34:35], v[4:5]
	s_waitcnt vmcnt(6) lgkmcnt(0)
	v_mul_f64 v[44:45], v[38:39], v[8:9]
	v_mul_f64 v[8:9], v[40:41], v[8:9]
	s_delay_alu instid0(VALU_DEP_4) | instskip(NEXT) | instid1(VALU_DEP_4)
	v_fma_f64 v[42:43], v[34:35], v[2:3], -v[42:43]
	v_fma_f64 v[46:47], v[36:37], v[2:3], v[4:5]
	ds_load_b128 v[2:5], v1 offset:1888
	scratch_load_b128 v[34:37], off, off offset:848
	v_fma_f64 v[40:41], v[40:41], v[6:7], v[44:45]
	v_fma_f64 v[38:39], v[38:39], v[6:7], -v[8:9]
	ds_load_b128 v[6:9], v1 offset:1904
	s_waitcnt vmcnt(6) lgkmcnt(1)
	v_mul_f64 v[48:49], v[2:3], v[12:13]
	v_mul_f64 v[12:13], v[4:5], v[12:13]
	v_add_f64 v[42:43], v[42:43], 0
	v_add_f64 v[44:45], v[46:47], 0
	s_waitcnt vmcnt(5) lgkmcnt(0)
	v_mul_f64 v[46:47], v[6:7], v[16:17]
	v_mul_f64 v[16:17], v[8:9], v[16:17]
	v_fma_f64 v[48:49], v[4:5], v[10:11], v[48:49]
	v_fma_f64 v[10:11], v[2:3], v[10:11], -v[12:13]
	ds_load_b128 v[2:5], v1 offset:1920
	v_add_f64 v[12:13], v[42:43], v[38:39]
	v_add_f64 v[38:39], v[44:45], v[40:41]
	v_fma_f64 v[42:43], v[8:9], v[14:15], v[46:47]
	v_fma_f64 v[14:15], v[6:7], v[14:15], -v[16:17]
	ds_load_b128 v[6:9], v1 offset:1936
	s_waitcnt vmcnt(4) lgkmcnt(1)
	v_mul_f64 v[40:41], v[2:3], v[20:21]
	v_mul_f64 v[20:21], v[4:5], v[20:21]
	s_waitcnt vmcnt(3) lgkmcnt(0)
	v_mul_f64 v[16:17], v[6:7], v[24:25]
	v_mul_f64 v[24:25], v[8:9], v[24:25]
	v_add_f64 v[10:11], v[12:13], v[10:11]
	v_add_f64 v[12:13], v[38:39], v[48:49]
	v_fma_f64 v[38:39], v[4:5], v[18:19], v[40:41]
	v_fma_f64 v[18:19], v[2:3], v[18:19], -v[20:21]
	ds_load_b128 v[2:5], v1 offset:1952
	v_fma_f64 v[16:17], v[8:9], v[22:23], v[16:17]
	v_fma_f64 v[22:23], v[6:7], v[22:23], -v[24:25]
	ds_load_b128 v[6:9], v1 offset:1968
	s_waitcnt vmcnt(2) lgkmcnt(1)
	v_mul_f64 v[20:21], v[4:5], v[28:29]
	v_add_f64 v[10:11], v[10:11], v[14:15]
	v_add_f64 v[12:13], v[12:13], v[42:43]
	v_mul_f64 v[14:15], v[2:3], v[28:29]
	s_waitcnt vmcnt(1) lgkmcnt(0)
	v_mul_f64 v[24:25], v[8:9], v[32:33]
	v_fma_f64 v[1:2], v[2:3], v[26:27], -v[20:21]
	v_add_f64 v[10:11], v[10:11], v[18:19]
	v_add_f64 v[12:13], v[12:13], v[38:39]
	v_mul_f64 v[18:19], v[6:7], v[32:33]
	v_fma_f64 v[4:5], v[4:5], v[26:27], v[14:15]
	v_fma_f64 v[6:7], v[6:7], v[30:31], -v[24:25]
	v_add_f64 v[10:11], v[10:11], v[22:23]
	v_add_f64 v[12:13], v[12:13], v[16:17]
	v_fma_f64 v[8:9], v[8:9], v[30:31], v[18:19]
	s_delay_alu instid0(VALU_DEP_3) | instskip(NEXT) | instid1(VALU_DEP_3)
	v_add_f64 v[1:2], v[10:11], v[1:2]
	v_add_f64 v[3:4], v[12:13], v[4:5]
	s_delay_alu instid0(VALU_DEP_2) | instskip(NEXT) | instid1(VALU_DEP_2)
	v_add_f64 v[1:2], v[1:2], v[6:7]
	v_add_f64 v[3:4], v[3:4], v[8:9]
	s_waitcnt vmcnt(0)
	s_delay_alu instid0(VALU_DEP_2) | instskip(NEXT) | instid1(VALU_DEP_2)
	v_add_f64 v[1:2], v[34:35], -v[1:2]
	v_add_f64 v[3:4], v[36:37], -v[3:4]
	scratch_store_b128 off, v[1:4], off offset:848
	v_cmpx_lt_u32_e32 52, v174
	s_cbranch_execz .LBB61_293
; %bb.292:
	scratch_load_b32 v1, off, off offset:1024 ; 4-byte Folded Reload
	v_mov_b32_e32 v5, 0
	s_delay_alu instid0(VALU_DEP_1)
	v_mov_b32_e32 v6, v5
	v_mov_b32_e32 v7, v5
	;; [unrolled: 1-line block ×3, first 2 shown]
	s_waitcnt vmcnt(0)
	scratch_load_b128 v[1:4], v1, off
	scratch_store_b128 off, v[5:8], off offset:832
	s_waitcnt vmcnt(0)
	ds_store_b128 v236, v[1:4]
.LBB61_293:
	s_or_b32 exec_lo, exec_lo, s2
	s_waitcnt lgkmcnt(0)
	s_waitcnt_vscnt null, 0x0
	s_barrier
	buffer_gl0_inv
	s_clause 0x7
	scratch_load_b128 v[2:5], off, off offset:848
	scratch_load_b128 v[6:9], off, off offset:864
	;; [unrolled: 1-line block ×8, first 2 shown]
	v_mov_b32_e32 v1, 0
	scratch_load_b128 v[38:41], off, off offset:976
	s_mov_b32 s2, exec_lo
	ds_load_b128 v[34:37], v1 offset:1840
	ds_load_b128 v[42:45], v1 offset:1856
	s_waitcnt vmcnt(8) lgkmcnt(1)
	v_mul_f64 v[46:47], v[36:37], v[4:5]
	v_mul_f64 v[4:5], v[34:35], v[4:5]
	s_waitcnt vmcnt(7) lgkmcnt(0)
	v_mul_f64 v[48:49], v[42:43], v[8:9]
	v_mul_f64 v[8:9], v[44:45], v[8:9]
	s_delay_alu instid0(VALU_DEP_4) | instskip(NEXT) | instid1(VALU_DEP_4)
	v_fma_f64 v[34:35], v[34:35], v[2:3], -v[46:47]
	v_fma_f64 v[36:37], v[36:37], v[2:3], v[4:5]
	ds_load_b128 v[2:5], v1 offset:1872
	v_fma_f64 v[44:45], v[44:45], v[6:7], v[48:49]
	v_fma_f64 v[42:43], v[42:43], v[6:7], -v[8:9]
	ds_load_b128 v[6:9], v1 offset:1888
	s_waitcnt vmcnt(6) lgkmcnt(1)
	v_mul_f64 v[46:47], v[2:3], v[12:13]
	v_mul_f64 v[12:13], v[4:5], v[12:13]
	s_waitcnt vmcnt(5) lgkmcnt(0)
	v_mul_f64 v[54:55], v[6:7], v[16:17]
	v_mul_f64 v[16:17], v[8:9], v[16:17]
	v_add_f64 v[48:49], v[34:35], 0
	v_add_f64 v[52:53], v[36:37], 0
	scratch_load_b128 v[34:37], off, off offset:832
	v_fma_f64 v[46:47], v[4:5], v[10:11], v[46:47]
	v_fma_f64 v[10:11], v[2:3], v[10:11], -v[12:13]
	ds_load_b128 v[2:5], v1 offset:1904
	v_add_f64 v[12:13], v[48:49], v[42:43]
	v_add_f64 v[42:43], v[52:53], v[44:45]
	v_fma_f64 v[48:49], v[8:9], v[14:15], v[54:55]
	v_fma_f64 v[14:15], v[6:7], v[14:15], -v[16:17]
	ds_load_b128 v[6:9], v1 offset:1920
	s_waitcnt vmcnt(5) lgkmcnt(1)
	v_mul_f64 v[44:45], v[2:3], v[20:21]
	v_mul_f64 v[20:21], v[4:5], v[20:21]
	s_waitcnt vmcnt(4) lgkmcnt(0)
	v_mul_f64 v[16:17], v[6:7], v[24:25]
	v_mul_f64 v[24:25], v[8:9], v[24:25]
	v_add_f64 v[10:11], v[12:13], v[10:11]
	v_add_f64 v[12:13], v[42:43], v[46:47]
	v_fma_f64 v[42:43], v[4:5], v[18:19], v[44:45]
	v_fma_f64 v[18:19], v[2:3], v[18:19], -v[20:21]
	ds_load_b128 v[2:5], v1 offset:1936
	v_fma_f64 v[16:17], v[8:9], v[22:23], v[16:17]
	v_fma_f64 v[22:23], v[6:7], v[22:23], -v[24:25]
	ds_load_b128 v[6:9], v1 offset:1952
	s_waitcnt vmcnt(3) lgkmcnt(1)
	v_mul_f64 v[20:21], v[4:5], v[28:29]
	v_add_f64 v[10:11], v[10:11], v[14:15]
	v_add_f64 v[12:13], v[12:13], v[48:49]
	v_mul_f64 v[14:15], v[2:3], v[28:29]
	s_waitcnt vmcnt(2) lgkmcnt(0)
	v_mul_f64 v[24:25], v[8:9], v[32:33]
	v_fma_f64 v[20:21], v[2:3], v[26:27], -v[20:21]
	v_add_f64 v[10:11], v[10:11], v[18:19]
	v_add_f64 v[12:13], v[12:13], v[42:43]
	v_mul_f64 v[18:19], v[6:7], v[32:33]
	v_fma_f64 v[14:15], v[4:5], v[26:27], v[14:15]
	ds_load_b128 v[2:5], v1 offset:1968
	v_fma_f64 v[6:7], v[6:7], v[30:31], -v[24:25]
	v_add_f64 v[10:11], v[10:11], v[22:23]
	v_add_f64 v[12:13], v[12:13], v[16:17]
	s_waitcnt vmcnt(1) lgkmcnt(0)
	v_mul_f64 v[16:17], v[2:3], v[40:41]
	v_mul_f64 v[22:23], v[4:5], v[40:41]
	v_fma_f64 v[8:9], v[8:9], v[30:31], v[18:19]
	v_add_f64 v[10:11], v[10:11], v[20:21]
	v_add_f64 v[12:13], v[12:13], v[14:15]
	v_fma_f64 v[4:5], v[4:5], v[38:39], v[16:17]
	v_fma_f64 v[2:3], v[2:3], v[38:39], -v[22:23]
	s_delay_alu instid0(VALU_DEP_4) | instskip(NEXT) | instid1(VALU_DEP_4)
	v_add_f64 v[6:7], v[10:11], v[6:7]
	v_add_f64 v[8:9], v[12:13], v[8:9]
	s_delay_alu instid0(VALU_DEP_2) | instskip(NEXT) | instid1(VALU_DEP_2)
	v_add_f64 v[2:3], v[6:7], v[2:3]
	v_add_f64 v[4:5], v[8:9], v[4:5]
	s_waitcnt vmcnt(0)
	s_delay_alu instid0(VALU_DEP_2) | instskip(NEXT) | instid1(VALU_DEP_2)
	v_add_f64 v[2:3], v[34:35], -v[2:3]
	v_add_f64 v[4:5], v[36:37], -v[4:5]
	scratch_store_b128 off, v[2:5], off offset:832
	v_cmpx_lt_u32_e32 51, v174
	s_cbranch_execz .LBB61_295
; %bb.294:
	scratch_load_b32 v2, off, off offset:1028 ; 4-byte Folded Reload
	v_mov_b32_e32 v3, v1
	v_mov_b32_e32 v4, v1
	s_waitcnt vmcnt(0)
	scratch_load_b128 v[5:8], v2, off
	v_mov_b32_e32 v2, v1
	scratch_store_b128 off, v[1:4], off offset:816
	s_waitcnt vmcnt(0)
	ds_store_b128 v236, v[5:8]
.LBB61_295:
	s_or_b32 exec_lo, exec_lo, s2
	s_waitcnt lgkmcnt(0)
	s_waitcnt_vscnt null, 0x0
	s_barrier
	buffer_gl0_inv
	s_clause 0x8
	scratch_load_b128 v[2:5], off, off offset:832
	scratch_load_b128 v[6:9], off, off offset:848
	;; [unrolled: 1-line block ×9, first 2 shown]
	ds_load_b128 v[38:41], v1 offset:1824
	ds_load_b128 v[42:45], v1 offset:1840
	s_clause 0x1
	scratch_load_b128 v[46:49], off, off offset:816
	scratch_load_b128 v[52:55], off, off offset:976
	s_mov_b32 s2, exec_lo
	s_waitcnt vmcnt(10) lgkmcnt(1)
	v_mul_f64 v[56:57], v[40:41], v[4:5]
	v_mul_f64 v[4:5], v[38:39], v[4:5]
	s_waitcnt vmcnt(9) lgkmcnt(0)
	v_mul_f64 v[58:59], v[42:43], v[8:9]
	v_mul_f64 v[8:9], v[44:45], v[8:9]
	s_delay_alu instid0(VALU_DEP_4) | instskip(NEXT) | instid1(VALU_DEP_4)
	v_fma_f64 v[56:57], v[38:39], v[2:3], -v[56:57]
	v_fma_f64 v[60:61], v[40:41], v[2:3], v[4:5]
	ds_load_b128 v[2:5], v1 offset:1856
	ds_load_b128 v[38:41], v1 offset:1872
	v_fma_f64 v[44:45], v[44:45], v[6:7], v[58:59]
	v_fma_f64 v[6:7], v[42:43], v[6:7], -v[8:9]
	s_waitcnt vmcnt(8) lgkmcnt(1)
	v_mul_f64 v[62:63], v[2:3], v[12:13]
	v_mul_f64 v[12:13], v[4:5], v[12:13]
	v_add_f64 v[8:9], v[56:57], 0
	v_add_f64 v[42:43], v[60:61], 0
	s_waitcnt vmcnt(7) lgkmcnt(0)
	v_mul_f64 v[56:57], v[38:39], v[16:17]
	v_mul_f64 v[16:17], v[40:41], v[16:17]
	v_fma_f64 v[58:59], v[4:5], v[10:11], v[62:63]
	v_fma_f64 v[10:11], v[2:3], v[10:11], -v[12:13]
	v_add_f64 v[12:13], v[8:9], v[6:7]
	v_add_f64 v[42:43], v[42:43], v[44:45]
	ds_load_b128 v[2:5], v1 offset:1888
	ds_load_b128 v[6:9], v1 offset:1904
	v_fma_f64 v[40:41], v[40:41], v[14:15], v[56:57]
	v_fma_f64 v[14:15], v[38:39], v[14:15], -v[16:17]
	s_waitcnt vmcnt(6) lgkmcnt(1)
	v_mul_f64 v[44:45], v[2:3], v[20:21]
	v_mul_f64 v[20:21], v[4:5], v[20:21]
	s_waitcnt vmcnt(5) lgkmcnt(0)
	v_mul_f64 v[16:17], v[6:7], v[24:25]
	v_mul_f64 v[24:25], v[8:9], v[24:25]
	v_add_f64 v[10:11], v[12:13], v[10:11]
	v_add_f64 v[12:13], v[42:43], v[58:59]
	v_fma_f64 v[38:39], v[4:5], v[18:19], v[44:45]
	v_fma_f64 v[18:19], v[2:3], v[18:19], -v[20:21]
	v_fma_f64 v[8:9], v[8:9], v[22:23], v[16:17]
	v_fma_f64 v[6:7], v[6:7], v[22:23], -v[24:25]
	v_add_f64 v[14:15], v[10:11], v[14:15]
	v_add_f64 v[20:21], v[12:13], v[40:41]
	ds_load_b128 v[2:5], v1 offset:1920
	ds_load_b128 v[10:13], v1 offset:1936
	s_waitcnt vmcnt(4) lgkmcnt(1)
	v_mul_f64 v[40:41], v[2:3], v[28:29]
	v_mul_f64 v[28:29], v[4:5], v[28:29]
	v_add_f64 v[14:15], v[14:15], v[18:19]
	v_add_f64 v[16:17], v[20:21], v[38:39]
	s_waitcnt vmcnt(3) lgkmcnt(0)
	v_mul_f64 v[18:19], v[10:11], v[32:33]
	v_mul_f64 v[20:21], v[12:13], v[32:33]
	v_fma_f64 v[22:23], v[4:5], v[26:27], v[40:41]
	v_fma_f64 v[24:25], v[2:3], v[26:27], -v[28:29]
	v_add_f64 v[14:15], v[14:15], v[6:7]
	v_add_f64 v[16:17], v[16:17], v[8:9]
	ds_load_b128 v[2:5], v1 offset:1952
	ds_load_b128 v[6:9], v1 offset:1968
	v_fma_f64 v[12:13], v[12:13], v[30:31], v[18:19]
	v_fma_f64 v[10:11], v[10:11], v[30:31], -v[20:21]
	s_waitcnt vmcnt(2) lgkmcnt(1)
	v_mul_f64 v[26:27], v[2:3], v[36:37]
	v_mul_f64 v[28:29], v[4:5], v[36:37]
	s_waitcnt vmcnt(0) lgkmcnt(0)
	v_mul_f64 v[18:19], v[6:7], v[54:55]
	v_mul_f64 v[20:21], v[8:9], v[54:55]
	v_add_f64 v[14:15], v[14:15], v[24:25]
	v_add_f64 v[16:17], v[16:17], v[22:23]
	v_fma_f64 v[4:5], v[4:5], v[34:35], v[26:27]
	v_fma_f64 v[1:2], v[2:3], v[34:35], -v[28:29]
	v_fma_f64 v[8:9], v[8:9], v[52:53], v[18:19]
	v_fma_f64 v[6:7], v[6:7], v[52:53], -v[20:21]
	v_add_f64 v[10:11], v[14:15], v[10:11]
	v_add_f64 v[12:13], v[16:17], v[12:13]
	s_delay_alu instid0(VALU_DEP_2) | instskip(NEXT) | instid1(VALU_DEP_2)
	v_add_f64 v[1:2], v[10:11], v[1:2]
	v_add_f64 v[3:4], v[12:13], v[4:5]
	s_delay_alu instid0(VALU_DEP_2) | instskip(NEXT) | instid1(VALU_DEP_2)
	;; [unrolled: 3-line block ×3, first 2 shown]
	v_add_f64 v[1:2], v[46:47], -v[1:2]
	v_add_f64 v[3:4], v[48:49], -v[3:4]
	scratch_store_b128 off, v[1:4], off offset:816
	v_cmpx_lt_u32_e32 50, v174
	s_cbranch_execz .LBB61_297
; %bb.296:
	scratch_load_b32 v1, off, off offset:1032 ; 4-byte Folded Reload
	v_mov_b32_e32 v5, 0
	s_delay_alu instid0(VALU_DEP_1)
	v_mov_b32_e32 v6, v5
	v_mov_b32_e32 v7, v5
	v_mov_b32_e32 v8, v5
	s_waitcnt vmcnt(0)
	scratch_load_b128 v[1:4], v1, off
	scratch_store_b128 off, v[5:8], off offset:800
	s_waitcnt vmcnt(0)
	ds_store_b128 v236, v[1:4]
.LBB61_297:
	s_or_b32 exec_lo, exec_lo, s2
	s_waitcnt lgkmcnt(0)
	s_waitcnt_vscnt null, 0x0
	s_barrier
	buffer_gl0_inv
	s_clause 0x7
	scratch_load_b128 v[2:5], off, off offset:816
	scratch_load_b128 v[6:9], off, off offset:832
	;; [unrolled: 1-line block ×8, first 2 shown]
	v_mov_b32_e32 v1, 0
	s_mov_b32 s2, exec_lo
	ds_load_b128 v[34:37], v1 offset:1808
	s_clause 0x1
	scratch_load_b128 v[38:41], off, off offset:944
	scratch_load_b128 v[42:45], off, off offset:800
	ds_load_b128 v[46:49], v1 offset:1824
	scratch_load_b128 v[52:55], off, off offset:960
	ds_load_b128 v[187:190], v1 offset:1856
	s_waitcnt vmcnt(10) lgkmcnt(2)
	v_mul_f64 v[56:57], v[36:37], v[4:5]
	v_mul_f64 v[4:5], v[34:35], v[4:5]
	s_delay_alu instid0(VALU_DEP_2) | instskip(NEXT) | instid1(VALU_DEP_2)
	v_fma_f64 v[56:57], v[34:35], v[2:3], -v[56:57]
	v_fma_f64 v[60:61], v[36:37], v[2:3], v[4:5]
	scratch_load_b128 v[34:37], off, off offset:976
	ds_load_b128 v[2:5], v1 offset:1840
	s_waitcnt vmcnt(10) lgkmcnt(2)
	v_mul_f64 v[58:59], v[46:47], v[8:9]
	v_mul_f64 v[8:9], v[48:49], v[8:9]
	s_waitcnt vmcnt(9) lgkmcnt(0)
	v_mul_f64 v[62:63], v[2:3], v[12:13]
	v_mul_f64 v[12:13], v[4:5], v[12:13]
	s_delay_alu instid0(VALU_DEP_4) | instskip(NEXT) | instid1(VALU_DEP_4)
	v_fma_f64 v[48:49], v[48:49], v[6:7], v[58:59]
	v_fma_f64 v[6:7], v[46:47], v[6:7], -v[8:9]
	v_add_f64 v[8:9], v[56:57], 0
	v_add_f64 v[46:47], v[60:61], 0
	s_waitcnt vmcnt(8)
	v_mul_f64 v[56:57], v[187:188], v[16:17]
	v_mul_f64 v[16:17], v[189:190], v[16:17]
	v_fma_f64 v[58:59], v[4:5], v[10:11], v[62:63]
	v_fma_f64 v[10:11], v[2:3], v[10:11], -v[12:13]
	v_add_f64 v[12:13], v[8:9], v[6:7]
	v_add_f64 v[46:47], v[46:47], v[48:49]
	ds_load_b128 v[2:5], v1 offset:1872
	ds_load_b128 v[6:9], v1 offset:1888
	v_fma_f64 v[56:57], v[189:190], v[14:15], v[56:57]
	v_fma_f64 v[14:15], v[187:188], v[14:15], -v[16:17]
	s_waitcnt vmcnt(7) lgkmcnt(1)
	v_mul_f64 v[48:49], v[2:3], v[20:21]
	v_mul_f64 v[20:21], v[4:5], v[20:21]
	s_waitcnt vmcnt(6) lgkmcnt(0)
	v_mul_f64 v[16:17], v[6:7], v[24:25]
	v_mul_f64 v[24:25], v[8:9], v[24:25]
	v_add_f64 v[10:11], v[12:13], v[10:11]
	v_add_f64 v[12:13], v[46:47], v[58:59]
	v_fma_f64 v[46:47], v[4:5], v[18:19], v[48:49]
	v_fma_f64 v[18:19], v[2:3], v[18:19], -v[20:21]
	v_fma_f64 v[8:9], v[8:9], v[22:23], v[16:17]
	v_fma_f64 v[6:7], v[6:7], v[22:23], -v[24:25]
	v_add_f64 v[14:15], v[10:11], v[14:15]
	v_add_f64 v[20:21], v[12:13], v[56:57]
	ds_load_b128 v[2:5], v1 offset:1904
	ds_load_b128 v[10:13], v1 offset:1920
	s_waitcnt vmcnt(5) lgkmcnt(1)
	v_mul_f64 v[48:49], v[2:3], v[28:29]
	v_mul_f64 v[28:29], v[4:5], v[28:29]
	v_add_f64 v[14:15], v[14:15], v[18:19]
	v_add_f64 v[16:17], v[20:21], v[46:47]
	s_waitcnt vmcnt(4) lgkmcnt(0)
	v_mul_f64 v[18:19], v[10:11], v[32:33]
	v_mul_f64 v[20:21], v[12:13], v[32:33]
	v_fma_f64 v[22:23], v[4:5], v[26:27], v[48:49]
	v_fma_f64 v[24:25], v[2:3], v[26:27], -v[28:29]
	v_add_f64 v[14:15], v[14:15], v[6:7]
	v_add_f64 v[16:17], v[16:17], v[8:9]
	ds_load_b128 v[2:5], v1 offset:1936
	ds_load_b128 v[6:9], v1 offset:1952
	v_fma_f64 v[12:13], v[12:13], v[30:31], v[18:19]
	v_fma_f64 v[10:11], v[10:11], v[30:31], -v[20:21]
	s_waitcnt vmcnt(3) lgkmcnt(1)
	v_mul_f64 v[26:27], v[2:3], v[40:41]
	v_mul_f64 v[28:29], v[4:5], v[40:41]
	s_waitcnt vmcnt(1) lgkmcnt(0)
	v_mul_f64 v[18:19], v[6:7], v[54:55]
	v_mul_f64 v[20:21], v[8:9], v[54:55]
	v_add_f64 v[14:15], v[14:15], v[24:25]
	v_add_f64 v[16:17], v[16:17], v[22:23]
	v_fma_f64 v[22:23], v[4:5], v[38:39], v[26:27]
	v_fma_f64 v[24:25], v[2:3], v[38:39], -v[28:29]
	ds_load_b128 v[2:5], v1 offset:1968
	v_fma_f64 v[8:9], v[8:9], v[52:53], v[18:19]
	v_fma_f64 v[6:7], v[6:7], v[52:53], -v[20:21]
	v_add_f64 v[10:11], v[14:15], v[10:11]
	v_add_f64 v[12:13], v[16:17], v[12:13]
	s_waitcnt vmcnt(0) lgkmcnt(0)
	v_mul_f64 v[14:15], v[2:3], v[36:37]
	v_mul_f64 v[16:17], v[4:5], v[36:37]
	s_delay_alu instid0(VALU_DEP_4) | instskip(NEXT) | instid1(VALU_DEP_4)
	v_add_f64 v[10:11], v[10:11], v[24:25]
	v_add_f64 v[12:13], v[12:13], v[22:23]
	s_delay_alu instid0(VALU_DEP_4) | instskip(NEXT) | instid1(VALU_DEP_4)
	v_fma_f64 v[4:5], v[4:5], v[34:35], v[14:15]
	v_fma_f64 v[2:3], v[2:3], v[34:35], -v[16:17]
	s_delay_alu instid0(VALU_DEP_4) | instskip(NEXT) | instid1(VALU_DEP_4)
	v_add_f64 v[6:7], v[10:11], v[6:7]
	v_add_f64 v[8:9], v[12:13], v[8:9]
	s_delay_alu instid0(VALU_DEP_2) | instskip(NEXT) | instid1(VALU_DEP_2)
	v_add_f64 v[2:3], v[6:7], v[2:3]
	v_add_f64 v[4:5], v[8:9], v[4:5]
	s_delay_alu instid0(VALU_DEP_2) | instskip(NEXT) | instid1(VALU_DEP_2)
	v_add_f64 v[2:3], v[42:43], -v[2:3]
	v_add_f64 v[4:5], v[44:45], -v[4:5]
	scratch_store_b128 off, v[2:5], off offset:800
	v_cmpx_lt_u32_e32 49, v174
	s_cbranch_execz .LBB61_299
; %bb.298:
	scratch_load_b32 v2, off, off offset:1036 ; 4-byte Folded Reload
	v_mov_b32_e32 v3, v1
	v_mov_b32_e32 v4, v1
	s_waitcnt vmcnt(0)
	scratch_load_b128 v[5:8], v2, off
	v_mov_b32_e32 v2, v1
	scratch_store_b128 off, v[1:4], off offset:784
	s_waitcnt vmcnt(0)
	ds_store_b128 v236, v[5:8]
.LBB61_299:
	s_or_b32 exec_lo, exec_lo, s2
	s_waitcnt lgkmcnt(0)
	s_waitcnt_vscnt null, 0x0
	s_barrier
	buffer_gl0_inv
	s_clause 0x8
	scratch_load_b128 v[2:5], off, off offset:800
	scratch_load_b128 v[6:9], off, off offset:816
	;; [unrolled: 1-line block ×9, first 2 shown]
	ds_load_b128 v[38:41], v1 offset:1792
	ds_load_b128 v[42:45], v1 offset:1808
	s_clause 0x1
	scratch_load_b128 v[46:49], off, off offset:784
	scratch_load_b128 v[52:55], off, off offset:944
	s_mov_b32 s2, exec_lo
	ds_load_b128 v[187:190], v1 offset:1840
	s_waitcnt vmcnt(10) lgkmcnt(2)
	v_mul_f64 v[56:57], v[40:41], v[4:5]
	v_mul_f64 v[4:5], v[38:39], v[4:5]
	s_waitcnt vmcnt(9) lgkmcnt(1)
	v_mul_f64 v[58:59], v[42:43], v[8:9]
	v_mul_f64 v[8:9], v[44:45], v[8:9]
	s_delay_alu instid0(VALU_DEP_4) | instskip(NEXT) | instid1(VALU_DEP_4)
	v_fma_f64 v[56:57], v[38:39], v[2:3], -v[56:57]
	v_fma_f64 v[60:61], v[40:41], v[2:3], v[4:5]
	ds_load_b128 v[2:5], v1 offset:1824
	scratch_load_b128 v[38:41], off, off offset:960
	v_fma_f64 v[44:45], v[44:45], v[6:7], v[58:59]
	v_fma_f64 v[42:43], v[42:43], v[6:7], -v[8:9]
	scratch_load_b128 v[6:9], off, off offset:976
	s_waitcnt vmcnt(10) lgkmcnt(0)
	v_mul_f64 v[62:63], v[2:3], v[12:13]
	v_mul_f64 v[12:13], v[4:5], v[12:13]
	v_add_f64 v[56:57], v[56:57], 0
	v_add_f64 v[58:59], v[60:61], 0
	s_waitcnt vmcnt(9)
	v_mul_f64 v[60:61], v[187:188], v[16:17]
	v_mul_f64 v[16:17], v[189:190], v[16:17]
	v_fma_f64 v[62:63], v[4:5], v[10:11], v[62:63]
	v_fma_f64 v[64:65], v[2:3], v[10:11], -v[12:13]
	ds_load_b128 v[2:5], v1 offset:1856
	ds_load_b128 v[10:13], v1 offset:1872
	v_add_f64 v[42:43], v[56:57], v[42:43]
	v_add_f64 v[44:45], v[58:59], v[44:45]
	v_fma_f64 v[58:59], v[189:190], v[14:15], v[60:61]
	v_fma_f64 v[14:15], v[187:188], v[14:15], -v[16:17]
	s_waitcnt vmcnt(8) lgkmcnt(1)
	v_mul_f64 v[56:57], v[2:3], v[20:21]
	v_mul_f64 v[20:21], v[4:5], v[20:21]
	v_add_f64 v[16:17], v[42:43], v[64:65]
	v_add_f64 v[42:43], v[44:45], v[62:63]
	s_waitcnt vmcnt(7) lgkmcnt(0)
	v_mul_f64 v[44:45], v[10:11], v[24:25]
	v_mul_f64 v[24:25], v[12:13], v[24:25]
	v_fma_f64 v[56:57], v[4:5], v[18:19], v[56:57]
	v_fma_f64 v[18:19], v[2:3], v[18:19], -v[20:21]
	v_add_f64 v[20:21], v[16:17], v[14:15]
	v_add_f64 v[42:43], v[42:43], v[58:59]
	ds_load_b128 v[2:5], v1 offset:1888
	ds_load_b128 v[14:17], v1 offset:1904
	v_fma_f64 v[12:13], v[12:13], v[22:23], v[44:45]
	v_fma_f64 v[10:11], v[10:11], v[22:23], -v[24:25]
	s_waitcnt vmcnt(6) lgkmcnt(1)
	v_mul_f64 v[58:59], v[2:3], v[28:29]
	v_mul_f64 v[28:29], v[4:5], v[28:29]
	s_waitcnt vmcnt(5) lgkmcnt(0)
	v_mul_f64 v[22:23], v[14:15], v[32:33]
	v_mul_f64 v[24:25], v[16:17], v[32:33]
	v_add_f64 v[18:19], v[20:21], v[18:19]
	v_add_f64 v[20:21], v[42:43], v[56:57]
	v_fma_f64 v[32:33], v[4:5], v[26:27], v[58:59]
	v_fma_f64 v[26:27], v[2:3], v[26:27], -v[28:29]
	v_fma_f64 v[16:17], v[16:17], v[30:31], v[22:23]
	v_fma_f64 v[14:15], v[14:15], v[30:31], -v[24:25]
	v_add_f64 v[18:19], v[18:19], v[10:11]
	v_add_f64 v[20:21], v[20:21], v[12:13]
	ds_load_b128 v[2:5], v1 offset:1920
	ds_load_b128 v[10:13], v1 offset:1936
	s_waitcnt vmcnt(4) lgkmcnt(1)
	v_mul_f64 v[28:29], v[2:3], v[36:37]
	v_mul_f64 v[36:37], v[4:5], v[36:37]
	s_waitcnt vmcnt(2) lgkmcnt(0)
	v_mul_f64 v[22:23], v[10:11], v[54:55]
	v_mul_f64 v[24:25], v[12:13], v[54:55]
	v_add_f64 v[18:19], v[18:19], v[26:27]
	v_add_f64 v[20:21], v[20:21], v[32:33]
	v_fma_f64 v[26:27], v[4:5], v[34:35], v[28:29]
	v_fma_f64 v[28:29], v[2:3], v[34:35], -v[36:37]
	v_fma_f64 v[12:13], v[12:13], v[52:53], v[22:23]
	v_fma_f64 v[10:11], v[10:11], v[52:53], -v[24:25]
	v_add_f64 v[18:19], v[18:19], v[14:15]
	v_add_f64 v[20:21], v[20:21], v[16:17]
	ds_load_b128 v[2:5], v1 offset:1952
	ds_load_b128 v[14:17], v1 offset:1968
	s_waitcnt vmcnt(1) lgkmcnt(1)
	v_mul_f64 v[30:31], v[2:3], v[40:41]
	v_mul_f64 v[32:33], v[4:5], v[40:41]
	s_waitcnt vmcnt(0) lgkmcnt(0)
	v_mul_f64 v[22:23], v[14:15], v[8:9]
	v_mul_f64 v[8:9], v[16:17], v[8:9]
	v_add_f64 v[18:19], v[18:19], v[28:29]
	v_add_f64 v[20:21], v[20:21], v[26:27]
	v_fma_f64 v[4:5], v[4:5], v[38:39], v[30:31]
	v_fma_f64 v[1:2], v[2:3], v[38:39], -v[32:33]
	v_fma_f64 v[16:17], v[16:17], v[6:7], v[22:23]
	v_fma_f64 v[6:7], v[14:15], v[6:7], -v[8:9]
	v_add_f64 v[10:11], v[18:19], v[10:11]
	v_add_f64 v[12:13], v[20:21], v[12:13]
	s_delay_alu instid0(VALU_DEP_2) | instskip(NEXT) | instid1(VALU_DEP_2)
	v_add_f64 v[1:2], v[10:11], v[1:2]
	v_add_f64 v[3:4], v[12:13], v[4:5]
	s_delay_alu instid0(VALU_DEP_2) | instskip(NEXT) | instid1(VALU_DEP_2)
	;; [unrolled: 3-line block ×3, first 2 shown]
	v_add_f64 v[1:2], v[46:47], -v[1:2]
	v_add_f64 v[3:4], v[48:49], -v[3:4]
	scratch_store_b128 off, v[1:4], off offset:784
	v_cmpx_lt_u32_e32 48, v174
	s_cbranch_execz .LBB61_301
; %bb.300:
	scratch_load_b32 v1, off, off offset:1040 ; 4-byte Folded Reload
	v_mov_b32_e32 v5, 0
	s_delay_alu instid0(VALU_DEP_1)
	v_mov_b32_e32 v6, v5
	v_mov_b32_e32 v7, v5
	;; [unrolled: 1-line block ×3, first 2 shown]
	s_waitcnt vmcnt(0)
	scratch_load_b128 v[1:4], v1, off
	scratch_store_b128 off, v[5:8], off offset:768
	s_waitcnt vmcnt(0)
	ds_store_b128 v236, v[1:4]
.LBB61_301:
	s_or_b32 exec_lo, exec_lo, s2
	s_waitcnt lgkmcnt(0)
	s_waitcnt_vscnt null, 0x0
	s_barrier
	buffer_gl0_inv
	s_clause 0x4
	scratch_load_b128 v[2:5], off, off offset:784
	scratch_load_b128 v[6:9], off, off offset:800
	;; [unrolled: 1-line block ×5, first 2 shown]
	v_mov_b32_e32 v1, 0
	scratch_load_b128 v[26:29], off, off offset:768
	s_mov_b32 s2, exec_lo
	ds_load_b128 v[22:25], v1 offset:1776
	ds_load_b128 v[30:33], v1 offset:1792
	s_waitcnt vmcnt(5) lgkmcnt(1)
	v_mul_f64 v[34:35], v[24:25], v[4:5]
	v_mul_f64 v[4:5], v[22:23], v[4:5]
	s_waitcnt vmcnt(4) lgkmcnt(0)
	v_mul_f64 v[36:37], v[30:31], v[8:9]
	v_mul_f64 v[8:9], v[32:33], v[8:9]
	s_delay_alu instid0(VALU_DEP_4) | instskip(NEXT) | instid1(VALU_DEP_4)
	v_fma_f64 v[22:23], v[22:23], v[2:3], -v[34:35]
	v_fma_f64 v[24:25], v[24:25], v[2:3], v[4:5]
	ds_load_b128 v[2:5], v1 offset:1808
	v_fma_f64 v[32:33], v[32:33], v[6:7], v[36:37]
	v_fma_f64 v[30:31], v[30:31], v[6:7], -v[8:9]
	ds_load_b128 v[6:9], v1 offset:1824
	s_waitcnt vmcnt(3) lgkmcnt(1)
	v_mul_f64 v[34:35], v[2:3], v[12:13]
	v_mul_f64 v[12:13], v[4:5], v[12:13]
	s_waitcnt vmcnt(2) lgkmcnt(0)
	v_mul_f64 v[36:37], v[6:7], v[16:17]
	s_delay_alu instid0(VALU_DEP_3) | instskip(NEXT) | instid1(VALU_DEP_3)
	v_fma_f64 v[34:35], v[4:5], v[10:11], v[34:35]
	v_fma_f64 v[38:39], v[2:3], v[10:11], -v[12:13]
	v_mul_f64 v[10:11], v[8:9], v[16:17]
	ds_load_b128 v[2:5], v1 offset:1840
	v_fma_f64 v[16:17], v[8:9], v[14:15], v[36:37]
	v_fma_f64 v[14:15], v[6:7], v[14:15], -v[10:11]
	ds_load_b128 v[6:9], v1 offset:1856
	s_waitcnt vmcnt(1) lgkmcnt(1)
	v_mul_f64 v[10:11], v[2:3], v[20:21]
	v_mul_f64 v[12:13], v[4:5], v[20:21]
	s_delay_alu instid0(VALU_DEP_2) | instskip(NEXT) | instid1(VALU_DEP_2)
	v_fma_f64 v[20:21], v[4:5], v[18:19], v[10:11]
	v_fma_f64 v[18:19], v[2:3], v[18:19], -v[12:13]
	s_clause 0x1
	scratch_load_b128 v[2:5], off, off offset:864
	scratch_load_b128 v[10:13], off, off offset:880
	s_waitcnt vmcnt(1) lgkmcnt(0)
	v_mul_f64 v[36:37], v[6:7], v[4:5]
	v_mul_f64 v[4:5], v[8:9], v[4:5]
	s_delay_alu instid0(VALU_DEP_2) | instskip(NEXT) | instid1(VALU_DEP_2)
	v_fma_f64 v[36:37], v[8:9], v[2:3], v[36:37]
	v_fma_f64 v[40:41], v[6:7], v[2:3], -v[4:5]
	ds_load_b128 v[2:5], v1 offset:1872
	ds_load_b128 v[6:9], v1 offset:1888
	s_waitcnt vmcnt(0) lgkmcnt(1)
	v_mul_f64 v[42:43], v[2:3], v[12:13]
	s_delay_alu instid0(VALU_DEP_1) | instskip(SKIP_1) | instid1(VALU_DEP_1)
	v_fma_f64 v[42:43], v[4:5], v[10:11], v[42:43]
	v_mul_f64 v[4:5], v[4:5], v[12:13]
	v_fma_f64 v[44:45], v[2:3], v[10:11], -v[4:5]
	s_clause 0x1
	scratch_load_b128 v[2:5], off, off offset:896
	scratch_load_b128 v[10:13], off, off offset:912
	s_waitcnt vmcnt(1) lgkmcnt(0)
	v_mul_f64 v[46:47], v[6:7], v[4:5]
	v_mul_f64 v[4:5], v[8:9], v[4:5]
	s_delay_alu instid0(VALU_DEP_2) | instskip(NEXT) | instid1(VALU_DEP_2)
	v_fma_f64 v[46:47], v[8:9], v[2:3], v[46:47]
	v_fma_f64 v[48:49], v[6:7], v[2:3], -v[4:5]
	ds_load_b128 v[2:5], v1 offset:1904
	ds_load_b128 v[6:9], v1 offset:1920
	s_waitcnt vmcnt(0) lgkmcnt(1)
	v_mul_f64 v[52:53], v[2:3], v[12:13]
	s_delay_alu instid0(VALU_DEP_1) | instskip(SKIP_1) | instid1(VALU_DEP_1)
	v_fma_f64 v[52:53], v[4:5], v[10:11], v[52:53]
	v_mul_f64 v[4:5], v[4:5], v[12:13]
	v_fma_f64 v[54:55], v[2:3], v[10:11], -v[4:5]
	v_add_f64 v[2:3], v[22:23], 0
	v_add_f64 v[4:5], v[24:25], 0
	s_delay_alu instid0(VALU_DEP_2) | instskip(NEXT) | instid1(VALU_DEP_2)
	v_add_f64 v[2:3], v[2:3], v[30:31]
	v_add_f64 v[4:5], v[4:5], v[32:33]
	s_delay_alu instid0(VALU_DEP_2) | instskip(NEXT) | instid1(VALU_DEP_2)
	v_add_f64 v[2:3], v[2:3], v[38:39]
	v_add_f64 v[10:11], v[4:5], v[34:35]
	s_delay_alu instid0(VALU_DEP_2)
	v_add_f64 v[12:13], v[2:3], v[14:15]
	scratch_load_b128 v[2:5], off, off offset:928
	v_add_f64 v[14:15], v[10:11], v[16:17]
	v_add_f64 v[16:17], v[12:13], v[18:19]
	scratch_load_b128 v[10:13], off, off offset:944
	v_add_f64 v[18:19], v[14:15], v[20:21]
	;; [unrolled: 3-line block ×4, first 2 shown]
	v_add_f64 v[24:25], v[24:25], v[48:49]
	s_delay_alu instid0(VALU_DEP_2) | instskip(NEXT) | instid1(VALU_DEP_2)
	v_add_f64 v[22:23], v[22:23], v[46:47]
	v_add_f64 v[24:25], v[24:25], v[54:55]
	s_delay_alu instid0(VALU_DEP_2) | instskip(SKIP_3) | instid1(VALU_DEP_2)
	v_add_f64 v[22:23], v[22:23], v[52:53]
	s_waitcnt vmcnt(3) lgkmcnt(0)
	v_mul_f64 v[30:31], v[6:7], v[4:5]
	v_mul_f64 v[4:5], v[8:9], v[4:5]
	v_fma_f64 v[30:31], v[8:9], v[2:3], v[30:31]
	s_delay_alu instid0(VALU_DEP_2)
	v_fma_f64 v[32:33], v[6:7], v[2:3], -v[4:5]
	ds_load_b128 v[2:5], v1 offset:1936
	ds_load_b128 v[6:9], v1 offset:1952
	s_waitcnt vmcnt(2) lgkmcnt(1)
	v_mul_f64 v[34:35], v[2:3], v[12:13]
	v_mul_f64 v[12:13], v[4:5], v[12:13]
	s_waitcnt vmcnt(1) lgkmcnt(0)
	v_mul_f64 v[36:37], v[6:7], v[16:17]
	v_add_f64 v[22:23], v[22:23], v[30:31]
	s_delay_alu instid0(VALU_DEP_4) | instskip(NEXT) | instid1(VALU_DEP_4)
	v_fma_f64 v[34:35], v[4:5], v[10:11], v[34:35]
	v_fma_f64 v[10:11], v[2:3], v[10:11], -v[12:13]
	v_mul_f64 v[12:13], v[8:9], v[16:17]
	v_add_f64 v[16:17], v[24:25], v[32:33]
	ds_load_b128 v[2:5], v1 offset:1968
	v_fma_f64 v[8:9], v[8:9], v[14:15], v[36:37]
	s_waitcnt vmcnt(0) lgkmcnt(0)
	v_mul_f64 v[24:25], v[2:3], v[20:21]
	v_mul_f64 v[20:21], v[4:5], v[20:21]
	v_fma_f64 v[6:7], v[6:7], v[14:15], -v[12:13]
	v_add_f64 v[10:11], v[16:17], v[10:11]
	v_add_f64 v[12:13], v[22:23], v[34:35]
	v_fma_f64 v[4:5], v[4:5], v[18:19], v[24:25]
	v_fma_f64 v[2:3], v[2:3], v[18:19], -v[20:21]
	s_delay_alu instid0(VALU_DEP_4) | instskip(NEXT) | instid1(VALU_DEP_4)
	v_add_f64 v[6:7], v[10:11], v[6:7]
	v_add_f64 v[8:9], v[12:13], v[8:9]
	s_delay_alu instid0(VALU_DEP_2) | instskip(NEXT) | instid1(VALU_DEP_2)
	v_add_f64 v[2:3], v[6:7], v[2:3]
	v_add_f64 v[4:5], v[8:9], v[4:5]
	s_delay_alu instid0(VALU_DEP_2) | instskip(NEXT) | instid1(VALU_DEP_2)
	v_add_f64 v[2:3], v[26:27], -v[2:3]
	v_add_f64 v[4:5], v[28:29], -v[4:5]
	scratch_store_b128 off, v[2:5], off offset:768
	v_cmpx_lt_u32_e32 47, v174
	s_cbranch_execz .LBB61_303
; %bb.302:
	scratch_load_b32 v2, off, off offset:1044 ; 4-byte Folded Reload
	v_mov_b32_e32 v3, v1
	v_mov_b32_e32 v4, v1
	s_waitcnt vmcnt(0)
	scratch_load_b128 v[5:8], v2, off
	v_mov_b32_e32 v2, v1
	scratch_store_b128 off, v[1:4], off offset:752
	s_waitcnt vmcnt(0)
	ds_store_b128 v236, v[5:8]
.LBB61_303:
	s_or_b32 exec_lo, exec_lo, s2
	s_waitcnt lgkmcnt(0)
	s_waitcnt_vscnt null, 0x0
	s_barrier
	buffer_gl0_inv
	s_clause 0x4
	scratch_load_b128 v[2:5], off, off offset:768
	scratch_load_b128 v[6:9], off, off offset:784
	;; [unrolled: 1-line block ×5, first 2 shown]
	ds_load_b128 v[22:25], v1 offset:1760
	ds_load_b128 v[26:29], v1 offset:1776
	scratch_load_b128 v[30:33], off, off offset:752
	s_mov_b32 s2, exec_lo
	s_waitcnt vmcnt(5) lgkmcnt(1)
	v_mul_f64 v[34:35], v[24:25], v[4:5]
	v_mul_f64 v[4:5], v[22:23], v[4:5]
	s_waitcnt vmcnt(4) lgkmcnt(0)
	v_mul_f64 v[36:37], v[26:27], v[8:9]
	v_mul_f64 v[8:9], v[28:29], v[8:9]
	s_delay_alu instid0(VALU_DEP_4) | instskip(NEXT) | instid1(VALU_DEP_4)
	v_fma_f64 v[22:23], v[22:23], v[2:3], -v[34:35]
	v_fma_f64 v[24:25], v[24:25], v[2:3], v[4:5]
	ds_load_b128 v[2:5], v1 offset:1792
	v_fma_f64 v[28:29], v[28:29], v[6:7], v[36:37]
	v_fma_f64 v[26:27], v[26:27], v[6:7], -v[8:9]
	ds_load_b128 v[6:9], v1 offset:1808
	s_waitcnt vmcnt(3) lgkmcnt(1)
	v_mul_f64 v[34:35], v[2:3], v[12:13]
	v_mul_f64 v[12:13], v[4:5], v[12:13]
	s_waitcnt vmcnt(2) lgkmcnt(0)
	v_mul_f64 v[36:37], v[6:7], v[16:17]
	s_delay_alu instid0(VALU_DEP_3) | instskip(NEXT) | instid1(VALU_DEP_3)
	v_fma_f64 v[34:35], v[4:5], v[10:11], v[34:35]
	v_fma_f64 v[38:39], v[2:3], v[10:11], -v[12:13]
	v_mul_f64 v[10:11], v[8:9], v[16:17]
	ds_load_b128 v[2:5], v1 offset:1824
	v_fma_f64 v[16:17], v[8:9], v[14:15], v[36:37]
	v_fma_f64 v[14:15], v[6:7], v[14:15], -v[10:11]
	ds_load_b128 v[6:9], v1 offset:1840
	s_waitcnt vmcnt(1) lgkmcnt(1)
	v_mul_f64 v[10:11], v[2:3], v[20:21]
	v_mul_f64 v[12:13], v[4:5], v[20:21]
	s_delay_alu instid0(VALU_DEP_2) | instskip(NEXT) | instid1(VALU_DEP_2)
	v_fma_f64 v[20:21], v[4:5], v[18:19], v[10:11]
	v_fma_f64 v[18:19], v[2:3], v[18:19], -v[12:13]
	s_clause 0x1
	scratch_load_b128 v[2:5], off, off offset:848
	scratch_load_b128 v[10:13], off, off offset:864
	s_waitcnt vmcnt(1) lgkmcnt(0)
	v_mul_f64 v[36:37], v[6:7], v[4:5]
	v_mul_f64 v[4:5], v[8:9], v[4:5]
	s_delay_alu instid0(VALU_DEP_2) | instskip(NEXT) | instid1(VALU_DEP_2)
	v_fma_f64 v[36:37], v[8:9], v[2:3], v[36:37]
	v_fma_f64 v[40:41], v[6:7], v[2:3], -v[4:5]
	ds_load_b128 v[2:5], v1 offset:1856
	ds_load_b128 v[6:9], v1 offset:1872
	s_waitcnt vmcnt(0) lgkmcnt(1)
	v_mul_f64 v[42:43], v[2:3], v[12:13]
	s_delay_alu instid0(VALU_DEP_1) | instskip(SKIP_1) | instid1(VALU_DEP_1)
	v_fma_f64 v[42:43], v[4:5], v[10:11], v[42:43]
	v_mul_f64 v[4:5], v[4:5], v[12:13]
	v_fma_f64 v[44:45], v[2:3], v[10:11], -v[4:5]
	s_clause 0x1
	scratch_load_b128 v[2:5], off, off offset:880
	scratch_load_b128 v[10:13], off, off offset:896
	s_waitcnt vmcnt(1) lgkmcnt(0)
	v_mul_f64 v[46:47], v[6:7], v[4:5]
	v_mul_f64 v[4:5], v[8:9], v[4:5]
	s_delay_alu instid0(VALU_DEP_2) | instskip(NEXT) | instid1(VALU_DEP_2)
	v_fma_f64 v[46:47], v[8:9], v[2:3], v[46:47]
	v_fma_f64 v[48:49], v[6:7], v[2:3], -v[4:5]
	ds_load_b128 v[2:5], v1 offset:1888
	ds_load_b128 v[6:9], v1 offset:1904
	s_waitcnt vmcnt(0) lgkmcnt(1)
	v_mul_f64 v[52:53], v[2:3], v[12:13]
	s_delay_alu instid0(VALU_DEP_1) | instskip(SKIP_1) | instid1(VALU_DEP_1)
	v_fma_f64 v[52:53], v[4:5], v[10:11], v[52:53]
	v_mul_f64 v[4:5], v[4:5], v[12:13]
	;; [unrolled: 17-line block ×3, first 2 shown]
	v_fma_f64 v[62:63], v[2:3], v[10:11], -v[4:5]
	v_add_f64 v[2:3], v[22:23], 0
	v_add_f64 v[4:5], v[24:25], 0
	s_delay_alu instid0(VALU_DEP_2) | instskip(NEXT) | instid1(VALU_DEP_2)
	v_add_f64 v[2:3], v[2:3], v[26:27]
	v_add_f64 v[4:5], v[4:5], v[28:29]
	s_delay_alu instid0(VALU_DEP_2) | instskip(NEXT) | instid1(VALU_DEP_2)
	v_add_f64 v[2:3], v[2:3], v[38:39]
	v_add_f64 v[4:5], v[4:5], v[34:35]
	s_delay_alu instid0(VALU_DEP_2) | instskip(NEXT) | instid1(VALU_DEP_2)
	v_add_f64 v[2:3], v[2:3], v[14:15]
	v_add_f64 v[4:5], v[4:5], v[16:17]
	s_delay_alu instid0(VALU_DEP_2) | instskip(NEXT) | instid1(VALU_DEP_2)
	v_add_f64 v[2:3], v[2:3], v[18:19]
	v_add_f64 v[10:11], v[4:5], v[20:21]
	s_delay_alu instid0(VALU_DEP_2)
	v_add_f64 v[12:13], v[2:3], v[40:41]
	scratch_load_b128 v[2:5], off, off offset:944
	v_add_f64 v[14:15], v[10:11], v[36:37]
	v_add_f64 v[16:17], v[12:13], v[44:45]
	scratch_load_b128 v[10:13], off, off offset:960
	v_add_f64 v[18:19], v[14:15], v[42:43]
	;; [unrolled: 3-line block ×3, first 2 shown]
	v_add_f64 v[20:21], v[20:21], v[54:55]
	s_delay_alu instid0(VALU_DEP_2) | instskip(NEXT) | instid1(VALU_DEP_2)
	v_add_f64 v[18:19], v[18:19], v[52:53]
	v_add_f64 v[28:29], v[20:21], v[58:59]
	s_delay_alu instid0(VALU_DEP_2)
	v_add_f64 v[34:35], v[18:19], v[56:57]
	ds_load_b128 v[18:21], v1 offset:1952
	ds_load_b128 v[22:25], v1 offset:1968
	s_waitcnt vmcnt(2) lgkmcnt(2)
	v_mul_f64 v[26:27], v[6:7], v[4:5]
	v_mul_f64 v[4:5], v[8:9], v[4:5]
	s_waitcnt vmcnt(1) lgkmcnt(1)
	v_mul_f64 v[36:37], v[18:19], v[12:13]
	s_delay_alu instid0(VALU_DEP_3) | instskip(NEXT) | instid1(VALU_DEP_3)
	v_fma_f64 v[8:9], v[8:9], v[2:3], v[26:27]
	v_fma_f64 v[1:2], v[6:7], v[2:3], -v[4:5]
	v_mul_f64 v[3:4], v[20:21], v[12:13]
	v_add_f64 v[5:6], v[28:29], v[62:63]
	v_add_f64 v[12:13], v[34:35], v[60:61]
	s_waitcnt vmcnt(0) lgkmcnt(0)
	v_mul_f64 v[26:27], v[22:23], v[16:17]
	v_mul_f64 v[16:17], v[24:25], v[16:17]
	v_fma_f64 v[20:21], v[20:21], v[10:11], v[36:37]
	v_fma_f64 v[3:4], v[18:19], v[10:11], -v[3:4]
	v_add_f64 v[1:2], v[5:6], v[1:2]
	v_add_f64 v[5:6], v[12:13], v[8:9]
	v_fma_f64 v[7:8], v[24:25], v[14:15], v[26:27]
	v_fma_f64 v[9:10], v[22:23], v[14:15], -v[16:17]
	s_delay_alu instid0(VALU_DEP_4) | instskip(NEXT) | instid1(VALU_DEP_4)
	v_add_f64 v[1:2], v[1:2], v[3:4]
	v_add_f64 v[3:4], v[5:6], v[20:21]
	s_delay_alu instid0(VALU_DEP_2) | instskip(NEXT) | instid1(VALU_DEP_2)
	v_add_f64 v[1:2], v[1:2], v[9:10]
	v_add_f64 v[3:4], v[3:4], v[7:8]
	s_delay_alu instid0(VALU_DEP_2) | instskip(NEXT) | instid1(VALU_DEP_2)
	v_add_f64 v[1:2], v[30:31], -v[1:2]
	v_add_f64 v[3:4], v[32:33], -v[3:4]
	scratch_store_b128 off, v[1:4], off offset:752
	v_cmpx_lt_u32_e32 46, v174
	s_cbranch_execz .LBB61_305
; %bb.304:
	scratch_load_b32 v1, off, off offset:1048 ; 4-byte Folded Reload
	v_mov_b32_e32 v5, 0
	s_delay_alu instid0(VALU_DEP_1)
	v_mov_b32_e32 v6, v5
	v_mov_b32_e32 v7, v5
	;; [unrolled: 1-line block ×3, first 2 shown]
	s_waitcnt vmcnt(0)
	scratch_load_b128 v[1:4], v1, off
	scratch_store_b128 off, v[5:8], off offset:736
	s_waitcnt vmcnt(0)
	ds_store_b128 v236, v[1:4]
.LBB61_305:
	s_or_b32 exec_lo, exec_lo, s2
	s_waitcnt lgkmcnt(0)
	s_waitcnt_vscnt null, 0x0
	s_barrier
	buffer_gl0_inv
	s_clause 0x4
	scratch_load_b128 v[2:5], off, off offset:752
	scratch_load_b128 v[6:9], off, off offset:768
	;; [unrolled: 1-line block ×5, first 2 shown]
	v_mov_b32_e32 v1, 0
	scratch_load_b128 v[26:29], off, off offset:736
	s_mov_b32 s2, exec_lo
	ds_load_b128 v[22:25], v1 offset:1744
	ds_load_b128 v[30:33], v1 offset:1760
	s_waitcnt vmcnt(5) lgkmcnt(1)
	v_mul_f64 v[34:35], v[24:25], v[4:5]
	v_mul_f64 v[4:5], v[22:23], v[4:5]
	s_waitcnt vmcnt(4) lgkmcnt(0)
	v_mul_f64 v[36:37], v[30:31], v[8:9]
	v_mul_f64 v[8:9], v[32:33], v[8:9]
	s_delay_alu instid0(VALU_DEP_4) | instskip(NEXT) | instid1(VALU_DEP_4)
	v_fma_f64 v[22:23], v[22:23], v[2:3], -v[34:35]
	v_fma_f64 v[24:25], v[24:25], v[2:3], v[4:5]
	ds_load_b128 v[2:5], v1 offset:1776
	v_fma_f64 v[32:33], v[32:33], v[6:7], v[36:37]
	v_fma_f64 v[30:31], v[30:31], v[6:7], -v[8:9]
	ds_load_b128 v[6:9], v1 offset:1792
	s_waitcnt vmcnt(3) lgkmcnt(1)
	v_mul_f64 v[34:35], v[2:3], v[12:13]
	v_mul_f64 v[12:13], v[4:5], v[12:13]
	s_waitcnt vmcnt(2) lgkmcnt(0)
	v_mul_f64 v[36:37], v[6:7], v[16:17]
	s_delay_alu instid0(VALU_DEP_3) | instskip(NEXT) | instid1(VALU_DEP_3)
	v_fma_f64 v[34:35], v[4:5], v[10:11], v[34:35]
	v_fma_f64 v[38:39], v[2:3], v[10:11], -v[12:13]
	v_mul_f64 v[10:11], v[8:9], v[16:17]
	ds_load_b128 v[2:5], v1 offset:1808
	v_fma_f64 v[16:17], v[8:9], v[14:15], v[36:37]
	v_fma_f64 v[14:15], v[6:7], v[14:15], -v[10:11]
	ds_load_b128 v[6:9], v1 offset:1824
	s_waitcnt vmcnt(1) lgkmcnt(1)
	v_mul_f64 v[10:11], v[2:3], v[20:21]
	v_mul_f64 v[12:13], v[4:5], v[20:21]
	s_delay_alu instid0(VALU_DEP_2) | instskip(NEXT) | instid1(VALU_DEP_2)
	v_fma_f64 v[20:21], v[4:5], v[18:19], v[10:11]
	v_fma_f64 v[18:19], v[2:3], v[18:19], -v[12:13]
	s_clause 0x1
	scratch_load_b128 v[2:5], off, off offset:832
	scratch_load_b128 v[10:13], off, off offset:848
	s_waitcnt vmcnt(1) lgkmcnt(0)
	v_mul_f64 v[36:37], v[6:7], v[4:5]
	v_mul_f64 v[4:5], v[8:9], v[4:5]
	s_delay_alu instid0(VALU_DEP_2) | instskip(NEXT) | instid1(VALU_DEP_2)
	v_fma_f64 v[36:37], v[8:9], v[2:3], v[36:37]
	v_fma_f64 v[40:41], v[6:7], v[2:3], -v[4:5]
	ds_load_b128 v[2:5], v1 offset:1840
	ds_load_b128 v[6:9], v1 offset:1856
	s_waitcnt vmcnt(0) lgkmcnt(1)
	v_mul_f64 v[42:43], v[2:3], v[12:13]
	s_delay_alu instid0(VALU_DEP_1) | instskip(SKIP_1) | instid1(VALU_DEP_1)
	v_fma_f64 v[42:43], v[4:5], v[10:11], v[42:43]
	v_mul_f64 v[4:5], v[4:5], v[12:13]
	v_fma_f64 v[44:45], v[2:3], v[10:11], -v[4:5]
	s_clause 0x1
	scratch_load_b128 v[2:5], off, off offset:864
	scratch_load_b128 v[10:13], off, off offset:880
	s_waitcnt vmcnt(1) lgkmcnt(0)
	v_mul_f64 v[46:47], v[6:7], v[4:5]
	v_mul_f64 v[4:5], v[8:9], v[4:5]
	s_delay_alu instid0(VALU_DEP_2) | instskip(NEXT) | instid1(VALU_DEP_2)
	v_fma_f64 v[46:47], v[8:9], v[2:3], v[46:47]
	v_fma_f64 v[48:49], v[6:7], v[2:3], -v[4:5]
	ds_load_b128 v[2:5], v1 offset:1872
	ds_load_b128 v[6:9], v1 offset:1888
	s_waitcnt vmcnt(0) lgkmcnt(1)
	v_mul_f64 v[52:53], v[2:3], v[12:13]
	s_delay_alu instid0(VALU_DEP_1) | instskip(SKIP_1) | instid1(VALU_DEP_1)
	v_fma_f64 v[52:53], v[4:5], v[10:11], v[52:53]
	v_mul_f64 v[4:5], v[4:5], v[12:13]
	;; [unrolled: 17-line block ×3, first 2 shown]
	v_fma_f64 v[62:63], v[2:3], v[10:11], -v[4:5]
	v_add_f64 v[2:3], v[22:23], 0
	v_add_f64 v[4:5], v[24:25], 0
	s_delay_alu instid0(VALU_DEP_2) | instskip(NEXT) | instid1(VALU_DEP_2)
	v_add_f64 v[2:3], v[2:3], v[30:31]
	v_add_f64 v[4:5], v[4:5], v[32:33]
	s_delay_alu instid0(VALU_DEP_2) | instskip(NEXT) | instid1(VALU_DEP_2)
	;; [unrolled: 3-line block ×4, first 2 shown]
	v_add_f64 v[2:3], v[2:3], v[18:19]
	v_add_f64 v[10:11], v[4:5], v[20:21]
	s_delay_alu instid0(VALU_DEP_2)
	v_add_f64 v[12:13], v[2:3], v[40:41]
	scratch_load_b128 v[2:5], off, off offset:928
	v_add_f64 v[14:15], v[10:11], v[36:37]
	v_add_f64 v[16:17], v[12:13], v[44:45]
	scratch_load_b128 v[10:13], off, off offset:944
	v_add_f64 v[18:19], v[14:15], v[42:43]
	;; [unrolled: 3-line block ×4, first 2 shown]
	v_add_f64 v[24:25], v[24:25], v[58:59]
	s_delay_alu instid0(VALU_DEP_2) | instskip(NEXT) | instid1(VALU_DEP_2)
	v_add_f64 v[22:23], v[22:23], v[56:57]
	v_add_f64 v[24:25], v[24:25], v[62:63]
	s_delay_alu instid0(VALU_DEP_2) | instskip(SKIP_3) | instid1(VALU_DEP_2)
	v_add_f64 v[22:23], v[22:23], v[60:61]
	s_waitcnt vmcnt(3) lgkmcnt(0)
	v_mul_f64 v[30:31], v[6:7], v[4:5]
	v_mul_f64 v[4:5], v[8:9], v[4:5]
	v_fma_f64 v[30:31], v[8:9], v[2:3], v[30:31]
	s_delay_alu instid0(VALU_DEP_2)
	v_fma_f64 v[32:33], v[6:7], v[2:3], -v[4:5]
	ds_load_b128 v[2:5], v1 offset:1936
	ds_load_b128 v[6:9], v1 offset:1952
	s_waitcnt vmcnt(2) lgkmcnt(1)
	v_mul_f64 v[34:35], v[2:3], v[12:13]
	v_mul_f64 v[12:13], v[4:5], v[12:13]
	s_waitcnt vmcnt(1) lgkmcnt(0)
	v_mul_f64 v[36:37], v[6:7], v[16:17]
	v_add_f64 v[22:23], v[22:23], v[30:31]
	s_delay_alu instid0(VALU_DEP_4) | instskip(NEXT) | instid1(VALU_DEP_4)
	v_fma_f64 v[34:35], v[4:5], v[10:11], v[34:35]
	v_fma_f64 v[10:11], v[2:3], v[10:11], -v[12:13]
	v_mul_f64 v[12:13], v[8:9], v[16:17]
	v_add_f64 v[16:17], v[24:25], v[32:33]
	ds_load_b128 v[2:5], v1 offset:1968
	v_fma_f64 v[8:9], v[8:9], v[14:15], v[36:37]
	s_waitcnt vmcnt(0) lgkmcnt(0)
	v_mul_f64 v[24:25], v[2:3], v[20:21]
	v_mul_f64 v[20:21], v[4:5], v[20:21]
	v_fma_f64 v[6:7], v[6:7], v[14:15], -v[12:13]
	v_add_f64 v[10:11], v[16:17], v[10:11]
	v_add_f64 v[12:13], v[22:23], v[34:35]
	v_fma_f64 v[4:5], v[4:5], v[18:19], v[24:25]
	v_fma_f64 v[2:3], v[2:3], v[18:19], -v[20:21]
	s_delay_alu instid0(VALU_DEP_4) | instskip(NEXT) | instid1(VALU_DEP_4)
	v_add_f64 v[6:7], v[10:11], v[6:7]
	v_add_f64 v[8:9], v[12:13], v[8:9]
	s_delay_alu instid0(VALU_DEP_2) | instskip(NEXT) | instid1(VALU_DEP_2)
	v_add_f64 v[2:3], v[6:7], v[2:3]
	v_add_f64 v[4:5], v[8:9], v[4:5]
	s_delay_alu instid0(VALU_DEP_2) | instskip(NEXT) | instid1(VALU_DEP_2)
	v_add_f64 v[2:3], v[26:27], -v[2:3]
	v_add_f64 v[4:5], v[28:29], -v[4:5]
	scratch_store_b128 off, v[2:5], off offset:736
	v_cmpx_lt_u32_e32 45, v174
	s_cbranch_execz .LBB61_307
; %bb.306:
	scratch_load_b32 v2, off, off offset:1052 ; 4-byte Folded Reload
	v_mov_b32_e32 v3, v1
	v_mov_b32_e32 v4, v1
	s_waitcnt vmcnt(0)
	scratch_load_b128 v[5:8], v2, off
	v_mov_b32_e32 v2, v1
	scratch_store_b128 off, v[1:4], off offset:720
	s_waitcnt vmcnt(0)
	ds_store_b128 v236, v[5:8]
.LBB61_307:
	s_or_b32 exec_lo, exec_lo, s2
	s_waitcnt lgkmcnt(0)
	s_waitcnt_vscnt null, 0x0
	s_barrier
	buffer_gl0_inv
	s_clause 0x4
	scratch_load_b128 v[2:5], off, off offset:736
	scratch_load_b128 v[6:9], off, off offset:752
	;; [unrolled: 1-line block ×5, first 2 shown]
	ds_load_b128 v[22:25], v1 offset:1728
	ds_load_b128 v[26:29], v1 offset:1744
	scratch_load_b128 v[30:33], off, off offset:720
	s_mov_b32 s2, exec_lo
	s_waitcnt vmcnt(5) lgkmcnt(1)
	v_mul_f64 v[34:35], v[24:25], v[4:5]
	v_mul_f64 v[4:5], v[22:23], v[4:5]
	s_waitcnt vmcnt(4) lgkmcnt(0)
	v_mul_f64 v[36:37], v[26:27], v[8:9]
	v_mul_f64 v[8:9], v[28:29], v[8:9]
	s_delay_alu instid0(VALU_DEP_4) | instskip(NEXT) | instid1(VALU_DEP_4)
	v_fma_f64 v[22:23], v[22:23], v[2:3], -v[34:35]
	v_fma_f64 v[24:25], v[24:25], v[2:3], v[4:5]
	ds_load_b128 v[2:5], v1 offset:1760
	v_fma_f64 v[28:29], v[28:29], v[6:7], v[36:37]
	v_fma_f64 v[26:27], v[26:27], v[6:7], -v[8:9]
	ds_load_b128 v[6:9], v1 offset:1776
	s_waitcnt vmcnt(3) lgkmcnt(1)
	v_mul_f64 v[34:35], v[2:3], v[12:13]
	v_mul_f64 v[12:13], v[4:5], v[12:13]
	s_waitcnt vmcnt(2) lgkmcnt(0)
	v_mul_f64 v[36:37], v[6:7], v[16:17]
	s_delay_alu instid0(VALU_DEP_3) | instskip(NEXT) | instid1(VALU_DEP_3)
	v_fma_f64 v[34:35], v[4:5], v[10:11], v[34:35]
	v_fma_f64 v[38:39], v[2:3], v[10:11], -v[12:13]
	v_mul_f64 v[10:11], v[8:9], v[16:17]
	ds_load_b128 v[2:5], v1 offset:1792
	v_fma_f64 v[16:17], v[8:9], v[14:15], v[36:37]
	v_fma_f64 v[14:15], v[6:7], v[14:15], -v[10:11]
	ds_load_b128 v[6:9], v1 offset:1808
	s_waitcnt vmcnt(1) lgkmcnt(1)
	v_mul_f64 v[10:11], v[2:3], v[20:21]
	v_mul_f64 v[12:13], v[4:5], v[20:21]
	s_delay_alu instid0(VALU_DEP_2) | instskip(NEXT) | instid1(VALU_DEP_2)
	v_fma_f64 v[20:21], v[4:5], v[18:19], v[10:11]
	v_fma_f64 v[18:19], v[2:3], v[18:19], -v[12:13]
	s_clause 0x1
	scratch_load_b128 v[2:5], off, off offset:816
	scratch_load_b128 v[10:13], off, off offset:832
	s_waitcnt vmcnt(1) lgkmcnt(0)
	v_mul_f64 v[36:37], v[6:7], v[4:5]
	v_mul_f64 v[4:5], v[8:9], v[4:5]
	s_delay_alu instid0(VALU_DEP_2) | instskip(NEXT) | instid1(VALU_DEP_2)
	v_fma_f64 v[36:37], v[8:9], v[2:3], v[36:37]
	v_fma_f64 v[40:41], v[6:7], v[2:3], -v[4:5]
	ds_load_b128 v[2:5], v1 offset:1824
	ds_load_b128 v[6:9], v1 offset:1840
	s_waitcnt vmcnt(0) lgkmcnt(1)
	v_mul_f64 v[42:43], v[2:3], v[12:13]
	s_delay_alu instid0(VALU_DEP_1) | instskip(SKIP_1) | instid1(VALU_DEP_1)
	v_fma_f64 v[42:43], v[4:5], v[10:11], v[42:43]
	v_mul_f64 v[4:5], v[4:5], v[12:13]
	v_fma_f64 v[44:45], v[2:3], v[10:11], -v[4:5]
	s_clause 0x1
	scratch_load_b128 v[2:5], off, off offset:848
	scratch_load_b128 v[10:13], off, off offset:864
	s_waitcnt vmcnt(1) lgkmcnt(0)
	v_mul_f64 v[46:47], v[6:7], v[4:5]
	v_mul_f64 v[4:5], v[8:9], v[4:5]
	s_delay_alu instid0(VALU_DEP_2) | instskip(NEXT) | instid1(VALU_DEP_2)
	v_fma_f64 v[46:47], v[8:9], v[2:3], v[46:47]
	v_fma_f64 v[48:49], v[6:7], v[2:3], -v[4:5]
	ds_load_b128 v[2:5], v1 offset:1856
	ds_load_b128 v[6:9], v1 offset:1872
	s_waitcnt vmcnt(0) lgkmcnt(1)
	v_mul_f64 v[52:53], v[2:3], v[12:13]
	s_delay_alu instid0(VALU_DEP_1) | instskip(SKIP_1) | instid1(VALU_DEP_1)
	v_fma_f64 v[52:53], v[4:5], v[10:11], v[52:53]
	v_mul_f64 v[4:5], v[4:5], v[12:13]
	;; [unrolled: 17-line block ×4, first 2 shown]
	v_fma_f64 v[70:71], v[2:3], v[10:11], -v[4:5]
	v_add_f64 v[2:3], v[22:23], 0
	v_add_f64 v[4:5], v[24:25], 0
	s_delay_alu instid0(VALU_DEP_2) | instskip(NEXT) | instid1(VALU_DEP_2)
	v_add_f64 v[2:3], v[2:3], v[26:27]
	v_add_f64 v[4:5], v[4:5], v[28:29]
	s_delay_alu instid0(VALU_DEP_2) | instskip(NEXT) | instid1(VALU_DEP_2)
	;; [unrolled: 3-line block ×6, first 2 shown]
	v_add_f64 v[2:3], v[2:3], v[44:45]
	v_add_f64 v[10:11], v[4:5], v[42:43]
	s_delay_alu instid0(VALU_DEP_2)
	v_add_f64 v[12:13], v[2:3], v[48:49]
	scratch_load_b128 v[2:5], off, off offset:944
	v_add_f64 v[14:15], v[10:11], v[46:47]
	v_add_f64 v[16:17], v[12:13], v[54:55]
	scratch_load_b128 v[10:13], off, off offset:960
	v_add_f64 v[18:19], v[14:15], v[52:53]
	;; [unrolled: 3-line block ×3, first 2 shown]
	v_add_f64 v[20:21], v[20:21], v[62:63]
	s_delay_alu instid0(VALU_DEP_2) | instskip(NEXT) | instid1(VALU_DEP_2)
	v_add_f64 v[18:19], v[18:19], v[60:61]
	v_add_f64 v[28:29], v[20:21], v[66:67]
	s_delay_alu instid0(VALU_DEP_2)
	v_add_f64 v[34:35], v[18:19], v[64:65]
	ds_load_b128 v[18:21], v1 offset:1952
	ds_load_b128 v[22:25], v1 offset:1968
	s_waitcnt vmcnt(2) lgkmcnt(2)
	v_mul_f64 v[26:27], v[6:7], v[4:5]
	v_mul_f64 v[4:5], v[8:9], v[4:5]
	s_waitcnt vmcnt(1) lgkmcnt(1)
	v_mul_f64 v[36:37], v[18:19], v[12:13]
	s_delay_alu instid0(VALU_DEP_3) | instskip(NEXT) | instid1(VALU_DEP_3)
	v_fma_f64 v[8:9], v[8:9], v[2:3], v[26:27]
	v_fma_f64 v[1:2], v[6:7], v[2:3], -v[4:5]
	v_mul_f64 v[3:4], v[20:21], v[12:13]
	v_add_f64 v[5:6], v[28:29], v[70:71]
	v_add_f64 v[12:13], v[34:35], v[68:69]
	s_waitcnt vmcnt(0) lgkmcnt(0)
	v_mul_f64 v[26:27], v[22:23], v[16:17]
	v_mul_f64 v[16:17], v[24:25], v[16:17]
	v_fma_f64 v[20:21], v[20:21], v[10:11], v[36:37]
	v_fma_f64 v[3:4], v[18:19], v[10:11], -v[3:4]
	v_add_f64 v[1:2], v[5:6], v[1:2]
	v_add_f64 v[5:6], v[12:13], v[8:9]
	v_fma_f64 v[7:8], v[24:25], v[14:15], v[26:27]
	v_fma_f64 v[9:10], v[22:23], v[14:15], -v[16:17]
	s_delay_alu instid0(VALU_DEP_4) | instskip(NEXT) | instid1(VALU_DEP_4)
	v_add_f64 v[1:2], v[1:2], v[3:4]
	v_add_f64 v[3:4], v[5:6], v[20:21]
	s_delay_alu instid0(VALU_DEP_2) | instskip(NEXT) | instid1(VALU_DEP_2)
	v_add_f64 v[1:2], v[1:2], v[9:10]
	v_add_f64 v[3:4], v[3:4], v[7:8]
	s_delay_alu instid0(VALU_DEP_2) | instskip(NEXT) | instid1(VALU_DEP_2)
	v_add_f64 v[1:2], v[30:31], -v[1:2]
	v_add_f64 v[3:4], v[32:33], -v[3:4]
	scratch_store_b128 off, v[1:4], off offset:720
	v_cmpx_lt_u32_e32 44, v174
	s_cbranch_execz .LBB61_309
; %bb.308:
	scratch_load_b32 v1, off, off offset:1056 ; 4-byte Folded Reload
	v_mov_b32_e32 v5, 0
	s_delay_alu instid0(VALU_DEP_1)
	v_mov_b32_e32 v6, v5
	v_mov_b32_e32 v7, v5
	;; [unrolled: 1-line block ×3, first 2 shown]
	s_waitcnt vmcnt(0)
	scratch_load_b128 v[1:4], v1, off
	scratch_store_b128 off, v[5:8], off offset:704
	s_waitcnt vmcnt(0)
	ds_store_b128 v236, v[1:4]
.LBB61_309:
	s_or_b32 exec_lo, exec_lo, s2
	s_waitcnt lgkmcnt(0)
	s_waitcnt_vscnt null, 0x0
	s_barrier
	buffer_gl0_inv
	s_clause 0x4
	scratch_load_b128 v[2:5], off, off offset:720
	scratch_load_b128 v[6:9], off, off offset:736
	;; [unrolled: 1-line block ×5, first 2 shown]
	v_mov_b32_e32 v1, 0
	scratch_load_b128 v[26:29], off, off offset:704
	s_mov_b32 s2, exec_lo
	ds_load_b128 v[22:25], v1 offset:1712
	ds_load_b128 v[30:33], v1 offset:1728
	s_waitcnt vmcnt(5) lgkmcnt(1)
	v_mul_f64 v[34:35], v[24:25], v[4:5]
	v_mul_f64 v[4:5], v[22:23], v[4:5]
	s_waitcnt vmcnt(4) lgkmcnt(0)
	v_mul_f64 v[36:37], v[30:31], v[8:9]
	v_mul_f64 v[8:9], v[32:33], v[8:9]
	s_delay_alu instid0(VALU_DEP_4) | instskip(NEXT) | instid1(VALU_DEP_4)
	v_fma_f64 v[22:23], v[22:23], v[2:3], -v[34:35]
	v_fma_f64 v[24:25], v[24:25], v[2:3], v[4:5]
	ds_load_b128 v[2:5], v1 offset:1744
	v_fma_f64 v[32:33], v[32:33], v[6:7], v[36:37]
	v_fma_f64 v[30:31], v[30:31], v[6:7], -v[8:9]
	ds_load_b128 v[6:9], v1 offset:1760
	s_waitcnt vmcnt(3) lgkmcnt(1)
	v_mul_f64 v[34:35], v[2:3], v[12:13]
	v_mul_f64 v[12:13], v[4:5], v[12:13]
	s_waitcnt vmcnt(2) lgkmcnt(0)
	v_mul_f64 v[36:37], v[6:7], v[16:17]
	s_delay_alu instid0(VALU_DEP_3) | instskip(NEXT) | instid1(VALU_DEP_3)
	v_fma_f64 v[34:35], v[4:5], v[10:11], v[34:35]
	v_fma_f64 v[38:39], v[2:3], v[10:11], -v[12:13]
	v_mul_f64 v[10:11], v[8:9], v[16:17]
	ds_load_b128 v[2:5], v1 offset:1776
	v_fma_f64 v[16:17], v[8:9], v[14:15], v[36:37]
	v_fma_f64 v[14:15], v[6:7], v[14:15], -v[10:11]
	ds_load_b128 v[6:9], v1 offset:1792
	s_waitcnt vmcnt(1) lgkmcnt(1)
	v_mul_f64 v[10:11], v[2:3], v[20:21]
	v_mul_f64 v[12:13], v[4:5], v[20:21]
	s_delay_alu instid0(VALU_DEP_2) | instskip(NEXT) | instid1(VALU_DEP_2)
	v_fma_f64 v[20:21], v[4:5], v[18:19], v[10:11]
	v_fma_f64 v[18:19], v[2:3], v[18:19], -v[12:13]
	s_clause 0x1
	scratch_load_b128 v[2:5], off, off offset:800
	scratch_load_b128 v[10:13], off, off offset:816
	s_waitcnt vmcnt(1) lgkmcnt(0)
	v_mul_f64 v[36:37], v[6:7], v[4:5]
	v_mul_f64 v[4:5], v[8:9], v[4:5]
	s_delay_alu instid0(VALU_DEP_2) | instskip(NEXT) | instid1(VALU_DEP_2)
	v_fma_f64 v[36:37], v[8:9], v[2:3], v[36:37]
	v_fma_f64 v[40:41], v[6:7], v[2:3], -v[4:5]
	ds_load_b128 v[2:5], v1 offset:1808
	ds_load_b128 v[6:9], v1 offset:1824
	s_waitcnt vmcnt(0) lgkmcnt(1)
	v_mul_f64 v[42:43], v[2:3], v[12:13]
	s_delay_alu instid0(VALU_DEP_1) | instskip(SKIP_1) | instid1(VALU_DEP_1)
	v_fma_f64 v[42:43], v[4:5], v[10:11], v[42:43]
	v_mul_f64 v[4:5], v[4:5], v[12:13]
	v_fma_f64 v[44:45], v[2:3], v[10:11], -v[4:5]
	s_clause 0x1
	scratch_load_b128 v[2:5], off, off offset:832
	scratch_load_b128 v[10:13], off, off offset:848
	s_waitcnt vmcnt(1) lgkmcnt(0)
	v_mul_f64 v[46:47], v[6:7], v[4:5]
	v_mul_f64 v[4:5], v[8:9], v[4:5]
	s_delay_alu instid0(VALU_DEP_2) | instskip(NEXT) | instid1(VALU_DEP_2)
	v_fma_f64 v[46:47], v[8:9], v[2:3], v[46:47]
	v_fma_f64 v[48:49], v[6:7], v[2:3], -v[4:5]
	ds_load_b128 v[2:5], v1 offset:1840
	ds_load_b128 v[6:9], v1 offset:1856
	s_waitcnt vmcnt(0) lgkmcnt(1)
	v_mul_f64 v[52:53], v[2:3], v[12:13]
	s_delay_alu instid0(VALU_DEP_1) | instskip(SKIP_1) | instid1(VALU_DEP_1)
	v_fma_f64 v[52:53], v[4:5], v[10:11], v[52:53]
	v_mul_f64 v[4:5], v[4:5], v[12:13]
	;; [unrolled: 17-line block ×4, first 2 shown]
	v_fma_f64 v[70:71], v[2:3], v[10:11], -v[4:5]
	v_add_f64 v[2:3], v[22:23], 0
	v_add_f64 v[4:5], v[24:25], 0
	s_delay_alu instid0(VALU_DEP_2) | instskip(NEXT) | instid1(VALU_DEP_2)
	v_add_f64 v[2:3], v[2:3], v[30:31]
	v_add_f64 v[4:5], v[4:5], v[32:33]
	s_delay_alu instid0(VALU_DEP_2) | instskip(NEXT) | instid1(VALU_DEP_2)
	;; [unrolled: 3-line block ×6, first 2 shown]
	v_add_f64 v[2:3], v[2:3], v[44:45]
	v_add_f64 v[10:11], v[4:5], v[42:43]
	s_delay_alu instid0(VALU_DEP_2)
	v_add_f64 v[12:13], v[2:3], v[48:49]
	scratch_load_b128 v[2:5], off, off offset:928
	v_add_f64 v[14:15], v[10:11], v[46:47]
	v_add_f64 v[16:17], v[12:13], v[54:55]
	scratch_load_b128 v[10:13], off, off offset:944
	v_add_f64 v[18:19], v[14:15], v[52:53]
	v_add_f64 v[20:21], v[16:17], v[58:59]
	scratch_load_b128 v[14:17], off, off offset:960
	v_add_f64 v[22:23], v[18:19], v[56:57]
	v_add_f64 v[24:25], v[20:21], v[62:63]
	scratch_load_b128 v[18:21], off, off offset:976
	v_add_f64 v[22:23], v[22:23], v[60:61]
	v_add_f64 v[24:25], v[24:25], v[66:67]
	s_delay_alu instid0(VALU_DEP_2) | instskip(NEXT) | instid1(VALU_DEP_2)
	v_add_f64 v[22:23], v[22:23], v[64:65]
	v_add_f64 v[24:25], v[24:25], v[70:71]
	s_delay_alu instid0(VALU_DEP_2) | instskip(SKIP_3) | instid1(VALU_DEP_2)
	v_add_f64 v[22:23], v[22:23], v[68:69]
	s_waitcnt vmcnt(3) lgkmcnt(0)
	v_mul_f64 v[30:31], v[6:7], v[4:5]
	v_mul_f64 v[4:5], v[8:9], v[4:5]
	v_fma_f64 v[30:31], v[8:9], v[2:3], v[30:31]
	s_delay_alu instid0(VALU_DEP_2)
	v_fma_f64 v[32:33], v[6:7], v[2:3], -v[4:5]
	ds_load_b128 v[2:5], v1 offset:1936
	ds_load_b128 v[6:9], v1 offset:1952
	s_waitcnt vmcnt(2) lgkmcnt(1)
	v_mul_f64 v[34:35], v[2:3], v[12:13]
	v_mul_f64 v[12:13], v[4:5], v[12:13]
	s_waitcnt vmcnt(1) lgkmcnt(0)
	v_mul_f64 v[36:37], v[6:7], v[16:17]
	v_add_f64 v[22:23], v[22:23], v[30:31]
	s_delay_alu instid0(VALU_DEP_4) | instskip(NEXT) | instid1(VALU_DEP_4)
	v_fma_f64 v[34:35], v[4:5], v[10:11], v[34:35]
	v_fma_f64 v[10:11], v[2:3], v[10:11], -v[12:13]
	v_mul_f64 v[12:13], v[8:9], v[16:17]
	v_add_f64 v[16:17], v[24:25], v[32:33]
	ds_load_b128 v[2:5], v1 offset:1968
	v_fma_f64 v[8:9], v[8:9], v[14:15], v[36:37]
	s_waitcnt vmcnt(0) lgkmcnt(0)
	v_mul_f64 v[24:25], v[2:3], v[20:21]
	v_mul_f64 v[20:21], v[4:5], v[20:21]
	v_fma_f64 v[6:7], v[6:7], v[14:15], -v[12:13]
	v_add_f64 v[10:11], v[16:17], v[10:11]
	v_add_f64 v[12:13], v[22:23], v[34:35]
	v_fma_f64 v[4:5], v[4:5], v[18:19], v[24:25]
	v_fma_f64 v[2:3], v[2:3], v[18:19], -v[20:21]
	s_delay_alu instid0(VALU_DEP_4) | instskip(NEXT) | instid1(VALU_DEP_4)
	v_add_f64 v[6:7], v[10:11], v[6:7]
	v_add_f64 v[8:9], v[12:13], v[8:9]
	s_delay_alu instid0(VALU_DEP_2) | instskip(NEXT) | instid1(VALU_DEP_2)
	v_add_f64 v[2:3], v[6:7], v[2:3]
	v_add_f64 v[4:5], v[8:9], v[4:5]
	s_delay_alu instid0(VALU_DEP_2) | instskip(NEXT) | instid1(VALU_DEP_2)
	v_add_f64 v[2:3], v[26:27], -v[2:3]
	v_add_f64 v[4:5], v[28:29], -v[4:5]
	scratch_store_b128 off, v[2:5], off offset:704
	v_cmpx_lt_u32_e32 43, v174
	s_cbranch_execz .LBB61_311
; %bb.310:
	scratch_load_b32 v2, off, off offset:1060 ; 4-byte Folded Reload
	v_mov_b32_e32 v3, v1
	v_mov_b32_e32 v4, v1
	s_waitcnt vmcnt(0)
	scratch_load_b128 v[5:8], v2, off
	v_mov_b32_e32 v2, v1
	scratch_store_b128 off, v[1:4], off offset:688
	s_waitcnt vmcnt(0)
	ds_store_b128 v236, v[5:8]
.LBB61_311:
	s_or_b32 exec_lo, exec_lo, s2
	s_waitcnt lgkmcnt(0)
	s_waitcnt_vscnt null, 0x0
	s_barrier
	buffer_gl0_inv
	s_clause 0x4
	scratch_load_b128 v[2:5], off, off offset:704
	scratch_load_b128 v[6:9], off, off offset:720
	;; [unrolled: 1-line block ×5, first 2 shown]
	ds_load_b128 v[22:25], v1 offset:1696
	ds_load_b128 v[26:29], v1 offset:1712
	scratch_load_b128 v[30:33], off, off offset:688
	s_mov_b32 s2, exec_lo
	s_waitcnt vmcnt(5) lgkmcnt(1)
	v_mul_f64 v[34:35], v[24:25], v[4:5]
	v_mul_f64 v[4:5], v[22:23], v[4:5]
	s_waitcnt vmcnt(4) lgkmcnt(0)
	v_mul_f64 v[36:37], v[26:27], v[8:9]
	v_mul_f64 v[8:9], v[28:29], v[8:9]
	s_delay_alu instid0(VALU_DEP_4) | instskip(NEXT) | instid1(VALU_DEP_4)
	v_fma_f64 v[22:23], v[22:23], v[2:3], -v[34:35]
	v_fma_f64 v[24:25], v[24:25], v[2:3], v[4:5]
	ds_load_b128 v[2:5], v1 offset:1728
	v_fma_f64 v[28:29], v[28:29], v[6:7], v[36:37]
	v_fma_f64 v[26:27], v[26:27], v[6:7], -v[8:9]
	ds_load_b128 v[6:9], v1 offset:1744
	s_waitcnt vmcnt(3) lgkmcnt(1)
	v_mul_f64 v[34:35], v[2:3], v[12:13]
	v_mul_f64 v[12:13], v[4:5], v[12:13]
	s_waitcnt vmcnt(2) lgkmcnt(0)
	v_mul_f64 v[36:37], v[6:7], v[16:17]
	s_delay_alu instid0(VALU_DEP_3) | instskip(NEXT) | instid1(VALU_DEP_3)
	v_fma_f64 v[34:35], v[4:5], v[10:11], v[34:35]
	v_fma_f64 v[38:39], v[2:3], v[10:11], -v[12:13]
	v_mul_f64 v[10:11], v[8:9], v[16:17]
	ds_load_b128 v[2:5], v1 offset:1760
	v_fma_f64 v[16:17], v[8:9], v[14:15], v[36:37]
	v_fma_f64 v[14:15], v[6:7], v[14:15], -v[10:11]
	ds_load_b128 v[6:9], v1 offset:1776
	s_waitcnt vmcnt(1) lgkmcnt(1)
	v_mul_f64 v[10:11], v[2:3], v[20:21]
	v_mul_f64 v[12:13], v[4:5], v[20:21]
	s_delay_alu instid0(VALU_DEP_2) | instskip(NEXT) | instid1(VALU_DEP_2)
	v_fma_f64 v[20:21], v[4:5], v[18:19], v[10:11]
	v_fma_f64 v[18:19], v[2:3], v[18:19], -v[12:13]
	s_clause 0x1
	scratch_load_b128 v[2:5], off, off offset:784
	scratch_load_b128 v[10:13], off, off offset:800
	s_waitcnt vmcnt(1) lgkmcnt(0)
	v_mul_f64 v[36:37], v[6:7], v[4:5]
	v_mul_f64 v[4:5], v[8:9], v[4:5]
	s_delay_alu instid0(VALU_DEP_2) | instskip(NEXT) | instid1(VALU_DEP_2)
	v_fma_f64 v[36:37], v[8:9], v[2:3], v[36:37]
	v_fma_f64 v[40:41], v[6:7], v[2:3], -v[4:5]
	ds_load_b128 v[2:5], v1 offset:1792
	ds_load_b128 v[6:9], v1 offset:1808
	s_waitcnt vmcnt(0) lgkmcnt(1)
	v_mul_f64 v[42:43], v[2:3], v[12:13]
	s_delay_alu instid0(VALU_DEP_1) | instskip(SKIP_1) | instid1(VALU_DEP_1)
	v_fma_f64 v[42:43], v[4:5], v[10:11], v[42:43]
	v_mul_f64 v[4:5], v[4:5], v[12:13]
	v_fma_f64 v[44:45], v[2:3], v[10:11], -v[4:5]
	s_clause 0x1
	scratch_load_b128 v[2:5], off, off offset:816
	scratch_load_b128 v[10:13], off, off offset:832
	s_waitcnt vmcnt(1) lgkmcnt(0)
	v_mul_f64 v[46:47], v[6:7], v[4:5]
	v_mul_f64 v[4:5], v[8:9], v[4:5]
	s_delay_alu instid0(VALU_DEP_2) | instskip(NEXT) | instid1(VALU_DEP_2)
	v_fma_f64 v[46:47], v[8:9], v[2:3], v[46:47]
	v_fma_f64 v[48:49], v[6:7], v[2:3], -v[4:5]
	ds_load_b128 v[2:5], v1 offset:1824
	ds_load_b128 v[6:9], v1 offset:1840
	s_waitcnt vmcnt(0) lgkmcnt(1)
	v_mul_f64 v[52:53], v[2:3], v[12:13]
	s_delay_alu instid0(VALU_DEP_1) | instskip(SKIP_1) | instid1(VALU_DEP_1)
	v_fma_f64 v[52:53], v[4:5], v[10:11], v[52:53]
	v_mul_f64 v[4:5], v[4:5], v[12:13]
	;; [unrolled: 17-line block ×5, first 2 shown]
	v_fma_f64 v[187:188], v[2:3], v[10:11], -v[4:5]
	v_add_f64 v[2:3], v[22:23], 0
	v_add_f64 v[4:5], v[24:25], 0
	s_delay_alu instid0(VALU_DEP_2) | instskip(NEXT) | instid1(VALU_DEP_2)
	v_add_f64 v[2:3], v[2:3], v[26:27]
	v_add_f64 v[4:5], v[4:5], v[28:29]
	s_delay_alu instid0(VALU_DEP_2) | instskip(NEXT) | instid1(VALU_DEP_2)
	;; [unrolled: 3-line block ×8, first 2 shown]
	v_add_f64 v[2:3], v[2:3], v[54:55]
	v_add_f64 v[10:11], v[4:5], v[52:53]
	s_delay_alu instid0(VALU_DEP_2)
	v_add_f64 v[12:13], v[2:3], v[58:59]
	scratch_load_b128 v[2:5], off, off offset:944
	v_add_f64 v[14:15], v[10:11], v[56:57]
	v_add_f64 v[16:17], v[12:13], v[62:63]
	scratch_load_b128 v[10:13], off, off offset:960
	v_add_f64 v[18:19], v[14:15], v[60:61]
	;; [unrolled: 3-line block ×3, first 2 shown]
	v_add_f64 v[20:21], v[20:21], v[70:71]
	s_delay_alu instid0(VALU_DEP_2) | instskip(NEXT) | instid1(VALU_DEP_2)
	v_add_f64 v[18:19], v[18:19], v[68:69]
	v_add_f64 v[28:29], v[20:21], v[175:176]
	s_delay_alu instid0(VALU_DEP_2)
	v_add_f64 v[34:35], v[18:19], v[90:91]
	ds_load_b128 v[18:21], v1 offset:1952
	ds_load_b128 v[22:25], v1 offset:1968
	s_waitcnt vmcnt(2) lgkmcnt(2)
	v_mul_f64 v[26:27], v[6:7], v[4:5]
	v_mul_f64 v[4:5], v[8:9], v[4:5]
	s_waitcnt vmcnt(1) lgkmcnt(1)
	v_mul_f64 v[36:37], v[18:19], v[12:13]
	s_delay_alu instid0(VALU_DEP_3) | instskip(NEXT) | instid1(VALU_DEP_3)
	v_fma_f64 v[8:9], v[8:9], v[2:3], v[26:27]
	v_fma_f64 v[1:2], v[6:7], v[2:3], -v[4:5]
	v_mul_f64 v[3:4], v[20:21], v[12:13]
	v_add_f64 v[5:6], v[28:29], v[187:188]
	v_add_f64 v[12:13], v[34:35], v[177:178]
	s_waitcnt vmcnt(0) lgkmcnt(0)
	v_mul_f64 v[26:27], v[22:23], v[16:17]
	v_mul_f64 v[16:17], v[24:25], v[16:17]
	v_fma_f64 v[20:21], v[20:21], v[10:11], v[36:37]
	v_fma_f64 v[3:4], v[18:19], v[10:11], -v[3:4]
	v_add_f64 v[1:2], v[5:6], v[1:2]
	v_add_f64 v[5:6], v[12:13], v[8:9]
	v_fma_f64 v[7:8], v[24:25], v[14:15], v[26:27]
	v_fma_f64 v[9:10], v[22:23], v[14:15], -v[16:17]
	s_delay_alu instid0(VALU_DEP_4) | instskip(NEXT) | instid1(VALU_DEP_4)
	v_add_f64 v[1:2], v[1:2], v[3:4]
	v_add_f64 v[3:4], v[5:6], v[20:21]
	s_delay_alu instid0(VALU_DEP_2) | instskip(NEXT) | instid1(VALU_DEP_2)
	v_add_f64 v[1:2], v[1:2], v[9:10]
	v_add_f64 v[3:4], v[3:4], v[7:8]
	s_delay_alu instid0(VALU_DEP_2) | instskip(NEXT) | instid1(VALU_DEP_2)
	v_add_f64 v[1:2], v[30:31], -v[1:2]
	v_add_f64 v[3:4], v[32:33], -v[3:4]
	scratch_store_b128 off, v[1:4], off offset:688
	v_cmpx_lt_u32_e32 42, v174
	s_cbranch_execz .LBB61_313
; %bb.312:
	scratch_load_b32 v1, off, off offset:1064 ; 4-byte Folded Reload
	v_mov_b32_e32 v5, 0
	s_delay_alu instid0(VALU_DEP_1)
	v_mov_b32_e32 v6, v5
	v_mov_b32_e32 v7, v5
	;; [unrolled: 1-line block ×3, first 2 shown]
	s_waitcnt vmcnt(0)
	scratch_load_b128 v[1:4], v1, off
	scratch_store_b128 off, v[5:8], off offset:672
	s_waitcnt vmcnt(0)
	ds_store_b128 v236, v[1:4]
.LBB61_313:
	s_or_b32 exec_lo, exec_lo, s2
	s_waitcnt lgkmcnt(0)
	s_waitcnt_vscnt null, 0x0
	s_barrier
	buffer_gl0_inv
	s_clause 0x4
	scratch_load_b128 v[2:5], off, off offset:688
	scratch_load_b128 v[6:9], off, off offset:704
	;; [unrolled: 1-line block ×5, first 2 shown]
	v_mov_b32_e32 v1, 0
	scratch_load_b128 v[26:29], off, off offset:672
	s_mov_b32 s2, exec_lo
	ds_load_b128 v[22:25], v1 offset:1680
	ds_load_b128 v[30:33], v1 offset:1696
	s_waitcnt vmcnt(5) lgkmcnt(1)
	v_mul_f64 v[34:35], v[24:25], v[4:5]
	v_mul_f64 v[4:5], v[22:23], v[4:5]
	s_waitcnt vmcnt(4) lgkmcnt(0)
	v_mul_f64 v[36:37], v[30:31], v[8:9]
	v_mul_f64 v[8:9], v[32:33], v[8:9]
	s_delay_alu instid0(VALU_DEP_4) | instskip(NEXT) | instid1(VALU_DEP_4)
	v_fma_f64 v[22:23], v[22:23], v[2:3], -v[34:35]
	v_fma_f64 v[24:25], v[24:25], v[2:3], v[4:5]
	ds_load_b128 v[2:5], v1 offset:1712
	v_fma_f64 v[32:33], v[32:33], v[6:7], v[36:37]
	v_fma_f64 v[30:31], v[30:31], v[6:7], -v[8:9]
	ds_load_b128 v[6:9], v1 offset:1728
	s_waitcnt vmcnt(3) lgkmcnt(1)
	v_mul_f64 v[34:35], v[2:3], v[12:13]
	v_mul_f64 v[12:13], v[4:5], v[12:13]
	s_waitcnt vmcnt(2) lgkmcnt(0)
	v_mul_f64 v[36:37], v[6:7], v[16:17]
	s_delay_alu instid0(VALU_DEP_3) | instskip(NEXT) | instid1(VALU_DEP_3)
	v_fma_f64 v[34:35], v[4:5], v[10:11], v[34:35]
	v_fma_f64 v[38:39], v[2:3], v[10:11], -v[12:13]
	v_mul_f64 v[10:11], v[8:9], v[16:17]
	ds_load_b128 v[2:5], v1 offset:1744
	v_fma_f64 v[16:17], v[8:9], v[14:15], v[36:37]
	v_fma_f64 v[14:15], v[6:7], v[14:15], -v[10:11]
	ds_load_b128 v[6:9], v1 offset:1760
	s_waitcnt vmcnt(1) lgkmcnt(1)
	v_mul_f64 v[10:11], v[2:3], v[20:21]
	v_mul_f64 v[12:13], v[4:5], v[20:21]
	s_delay_alu instid0(VALU_DEP_2) | instskip(NEXT) | instid1(VALU_DEP_2)
	v_fma_f64 v[20:21], v[4:5], v[18:19], v[10:11]
	v_fma_f64 v[18:19], v[2:3], v[18:19], -v[12:13]
	s_clause 0x1
	scratch_load_b128 v[2:5], off, off offset:768
	scratch_load_b128 v[10:13], off, off offset:784
	s_waitcnt vmcnt(1) lgkmcnt(0)
	v_mul_f64 v[36:37], v[6:7], v[4:5]
	v_mul_f64 v[4:5], v[8:9], v[4:5]
	s_delay_alu instid0(VALU_DEP_2) | instskip(NEXT) | instid1(VALU_DEP_2)
	v_fma_f64 v[36:37], v[8:9], v[2:3], v[36:37]
	v_fma_f64 v[40:41], v[6:7], v[2:3], -v[4:5]
	ds_load_b128 v[2:5], v1 offset:1776
	ds_load_b128 v[6:9], v1 offset:1792
	s_waitcnt vmcnt(0) lgkmcnt(1)
	v_mul_f64 v[42:43], v[2:3], v[12:13]
	s_delay_alu instid0(VALU_DEP_1) | instskip(SKIP_1) | instid1(VALU_DEP_1)
	v_fma_f64 v[42:43], v[4:5], v[10:11], v[42:43]
	v_mul_f64 v[4:5], v[4:5], v[12:13]
	v_fma_f64 v[44:45], v[2:3], v[10:11], -v[4:5]
	s_clause 0x1
	scratch_load_b128 v[2:5], off, off offset:800
	scratch_load_b128 v[10:13], off, off offset:816
	s_waitcnt vmcnt(1) lgkmcnt(0)
	v_mul_f64 v[46:47], v[6:7], v[4:5]
	v_mul_f64 v[4:5], v[8:9], v[4:5]
	s_delay_alu instid0(VALU_DEP_2) | instskip(NEXT) | instid1(VALU_DEP_2)
	v_fma_f64 v[46:47], v[8:9], v[2:3], v[46:47]
	v_fma_f64 v[48:49], v[6:7], v[2:3], -v[4:5]
	ds_load_b128 v[2:5], v1 offset:1808
	ds_load_b128 v[6:9], v1 offset:1824
	s_waitcnt vmcnt(0) lgkmcnt(1)
	v_mul_f64 v[52:53], v[2:3], v[12:13]
	s_delay_alu instid0(VALU_DEP_1) | instskip(SKIP_1) | instid1(VALU_DEP_1)
	v_fma_f64 v[52:53], v[4:5], v[10:11], v[52:53]
	v_mul_f64 v[4:5], v[4:5], v[12:13]
	;; [unrolled: 17-line block ×5, first 2 shown]
	v_fma_f64 v[187:188], v[2:3], v[10:11], -v[4:5]
	v_add_f64 v[2:3], v[22:23], 0
	v_add_f64 v[4:5], v[24:25], 0
	s_delay_alu instid0(VALU_DEP_2) | instskip(NEXT) | instid1(VALU_DEP_2)
	v_add_f64 v[2:3], v[2:3], v[30:31]
	v_add_f64 v[4:5], v[4:5], v[32:33]
	s_delay_alu instid0(VALU_DEP_2) | instskip(NEXT) | instid1(VALU_DEP_2)
	;; [unrolled: 3-line block ×8, first 2 shown]
	v_add_f64 v[2:3], v[2:3], v[54:55]
	v_add_f64 v[10:11], v[4:5], v[52:53]
	s_delay_alu instid0(VALU_DEP_2)
	v_add_f64 v[12:13], v[2:3], v[58:59]
	scratch_load_b128 v[2:5], off, off offset:928
	v_add_f64 v[14:15], v[10:11], v[56:57]
	v_add_f64 v[16:17], v[12:13], v[62:63]
	scratch_load_b128 v[10:13], off, off offset:944
	v_add_f64 v[18:19], v[14:15], v[60:61]
	v_add_f64 v[20:21], v[16:17], v[66:67]
	scratch_load_b128 v[14:17], off, off offset:960
	v_add_f64 v[22:23], v[18:19], v[64:65]
	v_add_f64 v[24:25], v[20:21], v[70:71]
	scratch_load_b128 v[18:21], off, off offset:976
	v_add_f64 v[22:23], v[22:23], v[68:69]
	v_add_f64 v[24:25], v[24:25], v[175:176]
	s_delay_alu instid0(VALU_DEP_2) | instskip(NEXT) | instid1(VALU_DEP_2)
	v_add_f64 v[22:23], v[22:23], v[90:91]
	v_add_f64 v[24:25], v[24:25], v[187:188]
	s_delay_alu instid0(VALU_DEP_2) | instskip(SKIP_3) | instid1(VALU_DEP_2)
	v_add_f64 v[22:23], v[22:23], v[177:178]
	s_waitcnt vmcnt(3) lgkmcnt(0)
	v_mul_f64 v[30:31], v[6:7], v[4:5]
	v_mul_f64 v[4:5], v[8:9], v[4:5]
	v_fma_f64 v[30:31], v[8:9], v[2:3], v[30:31]
	s_delay_alu instid0(VALU_DEP_2)
	v_fma_f64 v[32:33], v[6:7], v[2:3], -v[4:5]
	ds_load_b128 v[2:5], v1 offset:1936
	ds_load_b128 v[6:9], v1 offset:1952
	s_waitcnt vmcnt(2) lgkmcnt(1)
	v_mul_f64 v[34:35], v[2:3], v[12:13]
	v_mul_f64 v[12:13], v[4:5], v[12:13]
	s_waitcnt vmcnt(1) lgkmcnt(0)
	v_mul_f64 v[36:37], v[6:7], v[16:17]
	v_add_f64 v[22:23], v[22:23], v[30:31]
	s_delay_alu instid0(VALU_DEP_4) | instskip(NEXT) | instid1(VALU_DEP_4)
	v_fma_f64 v[34:35], v[4:5], v[10:11], v[34:35]
	v_fma_f64 v[10:11], v[2:3], v[10:11], -v[12:13]
	v_mul_f64 v[12:13], v[8:9], v[16:17]
	v_add_f64 v[16:17], v[24:25], v[32:33]
	ds_load_b128 v[2:5], v1 offset:1968
	v_fma_f64 v[8:9], v[8:9], v[14:15], v[36:37]
	s_waitcnt vmcnt(0) lgkmcnt(0)
	v_mul_f64 v[24:25], v[2:3], v[20:21]
	v_mul_f64 v[20:21], v[4:5], v[20:21]
	v_fma_f64 v[6:7], v[6:7], v[14:15], -v[12:13]
	v_add_f64 v[10:11], v[16:17], v[10:11]
	v_add_f64 v[12:13], v[22:23], v[34:35]
	v_fma_f64 v[4:5], v[4:5], v[18:19], v[24:25]
	v_fma_f64 v[2:3], v[2:3], v[18:19], -v[20:21]
	s_delay_alu instid0(VALU_DEP_4) | instskip(NEXT) | instid1(VALU_DEP_4)
	v_add_f64 v[6:7], v[10:11], v[6:7]
	v_add_f64 v[8:9], v[12:13], v[8:9]
	s_delay_alu instid0(VALU_DEP_2) | instskip(NEXT) | instid1(VALU_DEP_2)
	v_add_f64 v[2:3], v[6:7], v[2:3]
	v_add_f64 v[4:5], v[8:9], v[4:5]
	s_delay_alu instid0(VALU_DEP_2) | instskip(NEXT) | instid1(VALU_DEP_2)
	v_add_f64 v[2:3], v[26:27], -v[2:3]
	v_add_f64 v[4:5], v[28:29], -v[4:5]
	scratch_store_b128 off, v[2:5], off offset:672
	v_cmpx_lt_u32_e32 41, v174
	s_cbranch_execz .LBB61_315
; %bb.314:
	scratch_load_b32 v2, off, off offset:1068 ; 4-byte Folded Reload
	v_mov_b32_e32 v3, v1
	v_mov_b32_e32 v4, v1
	s_waitcnt vmcnt(0)
	scratch_load_b128 v[5:8], v2, off
	v_mov_b32_e32 v2, v1
	scratch_store_b128 off, v[1:4], off offset:656
	s_waitcnt vmcnt(0)
	ds_store_b128 v236, v[5:8]
.LBB61_315:
	s_or_b32 exec_lo, exec_lo, s2
	s_waitcnt lgkmcnt(0)
	s_waitcnt_vscnt null, 0x0
	s_barrier
	buffer_gl0_inv
	s_clause 0x4
	scratch_load_b128 v[2:5], off, off offset:672
	scratch_load_b128 v[6:9], off, off offset:688
	;; [unrolled: 1-line block ×5, first 2 shown]
	ds_load_b128 v[22:25], v1 offset:1664
	ds_load_b128 v[26:29], v1 offset:1680
	scratch_load_b128 v[30:33], off, off offset:656
	s_mov_b32 s2, exec_lo
	s_waitcnt vmcnt(5) lgkmcnt(1)
	v_mul_f64 v[34:35], v[24:25], v[4:5]
	v_mul_f64 v[4:5], v[22:23], v[4:5]
	s_waitcnt vmcnt(4) lgkmcnt(0)
	v_mul_f64 v[36:37], v[26:27], v[8:9]
	v_mul_f64 v[8:9], v[28:29], v[8:9]
	s_delay_alu instid0(VALU_DEP_4) | instskip(NEXT) | instid1(VALU_DEP_4)
	v_fma_f64 v[22:23], v[22:23], v[2:3], -v[34:35]
	v_fma_f64 v[24:25], v[24:25], v[2:3], v[4:5]
	ds_load_b128 v[2:5], v1 offset:1696
	v_fma_f64 v[28:29], v[28:29], v[6:7], v[36:37]
	v_fma_f64 v[26:27], v[26:27], v[6:7], -v[8:9]
	ds_load_b128 v[6:9], v1 offset:1712
	s_waitcnt vmcnt(3) lgkmcnt(1)
	v_mul_f64 v[34:35], v[2:3], v[12:13]
	v_mul_f64 v[12:13], v[4:5], v[12:13]
	s_waitcnt vmcnt(2) lgkmcnt(0)
	v_mul_f64 v[36:37], v[6:7], v[16:17]
	s_delay_alu instid0(VALU_DEP_3) | instskip(NEXT) | instid1(VALU_DEP_3)
	v_fma_f64 v[34:35], v[4:5], v[10:11], v[34:35]
	v_fma_f64 v[38:39], v[2:3], v[10:11], -v[12:13]
	v_mul_f64 v[10:11], v[8:9], v[16:17]
	ds_load_b128 v[2:5], v1 offset:1728
	v_fma_f64 v[16:17], v[8:9], v[14:15], v[36:37]
	v_fma_f64 v[14:15], v[6:7], v[14:15], -v[10:11]
	ds_load_b128 v[6:9], v1 offset:1744
	s_waitcnt vmcnt(1) lgkmcnt(1)
	v_mul_f64 v[10:11], v[2:3], v[20:21]
	v_mul_f64 v[12:13], v[4:5], v[20:21]
	s_delay_alu instid0(VALU_DEP_2) | instskip(NEXT) | instid1(VALU_DEP_2)
	v_fma_f64 v[20:21], v[4:5], v[18:19], v[10:11]
	v_fma_f64 v[18:19], v[2:3], v[18:19], -v[12:13]
	s_clause 0x1
	scratch_load_b128 v[2:5], off, off offset:752
	scratch_load_b128 v[10:13], off, off offset:768
	s_waitcnt vmcnt(1) lgkmcnt(0)
	v_mul_f64 v[36:37], v[6:7], v[4:5]
	v_mul_f64 v[4:5], v[8:9], v[4:5]
	s_delay_alu instid0(VALU_DEP_2) | instskip(NEXT) | instid1(VALU_DEP_2)
	v_fma_f64 v[36:37], v[8:9], v[2:3], v[36:37]
	v_fma_f64 v[40:41], v[6:7], v[2:3], -v[4:5]
	ds_load_b128 v[2:5], v1 offset:1760
	ds_load_b128 v[6:9], v1 offset:1776
	s_waitcnt vmcnt(0) lgkmcnt(1)
	v_mul_f64 v[42:43], v[2:3], v[12:13]
	s_delay_alu instid0(VALU_DEP_1) | instskip(SKIP_1) | instid1(VALU_DEP_1)
	v_fma_f64 v[42:43], v[4:5], v[10:11], v[42:43]
	v_mul_f64 v[4:5], v[4:5], v[12:13]
	v_fma_f64 v[44:45], v[2:3], v[10:11], -v[4:5]
	s_clause 0x1
	scratch_load_b128 v[2:5], off, off offset:784
	scratch_load_b128 v[10:13], off, off offset:800
	s_waitcnt vmcnt(1) lgkmcnt(0)
	v_mul_f64 v[46:47], v[6:7], v[4:5]
	v_mul_f64 v[4:5], v[8:9], v[4:5]
	s_delay_alu instid0(VALU_DEP_2) | instskip(NEXT) | instid1(VALU_DEP_2)
	v_fma_f64 v[46:47], v[8:9], v[2:3], v[46:47]
	v_fma_f64 v[48:49], v[6:7], v[2:3], -v[4:5]
	ds_load_b128 v[2:5], v1 offset:1792
	ds_load_b128 v[6:9], v1 offset:1808
	s_waitcnt vmcnt(0) lgkmcnt(1)
	v_mul_f64 v[52:53], v[2:3], v[12:13]
	s_delay_alu instid0(VALU_DEP_1) | instskip(SKIP_1) | instid1(VALU_DEP_1)
	v_fma_f64 v[52:53], v[4:5], v[10:11], v[52:53]
	v_mul_f64 v[4:5], v[4:5], v[12:13]
	;; [unrolled: 17-line block ×6, first 2 shown]
	v_fma_f64 v[220:221], v[2:3], v[10:11], -v[4:5]
	v_add_f64 v[2:3], v[22:23], 0
	v_add_f64 v[4:5], v[24:25], 0
	s_delay_alu instid0(VALU_DEP_2) | instskip(NEXT) | instid1(VALU_DEP_2)
	v_add_f64 v[2:3], v[2:3], v[26:27]
	v_add_f64 v[4:5], v[4:5], v[28:29]
	s_delay_alu instid0(VALU_DEP_2) | instskip(NEXT) | instid1(VALU_DEP_2)
	;; [unrolled: 3-line block ×10, first 2 shown]
	v_add_f64 v[2:3], v[2:3], v[62:63]
	v_add_f64 v[10:11], v[4:5], v[60:61]
	s_delay_alu instid0(VALU_DEP_2)
	v_add_f64 v[12:13], v[2:3], v[66:67]
	scratch_load_b128 v[2:5], off, off offset:944
	v_add_f64 v[14:15], v[10:11], v[64:65]
	v_add_f64 v[16:17], v[12:13], v[70:71]
	scratch_load_b128 v[10:13], off, off offset:960
	v_add_f64 v[18:19], v[14:15], v[68:69]
	v_add_f64 v[20:21], v[16:17], v[175:176]
	scratch_load_b128 v[14:17], off, off offset:976
	v_add_f64 v[18:19], v[18:19], v[90:91]
	v_add_f64 v[20:21], v[20:21], v[187:188]
	s_delay_alu instid0(VALU_DEP_2) | instskip(NEXT) | instid1(VALU_DEP_2)
	v_add_f64 v[18:19], v[18:19], v[177:178]
	v_add_f64 v[28:29], v[20:21], v[202:203]
	s_delay_alu instid0(VALU_DEP_2)
	v_add_f64 v[34:35], v[18:19], v[189:190]
	ds_load_b128 v[18:21], v1 offset:1952
	ds_load_b128 v[22:25], v1 offset:1968
	s_waitcnt vmcnt(2) lgkmcnt(2)
	v_mul_f64 v[26:27], v[6:7], v[4:5]
	v_mul_f64 v[4:5], v[8:9], v[4:5]
	s_waitcnt vmcnt(1) lgkmcnt(1)
	v_mul_f64 v[36:37], v[18:19], v[12:13]
	s_delay_alu instid0(VALU_DEP_3) | instskip(NEXT) | instid1(VALU_DEP_3)
	v_fma_f64 v[8:9], v[8:9], v[2:3], v[26:27]
	v_fma_f64 v[1:2], v[6:7], v[2:3], -v[4:5]
	v_mul_f64 v[3:4], v[20:21], v[12:13]
	v_add_f64 v[5:6], v[28:29], v[220:221]
	v_add_f64 v[12:13], v[34:35], v[215:216]
	s_waitcnt vmcnt(0) lgkmcnt(0)
	v_mul_f64 v[26:27], v[22:23], v[16:17]
	v_mul_f64 v[16:17], v[24:25], v[16:17]
	v_fma_f64 v[20:21], v[20:21], v[10:11], v[36:37]
	v_fma_f64 v[3:4], v[18:19], v[10:11], -v[3:4]
	v_add_f64 v[1:2], v[5:6], v[1:2]
	v_add_f64 v[5:6], v[12:13], v[8:9]
	v_fma_f64 v[7:8], v[24:25], v[14:15], v[26:27]
	v_fma_f64 v[9:10], v[22:23], v[14:15], -v[16:17]
	s_delay_alu instid0(VALU_DEP_4) | instskip(NEXT) | instid1(VALU_DEP_4)
	v_add_f64 v[1:2], v[1:2], v[3:4]
	v_add_f64 v[3:4], v[5:6], v[20:21]
	s_delay_alu instid0(VALU_DEP_2) | instskip(NEXT) | instid1(VALU_DEP_2)
	v_add_f64 v[1:2], v[1:2], v[9:10]
	v_add_f64 v[3:4], v[3:4], v[7:8]
	s_delay_alu instid0(VALU_DEP_2) | instskip(NEXT) | instid1(VALU_DEP_2)
	v_add_f64 v[1:2], v[30:31], -v[1:2]
	v_add_f64 v[3:4], v[32:33], -v[3:4]
	scratch_store_b128 off, v[1:4], off offset:656
	v_cmpx_lt_u32_e32 40, v174
	s_cbranch_execz .LBB61_317
; %bb.316:
	scratch_load_b32 v1, off, off offset:1072 ; 4-byte Folded Reload
	v_mov_b32_e32 v5, 0
	s_delay_alu instid0(VALU_DEP_1)
	v_mov_b32_e32 v6, v5
	v_mov_b32_e32 v7, v5
	v_mov_b32_e32 v8, v5
	s_waitcnt vmcnt(0)
	scratch_load_b128 v[1:4], v1, off
	scratch_store_b128 off, v[5:8], off offset:640
	s_waitcnt vmcnt(0)
	ds_store_b128 v236, v[1:4]
.LBB61_317:
	s_or_b32 exec_lo, exec_lo, s2
	s_waitcnt lgkmcnt(0)
	s_waitcnt_vscnt null, 0x0
	s_barrier
	buffer_gl0_inv
	s_clause 0x4
	scratch_load_b128 v[2:5], off, off offset:656
	scratch_load_b128 v[6:9], off, off offset:672
	;; [unrolled: 1-line block ×5, first 2 shown]
	v_mov_b32_e32 v1, 0
	scratch_load_b128 v[26:29], off, off offset:640
	s_mov_b32 s2, exec_lo
	ds_load_b128 v[22:25], v1 offset:1648
	ds_load_b128 v[30:33], v1 offset:1664
	s_waitcnt vmcnt(5) lgkmcnt(1)
	v_mul_f64 v[34:35], v[24:25], v[4:5]
	v_mul_f64 v[4:5], v[22:23], v[4:5]
	s_waitcnt vmcnt(4) lgkmcnt(0)
	v_mul_f64 v[36:37], v[30:31], v[8:9]
	v_mul_f64 v[8:9], v[32:33], v[8:9]
	s_delay_alu instid0(VALU_DEP_4) | instskip(NEXT) | instid1(VALU_DEP_4)
	v_fma_f64 v[22:23], v[22:23], v[2:3], -v[34:35]
	v_fma_f64 v[24:25], v[24:25], v[2:3], v[4:5]
	ds_load_b128 v[2:5], v1 offset:1680
	v_fma_f64 v[32:33], v[32:33], v[6:7], v[36:37]
	v_fma_f64 v[30:31], v[30:31], v[6:7], -v[8:9]
	ds_load_b128 v[6:9], v1 offset:1696
	s_waitcnt vmcnt(3) lgkmcnt(1)
	v_mul_f64 v[34:35], v[2:3], v[12:13]
	v_mul_f64 v[12:13], v[4:5], v[12:13]
	s_waitcnt vmcnt(2) lgkmcnt(0)
	v_mul_f64 v[36:37], v[6:7], v[16:17]
	s_delay_alu instid0(VALU_DEP_3) | instskip(NEXT) | instid1(VALU_DEP_3)
	v_fma_f64 v[34:35], v[4:5], v[10:11], v[34:35]
	v_fma_f64 v[38:39], v[2:3], v[10:11], -v[12:13]
	v_mul_f64 v[10:11], v[8:9], v[16:17]
	ds_load_b128 v[2:5], v1 offset:1712
	v_fma_f64 v[16:17], v[8:9], v[14:15], v[36:37]
	v_fma_f64 v[14:15], v[6:7], v[14:15], -v[10:11]
	ds_load_b128 v[6:9], v1 offset:1728
	s_waitcnt vmcnt(1) lgkmcnt(1)
	v_mul_f64 v[10:11], v[2:3], v[20:21]
	v_mul_f64 v[12:13], v[4:5], v[20:21]
	s_delay_alu instid0(VALU_DEP_2) | instskip(NEXT) | instid1(VALU_DEP_2)
	v_fma_f64 v[20:21], v[4:5], v[18:19], v[10:11]
	v_fma_f64 v[18:19], v[2:3], v[18:19], -v[12:13]
	s_clause 0x1
	scratch_load_b128 v[2:5], off, off offset:736
	scratch_load_b128 v[10:13], off, off offset:752
	s_waitcnt vmcnt(1) lgkmcnt(0)
	v_mul_f64 v[36:37], v[6:7], v[4:5]
	v_mul_f64 v[4:5], v[8:9], v[4:5]
	s_delay_alu instid0(VALU_DEP_2) | instskip(NEXT) | instid1(VALU_DEP_2)
	v_fma_f64 v[36:37], v[8:9], v[2:3], v[36:37]
	v_fma_f64 v[40:41], v[6:7], v[2:3], -v[4:5]
	ds_load_b128 v[2:5], v1 offset:1744
	ds_load_b128 v[6:9], v1 offset:1760
	s_waitcnt vmcnt(0) lgkmcnt(1)
	v_mul_f64 v[42:43], v[2:3], v[12:13]
	s_delay_alu instid0(VALU_DEP_1) | instskip(SKIP_1) | instid1(VALU_DEP_1)
	v_fma_f64 v[42:43], v[4:5], v[10:11], v[42:43]
	v_mul_f64 v[4:5], v[4:5], v[12:13]
	v_fma_f64 v[44:45], v[2:3], v[10:11], -v[4:5]
	s_clause 0x1
	scratch_load_b128 v[2:5], off, off offset:768
	scratch_load_b128 v[10:13], off, off offset:784
	s_waitcnt vmcnt(1) lgkmcnt(0)
	v_mul_f64 v[46:47], v[6:7], v[4:5]
	v_mul_f64 v[4:5], v[8:9], v[4:5]
	s_delay_alu instid0(VALU_DEP_2) | instskip(NEXT) | instid1(VALU_DEP_2)
	v_fma_f64 v[46:47], v[8:9], v[2:3], v[46:47]
	v_fma_f64 v[48:49], v[6:7], v[2:3], -v[4:5]
	ds_load_b128 v[2:5], v1 offset:1776
	ds_load_b128 v[6:9], v1 offset:1792
	s_waitcnt vmcnt(0) lgkmcnt(1)
	v_mul_f64 v[52:53], v[2:3], v[12:13]
	s_delay_alu instid0(VALU_DEP_1) | instskip(SKIP_1) | instid1(VALU_DEP_1)
	v_fma_f64 v[52:53], v[4:5], v[10:11], v[52:53]
	v_mul_f64 v[4:5], v[4:5], v[12:13]
	;; [unrolled: 17-line block ×6, first 2 shown]
	v_fma_f64 v[220:221], v[2:3], v[10:11], -v[4:5]
	v_add_f64 v[2:3], v[22:23], 0
	v_add_f64 v[4:5], v[24:25], 0
	s_delay_alu instid0(VALU_DEP_2) | instskip(NEXT) | instid1(VALU_DEP_2)
	v_add_f64 v[2:3], v[2:3], v[30:31]
	v_add_f64 v[4:5], v[4:5], v[32:33]
	s_delay_alu instid0(VALU_DEP_2) | instskip(NEXT) | instid1(VALU_DEP_2)
	;; [unrolled: 3-line block ×10, first 2 shown]
	v_add_f64 v[2:3], v[2:3], v[62:63]
	v_add_f64 v[10:11], v[4:5], v[60:61]
	s_delay_alu instid0(VALU_DEP_2)
	v_add_f64 v[12:13], v[2:3], v[66:67]
	scratch_load_b128 v[2:5], off, off offset:928
	v_add_f64 v[14:15], v[10:11], v[64:65]
	v_add_f64 v[16:17], v[12:13], v[70:71]
	scratch_load_b128 v[10:13], off, off offset:944
	v_add_f64 v[18:19], v[14:15], v[68:69]
	;; [unrolled: 3-line block ×4, first 2 shown]
	v_add_f64 v[24:25], v[24:25], v[202:203]
	s_delay_alu instid0(VALU_DEP_2) | instskip(NEXT) | instid1(VALU_DEP_2)
	v_add_f64 v[22:23], v[22:23], v[189:190]
	v_add_f64 v[24:25], v[24:25], v[220:221]
	s_delay_alu instid0(VALU_DEP_2) | instskip(SKIP_3) | instid1(VALU_DEP_2)
	v_add_f64 v[22:23], v[22:23], v[215:216]
	s_waitcnt vmcnt(3) lgkmcnt(0)
	v_mul_f64 v[30:31], v[6:7], v[4:5]
	v_mul_f64 v[4:5], v[8:9], v[4:5]
	v_fma_f64 v[30:31], v[8:9], v[2:3], v[30:31]
	s_delay_alu instid0(VALU_DEP_2)
	v_fma_f64 v[32:33], v[6:7], v[2:3], -v[4:5]
	ds_load_b128 v[2:5], v1 offset:1936
	ds_load_b128 v[6:9], v1 offset:1952
	s_waitcnt vmcnt(2) lgkmcnt(1)
	v_mul_f64 v[34:35], v[2:3], v[12:13]
	v_mul_f64 v[12:13], v[4:5], v[12:13]
	s_waitcnt vmcnt(1) lgkmcnt(0)
	v_mul_f64 v[36:37], v[6:7], v[16:17]
	v_add_f64 v[22:23], v[22:23], v[30:31]
	s_delay_alu instid0(VALU_DEP_4) | instskip(NEXT) | instid1(VALU_DEP_4)
	v_fma_f64 v[34:35], v[4:5], v[10:11], v[34:35]
	v_fma_f64 v[10:11], v[2:3], v[10:11], -v[12:13]
	v_mul_f64 v[12:13], v[8:9], v[16:17]
	v_add_f64 v[16:17], v[24:25], v[32:33]
	ds_load_b128 v[2:5], v1 offset:1968
	v_fma_f64 v[8:9], v[8:9], v[14:15], v[36:37]
	s_waitcnt vmcnt(0) lgkmcnt(0)
	v_mul_f64 v[24:25], v[2:3], v[20:21]
	v_mul_f64 v[20:21], v[4:5], v[20:21]
	v_fma_f64 v[6:7], v[6:7], v[14:15], -v[12:13]
	v_add_f64 v[10:11], v[16:17], v[10:11]
	v_add_f64 v[12:13], v[22:23], v[34:35]
	v_fma_f64 v[4:5], v[4:5], v[18:19], v[24:25]
	v_fma_f64 v[2:3], v[2:3], v[18:19], -v[20:21]
	s_delay_alu instid0(VALU_DEP_4) | instskip(NEXT) | instid1(VALU_DEP_4)
	v_add_f64 v[6:7], v[10:11], v[6:7]
	v_add_f64 v[8:9], v[12:13], v[8:9]
	s_delay_alu instid0(VALU_DEP_2) | instskip(NEXT) | instid1(VALU_DEP_2)
	v_add_f64 v[2:3], v[6:7], v[2:3]
	v_add_f64 v[4:5], v[8:9], v[4:5]
	s_delay_alu instid0(VALU_DEP_2) | instskip(NEXT) | instid1(VALU_DEP_2)
	v_add_f64 v[2:3], v[26:27], -v[2:3]
	v_add_f64 v[4:5], v[28:29], -v[4:5]
	scratch_store_b128 off, v[2:5], off offset:640
	v_cmpx_lt_u32_e32 39, v174
	s_cbranch_execz .LBB61_319
; %bb.318:
	scratch_load_b32 v2, off, off offset:1076 ; 4-byte Folded Reload
	v_mov_b32_e32 v3, v1
	v_mov_b32_e32 v4, v1
	s_waitcnt vmcnt(0)
	scratch_load_b128 v[5:8], v2, off
	v_mov_b32_e32 v2, v1
	scratch_store_b128 off, v[1:4], off offset:624
	s_waitcnt vmcnt(0)
	ds_store_b128 v236, v[5:8]
.LBB61_319:
	s_or_b32 exec_lo, exec_lo, s2
	s_waitcnt lgkmcnt(0)
	s_waitcnt_vscnt null, 0x0
	s_barrier
	buffer_gl0_inv
	s_clause 0x4
	scratch_load_b128 v[2:5], off, off offset:640
	scratch_load_b128 v[6:9], off, off offset:656
	scratch_load_b128 v[10:13], off, off offset:672
	scratch_load_b128 v[14:17], off, off offset:688
	scratch_load_b128 v[18:21], off, off offset:704
	ds_load_b128 v[22:25], v1 offset:1632
	ds_load_b128 v[26:29], v1 offset:1648
	scratch_load_b128 v[30:33], off, off offset:624
	s_mov_b32 s2, exec_lo
	s_waitcnt vmcnt(5) lgkmcnt(1)
	v_mul_f64 v[34:35], v[24:25], v[4:5]
	v_mul_f64 v[4:5], v[22:23], v[4:5]
	s_waitcnt vmcnt(4) lgkmcnt(0)
	v_mul_f64 v[36:37], v[26:27], v[8:9]
	v_mul_f64 v[8:9], v[28:29], v[8:9]
	s_delay_alu instid0(VALU_DEP_4) | instskip(NEXT) | instid1(VALU_DEP_4)
	v_fma_f64 v[22:23], v[22:23], v[2:3], -v[34:35]
	v_fma_f64 v[24:25], v[24:25], v[2:3], v[4:5]
	ds_load_b128 v[2:5], v1 offset:1664
	v_fma_f64 v[28:29], v[28:29], v[6:7], v[36:37]
	v_fma_f64 v[26:27], v[26:27], v[6:7], -v[8:9]
	ds_load_b128 v[6:9], v1 offset:1680
	s_waitcnt vmcnt(3) lgkmcnt(1)
	v_mul_f64 v[34:35], v[2:3], v[12:13]
	v_mul_f64 v[12:13], v[4:5], v[12:13]
	s_waitcnt vmcnt(2) lgkmcnt(0)
	v_mul_f64 v[36:37], v[6:7], v[16:17]
	s_delay_alu instid0(VALU_DEP_3) | instskip(NEXT) | instid1(VALU_DEP_3)
	v_fma_f64 v[34:35], v[4:5], v[10:11], v[34:35]
	v_fma_f64 v[38:39], v[2:3], v[10:11], -v[12:13]
	v_mul_f64 v[10:11], v[8:9], v[16:17]
	ds_load_b128 v[2:5], v1 offset:1696
	v_fma_f64 v[16:17], v[8:9], v[14:15], v[36:37]
	v_fma_f64 v[14:15], v[6:7], v[14:15], -v[10:11]
	ds_load_b128 v[6:9], v1 offset:1712
	s_waitcnt vmcnt(1) lgkmcnt(1)
	v_mul_f64 v[10:11], v[2:3], v[20:21]
	v_mul_f64 v[12:13], v[4:5], v[20:21]
	s_delay_alu instid0(VALU_DEP_2) | instskip(NEXT) | instid1(VALU_DEP_2)
	v_fma_f64 v[20:21], v[4:5], v[18:19], v[10:11]
	v_fma_f64 v[18:19], v[2:3], v[18:19], -v[12:13]
	s_clause 0x1
	scratch_load_b128 v[2:5], off, off offset:720
	scratch_load_b128 v[10:13], off, off offset:736
	s_waitcnt vmcnt(1) lgkmcnt(0)
	v_mul_f64 v[36:37], v[6:7], v[4:5]
	v_mul_f64 v[4:5], v[8:9], v[4:5]
	s_delay_alu instid0(VALU_DEP_2) | instskip(NEXT) | instid1(VALU_DEP_2)
	v_fma_f64 v[36:37], v[8:9], v[2:3], v[36:37]
	v_fma_f64 v[40:41], v[6:7], v[2:3], -v[4:5]
	ds_load_b128 v[2:5], v1 offset:1728
	ds_load_b128 v[6:9], v1 offset:1744
	s_waitcnt vmcnt(0) lgkmcnt(1)
	v_mul_f64 v[42:43], v[2:3], v[12:13]
	s_delay_alu instid0(VALU_DEP_1) | instskip(SKIP_1) | instid1(VALU_DEP_1)
	v_fma_f64 v[42:43], v[4:5], v[10:11], v[42:43]
	v_mul_f64 v[4:5], v[4:5], v[12:13]
	v_fma_f64 v[44:45], v[2:3], v[10:11], -v[4:5]
	s_clause 0x1
	scratch_load_b128 v[2:5], off, off offset:752
	scratch_load_b128 v[10:13], off, off offset:768
	s_waitcnt vmcnt(1) lgkmcnt(0)
	v_mul_f64 v[46:47], v[6:7], v[4:5]
	v_mul_f64 v[4:5], v[8:9], v[4:5]
	s_delay_alu instid0(VALU_DEP_2) | instskip(NEXT) | instid1(VALU_DEP_2)
	v_fma_f64 v[46:47], v[8:9], v[2:3], v[46:47]
	v_fma_f64 v[48:49], v[6:7], v[2:3], -v[4:5]
	ds_load_b128 v[2:5], v1 offset:1760
	ds_load_b128 v[6:9], v1 offset:1776
	s_waitcnt vmcnt(0) lgkmcnt(1)
	v_mul_f64 v[52:53], v[2:3], v[12:13]
	s_delay_alu instid0(VALU_DEP_1) | instskip(SKIP_1) | instid1(VALU_DEP_1)
	v_fma_f64 v[52:53], v[4:5], v[10:11], v[52:53]
	v_mul_f64 v[4:5], v[4:5], v[12:13]
	;; [unrolled: 17-line block ×7, first 2 shown]
	v_fma_f64 v[241:242], v[2:3], v[10:11], -v[4:5]
	v_add_f64 v[2:3], v[22:23], 0
	v_add_f64 v[4:5], v[24:25], 0
	s_delay_alu instid0(VALU_DEP_2) | instskip(NEXT) | instid1(VALU_DEP_2)
	v_add_f64 v[2:3], v[2:3], v[26:27]
	v_add_f64 v[4:5], v[4:5], v[28:29]
	s_delay_alu instid0(VALU_DEP_2) | instskip(NEXT) | instid1(VALU_DEP_2)
	;; [unrolled: 3-line block ×12, first 2 shown]
	v_add_f64 v[2:3], v[2:3], v[70:71]
	v_add_f64 v[10:11], v[4:5], v[68:69]
	s_delay_alu instid0(VALU_DEP_2)
	v_add_f64 v[12:13], v[2:3], v[175:176]
	scratch_load_b128 v[2:5], off, off offset:944
	v_add_f64 v[14:15], v[10:11], v[90:91]
	v_add_f64 v[16:17], v[12:13], v[187:188]
	scratch_load_b128 v[10:13], off, off offset:960
	v_add_f64 v[18:19], v[14:15], v[177:178]
	;; [unrolled: 3-line block ×3, first 2 shown]
	v_add_f64 v[20:21], v[20:21], v[220:221]
	s_delay_alu instid0(VALU_DEP_2) | instskip(NEXT) | instid1(VALU_DEP_2)
	v_add_f64 v[18:19], v[18:19], v[215:216]
	v_add_f64 v[28:29], v[20:21], v[237:238]
	s_delay_alu instid0(VALU_DEP_2)
	v_add_f64 v[34:35], v[18:19], v[226:227]
	ds_load_b128 v[18:21], v1 offset:1952
	ds_load_b128 v[22:25], v1 offset:1968
	s_waitcnt vmcnt(2) lgkmcnt(2)
	v_mul_f64 v[26:27], v[6:7], v[4:5]
	v_mul_f64 v[4:5], v[8:9], v[4:5]
	s_waitcnt vmcnt(1) lgkmcnt(1)
	v_mul_f64 v[36:37], v[18:19], v[12:13]
	s_delay_alu instid0(VALU_DEP_3) | instskip(NEXT) | instid1(VALU_DEP_3)
	v_fma_f64 v[8:9], v[8:9], v[2:3], v[26:27]
	v_fma_f64 v[1:2], v[6:7], v[2:3], -v[4:5]
	v_mul_f64 v[3:4], v[20:21], v[12:13]
	v_add_f64 v[5:6], v[28:29], v[241:242]
	v_add_f64 v[12:13], v[34:35], v[239:240]
	s_waitcnt vmcnt(0) lgkmcnt(0)
	v_mul_f64 v[26:27], v[22:23], v[16:17]
	v_mul_f64 v[16:17], v[24:25], v[16:17]
	v_fma_f64 v[20:21], v[20:21], v[10:11], v[36:37]
	v_fma_f64 v[3:4], v[18:19], v[10:11], -v[3:4]
	v_add_f64 v[1:2], v[5:6], v[1:2]
	v_add_f64 v[5:6], v[12:13], v[8:9]
	v_fma_f64 v[7:8], v[24:25], v[14:15], v[26:27]
	v_fma_f64 v[9:10], v[22:23], v[14:15], -v[16:17]
	s_delay_alu instid0(VALU_DEP_4) | instskip(NEXT) | instid1(VALU_DEP_4)
	v_add_f64 v[1:2], v[1:2], v[3:4]
	v_add_f64 v[3:4], v[5:6], v[20:21]
	s_delay_alu instid0(VALU_DEP_2) | instskip(NEXT) | instid1(VALU_DEP_2)
	v_add_f64 v[1:2], v[1:2], v[9:10]
	v_add_f64 v[3:4], v[3:4], v[7:8]
	s_delay_alu instid0(VALU_DEP_2) | instskip(NEXT) | instid1(VALU_DEP_2)
	v_add_f64 v[1:2], v[30:31], -v[1:2]
	v_add_f64 v[3:4], v[32:33], -v[3:4]
	scratch_store_b128 off, v[1:4], off offset:624
	v_cmpx_lt_u32_e32 38, v174
	s_cbranch_execz .LBB61_321
; %bb.320:
	scratch_load_b32 v1, off, off offset:1080 ; 4-byte Folded Reload
	v_mov_b32_e32 v5, 0
	s_delay_alu instid0(VALU_DEP_1)
	v_mov_b32_e32 v6, v5
	v_mov_b32_e32 v7, v5
	v_mov_b32_e32 v8, v5
	s_waitcnt vmcnt(0)
	scratch_load_b128 v[1:4], v1, off
	scratch_store_b128 off, v[5:8], off offset:608
	s_waitcnt vmcnt(0)
	ds_store_b128 v236, v[1:4]
.LBB61_321:
	s_or_b32 exec_lo, exec_lo, s2
	s_waitcnt lgkmcnt(0)
	s_waitcnt_vscnt null, 0x0
	s_barrier
	buffer_gl0_inv
	s_clause 0x4
	scratch_load_b128 v[2:5], off, off offset:624
	scratch_load_b128 v[6:9], off, off offset:640
	;; [unrolled: 1-line block ×5, first 2 shown]
	v_mov_b32_e32 v1, 0
	scratch_load_b128 v[26:29], off, off offset:608
	s_mov_b32 s2, exec_lo
	ds_load_b128 v[22:25], v1 offset:1616
	ds_load_b128 v[30:33], v1 offset:1632
	s_waitcnt vmcnt(5) lgkmcnt(1)
	v_mul_f64 v[34:35], v[24:25], v[4:5]
	v_mul_f64 v[4:5], v[22:23], v[4:5]
	s_waitcnt vmcnt(4) lgkmcnt(0)
	v_mul_f64 v[36:37], v[30:31], v[8:9]
	v_mul_f64 v[8:9], v[32:33], v[8:9]
	s_delay_alu instid0(VALU_DEP_4) | instskip(NEXT) | instid1(VALU_DEP_4)
	v_fma_f64 v[22:23], v[22:23], v[2:3], -v[34:35]
	v_fma_f64 v[24:25], v[24:25], v[2:3], v[4:5]
	ds_load_b128 v[2:5], v1 offset:1648
	v_fma_f64 v[32:33], v[32:33], v[6:7], v[36:37]
	v_fma_f64 v[30:31], v[30:31], v[6:7], -v[8:9]
	ds_load_b128 v[6:9], v1 offset:1664
	s_waitcnt vmcnt(3) lgkmcnt(1)
	v_mul_f64 v[34:35], v[2:3], v[12:13]
	v_mul_f64 v[12:13], v[4:5], v[12:13]
	s_waitcnt vmcnt(2) lgkmcnt(0)
	v_mul_f64 v[36:37], v[6:7], v[16:17]
	s_delay_alu instid0(VALU_DEP_3) | instskip(NEXT) | instid1(VALU_DEP_3)
	v_fma_f64 v[34:35], v[4:5], v[10:11], v[34:35]
	v_fma_f64 v[38:39], v[2:3], v[10:11], -v[12:13]
	v_mul_f64 v[10:11], v[8:9], v[16:17]
	ds_load_b128 v[2:5], v1 offset:1680
	v_fma_f64 v[16:17], v[8:9], v[14:15], v[36:37]
	v_fma_f64 v[14:15], v[6:7], v[14:15], -v[10:11]
	ds_load_b128 v[6:9], v1 offset:1696
	s_waitcnt vmcnt(1) lgkmcnt(1)
	v_mul_f64 v[10:11], v[2:3], v[20:21]
	v_mul_f64 v[12:13], v[4:5], v[20:21]
	s_delay_alu instid0(VALU_DEP_2) | instskip(NEXT) | instid1(VALU_DEP_2)
	v_fma_f64 v[20:21], v[4:5], v[18:19], v[10:11]
	v_fma_f64 v[18:19], v[2:3], v[18:19], -v[12:13]
	s_clause 0x1
	scratch_load_b128 v[2:5], off, off offset:704
	scratch_load_b128 v[10:13], off, off offset:720
	s_waitcnt vmcnt(1) lgkmcnt(0)
	v_mul_f64 v[36:37], v[6:7], v[4:5]
	v_mul_f64 v[4:5], v[8:9], v[4:5]
	s_delay_alu instid0(VALU_DEP_2) | instskip(NEXT) | instid1(VALU_DEP_2)
	v_fma_f64 v[36:37], v[8:9], v[2:3], v[36:37]
	v_fma_f64 v[40:41], v[6:7], v[2:3], -v[4:5]
	ds_load_b128 v[2:5], v1 offset:1712
	ds_load_b128 v[6:9], v1 offset:1728
	s_waitcnt vmcnt(0) lgkmcnt(1)
	v_mul_f64 v[42:43], v[2:3], v[12:13]
	s_delay_alu instid0(VALU_DEP_1) | instskip(SKIP_1) | instid1(VALU_DEP_1)
	v_fma_f64 v[42:43], v[4:5], v[10:11], v[42:43]
	v_mul_f64 v[4:5], v[4:5], v[12:13]
	v_fma_f64 v[44:45], v[2:3], v[10:11], -v[4:5]
	s_clause 0x1
	scratch_load_b128 v[2:5], off, off offset:736
	scratch_load_b128 v[10:13], off, off offset:752
	s_waitcnt vmcnt(1) lgkmcnt(0)
	v_mul_f64 v[46:47], v[6:7], v[4:5]
	v_mul_f64 v[4:5], v[8:9], v[4:5]
	s_delay_alu instid0(VALU_DEP_2) | instskip(NEXT) | instid1(VALU_DEP_2)
	v_fma_f64 v[46:47], v[8:9], v[2:3], v[46:47]
	v_fma_f64 v[48:49], v[6:7], v[2:3], -v[4:5]
	ds_load_b128 v[2:5], v1 offset:1744
	ds_load_b128 v[6:9], v1 offset:1760
	s_waitcnt vmcnt(0) lgkmcnt(1)
	v_mul_f64 v[52:53], v[2:3], v[12:13]
	s_delay_alu instid0(VALU_DEP_1) | instskip(SKIP_1) | instid1(VALU_DEP_1)
	v_fma_f64 v[52:53], v[4:5], v[10:11], v[52:53]
	v_mul_f64 v[4:5], v[4:5], v[12:13]
	v_fma_f64 v[54:55], v[2:3], v[10:11], -v[4:5]
	s_clause 0x1
	scratch_load_b128 v[2:5], off, off offset:768
	scratch_load_b128 v[10:13], off, off offset:784
	s_waitcnt vmcnt(1) lgkmcnt(0)
	v_mul_f64 v[56:57], v[6:7], v[4:5]
	v_mul_f64 v[4:5], v[8:9], v[4:5]
	s_delay_alu instid0(VALU_DEP_2) | instskip(NEXT) | instid1(VALU_DEP_2)
	v_fma_f64 v[56:57], v[8:9], v[2:3], v[56:57]
	v_fma_f64 v[58:59], v[6:7], v[2:3], -v[4:5]
	ds_load_b128 v[2:5], v1 offset:1776
	ds_load_b128 v[6:9], v1 offset:1792
	s_waitcnt vmcnt(0) lgkmcnt(1)
	v_mul_f64 v[60:61], v[2:3], v[12:13]
	s_delay_alu instid0(VALU_DEP_1) | instskip(SKIP_1) | instid1(VALU_DEP_1)
	v_fma_f64 v[60:61], v[4:5], v[10:11], v[60:61]
	v_mul_f64 v[4:5], v[4:5], v[12:13]
	v_fma_f64 v[62:63], v[2:3], v[10:11], -v[4:5]
	s_clause 0x1
	scratch_load_b128 v[2:5], off, off offset:800
	scratch_load_b128 v[10:13], off, off offset:816
	s_waitcnt vmcnt(1) lgkmcnt(0)
	v_mul_f64 v[64:65], v[6:7], v[4:5]
	v_mul_f64 v[4:5], v[8:9], v[4:5]
	s_delay_alu instid0(VALU_DEP_2) | instskip(NEXT) | instid1(VALU_DEP_2)
	v_fma_f64 v[64:65], v[8:9], v[2:3], v[64:65]
	v_fma_f64 v[66:67], v[6:7], v[2:3], -v[4:5]
	ds_load_b128 v[2:5], v1 offset:1808
	ds_load_b128 v[6:9], v1 offset:1824
	s_waitcnt vmcnt(0) lgkmcnt(1)
	v_mul_f64 v[68:69], v[2:3], v[12:13]
	s_delay_alu instid0(VALU_DEP_1) | instskip(SKIP_1) | instid1(VALU_DEP_1)
	v_fma_f64 v[68:69], v[4:5], v[10:11], v[68:69]
	v_mul_f64 v[4:5], v[4:5], v[12:13]
	v_fma_f64 v[70:71], v[2:3], v[10:11], -v[4:5]
	s_clause 0x1
	scratch_load_b128 v[2:5], off, off offset:832
	scratch_load_b128 v[10:13], off, off offset:848
	s_waitcnt vmcnt(1) lgkmcnt(0)
	v_mul_f64 v[90:91], v[6:7], v[4:5]
	v_mul_f64 v[4:5], v[8:9], v[4:5]
	s_delay_alu instid0(VALU_DEP_2) | instskip(NEXT) | instid1(VALU_DEP_2)
	v_fma_f64 v[90:91], v[8:9], v[2:3], v[90:91]
	v_fma_f64 v[175:176], v[6:7], v[2:3], -v[4:5]
	ds_load_b128 v[2:5], v1 offset:1840
	ds_load_b128 v[6:9], v1 offset:1856
	s_waitcnt vmcnt(0) lgkmcnt(1)
	v_mul_f64 v[177:178], v[2:3], v[12:13]
	s_delay_alu instid0(VALU_DEP_1) | instskip(SKIP_1) | instid1(VALU_DEP_1)
	v_fma_f64 v[177:178], v[4:5], v[10:11], v[177:178]
	v_mul_f64 v[4:5], v[4:5], v[12:13]
	v_fma_f64 v[187:188], v[2:3], v[10:11], -v[4:5]
	s_clause 0x1
	scratch_load_b128 v[2:5], off, off offset:864
	scratch_load_b128 v[10:13], off, off offset:880
	s_waitcnt vmcnt(1) lgkmcnt(0)
	v_mul_f64 v[189:190], v[6:7], v[4:5]
	v_mul_f64 v[4:5], v[8:9], v[4:5]
	s_delay_alu instid0(VALU_DEP_2) | instskip(NEXT) | instid1(VALU_DEP_2)
	v_fma_f64 v[189:190], v[8:9], v[2:3], v[189:190]
	v_fma_f64 v[202:203], v[6:7], v[2:3], -v[4:5]
	ds_load_b128 v[2:5], v1 offset:1872
	ds_load_b128 v[6:9], v1 offset:1888
	s_waitcnt vmcnt(0) lgkmcnt(1)
	v_mul_f64 v[215:216], v[2:3], v[12:13]
	s_delay_alu instid0(VALU_DEP_1) | instskip(SKIP_1) | instid1(VALU_DEP_1)
	v_fma_f64 v[215:216], v[4:5], v[10:11], v[215:216]
	v_mul_f64 v[4:5], v[4:5], v[12:13]
	v_fma_f64 v[220:221], v[2:3], v[10:11], -v[4:5]
	s_clause 0x1
	scratch_load_b128 v[2:5], off, off offset:896
	scratch_load_b128 v[10:13], off, off offset:912
	s_waitcnt vmcnt(1) lgkmcnt(0)
	v_mul_f64 v[226:227], v[6:7], v[4:5]
	v_mul_f64 v[4:5], v[8:9], v[4:5]
	s_delay_alu instid0(VALU_DEP_2) | instskip(NEXT) | instid1(VALU_DEP_2)
	v_fma_f64 v[226:227], v[8:9], v[2:3], v[226:227]
	v_fma_f64 v[237:238], v[6:7], v[2:3], -v[4:5]
	ds_load_b128 v[2:5], v1 offset:1904
	ds_load_b128 v[6:9], v1 offset:1920
	s_waitcnt vmcnt(0) lgkmcnt(1)
	v_mul_f64 v[239:240], v[2:3], v[12:13]
	s_delay_alu instid0(VALU_DEP_1) | instskip(SKIP_1) | instid1(VALU_DEP_1)
	v_fma_f64 v[239:240], v[4:5], v[10:11], v[239:240]
	v_mul_f64 v[4:5], v[4:5], v[12:13]
	v_fma_f64 v[241:242], v[2:3], v[10:11], -v[4:5]
	v_add_f64 v[2:3], v[22:23], 0
	v_add_f64 v[4:5], v[24:25], 0
	s_delay_alu instid0(VALU_DEP_2) | instskip(NEXT) | instid1(VALU_DEP_2)
	v_add_f64 v[2:3], v[2:3], v[30:31]
	v_add_f64 v[4:5], v[4:5], v[32:33]
	s_delay_alu instid0(VALU_DEP_2) | instskip(NEXT) | instid1(VALU_DEP_2)
	;; [unrolled: 3-line block ×12, first 2 shown]
	v_add_f64 v[2:3], v[2:3], v[70:71]
	v_add_f64 v[10:11], v[4:5], v[68:69]
	s_delay_alu instid0(VALU_DEP_2)
	v_add_f64 v[12:13], v[2:3], v[175:176]
	scratch_load_b128 v[2:5], off, off offset:928
	v_add_f64 v[14:15], v[10:11], v[90:91]
	v_add_f64 v[16:17], v[12:13], v[187:188]
	scratch_load_b128 v[10:13], off, off offset:944
	v_add_f64 v[18:19], v[14:15], v[177:178]
	;; [unrolled: 3-line block ×4, first 2 shown]
	v_add_f64 v[24:25], v[24:25], v[237:238]
	s_delay_alu instid0(VALU_DEP_2) | instskip(NEXT) | instid1(VALU_DEP_2)
	v_add_f64 v[22:23], v[22:23], v[226:227]
	v_add_f64 v[24:25], v[24:25], v[241:242]
	s_delay_alu instid0(VALU_DEP_2) | instskip(SKIP_3) | instid1(VALU_DEP_2)
	v_add_f64 v[22:23], v[22:23], v[239:240]
	s_waitcnt vmcnt(3) lgkmcnt(0)
	v_mul_f64 v[30:31], v[6:7], v[4:5]
	v_mul_f64 v[4:5], v[8:9], v[4:5]
	v_fma_f64 v[30:31], v[8:9], v[2:3], v[30:31]
	s_delay_alu instid0(VALU_DEP_2)
	v_fma_f64 v[32:33], v[6:7], v[2:3], -v[4:5]
	ds_load_b128 v[2:5], v1 offset:1936
	ds_load_b128 v[6:9], v1 offset:1952
	s_waitcnt vmcnt(2) lgkmcnt(1)
	v_mul_f64 v[34:35], v[2:3], v[12:13]
	v_mul_f64 v[12:13], v[4:5], v[12:13]
	s_waitcnt vmcnt(1) lgkmcnt(0)
	v_mul_f64 v[36:37], v[6:7], v[16:17]
	v_add_f64 v[22:23], v[22:23], v[30:31]
	s_delay_alu instid0(VALU_DEP_4) | instskip(NEXT) | instid1(VALU_DEP_4)
	v_fma_f64 v[34:35], v[4:5], v[10:11], v[34:35]
	v_fma_f64 v[10:11], v[2:3], v[10:11], -v[12:13]
	v_mul_f64 v[12:13], v[8:9], v[16:17]
	v_add_f64 v[16:17], v[24:25], v[32:33]
	ds_load_b128 v[2:5], v1 offset:1968
	v_fma_f64 v[8:9], v[8:9], v[14:15], v[36:37]
	s_waitcnt vmcnt(0) lgkmcnt(0)
	v_mul_f64 v[24:25], v[2:3], v[20:21]
	v_mul_f64 v[20:21], v[4:5], v[20:21]
	v_fma_f64 v[6:7], v[6:7], v[14:15], -v[12:13]
	v_add_f64 v[10:11], v[16:17], v[10:11]
	v_add_f64 v[12:13], v[22:23], v[34:35]
	v_fma_f64 v[4:5], v[4:5], v[18:19], v[24:25]
	v_fma_f64 v[2:3], v[2:3], v[18:19], -v[20:21]
	s_delay_alu instid0(VALU_DEP_4) | instskip(NEXT) | instid1(VALU_DEP_4)
	v_add_f64 v[6:7], v[10:11], v[6:7]
	v_add_f64 v[8:9], v[12:13], v[8:9]
	s_delay_alu instid0(VALU_DEP_2) | instskip(NEXT) | instid1(VALU_DEP_2)
	v_add_f64 v[2:3], v[6:7], v[2:3]
	v_add_f64 v[4:5], v[8:9], v[4:5]
	s_delay_alu instid0(VALU_DEP_2) | instskip(NEXT) | instid1(VALU_DEP_2)
	v_add_f64 v[2:3], v[26:27], -v[2:3]
	v_add_f64 v[4:5], v[28:29], -v[4:5]
	scratch_store_b128 off, v[2:5], off offset:608
	v_cmpx_lt_u32_e32 37, v174
	s_cbranch_execz .LBB61_323
; %bb.322:
	scratch_load_b32 v2, off, off offset:1084 ; 4-byte Folded Reload
	v_mov_b32_e32 v3, v1
	v_mov_b32_e32 v4, v1
	s_waitcnt vmcnt(0)
	scratch_load_b128 v[5:8], v2, off
	v_mov_b32_e32 v2, v1
	scratch_store_b128 off, v[1:4], off offset:592
	s_waitcnt vmcnt(0)
	ds_store_b128 v236, v[5:8]
.LBB61_323:
	s_or_b32 exec_lo, exec_lo, s2
	s_waitcnt lgkmcnt(0)
	s_waitcnt_vscnt null, 0x0
	s_barrier
	buffer_gl0_inv
	s_clause 0x4
	scratch_load_b128 v[2:5], off, off offset:608
	scratch_load_b128 v[6:9], off, off offset:624
	;; [unrolled: 1-line block ×5, first 2 shown]
	ds_load_b128 v[22:25], v1 offset:1600
	ds_load_b128 v[26:29], v1 offset:1616
	scratch_load_b128 v[30:33], off, off offset:592
	s_mov_b32 s2, exec_lo
	s_waitcnt vmcnt(5) lgkmcnt(1)
	v_mul_f64 v[34:35], v[24:25], v[4:5]
	v_mul_f64 v[4:5], v[22:23], v[4:5]
	s_waitcnt vmcnt(4) lgkmcnt(0)
	v_mul_f64 v[36:37], v[26:27], v[8:9]
	v_mul_f64 v[8:9], v[28:29], v[8:9]
	s_delay_alu instid0(VALU_DEP_4) | instskip(NEXT) | instid1(VALU_DEP_4)
	v_fma_f64 v[22:23], v[22:23], v[2:3], -v[34:35]
	v_fma_f64 v[24:25], v[24:25], v[2:3], v[4:5]
	ds_load_b128 v[2:5], v1 offset:1632
	v_fma_f64 v[28:29], v[28:29], v[6:7], v[36:37]
	v_fma_f64 v[26:27], v[26:27], v[6:7], -v[8:9]
	ds_load_b128 v[6:9], v1 offset:1648
	s_waitcnt vmcnt(3) lgkmcnt(1)
	v_mul_f64 v[34:35], v[2:3], v[12:13]
	v_mul_f64 v[12:13], v[4:5], v[12:13]
	s_waitcnt vmcnt(2) lgkmcnt(0)
	v_mul_f64 v[36:37], v[6:7], v[16:17]
	s_delay_alu instid0(VALU_DEP_3) | instskip(NEXT) | instid1(VALU_DEP_3)
	v_fma_f64 v[34:35], v[4:5], v[10:11], v[34:35]
	v_fma_f64 v[38:39], v[2:3], v[10:11], -v[12:13]
	v_mul_f64 v[10:11], v[8:9], v[16:17]
	ds_load_b128 v[2:5], v1 offset:1664
	v_fma_f64 v[16:17], v[8:9], v[14:15], v[36:37]
	v_fma_f64 v[14:15], v[6:7], v[14:15], -v[10:11]
	ds_load_b128 v[6:9], v1 offset:1680
	s_waitcnt vmcnt(1) lgkmcnt(1)
	v_mul_f64 v[10:11], v[2:3], v[20:21]
	v_mul_f64 v[12:13], v[4:5], v[20:21]
	s_delay_alu instid0(VALU_DEP_2) | instskip(NEXT) | instid1(VALU_DEP_2)
	v_fma_f64 v[20:21], v[4:5], v[18:19], v[10:11]
	v_fma_f64 v[18:19], v[2:3], v[18:19], -v[12:13]
	s_clause 0x1
	scratch_load_b128 v[2:5], off, off offset:688
	scratch_load_b128 v[10:13], off, off offset:704
	s_waitcnt vmcnt(1) lgkmcnt(0)
	v_mul_f64 v[36:37], v[6:7], v[4:5]
	v_mul_f64 v[4:5], v[8:9], v[4:5]
	s_delay_alu instid0(VALU_DEP_2) | instskip(NEXT) | instid1(VALU_DEP_2)
	v_fma_f64 v[36:37], v[8:9], v[2:3], v[36:37]
	v_fma_f64 v[40:41], v[6:7], v[2:3], -v[4:5]
	ds_load_b128 v[2:5], v1 offset:1696
	ds_load_b128 v[6:9], v1 offset:1712
	s_waitcnt vmcnt(0) lgkmcnt(1)
	v_mul_f64 v[42:43], v[2:3], v[12:13]
	s_delay_alu instid0(VALU_DEP_1) | instskip(SKIP_1) | instid1(VALU_DEP_1)
	v_fma_f64 v[42:43], v[4:5], v[10:11], v[42:43]
	v_mul_f64 v[4:5], v[4:5], v[12:13]
	v_fma_f64 v[44:45], v[2:3], v[10:11], -v[4:5]
	s_clause 0x1
	scratch_load_b128 v[2:5], off, off offset:720
	scratch_load_b128 v[10:13], off, off offset:736
	s_waitcnt vmcnt(1) lgkmcnt(0)
	v_mul_f64 v[46:47], v[6:7], v[4:5]
	v_mul_f64 v[4:5], v[8:9], v[4:5]
	s_delay_alu instid0(VALU_DEP_2) | instskip(NEXT) | instid1(VALU_DEP_2)
	v_fma_f64 v[46:47], v[8:9], v[2:3], v[46:47]
	v_fma_f64 v[48:49], v[6:7], v[2:3], -v[4:5]
	ds_load_b128 v[2:5], v1 offset:1728
	ds_load_b128 v[6:9], v1 offset:1744
	s_waitcnt vmcnt(0) lgkmcnt(1)
	v_mul_f64 v[52:53], v[2:3], v[12:13]
	s_delay_alu instid0(VALU_DEP_1) | instskip(SKIP_1) | instid1(VALU_DEP_1)
	v_fma_f64 v[52:53], v[4:5], v[10:11], v[52:53]
	v_mul_f64 v[4:5], v[4:5], v[12:13]
	;; [unrolled: 17-line block ×8, first 2 shown]
	v_fma_f64 v[249:250], v[2:3], v[10:11], -v[4:5]
	v_add_f64 v[2:3], v[22:23], 0
	v_add_f64 v[4:5], v[24:25], 0
	s_delay_alu instid0(VALU_DEP_2) | instskip(NEXT) | instid1(VALU_DEP_2)
	v_add_f64 v[2:3], v[2:3], v[26:27]
	v_add_f64 v[4:5], v[4:5], v[28:29]
	s_delay_alu instid0(VALU_DEP_2) | instskip(NEXT) | instid1(VALU_DEP_2)
	;; [unrolled: 3-line block ×14, first 2 shown]
	v_add_f64 v[2:3], v[2:3], v[187:188]
	v_add_f64 v[10:11], v[4:5], v[177:178]
	s_delay_alu instid0(VALU_DEP_2)
	v_add_f64 v[12:13], v[2:3], v[202:203]
	scratch_load_b128 v[2:5], off, off offset:944
	v_add_f64 v[14:15], v[10:11], v[189:190]
	v_add_f64 v[16:17], v[12:13], v[220:221]
	scratch_load_b128 v[10:13], off, off offset:960
	v_add_f64 v[18:19], v[14:15], v[215:216]
	v_add_f64 v[20:21], v[16:17], v[237:238]
	scratch_load_b128 v[14:17], off, off offset:976
	v_add_f64 v[18:19], v[18:19], v[226:227]
	v_add_f64 v[20:21], v[20:21], v[241:242]
	s_delay_alu instid0(VALU_DEP_2) | instskip(NEXT) | instid1(VALU_DEP_2)
	v_add_f64 v[18:19], v[18:19], v[239:240]
	v_add_f64 v[28:29], v[20:21], v[245:246]
	s_delay_alu instid0(VALU_DEP_2)
	v_add_f64 v[34:35], v[18:19], v[243:244]
	ds_load_b128 v[18:21], v1 offset:1952
	ds_load_b128 v[22:25], v1 offset:1968
	s_waitcnt vmcnt(2) lgkmcnt(2)
	v_mul_f64 v[26:27], v[6:7], v[4:5]
	v_mul_f64 v[4:5], v[8:9], v[4:5]
	s_waitcnt vmcnt(1) lgkmcnt(1)
	v_mul_f64 v[36:37], v[18:19], v[12:13]
	s_delay_alu instid0(VALU_DEP_3) | instskip(NEXT) | instid1(VALU_DEP_3)
	v_fma_f64 v[8:9], v[8:9], v[2:3], v[26:27]
	v_fma_f64 v[1:2], v[6:7], v[2:3], -v[4:5]
	v_mul_f64 v[3:4], v[20:21], v[12:13]
	v_add_f64 v[5:6], v[28:29], v[249:250]
	v_add_f64 v[12:13], v[34:35], v[247:248]
	s_waitcnt vmcnt(0) lgkmcnt(0)
	v_mul_f64 v[26:27], v[22:23], v[16:17]
	v_mul_f64 v[16:17], v[24:25], v[16:17]
	v_fma_f64 v[20:21], v[20:21], v[10:11], v[36:37]
	v_fma_f64 v[3:4], v[18:19], v[10:11], -v[3:4]
	v_add_f64 v[1:2], v[5:6], v[1:2]
	v_add_f64 v[5:6], v[12:13], v[8:9]
	v_fma_f64 v[7:8], v[24:25], v[14:15], v[26:27]
	v_fma_f64 v[9:10], v[22:23], v[14:15], -v[16:17]
	s_delay_alu instid0(VALU_DEP_4) | instskip(NEXT) | instid1(VALU_DEP_4)
	v_add_f64 v[1:2], v[1:2], v[3:4]
	v_add_f64 v[3:4], v[5:6], v[20:21]
	s_delay_alu instid0(VALU_DEP_2) | instskip(NEXT) | instid1(VALU_DEP_2)
	v_add_f64 v[1:2], v[1:2], v[9:10]
	v_add_f64 v[3:4], v[3:4], v[7:8]
	s_delay_alu instid0(VALU_DEP_2) | instskip(NEXT) | instid1(VALU_DEP_2)
	v_add_f64 v[1:2], v[30:31], -v[1:2]
	v_add_f64 v[3:4], v[32:33], -v[3:4]
	scratch_store_b128 off, v[1:4], off offset:592
	v_cmpx_lt_u32_e32 36, v174
	s_cbranch_execz .LBB61_325
; %bb.324:
	scratch_load_b32 v1, off, off offset:1092 ; 4-byte Folded Reload
	v_mov_b32_e32 v5, 0
	s_delay_alu instid0(VALU_DEP_1)
	v_mov_b32_e32 v6, v5
	v_mov_b32_e32 v7, v5
	v_mov_b32_e32 v8, v5
	s_waitcnt vmcnt(0)
	scratch_load_b128 v[1:4], v1, off
	scratch_store_b128 off, v[5:8], off offset:576
	s_waitcnt vmcnt(0)
	ds_store_b128 v236, v[1:4]
.LBB61_325:
	s_or_b32 exec_lo, exec_lo, s2
	s_waitcnt lgkmcnt(0)
	s_waitcnt_vscnt null, 0x0
	s_barrier
	buffer_gl0_inv
	s_clause 0x4
	scratch_load_b128 v[2:5], off, off offset:592
	scratch_load_b128 v[6:9], off, off offset:608
	;; [unrolled: 1-line block ×5, first 2 shown]
	v_mov_b32_e32 v1, 0
	scratch_load_b128 v[26:29], off, off offset:576
	s_mov_b32 s2, exec_lo
	ds_load_b128 v[22:25], v1 offset:1584
	ds_load_b128 v[30:33], v1 offset:1600
	s_waitcnt vmcnt(5) lgkmcnt(1)
	v_mul_f64 v[34:35], v[24:25], v[4:5]
	v_mul_f64 v[4:5], v[22:23], v[4:5]
	s_waitcnt vmcnt(4) lgkmcnt(0)
	v_mul_f64 v[36:37], v[30:31], v[8:9]
	v_mul_f64 v[8:9], v[32:33], v[8:9]
	s_delay_alu instid0(VALU_DEP_4) | instskip(NEXT) | instid1(VALU_DEP_4)
	v_fma_f64 v[22:23], v[22:23], v[2:3], -v[34:35]
	v_fma_f64 v[24:25], v[24:25], v[2:3], v[4:5]
	ds_load_b128 v[2:5], v1 offset:1616
	v_fma_f64 v[32:33], v[32:33], v[6:7], v[36:37]
	v_fma_f64 v[30:31], v[30:31], v[6:7], -v[8:9]
	ds_load_b128 v[6:9], v1 offset:1632
	s_waitcnt vmcnt(3) lgkmcnt(1)
	v_mul_f64 v[34:35], v[2:3], v[12:13]
	v_mul_f64 v[12:13], v[4:5], v[12:13]
	s_waitcnt vmcnt(2) lgkmcnt(0)
	v_mul_f64 v[36:37], v[6:7], v[16:17]
	s_delay_alu instid0(VALU_DEP_3) | instskip(NEXT) | instid1(VALU_DEP_3)
	v_fma_f64 v[34:35], v[4:5], v[10:11], v[34:35]
	v_fma_f64 v[38:39], v[2:3], v[10:11], -v[12:13]
	v_mul_f64 v[10:11], v[8:9], v[16:17]
	ds_load_b128 v[2:5], v1 offset:1648
	v_fma_f64 v[16:17], v[8:9], v[14:15], v[36:37]
	v_fma_f64 v[14:15], v[6:7], v[14:15], -v[10:11]
	ds_load_b128 v[6:9], v1 offset:1664
	s_waitcnt vmcnt(1) lgkmcnt(1)
	v_mul_f64 v[10:11], v[2:3], v[20:21]
	v_mul_f64 v[12:13], v[4:5], v[20:21]
	s_delay_alu instid0(VALU_DEP_2) | instskip(NEXT) | instid1(VALU_DEP_2)
	v_fma_f64 v[20:21], v[4:5], v[18:19], v[10:11]
	v_fma_f64 v[18:19], v[2:3], v[18:19], -v[12:13]
	s_clause 0x1
	scratch_load_b128 v[2:5], off, off offset:672
	scratch_load_b128 v[10:13], off, off offset:688
	s_waitcnt vmcnt(1) lgkmcnt(0)
	v_mul_f64 v[36:37], v[6:7], v[4:5]
	v_mul_f64 v[4:5], v[8:9], v[4:5]
	s_delay_alu instid0(VALU_DEP_2) | instskip(NEXT) | instid1(VALU_DEP_2)
	v_fma_f64 v[36:37], v[8:9], v[2:3], v[36:37]
	v_fma_f64 v[40:41], v[6:7], v[2:3], -v[4:5]
	ds_load_b128 v[2:5], v1 offset:1680
	ds_load_b128 v[6:9], v1 offset:1696
	s_waitcnt vmcnt(0) lgkmcnt(1)
	v_mul_f64 v[42:43], v[2:3], v[12:13]
	s_delay_alu instid0(VALU_DEP_1) | instskip(SKIP_1) | instid1(VALU_DEP_1)
	v_fma_f64 v[42:43], v[4:5], v[10:11], v[42:43]
	v_mul_f64 v[4:5], v[4:5], v[12:13]
	v_fma_f64 v[44:45], v[2:3], v[10:11], -v[4:5]
	s_clause 0x1
	scratch_load_b128 v[2:5], off, off offset:704
	scratch_load_b128 v[10:13], off, off offset:720
	s_waitcnt vmcnt(1) lgkmcnt(0)
	v_mul_f64 v[46:47], v[6:7], v[4:5]
	v_mul_f64 v[4:5], v[8:9], v[4:5]
	s_delay_alu instid0(VALU_DEP_2) | instskip(NEXT) | instid1(VALU_DEP_2)
	v_fma_f64 v[46:47], v[8:9], v[2:3], v[46:47]
	v_fma_f64 v[48:49], v[6:7], v[2:3], -v[4:5]
	ds_load_b128 v[2:5], v1 offset:1712
	ds_load_b128 v[6:9], v1 offset:1728
	s_waitcnt vmcnt(0) lgkmcnt(1)
	v_mul_f64 v[52:53], v[2:3], v[12:13]
	s_delay_alu instid0(VALU_DEP_1) | instskip(SKIP_1) | instid1(VALU_DEP_1)
	v_fma_f64 v[52:53], v[4:5], v[10:11], v[52:53]
	v_mul_f64 v[4:5], v[4:5], v[12:13]
	;; [unrolled: 17-line block ×8, first 2 shown]
	v_fma_f64 v[249:250], v[2:3], v[10:11], -v[4:5]
	v_add_f64 v[2:3], v[22:23], 0
	v_add_f64 v[4:5], v[24:25], 0
	s_delay_alu instid0(VALU_DEP_2) | instskip(NEXT) | instid1(VALU_DEP_2)
	v_add_f64 v[2:3], v[2:3], v[30:31]
	v_add_f64 v[4:5], v[4:5], v[32:33]
	s_delay_alu instid0(VALU_DEP_2) | instskip(NEXT) | instid1(VALU_DEP_2)
	;; [unrolled: 3-line block ×14, first 2 shown]
	v_add_f64 v[2:3], v[2:3], v[187:188]
	v_add_f64 v[10:11], v[4:5], v[177:178]
	s_delay_alu instid0(VALU_DEP_2)
	v_add_f64 v[12:13], v[2:3], v[202:203]
	scratch_load_b128 v[2:5], off, off offset:928
	v_add_f64 v[14:15], v[10:11], v[189:190]
	v_add_f64 v[16:17], v[12:13], v[220:221]
	scratch_load_b128 v[10:13], off, off offset:944
	v_add_f64 v[18:19], v[14:15], v[215:216]
	;; [unrolled: 3-line block ×4, first 2 shown]
	v_add_f64 v[24:25], v[24:25], v[245:246]
	s_delay_alu instid0(VALU_DEP_2) | instskip(NEXT) | instid1(VALU_DEP_2)
	v_add_f64 v[22:23], v[22:23], v[243:244]
	v_add_f64 v[24:25], v[24:25], v[249:250]
	s_delay_alu instid0(VALU_DEP_2) | instskip(SKIP_3) | instid1(VALU_DEP_2)
	v_add_f64 v[22:23], v[22:23], v[247:248]
	s_waitcnt vmcnt(3) lgkmcnt(0)
	v_mul_f64 v[30:31], v[6:7], v[4:5]
	v_mul_f64 v[4:5], v[8:9], v[4:5]
	v_fma_f64 v[30:31], v[8:9], v[2:3], v[30:31]
	s_delay_alu instid0(VALU_DEP_2)
	v_fma_f64 v[32:33], v[6:7], v[2:3], -v[4:5]
	ds_load_b128 v[2:5], v1 offset:1936
	ds_load_b128 v[6:9], v1 offset:1952
	s_waitcnt vmcnt(2) lgkmcnt(1)
	v_mul_f64 v[34:35], v[2:3], v[12:13]
	v_mul_f64 v[12:13], v[4:5], v[12:13]
	s_waitcnt vmcnt(1) lgkmcnt(0)
	v_mul_f64 v[36:37], v[6:7], v[16:17]
	v_add_f64 v[22:23], v[22:23], v[30:31]
	s_delay_alu instid0(VALU_DEP_4) | instskip(NEXT) | instid1(VALU_DEP_4)
	v_fma_f64 v[34:35], v[4:5], v[10:11], v[34:35]
	v_fma_f64 v[10:11], v[2:3], v[10:11], -v[12:13]
	v_mul_f64 v[12:13], v[8:9], v[16:17]
	v_add_f64 v[16:17], v[24:25], v[32:33]
	ds_load_b128 v[2:5], v1 offset:1968
	v_fma_f64 v[8:9], v[8:9], v[14:15], v[36:37]
	s_waitcnt vmcnt(0) lgkmcnt(0)
	v_mul_f64 v[24:25], v[2:3], v[20:21]
	v_mul_f64 v[20:21], v[4:5], v[20:21]
	v_fma_f64 v[6:7], v[6:7], v[14:15], -v[12:13]
	v_add_f64 v[10:11], v[16:17], v[10:11]
	v_add_f64 v[12:13], v[22:23], v[34:35]
	v_fma_f64 v[4:5], v[4:5], v[18:19], v[24:25]
	v_fma_f64 v[2:3], v[2:3], v[18:19], -v[20:21]
	s_delay_alu instid0(VALU_DEP_4) | instskip(NEXT) | instid1(VALU_DEP_4)
	v_add_f64 v[6:7], v[10:11], v[6:7]
	v_add_f64 v[8:9], v[12:13], v[8:9]
	s_delay_alu instid0(VALU_DEP_2) | instskip(NEXT) | instid1(VALU_DEP_2)
	v_add_f64 v[2:3], v[6:7], v[2:3]
	v_add_f64 v[4:5], v[8:9], v[4:5]
	s_delay_alu instid0(VALU_DEP_2) | instskip(NEXT) | instid1(VALU_DEP_2)
	v_add_f64 v[2:3], v[26:27], -v[2:3]
	v_add_f64 v[4:5], v[28:29], -v[4:5]
	scratch_store_b128 off, v[2:5], off offset:576
	v_cmpx_lt_u32_e32 35, v174
	s_cbranch_execz .LBB61_327
; %bb.326:
	scratch_load_b32 v2, off, off offset:1108 ; 4-byte Folded Reload
	v_mov_b32_e32 v3, v1
	v_mov_b32_e32 v4, v1
	s_waitcnt vmcnt(0)
	scratch_load_b128 v[5:8], v2, off
	v_mov_b32_e32 v2, v1
	scratch_store_b128 off, v[1:4], off offset:560
	s_waitcnt vmcnt(0)
	ds_store_b128 v236, v[5:8]
.LBB61_327:
	s_or_b32 exec_lo, exec_lo, s2
	s_waitcnt lgkmcnt(0)
	s_waitcnt_vscnt null, 0x0
	s_barrier
	buffer_gl0_inv
	s_clause 0x4
	scratch_load_b128 v[2:5], off, off offset:576
	scratch_load_b128 v[6:9], off, off offset:592
	;; [unrolled: 1-line block ×5, first 2 shown]
	ds_load_b128 v[22:25], v1 offset:1568
	ds_load_b128 v[26:29], v1 offset:1584
	scratch_load_b128 v[30:33], off, off offset:560
	s_mov_b32 s2, exec_lo
	s_waitcnt vmcnt(5) lgkmcnt(1)
	v_mul_f64 v[34:35], v[24:25], v[4:5]
	v_mul_f64 v[4:5], v[22:23], v[4:5]
	s_waitcnt vmcnt(4) lgkmcnt(0)
	v_mul_f64 v[36:37], v[26:27], v[8:9]
	v_mul_f64 v[8:9], v[28:29], v[8:9]
	s_delay_alu instid0(VALU_DEP_4) | instskip(NEXT) | instid1(VALU_DEP_4)
	v_fma_f64 v[22:23], v[22:23], v[2:3], -v[34:35]
	v_fma_f64 v[24:25], v[24:25], v[2:3], v[4:5]
	ds_load_b128 v[2:5], v1 offset:1600
	v_fma_f64 v[28:29], v[28:29], v[6:7], v[36:37]
	v_fma_f64 v[26:27], v[26:27], v[6:7], -v[8:9]
	ds_load_b128 v[6:9], v1 offset:1616
	s_waitcnt vmcnt(3) lgkmcnt(1)
	v_mul_f64 v[34:35], v[2:3], v[12:13]
	v_mul_f64 v[12:13], v[4:5], v[12:13]
	s_waitcnt vmcnt(2) lgkmcnt(0)
	v_mul_f64 v[36:37], v[6:7], v[16:17]
	s_delay_alu instid0(VALU_DEP_3) | instskip(NEXT) | instid1(VALU_DEP_3)
	v_fma_f64 v[34:35], v[4:5], v[10:11], v[34:35]
	v_fma_f64 v[38:39], v[2:3], v[10:11], -v[12:13]
	v_mul_f64 v[10:11], v[8:9], v[16:17]
	ds_load_b128 v[2:5], v1 offset:1632
	v_fma_f64 v[16:17], v[8:9], v[14:15], v[36:37]
	v_fma_f64 v[14:15], v[6:7], v[14:15], -v[10:11]
	ds_load_b128 v[6:9], v1 offset:1648
	s_waitcnt vmcnt(1) lgkmcnt(1)
	v_mul_f64 v[10:11], v[2:3], v[20:21]
	v_mul_f64 v[12:13], v[4:5], v[20:21]
	s_delay_alu instid0(VALU_DEP_2) | instskip(NEXT) | instid1(VALU_DEP_2)
	v_fma_f64 v[20:21], v[4:5], v[18:19], v[10:11]
	v_fma_f64 v[18:19], v[2:3], v[18:19], -v[12:13]
	s_clause 0x1
	scratch_load_b128 v[2:5], off, off offset:656
	scratch_load_b128 v[10:13], off, off offset:672
	s_waitcnt vmcnt(1) lgkmcnt(0)
	v_mul_f64 v[36:37], v[6:7], v[4:5]
	v_mul_f64 v[4:5], v[8:9], v[4:5]
	s_delay_alu instid0(VALU_DEP_2) | instskip(NEXT) | instid1(VALU_DEP_2)
	v_fma_f64 v[36:37], v[8:9], v[2:3], v[36:37]
	v_fma_f64 v[40:41], v[6:7], v[2:3], -v[4:5]
	ds_load_b128 v[2:5], v1 offset:1664
	ds_load_b128 v[6:9], v1 offset:1680
	s_waitcnt vmcnt(0) lgkmcnt(1)
	v_mul_f64 v[42:43], v[2:3], v[12:13]
	s_delay_alu instid0(VALU_DEP_1) | instskip(SKIP_1) | instid1(VALU_DEP_1)
	v_fma_f64 v[42:43], v[4:5], v[10:11], v[42:43]
	v_mul_f64 v[4:5], v[4:5], v[12:13]
	v_fma_f64 v[44:45], v[2:3], v[10:11], -v[4:5]
	s_clause 0x1
	scratch_load_b128 v[2:5], off, off offset:688
	scratch_load_b128 v[10:13], off, off offset:704
	s_waitcnt vmcnt(1) lgkmcnt(0)
	v_mul_f64 v[46:47], v[6:7], v[4:5]
	v_mul_f64 v[4:5], v[8:9], v[4:5]
	s_delay_alu instid0(VALU_DEP_2) | instskip(NEXT) | instid1(VALU_DEP_2)
	v_fma_f64 v[46:47], v[8:9], v[2:3], v[46:47]
	v_fma_f64 v[48:49], v[6:7], v[2:3], -v[4:5]
	ds_load_b128 v[2:5], v1 offset:1696
	ds_load_b128 v[6:9], v1 offset:1712
	s_waitcnt vmcnt(0) lgkmcnt(1)
	v_mul_f64 v[52:53], v[2:3], v[12:13]
	s_delay_alu instid0(VALU_DEP_1) | instskip(SKIP_1) | instid1(VALU_DEP_1)
	v_fma_f64 v[52:53], v[4:5], v[10:11], v[52:53]
	v_mul_f64 v[4:5], v[4:5], v[12:13]
	;; [unrolled: 17-line block ×9, first 2 shown]
	v_fma_f64 v[183:184], v[2:3], v[10:11], -v[4:5]
	v_add_f64 v[2:3], v[22:23], 0
	v_add_f64 v[4:5], v[24:25], 0
	s_delay_alu instid0(VALU_DEP_2) | instskip(NEXT) | instid1(VALU_DEP_2)
	v_add_f64 v[2:3], v[2:3], v[26:27]
	v_add_f64 v[4:5], v[4:5], v[28:29]
	s_delay_alu instid0(VALU_DEP_2) | instskip(NEXT) | instid1(VALU_DEP_2)
	;; [unrolled: 3-line block ×16, first 2 shown]
	v_add_f64 v[2:3], v[2:3], v[220:221]
	v_add_f64 v[10:11], v[4:5], v[215:216]
	s_delay_alu instid0(VALU_DEP_2)
	v_add_f64 v[12:13], v[2:3], v[237:238]
	scratch_load_b128 v[2:5], off, off offset:944
	v_add_f64 v[14:15], v[10:11], v[226:227]
	v_add_f64 v[16:17], v[12:13], v[241:242]
	scratch_load_b128 v[10:13], off, off offset:960
	v_add_f64 v[18:19], v[14:15], v[239:240]
	;; [unrolled: 3-line block ×3, first 2 shown]
	v_add_f64 v[20:21], v[20:21], v[249:250]
	s_delay_alu instid0(VALU_DEP_2) | instskip(NEXT) | instid1(VALU_DEP_2)
	v_add_f64 v[18:19], v[18:19], v[247:248]
	v_add_f64 v[28:29], v[20:21], v[253:254]
	s_delay_alu instid0(VALU_DEP_2)
	v_add_f64 v[34:35], v[18:19], v[251:252]
	ds_load_b128 v[18:21], v1 offset:1952
	ds_load_b128 v[22:25], v1 offset:1968
	s_waitcnt vmcnt(2) lgkmcnt(2)
	v_mul_f64 v[26:27], v[6:7], v[4:5]
	v_mul_f64 v[4:5], v[8:9], v[4:5]
	s_waitcnt vmcnt(1) lgkmcnt(1)
	v_mul_f64 v[36:37], v[18:19], v[12:13]
	s_delay_alu instid0(VALU_DEP_3) | instskip(NEXT) | instid1(VALU_DEP_3)
	v_fma_f64 v[8:9], v[8:9], v[2:3], v[26:27]
	v_fma_f64 v[1:2], v[6:7], v[2:3], -v[4:5]
	v_mul_f64 v[3:4], v[20:21], v[12:13]
	v_add_f64 v[5:6], v[28:29], v[183:184]
	v_add_f64 v[12:13], v[34:35], v[181:182]
	s_waitcnt vmcnt(0) lgkmcnt(0)
	v_mul_f64 v[26:27], v[22:23], v[16:17]
	v_mul_f64 v[16:17], v[24:25], v[16:17]
	v_fma_f64 v[20:21], v[20:21], v[10:11], v[36:37]
	v_fma_f64 v[3:4], v[18:19], v[10:11], -v[3:4]
	v_add_f64 v[1:2], v[5:6], v[1:2]
	v_add_f64 v[5:6], v[12:13], v[8:9]
	v_fma_f64 v[7:8], v[24:25], v[14:15], v[26:27]
	v_fma_f64 v[9:10], v[22:23], v[14:15], -v[16:17]
	s_delay_alu instid0(VALU_DEP_4) | instskip(NEXT) | instid1(VALU_DEP_4)
	v_add_f64 v[1:2], v[1:2], v[3:4]
	v_add_f64 v[3:4], v[5:6], v[20:21]
	s_delay_alu instid0(VALU_DEP_2) | instskip(NEXT) | instid1(VALU_DEP_2)
	v_add_f64 v[1:2], v[1:2], v[9:10]
	v_add_f64 v[3:4], v[3:4], v[7:8]
	s_delay_alu instid0(VALU_DEP_2) | instskip(NEXT) | instid1(VALU_DEP_2)
	v_add_f64 v[1:2], v[30:31], -v[1:2]
	v_add_f64 v[3:4], v[32:33], -v[3:4]
	scratch_store_b128 off, v[1:4], off offset:560
	v_cmpx_lt_u32_e32 34, v174
	s_cbranch_execz .LBB61_329
; %bb.328:
	scratch_load_b32 v1, off, off offset:1116 ; 4-byte Folded Reload
	v_mov_b32_e32 v5, 0
	s_delay_alu instid0(VALU_DEP_1)
	v_mov_b32_e32 v6, v5
	v_mov_b32_e32 v7, v5
	;; [unrolled: 1-line block ×3, first 2 shown]
	s_waitcnt vmcnt(0)
	scratch_load_b128 v[1:4], v1, off
	scratch_store_b128 off, v[5:8], off offset:544
	s_waitcnt vmcnt(0)
	ds_store_b128 v236, v[1:4]
.LBB61_329:
	s_or_b32 exec_lo, exec_lo, s2
	s_waitcnt lgkmcnt(0)
	s_waitcnt_vscnt null, 0x0
	s_barrier
	buffer_gl0_inv
	s_clause 0x4
	scratch_load_b128 v[2:5], off, off offset:560
	scratch_load_b128 v[6:9], off, off offset:576
	;; [unrolled: 1-line block ×5, first 2 shown]
	v_mov_b32_e32 v1, 0
	scratch_load_b128 v[26:29], off, off offset:544
	s_mov_b32 s2, exec_lo
	ds_load_b128 v[22:25], v1 offset:1552
	ds_load_b128 v[30:33], v1 offset:1568
	s_waitcnt vmcnt(5) lgkmcnt(1)
	v_mul_f64 v[34:35], v[24:25], v[4:5]
	v_mul_f64 v[4:5], v[22:23], v[4:5]
	s_waitcnt vmcnt(4) lgkmcnt(0)
	v_mul_f64 v[36:37], v[30:31], v[8:9]
	v_mul_f64 v[8:9], v[32:33], v[8:9]
	s_delay_alu instid0(VALU_DEP_4) | instskip(NEXT) | instid1(VALU_DEP_4)
	v_fma_f64 v[22:23], v[22:23], v[2:3], -v[34:35]
	v_fma_f64 v[24:25], v[24:25], v[2:3], v[4:5]
	ds_load_b128 v[2:5], v1 offset:1584
	v_fma_f64 v[32:33], v[32:33], v[6:7], v[36:37]
	v_fma_f64 v[30:31], v[30:31], v[6:7], -v[8:9]
	ds_load_b128 v[6:9], v1 offset:1600
	s_waitcnt vmcnt(3) lgkmcnt(1)
	v_mul_f64 v[34:35], v[2:3], v[12:13]
	v_mul_f64 v[12:13], v[4:5], v[12:13]
	s_waitcnt vmcnt(2) lgkmcnt(0)
	v_mul_f64 v[36:37], v[6:7], v[16:17]
	s_delay_alu instid0(VALU_DEP_3) | instskip(NEXT) | instid1(VALU_DEP_3)
	v_fma_f64 v[34:35], v[4:5], v[10:11], v[34:35]
	v_fma_f64 v[38:39], v[2:3], v[10:11], -v[12:13]
	v_mul_f64 v[10:11], v[8:9], v[16:17]
	ds_load_b128 v[2:5], v1 offset:1616
	v_fma_f64 v[16:17], v[8:9], v[14:15], v[36:37]
	v_fma_f64 v[14:15], v[6:7], v[14:15], -v[10:11]
	ds_load_b128 v[6:9], v1 offset:1632
	s_waitcnt vmcnt(1) lgkmcnt(1)
	v_mul_f64 v[10:11], v[2:3], v[20:21]
	v_mul_f64 v[12:13], v[4:5], v[20:21]
	s_delay_alu instid0(VALU_DEP_2) | instskip(NEXT) | instid1(VALU_DEP_2)
	v_fma_f64 v[20:21], v[4:5], v[18:19], v[10:11]
	v_fma_f64 v[18:19], v[2:3], v[18:19], -v[12:13]
	s_clause 0x1
	scratch_load_b128 v[2:5], off, off offset:640
	scratch_load_b128 v[10:13], off, off offset:656
	s_waitcnt vmcnt(1) lgkmcnt(0)
	v_mul_f64 v[36:37], v[6:7], v[4:5]
	v_mul_f64 v[4:5], v[8:9], v[4:5]
	s_delay_alu instid0(VALU_DEP_2) | instskip(NEXT) | instid1(VALU_DEP_2)
	v_fma_f64 v[36:37], v[8:9], v[2:3], v[36:37]
	v_fma_f64 v[40:41], v[6:7], v[2:3], -v[4:5]
	ds_load_b128 v[2:5], v1 offset:1648
	ds_load_b128 v[6:9], v1 offset:1664
	s_waitcnt vmcnt(0) lgkmcnt(1)
	v_mul_f64 v[42:43], v[2:3], v[12:13]
	s_delay_alu instid0(VALU_DEP_1) | instskip(SKIP_1) | instid1(VALU_DEP_1)
	v_fma_f64 v[42:43], v[4:5], v[10:11], v[42:43]
	v_mul_f64 v[4:5], v[4:5], v[12:13]
	v_fma_f64 v[44:45], v[2:3], v[10:11], -v[4:5]
	s_clause 0x1
	scratch_load_b128 v[2:5], off, off offset:672
	scratch_load_b128 v[10:13], off, off offset:688
	s_waitcnt vmcnt(1) lgkmcnt(0)
	v_mul_f64 v[46:47], v[6:7], v[4:5]
	v_mul_f64 v[4:5], v[8:9], v[4:5]
	s_delay_alu instid0(VALU_DEP_2) | instskip(NEXT) | instid1(VALU_DEP_2)
	v_fma_f64 v[46:47], v[8:9], v[2:3], v[46:47]
	v_fma_f64 v[48:49], v[6:7], v[2:3], -v[4:5]
	ds_load_b128 v[2:5], v1 offset:1680
	ds_load_b128 v[6:9], v1 offset:1696
	s_waitcnt vmcnt(0) lgkmcnt(1)
	v_mul_f64 v[52:53], v[2:3], v[12:13]
	s_delay_alu instid0(VALU_DEP_1) | instskip(SKIP_1) | instid1(VALU_DEP_1)
	v_fma_f64 v[52:53], v[4:5], v[10:11], v[52:53]
	v_mul_f64 v[4:5], v[4:5], v[12:13]
	v_fma_f64 v[54:55], v[2:3], v[10:11], -v[4:5]
	s_clause 0x1
	scratch_load_b128 v[2:5], off, off offset:704
	scratch_load_b128 v[10:13], off, off offset:720
	s_waitcnt vmcnt(1) lgkmcnt(0)
	v_mul_f64 v[56:57], v[6:7], v[4:5]
	v_mul_f64 v[4:5], v[8:9], v[4:5]
	s_delay_alu instid0(VALU_DEP_2) | instskip(NEXT) | instid1(VALU_DEP_2)
	v_fma_f64 v[56:57], v[8:9], v[2:3], v[56:57]
	v_fma_f64 v[58:59], v[6:7], v[2:3], -v[4:5]
	ds_load_b128 v[2:5], v1 offset:1712
	ds_load_b128 v[6:9], v1 offset:1728
	s_waitcnt vmcnt(0) lgkmcnt(1)
	v_mul_f64 v[60:61], v[2:3], v[12:13]
	s_delay_alu instid0(VALU_DEP_1) | instskip(SKIP_1) | instid1(VALU_DEP_1)
	v_fma_f64 v[60:61], v[4:5], v[10:11], v[60:61]
	v_mul_f64 v[4:5], v[4:5], v[12:13]
	v_fma_f64 v[62:63], v[2:3], v[10:11], -v[4:5]
	s_clause 0x1
	scratch_load_b128 v[2:5], off, off offset:736
	scratch_load_b128 v[10:13], off, off offset:752
	s_waitcnt vmcnt(1) lgkmcnt(0)
	v_mul_f64 v[64:65], v[6:7], v[4:5]
	v_mul_f64 v[4:5], v[8:9], v[4:5]
	s_delay_alu instid0(VALU_DEP_2) | instskip(NEXT) | instid1(VALU_DEP_2)
	v_fma_f64 v[64:65], v[8:9], v[2:3], v[64:65]
	v_fma_f64 v[66:67], v[6:7], v[2:3], -v[4:5]
	ds_load_b128 v[2:5], v1 offset:1744
	ds_load_b128 v[6:9], v1 offset:1760
	s_waitcnt vmcnt(0) lgkmcnt(1)
	v_mul_f64 v[68:69], v[2:3], v[12:13]
	s_delay_alu instid0(VALU_DEP_1) | instskip(SKIP_1) | instid1(VALU_DEP_1)
	v_fma_f64 v[68:69], v[4:5], v[10:11], v[68:69]
	v_mul_f64 v[4:5], v[4:5], v[12:13]
	v_fma_f64 v[70:71], v[2:3], v[10:11], -v[4:5]
	s_clause 0x1
	scratch_load_b128 v[2:5], off, off offset:768
	scratch_load_b128 v[10:13], off, off offset:784
	s_waitcnt vmcnt(1) lgkmcnt(0)
	v_mul_f64 v[90:91], v[6:7], v[4:5]
	v_mul_f64 v[4:5], v[8:9], v[4:5]
	s_delay_alu instid0(VALU_DEP_2) | instskip(NEXT) | instid1(VALU_DEP_2)
	v_fma_f64 v[90:91], v[8:9], v[2:3], v[90:91]
	v_fma_f64 v[175:176], v[6:7], v[2:3], -v[4:5]
	ds_load_b128 v[2:5], v1 offset:1776
	ds_load_b128 v[6:9], v1 offset:1792
	s_waitcnt vmcnt(0) lgkmcnt(1)
	v_mul_f64 v[177:178], v[2:3], v[12:13]
	s_delay_alu instid0(VALU_DEP_1) | instskip(SKIP_1) | instid1(VALU_DEP_1)
	v_fma_f64 v[177:178], v[4:5], v[10:11], v[177:178]
	v_mul_f64 v[4:5], v[4:5], v[12:13]
	v_fma_f64 v[181:182], v[2:3], v[10:11], -v[4:5]
	s_clause 0x1
	scratch_load_b128 v[2:5], off, off offset:800
	scratch_load_b128 v[10:13], off, off offset:816
	s_waitcnt vmcnt(1) lgkmcnt(0)
	v_mul_f64 v[183:184], v[6:7], v[4:5]
	v_mul_f64 v[4:5], v[8:9], v[4:5]
	s_delay_alu instid0(VALU_DEP_2) | instskip(NEXT) | instid1(VALU_DEP_2)
	v_fma_f64 v[183:184], v[8:9], v[2:3], v[183:184]
	v_fma_f64 v[187:188], v[6:7], v[2:3], -v[4:5]
	ds_load_b128 v[2:5], v1 offset:1808
	ds_load_b128 v[6:9], v1 offset:1824
	s_waitcnt vmcnt(0) lgkmcnt(1)
	v_mul_f64 v[189:190], v[2:3], v[12:13]
	s_delay_alu instid0(VALU_DEP_1) | instskip(SKIP_1) | instid1(VALU_DEP_1)
	v_fma_f64 v[189:190], v[4:5], v[10:11], v[189:190]
	v_mul_f64 v[4:5], v[4:5], v[12:13]
	v_fma_f64 v[202:203], v[2:3], v[10:11], -v[4:5]
	s_clause 0x1
	scratch_load_b128 v[2:5], off, off offset:832
	scratch_load_b128 v[10:13], off, off offset:848
	s_waitcnt vmcnt(1) lgkmcnt(0)
	v_mul_f64 v[215:216], v[6:7], v[4:5]
	v_mul_f64 v[4:5], v[8:9], v[4:5]
	s_delay_alu instid0(VALU_DEP_2) | instskip(NEXT) | instid1(VALU_DEP_2)
	v_fma_f64 v[215:216], v[8:9], v[2:3], v[215:216]
	v_fma_f64 v[220:221], v[6:7], v[2:3], -v[4:5]
	ds_load_b128 v[2:5], v1 offset:1840
	ds_load_b128 v[6:9], v1 offset:1856
	s_waitcnt vmcnt(0) lgkmcnt(1)
	v_mul_f64 v[226:227], v[2:3], v[12:13]
	s_delay_alu instid0(VALU_DEP_1) | instskip(SKIP_1) | instid1(VALU_DEP_1)
	v_fma_f64 v[226:227], v[4:5], v[10:11], v[226:227]
	v_mul_f64 v[4:5], v[4:5], v[12:13]
	v_fma_f64 v[237:238], v[2:3], v[10:11], -v[4:5]
	s_clause 0x1
	scratch_load_b128 v[2:5], off, off offset:864
	scratch_load_b128 v[10:13], off, off offset:880
	s_waitcnt vmcnt(1) lgkmcnt(0)
	v_mul_f64 v[239:240], v[6:7], v[4:5]
	v_mul_f64 v[4:5], v[8:9], v[4:5]
	s_delay_alu instid0(VALU_DEP_2) | instskip(NEXT) | instid1(VALU_DEP_2)
	v_fma_f64 v[239:240], v[8:9], v[2:3], v[239:240]
	v_fma_f64 v[241:242], v[6:7], v[2:3], -v[4:5]
	ds_load_b128 v[2:5], v1 offset:1872
	ds_load_b128 v[6:9], v1 offset:1888
	s_waitcnt vmcnt(0) lgkmcnt(1)
	v_mul_f64 v[243:244], v[2:3], v[12:13]
	s_delay_alu instid0(VALU_DEP_1) | instskip(SKIP_1) | instid1(VALU_DEP_1)
	v_fma_f64 v[243:244], v[4:5], v[10:11], v[243:244]
	v_mul_f64 v[4:5], v[4:5], v[12:13]
	v_fma_f64 v[245:246], v[2:3], v[10:11], -v[4:5]
	s_clause 0x1
	scratch_load_b128 v[2:5], off, off offset:896
	scratch_load_b128 v[10:13], off, off offset:912
	s_waitcnt vmcnt(1) lgkmcnt(0)
	v_mul_f64 v[247:248], v[6:7], v[4:5]
	v_mul_f64 v[4:5], v[8:9], v[4:5]
	s_delay_alu instid0(VALU_DEP_2) | instskip(NEXT) | instid1(VALU_DEP_2)
	v_fma_f64 v[247:248], v[8:9], v[2:3], v[247:248]
	v_fma_f64 v[249:250], v[6:7], v[2:3], -v[4:5]
	ds_load_b128 v[2:5], v1 offset:1904
	ds_load_b128 v[6:9], v1 offset:1920
	s_waitcnt vmcnt(0) lgkmcnt(1)
	v_mul_f64 v[251:252], v[2:3], v[12:13]
	s_delay_alu instid0(VALU_DEP_1) | instskip(SKIP_1) | instid1(VALU_DEP_1)
	v_fma_f64 v[251:252], v[4:5], v[10:11], v[251:252]
	v_mul_f64 v[4:5], v[4:5], v[12:13]
	v_fma_f64 v[253:254], v[2:3], v[10:11], -v[4:5]
	v_add_f64 v[2:3], v[22:23], 0
	v_add_f64 v[4:5], v[24:25], 0
	s_delay_alu instid0(VALU_DEP_2) | instskip(NEXT) | instid1(VALU_DEP_2)
	v_add_f64 v[2:3], v[2:3], v[30:31]
	v_add_f64 v[4:5], v[4:5], v[32:33]
	s_delay_alu instid0(VALU_DEP_2) | instskip(NEXT) | instid1(VALU_DEP_2)
	;; [unrolled: 3-line block ×16, first 2 shown]
	v_add_f64 v[2:3], v[2:3], v[202:203]
	v_add_f64 v[10:11], v[4:5], v[189:190]
	s_delay_alu instid0(VALU_DEP_2)
	v_add_f64 v[12:13], v[2:3], v[220:221]
	scratch_load_b128 v[2:5], off, off offset:928
	v_add_f64 v[14:15], v[10:11], v[215:216]
	v_add_f64 v[16:17], v[12:13], v[237:238]
	scratch_load_b128 v[10:13], off, off offset:944
	v_add_f64 v[18:19], v[14:15], v[226:227]
	;; [unrolled: 3-line block ×4, first 2 shown]
	v_add_f64 v[24:25], v[24:25], v[249:250]
	s_delay_alu instid0(VALU_DEP_2) | instskip(NEXT) | instid1(VALU_DEP_2)
	v_add_f64 v[22:23], v[22:23], v[247:248]
	v_add_f64 v[24:25], v[24:25], v[253:254]
	s_delay_alu instid0(VALU_DEP_2) | instskip(SKIP_3) | instid1(VALU_DEP_2)
	v_add_f64 v[22:23], v[22:23], v[251:252]
	s_waitcnt vmcnt(3) lgkmcnt(0)
	v_mul_f64 v[30:31], v[6:7], v[4:5]
	v_mul_f64 v[4:5], v[8:9], v[4:5]
	v_fma_f64 v[30:31], v[8:9], v[2:3], v[30:31]
	s_delay_alu instid0(VALU_DEP_2)
	v_fma_f64 v[32:33], v[6:7], v[2:3], -v[4:5]
	ds_load_b128 v[2:5], v1 offset:1936
	ds_load_b128 v[6:9], v1 offset:1952
	s_waitcnt vmcnt(2) lgkmcnt(1)
	v_mul_f64 v[34:35], v[2:3], v[12:13]
	v_mul_f64 v[12:13], v[4:5], v[12:13]
	s_waitcnt vmcnt(1) lgkmcnt(0)
	v_mul_f64 v[36:37], v[6:7], v[16:17]
	v_add_f64 v[22:23], v[22:23], v[30:31]
	s_delay_alu instid0(VALU_DEP_4) | instskip(NEXT) | instid1(VALU_DEP_4)
	v_fma_f64 v[34:35], v[4:5], v[10:11], v[34:35]
	v_fma_f64 v[10:11], v[2:3], v[10:11], -v[12:13]
	v_mul_f64 v[12:13], v[8:9], v[16:17]
	v_add_f64 v[16:17], v[24:25], v[32:33]
	ds_load_b128 v[2:5], v1 offset:1968
	v_fma_f64 v[8:9], v[8:9], v[14:15], v[36:37]
	s_waitcnt vmcnt(0) lgkmcnt(0)
	v_mul_f64 v[24:25], v[2:3], v[20:21]
	v_mul_f64 v[20:21], v[4:5], v[20:21]
	v_fma_f64 v[6:7], v[6:7], v[14:15], -v[12:13]
	v_add_f64 v[10:11], v[16:17], v[10:11]
	v_add_f64 v[12:13], v[22:23], v[34:35]
	v_fma_f64 v[4:5], v[4:5], v[18:19], v[24:25]
	v_fma_f64 v[2:3], v[2:3], v[18:19], -v[20:21]
	s_delay_alu instid0(VALU_DEP_4) | instskip(NEXT) | instid1(VALU_DEP_4)
	v_add_f64 v[6:7], v[10:11], v[6:7]
	v_add_f64 v[8:9], v[12:13], v[8:9]
	s_delay_alu instid0(VALU_DEP_2) | instskip(NEXT) | instid1(VALU_DEP_2)
	v_add_f64 v[2:3], v[6:7], v[2:3]
	v_add_f64 v[4:5], v[8:9], v[4:5]
	s_delay_alu instid0(VALU_DEP_2) | instskip(NEXT) | instid1(VALU_DEP_2)
	v_add_f64 v[2:3], v[26:27], -v[2:3]
	v_add_f64 v[4:5], v[28:29], -v[4:5]
	scratch_store_b128 off, v[2:5], off offset:544
	v_cmpx_lt_u32_e32 33, v174
	s_cbranch_execz .LBB61_331
; %bb.330:
	scratch_load_b32 v2, off, off offset:1132 ; 4-byte Folded Reload
	v_mov_b32_e32 v3, v1
	v_mov_b32_e32 v4, v1
	s_waitcnt vmcnt(0)
	scratch_load_b128 v[5:8], v2, off
	v_mov_b32_e32 v2, v1
	scratch_store_b128 off, v[1:4], off offset:528
	s_waitcnt vmcnt(0)
	ds_store_b128 v236, v[5:8]
.LBB61_331:
	s_or_b32 exec_lo, exec_lo, s2
	s_waitcnt lgkmcnt(0)
	s_waitcnt_vscnt null, 0x0
	s_barrier
	buffer_gl0_inv
	s_clause 0x4
	scratch_load_b128 v[2:5], off, off offset:544
	scratch_load_b128 v[6:9], off, off offset:560
	;; [unrolled: 1-line block ×5, first 2 shown]
	ds_load_b128 v[22:25], v1 offset:1536
	ds_load_b128 v[26:29], v1 offset:1552
	scratch_load_b128 v[30:33], off, off offset:528
	s_mov_b32 s2, exec_lo
	s_waitcnt vmcnt(5) lgkmcnt(1)
	v_mul_f64 v[34:35], v[24:25], v[4:5]
	v_mul_f64 v[4:5], v[22:23], v[4:5]
	s_waitcnt vmcnt(4) lgkmcnt(0)
	v_mul_f64 v[36:37], v[26:27], v[8:9]
	v_mul_f64 v[8:9], v[28:29], v[8:9]
	s_delay_alu instid0(VALU_DEP_4) | instskip(NEXT) | instid1(VALU_DEP_4)
	v_fma_f64 v[22:23], v[22:23], v[2:3], -v[34:35]
	v_fma_f64 v[24:25], v[24:25], v[2:3], v[4:5]
	ds_load_b128 v[2:5], v1 offset:1568
	v_fma_f64 v[28:29], v[28:29], v[6:7], v[36:37]
	v_fma_f64 v[26:27], v[26:27], v[6:7], -v[8:9]
	ds_load_b128 v[6:9], v1 offset:1584
	s_waitcnt vmcnt(3) lgkmcnt(1)
	v_mul_f64 v[34:35], v[2:3], v[12:13]
	v_mul_f64 v[12:13], v[4:5], v[12:13]
	s_waitcnt vmcnt(2) lgkmcnt(0)
	v_mul_f64 v[36:37], v[6:7], v[16:17]
	s_delay_alu instid0(VALU_DEP_3) | instskip(NEXT) | instid1(VALU_DEP_3)
	v_fma_f64 v[34:35], v[4:5], v[10:11], v[34:35]
	v_fma_f64 v[38:39], v[2:3], v[10:11], -v[12:13]
	v_mul_f64 v[10:11], v[8:9], v[16:17]
	ds_load_b128 v[2:5], v1 offset:1600
	v_fma_f64 v[16:17], v[8:9], v[14:15], v[36:37]
	v_fma_f64 v[14:15], v[6:7], v[14:15], -v[10:11]
	ds_load_b128 v[6:9], v1 offset:1616
	s_waitcnt vmcnt(1) lgkmcnt(1)
	v_mul_f64 v[10:11], v[2:3], v[20:21]
	v_mul_f64 v[12:13], v[4:5], v[20:21]
	s_delay_alu instid0(VALU_DEP_2) | instskip(NEXT) | instid1(VALU_DEP_2)
	v_fma_f64 v[20:21], v[4:5], v[18:19], v[10:11]
	v_fma_f64 v[18:19], v[2:3], v[18:19], -v[12:13]
	s_clause 0x1
	scratch_load_b128 v[2:5], off, off offset:624
	scratch_load_b128 v[10:13], off, off offset:640
	s_waitcnt vmcnt(1) lgkmcnt(0)
	v_mul_f64 v[36:37], v[6:7], v[4:5]
	v_mul_f64 v[4:5], v[8:9], v[4:5]
	s_delay_alu instid0(VALU_DEP_2) | instskip(NEXT) | instid1(VALU_DEP_2)
	v_fma_f64 v[36:37], v[8:9], v[2:3], v[36:37]
	v_fma_f64 v[40:41], v[6:7], v[2:3], -v[4:5]
	ds_load_b128 v[2:5], v1 offset:1632
	ds_load_b128 v[6:9], v1 offset:1648
	s_waitcnt vmcnt(0) lgkmcnt(1)
	v_mul_f64 v[42:43], v[2:3], v[12:13]
	s_delay_alu instid0(VALU_DEP_1) | instskip(SKIP_1) | instid1(VALU_DEP_1)
	v_fma_f64 v[42:43], v[4:5], v[10:11], v[42:43]
	v_mul_f64 v[4:5], v[4:5], v[12:13]
	v_fma_f64 v[44:45], v[2:3], v[10:11], -v[4:5]
	s_clause 0x1
	scratch_load_b128 v[2:5], off, off offset:656
	scratch_load_b128 v[10:13], off, off offset:672
	s_waitcnt vmcnt(1) lgkmcnt(0)
	v_mul_f64 v[46:47], v[6:7], v[4:5]
	v_mul_f64 v[4:5], v[8:9], v[4:5]
	s_delay_alu instid0(VALU_DEP_2) | instskip(NEXT) | instid1(VALU_DEP_2)
	v_fma_f64 v[46:47], v[8:9], v[2:3], v[46:47]
	v_fma_f64 v[48:49], v[6:7], v[2:3], -v[4:5]
	ds_load_b128 v[2:5], v1 offset:1664
	ds_load_b128 v[6:9], v1 offset:1680
	s_waitcnt vmcnt(0) lgkmcnt(1)
	v_mul_f64 v[52:53], v[2:3], v[12:13]
	s_delay_alu instid0(VALU_DEP_1) | instskip(SKIP_1) | instid1(VALU_DEP_1)
	v_fma_f64 v[52:53], v[4:5], v[10:11], v[52:53]
	v_mul_f64 v[4:5], v[4:5], v[12:13]
	;; [unrolled: 17-line block ×10, first 2 shown]
	v_fma_f64 v[198:199], v[2:3], v[10:11], -v[4:5]
	v_add_f64 v[2:3], v[22:23], 0
	v_add_f64 v[4:5], v[24:25], 0
	s_delay_alu instid0(VALU_DEP_2) | instskip(NEXT) | instid1(VALU_DEP_2)
	v_add_f64 v[2:3], v[2:3], v[26:27]
	v_add_f64 v[4:5], v[4:5], v[28:29]
	s_delay_alu instid0(VALU_DEP_2) | instskip(NEXT) | instid1(VALU_DEP_2)
	;; [unrolled: 3-line block ×18, first 2 shown]
	v_add_f64 v[2:3], v[2:3], v[237:238]
	v_add_f64 v[10:11], v[4:5], v[226:227]
	s_delay_alu instid0(VALU_DEP_2)
	v_add_f64 v[12:13], v[2:3], v[241:242]
	scratch_load_b128 v[2:5], off, off offset:944
	v_add_f64 v[14:15], v[10:11], v[239:240]
	v_add_f64 v[16:17], v[12:13], v[245:246]
	scratch_load_b128 v[10:13], off, off offset:960
	v_add_f64 v[18:19], v[14:15], v[243:244]
	;; [unrolled: 3-line block ×3, first 2 shown]
	v_add_f64 v[20:21], v[20:21], v[253:254]
	s_delay_alu instid0(VALU_DEP_2) | instskip(NEXT) | instid1(VALU_DEP_2)
	v_add_f64 v[18:19], v[18:19], v[251:252]
	v_add_f64 v[28:29], v[20:21], v[194:195]
	s_delay_alu instid0(VALU_DEP_2)
	v_add_f64 v[34:35], v[18:19], v[208:209]
	ds_load_b128 v[18:21], v1 offset:1952
	ds_load_b128 v[22:25], v1 offset:1968
	s_waitcnt vmcnt(2) lgkmcnt(2)
	v_mul_f64 v[26:27], v[6:7], v[4:5]
	v_mul_f64 v[4:5], v[8:9], v[4:5]
	s_waitcnt vmcnt(1) lgkmcnt(1)
	v_mul_f64 v[36:37], v[18:19], v[12:13]
	s_delay_alu instid0(VALU_DEP_3) | instskip(NEXT) | instid1(VALU_DEP_3)
	v_fma_f64 v[8:9], v[8:9], v[2:3], v[26:27]
	v_fma_f64 v[1:2], v[6:7], v[2:3], -v[4:5]
	v_mul_f64 v[3:4], v[20:21], v[12:13]
	v_add_f64 v[5:6], v[28:29], v[198:199]
	v_add_f64 v[12:13], v[34:35], v[196:197]
	s_waitcnt vmcnt(0) lgkmcnt(0)
	v_mul_f64 v[26:27], v[22:23], v[16:17]
	v_mul_f64 v[16:17], v[24:25], v[16:17]
	v_fma_f64 v[20:21], v[20:21], v[10:11], v[36:37]
	v_fma_f64 v[3:4], v[18:19], v[10:11], -v[3:4]
	v_add_f64 v[1:2], v[5:6], v[1:2]
	v_add_f64 v[5:6], v[12:13], v[8:9]
	v_fma_f64 v[7:8], v[24:25], v[14:15], v[26:27]
	v_fma_f64 v[9:10], v[22:23], v[14:15], -v[16:17]
	s_delay_alu instid0(VALU_DEP_4) | instskip(NEXT) | instid1(VALU_DEP_4)
	v_add_f64 v[1:2], v[1:2], v[3:4]
	v_add_f64 v[3:4], v[5:6], v[20:21]
	s_delay_alu instid0(VALU_DEP_2) | instskip(NEXT) | instid1(VALU_DEP_2)
	v_add_f64 v[1:2], v[1:2], v[9:10]
	v_add_f64 v[3:4], v[3:4], v[7:8]
	s_delay_alu instid0(VALU_DEP_2) | instskip(NEXT) | instid1(VALU_DEP_2)
	v_add_f64 v[1:2], v[30:31], -v[1:2]
	v_add_f64 v[3:4], v[32:33], -v[3:4]
	scratch_store_b128 off, v[1:4], off offset:528
	v_cmpx_lt_u32_e32 32, v174
	s_cbranch_execz .LBB61_333
; %bb.332:
	scratch_load_b32 v1, off, off offset:1140 ; 4-byte Folded Reload
	v_mov_b32_e32 v5, 0
	s_delay_alu instid0(VALU_DEP_1)
	v_mov_b32_e32 v6, v5
	v_mov_b32_e32 v7, v5
	;; [unrolled: 1-line block ×3, first 2 shown]
	s_waitcnt vmcnt(0)
	scratch_load_b128 v[1:4], v1, off
	scratch_store_b128 off, v[5:8], off offset:512
	s_waitcnt vmcnt(0)
	ds_store_b128 v236, v[1:4]
.LBB61_333:
	s_or_b32 exec_lo, exec_lo, s2
	s_waitcnt lgkmcnt(0)
	s_waitcnt_vscnt null, 0x0
	s_barrier
	buffer_gl0_inv
	s_clause 0x4
	scratch_load_b128 v[2:5], off, off offset:528
	scratch_load_b128 v[6:9], off, off offset:544
	;; [unrolled: 1-line block ×5, first 2 shown]
	v_mov_b32_e32 v1, 0
	scratch_load_b128 v[26:29], off, off offset:512
	s_mov_b32 s2, exec_lo
	ds_load_b128 v[22:25], v1 offset:1520
	ds_load_b128 v[30:33], v1 offset:1536
	s_waitcnt vmcnt(5) lgkmcnt(1)
	v_mul_f64 v[34:35], v[24:25], v[4:5]
	v_mul_f64 v[4:5], v[22:23], v[4:5]
	s_waitcnt vmcnt(4) lgkmcnt(0)
	v_mul_f64 v[36:37], v[30:31], v[8:9]
	v_mul_f64 v[8:9], v[32:33], v[8:9]
	s_delay_alu instid0(VALU_DEP_4) | instskip(NEXT) | instid1(VALU_DEP_4)
	v_fma_f64 v[22:23], v[22:23], v[2:3], -v[34:35]
	v_fma_f64 v[24:25], v[24:25], v[2:3], v[4:5]
	ds_load_b128 v[2:5], v1 offset:1552
	v_fma_f64 v[32:33], v[32:33], v[6:7], v[36:37]
	v_fma_f64 v[30:31], v[30:31], v[6:7], -v[8:9]
	ds_load_b128 v[6:9], v1 offset:1568
	s_waitcnt vmcnt(3) lgkmcnt(1)
	v_mul_f64 v[34:35], v[2:3], v[12:13]
	v_mul_f64 v[12:13], v[4:5], v[12:13]
	s_waitcnt vmcnt(2) lgkmcnt(0)
	v_mul_f64 v[36:37], v[6:7], v[16:17]
	s_delay_alu instid0(VALU_DEP_3) | instskip(NEXT) | instid1(VALU_DEP_3)
	v_fma_f64 v[34:35], v[4:5], v[10:11], v[34:35]
	v_fma_f64 v[38:39], v[2:3], v[10:11], -v[12:13]
	v_mul_f64 v[10:11], v[8:9], v[16:17]
	ds_load_b128 v[2:5], v1 offset:1584
	v_fma_f64 v[16:17], v[8:9], v[14:15], v[36:37]
	v_fma_f64 v[14:15], v[6:7], v[14:15], -v[10:11]
	ds_load_b128 v[6:9], v1 offset:1600
	s_waitcnt vmcnt(1) lgkmcnt(1)
	v_mul_f64 v[10:11], v[2:3], v[20:21]
	v_mul_f64 v[12:13], v[4:5], v[20:21]
	s_delay_alu instid0(VALU_DEP_2) | instskip(NEXT) | instid1(VALU_DEP_2)
	v_fma_f64 v[20:21], v[4:5], v[18:19], v[10:11]
	v_fma_f64 v[18:19], v[2:3], v[18:19], -v[12:13]
	s_clause 0x1
	scratch_load_b128 v[2:5], off, off offset:608
	scratch_load_b128 v[10:13], off, off offset:624
	s_waitcnt vmcnt(1) lgkmcnt(0)
	v_mul_f64 v[36:37], v[6:7], v[4:5]
	v_mul_f64 v[4:5], v[8:9], v[4:5]
	s_delay_alu instid0(VALU_DEP_2) | instskip(NEXT) | instid1(VALU_DEP_2)
	v_fma_f64 v[36:37], v[8:9], v[2:3], v[36:37]
	v_fma_f64 v[40:41], v[6:7], v[2:3], -v[4:5]
	ds_load_b128 v[2:5], v1 offset:1616
	ds_load_b128 v[6:9], v1 offset:1632
	s_waitcnt vmcnt(0) lgkmcnt(1)
	v_mul_f64 v[42:43], v[2:3], v[12:13]
	s_delay_alu instid0(VALU_DEP_1) | instskip(SKIP_1) | instid1(VALU_DEP_1)
	v_fma_f64 v[42:43], v[4:5], v[10:11], v[42:43]
	v_mul_f64 v[4:5], v[4:5], v[12:13]
	v_fma_f64 v[44:45], v[2:3], v[10:11], -v[4:5]
	s_clause 0x1
	scratch_load_b128 v[2:5], off, off offset:640
	scratch_load_b128 v[10:13], off, off offset:656
	s_waitcnt vmcnt(1) lgkmcnt(0)
	v_mul_f64 v[46:47], v[6:7], v[4:5]
	v_mul_f64 v[4:5], v[8:9], v[4:5]
	s_delay_alu instid0(VALU_DEP_2) | instskip(NEXT) | instid1(VALU_DEP_2)
	v_fma_f64 v[46:47], v[8:9], v[2:3], v[46:47]
	v_fma_f64 v[48:49], v[6:7], v[2:3], -v[4:5]
	ds_load_b128 v[2:5], v1 offset:1648
	ds_load_b128 v[6:9], v1 offset:1664
	s_waitcnt vmcnt(0) lgkmcnt(1)
	v_mul_f64 v[52:53], v[2:3], v[12:13]
	s_delay_alu instid0(VALU_DEP_1) | instskip(SKIP_1) | instid1(VALU_DEP_1)
	v_fma_f64 v[52:53], v[4:5], v[10:11], v[52:53]
	v_mul_f64 v[4:5], v[4:5], v[12:13]
	;; [unrolled: 17-line block ×10, first 2 shown]
	v_fma_f64 v[253:254], v[2:3], v[10:11], -v[4:5]
	v_add_f64 v[2:3], v[22:23], 0
	v_add_f64 v[4:5], v[24:25], 0
	s_delay_alu instid0(VALU_DEP_2) | instskip(NEXT) | instid1(VALU_DEP_2)
	v_add_f64 v[2:3], v[2:3], v[30:31]
	v_add_f64 v[4:5], v[4:5], v[32:33]
	s_delay_alu instid0(VALU_DEP_2) | instskip(NEXT) | instid1(VALU_DEP_2)
	;; [unrolled: 3-line block ×18, first 2 shown]
	v_add_f64 v[2:3], v[2:3], v[208:209]
	v_add_f64 v[10:11], v[4:5], v[202:203]
	s_delay_alu instid0(VALU_DEP_2)
	v_add_f64 v[12:13], v[2:3], v[220:221]
	scratch_load_b128 v[2:5], off, off offset:928
	v_add_f64 v[14:15], v[10:11], v[215:216]
	v_add_f64 v[16:17], v[12:13], v[237:238]
	scratch_load_b128 v[10:13], off, off offset:944
	v_add_f64 v[18:19], v[14:15], v[226:227]
	v_add_f64 v[20:21], v[16:17], v[241:242]
	scratch_load_b128 v[14:17], off, off offset:960
	v_add_f64 v[22:23], v[18:19], v[239:240]
	v_add_f64 v[24:25], v[20:21], v[245:246]
	scratch_load_b128 v[18:21], off, off offset:976
	v_add_f64 v[22:23], v[22:23], v[243:244]
	v_add_f64 v[24:25], v[24:25], v[249:250]
	s_delay_alu instid0(VALU_DEP_2) | instskip(NEXT) | instid1(VALU_DEP_2)
	v_add_f64 v[22:23], v[22:23], v[247:248]
	v_add_f64 v[24:25], v[24:25], v[253:254]
	s_delay_alu instid0(VALU_DEP_2) | instskip(SKIP_3) | instid1(VALU_DEP_2)
	v_add_f64 v[22:23], v[22:23], v[251:252]
	s_waitcnt vmcnt(3) lgkmcnt(0)
	v_mul_f64 v[30:31], v[6:7], v[4:5]
	v_mul_f64 v[4:5], v[8:9], v[4:5]
	v_fma_f64 v[30:31], v[8:9], v[2:3], v[30:31]
	s_delay_alu instid0(VALU_DEP_2)
	v_fma_f64 v[32:33], v[6:7], v[2:3], -v[4:5]
	ds_load_b128 v[2:5], v1 offset:1936
	ds_load_b128 v[6:9], v1 offset:1952
	s_waitcnt vmcnt(2) lgkmcnt(1)
	v_mul_f64 v[34:35], v[2:3], v[12:13]
	v_mul_f64 v[12:13], v[4:5], v[12:13]
	s_waitcnt vmcnt(1) lgkmcnt(0)
	v_mul_f64 v[36:37], v[6:7], v[16:17]
	v_add_f64 v[22:23], v[22:23], v[30:31]
	s_delay_alu instid0(VALU_DEP_4) | instskip(NEXT) | instid1(VALU_DEP_4)
	v_fma_f64 v[34:35], v[4:5], v[10:11], v[34:35]
	v_fma_f64 v[10:11], v[2:3], v[10:11], -v[12:13]
	v_mul_f64 v[12:13], v[8:9], v[16:17]
	v_add_f64 v[16:17], v[24:25], v[32:33]
	ds_load_b128 v[2:5], v1 offset:1968
	v_fma_f64 v[8:9], v[8:9], v[14:15], v[36:37]
	s_waitcnt vmcnt(0) lgkmcnt(0)
	v_mul_f64 v[24:25], v[2:3], v[20:21]
	v_mul_f64 v[20:21], v[4:5], v[20:21]
	v_fma_f64 v[6:7], v[6:7], v[14:15], -v[12:13]
	v_add_f64 v[10:11], v[16:17], v[10:11]
	v_add_f64 v[12:13], v[22:23], v[34:35]
	v_fma_f64 v[4:5], v[4:5], v[18:19], v[24:25]
	v_fma_f64 v[2:3], v[2:3], v[18:19], -v[20:21]
	s_delay_alu instid0(VALU_DEP_4) | instskip(NEXT) | instid1(VALU_DEP_4)
	v_add_f64 v[6:7], v[10:11], v[6:7]
	v_add_f64 v[8:9], v[12:13], v[8:9]
	s_delay_alu instid0(VALU_DEP_2) | instskip(NEXT) | instid1(VALU_DEP_2)
	v_add_f64 v[2:3], v[6:7], v[2:3]
	v_add_f64 v[4:5], v[8:9], v[4:5]
	s_delay_alu instid0(VALU_DEP_2) | instskip(NEXT) | instid1(VALU_DEP_2)
	v_add_f64 v[2:3], v[26:27], -v[2:3]
	v_add_f64 v[4:5], v[28:29], -v[4:5]
	scratch_store_b128 off, v[2:5], off offset:512
	v_cmpx_lt_u32_e32 31, v174
	s_cbranch_execz .LBB61_335
; %bb.334:
	scratch_load_b32 v2, off, off offset:1156 ; 4-byte Folded Reload
	v_mov_b32_e32 v3, v1
	v_mov_b32_e32 v4, v1
	s_waitcnt vmcnt(0)
	scratch_load_b128 v[5:8], v2, off
	v_mov_b32_e32 v2, v1
	scratch_store_b128 off, v[1:4], off offset:496
	s_waitcnt vmcnt(0)
	ds_store_b128 v236, v[5:8]
.LBB61_335:
	s_or_b32 exec_lo, exec_lo, s2
	s_waitcnt lgkmcnt(0)
	s_waitcnt_vscnt null, 0x0
	s_barrier
	buffer_gl0_inv
	s_clause 0x4
	scratch_load_b128 v[2:5], off, off offset:512
	scratch_load_b128 v[6:9], off, off offset:528
	;; [unrolled: 1-line block ×5, first 2 shown]
	ds_load_b128 v[22:25], v1 offset:1504
	ds_load_b128 v[26:29], v1 offset:1520
	scratch_load_b128 v[30:33], off, off offset:496
	s_mov_b32 s2, exec_lo
	s_waitcnt vmcnt(5) lgkmcnt(1)
	v_mul_f64 v[34:35], v[24:25], v[4:5]
	v_mul_f64 v[4:5], v[22:23], v[4:5]
	s_waitcnt vmcnt(4) lgkmcnt(0)
	v_mul_f64 v[36:37], v[26:27], v[8:9]
	v_mul_f64 v[8:9], v[28:29], v[8:9]
	s_delay_alu instid0(VALU_DEP_4) | instskip(NEXT) | instid1(VALU_DEP_4)
	v_fma_f64 v[22:23], v[22:23], v[2:3], -v[34:35]
	v_fma_f64 v[24:25], v[24:25], v[2:3], v[4:5]
	ds_load_b128 v[2:5], v1 offset:1536
	v_fma_f64 v[28:29], v[28:29], v[6:7], v[36:37]
	v_fma_f64 v[26:27], v[26:27], v[6:7], -v[8:9]
	ds_load_b128 v[6:9], v1 offset:1552
	s_waitcnt vmcnt(3) lgkmcnt(1)
	v_mul_f64 v[34:35], v[2:3], v[12:13]
	v_mul_f64 v[12:13], v[4:5], v[12:13]
	s_waitcnt vmcnt(2) lgkmcnt(0)
	v_mul_f64 v[36:37], v[6:7], v[16:17]
	s_delay_alu instid0(VALU_DEP_3) | instskip(NEXT) | instid1(VALU_DEP_3)
	v_fma_f64 v[34:35], v[4:5], v[10:11], v[34:35]
	v_fma_f64 v[38:39], v[2:3], v[10:11], -v[12:13]
	v_mul_f64 v[10:11], v[8:9], v[16:17]
	ds_load_b128 v[2:5], v1 offset:1568
	v_fma_f64 v[16:17], v[8:9], v[14:15], v[36:37]
	v_fma_f64 v[14:15], v[6:7], v[14:15], -v[10:11]
	ds_load_b128 v[6:9], v1 offset:1584
	s_waitcnt vmcnt(1) lgkmcnt(1)
	v_mul_f64 v[10:11], v[2:3], v[20:21]
	v_mul_f64 v[12:13], v[4:5], v[20:21]
	s_delay_alu instid0(VALU_DEP_2) | instskip(NEXT) | instid1(VALU_DEP_2)
	v_fma_f64 v[20:21], v[4:5], v[18:19], v[10:11]
	v_fma_f64 v[18:19], v[2:3], v[18:19], -v[12:13]
	s_clause 0x1
	scratch_load_b128 v[2:5], off, off offset:592
	scratch_load_b128 v[10:13], off, off offset:608
	s_waitcnt vmcnt(1) lgkmcnt(0)
	v_mul_f64 v[36:37], v[6:7], v[4:5]
	v_mul_f64 v[4:5], v[8:9], v[4:5]
	s_delay_alu instid0(VALU_DEP_2) | instskip(NEXT) | instid1(VALU_DEP_2)
	v_fma_f64 v[36:37], v[8:9], v[2:3], v[36:37]
	v_fma_f64 v[40:41], v[6:7], v[2:3], -v[4:5]
	ds_load_b128 v[2:5], v1 offset:1600
	ds_load_b128 v[6:9], v1 offset:1616
	s_waitcnt vmcnt(0) lgkmcnt(1)
	v_mul_f64 v[42:43], v[2:3], v[12:13]
	s_delay_alu instid0(VALU_DEP_1) | instskip(SKIP_1) | instid1(VALU_DEP_1)
	v_fma_f64 v[42:43], v[4:5], v[10:11], v[42:43]
	v_mul_f64 v[4:5], v[4:5], v[12:13]
	v_fma_f64 v[44:45], v[2:3], v[10:11], -v[4:5]
	s_clause 0x1
	scratch_load_b128 v[2:5], off, off offset:624
	scratch_load_b128 v[10:13], off, off offset:640
	s_waitcnt vmcnt(1) lgkmcnt(0)
	v_mul_f64 v[46:47], v[6:7], v[4:5]
	v_mul_f64 v[4:5], v[8:9], v[4:5]
	s_delay_alu instid0(VALU_DEP_2) | instskip(NEXT) | instid1(VALU_DEP_2)
	v_fma_f64 v[46:47], v[8:9], v[2:3], v[46:47]
	v_fma_f64 v[48:49], v[6:7], v[2:3], -v[4:5]
	ds_load_b128 v[2:5], v1 offset:1632
	ds_load_b128 v[6:9], v1 offset:1648
	s_waitcnt vmcnt(0) lgkmcnt(1)
	v_mul_f64 v[52:53], v[2:3], v[12:13]
	s_delay_alu instid0(VALU_DEP_1) | instskip(SKIP_1) | instid1(VALU_DEP_1)
	v_fma_f64 v[52:53], v[4:5], v[10:11], v[52:53]
	v_mul_f64 v[4:5], v[4:5], v[12:13]
	;; [unrolled: 17-line block ×11, first 2 shown]
	v_fma_f64 v[210:211], v[2:3], v[10:11], -v[4:5]
	v_add_f64 v[2:3], v[22:23], 0
	v_add_f64 v[4:5], v[24:25], 0
	s_delay_alu instid0(VALU_DEP_2) | instskip(NEXT) | instid1(VALU_DEP_2)
	v_add_f64 v[2:3], v[2:3], v[26:27]
	v_add_f64 v[4:5], v[4:5], v[28:29]
	s_delay_alu instid0(VALU_DEP_2) | instskip(NEXT) | instid1(VALU_DEP_2)
	;; [unrolled: 3-line block ×20, first 2 shown]
	v_add_f64 v[2:3], v[2:3], v[237:238]
	v_add_f64 v[10:11], v[4:5], v[226:227]
	s_delay_alu instid0(VALU_DEP_2)
	v_add_f64 v[12:13], v[2:3], v[241:242]
	scratch_load_b128 v[2:5], off, off offset:944
	v_add_f64 v[14:15], v[10:11], v[239:240]
	v_add_f64 v[16:17], v[12:13], v[245:246]
	scratch_load_b128 v[10:13], off, off offset:960
	v_add_f64 v[18:19], v[14:15], v[243:244]
	;; [unrolled: 3-line block ×3, first 2 shown]
	v_add_f64 v[20:21], v[20:21], v[253:254]
	s_delay_alu instid0(VALU_DEP_2) | instskip(NEXT) | instid1(VALU_DEP_2)
	v_add_f64 v[18:19], v[18:19], v[251:252]
	v_add_f64 v[28:29], v[20:21], v[204:205]
	s_delay_alu instid0(VALU_DEP_2)
	v_add_f64 v[34:35], v[18:19], v[200:201]
	ds_load_b128 v[18:21], v1 offset:1952
	ds_load_b128 v[22:25], v1 offset:1968
	s_waitcnt vmcnt(2) lgkmcnt(2)
	v_mul_f64 v[26:27], v[6:7], v[4:5]
	v_mul_f64 v[4:5], v[8:9], v[4:5]
	s_waitcnt vmcnt(1) lgkmcnt(1)
	v_mul_f64 v[36:37], v[18:19], v[12:13]
	s_delay_alu instid0(VALU_DEP_3) | instskip(NEXT) | instid1(VALU_DEP_3)
	v_fma_f64 v[8:9], v[8:9], v[2:3], v[26:27]
	v_fma_f64 v[1:2], v[6:7], v[2:3], -v[4:5]
	v_mul_f64 v[3:4], v[20:21], v[12:13]
	v_add_f64 v[5:6], v[28:29], v[210:211]
	v_add_f64 v[12:13], v[34:35], v[206:207]
	s_waitcnt vmcnt(0) lgkmcnt(0)
	v_mul_f64 v[26:27], v[22:23], v[16:17]
	v_mul_f64 v[16:17], v[24:25], v[16:17]
	v_fma_f64 v[20:21], v[20:21], v[10:11], v[36:37]
	v_fma_f64 v[3:4], v[18:19], v[10:11], -v[3:4]
	v_add_f64 v[1:2], v[5:6], v[1:2]
	v_add_f64 v[5:6], v[12:13], v[8:9]
	v_fma_f64 v[7:8], v[24:25], v[14:15], v[26:27]
	v_fma_f64 v[9:10], v[22:23], v[14:15], -v[16:17]
	s_delay_alu instid0(VALU_DEP_4) | instskip(NEXT) | instid1(VALU_DEP_4)
	v_add_f64 v[1:2], v[1:2], v[3:4]
	v_add_f64 v[3:4], v[5:6], v[20:21]
	s_delay_alu instid0(VALU_DEP_2) | instskip(NEXT) | instid1(VALU_DEP_2)
	v_add_f64 v[1:2], v[1:2], v[9:10]
	v_add_f64 v[3:4], v[3:4], v[7:8]
	s_delay_alu instid0(VALU_DEP_2) | instskip(NEXT) | instid1(VALU_DEP_2)
	v_add_f64 v[1:2], v[30:31], -v[1:2]
	v_add_f64 v[3:4], v[32:33], -v[3:4]
	scratch_store_b128 off, v[1:4], off offset:496
	v_cmpx_lt_u32_e32 30, v174
	s_cbranch_execz .LBB61_337
; %bb.336:
	scratch_load_b32 v1, off, off offset:1164 ; 4-byte Folded Reload
	v_mov_b32_e32 v5, 0
	s_delay_alu instid0(VALU_DEP_1)
	v_mov_b32_e32 v6, v5
	v_mov_b32_e32 v7, v5
	;; [unrolled: 1-line block ×3, first 2 shown]
	s_waitcnt vmcnt(0)
	scratch_load_b128 v[1:4], v1, off
	scratch_store_b128 off, v[5:8], off offset:480
	s_waitcnt vmcnt(0)
	ds_store_b128 v236, v[1:4]
.LBB61_337:
	s_or_b32 exec_lo, exec_lo, s2
	s_waitcnt lgkmcnt(0)
	s_waitcnt_vscnt null, 0x0
	s_barrier
	buffer_gl0_inv
	s_clause 0x4
	scratch_load_b128 v[2:5], off, off offset:496
	scratch_load_b128 v[6:9], off, off offset:512
	;; [unrolled: 1-line block ×5, first 2 shown]
	v_mov_b32_e32 v1, 0
	scratch_load_b128 v[26:29], off, off offset:480
	s_mov_b32 s2, exec_lo
	ds_load_b128 v[22:25], v1 offset:1488
	ds_load_b128 v[30:33], v1 offset:1504
	s_waitcnt vmcnt(5) lgkmcnt(1)
	v_mul_f64 v[34:35], v[24:25], v[4:5]
	v_mul_f64 v[4:5], v[22:23], v[4:5]
	s_waitcnt vmcnt(4) lgkmcnt(0)
	v_mul_f64 v[36:37], v[30:31], v[8:9]
	v_mul_f64 v[8:9], v[32:33], v[8:9]
	s_delay_alu instid0(VALU_DEP_4) | instskip(NEXT) | instid1(VALU_DEP_4)
	v_fma_f64 v[22:23], v[22:23], v[2:3], -v[34:35]
	v_fma_f64 v[24:25], v[24:25], v[2:3], v[4:5]
	ds_load_b128 v[2:5], v1 offset:1520
	v_fma_f64 v[32:33], v[32:33], v[6:7], v[36:37]
	v_fma_f64 v[30:31], v[30:31], v[6:7], -v[8:9]
	ds_load_b128 v[6:9], v1 offset:1536
	s_waitcnt vmcnt(3) lgkmcnt(1)
	v_mul_f64 v[34:35], v[2:3], v[12:13]
	v_mul_f64 v[12:13], v[4:5], v[12:13]
	s_waitcnt vmcnt(2) lgkmcnt(0)
	v_mul_f64 v[36:37], v[6:7], v[16:17]
	s_delay_alu instid0(VALU_DEP_3) | instskip(NEXT) | instid1(VALU_DEP_3)
	v_fma_f64 v[34:35], v[4:5], v[10:11], v[34:35]
	v_fma_f64 v[38:39], v[2:3], v[10:11], -v[12:13]
	v_mul_f64 v[10:11], v[8:9], v[16:17]
	ds_load_b128 v[2:5], v1 offset:1552
	v_fma_f64 v[16:17], v[8:9], v[14:15], v[36:37]
	v_fma_f64 v[14:15], v[6:7], v[14:15], -v[10:11]
	ds_load_b128 v[6:9], v1 offset:1568
	s_waitcnt vmcnt(1) lgkmcnt(1)
	v_mul_f64 v[10:11], v[2:3], v[20:21]
	v_mul_f64 v[12:13], v[4:5], v[20:21]
	s_delay_alu instid0(VALU_DEP_2) | instskip(NEXT) | instid1(VALU_DEP_2)
	v_fma_f64 v[20:21], v[4:5], v[18:19], v[10:11]
	v_fma_f64 v[18:19], v[2:3], v[18:19], -v[12:13]
	s_clause 0x1
	scratch_load_b128 v[2:5], off, off offset:576
	scratch_load_b128 v[10:13], off, off offset:592
	s_waitcnt vmcnt(1) lgkmcnt(0)
	v_mul_f64 v[36:37], v[6:7], v[4:5]
	v_mul_f64 v[4:5], v[8:9], v[4:5]
	s_delay_alu instid0(VALU_DEP_2) | instskip(NEXT) | instid1(VALU_DEP_2)
	v_fma_f64 v[36:37], v[8:9], v[2:3], v[36:37]
	v_fma_f64 v[40:41], v[6:7], v[2:3], -v[4:5]
	ds_load_b128 v[2:5], v1 offset:1584
	ds_load_b128 v[6:9], v1 offset:1600
	s_waitcnt vmcnt(0) lgkmcnt(1)
	v_mul_f64 v[42:43], v[2:3], v[12:13]
	s_delay_alu instid0(VALU_DEP_1) | instskip(SKIP_1) | instid1(VALU_DEP_1)
	v_fma_f64 v[42:43], v[4:5], v[10:11], v[42:43]
	v_mul_f64 v[4:5], v[4:5], v[12:13]
	v_fma_f64 v[44:45], v[2:3], v[10:11], -v[4:5]
	s_clause 0x1
	scratch_load_b128 v[2:5], off, off offset:608
	scratch_load_b128 v[10:13], off, off offset:624
	s_waitcnt vmcnt(1) lgkmcnt(0)
	v_mul_f64 v[46:47], v[6:7], v[4:5]
	v_mul_f64 v[4:5], v[8:9], v[4:5]
	s_delay_alu instid0(VALU_DEP_2) | instskip(NEXT) | instid1(VALU_DEP_2)
	v_fma_f64 v[46:47], v[8:9], v[2:3], v[46:47]
	v_fma_f64 v[48:49], v[6:7], v[2:3], -v[4:5]
	ds_load_b128 v[2:5], v1 offset:1616
	ds_load_b128 v[6:9], v1 offset:1632
	s_waitcnt vmcnt(0) lgkmcnt(1)
	v_mul_f64 v[52:53], v[2:3], v[12:13]
	s_delay_alu instid0(VALU_DEP_1) | instskip(SKIP_1) | instid1(VALU_DEP_1)
	v_fma_f64 v[52:53], v[4:5], v[10:11], v[52:53]
	v_mul_f64 v[4:5], v[4:5], v[12:13]
	;; [unrolled: 17-line block ×11, first 2 shown]
	v_fma_f64 v[253:254], v[2:3], v[10:11], -v[4:5]
	v_add_f64 v[2:3], v[22:23], 0
	v_add_f64 v[4:5], v[24:25], 0
	s_delay_alu instid0(VALU_DEP_2) | instskip(NEXT) | instid1(VALU_DEP_2)
	v_add_f64 v[2:3], v[2:3], v[30:31]
	v_add_f64 v[4:5], v[4:5], v[32:33]
	s_delay_alu instid0(VALU_DEP_2) | instskip(NEXT) | instid1(VALU_DEP_2)
	v_add_f64 v[2:3], v[2:3], v[38:39]
	v_add_f64 v[4:5], v[4:5], v[34:35]
	s_delay_alu instid0(VALU_DEP_2) | instskip(NEXT) | instid1(VALU_DEP_2)
	v_add_f64 v[2:3], v[2:3], v[14:15]
	v_add_f64 v[4:5], v[4:5], v[16:17]
	s_delay_alu instid0(VALU_DEP_2) | instskip(NEXT) | instid1(VALU_DEP_2)
	v_add_f64 v[2:3], v[2:3], v[18:19]
	v_add_f64 v[4:5], v[4:5], v[20:21]
	s_delay_alu instid0(VALU_DEP_2) | instskip(NEXT) | instid1(VALU_DEP_2)
	v_add_f64 v[2:3], v[2:3], v[40:41]
	v_add_f64 v[4:5], v[4:5], v[36:37]
	s_delay_alu instid0(VALU_DEP_2) | instskip(NEXT) | instid1(VALU_DEP_2)
	v_add_f64 v[2:3], v[2:3], v[44:45]
	v_add_f64 v[4:5], v[4:5], v[42:43]
	s_delay_alu instid0(VALU_DEP_2) | instskip(NEXT) | instid1(VALU_DEP_2)
	v_add_f64 v[2:3], v[2:3], v[48:49]
	v_add_f64 v[4:5], v[4:5], v[46:47]
	s_delay_alu instid0(VALU_DEP_2) | instskip(NEXT) | instid1(VALU_DEP_2)
	v_add_f64 v[2:3], v[2:3], v[54:55]
	v_add_f64 v[4:5], v[4:5], v[52:53]
	s_delay_alu instid0(VALU_DEP_2) | instskip(NEXT) | instid1(VALU_DEP_2)
	v_add_f64 v[2:3], v[2:3], v[58:59]
	v_add_f64 v[4:5], v[4:5], v[56:57]
	s_delay_alu instid0(VALU_DEP_2) | instskip(NEXT) | instid1(VALU_DEP_2)
	v_add_f64 v[2:3], v[2:3], v[62:63]
	v_add_f64 v[4:5], v[4:5], v[60:61]
	s_delay_alu instid0(VALU_DEP_2) | instskip(NEXT) | instid1(VALU_DEP_2)
	v_add_f64 v[2:3], v[2:3], v[66:67]
	v_add_f64 v[4:5], v[4:5], v[64:65]
	s_delay_alu instid0(VALU_DEP_2) | instskip(NEXT) | instid1(VALU_DEP_2)
	v_add_f64 v[2:3], v[2:3], v[70:71]
	v_add_f64 v[4:5], v[4:5], v[68:69]
	s_delay_alu instid0(VALU_DEP_2) | instskip(NEXT) | instid1(VALU_DEP_2)
	v_add_f64 v[2:3], v[2:3], v[175:176]
	v_add_f64 v[4:5], v[4:5], v[90:91]
	s_delay_alu instid0(VALU_DEP_2) | instskip(NEXT) | instid1(VALU_DEP_2)
	v_add_f64 v[2:3], v[2:3], v[181:182]
	v_add_f64 v[4:5], v[4:5], v[177:178]
	s_delay_alu instid0(VALU_DEP_2) | instskip(NEXT) | instid1(VALU_DEP_2)
	v_add_f64 v[2:3], v[2:3], v[187:188]
	v_add_f64 v[4:5], v[4:5], v[183:184]
	s_delay_alu instid0(VALU_DEP_2) | instskip(NEXT) | instid1(VALU_DEP_2)
	v_add_f64 v[2:3], v[2:3], v[194:195]
	v_add_f64 v[4:5], v[4:5], v[189:190]
	s_delay_alu instid0(VALU_DEP_2) | instskip(NEXT) | instid1(VALU_DEP_2)
	v_add_f64 v[2:3], v[2:3], v[198:199]
	v_add_f64 v[4:5], v[4:5], v[196:197]
	s_delay_alu instid0(VALU_DEP_2) | instskip(NEXT) | instid1(VALU_DEP_2)
	v_add_f64 v[2:3], v[2:3], v[202:203]
	v_add_f64 v[4:5], v[4:5], v[200:201]
	s_delay_alu instid0(VALU_DEP_2) | instskip(NEXT) | instid1(VALU_DEP_2)
	v_add_f64 v[2:3], v[2:3], v[206:207]
	v_add_f64 v[4:5], v[4:5], v[204:205]
	s_delay_alu instid0(VALU_DEP_2) | instskip(NEXT) | instid1(VALU_DEP_2)
	v_add_f64 v[2:3], v[2:3], v[210:211]
	v_add_f64 v[10:11], v[4:5], v[208:209]
	s_delay_alu instid0(VALU_DEP_2)
	v_add_f64 v[12:13], v[2:3], v[220:221]
	scratch_load_b128 v[2:5], off, off offset:928
	v_add_f64 v[14:15], v[10:11], v[215:216]
	v_add_f64 v[16:17], v[12:13], v[237:238]
	scratch_load_b128 v[10:13], off, off offset:944
	v_add_f64 v[18:19], v[14:15], v[226:227]
	;; [unrolled: 3-line block ×4, first 2 shown]
	v_add_f64 v[24:25], v[24:25], v[249:250]
	s_delay_alu instid0(VALU_DEP_2) | instskip(NEXT) | instid1(VALU_DEP_2)
	v_add_f64 v[22:23], v[22:23], v[247:248]
	v_add_f64 v[24:25], v[24:25], v[253:254]
	s_delay_alu instid0(VALU_DEP_2) | instskip(SKIP_3) | instid1(VALU_DEP_2)
	v_add_f64 v[22:23], v[22:23], v[251:252]
	s_waitcnt vmcnt(3) lgkmcnt(0)
	v_mul_f64 v[30:31], v[6:7], v[4:5]
	v_mul_f64 v[4:5], v[8:9], v[4:5]
	v_fma_f64 v[30:31], v[8:9], v[2:3], v[30:31]
	s_delay_alu instid0(VALU_DEP_2)
	v_fma_f64 v[32:33], v[6:7], v[2:3], -v[4:5]
	ds_load_b128 v[2:5], v1 offset:1936
	ds_load_b128 v[6:9], v1 offset:1952
	s_waitcnt vmcnt(2) lgkmcnt(1)
	v_mul_f64 v[34:35], v[2:3], v[12:13]
	v_mul_f64 v[12:13], v[4:5], v[12:13]
	s_waitcnt vmcnt(1) lgkmcnt(0)
	v_mul_f64 v[36:37], v[6:7], v[16:17]
	v_add_f64 v[22:23], v[22:23], v[30:31]
	s_delay_alu instid0(VALU_DEP_4) | instskip(NEXT) | instid1(VALU_DEP_4)
	v_fma_f64 v[34:35], v[4:5], v[10:11], v[34:35]
	v_fma_f64 v[10:11], v[2:3], v[10:11], -v[12:13]
	v_mul_f64 v[12:13], v[8:9], v[16:17]
	v_add_f64 v[16:17], v[24:25], v[32:33]
	ds_load_b128 v[2:5], v1 offset:1968
	v_fma_f64 v[8:9], v[8:9], v[14:15], v[36:37]
	s_waitcnt vmcnt(0) lgkmcnt(0)
	v_mul_f64 v[24:25], v[2:3], v[20:21]
	v_mul_f64 v[20:21], v[4:5], v[20:21]
	v_fma_f64 v[6:7], v[6:7], v[14:15], -v[12:13]
	v_add_f64 v[10:11], v[16:17], v[10:11]
	v_add_f64 v[12:13], v[22:23], v[34:35]
	v_fma_f64 v[4:5], v[4:5], v[18:19], v[24:25]
	v_fma_f64 v[2:3], v[2:3], v[18:19], -v[20:21]
	s_delay_alu instid0(VALU_DEP_4) | instskip(NEXT) | instid1(VALU_DEP_4)
	v_add_f64 v[6:7], v[10:11], v[6:7]
	v_add_f64 v[8:9], v[12:13], v[8:9]
	s_delay_alu instid0(VALU_DEP_2) | instskip(NEXT) | instid1(VALU_DEP_2)
	v_add_f64 v[2:3], v[6:7], v[2:3]
	v_add_f64 v[4:5], v[8:9], v[4:5]
	s_delay_alu instid0(VALU_DEP_2) | instskip(NEXT) | instid1(VALU_DEP_2)
	v_add_f64 v[2:3], v[26:27], -v[2:3]
	v_add_f64 v[4:5], v[28:29], -v[4:5]
	scratch_store_b128 off, v[2:5], off offset:480
	v_cmpx_lt_u32_e32 29, v174
	s_cbranch_execz .LBB61_339
; %bb.338:
	scratch_load_b32 v2, off, off offset:1180 ; 4-byte Folded Reload
	v_mov_b32_e32 v3, v1
	v_mov_b32_e32 v4, v1
	s_waitcnt vmcnt(0)
	scratch_load_b128 v[5:8], v2, off
	v_mov_b32_e32 v2, v1
	scratch_store_b128 off, v[1:4], off offset:464
	s_waitcnt vmcnt(0)
	ds_store_b128 v236, v[5:8]
.LBB61_339:
	s_or_b32 exec_lo, exec_lo, s2
	s_waitcnt lgkmcnt(0)
	s_waitcnt_vscnt null, 0x0
	s_barrier
	buffer_gl0_inv
	s_clause 0x4
	scratch_load_b128 v[2:5], off, off offset:480
	scratch_load_b128 v[6:9], off, off offset:496
	;; [unrolled: 1-line block ×5, first 2 shown]
	ds_load_b128 v[22:25], v1 offset:1472
	ds_load_b128 v[26:29], v1 offset:1488
	scratch_load_b128 v[30:33], off, off offset:464
	s_mov_b32 s2, exec_lo
	s_waitcnt vmcnt(5) lgkmcnt(1)
	v_mul_f64 v[34:35], v[24:25], v[4:5]
	v_mul_f64 v[4:5], v[22:23], v[4:5]
	s_waitcnt vmcnt(4) lgkmcnt(0)
	v_mul_f64 v[36:37], v[26:27], v[8:9]
	v_mul_f64 v[8:9], v[28:29], v[8:9]
	s_delay_alu instid0(VALU_DEP_4) | instskip(NEXT) | instid1(VALU_DEP_4)
	v_fma_f64 v[22:23], v[22:23], v[2:3], -v[34:35]
	v_fma_f64 v[24:25], v[24:25], v[2:3], v[4:5]
	ds_load_b128 v[2:5], v1 offset:1504
	v_fma_f64 v[28:29], v[28:29], v[6:7], v[36:37]
	v_fma_f64 v[26:27], v[26:27], v[6:7], -v[8:9]
	ds_load_b128 v[6:9], v1 offset:1520
	s_waitcnt vmcnt(3) lgkmcnt(1)
	v_mul_f64 v[34:35], v[2:3], v[12:13]
	v_mul_f64 v[12:13], v[4:5], v[12:13]
	s_waitcnt vmcnt(2) lgkmcnt(0)
	v_mul_f64 v[36:37], v[6:7], v[16:17]
	s_delay_alu instid0(VALU_DEP_3) | instskip(NEXT) | instid1(VALU_DEP_3)
	v_fma_f64 v[34:35], v[4:5], v[10:11], v[34:35]
	v_fma_f64 v[38:39], v[2:3], v[10:11], -v[12:13]
	v_mul_f64 v[10:11], v[8:9], v[16:17]
	ds_load_b128 v[2:5], v1 offset:1536
	v_fma_f64 v[16:17], v[8:9], v[14:15], v[36:37]
	v_fma_f64 v[14:15], v[6:7], v[14:15], -v[10:11]
	ds_load_b128 v[6:9], v1 offset:1552
	s_waitcnt vmcnt(1) lgkmcnt(1)
	v_mul_f64 v[10:11], v[2:3], v[20:21]
	v_mul_f64 v[12:13], v[4:5], v[20:21]
	s_delay_alu instid0(VALU_DEP_2) | instskip(NEXT) | instid1(VALU_DEP_2)
	v_fma_f64 v[20:21], v[4:5], v[18:19], v[10:11]
	v_fma_f64 v[18:19], v[2:3], v[18:19], -v[12:13]
	s_clause 0x1
	scratch_load_b128 v[2:5], off, off offset:560
	scratch_load_b128 v[10:13], off, off offset:576
	s_waitcnt vmcnt(1) lgkmcnt(0)
	v_mul_f64 v[36:37], v[6:7], v[4:5]
	v_mul_f64 v[4:5], v[8:9], v[4:5]
	s_delay_alu instid0(VALU_DEP_2) | instskip(NEXT) | instid1(VALU_DEP_2)
	v_fma_f64 v[36:37], v[8:9], v[2:3], v[36:37]
	v_fma_f64 v[40:41], v[6:7], v[2:3], -v[4:5]
	ds_load_b128 v[2:5], v1 offset:1568
	ds_load_b128 v[6:9], v1 offset:1584
	s_waitcnt vmcnt(0) lgkmcnt(1)
	v_mul_f64 v[42:43], v[2:3], v[12:13]
	s_delay_alu instid0(VALU_DEP_1) | instskip(SKIP_1) | instid1(VALU_DEP_1)
	v_fma_f64 v[42:43], v[4:5], v[10:11], v[42:43]
	v_mul_f64 v[4:5], v[4:5], v[12:13]
	v_fma_f64 v[44:45], v[2:3], v[10:11], -v[4:5]
	s_clause 0x1
	scratch_load_b128 v[2:5], off, off offset:592
	scratch_load_b128 v[10:13], off, off offset:608
	s_waitcnt vmcnt(1) lgkmcnt(0)
	v_mul_f64 v[46:47], v[6:7], v[4:5]
	v_mul_f64 v[4:5], v[8:9], v[4:5]
	s_delay_alu instid0(VALU_DEP_2) | instskip(NEXT) | instid1(VALU_DEP_2)
	v_fma_f64 v[46:47], v[8:9], v[2:3], v[46:47]
	v_fma_f64 v[48:49], v[6:7], v[2:3], -v[4:5]
	ds_load_b128 v[2:5], v1 offset:1600
	ds_load_b128 v[6:9], v1 offset:1616
	s_waitcnt vmcnt(0) lgkmcnt(1)
	v_mul_f64 v[52:53], v[2:3], v[12:13]
	s_delay_alu instid0(VALU_DEP_1) | instskip(SKIP_1) | instid1(VALU_DEP_1)
	v_fma_f64 v[52:53], v[4:5], v[10:11], v[52:53]
	v_mul_f64 v[4:5], v[4:5], v[12:13]
	;; [unrolled: 17-line block ×12, first 2 shown]
	v_fma_f64 v[222:223], v[2:3], v[10:11], -v[4:5]
	v_add_f64 v[2:3], v[22:23], 0
	v_add_f64 v[4:5], v[24:25], 0
	s_delay_alu instid0(VALU_DEP_2) | instskip(NEXT) | instid1(VALU_DEP_2)
	v_add_f64 v[2:3], v[2:3], v[26:27]
	v_add_f64 v[4:5], v[4:5], v[28:29]
	s_delay_alu instid0(VALU_DEP_2) | instskip(NEXT) | instid1(VALU_DEP_2)
	;; [unrolled: 3-line block ×22, first 2 shown]
	v_add_f64 v[2:3], v[2:3], v[237:238]
	v_add_f64 v[10:11], v[4:5], v[226:227]
	s_delay_alu instid0(VALU_DEP_2)
	v_add_f64 v[12:13], v[2:3], v[241:242]
	scratch_load_b128 v[2:5], off, off offset:944
	v_add_f64 v[14:15], v[10:11], v[239:240]
	v_add_f64 v[16:17], v[12:13], v[245:246]
	scratch_load_b128 v[10:13], off, off offset:960
	v_add_f64 v[18:19], v[14:15], v[243:244]
	;; [unrolled: 3-line block ×3, first 2 shown]
	v_add_f64 v[20:21], v[20:21], v[253:254]
	s_delay_alu instid0(VALU_DEP_2) | instskip(NEXT) | instid1(VALU_DEP_2)
	v_add_f64 v[18:19], v[18:19], v[251:252]
	v_add_f64 v[28:29], v[20:21], v[217:218]
	s_delay_alu instid0(VALU_DEP_2)
	v_add_f64 v[34:35], v[18:19], v[212:213]
	ds_load_b128 v[18:21], v1 offset:1952
	ds_load_b128 v[22:25], v1 offset:1968
	s_waitcnt vmcnt(2) lgkmcnt(2)
	v_mul_f64 v[26:27], v[6:7], v[4:5]
	v_mul_f64 v[4:5], v[8:9], v[4:5]
	s_waitcnt vmcnt(1) lgkmcnt(1)
	v_mul_f64 v[36:37], v[18:19], v[12:13]
	s_delay_alu instid0(VALU_DEP_3) | instskip(NEXT) | instid1(VALU_DEP_3)
	v_fma_f64 v[8:9], v[8:9], v[2:3], v[26:27]
	v_fma_f64 v[1:2], v[6:7], v[2:3], -v[4:5]
	v_mul_f64 v[3:4], v[20:21], v[12:13]
	v_add_f64 v[5:6], v[28:29], v[222:223]
	v_add_f64 v[12:13], v[34:35], v[179:180]
	s_waitcnt vmcnt(0) lgkmcnt(0)
	v_mul_f64 v[26:27], v[22:23], v[16:17]
	v_mul_f64 v[16:17], v[24:25], v[16:17]
	v_fma_f64 v[20:21], v[20:21], v[10:11], v[36:37]
	v_fma_f64 v[3:4], v[18:19], v[10:11], -v[3:4]
	v_add_f64 v[1:2], v[5:6], v[1:2]
	v_add_f64 v[5:6], v[12:13], v[8:9]
	v_fma_f64 v[7:8], v[24:25], v[14:15], v[26:27]
	v_fma_f64 v[9:10], v[22:23], v[14:15], -v[16:17]
	s_delay_alu instid0(VALU_DEP_4) | instskip(NEXT) | instid1(VALU_DEP_4)
	v_add_f64 v[1:2], v[1:2], v[3:4]
	v_add_f64 v[3:4], v[5:6], v[20:21]
	s_delay_alu instid0(VALU_DEP_2) | instskip(NEXT) | instid1(VALU_DEP_2)
	v_add_f64 v[1:2], v[1:2], v[9:10]
	v_add_f64 v[3:4], v[3:4], v[7:8]
	s_delay_alu instid0(VALU_DEP_2) | instskip(NEXT) | instid1(VALU_DEP_2)
	v_add_f64 v[1:2], v[30:31], -v[1:2]
	v_add_f64 v[3:4], v[32:33], -v[3:4]
	scratch_store_b128 off, v[1:4], off offset:464
	v_cmpx_lt_u32_e32 28, v174
	s_cbranch_execz .LBB61_341
; %bb.340:
	scratch_load_b32 v1, off, off offset:1188 ; 4-byte Folded Reload
	v_mov_b32_e32 v5, 0
	s_delay_alu instid0(VALU_DEP_1)
	v_mov_b32_e32 v6, v5
	v_mov_b32_e32 v7, v5
	;; [unrolled: 1-line block ×3, first 2 shown]
	s_waitcnt vmcnt(0)
	scratch_load_b128 v[1:4], v1, off
	scratch_store_b128 off, v[5:8], off offset:448
	s_waitcnt vmcnt(0)
	ds_store_b128 v236, v[1:4]
.LBB61_341:
	s_or_b32 exec_lo, exec_lo, s2
	s_waitcnt lgkmcnt(0)
	s_waitcnt_vscnt null, 0x0
	s_barrier
	buffer_gl0_inv
	s_clause 0x4
	scratch_load_b128 v[2:5], off, off offset:464
	scratch_load_b128 v[6:9], off, off offset:480
	;; [unrolled: 1-line block ×5, first 2 shown]
	v_mov_b32_e32 v1, 0
	scratch_load_b128 v[26:29], off, off offset:448
	s_mov_b32 s2, exec_lo
	ds_load_b128 v[22:25], v1 offset:1456
	ds_load_b128 v[30:33], v1 offset:1472
	s_waitcnt vmcnt(5) lgkmcnt(1)
	v_mul_f64 v[34:35], v[24:25], v[4:5]
	v_mul_f64 v[4:5], v[22:23], v[4:5]
	s_waitcnt vmcnt(4) lgkmcnt(0)
	v_mul_f64 v[36:37], v[30:31], v[8:9]
	v_mul_f64 v[8:9], v[32:33], v[8:9]
	s_delay_alu instid0(VALU_DEP_4) | instskip(NEXT) | instid1(VALU_DEP_4)
	v_fma_f64 v[22:23], v[22:23], v[2:3], -v[34:35]
	v_fma_f64 v[24:25], v[24:25], v[2:3], v[4:5]
	ds_load_b128 v[2:5], v1 offset:1488
	v_fma_f64 v[32:33], v[32:33], v[6:7], v[36:37]
	v_fma_f64 v[30:31], v[30:31], v[6:7], -v[8:9]
	ds_load_b128 v[6:9], v1 offset:1504
	s_waitcnt vmcnt(3) lgkmcnt(1)
	v_mul_f64 v[34:35], v[2:3], v[12:13]
	v_mul_f64 v[12:13], v[4:5], v[12:13]
	s_waitcnt vmcnt(2) lgkmcnt(0)
	v_mul_f64 v[36:37], v[6:7], v[16:17]
	s_delay_alu instid0(VALU_DEP_3) | instskip(NEXT) | instid1(VALU_DEP_3)
	v_fma_f64 v[34:35], v[4:5], v[10:11], v[34:35]
	v_fma_f64 v[38:39], v[2:3], v[10:11], -v[12:13]
	v_mul_f64 v[10:11], v[8:9], v[16:17]
	ds_load_b128 v[2:5], v1 offset:1520
	v_fma_f64 v[16:17], v[8:9], v[14:15], v[36:37]
	v_fma_f64 v[14:15], v[6:7], v[14:15], -v[10:11]
	ds_load_b128 v[6:9], v1 offset:1536
	s_waitcnt vmcnt(1) lgkmcnt(1)
	v_mul_f64 v[10:11], v[2:3], v[20:21]
	v_mul_f64 v[12:13], v[4:5], v[20:21]
	s_delay_alu instid0(VALU_DEP_2) | instskip(NEXT) | instid1(VALU_DEP_2)
	v_fma_f64 v[20:21], v[4:5], v[18:19], v[10:11]
	v_fma_f64 v[18:19], v[2:3], v[18:19], -v[12:13]
	s_clause 0x1
	scratch_load_b128 v[2:5], off, off offset:544
	scratch_load_b128 v[10:13], off, off offset:560
	s_waitcnt vmcnt(1) lgkmcnt(0)
	v_mul_f64 v[36:37], v[6:7], v[4:5]
	v_mul_f64 v[4:5], v[8:9], v[4:5]
	s_delay_alu instid0(VALU_DEP_2) | instskip(NEXT) | instid1(VALU_DEP_2)
	v_fma_f64 v[36:37], v[8:9], v[2:3], v[36:37]
	v_fma_f64 v[40:41], v[6:7], v[2:3], -v[4:5]
	ds_load_b128 v[2:5], v1 offset:1552
	ds_load_b128 v[6:9], v1 offset:1568
	s_waitcnt vmcnt(0) lgkmcnt(1)
	v_mul_f64 v[42:43], v[2:3], v[12:13]
	s_delay_alu instid0(VALU_DEP_1) | instskip(SKIP_1) | instid1(VALU_DEP_1)
	v_fma_f64 v[42:43], v[4:5], v[10:11], v[42:43]
	v_mul_f64 v[4:5], v[4:5], v[12:13]
	v_fma_f64 v[44:45], v[2:3], v[10:11], -v[4:5]
	s_clause 0x1
	scratch_load_b128 v[2:5], off, off offset:576
	scratch_load_b128 v[10:13], off, off offset:592
	s_waitcnt vmcnt(1) lgkmcnt(0)
	v_mul_f64 v[46:47], v[6:7], v[4:5]
	v_mul_f64 v[4:5], v[8:9], v[4:5]
	s_delay_alu instid0(VALU_DEP_2) | instskip(NEXT) | instid1(VALU_DEP_2)
	v_fma_f64 v[46:47], v[8:9], v[2:3], v[46:47]
	v_fma_f64 v[48:49], v[6:7], v[2:3], -v[4:5]
	ds_load_b128 v[2:5], v1 offset:1584
	ds_load_b128 v[6:9], v1 offset:1600
	s_waitcnt vmcnt(0) lgkmcnt(1)
	v_mul_f64 v[52:53], v[2:3], v[12:13]
	s_delay_alu instid0(VALU_DEP_1) | instskip(SKIP_1) | instid1(VALU_DEP_1)
	v_fma_f64 v[52:53], v[4:5], v[10:11], v[52:53]
	v_mul_f64 v[4:5], v[4:5], v[12:13]
	;; [unrolled: 17-line block ×12, first 2 shown]
	v_fma_f64 v[253:254], v[2:3], v[10:11], -v[4:5]
	v_add_f64 v[2:3], v[22:23], 0
	v_add_f64 v[4:5], v[24:25], 0
	s_delay_alu instid0(VALU_DEP_2) | instskip(NEXT) | instid1(VALU_DEP_2)
	v_add_f64 v[2:3], v[2:3], v[30:31]
	v_add_f64 v[4:5], v[4:5], v[32:33]
	s_delay_alu instid0(VALU_DEP_2) | instskip(NEXT) | instid1(VALU_DEP_2)
	;; [unrolled: 3-line block ×22, first 2 shown]
	v_add_f64 v[2:3], v[2:3], v[217:218]
	v_add_f64 v[10:11], v[4:5], v[215:216]
	s_delay_alu instid0(VALU_DEP_2)
	v_add_f64 v[12:13], v[2:3], v[222:223]
	scratch_load_b128 v[2:5], off, off offset:928
	v_add_f64 v[14:15], v[10:11], v[220:221]
	v_add_f64 v[16:17], v[12:13], v[237:238]
	scratch_load_b128 v[10:13], off, off offset:944
	v_add_f64 v[18:19], v[14:15], v[226:227]
	;; [unrolled: 3-line block ×4, first 2 shown]
	v_add_f64 v[24:25], v[24:25], v[249:250]
	s_delay_alu instid0(VALU_DEP_2) | instskip(NEXT) | instid1(VALU_DEP_2)
	v_add_f64 v[22:23], v[22:23], v[247:248]
	v_add_f64 v[24:25], v[24:25], v[253:254]
	s_delay_alu instid0(VALU_DEP_2) | instskip(SKIP_3) | instid1(VALU_DEP_2)
	v_add_f64 v[22:23], v[22:23], v[251:252]
	s_waitcnt vmcnt(3) lgkmcnt(0)
	v_mul_f64 v[30:31], v[6:7], v[4:5]
	v_mul_f64 v[4:5], v[8:9], v[4:5]
	v_fma_f64 v[30:31], v[8:9], v[2:3], v[30:31]
	s_delay_alu instid0(VALU_DEP_2)
	v_fma_f64 v[32:33], v[6:7], v[2:3], -v[4:5]
	ds_load_b128 v[2:5], v1 offset:1936
	ds_load_b128 v[6:9], v1 offset:1952
	s_waitcnt vmcnt(2) lgkmcnt(1)
	v_mul_f64 v[34:35], v[2:3], v[12:13]
	v_mul_f64 v[12:13], v[4:5], v[12:13]
	s_waitcnt vmcnt(1) lgkmcnt(0)
	v_mul_f64 v[36:37], v[6:7], v[16:17]
	v_add_f64 v[22:23], v[22:23], v[30:31]
	s_delay_alu instid0(VALU_DEP_4) | instskip(NEXT) | instid1(VALU_DEP_4)
	v_fma_f64 v[34:35], v[4:5], v[10:11], v[34:35]
	v_fma_f64 v[10:11], v[2:3], v[10:11], -v[12:13]
	v_mul_f64 v[12:13], v[8:9], v[16:17]
	v_add_f64 v[16:17], v[24:25], v[32:33]
	ds_load_b128 v[2:5], v1 offset:1968
	v_fma_f64 v[8:9], v[8:9], v[14:15], v[36:37]
	s_waitcnt vmcnt(0) lgkmcnt(0)
	v_mul_f64 v[24:25], v[2:3], v[20:21]
	v_mul_f64 v[20:21], v[4:5], v[20:21]
	v_fma_f64 v[6:7], v[6:7], v[14:15], -v[12:13]
	v_add_f64 v[10:11], v[16:17], v[10:11]
	v_add_f64 v[12:13], v[22:23], v[34:35]
	v_fma_f64 v[4:5], v[4:5], v[18:19], v[24:25]
	v_fma_f64 v[2:3], v[2:3], v[18:19], -v[20:21]
	s_delay_alu instid0(VALU_DEP_4) | instskip(NEXT) | instid1(VALU_DEP_4)
	v_add_f64 v[6:7], v[10:11], v[6:7]
	v_add_f64 v[8:9], v[12:13], v[8:9]
	s_delay_alu instid0(VALU_DEP_2) | instskip(NEXT) | instid1(VALU_DEP_2)
	v_add_f64 v[2:3], v[6:7], v[2:3]
	v_add_f64 v[4:5], v[8:9], v[4:5]
	s_delay_alu instid0(VALU_DEP_2) | instskip(NEXT) | instid1(VALU_DEP_2)
	v_add_f64 v[2:3], v[26:27], -v[2:3]
	v_add_f64 v[4:5], v[28:29], -v[4:5]
	scratch_store_b128 off, v[2:5], off offset:448
	v_cmpx_lt_u32_e32 27, v174
	s_cbranch_execz .LBB61_343
; %bb.342:
	scratch_load_b32 v2, off, off offset:1192 ; 4-byte Folded Reload
	v_mov_b32_e32 v3, v1
	v_mov_b32_e32 v4, v1
	s_waitcnt vmcnt(0)
	scratch_load_b128 v[5:8], v2, off
	v_mov_b32_e32 v2, v1
	scratch_store_b128 off, v[1:4], off offset:432
	s_waitcnt vmcnt(0)
	ds_store_b128 v236, v[5:8]
.LBB61_343:
	s_or_b32 exec_lo, exec_lo, s2
	s_waitcnt lgkmcnt(0)
	s_waitcnt_vscnt null, 0x0
	s_barrier
	buffer_gl0_inv
	s_clause 0x4
	scratch_load_b128 v[2:5], off, off offset:448
	scratch_load_b128 v[6:9], off, off offset:464
	;; [unrolled: 1-line block ×5, first 2 shown]
	ds_load_b128 v[22:25], v1 offset:1440
	ds_load_b128 v[26:29], v1 offset:1456
	scratch_load_b128 v[30:33], off, off offset:432
	s_mov_b32 s2, exec_lo
	s_waitcnt vmcnt(5) lgkmcnt(1)
	v_mul_f64 v[34:35], v[24:25], v[4:5]
	v_mul_f64 v[4:5], v[22:23], v[4:5]
	s_waitcnt vmcnt(4) lgkmcnt(0)
	v_mul_f64 v[36:37], v[26:27], v[8:9]
	v_mul_f64 v[8:9], v[28:29], v[8:9]
	s_delay_alu instid0(VALU_DEP_4) | instskip(NEXT) | instid1(VALU_DEP_4)
	v_fma_f64 v[22:23], v[22:23], v[2:3], -v[34:35]
	v_fma_f64 v[24:25], v[24:25], v[2:3], v[4:5]
	ds_load_b128 v[2:5], v1 offset:1472
	v_fma_f64 v[28:29], v[28:29], v[6:7], v[36:37]
	v_fma_f64 v[26:27], v[26:27], v[6:7], -v[8:9]
	ds_load_b128 v[6:9], v1 offset:1488
	s_waitcnt vmcnt(3) lgkmcnt(1)
	v_mul_f64 v[34:35], v[2:3], v[12:13]
	v_mul_f64 v[12:13], v[4:5], v[12:13]
	s_waitcnt vmcnt(2) lgkmcnt(0)
	v_mul_f64 v[36:37], v[6:7], v[16:17]
	s_delay_alu instid0(VALU_DEP_3) | instskip(NEXT) | instid1(VALU_DEP_3)
	v_fma_f64 v[34:35], v[4:5], v[10:11], v[34:35]
	v_fma_f64 v[38:39], v[2:3], v[10:11], -v[12:13]
	v_mul_f64 v[10:11], v[8:9], v[16:17]
	ds_load_b128 v[2:5], v1 offset:1504
	v_fma_f64 v[16:17], v[8:9], v[14:15], v[36:37]
	v_fma_f64 v[14:15], v[6:7], v[14:15], -v[10:11]
	ds_load_b128 v[6:9], v1 offset:1520
	s_waitcnt vmcnt(1) lgkmcnt(1)
	v_mul_f64 v[10:11], v[2:3], v[20:21]
	v_mul_f64 v[12:13], v[4:5], v[20:21]
	s_delay_alu instid0(VALU_DEP_2) | instskip(NEXT) | instid1(VALU_DEP_2)
	v_fma_f64 v[20:21], v[4:5], v[18:19], v[10:11]
	v_fma_f64 v[18:19], v[2:3], v[18:19], -v[12:13]
	s_clause 0x1
	scratch_load_b128 v[2:5], off, off offset:528
	scratch_load_b128 v[10:13], off, off offset:544
	s_waitcnt vmcnt(1) lgkmcnt(0)
	v_mul_f64 v[36:37], v[6:7], v[4:5]
	v_mul_f64 v[4:5], v[8:9], v[4:5]
	s_delay_alu instid0(VALU_DEP_2) | instskip(NEXT) | instid1(VALU_DEP_2)
	v_fma_f64 v[36:37], v[8:9], v[2:3], v[36:37]
	v_fma_f64 v[40:41], v[6:7], v[2:3], -v[4:5]
	ds_load_b128 v[2:5], v1 offset:1536
	ds_load_b128 v[6:9], v1 offset:1552
	s_waitcnt vmcnt(0) lgkmcnt(1)
	v_mul_f64 v[42:43], v[2:3], v[12:13]
	s_delay_alu instid0(VALU_DEP_1) | instskip(SKIP_1) | instid1(VALU_DEP_1)
	v_fma_f64 v[42:43], v[4:5], v[10:11], v[42:43]
	v_mul_f64 v[4:5], v[4:5], v[12:13]
	v_fma_f64 v[44:45], v[2:3], v[10:11], -v[4:5]
	s_clause 0x1
	scratch_load_b128 v[2:5], off, off offset:560
	scratch_load_b128 v[10:13], off, off offset:576
	s_waitcnt vmcnt(1) lgkmcnt(0)
	v_mul_f64 v[46:47], v[6:7], v[4:5]
	v_mul_f64 v[4:5], v[8:9], v[4:5]
	s_delay_alu instid0(VALU_DEP_2) | instskip(NEXT) | instid1(VALU_DEP_2)
	v_fma_f64 v[46:47], v[8:9], v[2:3], v[46:47]
	v_fma_f64 v[48:49], v[6:7], v[2:3], -v[4:5]
	ds_load_b128 v[2:5], v1 offset:1568
	ds_load_b128 v[6:9], v1 offset:1584
	s_waitcnt vmcnt(0) lgkmcnt(1)
	v_mul_f64 v[52:53], v[2:3], v[12:13]
	s_delay_alu instid0(VALU_DEP_1) | instskip(SKIP_1) | instid1(VALU_DEP_1)
	v_fma_f64 v[52:53], v[4:5], v[10:11], v[52:53]
	v_mul_f64 v[4:5], v[4:5], v[12:13]
	;; [unrolled: 17-line block ×13, first 2 shown]
	v_fma_f64 v[228:229], v[2:3], v[10:11], -v[4:5]
	v_add_f64 v[2:3], v[22:23], 0
	v_add_f64 v[4:5], v[24:25], 0
	s_delay_alu instid0(VALU_DEP_2) | instskip(NEXT) | instid1(VALU_DEP_2)
	v_add_f64 v[2:3], v[2:3], v[26:27]
	v_add_f64 v[4:5], v[4:5], v[28:29]
	s_delay_alu instid0(VALU_DEP_2) | instskip(NEXT) | instid1(VALU_DEP_2)
	;; [unrolled: 3-line block ×24, first 2 shown]
	v_add_f64 v[2:3], v[2:3], v[237:238]
	v_add_f64 v[10:11], v[4:5], v[226:227]
	s_delay_alu instid0(VALU_DEP_2)
	v_add_f64 v[12:13], v[2:3], v[241:242]
	scratch_load_b128 v[2:5], off, off offset:944
	v_add_f64 v[14:15], v[10:11], v[239:240]
	v_add_f64 v[16:17], v[12:13], v[245:246]
	scratch_load_b128 v[10:13], off, off offset:960
	v_add_f64 v[18:19], v[14:15], v[243:244]
	;; [unrolled: 3-line block ×3, first 2 shown]
	v_add_f64 v[20:21], v[20:21], v[253:254]
	s_delay_alu instid0(VALU_DEP_2) | instskip(NEXT) | instid1(VALU_DEP_2)
	v_add_f64 v[18:19], v[18:19], v[251:252]
	v_add_f64 v[28:29], v[20:21], v[224:225]
	s_delay_alu instid0(VALU_DEP_2)
	v_add_f64 v[34:35], v[18:19], v[185:186]
	ds_load_b128 v[18:21], v1 offset:1952
	ds_load_b128 v[22:25], v1 offset:1968
	s_waitcnt vmcnt(2) lgkmcnt(2)
	v_mul_f64 v[26:27], v[6:7], v[4:5]
	v_mul_f64 v[4:5], v[8:9], v[4:5]
	s_waitcnt vmcnt(1) lgkmcnt(1)
	v_mul_f64 v[36:37], v[18:19], v[12:13]
	s_delay_alu instid0(VALU_DEP_3) | instskip(NEXT) | instid1(VALU_DEP_3)
	v_fma_f64 v[8:9], v[8:9], v[2:3], v[26:27]
	v_fma_f64 v[1:2], v[6:7], v[2:3], -v[4:5]
	v_mul_f64 v[3:4], v[20:21], v[12:13]
	v_add_f64 v[5:6], v[28:29], v[228:229]
	v_add_f64 v[12:13], v[34:35], v[191:192]
	s_waitcnt vmcnt(0) lgkmcnt(0)
	v_mul_f64 v[26:27], v[22:23], v[16:17]
	v_mul_f64 v[16:17], v[24:25], v[16:17]
	v_fma_f64 v[20:21], v[20:21], v[10:11], v[36:37]
	v_fma_f64 v[3:4], v[18:19], v[10:11], -v[3:4]
	v_add_f64 v[1:2], v[5:6], v[1:2]
	v_add_f64 v[5:6], v[12:13], v[8:9]
	v_fma_f64 v[7:8], v[24:25], v[14:15], v[26:27]
	v_fma_f64 v[9:10], v[22:23], v[14:15], -v[16:17]
	s_delay_alu instid0(VALU_DEP_4) | instskip(NEXT) | instid1(VALU_DEP_4)
	v_add_f64 v[1:2], v[1:2], v[3:4]
	v_add_f64 v[3:4], v[5:6], v[20:21]
	s_delay_alu instid0(VALU_DEP_2) | instskip(NEXT) | instid1(VALU_DEP_2)
	v_add_f64 v[1:2], v[1:2], v[9:10]
	v_add_f64 v[3:4], v[3:4], v[7:8]
	s_delay_alu instid0(VALU_DEP_2) | instskip(NEXT) | instid1(VALU_DEP_2)
	v_add_f64 v[1:2], v[30:31], -v[1:2]
	v_add_f64 v[3:4], v[32:33], -v[3:4]
	scratch_store_b128 off, v[1:4], off offset:432
	v_cmpx_lt_u32_e32 26, v174
	s_cbranch_execz .LBB61_345
; %bb.344:
	scratch_load_b32 v1, off, off offset:1196 ; 4-byte Folded Reload
	v_mov_b32_e32 v5, 0
	s_delay_alu instid0(VALU_DEP_1)
	v_mov_b32_e32 v6, v5
	v_mov_b32_e32 v7, v5
	;; [unrolled: 1-line block ×3, first 2 shown]
	s_waitcnt vmcnt(0)
	scratch_load_b128 v[1:4], v1, off
	scratch_store_b128 off, v[5:8], off offset:416
	s_waitcnt vmcnt(0)
	ds_store_b128 v236, v[1:4]
.LBB61_345:
	s_or_b32 exec_lo, exec_lo, s2
	s_waitcnt lgkmcnt(0)
	s_waitcnt_vscnt null, 0x0
	s_barrier
	buffer_gl0_inv
	s_clause 0x4
	scratch_load_b128 v[2:5], off, off offset:432
	scratch_load_b128 v[6:9], off, off offset:448
	;; [unrolled: 1-line block ×5, first 2 shown]
	v_mov_b32_e32 v1, 0
	scratch_load_b128 v[26:29], off, off offset:416
	s_mov_b32 s2, exec_lo
	ds_load_b128 v[22:25], v1 offset:1424
	ds_load_b128 v[30:33], v1 offset:1440
	s_waitcnt vmcnt(5) lgkmcnt(1)
	v_mul_f64 v[34:35], v[24:25], v[4:5]
	v_mul_f64 v[4:5], v[22:23], v[4:5]
	s_waitcnt vmcnt(4) lgkmcnt(0)
	v_mul_f64 v[36:37], v[30:31], v[8:9]
	v_mul_f64 v[8:9], v[32:33], v[8:9]
	s_delay_alu instid0(VALU_DEP_4) | instskip(NEXT) | instid1(VALU_DEP_4)
	v_fma_f64 v[22:23], v[22:23], v[2:3], -v[34:35]
	v_fma_f64 v[24:25], v[24:25], v[2:3], v[4:5]
	ds_load_b128 v[2:5], v1 offset:1456
	v_fma_f64 v[32:33], v[32:33], v[6:7], v[36:37]
	v_fma_f64 v[30:31], v[30:31], v[6:7], -v[8:9]
	ds_load_b128 v[6:9], v1 offset:1472
	s_waitcnt vmcnt(3) lgkmcnt(1)
	v_mul_f64 v[34:35], v[2:3], v[12:13]
	v_mul_f64 v[12:13], v[4:5], v[12:13]
	s_waitcnt vmcnt(2) lgkmcnt(0)
	v_mul_f64 v[36:37], v[6:7], v[16:17]
	s_delay_alu instid0(VALU_DEP_3) | instskip(NEXT) | instid1(VALU_DEP_3)
	v_fma_f64 v[34:35], v[4:5], v[10:11], v[34:35]
	v_fma_f64 v[38:39], v[2:3], v[10:11], -v[12:13]
	v_mul_f64 v[10:11], v[8:9], v[16:17]
	ds_load_b128 v[2:5], v1 offset:1488
	v_fma_f64 v[16:17], v[8:9], v[14:15], v[36:37]
	v_fma_f64 v[14:15], v[6:7], v[14:15], -v[10:11]
	ds_load_b128 v[6:9], v1 offset:1504
	s_waitcnt vmcnt(1) lgkmcnt(1)
	v_mul_f64 v[10:11], v[2:3], v[20:21]
	v_mul_f64 v[12:13], v[4:5], v[20:21]
	s_delay_alu instid0(VALU_DEP_2) | instskip(NEXT) | instid1(VALU_DEP_2)
	v_fma_f64 v[20:21], v[4:5], v[18:19], v[10:11]
	v_fma_f64 v[18:19], v[2:3], v[18:19], -v[12:13]
	s_clause 0x1
	scratch_load_b128 v[2:5], off, off offset:512
	scratch_load_b128 v[10:13], off, off offset:528
	s_waitcnt vmcnt(1) lgkmcnt(0)
	v_mul_f64 v[36:37], v[6:7], v[4:5]
	v_mul_f64 v[4:5], v[8:9], v[4:5]
	s_delay_alu instid0(VALU_DEP_2) | instskip(NEXT) | instid1(VALU_DEP_2)
	v_fma_f64 v[36:37], v[8:9], v[2:3], v[36:37]
	v_fma_f64 v[40:41], v[6:7], v[2:3], -v[4:5]
	ds_load_b128 v[2:5], v1 offset:1520
	ds_load_b128 v[6:9], v1 offset:1536
	s_waitcnt vmcnt(0) lgkmcnt(1)
	v_mul_f64 v[42:43], v[2:3], v[12:13]
	s_delay_alu instid0(VALU_DEP_1) | instskip(SKIP_1) | instid1(VALU_DEP_1)
	v_fma_f64 v[42:43], v[4:5], v[10:11], v[42:43]
	v_mul_f64 v[4:5], v[4:5], v[12:13]
	v_fma_f64 v[44:45], v[2:3], v[10:11], -v[4:5]
	s_clause 0x1
	scratch_load_b128 v[2:5], off, off offset:544
	scratch_load_b128 v[10:13], off, off offset:560
	s_waitcnt vmcnt(1) lgkmcnt(0)
	v_mul_f64 v[46:47], v[6:7], v[4:5]
	v_mul_f64 v[4:5], v[8:9], v[4:5]
	s_delay_alu instid0(VALU_DEP_2) | instskip(NEXT) | instid1(VALU_DEP_2)
	v_fma_f64 v[46:47], v[8:9], v[2:3], v[46:47]
	v_fma_f64 v[48:49], v[6:7], v[2:3], -v[4:5]
	ds_load_b128 v[2:5], v1 offset:1552
	ds_load_b128 v[6:9], v1 offset:1568
	s_waitcnt vmcnt(0) lgkmcnt(1)
	v_mul_f64 v[52:53], v[2:3], v[12:13]
	s_delay_alu instid0(VALU_DEP_1) | instskip(SKIP_1) | instid1(VALU_DEP_1)
	v_fma_f64 v[52:53], v[4:5], v[10:11], v[52:53]
	v_mul_f64 v[4:5], v[4:5], v[12:13]
	;; [unrolled: 17-line block ×13, first 2 shown]
	v_fma_f64 v[253:254], v[2:3], v[10:11], -v[4:5]
	v_add_f64 v[2:3], v[22:23], 0
	v_add_f64 v[4:5], v[24:25], 0
	s_delay_alu instid0(VALU_DEP_2) | instskip(NEXT) | instid1(VALU_DEP_2)
	v_add_f64 v[2:3], v[2:3], v[30:31]
	v_add_f64 v[4:5], v[4:5], v[32:33]
	s_delay_alu instid0(VALU_DEP_2) | instskip(NEXT) | instid1(VALU_DEP_2)
	;; [unrolled: 3-line block ×24, first 2 shown]
	v_add_f64 v[2:3], v[2:3], v[222:223]
	v_add_f64 v[10:11], v[4:5], v[220:221]
	s_delay_alu instid0(VALU_DEP_2)
	v_add_f64 v[12:13], v[2:3], v[226:227]
	scratch_load_b128 v[2:5], off, off offset:928
	v_add_f64 v[14:15], v[10:11], v[224:225]
	v_add_f64 v[16:17], v[12:13], v[237:238]
	scratch_load_b128 v[10:13], off, off offset:944
	v_add_f64 v[18:19], v[14:15], v[228:229]
	v_add_f64 v[20:21], v[16:17], v[241:242]
	scratch_load_b128 v[14:17], off, off offset:960
	v_add_f64 v[22:23], v[18:19], v[239:240]
	v_add_f64 v[24:25], v[20:21], v[245:246]
	scratch_load_b128 v[18:21], off, off offset:976
	v_add_f64 v[22:23], v[22:23], v[243:244]
	v_add_f64 v[24:25], v[24:25], v[249:250]
	s_delay_alu instid0(VALU_DEP_2) | instskip(NEXT) | instid1(VALU_DEP_2)
	v_add_f64 v[22:23], v[22:23], v[247:248]
	v_add_f64 v[24:25], v[24:25], v[253:254]
	s_delay_alu instid0(VALU_DEP_2) | instskip(SKIP_3) | instid1(VALU_DEP_2)
	v_add_f64 v[22:23], v[22:23], v[251:252]
	s_waitcnt vmcnt(3) lgkmcnt(0)
	v_mul_f64 v[30:31], v[6:7], v[4:5]
	v_mul_f64 v[4:5], v[8:9], v[4:5]
	v_fma_f64 v[30:31], v[8:9], v[2:3], v[30:31]
	s_delay_alu instid0(VALU_DEP_2)
	v_fma_f64 v[32:33], v[6:7], v[2:3], -v[4:5]
	ds_load_b128 v[2:5], v1 offset:1936
	ds_load_b128 v[6:9], v1 offset:1952
	s_waitcnt vmcnt(2) lgkmcnt(1)
	v_mul_f64 v[34:35], v[2:3], v[12:13]
	v_mul_f64 v[12:13], v[4:5], v[12:13]
	s_waitcnt vmcnt(1) lgkmcnt(0)
	v_mul_f64 v[36:37], v[6:7], v[16:17]
	v_add_f64 v[22:23], v[22:23], v[30:31]
	s_delay_alu instid0(VALU_DEP_4) | instskip(NEXT) | instid1(VALU_DEP_4)
	v_fma_f64 v[34:35], v[4:5], v[10:11], v[34:35]
	v_fma_f64 v[10:11], v[2:3], v[10:11], -v[12:13]
	v_mul_f64 v[12:13], v[8:9], v[16:17]
	v_add_f64 v[16:17], v[24:25], v[32:33]
	ds_load_b128 v[2:5], v1 offset:1968
	v_fma_f64 v[8:9], v[8:9], v[14:15], v[36:37]
	s_waitcnt vmcnt(0) lgkmcnt(0)
	v_mul_f64 v[24:25], v[2:3], v[20:21]
	v_mul_f64 v[20:21], v[4:5], v[20:21]
	v_fma_f64 v[6:7], v[6:7], v[14:15], -v[12:13]
	v_add_f64 v[10:11], v[16:17], v[10:11]
	v_add_f64 v[12:13], v[22:23], v[34:35]
	v_fma_f64 v[4:5], v[4:5], v[18:19], v[24:25]
	v_fma_f64 v[2:3], v[2:3], v[18:19], -v[20:21]
	s_delay_alu instid0(VALU_DEP_4) | instskip(NEXT) | instid1(VALU_DEP_4)
	v_add_f64 v[6:7], v[10:11], v[6:7]
	v_add_f64 v[8:9], v[12:13], v[8:9]
	s_delay_alu instid0(VALU_DEP_2) | instskip(NEXT) | instid1(VALU_DEP_2)
	v_add_f64 v[2:3], v[6:7], v[2:3]
	v_add_f64 v[4:5], v[8:9], v[4:5]
	s_delay_alu instid0(VALU_DEP_2) | instskip(NEXT) | instid1(VALU_DEP_2)
	v_add_f64 v[2:3], v[26:27], -v[2:3]
	v_add_f64 v[4:5], v[28:29], -v[4:5]
	scratch_store_b128 off, v[2:5], off offset:416
	v_cmpx_lt_u32_e32 25, v174
	s_cbranch_execz .LBB61_347
; %bb.346:
	scratch_load_b32 v2, off, off offset:1200 ; 4-byte Folded Reload
	v_mov_b32_e32 v3, v1
	v_mov_b32_e32 v4, v1
	s_waitcnt vmcnt(0)
	scratch_load_b128 v[5:8], v2, off
	v_mov_b32_e32 v2, v1
	scratch_store_b128 off, v[1:4], off offset:400
	s_waitcnt vmcnt(0)
	ds_store_b128 v236, v[5:8]
.LBB61_347:
	s_or_b32 exec_lo, exec_lo, s2
	s_waitcnt lgkmcnt(0)
	s_waitcnt_vscnt null, 0x0
	s_barrier
	buffer_gl0_inv
	s_clause 0x4
	scratch_load_b128 v[2:5], off, off offset:416
	scratch_load_b128 v[6:9], off, off offset:432
	;; [unrolled: 1-line block ×5, first 2 shown]
	ds_load_b128 v[22:25], v1 offset:1408
	ds_load_b128 v[26:29], v1 offset:1424
	scratch_load_b128 v[30:33], off, off offset:400
	s_mov_b32 s2, exec_lo
	s_waitcnt vmcnt(5) lgkmcnt(1)
	v_mul_f64 v[34:35], v[24:25], v[4:5]
	v_mul_f64 v[4:5], v[22:23], v[4:5]
	s_waitcnt vmcnt(4) lgkmcnt(0)
	v_mul_f64 v[36:37], v[26:27], v[8:9]
	v_mul_f64 v[8:9], v[28:29], v[8:9]
	s_delay_alu instid0(VALU_DEP_4) | instskip(NEXT) | instid1(VALU_DEP_4)
	v_fma_f64 v[22:23], v[22:23], v[2:3], -v[34:35]
	v_fma_f64 v[24:25], v[24:25], v[2:3], v[4:5]
	ds_load_b128 v[2:5], v1 offset:1440
	v_fma_f64 v[28:29], v[28:29], v[6:7], v[36:37]
	v_fma_f64 v[26:27], v[26:27], v[6:7], -v[8:9]
	ds_load_b128 v[6:9], v1 offset:1456
	s_waitcnt vmcnt(3) lgkmcnt(1)
	v_mul_f64 v[34:35], v[2:3], v[12:13]
	v_mul_f64 v[12:13], v[4:5], v[12:13]
	s_waitcnt vmcnt(2) lgkmcnt(0)
	v_mul_f64 v[36:37], v[6:7], v[16:17]
	s_delay_alu instid0(VALU_DEP_3) | instskip(NEXT) | instid1(VALU_DEP_3)
	v_fma_f64 v[34:35], v[4:5], v[10:11], v[34:35]
	v_fma_f64 v[38:39], v[2:3], v[10:11], -v[12:13]
	v_mul_f64 v[10:11], v[8:9], v[16:17]
	ds_load_b128 v[2:5], v1 offset:1472
	v_fma_f64 v[16:17], v[8:9], v[14:15], v[36:37]
	v_fma_f64 v[14:15], v[6:7], v[14:15], -v[10:11]
	ds_load_b128 v[6:9], v1 offset:1488
	s_waitcnt vmcnt(1) lgkmcnt(1)
	v_mul_f64 v[10:11], v[2:3], v[20:21]
	v_mul_f64 v[12:13], v[4:5], v[20:21]
	s_delay_alu instid0(VALU_DEP_2) | instskip(NEXT) | instid1(VALU_DEP_2)
	v_fma_f64 v[20:21], v[4:5], v[18:19], v[10:11]
	v_fma_f64 v[18:19], v[2:3], v[18:19], -v[12:13]
	s_clause 0x1
	scratch_load_b128 v[2:5], off, off offset:496
	scratch_load_b128 v[10:13], off, off offset:512
	s_waitcnt vmcnt(1) lgkmcnt(0)
	v_mul_f64 v[36:37], v[6:7], v[4:5]
	v_mul_f64 v[4:5], v[8:9], v[4:5]
	s_delay_alu instid0(VALU_DEP_2) | instskip(NEXT) | instid1(VALU_DEP_2)
	v_fma_f64 v[36:37], v[8:9], v[2:3], v[36:37]
	v_fma_f64 v[40:41], v[6:7], v[2:3], -v[4:5]
	ds_load_b128 v[2:5], v1 offset:1504
	ds_load_b128 v[6:9], v1 offset:1520
	s_waitcnt vmcnt(0) lgkmcnt(1)
	v_mul_f64 v[42:43], v[2:3], v[12:13]
	s_delay_alu instid0(VALU_DEP_1) | instskip(SKIP_1) | instid1(VALU_DEP_1)
	v_fma_f64 v[42:43], v[4:5], v[10:11], v[42:43]
	v_mul_f64 v[4:5], v[4:5], v[12:13]
	v_fma_f64 v[44:45], v[2:3], v[10:11], -v[4:5]
	s_clause 0x1
	scratch_load_b128 v[2:5], off, off offset:528
	scratch_load_b128 v[10:13], off, off offset:544
	s_waitcnt vmcnt(1) lgkmcnt(0)
	v_mul_f64 v[46:47], v[6:7], v[4:5]
	v_mul_f64 v[4:5], v[8:9], v[4:5]
	s_delay_alu instid0(VALU_DEP_2) | instskip(NEXT) | instid1(VALU_DEP_2)
	v_fma_f64 v[46:47], v[8:9], v[2:3], v[46:47]
	v_fma_f64 v[48:49], v[6:7], v[2:3], -v[4:5]
	ds_load_b128 v[2:5], v1 offset:1536
	ds_load_b128 v[6:9], v1 offset:1552
	s_waitcnt vmcnt(0) lgkmcnt(1)
	v_mul_f64 v[52:53], v[2:3], v[12:13]
	s_delay_alu instid0(VALU_DEP_1) | instskip(SKIP_1) | instid1(VALU_DEP_1)
	v_fma_f64 v[52:53], v[4:5], v[10:11], v[52:53]
	v_mul_f64 v[4:5], v[4:5], v[12:13]
	;; [unrolled: 17-line block ×14, first 2 shown]
	v_fma_f64 v[72:73], v[2:3], v[10:11], -v[4:5]
	v_add_f64 v[2:3], v[22:23], 0
	v_add_f64 v[4:5], v[24:25], 0
	s_delay_alu instid0(VALU_DEP_2) | instskip(NEXT) | instid1(VALU_DEP_2)
	v_add_f64 v[2:3], v[2:3], v[26:27]
	v_add_f64 v[4:5], v[4:5], v[28:29]
	s_delay_alu instid0(VALU_DEP_2) | instskip(NEXT) | instid1(VALU_DEP_2)
	;; [unrolled: 3-line block ×26, first 2 shown]
	v_add_f64 v[2:3], v[2:3], v[237:238]
	v_add_f64 v[10:11], v[4:5], v[228:229]
	s_delay_alu instid0(VALU_DEP_2)
	v_add_f64 v[12:13], v[2:3], v[241:242]
	scratch_load_b128 v[2:5], off, off offset:944
	v_add_f64 v[14:15], v[10:11], v[239:240]
	v_add_f64 v[16:17], v[12:13], v[245:246]
	scratch_load_b128 v[10:13], off, off offset:960
	v_add_f64 v[18:19], v[14:15], v[243:244]
	;; [unrolled: 3-line block ×3, first 2 shown]
	v_add_f64 v[20:21], v[20:21], v[253:254]
	s_delay_alu instid0(VALU_DEP_2) | instskip(NEXT) | instid1(VALU_DEP_2)
	v_add_f64 v[18:19], v[18:19], v[251:252]
	v_add_f64 v[28:29], v[20:21], v[232:233]
	s_delay_alu instid0(VALU_DEP_2)
	v_add_f64 v[34:35], v[18:19], v[230:231]
	ds_load_b128 v[18:21], v1 offset:1952
	ds_load_b128 v[22:25], v1 offset:1968
	s_waitcnt vmcnt(2) lgkmcnt(2)
	v_mul_f64 v[26:27], v[6:7], v[4:5]
	v_mul_f64 v[4:5], v[8:9], v[4:5]
	s_waitcnt vmcnt(1) lgkmcnt(1)
	v_mul_f64 v[36:37], v[18:19], v[12:13]
	s_delay_alu instid0(VALU_DEP_3) | instskip(NEXT) | instid1(VALU_DEP_3)
	v_fma_f64 v[8:9], v[8:9], v[2:3], v[26:27]
	v_fma_f64 v[1:2], v[6:7], v[2:3], -v[4:5]
	v_mul_f64 v[3:4], v[20:21], v[12:13]
	v_add_f64 v[5:6], v[28:29], v[72:73]
	v_add_f64 v[12:13], v[34:35], v[234:235]
	s_waitcnt vmcnt(0) lgkmcnt(0)
	v_mul_f64 v[26:27], v[22:23], v[16:17]
	v_mul_f64 v[16:17], v[24:25], v[16:17]
	v_fma_f64 v[20:21], v[20:21], v[10:11], v[36:37]
	v_fma_f64 v[3:4], v[18:19], v[10:11], -v[3:4]
	v_add_f64 v[1:2], v[5:6], v[1:2]
	v_add_f64 v[5:6], v[12:13], v[8:9]
	v_fma_f64 v[7:8], v[24:25], v[14:15], v[26:27]
	v_fma_f64 v[9:10], v[22:23], v[14:15], -v[16:17]
	s_delay_alu instid0(VALU_DEP_4) | instskip(NEXT) | instid1(VALU_DEP_4)
	v_add_f64 v[1:2], v[1:2], v[3:4]
	v_add_f64 v[3:4], v[5:6], v[20:21]
	s_delay_alu instid0(VALU_DEP_2) | instskip(NEXT) | instid1(VALU_DEP_2)
	v_add_f64 v[1:2], v[1:2], v[9:10]
	v_add_f64 v[3:4], v[3:4], v[7:8]
	s_delay_alu instid0(VALU_DEP_2) | instskip(NEXT) | instid1(VALU_DEP_2)
	v_add_f64 v[1:2], v[30:31], -v[1:2]
	v_add_f64 v[3:4], v[32:33], -v[3:4]
	scratch_store_b128 off, v[1:4], off offset:400
	v_cmpx_lt_u32_e32 24, v174
	s_cbranch_execz .LBB61_349
; %bb.348:
	scratch_load_b128 v[1:4], v219, off
	v_mov_b32_e32 v5, 0
	s_delay_alu instid0(VALU_DEP_1)
	v_mov_b32_e32 v6, v5
	v_mov_b32_e32 v7, v5
	;; [unrolled: 1-line block ×3, first 2 shown]
	scratch_store_b128 off, v[5:8], off offset:384
	s_waitcnt vmcnt(0)
	ds_store_b128 v236, v[1:4]
.LBB61_349:
	s_or_b32 exec_lo, exec_lo, s2
	s_waitcnt lgkmcnt(0)
	s_waitcnt_vscnt null, 0x0
	s_barrier
	buffer_gl0_inv
	s_clause 0x4
	scratch_load_b128 v[2:5], off, off offset:400
	scratch_load_b128 v[6:9], off, off offset:416
	;; [unrolled: 1-line block ×5, first 2 shown]
	v_mov_b32_e32 v1, 0
	scratch_load_b128 v[26:29], off, off offset:384
	s_mov_b32 s2, exec_lo
	ds_load_b128 v[22:25], v1 offset:1392
	ds_load_b128 v[30:33], v1 offset:1408
	s_waitcnt vmcnt(5) lgkmcnt(1)
	v_mul_f64 v[34:35], v[24:25], v[4:5]
	v_mul_f64 v[4:5], v[22:23], v[4:5]
	s_waitcnt vmcnt(4) lgkmcnt(0)
	v_mul_f64 v[36:37], v[30:31], v[8:9]
	v_mul_f64 v[8:9], v[32:33], v[8:9]
	s_delay_alu instid0(VALU_DEP_4) | instskip(NEXT) | instid1(VALU_DEP_4)
	v_fma_f64 v[22:23], v[22:23], v[2:3], -v[34:35]
	v_fma_f64 v[24:25], v[24:25], v[2:3], v[4:5]
	ds_load_b128 v[2:5], v1 offset:1424
	v_fma_f64 v[32:33], v[32:33], v[6:7], v[36:37]
	v_fma_f64 v[30:31], v[30:31], v[6:7], -v[8:9]
	ds_load_b128 v[6:9], v1 offset:1440
	s_waitcnt vmcnt(3) lgkmcnt(1)
	v_mul_f64 v[34:35], v[2:3], v[12:13]
	v_mul_f64 v[12:13], v[4:5], v[12:13]
	s_waitcnt vmcnt(2) lgkmcnt(0)
	v_mul_f64 v[36:37], v[6:7], v[16:17]
	s_delay_alu instid0(VALU_DEP_3) | instskip(NEXT) | instid1(VALU_DEP_3)
	v_fma_f64 v[34:35], v[4:5], v[10:11], v[34:35]
	v_fma_f64 v[38:39], v[2:3], v[10:11], -v[12:13]
	v_mul_f64 v[10:11], v[8:9], v[16:17]
	ds_load_b128 v[2:5], v1 offset:1456
	v_fma_f64 v[16:17], v[8:9], v[14:15], v[36:37]
	v_fma_f64 v[14:15], v[6:7], v[14:15], -v[10:11]
	ds_load_b128 v[6:9], v1 offset:1472
	s_waitcnt vmcnt(1) lgkmcnt(1)
	v_mul_f64 v[10:11], v[2:3], v[20:21]
	v_mul_f64 v[12:13], v[4:5], v[20:21]
	s_delay_alu instid0(VALU_DEP_2) | instskip(NEXT) | instid1(VALU_DEP_2)
	v_fma_f64 v[20:21], v[4:5], v[18:19], v[10:11]
	v_fma_f64 v[18:19], v[2:3], v[18:19], -v[12:13]
	s_clause 0x1
	scratch_load_b128 v[2:5], off, off offset:480
	scratch_load_b128 v[10:13], off, off offset:496
	s_waitcnt vmcnt(1) lgkmcnt(0)
	v_mul_f64 v[36:37], v[6:7], v[4:5]
	v_mul_f64 v[4:5], v[8:9], v[4:5]
	s_delay_alu instid0(VALU_DEP_2) | instskip(NEXT) | instid1(VALU_DEP_2)
	v_fma_f64 v[36:37], v[8:9], v[2:3], v[36:37]
	v_fma_f64 v[40:41], v[6:7], v[2:3], -v[4:5]
	ds_load_b128 v[2:5], v1 offset:1488
	ds_load_b128 v[6:9], v1 offset:1504
	s_waitcnt vmcnt(0) lgkmcnt(1)
	v_mul_f64 v[42:43], v[2:3], v[12:13]
	s_delay_alu instid0(VALU_DEP_1) | instskip(SKIP_1) | instid1(VALU_DEP_1)
	v_fma_f64 v[42:43], v[4:5], v[10:11], v[42:43]
	v_mul_f64 v[4:5], v[4:5], v[12:13]
	v_fma_f64 v[44:45], v[2:3], v[10:11], -v[4:5]
	s_clause 0x1
	scratch_load_b128 v[2:5], off, off offset:512
	scratch_load_b128 v[10:13], off, off offset:528
	s_waitcnt vmcnt(1) lgkmcnt(0)
	v_mul_f64 v[46:47], v[6:7], v[4:5]
	v_mul_f64 v[4:5], v[8:9], v[4:5]
	s_delay_alu instid0(VALU_DEP_2) | instskip(NEXT) | instid1(VALU_DEP_2)
	v_fma_f64 v[46:47], v[8:9], v[2:3], v[46:47]
	v_fma_f64 v[48:49], v[6:7], v[2:3], -v[4:5]
	ds_load_b128 v[2:5], v1 offset:1520
	ds_load_b128 v[6:9], v1 offset:1536
	s_waitcnt vmcnt(0) lgkmcnt(1)
	v_mul_f64 v[52:53], v[2:3], v[12:13]
	s_delay_alu instid0(VALU_DEP_1) | instskip(SKIP_1) | instid1(VALU_DEP_1)
	v_fma_f64 v[52:53], v[4:5], v[10:11], v[52:53]
	v_mul_f64 v[4:5], v[4:5], v[12:13]
	;; [unrolled: 17-line block ×14, first 2 shown]
	v_fma_f64 v[253:254], v[2:3], v[10:11], -v[4:5]
	v_add_f64 v[2:3], v[22:23], 0
	v_add_f64 v[4:5], v[24:25], 0
	s_delay_alu instid0(VALU_DEP_2) | instskip(NEXT) | instid1(VALU_DEP_2)
	v_add_f64 v[2:3], v[2:3], v[30:31]
	v_add_f64 v[4:5], v[4:5], v[32:33]
	s_delay_alu instid0(VALU_DEP_2) | instskip(NEXT) | instid1(VALU_DEP_2)
	;; [unrolled: 3-line block ×26, first 2 shown]
	v_add_f64 v[2:3], v[2:3], v[228:229]
	v_add_f64 v[10:11], v[4:5], v[226:227]
	s_delay_alu instid0(VALU_DEP_2)
	v_add_f64 v[12:13], v[2:3], v[232:233]
	scratch_load_b128 v[2:5], off, off offset:928
	v_add_f64 v[14:15], v[10:11], v[230:231]
	v_add_f64 v[16:17], v[12:13], v[237:238]
	scratch_load_b128 v[10:13], off, off offset:944
	v_add_f64 v[18:19], v[14:15], v[234:235]
	;; [unrolled: 3-line block ×4, first 2 shown]
	v_add_f64 v[24:25], v[24:25], v[249:250]
	s_delay_alu instid0(VALU_DEP_2) | instskip(NEXT) | instid1(VALU_DEP_2)
	v_add_f64 v[22:23], v[22:23], v[247:248]
	v_add_f64 v[24:25], v[24:25], v[253:254]
	s_delay_alu instid0(VALU_DEP_2) | instskip(SKIP_3) | instid1(VALU_DEP_2)
	v_add_f64 v[22:23], v[22:23], v[251:252]
	s_waitcnt vmcnt(3) lgkmcnt(0)
	v_mul_f64 v[30:31], v[6:7], v[4:5]
	v_mul_f64 v[4:5], v[8:9], v[4:5]
	v_fma_f64 v[30:31], v[8:9], v[2:3], v[30:31]
	s_delay_alu instid0(VALU_DEP_2)
	v_fma_f64 v[32:33], v[6:7], v[2:3], -v[4:5]
	ds_load_b128 v[2:5], v1 offset:1936
	ds_load_b128 v[6:9], v1 offset:1952
	s_waitcnt vmcnt(2) lgkmcnt(1)
	v_mul_f64 v[34:35], v[2:3], v[12:13]
	v_mul_f64 v[12:13], v[4:5], v[12:13]
	s_waitcnt vmcnt(1) lgkmcnt(0)
	v_mul_f64 v[36:37], v[6:7], v[16:17]
	v_add_f64 v[22:23], v[22:23], v[30:31]
	s_delay_alu instid0(VALU_DEP_4) | instskip(NEXT) | instid1(VALU_DEP_4)
	v_fma_f64 v[34:35], v[4:5], v[10:11], v[34:35]
	v_fma_f64 v[10:11], v[2:3], v[10:11], -v[12:13]
	v_mul_f64 v[12:13], v[8:9], v[16:17]
	v_add_f64 v[16:17], v[24:25], v[32:33]
	ds_load_b128 v[2:5], v1 offset:1968
	v_fma_f64 v[8:9], v[8:9], v[14:15], v[36:37]
	s_waitcnt vmcnt(0) lgkmcnt(0)
	v_mul_f64 v[24:25], v[2:3], v[20:21]
	v_mul_f64 v[20:21], v[4:5], v[20:21]
	v_fma_f64 v[6:7], v[6:7], v[14:15], -v[12:13]
	v_add_f64 v[10:11], v[16:17], v[10:11]
	v_add_f64 v[12:13], v[22:23], v[34:35]
	v_fma_f64 v[4:5], v[4:5], v[18:19], v[24:25]
	v_fma_f64 v[2:3], v[2:3], v[18:19], -v[20:21]
	s_delay_alu instid0(VALU_DEP_4) | instskip(NEXT) | instid1(VALU_DEP_4)
	v_add_f64 v[6:7], v[10:11], v[6:7]
	v_add_f64 v[8:9], v[12:13], v[8:9]
	s_delay_alu instid0(VALU_DEP_2) | instskip(NEXT) | instid1(VALU_DEP_2)
	v_add_f64 v[2:3], v[6:7], v[2:3]
	v_add_f64 v[4:5], v[8:9], v[4:5]
	s_delay_alu instid0(VALU_DEP_2) | instskip(NEXT) | instid1(VALU_DEP_2)
	v_add_f64 v[2:3], v[26:27], -v[2:3]
	v_add_f64 v[4:5], v[28:29], -v[4:5]
	scratch_store_b128 off, v[2:5], off offset:384
	v_cmpx_lt_u32_e32 23, v174
	s_cbranch_execz .LBB61_351
; %bb.350:
	scratch_load_b128 v[5:8], v214, off
	v_mov_b32_e32 v2, v1
	v_mov_b32_e32 v3, v1
	;; [unrolled: 1-line block ×3, first 2 shown]
	scratch_store_b128 off, v[1:4], off offset:368
	s_waitcnt vmcnt(0)
	ds_store_b128 v236, v[5:8]
.LBB61_351:
	s_or_b32 exec_lo, exec_lo, s2
	s_waitcnt lgkmcnt(0)
	s_waitcnt_vscnt null, 0x0
	s_barrier
	buffer_gl0_inv
	s_clause 0x4
	scratch_load_b128 v[2:5], off, off offset:384
	scratch_load_b128 v[6:9], off, off offset:400
	scratch_load_b128 v[10:13], off, off offset:416
	scratch_load_b128 v[14:17], off, off offset:432
	scratch_load_b128 v[18:21], off, off offset:448
	ds_load_b128 v[22:25], v1 offset:1376
	ds_load_b128 v[26:29], v1 offset:1392
	scratch_load_b128 v[30:33], off, off offset:368
	s_mov_b32 s2, exec_lo
	s_waitcnt vmcnt(5) lgkmcnt(1)
	v_mul_f64 v[34:35], v[24:25], v[4:5]
	v_mul_f64 v[4:5], v[22:23], v[4:5]
	s_waitcnt vmcnt(4) lgkmcnt(0)
	v_mul_f64 v[36:37], v[26:27], v[8:9]
	v_mul_f64 v[8:9], v[28:29], v[8:9]
	s_delay_alu instid0(VALU_DEP_4) | instskip(NEXT) | instid1(VALU_DEP_4)
	v_fma_f64 v[22:23], v[22:23], v[2:3], -v[34:35]
	v_fma_f64 v[24:25], v[24:25], v[2:3], v[4:5]
	ds_load_b128 v[2:5], v1 offset:1408
	v_fma_f64 v[28:29], v[28:29], v[6:7], v[36:37]
	v_fma_f64 v[26:27], v[26:27], v[6:7], -v[8:9]
	ds_load_b128 v[6:9], v1 offset:1424
	s_waitcnt vmcnt(3) lgkmcnt(1)
	v_mul_f64 v[34:35], v[2:3], v[12:13]
	v_mul_f64 v[12:13], v[4:5], v[12:13]
	s_waitcnt vmcnt(2) lgkmcnt(0)
	v_mul_f64 v[36:37], v[6:7], v[16:17]
	s_delay_alu instid0(VALU_DEP_3) | instskip(NEXT) | instid1(VALU_DEP_3)
	v_fma_f64 v[34:35], v[4:5], v[10:11], v[34:35]
	v_fma_f64 v[38:39], v[2:3], v[10:11], -v[12:13]
	v_mul_f64 v[10:11], v[8:9], v[16:17]
	ds_load_b128 v[2:5], v1 offset:1440
	v_fma_f64 v[16:17], v[8:9], v[14:15], v[36:37]
	v_fma_f64 v[14:15], v[6:7], v[14:15], -v[10:11]
	ds_load_b128 v[6:9], v1 offset:1456
	s_waitcnt vmcnt(1) lgkmcnt(1)
	v_mul_f64 v[10:11], v[2:3], v[20:21]
	v_mul_f64 v[12:13], v[4:5], v[20:21]
	s_delay_alu instid0(VALU_DEP_2) | instskip(NEXT) | instid1(VALU_DEP_2)
	v_fma_f64 v[20:21], v[4:5], v[18:19], v[10:11]
	v_fma_f64 v[18:19], v[2:3], v[18:19], -v[12:13]
	s_clause 0x1
	scratch_load_b128 v[2:5], off, off offset:464
	scratch_load_b128 v[10:13], off, off offset:480
	s_waitcnt vmcnt(1) lgkmcnt(0)
	v_mul_f64 v[36:37], v[6:7], v[4:5]
	v_mul_f64 v[4:5], v[8:9], v[4:5]
	s_delay_alu instid0(VALU_DEP_2) | instskip(NEXT) | instid1(VALU_DEP_2)
	v_fma_f64 v[36:37], v[8:9], v[2:3], v[36:37]
	v_fma_f64 v[40:41], v[6:7], v[2:3], -v[4:5]
	ds_load_b128 v[2:5], v1 offset:1472
	ds_load_b128 v[6:9], v1 offset:1488
	s_waitcnt vmcnt(0) lgkmcnt(1)
	v_mul_f64 v[42:43], v[2:3], v[12:13]
	s_delay_alu instid0(VALU_DEP_1) | instskip(SKIP_1) | instid1(VALU_DEP_1)
	v_fma_f64 v[42:43], v[4:5], v[10:11], v[42:43]
	v_mul_f64 v[4:5], v[4:5], v[12:13]
	v_fma_f64 v[44:45], v[2:3], v[10:11], -v[4:5]
	s_clause 0x1
	scratch_load_b128 v[2:5], off, off offset:496
	scratch_load_b128 v[10:13], off, off offset:512
	s_waitcnt vmcnt(1) lgkmcnt(0)
	v_mul_f64 v[46:47], v[6:7], v[4:5]
	v_mul_f64 v[4:5], v[8:9], v[4:5]
	s_delay_alu instid0(VALU_DEP_2) | instskip(NEXT) | instid1(VALU_DEP_2)
	v_fma_f64 v[46:47], v[8:9], v[2:3], v[46:47]
	v_fma_f64 v[48:49], v[6:7], v[2:3], -v[4:5]
	ds_load_b128 v[2:5], v1 offset:1504
	ds_load_b128 v[6:9], v1 offset:1520
	s_waitcnt vmcnt(0) lgkmcnt(1)
	v_mul_f64 v[52:53], v[2:3], v[12:13]
	s_delay_alu instid0(VALU_DEP_1) | instskip(SKIP_1) | instid1(VALU_DEP_1)
	v_fma_f64 v[52:53], v[4:5], v[10:11], v[52:53]
	v_mul_f64 v[4:5], v[4:5], v[12:13]
	;; [unrolled: 17-line block ×15, first 2 shown]
	v_fma_f64 v[80:81], v[2:3], v[10:11], -v[4:5]
	v_add_f64 v[2:3], v[22:23], 0
	v_add_f64 v[4:5], v[24:25], 0
	s_delay_alu instid0(VALU_DEP_2) | instskip(NEXT) | instid1(VALU_DEP_2)
	v_add_f64 v[2:3], v[2:3], v[26:27]
	v_add_f64 v[4:5], v[4:5], v[28:29]
	s_delay_alu instid0(VALU_DEP_2) | instskip(NEXT) | instid1(VALU_DEP_2)
	;; [unrolled: 3-line block ×28, first 2 shown]
	v_add_f64 v[2:3], v[2:3], v[237:238]
	v_add_f64 v[10:11], v[4:5], v[234:235]
	s_delay_alu instid0(VALU_DEP_2)
	v_add_f64 v[12:13], v[2:3], v[241:242]
	scratch_load_b128 v[2:5], off, off offset:944
	v_add_f64 v[14:15], v[10:11], v[239:240]
	v_add_f64 v[16:17], v[12:13], v[245:246]
	scratch_load_b128 v[10:13], off, off offset:960
	v_add_f64 v[18:19], v[14:15], v[243:244]
	;; [unrolled: 3-line block ×3, first 2 shown]
	v_add_f64 v[20:21], v[20:21], v[253:254]
	s_delay_alu instid0(VALU_DEP_2) | instskip(NEXT) | instid1(VALU_DEP_2)
	v_add_f64 v[18:19], v[18:19], v[251:252]
	v_add_f64 v[28:29], v[20:21], v[76:77]
	s_delay_alu instid0(VALU_DEP_2)
	v_add_f64 v[34:35], v[18:19], v[74:75]
	ds_load_b128 v[18:21], v1 offset:1952
	ds_load_b128 v[22:25], v1 offset:1968
	s_waitcnt vmcnt(2) lgkmcnt(2)
	v_mul_f64 v[26:27], v[6:7], v[4:5]
	v_mul_f64 v[4:5], v[8:9], v[4:5]
	s_waitcnt vmcnt(1) lgkmcnt(1)
	v_mul_f64 v[36:37], v[18:19], v[12:13]
	s_delay_alu instid0(VALU_DEP_3) | instskip(NEXT) | instid1(VALU_DEP_3)
	v_fma_f64 v[8:9], v[8:9], v[2:3], v[26:27]
	v_fma_f64 v[1:2], v[6:7], v[2:3], -v[4:5]
	v_mul_f64 v[3:4], v[20:21], v[12:13]
	v_add_f64 v[5:6], v[28:29], v[80:81]
	v_add_f64 v[12:13], v[34:35], v[78:79]
	s_waitcnt vmcnt(0) lgkmcnt(0)
	v_mul_f64 v[26:27], v[22:23], v[16:17]
	v_mul_f64 v[16:17], v[24:25], v[16:17]
	v_fma_f64 v[20:21], v[20:21], v[10:11], v[36:37]
	v_fma_f64 v[3:4], v[18:19], v[10:11], -v[3:4]
	v_add_f64 v[1:2], v[5:6], v[1:2]
	v_add_f64 v[5:6], v[12:13], v[8:9]
	v_fma_f64 v[7:8], v[24:25], v[14:15], v[26:27]
	v_fma_f64 v[9:10], v[22:23], v[14:15], -v[16:17]
	s_delay_alu instid0(VALU_DEP_4) | instskip(NEXT) | instid1(VALU_DEP_4)
	v_add_f64 v[1:2], v[1:2], v[3:4]
	v_add_f64 v[3:4], v[5:6], v[20:21]
	s_delay_alu instid0(VALU_DEP_2) | instskip(NEXT) | instid1(VALU_DEP_2)
	v_add_f64 v[1:2], v[1:2], v[9:10]
	v_add_f64 v[3:4], v[3:4], v[7:8]
	s_delay_alu instid0(VALU_DEP_2) | instskip(NEXT) | instid1(VALU_DEP_2)
	v_add_f64 v[1:2], v[30:31], -v[1:2]
	v_add_f64 v[3:4], v[32:33], -v[3:4]
	scratch_store_b128 off, v[1:4], off offset:368
	v_cmpx_lt_u32_e32 22, v174
	s_cbranch_execz .LBB61_353
; %bb.352:
	scratch_load_b128 v[1:4], v193, off
	v_mov_b32_e32 v5, 0
	s_delay_alu instid0(VALU_DEP_1)
	v_mov_b32_e32 v6, v5
	v_mov_b32_e32 v7, v5
	;; [unrolled: 1-line block ×3, first 2 shown]
	scratch_store_b128 off, v[5:8], off offset:352
	s_waitcnt vmcnt(0)
	ds_store_b128 v236, v[1:4]
.LBB61_353:
	s_or_b32 exec_lo, exec_lo, s2
	s_waitcnt lgkmcnt(0)
	s_waitcnt_vscnt null, 0x0
	s_barrier
	buffer_gl0_inv
	s_clause 0x4
	scratch_load_b128 v[2:5], off, off offset:368
	scratch_load_b128 v[6:9], off, off offset:384
	;; [unrolled: 1-line block ×5, first 2 shown]
	v_mov_b32_e32 v1, 0
	scratch_load_b128 v[26:29], off, off offset:352
	s_mov_b32 s2, exec_lo
	ds_load_b128 v[22:25], v1 offset:1360
	ds_load_b128 v[30:33], v1 offset:1376
	s_waitcnt vmcnt(5) lgkmcnt(1)
	v_mul_f64 v[34:35], v[24:25], v[4:5]
	v_mul_f64 v[4:5], v[22:23], v[4:5]
	s_waitcnt vmcnt(4) lgkmcnt(0)
	v_mul_f64 v[36:37], v[30:31], v[8:9]
	v_mul_f64 v[8:9], v[32:33], v[8:9]
	s_delay_alu instid0(VALU_DEP_4) | instskip(NEXT) | instid1(VALU_DEP_4)
	v_fma_f64 v[22:23], v[22:23], v[2:3], -v[34:35]
	v_fma_f64 v[24:25], v[24:25], v[2:3], v[4:5]
	ds_load_b128 v[2:5], v1 offset:1392
	v_fma_f64 v[32:33], v[32:33], v[6:7], v[36:37]
	v_fma_f64 v[30:31], v[30:31], v[6:7], -v[8:9]
	ds_load_b128 v[6:9], v1 offset:1408
	s_waitcnt vmcnt(3) lgkmcnt(1)
	v_mul_f64 v[34:35], v[2:3], v[12:13]
	v_mul_f64 v[12:13], v[4:5], v[12:13]
	s_waitcnt vmcnt(2) lgkmcnt(0)
	v_mul_f64 v[36:37], v[6:7], v[16:17]
	s_delay_alu instid0(VALU_DEP_3) | instskip(NEXT) | instid1(VALU_DEP_3)
	v_fma_f64 v[34:35], v[4:5], v[10:11], v[34:35]
	v_fma_f64 v[38:39], v[2:3], v[10:11], -v[12:13]
	v_mul_f64 v[10:11], v[8:9], v[16:17]
	ds_load_b128 v[2:5], v1 offset:1424
	v_fma_f64 v[16:17], v[8:9], v[14:15], v[36:37]
	v_fma_f64 v[14:15], v[6:7], v[14:15], -v[10:11]
	ds_load_b128 v[6:9], v1 offset:1440
	s_waitcnt vmcnt(1) lgkmcnt(1)
	v_mul_f64 v[10:11], v[2:3], v[20:21]
	v_mul_f64 v[12:13], v[4:5], v[20:21]
	s_delay_alu instid0(VALU_DEP_2) | instskip(NEXT) | instid1(VALU_DEP_2)
	v_fma_f64 v[20:21], v[4:5], v[18:19], v[10:11]
	v_fma_f64 v[18:19], v[2:3], v[18:19], -v[12:13]
	s_clause 0x1
	scratch_load_b128 v[2:5], off, off offset:448
	scratch_load_b128 v[10:13], off, off offset:464
	s_waitcnt vmcnt(1) lgkmcnt(0)
	v_mul_f64 v[36:37], v[6:7], v[4:5]
	v_mul_f64 v[4:5], v[8:9], v[4:5]
	s_delay_alu instid0(VALU_DEP_2) | instskip(NEXT) | instid1(VALU_DEP_2)
	v_fma_f64 v[36:37], v[8:9], v[2:3], v[36:37]
	v_fma_f64 v[40:41], v[6:7], v[2:3], -v[4:5]
	ds_load_b128 v[2:5], v1 offset:1456
	ds_load_b128 v[6:9], v1 offset:1472
	s_waitcnt vmcnt(0) lgkmcnt(1)
	v_mul_f64 v[42:43], v[2:3], v[12:13]
	s_delay_alu instid0(VALU_DEP_1) | instskip(SKIP_1) | instid1(VALU_DEP_1)
	v_fma_f64 v[42:43], v[4:5], v[10:11], v[42:43]
	v_mul_f64 v[4:5], v[4:5], v[12:13]
	v_fma_f64 v[44:45], v[2:3], v[10:11], -v[4:5]
	s_clause 0x1
	scratch_load_b128 v[2:5], off, off offset:480
	scratch_load_b128 v[10:13], off, off offset:496
	s_waitcnt vmcnt(1) lgkmcnt(0)
	v_mul_f64 v[46:47], v[6:7], v[4:5]
	v_mul_f64 v[4:5], v[8:9], v[4:5]
	s_delay_alu instid0(VALU_DEP_2) | instskip(NEXT) | instid1(VALU_DEP_2)
	v_fma_f64 v[46:47], v[8:9], v[2:3], v[46:47]
	v_fma_f64 v[48:49], v[6:7], v[2:3], -v[4:5]
	ds_load_b128 v[2:5], v1 offset:1488
	ds_load_b128 v[6:9], v1 offset:1504
	s_waitcnt vmcnt(0) lgkmcnt(1)
	v_mul_f64 v[52:53], v[2:3], v[12:13]
	s_delay_alu instid0(VALU_DEP_1) | instskip(SKIP_1) | instid1(VALU_DEP_1)
	v_fma_f64 v[52:53], v[4:5], v[10:11], v[52:53]
	v_mul_f64 v[4:5], v[4:5], v[12:13]
	v_fma_f64 v[54:55], v[2:3], v[10:11], -v[4:5]
	s_clause 0x1
	scratch_load_b128 v[2:5], off, off offset:512
	scratch_load_b128 v[10:13], off, off offset:528
	s_waitcnt vmcnt(1) lgkmcnt(0)
	v_mul_f64 v[56:57], v[6:7], v[4:5]
	v_mul_f64 v[4:5], v[8:9], v[4:5]
	s_delay_alu instid0(VALU_DEP_2) | instskip(NEXT) | instid1(VALU_DEP_2)
	v_fma_f64 v[56:57], v[8:9], v[2:3], v[56:57]
	v_fma_f64 v[58:59], v[6:7], v[2:3], -v[4:5]
	ds_load_b128 v[2:5], v1 offset:1520
	ds_load_b128 v[6:9], v1 offset:1536
	s_waitcnt vmcnt(0) lgkmcnt(1)
	v_mul_f64 v[60:61], v[2:3], v[12:13]
	s_delay_alu instid0(VALU_DEP_1) | instskip(SKIP_1) | instid1(VALU_DEP_1)
	v_fma_f64 v[60:61], v[4:5], v[10:11], v[60:61]
	v_mul_f64 v[4:5], v[4:5], v[12:13]
	v_fma_f64 v[62:63], v[2:3], v[10:11], -v[4:5]
	s_clause 0x1
	scratch_load_b128 v[2:5], off, off offset:544
	scratch_load_b128 v[10:13], off, off offset:560
	s_waitcnt vmcnt(1) lgkmcnt(0)
	v_mul_f64 v[64:65], v[6:7], v[4:5]
	v_mul_f64 v[4:5], v[8:9], v[4:5]
	s_delay_alu instid0(VALU_DEP_2) | instskip(NEXT) | instid1(VALU_DEP_2)
	v_fma_f64 v[64:65], v[8:9], v[2:3], v[64:65]
	v_fma_f64 v[66:67], v[6:7], v[2:3], -v[4:5]
	ds_load_b128 v[2:5], v1 offset:1552
	ds_load_b128 v[6:9], v1 offset:1568
	s_waitcnt vmcnt(0) lgkmcnt(1)
	v_mul_f64 v[68:69], v[2:3], v[12:13]
	s_delay_alu instid0(VALU_DEP_1) | instskip(SKIP_1) | instid1(VALU_DEP_1)
	v_fma_f64 v[68:69], v[4:5], v[10:11], v[68:69]
	v_mul_f64 v[4:5], v[4:5], v[12:13]
	v_fma_f64 v[70:71], v[2:3], v[10:11], -v[4:5]
	s_clause 0x1
	scratch_load_b128 v[2:5], off, off offset:576
	scratch_load_b128 v[10:13], off, off offset:592
	s_waitcnt vmcnt(1) lgkmcnt(0)
	v_mul_f64 v[72:73], v[6:7], v[4:5]
	v_mul_f64 v[4:5], v[8:9], v[4:5]
	s_delay_alu instid0(VALU_DEP_2) | instskip(NEXT) | instid1(VALU_DEP_2)
	v_fma_f64 v[72:73], v[8:9], v[2:3], v[72:73]
	v_fma_f64 v[74:75], v[6:7], v[2:3], -v[4:5]
	ds_load_b128 v[2:5], v1 offset:1584
	ds_load_b128 v[6:9], v1 offset:1600
	s_waitcnt vmcnt(0) lgkmcnt(1)
	v_mul_f64 v[76:77], v[2:3], v[12:13]
	s_delay_alu instid0(VALU_DEP_1) | instskip(SKIP_1) | instid1(VALU_DEP_1)
	v_fma_f64 v[76:77], v[4:5], v[10:11], v[76:77]
	v_mul_f64 v[4:5], v[4:5], v[12:13]
	v_fma_f64 v[78:79], v[2:3], v[10:11], -v[4:5]
	s_clause 0x1
	scratch_load_b128 v[2:5], off, off offset:608
	scratch_load_b128 v[10:13], off, off offset:624
	s_waitcnt vmcnt(1) lgkmcnt(0)
	v_mul_f64 v[80:81], v[6:7], v[4:5]
	v_mul_f64 v[4:5], v[8:9], v[4:5]
	s_delay_alu instid0(VALU_DEP_2) | instskip(NEXT) | instid1(VALU_DEP_2)
	v_fma_f64 v[80:81], v[8:9], v[2:3], v[80:81]
	v_fma_f64 v[90:91], v[6:7], v[2:3], -v[4:5]
	ds_load_b128 v[2:5], v1 offset:1616
	ds_load_b128 v[6:9], v1 offset:1632
	s_waitcnt vmcnt(0) lgkmcnt(1)
	v_mul_f64 v[175:176], v[2:3], v[12:13]
	s_delay_alu instid0(VALU_DEP_1) | instskip(SKIP_1) | instid1(VALU_DEP_1)
	v_fma_f64 v[175:176], v[4:5], v[10:11], v[175:176]
	v_mul_f64 v[4:5], v[4:5], v[12:13]
	v_fma_f64 v[177:178], v[2:3], v[10:11], -v[4:5]
	s_clause 0x1
	scratch_load_b128 v[2:5], off, off offset:640
	scratch_load_b128 v[10:13], off, off offset:656
	s_waitcnt vmcnt(1) lgkmcnt(0)
	v_mul_f64 v[179:180], v[6:7], v[4:5]
	v_mul_f64 v[4:5], v[8:9], v[4:5]
	s_delay_alu instid0(VALU_DEP_2) | instskip(NEXT) | instid1(VALU_DEP_2)
	v_fma_f64 v[179:180], v[8:9], v[2:3], v[179:180]
	v_fma_f64 v[181:182], v[6:7], v[2:3], -v[4:5]
	ds_load_b128 v[2:5], v1 offset:1648
	ds_load_b128 v[6:9], v1 offset:1664
	s_waitcnt vmcnt(0) lgkmcnt(1)
	v_mul_f64 v[183:184], v[2:3], v[12:13]
	s_delay_alu instid0(VALU_DEP_1) | instskip(SKIP_1) | instid1(VALU_DEP_1)
	v_fma_f64 v[183:184], v[4:5], v[10:11], v[183:184]
	v_mul_f64 v[4:5], v[4:5], v[12:13]
	v_fma_f64 v[185:186], v[2:3], v[10:11], -v[4:5]
	s_clause 0x1
	scratch_load_b128 v[2:5], off, off offset:672
	scratch_load_b128 v[10:13], off, off offset:688
	s_waitcnt vmcnt(1) lgkmcnt(0)
	v_mul_f64 v[187:188], v[6:7], v[4:5]
	v_mul_f64 v[4:5], v[8:9], v[4:5]
	s_delay_alu instid0(VALU_DEP_2) | instskip(NEXT) | instid1(VALU_DEP_2)
	v_fma_f64 v[187:188], v[8:9], v[2:3], v[187:188]
	v_fma_f64 v[189:190], v[6:7], v[2:3], -v[4:5]
	ds_load_b128 v[2:5], v1 offset:1680
	ds_load_b128 v[6:9], v1 offset:1696
	s_waitcnt vmcnt(0) lgkmcnt(1)
	v_mul_f64 v[191:192], v[2:3], v[12:13]
	s_delay_alu instid0(VALU_DEP_1) | instskip(SKIP_1) | instid1(VALU_DEP_1)
	v_fma_f64 v[191:192], v[4:5], v[10:11], v[191:192]
	v_mul_f64 v[4:5], v[4:5], v[12:13]
	v_fma_f64 v[194:195], v[2:3], v[10:11], -v[4:5]
	s_clause 0x1
	scratch_load_b128 v[2:5], off, off offset:704
	scratch_load_b128 v[10:13], off, off offset:720
	s_waitcnt vmcnt(1) lgkmcnt(0)
	v_mul_f64 v[196:197], v[6:7], v[4:5]
	v_mul_f64 v[4:5], v[8:9], v[4:5]
	s_delay_alu instid0(VALU_DEP_2) | instskip(NEXT) | instid1(VALU_DEP_2)
	v_fma_f64 v[196:197], v[8:9], v[2:3], v[196:197]
	v_fma_f64 v[198:199], v[6:7], v[2:3], -v[4:5]
	ds_load_b128 v[2:5], v1 offset:1712
	ds_load_b128 v[6:9], v1 offset:1728
	s_waitcnt vmcnt(0) lgkmcnt(1)
	v_mul_f64 v[200:201], v[2:3], v[12:13]
	s_delay_alu instid0(VALU_DEP_1) | instskip(SKIP_1) | instid1(VALU_DEP_1)
	v_fma_f64 v[200:201], v[4:5], v[10:11], v[200:201]
	v_mul_f64 v[4:5], v[4:5], v[12:13]
	v_fma_f64 v[202:203], v[2:3], v[10:11], -v[4:5]
	s_clause 0x1
	scratch_load_b128 v[2:5], off, off offset:736
	scratch_load_b128 v[10:13], off, off offset:752
	s_waitcnt vmcnt(1) lgkmcnt(0)
	v_mul_f64 v[204:205], v[6:7], v[4:5]
	v_mul_f64 v[4:5], v[8:9], v[4:5]
	s_delay_alu instid0(VALU_DEP_2) | instskip(NEXT) | instid1(VALU_DEP_2)
	v_fma_f64 v[204:205], v[8:9], v[2:3], v[204:205]
	v_fma_f64 v[206:207], v[6:7], v[2:3], -v[4:5]
	ds_load_b128 v[2:5], v1 offset:1744
	ds_load_b128 v[6:9], v1 offset:1760
	s_waitcnt vmcnt(0) lgkmcnt(1)
	v_mul_f64 v[208:209], v[2:3], v[12:13]
	s_delay_alu instid0(VALU_DEP_1) | instskip(SKIP_1) | instid1(VALU_DEP_1)
	v_fma_f64 v[208:209], v[4:5], v[10:11], v[208:209]
	v_mul_f64 v[4:5], v[4:5], v[12:13]
	v_fma_f64 v[210:211], v[2:3], v[10:11], -v[4:5]
	s_clause 0x1
	scratch_load_b128 v[2:5], off, off offset:768
	scratch_load_b128 v[10:13], off, off offset:784
	s_waitcnt vmcnt(1) lgkmcnt(0)
	v_mul_f64 v[212:213], v[6:7], v[4:5]
	v_mul_f64 v[4:5], v[8:9], v[4:5]
	s_delay_alu instid0(VALU_DEP_2) | instskip(NEXT) | instid1(VALU_DEP_2)
	v_fma_f64 v[212:213], v[8:9], v[2:3], v[212:213]
	v_fma_f64 v[215:216], v[6:7], v[2:3], -v[4:5]
	ds_load_b128 v[2:5], v1 offset:1776
	ds_load_b128 v[6:9], v1 offset:1792
	s_waitcnt vmcnt(0) lgkmcnt(1)
	v_mul_f64 v[217:218], v[2:3], v[12:13]
	s_delay_alu instid0(VALU_DEP_1) | instskip(SKIP_1) | instid1(VALU_DEP_1)
	v_fma_f64 v[217:218], v[4:5], v[10:11], v[217:218]
	v_mul_f64 v[4:5], v[4:5], v[12:13]
	v_fma_f64 v[220:221], v[2:3], v[10:11], -v[4:5]
	s_clause 0x1
	scratch_load_b128 v[2:5], off, off offset:800
	scratch_load_b128 v[10:13], off, off offset:816
	s_waitcnt vmcnt(1) lgkmcnt(0)
	v_mul_f64 v[222:223], v[6:7], v[4:5]
	v_mul_f64 v[4:5], v[8:9], v[4:5]
	s_delay_alu instid0(VALU_DEP_2) | instskip(NEXT) | instid1(VALU_DEP_2)
	v_fma_f64 v[222:223], v[8:9], v[2:3], v[222:223]
	v_fma_f64 v[224:225], v[6:7], v[2:3], -v[4:5]
	ds_load_b128 v[2:5], v1 offset:1808
	ds_load_b128 v[6:9], v1 offset:1824
	s_waitcnt vmcnt(0) lgkmcnt(1)
	v_mul_f64 v[226:227], v[2:3], v[12:13]
	s_delay_alu instid0(VALU_DEP_1) | instskip(SKIP_1) | instid1(VALU_DEP_1)
	v_fma_f64 v[226:227], v[4:5], v[10:11], v[226:227]
	v_mul_f64 v[4:5], v[4:5], v[12:13]
	v_fma_f64 v[228:229], v[2:3], v[10:11], -v[4:5]
	s_clause 0x1
	scratch_load_b128 v[2:5], off, off offset:832
	scratch_load_b128 v[10:13], off, off offset:848
	s_waitcnt vmcnt(1) lgkmcnt(0)
	v_mul_f64 v[230:231], v[6:7], v[4:5]
	v_mul_f64 v[4:5], v[8:9], v[4:5]
	s_delay_alu instid0(VALU_DEP_2) | instskip(NEXT) | instid1(VALU_DEP_2)
	v_fma_f64 v[230:231], v[8:9], v[2:3], v[230:231]
	v_fma_f64 v[232:233], v[6:7], v[2:3], -v[4:5]
	ds_load_b128 v[2:5], v1 offset:1840
	ds_load_b128 v[6:9], v1 offset:1856
	s_waitcnt vmcnt(0) lgkmcnt(1)
	v_mul_f64 v[234:235], v[2:3], v[12:13]
	s_delay_alu instid0(VALU_DEP_1) | instskip(SKIP_1) | instid1(VALU_DEP_1)
	v_fma_f64 v[234:235], v[4:5], v[10:11], v[234:235]
	v_mul_f64 v[4:5], v[4:5], v[12:13]
	v_fma_f64 v[237:238], v[2:3], v[10:11], -v[4:5]
	s_clause 0x1
	scratch_load_b128 v[2:5], off, off offset:864
	scratch_load_b128 v[10:13], off, off offset:880
	s_waitcnt vmcnt(1) lgkmcnt(0)
	v_mul_f64 v[239:240], v[6:7], v[4:5]
	v_mul_f64 v[4:5], v[8:9], v[4:5]
	s_delay_alu instid0(VALU_DEP_2) | instskip(NEXT) | instid1(VALU_DEP_2)
	v_fma_f64 v[239:240], v[8:9], v[2:3], v[239:240]
	v_fma_f64 v[241:242], v[6:7], v[2:3], -v[4:5]
	ds_load_b128 v[2:5], v1 offset:1872
	ds_load_b128 v[6:9], v1 offset:1888
	s_waitcnt vmcnt(0) lgkmcnt(1)
	v_mul_f64 v[243:244], v[2:3], v[12:13]
	s_delay_alu instid0(VALU_DEP_1) | instskip(SKIP_1) | instid1(VALU_DEP_1)
	v_fma_f64 v[243:244], v[4:5], v[10:11], v[243:244]
	v_mul_f64 v[4:5], v[4:5], v[12:13]
	v_fma_f64 v[245:246], v[2:3], v[10:11], -v[4:5]
	s_clause 0x1
	scratch_load_b128 v[2:5], off, off offset:896
	scratch_load_b128 v[10:13], off, off offset:912
	s_waitcnt vmcnt(1) lgkmcnt(0)
	v_mul_f64 v[247:248], v[6:7], v[4:5]
	v_mul_f64 v[4:5], v[8:9], v[4:5]
	s_delay_alu instid0(VALU_DEP_2) | instskip(NEXT) | instid1(VALU_DEP_2)
	v_fma_f64 v[247:248], v[8:9], v[2:3], v[247:248]
	v_fma_f64 v[249:250], v[6:7], v[2:3], -v[4:5]
	ds_load_b128 v[2:5], v1 offset:1904
	ds_load_b128 v[6:9], v1 offset:1920
	s_waitcnt vmcnt(0) lgkmcnt(1)
	v_mul_f64 v[251:252], v[2:3], v[12:13]
	s_delay_alu instid0(VALU_DEP_1) | instskip(SKIP_1) | instid1(VALU_DEP_1)
	v_fma_f64 v[251:252], v[4:5], v[10:11], v[251:252]
	v_mul_f64 v[4:5], v[4:5], v[12:13]
	v_fma_f64 v[253:254], v[2:3], v[10:11], -v[4:5]
	v_add_f64 v[2:3], v[22:23], 0
	v_add_f64 v[4:5], v[24:25], 0
	s_delay_alu instid0(VALU_DEP_2) | instskip(NEXT) | instid1(VALU_DEP_2)
	v_add_f64 v[2:3], v[2:3], v[30:31]
	v_add_f64 v[4:5], v[4:5], v[32:33]
	s_delay_alu instid0(VALU_DEP_2) | instskip(NEXT) | instid1(VALU_DEP_2)
	;; [unrolled: 3-line block ×28, first 2 shown]
	v_add_f64 v[2:3], v[2:3], v[228:229]
	v_add_f64 v[10:11], v[4:5], v[226:227]
	s_delay_alu instid0(VALU_DEP_2)
	v_add_f64 v[12:13], v[2:3], v[232:233]
	scratch_load_b128 v[2:5], off, off offset:928
	v_add_f64 v[14:15], v[10:11], v[230:231]
	v_add_f64 v[16:17], v[12:13], v[237:238]
	scratch_load_b128 v[10:13], off, off offset:944
	v_add_f64 v[18:19], v[14:15], v[234:235]
	;; [unrolled: 3-line block ×4, first 2 shown]
	v_add_f64 v[24:25], v[24:25], v[249:250]
	s_delay_alu instid0(VALU_DEP_2) | instskip(NEXT) | instid1(VALU_DEP_2)
	v_add_f64 v[22:23], v[22:23], v[247:248]
	v_add_f64 v[24:25], v[24:25], v[253:254]
	s_delay_alu instid0(VALU_DEP_2) | instskip(SKIP_3) | instid1(VALU_DEP_2)
	v_add_f64 v[22:23], v[22:23], v[251:252]
	s_waitcnt vmcnt(3) lgkmcnt(0)
	v_mul_f64 v[30:31], v[6:7], v[4:5]
	v_mul_f64 v[4:5], v[8:9], v[4:5]
	v_fma_f64 v[30:31], v[8:9], v[2:3], v[30:31]
	s_delay_alu instid0(VALU_DEP_2)
	v_fma_f64 v[32:33], v[6:7], v[2:3], -v[4:5]
	ds_load_b128 v[2:5], v1 offset:1936
	ds_load_b128 v[6:9], v1 offset:1952
	s_waitcnt vmcnt(2) lgkmcnt(1)
	v_mul_f64 v[34:35], v[2:3], v[12:13]
	v_mul_f64 v[12:13], v[4:5], v[12:13]
	s_waitcnt vmcnt(1) lgkmcnt(0)
	v_mul_f64 v[36:37], v[6:7], v[16:17]
	v_add_f64 v[22:23], v[22:23], v[30:31]
	s_delay_alu instid0(VALU_DEP_4) | instskip(NEXT) | instid1(VALU_DEP_4)
	v_fma_f64 v[34:35], v[4:5], v[10:11], v[34:35]
	v_fma_f64 v[10:11], v[2:3], v[10:11], -v[12:13]
	v_mul_f64 v[12:13], v[8:9], v[16:17]
	v_add_f64 v[16:17], v[24:25], v[32:33]
	ds_load_b128 v[2:5], v1 offset:1968
	v_fma_f64 v[8:9], v[8:9], v[14:15], v[36:37]
	s_waitcnt vmcnt(0) lgkmcnt(0)
	v_mul_f64 v[24:25], v[2:3], v[20:21]
	v_mul_f64 v[20:21], v[4:5], v[20:21]
	v_fma_f64 v[6:7], v[6:7], v[14:15], -v[12:13]
	v_add_f64 v[10:11], v[16:17], v[10:11]
	v_add_f64 v[12:13], v[22:23], v[34:35]
	v_fma_f64 v[4:5], v[4:5], v[18:19], v[24:25]
	v_fma_f64 v[2:3], v[2:3], v[18:19], -v[20:21]
	s_delay_alu instid0(VALU_DEP_4) | instskip(NEXT) | instid1(VALU_DEP_4)
	v_add_f64 v[6:7], v[10:11], v[6:7]
	v_add_f64 v[8:9], v[12:13], v[8:9]
	s_delay_alu instid0(VALU_DEP_2) | instskip(NEXT) | instid1(VALU_DEP_2)
	v_add_f64 v[2:3], v[6:7], v[2:3]
	v_add_f64 v[4:5], v[8:9], v[4:5]
	s_delay_alu instid0(VALU_DEP_2) | instskip(NEXT) | instid1(VALU_DEP_2)
	v_add_f64 v[2:3], v[26:27], -v[2:3]
	v_add_f64 v[4:5], v[28:29], -v[4:5]
	scratch_store_b128 off, v[2:5], off offset:352
	v_cmpx_lt_u32_e32 21, v174
	s_cbranch_execz .LBB61_355
; %bb.354:
	scratch_load_b32 v2, off, off offset:1088 ; 4-byte Folded Reload
	v_mov_b32_e32 v3, v1
	v_mov_b32_e32 v4, v1
	s_waitcnt vmcnt(0)
	scratch_load_b128 v[5:8], v2, off
	v_mov_b32_e32 v2, v1
	scratch_store_b128 off, v[1:4], off offset:336
	s_waitcnt vmcnt(0)
	ds_store_b128 v236, v[5:8]
.LBB61_355:
	s_or_b32 exec_lo, exec_lo, s2
	s_waitcnt lgkmcnt(0)
	s_waitcnt_vscnt null, 0x0
	s_barrier
	buffer_gl0_inv
	s_clause 0x4
	scratch_load_b128 v[2:5], off, off offset:352
	scratch_load_b128 v[6:9], off, off offset:368
	;; [unrolled: 1-line block ×5, first 2 shown]
	ds_load_b128 v[22:25], v1 offset:1344
	ds_load_b128 v[26:29], v1 offset:1360
	scratch_load_b128 v[30:33], off, off offset:336
	s_mov_b32 s2, exec_lo
	s_waitcnt vmcnt(5) lgkmcnt(1)
	v_mul_f64 v[34:35], v[24:25], v[4:5]
	v_mul_f64 v[4:5], v[22:23], v[4:5]
	s_waitcnt vmcnt(4) lgkmcnt(0)
	v_mul_f64 v[36:37], v[26:27], v[8:9]
	v_mul_f64 v[8:9], v[28:29], v[8:9]
	s_delay_alu instid0(VALU_DEP_4) | instskip(NEXT) | instid1(VALU_DEP_4)
	v_fma_f64 v[22:23], v[22:23], v[2:3], -v[34:35]
	v_fma_f64 v[24:25], v[24:25], v[2:3], v[4:5]
	ds_load_b128 v[2:5], v1 offset:1376
	v_fma_f64 v[28:29], v[28:29], v[6:7], v[36:37]
	v_fma_f64 v[26:27], v[26:27], v[6:7], -v[8:9]
	ds_load_b128 v[6:9], v1 offset:1392
	s_waitcnt vmcnt(3) lgkmcnt(1)
	v_mul_f64 v[34:35], v[2:3], v[12:13]
	v_mul_f64 v[12:13], v[4:5], v[12:13]
	s_waitcnt vmcnt(2) lgkmcnt(0)
	v_mul_f64 v[36:37], v[6:7], v[16:17]
	s_delay_alu instid0(VALU_DEP_3) | instskip(NEXT) | instid1(VALU_DEP_3)
	v_fma_f64 v[34:35], v[4:5], v[10:11], v[34:35]
	v_fma_f64 v[38:39], v[2:3], v[10:11], -v[12:13]
	v_mul_f64 v[10:11], v[8:9], v[16:17]
	ds_load_b128 v[2:5], v1 offset:1408
	v_fma_f64 v[16:17], v[8:9], v[14:15], v[36:37]
	v_fma_f64 v[14:15], v[6:7], v[14:15], -v[10:11]
	ds_load_b128 v[6:9], v1 offset:1424
	s_waitcnt vmcnt(1) lgkmcnt(1)
	v_mul_f64 v[10:11], v[2:3], v[20:21]
	v_mul_f64 v[12:13], v[4:5], v[20:21]
	s_delay_alu instid0(VALU_DEP_2) | instskip(NEXT) | instid1(VALU_DEP_2)
	v_fma_f64 v[20:21], v[4:5], v[18:19], v[10:11]
	v_fma_f64 v[18:19], v[2:3], v[18:19], -v[12:13]
	s_clause 0x1
	scratch_load_b128 v[2:5], off, off offset:432
	scratch_load_b128 v[10:13], off, off offset:448
	s_waitcnt vmcnt(1) lgkmcnt(0)
	v_mul_f64 v[36:37], v[6:7], v[4:5]
	v_mul_f64 v[4:5], v[8:9], v[4:5]
	s_delay_alu instid0(VALU_DEP_2) | instskip(NEXT) | instid1(VALU_DEP_2)
	v_fma_f64 v[36:37], v[8:9], v[2:3], v[36:37]
	v_fma_f64 v[40:41], v[6:7], v[2:3], -v[4:5]
	ds_load_b128 v[2:5], v1 offset:1440
	ds_load_b128 v[6:9], v1 offset:1456
	s_waitcnt vmcnt(0) lgkmcnt(1)
	v_mul_f64 v[42:43], v[2:3], v[12:13]
	s_delay_alu instid0(VALU_DEP_1) | instskip(SKIP_1) | instid1(VALU_DEP_1)
	v_fma_f64 v[42:43], v[4:5], v[10:11], v[42:43]
	v_mul_f64 v[4:5], v[4:5], v[12:13]
	v_fma_f64 v[44:45], v[2:3], v[10:11], -v[4:5]
	s_clause 0x1
	scratch_load_b128 v[2:5], off, off offset:464
	scratch_load_b128 v[10:13], off, off offset:480
	s_waitcnt vmcnt(1) lgkmcnt(0)
	v_mul_f64 v[46:47], v[6:7], v[4:5]
	v_mul_f64 v[4:5], v[8:9], v[4:5]
	s_delay_alu instid0(VALU_DEP_2) | instskip(NEXT) | instid1(VALU_DEP_2)
	v_fma_f64 v[46:47], v[8:9], v[2:3], v[46:47]
	v_fma_f64 v[48:49], v[6:7], v[2:3], -v[4:5]
	ds_load_b128 v[2:5], v1 offset:1472
	ds_load_b128 v[6:9], v1 offset:1488
	s_waitcnt vmcnt(0) lgkmcnt(1)
	v_mul_f64 v[52:53], v[2:3], v[12:13]
	s_delay_alu instid0(VALU_DEP_1) | instskip(SKIP_1) | instid1(VALU_DEP_1)
	v_fma_f64 v[52:53], v[4:5], v[10:11], v[52:53]
	v_mul_f64 v[4:5], v[4:5], v[12:13]
	;; [unrolled: 17-line block ×16, first 2 shown]
	v_fma_f64 v[88:89], v[2:3], v[10:11], -v[4:5]
	v_add_f64 v[2:3], v[22:23], 0
	v_add_f64 v[4:5], v[24:25], 0
	s_delay_alu instid0(VALU_DEP_2) | instskip(NEXT) | instid1(VALU_DEP_2)
	v_add_f64 v[2:3], v[2:3], v[26:27]
	v_add_f64 v[4:5], v[4:5], v[28:29]
	s_delay_alu instid0(VALU_DEP_2) | instskip(NEXT) | instid1(VALU_DEP_2)
	;; [unrolled: 3-line block ×30, first 2 shown]
	v_add_f64 v[2:3], v[2:3], v[237:238]
	v_add_f64 v[10:11], v[4:5], v[234:235]
	s_delay_alu instid0(VALU_DEP_2)
	v_add_f64 v[12:13], v[2:3], v[241:242]
	scratch_load_b128 v[2:5], off, off offset:944
	v_add_f64 v[14:15], v[10:11], v[239:240]
	v_add_f64 v[16:17], v[12:13], v[245:246]
	scratch_load_b128 v[10:13], off, off offset:960
	v_add_f64 v[18:19], v[14:15], v[243:244]
	;; [unrolled: 3-line block ×3, first 2 shown]
	v_add_f64 v[20:21], v[20:21], v[253:254]
	s_delay_alu instid0(VALU_DEP_2) | instskip(NEXT) | instid1(VALU_DEP_2)
	v_add_f64 v[18:19], v[18:19], v[251:252]
	v_add_f64 v[28:29], v[20:21], v[84:85]
	s_delay_alu instid0(VALU_DEP_2)
	v_add_f64 v[34:35], v[18:19], v[82:83]
	ds_load_b128 v[18:21], v1 offset:1952
	ds_load_b128 v[22:25], v1 offset:1968
	s_waitcnt vmcnt(2) lgkmcnt(2)
	v_mul_f64 v[26:27], v[6:7], v[4:5]
	v_mul_f64 v[4:5], v[8:9], v[4:5]
	s_waitcnt vmcnt(1) lgkmcnt(1)
	v_mul_f64 v[36:37], v[18:19], v[12:13]
	s_delay_alu instid0(VALU_DEP_3) | instskip(NEXT) | instid1(VALU_DEP_3)
	v_fma_f64 v[8:9], v[8:9], v[2:3], v[26:27]
	v_fma_f64 v[1:2], v[6:7], v[2:3], -v[4:5]
	v_mul_f64 v[3:4], v[20:21], v[12:13]
	v_add_f64 v[5:6], v[28:29], v[88:89]
	v_add_f64 v[12:13], v[34:35], v[86:87]
	s_waitcnt vmcnt(0) lgkmcnt(0)
	v_mul_f64 v[26:27], v[22:23], v[16:17]
	v_mul_f64 v[16:17], v[24:25], v[16:17]
	v_fma_f64 v[20:21], v[20:21], v[10:11], v[36:37]
	v_fma_f64 v[3:4], v[18:19], v[10:11], -v[3:4]
	v_add_f64 v[1:2], v[5:6], v[1:2]
	v_add_f64 v[5:6], v[12:13], v[8:9]
	v_fma_f64 v[7:8], v[24:25], v[14:15], v[26:27]
	v_fma_f64 v[9:10], v[22:23], v[14:15], -v[16:17]
	s_delay_alu instid0(VALU_DEP_4) | instskip(NEXT) | instid1(VALU_DEP_4)
	v_add_f64 v[1:2], v[1:2], v[3:4]
	v_add_f64 v[3:4], v[5:6], v[20:21]
	s_delay_alu instid0(VALU_DEP_2) | instskip(NEXT) | instid1(VALU_DEP_2)
	v_add_f64 v[1:2], v[1:2], v[9:10]
	v_add_f64 v[3:4], v[3:4], v[7:8]
	s_delay_alu instid0(VALU_DEP_2) | instskip(NEXT) | instid1(VALU_DEP_2)
	v_add_f64 v[1:2], v[30:31], -v[1:2]
	v_add_f64 v[3:4], v[32:33], -v[3:4]
	scratch_store_b128 off, v[1:4], off offset:336
	v_cmpx_lt_u32_e32 20, v174
	s_cbranch_execz .LBB61_357
; %bb.356:
	scratch_load_b32 v1, off, off offset:1096 ; 4-byte Folded Reload
	v_mov_b32_e32 v5, 0
	s_delay_alu instid0(VALU_DEP_1)
	v_mov_b32_e32 v6, v5
	v_mov_b32_e32 v7, v5
	;; [unrolled: 1-line block ×3, first 2 shown]
	s_waitcnt vmcnt(0)
	scratch_load_b128 v[1:4], v1, off
	scratch_store_b128 off, v[5:8], off offset:320
	s_waitcnt vmcnt(0)
	ds_store_b128 v236, v[1:4]
.LBB61_357:
	s_or_b32 exec_lo, exec_lo, s2
	s_waitcnt lgkmcnt(0)
	s_waitcnt_vscnt null, 0x0
	s_barrier
	buffer_gl0_inv
	s_clause 0x4
	scratch_load_b128 v[2:5], off, off offset:336
	scratch_load_b128 v[6:9], off, off offset:352
	;; [unrolled: 1-line block ×5, first 2 shown]
	v_mov_b32_e32 v1, 0
	scratch_load_b128 v[26:29], off, off offset:320
	s_mov_b32 s2, exec_lo
	ds_load_b128 v[22:25], v1 offset:1328
	ds_load_b128 v[30:33], v1 offset:1344
	s_waitcnt vmcnt(5) lgkmcnt(1)
	v_mul_f64 v[34:35], v[24:25], v[4:5]
	v_mul_f64 v[4:5], v[22:23], v[4:5]
	s_waitcnt vmcnt(4) lgkmcnt(0)
	v_mul_f64 v[36:37], v[30:31], v[8:9]
	v_mul_f64 v[8:9], v[32:33], v[8:9]
	s_delay_alu instid0(VALU_DEP_4) | instskip(NEXT) | instid1(VALU_DEP_4)
	v_fma_f64 v[22:23], v[22:23], v[2:3], -v[34:35]
	v_fma_f64 v[24:25], v[24:25], v[2:3], v[4:5]
	ds_load_b128 v[2:5], v1 offset:1360
	v_fma_f64 v[32:33], v[32:33], v[6:7], v[36:37]
	v_fma_f64 v[30:31], v[30:31], v[6:7], -v[8:9]
	ds_load_b128 v[6:9], v1 offset:1376
	s_waitcnt vmcnt(3) lgkmcnt(1)
	v_mul_f64 v[34:35], v[2:3], v[12:13]
	v_mul_f64 v[12:13], v[4:5], v[12:13]
	s_waitcnt vmcnt(2) lgkmcnt(0)
	v_mul_f64 v[36:37], v[6:7], v[16:17]
	s_delay_alu instid0(VALU_DEP_3) | instskip(NEXT) | instid1(VALU_DEP_3)
	v_fma_f64 v[34:35], v[4:5], v[10:11], v[34:35]
	v_fma_f64 v[38:39], v[2:3], v[10:11], -v[12:13]
	v_mul_f64 v[10:11], v[8:9], v[16:17]
	ds_load_b128 v[2:5], v1 offset:1392
	v_fma_f64 v[16:17], v[8:9], v[14:15], v[36:37]
	v_fma_f64 v[14:15], v[6:7], v[14:15], -v[10:11]
	ds_load_b128 v[6:9], v1 offset:1408
	s_waitcnt vmcnt(1) lgkmcnt(1)
	v_mul_f64 v[10:11], v[2:3], v[20:21]
	v_mul_f64 v[12:13], v[4:5], v[20:21]
	s_delay_alu instid0(VALU_DEP_2) | instskip(NEXT) | instid1(VALU_DEP_2)
	v_fma_f64 v[20:21], v[4:5], v[18:19], v[10:11]
	v_fma_f64 v[18:19], v[2:3], v[18:19], -v[12:13]
	s_clause 0x1
	scratch_load_b128 v[2:5], off, off offset:416
	scratch_load_b128 v[10:13], off, off offset:432
	s_waitcnt vmcnt(1) lgkmcnt(0)
	v_mul_f64 v[36:37], v[6:7], v[4:5]
	v_mul_f64 v[4:5], v[8:9], v[4:5]
	s_delay_alu instid0(VALU_DEP_2) | instskip(NEXT) | instid1(VALU_DEP_2)
	v_fma_f64 v[36:37], v[8:9], v[2:3], v[36:37]
	v_fma_f64 v[40:41], v[6:7], v[2:3], -v[4:5]
	ds_load_b128 v[2:5], v1 offset:1424
	ds_load_b128 v[6:9], v1 offset:1440
	s_waitcnt vmcnt(0) lgkmcnt(1)
	v_mul_f64 v[42:43], v[2:3], v[12:13]
	s_delay_alu instid0(VALU_DEP_1) | instskip(SKIP_1) | instid1(VALU_DEP_1)
	v_fma_f64 v[42:43], v[4:5], v[10:11], v[42:43]
	v_mul_f64 v[4:5], v[4:5], v[12:13]
	v_fma_f64 v[44:45], v[2:3], v[10:11], -v[4:5]
	s_clause 0x1
	scratch_load_b128 v[2:5], off, off offset:448
	scratch_load_b128 v[10:13], off, off offset:464
	s_waitcnt vmcnt(1) lgkmcnt(0)
	v_mul_f64 v[46:47], v[6:7], v[4:5]
	v_mul_f64 v[4:5], v[8:9], v[4:5]
	s_delay_alu instid0(VALU_DEP_2) | instskip(NEXT) | instid1(VALU_DEP_2)
	v_fma_f64 v[46:47], v[8:9], v[2:3], v[46:47]
	v_fma_f64 v[48:49], v[6:7], v[2:3], -v[4:5]
	ds_load_b128 v[2:5], v1 offset:1456
	ds_load_b128 v[6:9], v1 offset:1472
	s_waitcnt vmcnt(0) lgkmcnt(1)
	v_mul_f64 v[52:53], v[2:3], v[12:13]
	s_delay_alu instid0(VALU_DEP_1) | instskip(SKIP_1) | instid1(VALU_DEP_1)
	v_fma_f64 v[52:53], v[4:5], v[10:11], v[52:53]
	v_mul_f64 v[4:5], v[4:5], v[12:13]
	;; [unrolled: 17-line block ×16, first 2 shown]
	v_fma_f64 v[253:254], v[2:3], v[10:11], -v[4:5]
	v_add_f64 v[2:3], v[22:23], 0
	v_add_f64 v[4:5], v[24:25], 0
	s_delay_alu instid0(VALU_DEP_2) | instskip(NEXT) | instid1(VALU_DEP_2)
	v_add_f64 v[2:3], v[2:3], v[30:31]
	v_add_f64 v[4:5], v[4:5], v[32:33]
	s_delay_alu instid0(VALU_DEP_2) | instskip(NEXT) | instid1(VALU_DEP_2)
	;; [unrolled: 3-line block ×30, first 2 shown]
	v_add_f64 v[2:3], v[2:3], v[228:229]
	v_add_f64 v[10:11], v[4:5], v[226:227]
	s_delay_alu instid0(VALU_DEP_2)
	v_add_f64 v[12:13], v[2:3], v[232:233]
	scratch_load_b128 v[2:5], off, off offset:928
	v_add_f64 v[14:15], v[10:11], v[230:231]
	v_add_f64 v[16:17], v[12:13], v[237:238]
	scratch_load_b128 v[10:13], off, off offset:944
	v_add_f64 v[18:19], v[14:15], v[234:235]
	;; [unrolled: 3-line block ×4, first 2 shown]
	v_add_f64 v[24:25], v[24:25], v[249:250]
	s_delay_alu instid0(VALU_DEP_2) | instskip(NEXT) | instid1(VALU_DEP_2)
	v_add_f64 v[22:23], v[22:23], v[247:248]
	v_add_f64 v[24:25], v[24:25], v[253:254]
	s_delay_alu instid0(VALU_DEP_2) | instskip(SKIP_3) | instid1(VALU_DEP_2)
	v_add_f64 v[22:23], v[22:23], v[251:252]
	s_waitcnt vmcnt(3) lgkmcnt(0)
	v_mul_f64 v[30:31], v[6:7], v[4:5]
	v_mul_f64 v[4:5], v[8:9], v[4:5]
	v_fma_f64 v[30:31], v[8:9], v[2:3], v[30:31]
	s_delay_alu instid0(VALU_DEP_2)
	v_fma_f64 v[32:33], v[6:7], v[2:3], -v[4:5]
	ds_load_b128 v[2:5], v1 offset:1936
	ds_load_b128 v[6:9], v1 offset:1952
	s_waitcnt vmcnt(2) lgkmcnt(1)
	v_mul_f64 v[34:35], v[2:3], v[12:13]
	v_mul_f64 v[12:13], v[4:5], v[12:13]
	s_waitcnt vmcnt(1) lgkmcnt(0)
	v_mul_f64 v[36:37], v[6:7], v[16:17]
	v_add_f64 v[22:23], v[22:23], v[30:31]
	s_delay_alu instid0(VALU_DEP_4) | instskip(NEXT) | instid1(VALU_DEP_4)
	v_fma_f64 v[34:35], v[4:5], v[10:11], v[34:35]
	v_fma_f64 v[10:11], v[2:3], v[10:11], -v[12:13]
	v_mul_f64 v[12:13], v[8:9], v[16:17]
	v_add_f64 v[16:17], v[24:25], v[32:33]
	ds_load_b128 v[2:5], v1 offset:1968
	v_fma_f64 v[8:9], v[8:9], v[14:15], v[36:37]
	s_waitcnt vmcnt(0) lgkmcnt(0)
	v_mul_f64 v[24:25], v[2:3], v[20:21]
	v_mul_f64 v[20:21], v[4:5], v[20:21]
	v_fma_f64 v[6:7], v[6:7], v[14:15], -v[12:13]
	v_add_f64 v[10:11], v[16:17], v[10:11]
	v_add_f64 v[12:13], v[22:23], v[34:35]
	v_fma_f64 v[4:5], v[4:5], v[18:19], v[24:25]
	v_fma_f64 v[2:3], v[2:3], v[18:19], -v[20:21]
	s_delay_alu instid0(VALU_DEP_4) | instskip(NEXT) | instid1(VALU_DEP_4)
	v_add_f64 v[6:7], v[10:11], v[6:7]
	v_add_f64 v[8:9], v[12:13], v[8:9]
	s_delay_alu instid0(VALU_DEP_2) | instskip(NEXT) | instid1(VALU_DEP_2)
	v_add_f64 v[2:3], v[6:7], v[2:3]
	v_add_f64 v[4:5], v[8:9], v[4:5]
	s_delay_alu instid0(VALU_DEP_2) | instskip(NEXT) | instid1(VALU_DEP_2)
	v_add_f64 v[2:3], v[26:27], -v[2:3]
	v_add_f64 v[4:5], v[28:29], -v[4:5]
	scratch_store_b128 off, v[2:5], off offset:320
	v_cmpx_lt_u32_e32 19, v174
	s_cbranch_execz .LBB61_359
; %bb.358:
	scratch_load_b32 v2, off, off offset:1100 ; 4-byte Folded Reload
	v_mov_b32_e32 v3, v1
	v_mov_b32_e32 v4, v1
	s_waitcnt vmcnt(0)
	scratch_load_b128 v[5:8], v2, off
	v_mov_b32_e32 v2, v1
	scratch_store_b128 off, v[1:4], off offset:304
	s_waitcnt vmcnt(0)
	ds_store_b128 v236, v[5:8]
.LBB61_359:
	s_or_b32 exec_lo, exec_lo, s2
	s_waitcnt lgkmcnt(0)
	s_waitcnt_vscnt null, 0x0
	s_barrier
	buffer_gl0_inv
	s_clause 0x4
	scratch_load_b128 v[2:5], off, off offset:320
	scratch_load_b128 v[6:9], off, off offset:336
	;; [unrolled: 1-line block ×5, first 2 shown]
	ds_load_b128 v[22:25], v1 offset:1312
	ds_load_b128 v[26:29], v1 offset:1328
	scratch_load_b128 v[30:33], off, off offset:304
	s_mov_b32 s2, exec_lo
	s_waitcnt vmcnt(5) lgkmcnt(1)
	v_mul_f64 v[34:35], v[24:25], v[4:5]
	v_mul_f64 v[4:5], v[22:23], v[4:5]
	s_waitcnt vmcnt(4) lgkmcnt(0)
	v_mul_f64 v[36:37], v[26:27], v[8:9]
	v_mul_f64 v[8:9], v[28:29], v[8:9]
	s_delay_alu instid0(VALU_DEP_4) | instskip(NEXT) | instid1(VALU_DEP_4)
	v_fma_f64 v[22:23], v[22:23], v[2:3], -v[34:35]
	v_fma_f64 v[24:25], v[24:25], v[2:3], v[4:5]
	ds_load_b128 v[2:5], v1 offset:1344
	v_fma_f64 v[28:29], v[28:29], v[6:7], v[36:37]
	v_fma_f64 v[26:27], v[26:27], v[6:7], -v[8:9]
	ds_load_b128 v[6:9], v1 offset:1360
	s_waitcnt vmcnt(3) lgkmcnt(1)
	v_mul_f64 v[34:35], v[2:3], v[12:13]
	v_mul_f64 v[12:13], v[4:5], v[12:13]
	s_waitcnt vmcnt(2) lgkmcnt(0)
	v_mul_f64 v[36:37], v[6:7], v[16:17]
	s_delay_alu instid0(VALU_DEP_3) | instskip(NEXT) | instid1(VALU_DEP_3)
	v_fma_f64 v[34:35], v[4:5], v[10:11], v[34:35]
	v_fma_f64 v[38:39], v[2:3], v[10:11], -v[12:13]
	v_mul_f64 v[10:11], v[8:9], v[16:17]
	ds_load_b128 v[2:5], v1 offset:1376
	v_fma_f64 v[16:17], v[8:9], v[14:15], v[36:37]
	v_fma_f64 v[14:15], v[6:7], v[14:15], -v[10:11]
	ds_load_b128 v[6:9], v1 offset:1392
	s_waitcnt vmcnt(1) lgkmcnt(1)
	v_mul_f64 v[10:11], v[2:3], v[20:21]
	v_mul_f64 v[12:13], v[4:5], v[20:21]
	s_delay_alu instid0(VALU_DEP_2) | instskip(NEXT) | instid1(VALU_DEP_2)
	v_fma_f64 v[20:21], v[4:5], v[18:19], v[10:11]
	v_fma_f64 v[18:19], v[2:3], v[18:19], -v[12:13]
	s_clause 0x1
	scratch_load_b128 v[2:5], off, off offset:400
	scratch_load_b128 v[10:13], off, off offset:416
	s_waitcnt vmcnt(1) lgkmcnt(0)
	v_mul_f64 v[36:37], v[6:7], v[4:5]
	v_mul_f64 v[4:5], v[8:9], v[4:5]
	s_delay_alu instid0(VALU_DEP_2) | instskip(NEXT) | instid1(VALU_DEP_2)
	v_fma_f64 v[36:37], v[8:9], v[2:3], v[36:37]
	v_fma_f64 v[40:41], v[6:7], v[2:3], -v[4:5]
	ds_load_b128 v[2:5], v1 offset:1408
	ds_load_b128 v[6:9], v1 offset:1424
	s_waitcnt vmcnt(0) lgkmcnt(1)
	v_mul_f64 v[42:43], v[2:3], v[12:13]
	s_delay_alu instid0(VALU_DEP_1) | instskip(SKIP_1) | instid1(VALU_DEP_1)
	v_fma_f64 v[42:43], v[4:5], v[10:11], v[42:43]
	v_mul_f64 v[4:5], v[4:5], v[12:13]
	v_fma_f64 v[44:45], v[2:3], v[10:11], -v[4:5]
	s_clause 0x1
	scratch_load_b128 v[2:5], off, off offset:432
	scratch_load_b128 v[10:13], off, off offset:448
	s_waitcnt vmcnt(1) lgkmcnt(0)
	v_mul_f64 v[46:47], v[6:7], v[4:5]
	v_mul_f64 v[4:5], v[8:9], v[4:5]
	s_delay_alu instid0(VALU_DEP_2) | instskip(NEXT) | instid1(VALU_DEP_2)
	v_fma_f64 v[46:47], v[8:9], v[2:3], v[46:47]
	v_fma_f64 v[48:49], v[6:7], v[2:3], -v[4:5]
	ds_load_b128 v[2:5], v1 offset:1440
	ds_load_b128 v[6:9], v1 offset:1456
	s_waitcnt vmcnt(0) lgkmcnt(1)
	v_mul_f64 v[52:53], v[2:3], v[12:13]
	s_delay_alu instid0(VALU_DEP_1) | instskip(SKIP_1) | instid1(VALU_DEP_1)
	v_fma_f64 v[52:53], v[4:5], v[10:11], v[52:53]
	v_mul_f64 v[4:5], v[4:5], v[12:13]
	;; [unrolled: 17-line block ×17, first 2 shown]
	v_fma_f64 v[98:99], v[2:3], v[10:11], -v[4:5]
	v_add_f64 v[2:3], v[22:23], 0
	v_add_f64 v[4:5], v[24:25], 0
	s_delay_alu instid0(VALU_DEP_2) | instskip(NEXT) | instid1(VALU_DEP_2)
	v_add_f64 v[2:3], v[2:3], v[26:27]
	v_add_f64 v[4:5], v[4:5], v[28:29]
	s_delay_alu instid0(VALU_DEP_2) | instskip(NEXT) | instid1(VALU_DEP_2)
	;; [unrolled: 3-line block ×32, first 2 shown]
	v_add_f64 v[2:3], v[2:3], v[237:238]
	v_add_f64 v[10:11], v[4:5], v[234:235]
	s_delay_alu instid0(VALU_DEP_2)
	v_add_f64 v[12:13], v[2:3], v[241:242]
	scratch_load_b128 v[2:5], off, off offset:944
	v_add_f64 v[14:15], v[10:11], v[239:240]
	v_add_f64 v[16:17], v[12:13], v[245:246]
	scratch_load_b128 v[10:13], off, off offset:960
	v_add_f64 v[18:19], v[14:15], v[243:244]
	;; [unrolled: 3-line block ×3, first 2 shown]
	v_add_f64 v[20:21], v[20:21], v[253:254]
	s_delay_alu instid0(VALU_DEP_2) | instskip(NEXT) | instid1(VALU_DEP_2)
	v_add_f64 v[18:19], v[18:19], v[251:252]
	v_add_f64 v[28:29], v[20:21], v[94:95]
	s_delay_alu instid0(VALU_DEP_2)
	v_add_f64 v[34:35], v[18:19], v[92:93]
	ds_load_b128 v[18:21], v1 offset:1952
	ds_load_b128 v[22:25], v1 offset:1968
	s_waitcnt vmcnt(2) lgkmcnt(2)
	v_mul_f64 v[26:27], v[6:7], v[4:5]
	v_mul_f64 v[4:5], v[8:9], v[4:5]
	s_waitcnt vmcnt(1) lgkmcnt(1)
	v_mul_f64 v[36:37], v[18:19], v[12:13]
	s_delay_alu instid0(VALU_DEP_3) | instskip(NEXT) | instid1(VALU_DEP_3)
	v_fma_f64 v[8:9], v[8:9], v[2:3], v[26:27]
	v_fma_f64 v[1:2], v[6:7], v[2:3], -v[4:5]
	v_mul_f64 v[3:4], v[20:21], v[12:13]
	v_add_f64 v[5:6], v[28:29], v[98:99]
	v_add_f64 v[12:13], v[34:35], v[96:97]
	s_waitcnt vmcnt(0) lgkmcnt(0)
	v_mul_f64 v[26:27], v[22:23], v[16:17]
	v_mul_f64 v[16:17], v[24:25], v[16:17]
	v_fma_f64 v[20:21], v[20:21], v[10:11], v[36:37]
	v_fma_f64 v[3:4], v[18:19], v[10:11], -v[3:4]
	v_add_f64 v[1:2], v[5:6], v[1:2]
	v_add_f64 v[5:6], v[12:13], v[8:9]
	v_fma_f64 v[7:8], v[24:25], v[14:15], v[26:27]
	v_fma_f64 v[9:10], v[22:23], v[14:15], -v[16:17]
	s_delay_alu instid0(VALU_DEP_4) | instskip(NEXT) | instid1(VALU_DEP_4)
	v_add_f64 v[1:2], v[1:2], v[3:4]
	v_add_f64 v[3:4], v[5:6], v[20:21]
	s_delay_alu instid0(VALU_DEP_2) | instskip(NEXT) | instid1(VALU_DEP_2)
	v_add_f64 v[1:2], v[1:2], v[9:10]
	v_add_f64 v[3:4], v[3:4], v[7:8]
	s_delay_alu instid0(VALU_DEP_2) | instskip(NEXT) | instid1(VALU_DEP_2)
	v_add_f64 v[1:2], v[30:31], -v[1:2]
	v_add_f64 v[3:4], v[32:33], -v[3:4]
	scratch_store_b128 off, v[1:4], off offset:304
	v_cmpx_lt_u32_e32 18, v174
	s_cbranch_execz .LBB61_361
; %bb.360:
	scratch_load_b32 v1, off, off offset:1104 ; 4-byte Folded Reload
	v_mov_b32_e32 v5, 0
	s_delay_alu instid0(VALU_DEP_1)
	v_mov_b32_e32 v6, v5
	v_mov_b32_e32 v7, v5
	;; [unrolled: 1-line block ×3, first 2 shown]
	s_waitcnt vmcnt(0)
	scratch_load_b128 v[1:4], v1, off
	scratch_store_b128 off, v[5:8], off offset:288
	s_waitcnt vmcnt(0)
	ds_store_b128 v236, v[1:4]
.LBB61_361:
	s_or_b32 exec_lo, exec_lo, s2
	s_waitcnt lgkmcnt(0)
	s_waitcnt_vscnt null, 0x0
	s_barrier
	buffer_gl0_inv
	s_clause 0x4
	scratch_load_b128 v[2:5], off, off offset:304
	scratch_load_b128 v[6:9], off, off offset:320
	;; [unrolled: 1-line block ×5, first 2 shown]
	v_mov_b32_e32 v1, 0
	scratch_load_b128 v[26:29], off, off offset:288
	s_mov_b32 s2, exec_lo
	ds_load_b128 v[22:25], v1 offset:1296
	ds_load_b128 v[30:33], v1 offset:1312
	s_waitcnt vmcnt(5) lgkmcnt(1)
	v_mul_f64 v[34:35], v[24:25], v[4:5]
	v_mul_f64 v[4:5], v[22:23], v[4:5]
	s_waitcnt vmcnt(4) lgkmcnt(0)
	v_mul_f64 v[36:37], v[30:31], v[8:9]
	v_mul_f64 v[8:9], v[32:33], v[8:9]
	s_delay_alu instid0(VALU_DEP_4) | instskip(NEXT) | instid1(VALU_DEP_4)
	v_fma_f64 v[22:23], v[22:23], v[2:3], -v[34:35]
	v_fma_f64 v[24:25], v[24:25], v[2:3], v[4:5]
	ds_load_b128 v[2:5], v1 offset:1328
	v_fma_f64 v[32:33], v[32:33], v[6:7], v[36:37]
	v_fma_f64 v[30:31], v[30:31], v[6:7], -v[8:9]
	ds_load_b128 v[6:9], v1 offset:1344
	s_waitcnt vmcnt(3) lgkmcnt(1)
	v_mul_f64 v[34:35], v[2:3], v[12:13]
	v_mul_f64 v[12:13], v[4:5], v[12:13]
	s_waitcnt vmcnt(2) lgkmcnt(0)
	v_mul_f64 v[36:37], v[6:7], v[16:17]
	s_delay_alu instid0(VALU_DEP_3) | instskip(NEXT) | instid1(VALU_DEP_3)
	v_fma_f64 v[34:35], v[4:5], v[10:11], v[34:35]
	v_fma_f64 v[38:39], v[2:3], v[10:11], -v[12:13]
	v_mul_f64 v[10:11], v[8:9], v[16:17]
	ds_load_b128 v[2:5], v1 offset:1360
	v_fma_f64 v[16:17], v[8:9], v[14:15], v[36:37]
	v_fma_f64 v[14:15], v[6:7], v[14:15], -v[10:11]
	ds_load_b128 v[6:9], v1 offset:1376
	s_waitcnt vmcnt(1) lgkmcnt(1)
	v_mul_f64 v[10:11], v[2:3], v[20:21]
	v_mul_f64 v[12:13], v[4:5], v[20:21]
	s_delay_alu instid0(VALU_DEP_2) | instskip(NEXT) | instid1(VALU_DEP_2)
	v_fma_f64 v[20:21], v[4:5], v[18:19], v[10:11]
	v_fma_f64 v[18:19], v[2:3], v[18:19], -v[12:13]
	s_clause 0x1
	scratch_load_b128 v[2:5], off, off offset:384
	scratch_load_b128 v[10:13], off, off offset:400
	s_waitcnt vmcnt(1) lgkmcnt(0)
	v_mul_f64 v[36:37], v[6:7], v[4:5]
	v_mul_f64 v[4:5], v[8:9], v[4:5]
	s_delay_alu instid0(VALU_DEP_2) | instskip(NEXT) | instid1(VALU_DEP_2)
	v_fma_f64 v[36:37], v[8:9], v[2:3], v[36:37]
	v_fma_f64 v[40:41], v[6:7], v[2:3], -v[4:5]
	ds_load_b128 v[2:5], v1 offset:1392
	ds_load_b128 v[6:9], v1 offset:1408
	s_waitcnt vmcnt(0) lgkmcnt(1)
	v_mul_f64 v[42:43], v[2:3], v[12:13]
	s_delay_alu instid0(VALU_DEP_1) | instskip(SKIP_1) | instid1(VALU_DEP_1)
	v_fma_f64 v[42:43], v[4:5], v[10:11], v[42:43]
	v_mul_f64 v[4:5], v[4:5], v[12:13]
	v_fma_f64 v[44:45], v[2:3], v[10:11], -v[4:5]
	s_clause 0x1
	scratch_load_b128 v[2:5], off, off offset:416
	scratch_load_b128 v[10:13], off, off offset:432
	s_waitcnt vmcnt(1) lgkmcnt(0)
	v_mul_f64 v[46:47], v[6:7], v[4:5]
	v_mul_f64 v[4:5], v[8:9], v[4:5]
	s_delay_alu instid0(VALU_DEP_2) | instskip(NEXT) | instid1(VALU_DEP_2)
	v_fma_f64 v[46:47], v[8:9], v[2:3], v[46:47]
	v_fma_f64 v[48:49], v[6:7], v[2:3], -v[4:5]
	ds_load_b128 v[2:5], v1 offset:1424
	ds_load_b128 v[6:9], v1 offset:1440
	s_waitcnt vmcnt(0) lgkmcnt(1)
	v_mul_f64 v[52:53], v[2:3], v[12:13]
	s_delay_alu instid0(VALU_DEP_1) | instskip(SKIP_1) | instid1(VALU_DEP_1)
	v_fma_f64 v[52:53], v[4:5], v[10:11], v[52:53]
	v_mul_f64 v[4:5], v[4:5], v[12:13]
	;; [unrolled: 17-line block ×17, first 2 shown]
	v_fma_f64 v[253:254], v[2:3], v[10:11], -v[4:5]
	v_add_f64 v[2:3], v[22:23], 0
	v_add_f64 v[4:5], v[24:25], 0
	s_delay_alu instid0(VALU_DEP_2) | instskip(NEXT) | instid1(VALU_DEP_2)
	v_add_f64 v[2:3], v[2:3], v[30:31]
	v_add_f64 v[4:5], v[4:5], v[32:33]
	s_delay_alu instid0(VALU_DEP_2) | instskip(NEXT) | instid1(VALU_DEP_2)
	;; [unrolled: 3-line block ×32, first 2 shown]
	v_add_f64 v[2:3], v[2:3], v[228:229]
	v_add_f64 v[10:11], v[4:5], v[226:227]
	s_delay_alu instid0(VALU_DEP_2)
	v_add_f64 v[12:13], v[2:3], v[232:233]
	scratch_load_b128 v[2:5], off, off offset:928
	v_add_f64 v[14:15], v[10:11], v[230:231]
	v_add_f64 v[16:17], v[12:13], v[237:238]
	scratch_load_b128 v[10:13], off, off offset:944
	v_add_f64 v[18:19], v[14:15], v[234:235]
	;; [unrolled: 3-line block ×4, first 2 shown]
	v_add_f64 v[24:25], v[24:25], v[249:250]
	s_delay_alu instid0(VALU_DEP_2) | instskip(NEXT) | instid1(VALU_DEP_2)
	v_add_f64 v[22:23], v[22:23], v[247:248]
	v_add_f64 v[24:25], v[24:25], v[253:254]
	s_delay_alu instid0(VALU_DEP_2) | instskip(SKIP_3) | instid1(VALU_DEP_2)
	v_add_f64 v[22:23], v[22:23], v[251:252]
	s_waitcnt vmcnt(3) lgkmcnt(0)
	v_mul_f64 v[30:31], v[6:7], v[4:5]
	v_mul_f64 v[4:5], v[8:9], v[4:5]
	v_fma_f64 v[30:31], v[8:9], v[2:3], v[30:31]
	s_delay_alu instid0(VALU_DEP_2)
	v_fma_f64 v[32:33], v[6:7], v[2:3], -v[4:5]
	ds_load_b128 v[2:5], v1 offset:1936
	ds_load_b128 v[6:9], v1 offset:1952
	s_waitcnt vmcnt(2) lgkmcnt(1)
	v_mul_f64 v[34:35], v[2:3], v[12:13]
	v_mul_f64 v[12:13], v[4:5], v[12:13]
	s_waitcnt vmcnt(1) lgkmcnt(0)
	v_mul_f64 v[36:37], v[6:7], v[16:17]
	v_add_f64 v[22:23], v[22:23], v[30:31]
	s_delay_alu instid0(VALU_DEP_4) | instskip(NEXT) | instid1(VALU_DEP_4)
	v_fma_f64 v[34:35], v[4:5], v[10:11], v[34:35]
	v_fma_f64 v[10:11], v[2:3], v[10:11], -v[12:13]
	v_mul_f64 v[12:13], v[8:9], v[16:17]
	v_add_f64 v[16:17], v[24:25], v[32:33]
	ds_load_b128 v[2:5], v1 offset:1968
	v_fma_f64 v[8:9], v[8:9], v[14:15], v[36:37]
	s_waitcnt vmcnt(0) lgkmcnt(0)
	v_mul_f64 v[24:25], v[2:3], v[20:21]
	v_mul_f64 v[20:21], v[4:5], v[20:21]
	v_fma_f64 v[6:7], v[6:7], v[14:15], -v[12:13]
	v_add_f64 v[10:11], v[16:17], v[10:11]
	v_add_f64 v[12:13], v[22:23], v[34:35]
	v_fma_f64 v[4:5], v[4:5], v[18:19], v[24:25]
	v_fma_f64 v[2:3], v[2:3], v[18:19], -v[20:21]
	s_delay_alu instid0(VALU_DEP_4) | instskip(NEXT) | instid1(VALU_DEP_4)
	v_add_f64 v[6:7], v[10:11], v[6:7]
	v_add_f64 v[8:9], v[12:13], v[8:9]
	s_delay_alu instid0(VALU_DEP_2) | instskip(NEXT) | instid1(VALU_DEP_2)
	v_add_f64 v[2:3], v[6:7], v[2:3]
	v_add_f64 v[4:5], v[8:9], v[4:5]
	s_delay_alu instid0(VALU_DEP_2) | instskip(NEXT) | instid1(VALU_DEP_2)
	v_add_f64 v[2:3], v[26:27], -v[2:3]
	v_add_f64 v[4:5], v[28:29], -v[4:5]
	scratch_store_b128 off, v[2:5], off offset:288
	v_cmpx_lt_u32_e32 17, v174
	s_cbranch_execz .LBB61_363
; %bb.362:
	scratch_load_b32 v2, off, off offset:1112 ; 4-byte Folded Reload
	v_mov_b32_e32 v3, v1
	v_mov_b32_e32 v4, v1
	s_waitcnt vmcnt(0)
	scratch_load_b128 v[5:8], v2, off
	v_mov_b32_e32 v2, v1
	scratch_store_b128 off, v[1:4], off offset:272
	s_waitcnt vmcnt(0)
	ds_store_b128 v236, v[5:8]
.LBB61_363:
	s_or_b32 exec_lo, exec_lo, s2
	s_waitcnt lgkmcnt(0)
	s_waitcnt_vscnt null, 0x0
	s_barrier
	buffer_gl0_inv
	s_clause 0x4
	scratch_load_b128 v[2:5], off, off offset:288
	scratch_load_b128 v[6:9], off, off offset:304
	;; [unrolled: 1-line block ×5, first 2 shown]
	ds_load_b128 v[22:25], v1 offset:1280
	ds_load_b128 v[26:29], v1 offset:1296
	scratch_load_b128 v[30:33], off, off offset:272
	s_mov_b32 s2, exec_lo
	s_waitcnt vmcnt(5) lgkmcnt(1)
	v_mul_f64 v[34:35], v[24:25], v[4:5]
	v_mul_f64 v[4:5], v[22:23], v[4:5]
	s_waitcnt vmcnt(4) lgkmcnt(0)
	v_mul_f64 v[36:37], v[26:27], v[8:9]
	v_mul_f64 v[8:9], v[28:29], v[8:9]
	s_delay_alu instid0(VALU_DEP_4) | instskip(NEXT) | instid1(VALU_DEP_4)
	v_fma_f64 v[22:23], v[22:23], v[2:3], -v[34:35]
	v_fma_f64 v[24:25], v[24:25], v[2:3], v[4:5]
	ds_load_b128 v[2:5], v1 offset:1312
	v_fma_f64 v[28:29], v[28:29], v[6:7], v[36:37]
	v_fma_f64 v[26:27], v[26:27], v[6:7], -v[8:9]
	ds_load_b128 v[6:9], v1 offset:1328
	s_waitcnt vmcnt(3) lgkmcnt(1)
	v_mul_f64 v[34:35], v[2:3], v[12:13]
	v_mul_f64 v[12:13], v[4:5], v[12:13]
	s_waitcnt vmcnt(2) lgkmcnt(0)
	v_mul_f64 v[36:37], v[6:7], v[16:17]
	s_delay_alu instid0(VALU_DEP_3) | instskip(NEXT) | instid1(VALU_DEP_3)
	v_fma_f64 v[34:35], v[4:5], v[10:11], v[34:35]
	v_fma_f64 v[38:39], v[2:3], v[10:11], -v[12:13]
	v_mul_f64 v[10:11], v[8:9], v[16:17]
	ds_load_b128 v[2:5], v1 offset:1344
	v_fma_f64 v[16:17], v[8:9], v[14:15], v[36:37]
	v_fma_f64 v[14:15], v[6:7], v[14:15], -v[10:11]
	ds_load_b128 v[6:9], v1 offset:1360
	s_waitcnt vmcnt(1) lgkmcnt(1)
	v_mul_f64 v[10:11], v[2:3], v[20:21]
	v_mul_f64 v[12:13], v[4:5], v[20:21]
	s_delay_alu instid0(VALU_DEP_2) | instskip(NEXT) | instid1(VALU_DEP_2)
	v_fma_f64 v[20:21], v[4:5], v[18:19], v[10:11]
	v_fma_f64 v[18:19], v[2:3], v[18:19], -v[12:13]
	s_clause 0x1
	scratch_load_b128 v[2:5], off, off offset:368
	scratch_load_b128 v[10:13], off, off offset:384
	s_waitcnt vmcnt(1) lgkmcnt(0)
	v_mul_f64 v[36:37], v[6:7], v[4:5]
	v_mul_f64 v[4:5], v[8:9], v[4:5]
	s_delay_alu instid0(VALU_DEP_2) | instskip(NEXT) | instid1(VALU_DEP_2)
	v_fma_f64 v[36:37], v[8:9], v[2:3], v[36:37]
	v_fma_f64 v[40:41], v[6:7], v[2:3], -v[4:5]
	ds_load_b128 v[2:5], v1 offset:1376
	ds_load_b128 v[6:9], v1 offset:1392
	s_waitcnt vmcnt(0) lgkmcnt(1)
	v_mul_f64 v[42:43], v[2:3], v[12:13]
	s_delay_alu instid0(VALU_DEP_1) | instskip(SKIP_1) | instid1(VALU_DEP_1)
	v_fma_f64 v[42:43], v[4:5], v[10:11], v[42:43]
	v_mul_f64 v[4:5], v[4:5], v[12:13]
	v_fma_f64 v[44:45], v[2:3], v[10:11], -v[4:5]
	s_clause 0x1
	scratch_load_b128 v[2:5], off, off offset:400
	scratch_load_b128 v[10:13], off, off offset:416
	s_waitcnt vmcnt(1) lgkmcnt(0)
	v_mul_f64 v[46:47], v[6:7], v[4:5]
	v_mul_f64 v[4:5], v[8:9], v[4:5]
	s_delay_alu instid0(VALU_DEP_2) | instskip(NEXT) | instid1(VALU_DEP_2)
	v_fma_f64 v[46:47], v[8:9], v[2:3], v[46:47]
	v_fma_f64 v[48:49], v[6:7], v[2:3], -v[4:5]
	ds_load_b128 v[2:5], v1 offset:1408
	ds_load_b128 v[6:9], v1 offset:1424
	s_waitcnt vmcnt(0) lgkmcnt(1)
	v_mul_f64 v[52:53], v[2:3], v[12:13]
	s_delay_alu instid0(VALU_DEP_1) | instskip(SKIP_1) | instid1(VALU_DEP_1)
	v_fma_f64 v[52:53], v[4:5], v[10:11], v[52:53]
	v_mul_f64 v[4:5], v[4:5], v[12:13]
	;; [unrolled: 17-line block ×18, first 2 shown]
	v_fma_f64 v[106:107], v[2:3], v[10:11], -v[4:5]
	v_add_f64 v[2:3], v[22:23], 0
	v_add_f64 v[4:5], v[24:25], 0
	s_delay_alu instid0(VALU_DEP_2) | instskip(NEXT) | instid1(VALU_DEP_2)
	v_add_f64 v[2:3], v[2:3], v[26:27]
	v_add_f64 v[4:5], v[4:5], v[28:29]
	s_delay_alu instid0(VALU_DEP_2) | instskip(NEXT) | instid1(VALU_DEP_2)
	v_add_f64 v[2:3], v[2:3], v[38:39]
	v_add_f64 v[4:5], v[4:5], v[34:35]
	s_delay_alu instid0(VALU_DEP_2) | instskip(NEXT) | instid1(VALU_DEP_2)
	v_add_f64 v[2:3], v[2:3], v[14:15]
	v_add_f64 v[4:5], v[4:5], v[16:17]
	s_delay_alu instid0(VALU_DEP_2) | instskip(NEXT) | instid1(VALU_DEP_2)
	v_add_f64 v[2:3], v[2:3], v[18:19]
	v_add_f64 v[4:5], v[4:5], v[20:21]
	s_delay_alu instid0(VALU_DEP_2) | instskip(NEXT) | instid1(VALU_DEP_2)
	v_add_f64 v[2:3], v[2:3], v[40:41]
	v_add_f64 v[4:5], v[4:5], v[36:37]
	s_delay_alu instid0(VALU_DEP_2) | instskip(NEXT) | instid1(VALU_DEP_2)
	v_add_f64 v[2:3], v[2:3], v[44:45]
	v_add_f64 v[4:5], v[4:5], v[42:43]
	s_delay_alu instid0(VALU_DEP_2) | instskip(NEXT) | instid1(VALU_DEP_2)
	v_add_f64 v[2:3], v[2:3], v[48:49]
	v_add_f64 v[4:5], v[4:5], v[46:47]
	s_delay_alu instid0(VALU_DEP_2) | instskip(NEXT) | instid1(VALU_DEP_2)
	v_add_f64 v[2:3], v[2:3], v[54:55]
	v_add_f64 v[4:5], v[4:5], v[52:53]
	s_delay_alu instid0(VALU_DEP_2) | instskip(NEXT) | instid1(VALU_DEP_2)
	v_add_f64 v[2:3], v[2:3], v[58:59]
	v_add_f64 v[4:5], v[4:5], v[56:57]
	s_delay_alu instid0(VALU_DEP_2) | instskip(NEXT) | instid1(VALU_DEP_2)
	v_add_f64 v[2:3], v[2:3], v[62:63]
	v_add_f64 v[4:5], v[4:5], v[60:61]
	s_delay_alu instid0(VALU_DEP_2) | instskip(NEXT) | instid1(VALU_DEP_2)
	v_add_f64 v[2:3], v[2:3], v[66:67]
	v_add_f64 v[4:5], v[4:5], v[64:65]
	s_delay_alu instid0(VALU_DEP_2) | instskip(NEXT) | instid1(VALU_DEP_2)
	v_add_f64 v[2:3], v[2:3], v[70:71]
	v_add_f64 v[4:5], v[4:5], v[68:69]
	s_delay_alu instid0(VALU_DEP_2) | instskip(NEXT) | instid1(VALU_DEP_2)
	v_add_f64 v[2:3], v[2:3], v[74:75]
	v_add_f64 v[4:5], v[4:5], v[72:73]
	s_delay_alu instid0(VALU_DEP_2) | instskip(NEXT) | instid1(VALU_DEP_2)
	v_add_f64 v[2:3], v[2:3], v[78:79]
	v_add_f64 v[4:5], v[4:5], v[76:77]
	s_delay_alu instid0(VALU_DEP_2) | instskip(NEXT) | instid1(VALU_DEP_2)
	v_add_f64 v[2:3], v[2:3], v[82:83]
	v_add_f64 v[4:5], v[4:5], v[80:81]
	s_delay_alu instid0(VALU_DEP_2) | instskip(NEXT) | instid1(VALU_DEP_2)
	v_add_f64 v[2:3], v[2:3], v[86:87]
	v_add_f64 v[4:5], v[4:5], v[84:85]
	s_delay_alu instid0(VALU_DEP_2) | instskip(NEXT) | instid1(VALU_DEP_2)
	v_add_f64 v[2:3], v[2:3], v[90:91]
	v_add_f64 v[4:5], v[4:5], v[88:89]
	s_delay_alu instid0(VALU_DEP_2) | instskip(NEXT) | instid1(VALU_DEP_2)
	v_add_f64 v[2:3], v[2:3], v[94:95]
	v_add_f64 v[4:5], v[4:5], v[92:93]
	s_delay_alu instid0(VALU_DEP_2) | instskip(NEXT) | instid1(VALU_DEP_2)
	v_add_f64 v[2:3], v[2:3], v[98:99]
	v_add_f64 v[4:5], v[4:5], v[96:97]
	s_delay_alu instid0(VALU_DEP_2) | instskip(NEXT) | instid1(VALU_DEP_2)
	v_add_f64 v[2:3], v[2:3], v[177:178]
	v_add_f64 v[4:5], v[4:5], v[175:176]
	s_delay_alu instid0(VALU_DEP_2) | instskip(NEXT) | instid1(VALU_DEP_2)
	v_add_f64 v[2:3], v[2:3], v[181:182]
	v_add_f64 v[4:5], v[4:5], v[179:180]
	s_delay_alu instid0(VALU_DEP_2) | instskip(NEXT) | instid1(VALU_DEP_2)
	v_add_f64 v[2:3], v[2:3], v[185:186]
	v_add_f64 v[4:5], v[4:5], v[183:184]
	s_delay_alu instid0(VALU_DEP_2) | instskip(NEXT) | instid1(VALU_DEP_2)
	v_add_f64 v[2:3], v[2:3], v[189:190]
	v_add_f64 v[4:5], v[4:5], v[187:188]
	s_delay_alu instid0(VALU_DEP_2) | instskip(NEXT) | instid1(VALU_DEP_2)
	v_add_f64 v[2:3], v[2:3], v[194:195]
	v_add_f64 v[4:5], v[4:5], v[191:192]
	s_delay_alu instid0(VALU_DEP_2) | instskip(NEXT) | instid1(VALU_DEP_2)
	v_add_f64 v[2:3], v[2:3], v[198:199]
	v_add_f64 v[4:5], v[4:5], v[196:197]
	s_delay_alu instid0(VALU_DEP_2) | instskip(NEXT) | instid1(VALU_DEP_2)
	v_add_f64 v[2:3], v[2:3], v[202:203]
	v_add_f64 v[4:5], v[4:5], v[200:201]
	s_delay_alu instid0(VALU_DEP_2) | instskip(NEXT) | instid1(VALU_DEP_2)
	v_add_f64 v[2:3], v[2:3], v[206:207]
	v_add_f64 v[4:5], v[4:5], v[204:205]
	s_delay_alu instid0(VALU_DEP_2) | instskip(NEXT) | instid1(VALU_DEP_2)
	v_add_f64 v[2:3], v[2:3], v[210:211]
	v_add_f64 v[4:5], v[4:5], v[208:209]
	s_delay_alu instid0(VALU_DEP_2) | instskip(NEXT) | instid1(VALU_DEP_2)
	v_add_f64 v[2:3], v[2:3], v[215:216]
	v_add_f64 v[4:5], v[4:5], v[212:213]
	s_delay_alu instid0(VALU_DEP_2) | instskip(NEXT) | instid1(VALU_DEP_2)
	v_add_f64 v[2:3], v[2:3], v[220:221]
	v_add_f64 v[4:5], v[4:5], v[217:218]
	s_delay_alu instid0(VALU_DEP_2) | instskip(NEXT) | instid1(VALU_DEP_2)
	v_add_f64 v[2:3], v[2:3], v[224:225]
	v_add_f64 v[4:5], v[4:5], v[222:223]
	s_delay_alu instid0(VALU_DEP_2) | instskip(NEXT) | instid1(VALU_DEP_2)
	v_add_f64 v[2:3], v[2:3], v[228:229]
	v_add_f64 v[4:5], v[4:5], v[226:227]
	s_delay_alu instid0(VALU_DEP_2) | instskip(NEXT) | instid1(VALU_DEP_2)
	v_add_f64 v[2:3], v[2:3], v[232:233]
	v_add_f64 v[4:5], v[4:5], v[230:231]
	s_delay_alu instid0(VALU_DEP_2) | instskip(NEXT) | instid1(VALU_DEP_2)
	v_add_f64 v[2:3], v[2:3], v[237:238]
	v_add_f64 v[10:11], v[4:5], v[234:235]
	s_delay_alu instid0(VALU_DEP_2)
	v_add_f64 v[12:13], v[2:3], v[241:242]
	scratch_load_b128 v[2:5], off, off offset:944
	v_add_f64 v[14:15], v[10:11], v[239:240]
	v_add_f64 v[16:17], v[12:13], v[245:246]
	scratch_load_b128 v[10:13], off, off offset:960
	v_add_f64 v[18:19], v[14:15], v[243:244]
	;; [unrolled: 3-line block ×3, first 2 shown]
	v_add_f64 v[20:21], v[20:21], v[253:254]
	s_delay_alu instid0(VALU_DEP_2) | instskip(NEXT) | instid1(VALU_DEP_2)
	v_add_f64 v[18:19], v[18:19], v[251:252]
	v_add_f64 v[28:29], v[20:21], v[102:103]
	s_delay_alu instid0(VALU_DEP_2)
	v_add_f64 v[34:35], v[18:19], v[100:101]
	ds_load_b128 v[18:21], v1 offset:1952
	ds_load_b128 v[22:25], v1 offset:1968
	s_waitcnt vmcnt(2) lgkmcnt(2)
	v_mul_f64 v[26:27], v[6:7], v[4:5]
	v_mul_f64 v[4:5], v[8:9], v[4:5]
	s_waitcnt vmcnt(1) lgkmcnt(1)
	v_mul_f64 v[36:37], v[18:19], v[12:13]
	s_delay_alu instid0(VALU_DEP_3) | instskip(NEXT) | instid1(VALU_DEP_3)
	v_fma_f64 v[8:9], v[8:9], v[2:3], v[26:27]
	v_fma_f64 v[1:2], v[6:7], v[2:3], -v[4:5]
	v_mul_f64 v[3:4], v[20:21], v[12:13]
	v_add_f64 v[5:6], v[28:29], v[106:107]
	v_add_f64 v[12:13], v[34:35], v[104:105]
	s_waitcnt vmcnt(0) lgkmcnt(0)
	v_mul_f64 v[26:27], v[22:23], v[16:17]
	v_mul_f64 v[16:17], v[24:25], v[16:17]
	v_fma_f64 v[20:21], v[20:21], v[10:11], v[36:37]
	v_fma_f64 v[3:4], v[18:19], v[10:11], -v[3:4]
	v_add_f64 v[1:2], v[5:6], v[1:2]
	v_add_f64 v[5:6], v[12:13], v[8:9]
	v_fma_f64 v[7:8], v[24:25], v[14:15], v[26:27]
	v_fma_f64 v[9:10], v[22:23], v[14:15], -v[16:17]
	s_delay_alu instid0(VALU_DEP_4) | instskip(NEXT) | instid1(VALU_DEP_4)
	v_add_f64 v[1:2], v[1:2], v[3:4]
	v_add_f64 v[3:4], v[5:6], v[20:21]
	s_delay_alu instid0(VALU_DEP_2) | instskip(NEXT) | instid1(VALU_DEP_2)
	v_add_f64 v[1:2], v[1:2], v[9:10]
	v_add_f64 v[3:4], v[3:4], v[7:8]
	s_delay_alu instid0(VALU_DEP_2) | instskip(NEXT) | instid1(VALU_DEP_2)
	v_add_f64 v[1:2], v[30:31], -v[1:2]
	v_add_f64 v[3:4], v[32:33], -v[3:4]
	scratch_store_b128 off, v[1:4], off offset:272
	v_cmpx_lt_u32_e32 16, v174
	s_cbranch_execz .LBB61_365
; %bb.364:
	scratch_load_b32 v1, off, off offset:1120 ; 4-byte Folded Reload
	v_mov_b32_e32 v5, 0
	s_delay_alu instid0(VALU_DEP_1)
	v_mov_b32_e32 v6, v5
	v_mov_b32_e32 v7, v5
	;; [unrolled: 1-line block ×3, first 2 shown]
	s_waitcnt vmcnt(0)
	scratch_load_b128 v[1:4], v1, off
	scratch_store_b128 off, v[5:8], off offset:256
	s_waitcnt vmcnt(0)
	ds_store_b128 v236, v[1:4]
.LBB61_365:
	s_or_b32 exec_lo, exec_lo, s2
	s_waitcnt lgkmcnt(0)
	s_waitcnt_vscnt null, 0x0
	s_barrier
	buffer_gl0_inv
	s_clause 0x4
	scratch_load_b128 v[2:5], off, off offset:272
	scratch_load_b128 v[6:9], off, off offset:288
	;; [unrolled: 1-line block ×5, first 2 shown]
	v_mov_b32_e32 v1, 0
	scratch_load_b128 v[26:29], off, off offset:256
	s_mov_b32 s2, exec_lo
	ds_load_b128 v[22:25], v1 offset:1264
	ds_load_b128 v[30:33], v1 offset:1280
	s_waitcnt vmcnt(5) lgkmcnt(1)
	v_mul_f64 v[34:35], v[24:25], v[4:5]
	v_mul_f64 v[4:5], v[22:23], v[4:5]
	s_waitcnt vmcnt(4) lgkmcnt(0)
	v_mul_f64 v[36:37], v[30:31], v[8:9]
	v_mul_f64 v[8:9], v[32:33], v[8:9]
	s_delay_alu instid0(VALU_DEP_4) | instskip(NEXT) | instid1(VALU_DEP_4)
	v_fma_f64 v[22:23], v[22:23], v[2:3], -v[34:35]
	v_fma_f64 v[24:25], v[24:25], v[2:3], v[4:5]
	ds_load_b128 v[2:5], v1 offset:1296
	v_fma_f64 v[32:33], v[32:33], v[6:7], v[36:37]
	v_fma_f64 v[30:31], v[30:31], v[6:7], -v[8:9]
	ds_load_b128 v[6:9], v1 offset:1312
	s_waitcnt vmcnt(3) lgkmcnt(1)
	v_mul_f64 v[34:35], v[2:3], v[12:13]
	v_mul_f64 v[12:13], v[4:5], v[12:13]
	s_waitcnt vmcnt(2) lgkmcnt(0)
	v_mul_f64 v[36:37], v[6:7], v[16:17]
	s_delay_alu instid0(VALU_DEP_3) | instskip(NEXT) | instid1(VALU_DEP_3)
	v_fma_f64 v[34:35], v[4:5], v[10:11], v[34:35]
	v_fma_f64 v[38:39], v[2:3], v[10:11], -v[12:13]
	v_mul_f64 v[10:11], v[8:9], v[16:17]
	ds_load_b128 v[2:5], v1 offset:1328
	v_fma_f64 v[16:17], v[8:9], v[14:15], v[36:37]
	v_fma_f64 v[14:15], v[6:7], v[14:15], -v[10:11]
	ds_load_b128 v[6:9], v1 offset:1344
	s_waitcnt vmcnt(1) lgkmcnt(1)
	v_mul_f64 v[10:11], v[2:3], v[20:21]
	v_mul_f64 v[12:13], v[4:5], v[20:21]
	s_delay_alu instid0(VALU_DEP_2) | instskip(NEXT) | instid1(VALU_DEP_2)
	v_fma_f64 v[20:21], v[4:5], v[18:19], v[10:11]
	v_fma_f64 v[18:19], v[2:3], v[18:19], -v[12:13]
	s_clause 0x1
	scratch_load_b128 v[2:5], off, off offset:352
	scratch_load_b128 v[10:13], off, off offset:368
	s_waitcnt vmcnt(1) lgkmcnt(0)
	v_mul_f64 v[36:37], v[6:7], v[4:5]
	v_mul_f64 v[4:5], v[8:9], v[4:5]
	s_delay_alu instid0(VALU_DEP_2) | instskip(NEXT) | instid1(VALU_DEP_2)
	v_fma_f64 v[36:37], v[8:9], v[2:3], v[36:37]
	v_fma_f64 v[40:41], v[6:7], v[2:3], -v[4:5]
	ds_load_b128 v[2:5], v1 offset:1360
	ds_load_b128 v[6:9], v1 offset:1376
	s_waitcnt vmcnt(0) lgkmcnt(1)
	v_mul_f64 v[42:43], v[2:3], v[12:13]
	s_delay_alu instid0(VALU_DEP_1) | instskip(SKIP_1) | instid1(VALU_DEP_1)
	v_fma_f64 v[42:43], v[4:5], v[10:11], v[42:43]
	v_mul_f64 v[4:5], v[4:5], v[12:13]
	v_fma_f64 v[44:45], v[2:3], v[10:11], -v[4:5]
	s_clause 0x1
	scratch_load_b128 v[2:5], off, off offset:384
	scratch_load_b128 v[10:13], off, off offset:400
	s_waitcnt vmcnt(1) lgkmcnt(0)
	v_mul_f64 v[46:47], v[6:7], v[4:5]
	v_mul_f64 v[4:5], v[8:9], v[4:5]
	s_delay_alu instid0(VALU_DEP_2) | instskip(NEXT) | instid1(VALU_DEP_2)
	v_fma_f64 v[46:47], v[8:9], v[2:3], v[46:47]
	v_fma_f64 v[48:49], v[6:7], v[2:3], -v[4:5]
	ds_load_b128 v[2:5], v1 offset:1392
	ds_load_b128 v[6:9], v1 offset:1408
	s_waitcnt vmcnt(0) lgkmcnt(1)
	v_mul_f64 v[52:53], v[2:3], v[12:13]
	s_delay_alu instid0(VALU_DEP_1) | instskip(SKIP_1) | instid1(VALU_DEP_1)
	v_fma_f64 v[52:53], v[4:5], v[10:11], v[52:53]
	v_mul_f64 v[4:5], v[4:5], v[12:13]
	;; [unrolled: 17-line block ×18, first 2 shown]
	v_fma_f64 v[253:254], v[2:3], v[10:11], -v[4:5]
	v_add_f64 v[2:3], v[22:23], 0
	v_add_f64 v[4:5], v[24:25], 0
	s_delay_alu instid0(VALU_DEP_2) | instskip(NEXT) | instid1(VALU_DEP_2)
	v_add_f64 v[2:3], v[2:3], v[30:31]
	v_add_f64 v[4:5], v[4:5], v[32:33]
	s_delay_alu instid0(VALU_DEP_2) | instskip(NEXT) | instid1(VALU_DEP_2)
	v_add_f64 v[2:3], v[2:3], v[38:39]
	v_add_f64 v[4:5], v[4:5], v[34:35]
	s_delay_alu instid0(VALU_DEP_2) | instskip(NEXT) | instid1(VALU_DEP_2)
	v_add_f64 v[2:3], v[2:3], v[14:15]
	v_add_f64 v[4:5], v[4:5], v[16:17]
	s_delay_alu instid0(VALU_DEP_2) | instskip(NEXT) | instid1(VALU_DEP_2)
	v_add_f64 v[2:3], v[2:3], v[18:19]
	v_add_f64 v[4:5], v[4:5], v[20:21]
	s_delay_alu instid0(VALU_DEP_2) | instskip(NEXT) | instid1(VALU_DEP_2)
	v_add_f64 v[2:3], v[2:3], v[40:41]
	v_add_f64 v[4:5], v[4:5], v[36:37]
	s_delay_alu instid0(VALU_DEP_2) | instskip(NEXT) | instid1(VALU_DEP_2)
	v_add_f64 v[2:3], v[2:3], v[44:45]
	v_add_f64 v[4:5], v[4:5], v[42:43]
	s_delay_alu instid0(VALU_DEP_2) | instskip(NEXT) | instid1(VALU_DEP_2)
	v_add_f64 v[2:3], v[2:3], v[48:49]
	v_add_f64 v[4:5], v[4:5], v[46:47]
	s_delay_alu instid0(VALU_DEP_2) | instskip(NEXT) | instid1(VALU_DEP_2)
	v_add_f64 v[2:3], v[2:3], v[54:55]
	v_add_f64 v[4:5], v[4:5], v[52:53]
	s_delay_alu instid0(VALU_DEP_2) | instskip(NEXT) | instid1(VALU_DEP_2)
	v_add_f64 v[2:3], v[2:3], v[58:59]
	v_add_f64 v[4:5], v[4:5], v[56:57]
	s_delay_alu instid0(VALU_DEP_2) | instskip(NEXT) | instid1(VALU_DEP_2)
	v_add_f64 v[2:3], v[2:3], v[62:63]
	v_add_f64 v[4:5], v[4:5], v[60:61]
	s_delay_alu instid0(VALU_DEP_2) | instskip(NEXT) | instid1(VALU_DEP_2)
	v_add_f64 v[2:3], v[2:3], v[66:67]
	v_add_f64 v[4:5], v[4:5], v[64:65]
	s_delay_alu instid0(VALU_DEP_2) | instskip(NEXT) | instid1(VALU_DEP_2)
	v_add_f64 v[2:3], v[2:3], v[70:71]
	v_add_f64 v[4:5], v[4:5], v[68:69]
	s_delay_alu instid0(VALU_DEP_2) | instskip(NEXT) | instid1(VALU_DEP_2)
	v_add_f64 v[2:3], v[2:3], v[74:75]
	v_add_f64 v[4:5], v[4:5], v[72:73]
	s_delay_alu instid0(VALU_DEP_2) | instskip(NEXT) | instid1(VALU_DEP_2)
	v_add_f64 v[2:3], v[2:3], v[78:79]
	v_add_f64 v[4:5], v[4:5], v[76:77]
	s_delay_alu instid0(VALU_DEP_2) | instskip(NEXT) | instid1(VALU_DEP_2)
	v_add_f64 v[2:3], v[2:3], v[82:83]
	v_add_f64 v[4:5], v[4:5], v[80:81]
	s_delay_alu instid0(VALU_DEP_2) | instskip(NEXT) | instid1(VALU_DEP_2)
	v_add_f64 v[2:3], v[2:3], v[86:87]
	v_add_f64 v[4:5], v[4:5], v[84:85]
	s_delay_alu instid0(VALU_DEP_2) | instskip(NEXT) | instid1(VALU_DEP_2)
	v_add_f64 v[2:3], v[2:3], v[90:91]
	v_add_f64 v[4:5], v[4:5], v[88:89]
	s_delay_alu instid0(VALU_DEP_2) | instskip(NEXT) | instid1(VALU_DEP_2)
	v_add_f64 v[2:3], v[2:3], v[94:95]
	v_add_f64 v[4:5], v[4:5], v[92:93]
	s_delay_alu instid0(VALU_DEP_2) | instskip(NEXT) | instid1(VALU_DEP_2)
	v_add_f64 v[2:3], v[2:3], v[98:99]
	v_add_f64 v[4:5], v[4:5], v[96:97]
	s_delay_alu instid0(VALU_DEP_2) | instskip(NEXT) | instid1(VALU_DEP_2)
	v_add_f64 v[2:3], v[2:3], v[102:103]
	v_add_f64 v[4:5], v[4:5], v[100:101]
	s_delay_alu instid0(VALU_DEP_2) | instskip(NEXT) | instid1(VALU_DEP_2)
	v_add_f64 v[2:3], v[2:3], v[106:107]
	v_add_f64 v[4:5], v[4:5], v[104:105]
	s_delay_alu instid0(VALU_DEP_2) | instskip(NEXT) | instid1(VALU_DEP_2)
	v_add_f64 v[2:3], v[2:3], v[177:178]
	v_add_f64 v[4:5], v[4:5], v[175:176]
	s_delay_alu instid0(VALU_DEP_2) | instskip(NEXT) | instid1(VALU_DEP_2)
	v_add_f64 v[2:3], v[2:3], v[181:182]
	v_add_f64 v[4:5], v[4:5], v[179:180]
	s_delay_alu instid0(VALU_DEP_2) | instskip(NEXT) | instid1(VALU_DEP_2)
	v_add_f64 v[2:3], v[2:3], v[185:186]
	v_add_f64 v[4:5], v[4:5], v[183:184]
	s_delay_alu instid0(VALU_DEP_2) | instskip(NEXT) | instid1(VALU_DEP_2)
	v_add_f64 v[2:3], v[2:3], v[189:190]
	v_add_f64 v[4:5], v[4:5], v[187:188]
	s_delay_alu instid0(VALU_DEP_2) | instskip(NEXT) | instid1(VALU_DEP_2)
	v_add_f64 v[2:3], v[2:3], v[194:195]
	v_add_f64 v[4:5], v[4:5], v[191:192]
	s_delay_alu instid0(VALU_DEP_2) | instskip(NEXT) | instid1(VALU_DEP_2)
	v_add_f64 v[2:3], v[2:3], v[198:199]
	v_add_f64 v[4:5], v[4:5], v[196:197]
	s_delay_alu instid0(VALU_DEP_2) | instskip(NEXT) | instid1(VALU_DEP_2)
	v_add_f64 v[2:3], v[2:3], v[202:203]
	v_add_f64 v[4:5], v[4:5], v[200:201]
	s_delay_alu instid0(VALU_DEP_2) | instskip(NEXT) | instid1(VALU_DEP_2)
	v_add_f64 v[2:3], v[2:3], v[206:207]
	v_add_f64 v[4:5], v[4:5], v[204:205]
	s_delay_alu instid0(VALU_DEP_2) | instskip(NEXT) | instid1(VALU_DEP_2)
	v_add_f64 v[2:3], v[2:3], v[210:211]
	v_add_f64 v[4:5], v[4:5], v[208:209]
	s_delay_alu instid0(VALU_DEP_2) | instskip(NEXT) | instid1(VALU_DEP_2)
	v_add_f64 v[2:3], v[2:3], v[215:216]
	v_add_f64 v[4:5], v[4:5], v[212:213]
	s_delay_alu instid0(VALU_DEP_2) | instskip(NEXT) | instid1(VALU_DEP_2)
	v_add_f64 v[2:3], v[2:3], v[220:221]
	v_add_f64 v[4:5], v[4:5], v[217:218]
	s_delay_alu instid0(VALU_DEP_2) | instskip(NEXT) | instid1(VALU_DEP_2)
	v_add_f64 v[2:3], v[2:3], v[224:225]
	v_add_f64 v[4:5], v[4:5], v[222:223]
	s_delay_alu instid0(VALU_DEP_2) | instskip(NEXT) | instid1(VALU_DEP_2)
	v_add_f64 v[2:3], v[2:3], v[228:229]
	v_add_f64 v[10:11], v[4:5], v[226:227]
	s_delay_alu instid0(VALU_DEP_2)
	v_add_f64 v[12:13], v[2:3], v[232:233]
	scratch_load_b128 v[2:5], off, off offset:928
	v_add_f64 v[14:15], v[10:11], v[230:231]
	v_add_f64 v[16:17], v[12:13], v[237:238]
	scratch_load_b128 v[10:13], off, off offset:944
	v_add_f64 v[18:19], v[14:15], v[234:235]
	v_add_f64 v[20:21], v[16:17], v[241:242]
	scratch_load_b128 v[14:17], off, off offset:960
	v_add_f64 v[22:23], v[18:19], v[239:240]
	v_add_f64 v[24:25], v[20:21], v[245:246]
	scratch_load_b128 v[18:21], off, off offset:976
	v_add_f64 v[22:23], v[22:23], v[243:244]
	v_add_f64 v[24:25], v[24:25], v[249:250]
	s_delay_alu instid0(VALU_DEP_2) | instskip(NEXT) | instid1(VALU_DEP_2)
	v_add_f64 v[22:23], v[22:23], v[247:248]
	v_add_f64 v[24:25], v[24:25], v[253:254]
	s_delay_alu instid0(VALU_DEP_2) | instskip(SKIP_3) | instid1(VALU_DEP_2)
	v_add_f64 v[22:23], v[22:23], v[251:252]
	s_waitcnt vmcnt(3) lgkmcnt(0)
	v_mul_f64 v[30:31], v[6:7], v[4:5]
	v_mul_f64 v[4:5], v[8:9], v[4:5]
	v_fma_f64 v[30:31], v[8:9], v[2:3], v[30:31]
	s_delay_alu instid0(VALU_DEP_2)
	v_fma_f64 v[32:33], v[6:7], v[2:3], -v[4:5]
	ds_load_b128 v[2:5], v1 offset:1936
	ds_load_b128 v[6:9], v1 offset:1952
	s_waitcnt vmcnt(2) lgkmcnt(1)
	v_mul_f64 v[34:35], v[2:3], v[12:13]
	v_mul_f64 v[12:13], v[4:5], v[12:13]
	s_waitcnt vmcnt(1) lgkmcnt(0)
	v_mul_f64 v[36:37], v[6:7], v[16:17]
	v_add_f64 v[22:23], v[22:23], v[30:31]
	s_delay_alu instid0(VALU_DEP_4) | instskip(NEXT) | instid1(VALU_DEP_4)
	v_fma_f64 v[34:35], v[4:5], v[10:11], v[34:35]
	v_fma_f64 v[10:11], v[2:3], v[10:11], -v[12:13]
	v_mul_f64 v[12:13], v[8:9], v[16:17]
	v_add_f64 v[16:17], v[24:25], v[32:33]
	ds_load_b128 v[2:5], v1 offset:1968
	v_fma_f64 v[8:9], v[8:9], v[14:15], v[36:37]
	s_waitcnt vmcnt(0) lgkmcnt(0)
	v_mul_f64 v[24:25], v[2:3], v[20:21]
	v_mul_f64 v[20:21], v[4:5], v[20:21]
	v_fma_f64 v[6:7], v[6:7], v[14:15], -v[12:13]
	v_add_f64 v[10:11], v[16:17], v[10:11]
	v_add_f64 v[12:13], v[22:23], v[34:35]
	v_fma_f64 v[4:5], v[4:5], v[18:19], v[24:25]
	v_fma_f64 v[2:3], v[2:3], v[18:19], -v[20:21]
	s_delay_alu instid0(VALU_DEP_4) | instskip(NEXT) | instid1(VALU_DEP_4)
	v_add_f64 v[6:7], v[10:11], v[6:7]
	v_add_f64 v[8:9], v[12:13], v[8:9]
	s_delay_alu instid0(VALU_DEP_2) | instskip(NEXT) | instid1(VALU_DEP_2)
	v_add_f64 v[2:3], v[6:7], v[2:3]
	v_add_f64 v[4:5], v[8:9], v[4:5]
	s_delay_alu instid0(VALU_DEP_2) | instskip(NEXT) | instid1(VALU_DEP_2)
	v_add_f64 v[2:3], v[26:27], -v[2:3]
	v_add_f64 v[4:5], v[28:29], -v[4:5]
	scratch_store_b128 off, v[2:5], off offset:256
	v_cmpx_lt_u32_e32 15, v174
	s_cbranch_execz .LBB61_367
; %bb.366:
	scratch_load_b32 v2, off, off offset:1124 ; 4-byte Folded Reload
	v_mov_b32_e32 v3, v1
	v_mov_b32_e32 v4, v1
	s_waitcnt vmcnt(0)
	scratch_load_b128 v[5:8], v2, off
	v_mov_b32_e32 v2, v1
	scratch_store_b128 off, v[1:4], off offset:240
	s_waitcnt vmcnt(0)
	ds_store_b128 v236, v[5:8]
.LBB61_367:
	s_or_b32 exec_lo, exec_lo, s2
	s_waitcnt lgkmcnt(0)
	s_waitcnt_vscnt null, 0x0
	s_barrier
	buffer_gl0_inv
	s_clause 0x4
	scratch_load_b128 v[2:5], off, off offset:256
	scratch_load_b128 v[6:9], off, off offset:272
	;; [unrolled: 1-line block ×5, first 2 shown]
	ds_load_b128 v[22:25], v1 offset:1248
	ds_load_b128 v[26:29], v1 offset:1264
	scratch_load_b128 v[30:33], off, off offset:240
	s_mov_b32 s2, exec_lo
	s_waitcnt vmcnt(5) lgkmcnt(1)
	v_mul_f64 v[34:35], v[24:25], v[4:5]
	v_mul_f64 v[4:5], v[22:23], v[4:5]
	s_waitcnt vmcnt(4) lgkmcnt(0)
	v_mul_f64 v[36:37], v[26:27], v[8:9]
	v_mul_f64 v[8:9], v[28:29], v[8:9]
	s_delay_alu instid0(VALU_DEP_4) | instskip(NEXT) | instid1(VALU_DEP_4)
	v_fma_f64 v[22:23], v[22:23], v[2:3], -v[34:35]
	v_fma_f64 v[24:25], v[24:25], v[2:3], v[4:5]
	ds_load_b128 v[2:5], v1 offset:1280
	v_fma_f64 v[28:29], v[28:29], v[6:7], v[36:37]
	v_fma_f64 v[26:27], v[26:27], v[6:7], -v[8:9]
	ds_load_b128 v[6:9], v1 offset:1296
	s_waitcnt vmcnt(3) lgkmcnt(1)
	v_mul_f64 v[34:35], v[2:3], v[12:13]
	v_mul_f64 v[12:13], v[4:5], v[12:13]
	s_waitcnt vmcnt(2) lgkmcnt(0)
	v_mul_f64 v[36:37], v[6:7], v[16:17]
	s_delay_alu instid0(VALU_DEP_3) | instskip(NEXT) | instid1(VALU_DEP_3)
	v_fma_f64 v[34:35], v[4:5], v[10:11], v[34:35]
	v_fma_f64 v[38:39], v[2:3], v[10:11], -v[12:13]
	v_mul_f64 v[10:11], v[8:9], v[16:17]
	ds_load_b128 v[2:5], v1 offset:1312
	v_fma_f64 v[16:17], v[8:9], v[14:15], v[36:37]
	v_fma_f64 v[14:15], v[6:7], v[14:15], -v[10:11]
	ds_load_b128 v[6:9], v1 offset:1328
	s_waitcnt vmcnt(1) lgkmcnt(1)
	v_mul_f64 v[10:11], v[2:3], v[20:21]
	v_mul_f64 v[12:13], v[4:5], v[20:21]
	s_delay_alu instid0(VALU_DEP_2) | instskip(NEXT) | instid1(VALU_DEP_2)
	v_fma_f64 v[20:21], v[4:5], v[18:19], v[10:11]
	v_fma_f64 v[18:19], v[2:3], v[18:19], -v[12:13]
	s_clause 0x1
	scratch_load_b128 v[2:5], off, off offset:336
	scratch_load_b128 v[10:13], off, off offset:352
	s_waitcnt vmcnt(1) lgkmcnt(0)
	v_mul_f64 v[36:37], v[6:7], v[4:5]
	v_mul_f64 v[4:5], v[8:9], v[4:5]
	s_delay_alu instid0(VALU_DEP_2) | instskip(NEXT) | instid1(VALU_DEP_2)
	v_fma_f64 v[36:37], v[8:9], v[2:3], v[36:37]
	v_fma_f64 v[40:41], v[6:7], v[2:3], -v[4:5]
	ds_load_b128 v[2:5], v1 offset:1344
	ds_load_b128 v[6:9], v1 offset:1360
	s_waitcnt vmcnt(0) lgkmcnt(1)
	v_mul_f64 v[42:43], v[2:3], v[12:13]
	s_delay_alu instid0(VALU_DEP_1) | instskip(SKIP_1) | instid1(VALU_DEP_1)
	v_fma_f64 v[42:43], v[4:5], v[10:11], v[42:43]
	v_mul_f64 v[4:5], v[4:5], v[12:13]
	v_fma_f64 v[44:45], v[2:3], v[10:11], -v[4:5]
	s_clause 0x1
	scratch_load_b128 v[2:5], off, off offset:368
	scratch_load_b128 v[10:13], off, off offset:384
	s_waitcnt vmcnt(1) lgkmcnt(0)
	v_mul_f64 v[46:47], v[6:7], v[4:5]
	v_mul_f64 v[4:5], v[8:9], v[4:5]
	s_delay_alu instid0(VALU_DEP_2) | instskip(NEXT) | instid1(VALU_DEP_2)
	v_fma_f64 v[46:47], v[8:9], v[2:3], v[46:47]
	v_fma_f64 v[48:49], v[6:7], v[2:3], -v[4:5]
	ds_load_b128 v[2:5], v1 offset:1376
	ds_load_b128 v[6:9], v1 offset:1392
	s_waitcnt vmcnt(0) lgkmcnt(1)
	v_mul_f64 v[52:53], v[2:3], v[12:13]
	s_delay_alu instid0(VALU_DEP_1) | instskip(SKIP_1) | instid1(VALU_DEP_1)
	v_fma_f64 v[52:53], v[4:5], v[10:11], v[52:53]
	v_mul_f64 v[4:5], v[4:5], v[12:13]
	;; [unrolled: 17-line block ×19, first 2 shown]
	v_fma_f64 v[114:115], v[2:3], v[10:11], -v[4:5]
	v_add_f64 v[2:3], v[22:23], 0
	v_add_f64 v[4:5], v[24:25], 0
	s_delay_alu instid0(VALU_DEP_2) | instskip(NEXT) | instid1(VALU_DEP_2)
	v_add_f64 v[2:3], v[2:3], v[26:27]
	v_add_f64 v[4:5], v[4:5], v[28:29]
	s_delay_alu instid0(VALU_DEP_2) | instskip(NEXT) | instid1(VALU_DEP_2)
	;; [unrolled: 3-line block ×36, first 2 shown]
	v_add_f64 v[2:3], v[2:3], v[237:238]
	v_add_f64 v[10:11], v[4:5], v[234:235]
	s_delay_alu instid0(VALU_DEP_2)
	v_add_f64 v[12:13], v[2:3], v[241:242]
	scratch_load_b128 v[2:5], off, off offset:944
	v_add_f64 v[14:15], v[10:11], v[239:240]
	v_add_f64 v[16:17], v[12:13], v[245:246]
	scratch_load_b128 v[10:13], off, off offset:960
	v_add_f64 v[18:19], v[14:15], v[243:244]
	;; [unrolled: 3-line block ×3, first 2 shown]
	v_add_f64 v[20:21], v[20:21], v[253:254]
	s_delay_alu instid0(VALU_DEP_2) | instskip(NEXT) | instid1(VALU_DEP_2)
	v_add_f64 v[18:19], v[18:19], v[251:252]
	v_add_f64 v[28:29], v[20:21], v[110:111]
	s_delay_alu instid0(VALU_DEP_2)
	v_add_f64 v[34:35], v[18:19], v[108:109]
	ds_load_b128 v[18:21], v1 offset:1952
	ds_load_b128 v[22:25], v1 offset:1968
	s_waitcnt vmcnt(2) lgkmcnt(2)
	v_mul_f64 v[26:27], v[6:7], v[4:5]
	v_mul_f64 v[4:5], v[8:9], v[4:5]
	s_waitcnt vmcnt(1) lgkmcnt(1)
	v_mul_f64 v[36:37], v[18:19], v[12:13]
	s_delay_alu instid0(VALU_DEP_3) | instskip(NEXT) | instid1(VALU_DEP_3)
	v_fma_f64 v[8:9], v[8:9], v[2:3], v[26:27]
	v_fma_f64 v[1:2], v[6:7], v[2:3], -v[4:5]
	v_mul_f64 v[3:4], v[20:21], v[12:13]
	v_add_f64 v[5:6], v[28:29], v[114:115]
	v_add_f64 v[12:13], v[34:35], v[112:113]
	s_waitcnt vmcnt(0) lgkmcnt(0)
	v_mul_f64 v[26:27], v[22:23], v[16:17]
	v_mul_f64 v[16:17], v[24:25], v[16:17]
	v_fma_f64 v[20:21], v[20:21], v[10:11], v[36:37]
	v_fma_f64 v[3:4], v[18:19], v[10:11], -v[3:4]
	v_add_f64 v[1:2], v[5:6], v[1:2]
	v_add_f64 v[5:6], v[12:13], v[8:9]
	v_fma_f64 v[7:8], v[24:25], v[14:15], v[26:27]
	v_fma_f64 v[9:10], v[22:23], v[14:15], -v[16:17]
	s_delay_alu instid0(VALU_DEP_4) | instskip(NEXT) | instid1(VALU_DEP_4)
	v_add_f64 v[1:2], v[1:2], v[3:4]
	v_add_f64 v[3:4], v[5:6], v[20:21]
	s_delay_alu instid0(VALU_DEP_2) | instskip(NEXT) | instid1(VALU_DEP_2)
	v_add_f64 v[1:2], v[1:2], v[9:10]
	v_add_f64 v[3:4], v[3:4], v[7:8]
	s_delay_alu instid0(VALU_DEP_2) | instskip(NEXT) | instid1(VALU_DEP_2)
	v_add_f64 v[1:2], v[30:31], -v[1:2]
	v_add_f64 v[3:4], v[32:33], -v[3:4]
	scratch_store_b128 off, v[1:4], off offset:240
	v_cmpx_lt_u32_e32 14, v174
	s_cbranch_execz .LBB61_369
; %bb.368:
	scratch_load_b32 v1, off, off offset:1128 ; 4-byte Folded Reload
	v_mov_b32_e32 v5, 0
	s_delay_alu instid0(VALU_DEP_1)
	v_mov_b32_e32 v6, v5
	v_mov_b32_e32 v7, v5
	;; [unrolled: 1-line block ×3, first 2 shown]
	s_waitcnt vmcnt(0)
	scratch_load_b128 v[1:4], v1, off
	scratch_store_b128 off, v[5:8], off offset:224
	s_waitcnt vmcnt(0)
	ds_store_b128 v236, v[1:4]
.LBB61_369:
	s_or_b32 exec_lo, exec_lo, s2
	s_waitcnt lgkmcnt(0)
	s_waitcnt_vscnt null, 0x0
	s_barrier
	buffer_gl0_inv
	s_clause 0x4
	scratch_load_b128 v[2:5], off, off offset:240
	scratch_load_b128 v[6:9], off, off offset:256
	;; [unrolled: 1-line block ×5, first 2 shown]
	v_mov_b32_e32 v1, 0
	scratch_load_b128 v[26:29], off, off offset:224
	s_mov_b32 s2, exec_lo
	ds_load_b128 v[22:25], v1 offset:1232
	ds_load_b128 v[30:33], v1 offset:1248
	s_waitcnt vmcnt(5) lgkmcnt(1)
	v_mul_f64 v[34:35], v[24:25], v[4:5]
	v_mul_f64 v[4:5], v[22:23], v[4:5]
	s_waitcnt vmcnt(4) lgkmcnt(0)
	v_mul_f64 v[36:37], v[30:31], v[8:9]
	v_mul_f64 v[8:9], v[32:33], v[8:9]
	s_delay_alu instid0(VALU_DEP_4) | instskip(NEXT) | instid1(VALU_DEP_4)
	v_fma_f64 v[22:23], v[22:23], v[2:3], -v[34:35]
	v_fma_f64 v[24:25], v[24:25], v[2:3], v[4:5]
	ds_load_b128 v[2:5], v1 offset:1264
	v_fma_f64 v[32:33], v[32:33], v[6:7], v[36:37]
	v_fma_f64 v[30:31], v[30:31], v[6:7], -v[8:9]
	ds_load_b128 v[6:9], v1 offset:1280
	s_waitcnt vmcnt(3) lgkmcnt(1)
	v_mul_f64 v[34:35], v[2:3], v[12:13]
	v_mul_f64 v[12:13], v[4:5], v[12:13]
	s_waitcnt vmcnt(2) lgkmcnt(0)
	v_mul_f64 v[36:37], v[6:7], v[16:17]
	s_delay_alu instid0(VALU_DEP_3) | instskip(NEXT) | instid1(VALU_DEP_3)
	v_fma_f64 v[34:35], v[4:5], v[10:11], v[34:35]
	v_fma_f64 v[38:39], v[2:3], v[10:11], -v[12:13]
	v_mul_f64 v[10:11], v[8:9], v[16:17]
	ds_load_b128 v[2:5], v1 offset:1296
	v_fma_f64 v[16:17], v[8:9], v[14:15], v[36:37]
	v_fma_f64 v[14:15], v[6:7], v[14:15], -v[10:11]
	ds_load_b128 v[6:9], v1 offset:1312
	s_waitcnt vmcnt(1) lgkmcnt(1)
	v_mul_f64 v[10:11], v[2:3], v[20:21]
	v_mul_f64 v[12:13], v[4:5], v[20:21]
	s_delay_alu instid0(VALU_DEP_2) | instskip(NEXT) | instid1(VALU_DEP_2)
	v_fma_f64 v[20:21], v[4:5], v[18:19], v[10:11]
	v_fma_f64 v[18:19], v[2:3], v[18:19], -v[12:13]
	s_clause 0x1
	scratch_load_b128 v[2:5], off, off offset:320
	scratch_load_b128 v[10:13], off, off offset:336
	s_waitcnt vmcnt(1) lgkmcnt(0)
	v_mul_f64 v[36:37], v[6:7], v[4:5]
	v_mul_f64 v[4:5], v[8:9], v[4:5]
	s_delay_alu instid0(VALU_DEP_2) | instskip(NEXT) | instid1(VALU_DEP_2)
	v_fma_f64 v[36:37], v[8:9], v[2:3], v[36:37]
	v_fma_f64 v[40:41], v[6:7], v[2:3], -v[4:5]
	ds_load_b128 v[2:5], v1 offset:1328
	ds_load_b128 v[6:9], v1 offset:1344
	s_waitcnt vmcnt(0) lgkmcnt(1)
	v_mul_f64 v[42:43], v[2:3], v[12:13]
	s_delay_alu instid0(VALU_DEP_1) | instskip(SKIP_1) | instid1(VALU_DEP_1)
	v_fma_f64 v[42:43], v[4:5], v[10:11], v[42:43]
	v_mul_f64 v[4:5], v[4:5], v[12:13]
	v_fma_f64 v[44:45], v[2:3], v[10:11], -v[4:5]
	s_clause 0x1
	scratch_load_b128 v[2:5], off, off offset:352
	scratch_load_b128 v[10:13], off, off offset:368
	s_waitcnt vmcnt(1) lgkmcnt(0)
	v_mul_f64 v[46:47], v[6:7], v[4:5]
	v_mul_f64 v[4:5], v[8:9], v[4:5]
	s_delay_alu instid0(VALU_DEP_2) | instskip(NEXT) | instid1(VALU_DEP_2)
	v_fma_f64 v[46:47], v[8:9], v[2:3], v[46:47]
	v_fma_f64 v[48:49], v[6:7], v[2:3], -v[4:5]
	ds_load_b128 v[2:5], v1 offset:1360
	ds_load_b128 v[6:9], v1 offset:1376
	s_waitcnt vmcnt(0) lgkmcnt(1)
	v_mul_f64 v[52:53], v[2:3], v[12:13]
	s_delay_alu instid0(VALU_DEP_1) | instskip(SKIP_1) | instid1(VALU_DEP_1)
	v_fma_f64 v[52:53], v[4:5], v[10:11], v[52:53]
	v_mul_f64 v[4:5], v[4:5], v[12:13]
	;; [unrolled: 17-line block ×19, first 2 shown]
	v_fma_f64 v[253:254], v[2:3], v[10:11], -v[4:5]
	v_add_f64 v[2:3], v[22:23], 0
	v_add_f64 v[4:5], v[24:25], 0
	s_delay_alu instid0(VALU_DEP_2) | instskip(NEXT) | instid1(VALU_DEP_2)
	v_add_f64 v[2:3], v[2:3], v[30:31]
	v_add_f64 v[4:5], v[4:5], v[32:33]
	s_delay_alu instid0(VALU_DEP_2) | instskip(NEXT) | instid1(VALU_DEP_2)
	;; [unrolled: 3-line block ×36, first 2 shown]
	v_add_f64 v[2:3], v[2:3], v[228:229]
	v_add_f64 v[10:11], v[4:5], v[226:227]
	s_delay_alu instid0(VALU_DEP_2)
	v_add_f64 v[12:13], v[2:3], v[232:233]
	scratch_load_b128 v[2:5], off, off offset:928
	v_add_f64 v[14:15], v[10:11], v[230:231]
	v_add_f64 v[16:17], v[12:13], v[237:238]
	scratch_load_b128 v[10:13], off, off offset:944
	v_add_f64 v[18:19], v[14:15], v[234:235]
	;; [unrolled: 3-line block ×4, first 2 shown]
	v_add_f64 v[24:25], v[24:25], v[249:250]
	s_delay_alu instid0(VALU_DEP_2) | instskip(NEXT) | instid1(VALU_DEP_2)
	v_add_f64 v[22:23], v[22:23], v[247:248]
	v_add_f64 v[24:25], v[24:25], v[253:254]
	s_delay_alu instid0(VALU_DEP_2) | instskip(SKIP_3) | instid1(VALU_DEP_2)
	v_add_f64 v[22:23], v[22:23], v[251:252]
	s_waitcnt vmcnt(3) lgkmcnt(0)
	v_mul_f64 v[30:31], v[6:7], v[4:5]
	v_mul_f64 v[4:5], v[8:9], v[4:5]
	v_fma_f64 v[30:31], v[8:9], v[2:3], v[30:31]
	s_delay_alu instid0(VALU_DEP_2)
	v_fma_f64 v[32:33], v[6:7], v[2:3], -v[4:5]
	ds_load_b128 v[2:5], v1 offset:1936
	ds_load_b128 v[6:9], v1 offset:1952
	s_waitcnt vmcnt(2) lgkmcnt(1)
	v_mul_f64 v[34:35], v[2:3], v[12:13]
	v_mul_f64 v[12:13], v[4:5], v[12:13]
	s_waitcnt vmcnt(1) lgkmcnt(0)
	v_mul_f64 v[36:37], v[6:7], v[16:17]
	v_add_f64 v[22:23], v[22:23], v[30:31]
	s_delay_alu instid0(VALU_DEP_4) | instskip(NEXT) | instid1(VALU_DEP_4)
	v_fma_f64 v[34:35], v[4:5], v[10:11], v[34:35]
	v_fma_f64 v[10:11], v[2:3], v[10:11], -v[12:13]
	v_mul_f64 v[12:13], v[8:9], v[16:17]
	v_add_f64 v[16:17], v[24:25], v[32:33]
	ds_load_b128 v[2:5], v1 offset:1968
	v_fma_f64 v[8:9], v[8:9], v[14:15], v[36:37]
	s_waitcnt vmcnt(0) lgkmcnt(0)
	v_mul_f64 v[24:25], v[2:3], v[20:21]
	v_mul_f64 v[20:21], v[4:5], v[20:21]
	v_fma_f64 v[6:7], v[6:7], v[14:15], -v[12:13]
	v_add_f64 v[10:11], v[16:17], v[10:11]
	v_add_f64 v[12:13], v[22:23], v[34:35]
	v_fma_f64 v[4:5], v[4:5], v[18:19], v[24:25]
	v_fma_f64 v[2:3], v[2:3], v[18:19], -v[20:21]
	s_delay_alu instid0(VALU_DEP_4) | instskip(NEXT) | instid1(VALU_DEP_4)
	v_add_f64 v[6:7], v[10:11], v[6:7]
	v_add_f64 v[8:9], v[12:13], v[8:9]
	s_delay_alu instid0(VALU_DEP_2) | instskip(NEXT) | instid1(VALU_DEP_2)
	v_add_f64 v[2:3], v[6:7], v[2:3]
	v_add_f64 v[4:5], v[8:9], v[4:5]
	s_delay_alu instid0(VALU_DEP_2) | instskip(NEXT) | instid1(VALU_DEP_2)
	v_add_f64 v[2:3], v[26:27], -v[2:3]
	v_add_f64 v[4:5], v[28:29], -v[4:5]
	scratch_store_b128 off, v[2:5], off offset:224
	v_cmpx_lt_u32_e32 13, v174
	s_cbranch_execz .LBB61_371
; %bb.370:
	scratch_load_b32 v2, off, off offset:1136 ; 4-byte Folded Reload
	v_mov_b32_e32 v3, v1
	v_mov_b32_e32 v4, v1
	s_waitcnt vmcnt(0)
	scratch_load_b128 v[5:8], v2, off
	v_mov_b32_e32 v2, v1
	scratch_store_b128 off, v[1:4], off offset:208
	s_waitcnt vmcnt(0)
	ds_store_b128 v236, v[5:8]
.LBB61_371:
	s_or_b32 exec_lo, exec_lo, s2
	s_waitcnt lgkmcnt(0)
	s_waitcnt_vscnt null, 0x0
	s_barrier
	buffer_gl0_inv
	s_clause 0x5
	scratch_load_b128 v[22:25], off, off offset:224
	scratch_load_b128 v[2:5], off, off offset:240
	scratch_load_b128 v[6:9], off, off offset:256
	scratch_load_b128 v[10:13], off, off offset:272
	scratch_load_b128 v[18:21], off, off offset:288
	scratch_load_b128 v[14:17], off, off offset:304
	ds_load_b128 v[26:29], v1 offset:1216
	s_mov_b32 s2, exec_lo
	s_waitcnt vmcnt(5) lgkmcnt(0)
	v_mul_f64 v[30:31], v[28:29], v[24:25]
	v_mul_f64 v[32:33], v[26:27], v[24:25]
	s_delay_alu instid0(VALU_DEP_2) | instskip(NEXT) | instid1(VALU_DEP_2)
	v_fma_f64 v[24:25], v[26:27], v[22:23], -v[30:31]
	v_fma_f64 v[22:23], v[28:29], v[22:23], v[32:33]
	ds_load_b128 v[26:29], v1 offset:1232
	s_waitcnt vmcnt(4) lgkmcnt(0)
	v_mul_f64 v[30:31], v[26:27], v[4:5]
	v_mul_f64 v[4:5], v[28:29], v[4:5]
	s_delay_alu instid0(VALU_DEP_2) | instskip(NEXT) | instid1(VALU_DEP_2)
	v_fma_f64 v[30:31], v[28:29], v[2:3], v[30:31]
	v_fma_f64 v[32:33], v[26:27], v[2:3], -v[4:5]
	ds_load_b128 v[2:5], v1 offset:1248
	s_waitcnt vmcnt(3) lgkmcnt(0)
	v_mul_f64 v[26:27], v[2:3], v[8:9]
	v_mul_f64 v[8:9], v[4:5], v[8:9]
	s_delay_alu instid0(VALU_DEP_2) | instskip(NEXT) | instid1(VALU_DEP_2)
	v_fma_f64 v[34:35], v[4:5], v[6:7], v[26:27]
	v_fma_f64 v[36:37], v[2:3], v[6:7], -v[8:9]
	;; [unrolled: 7-line block ×5, first 2 shown]
	scratch_load_b128 v[2:5], off, off offset:320
	ds_load_b128 v[6:9], v1 offset:1312
	s_waitcnt vmcnt(0) lgkmcnt(0)
	v_mul_f64 v[14:15], v[6:7], v[4:5]
	v_mul_f64 v[4:5], v[8:9], v[4:5]
	s_delay_alu instid0(VALU_DEP_2) | instskip(NEXT) | instid1(VALU_DEP_2)
	v_fma_f64 v[46:47], v[8:9], v[2:3], v[14:15]
	v_fma_f64 v[48:49], v[6:7], v[2:3], -v[4:5]
	scratch_load_b128 v[2:5], off, off offset:336
	ds_load_b128 v[6:9], v1 offset:1328
	s_waitcnt vmcnt(0) lgkmcnt(0)
	v_mul_f64 v[14:15], v[6:7], v[4:5]
	v_mul_f64 v[4:5], v[8:9], v[4:5]
	s_delay_alu instid0(VALU_DEP_2) | instskip(NEXT) | instid1(VALU_DEP_2)
	v_fma_f64 v[52:53], v[8:9], v[2:3], v[14:15]
	v_fma_f64 v[54:55], v[6:7], v[2:3], -v[4:5]
	;; [unrolled: 8-line block ×39, first 2 shown]
	v_add_f64 v[2:3], v[24:25], 0
	v_add_f64 v[4:5], v[22:23], 0
	scratch_load_b128 v[6:9], off, off offset:960
	v_add_f64 v[2:3], v[2:3], v[32:33]
	v_add_f64 v[4:5], v[4:5], v[30:31]
	s_delay_alu instid0(VALU_DEP_2) | instskip(NEXT) | instid1(VALU_DEP_2)
	v_add_f64 v[2:3], v[2:3], v[36:37]
	v_add_f64 v[4:5], v[4:5], v[34:35]
	s_delay_alu instid0(VALU_DEP_2) | instskip(NEXT) | instid1(VALU_DEP_2)
	v_add_f64 v[2:3], v[2:3], v[10:11]
	v_add_f64 v[4:5], v[4:5], v[12:13]
	scratch_load_b128 v[10:13], off, off offset:944
	v_add_f64 v[2:3], v[2:3], v[40:41]
	v_add_f64 v[4:5], v[4:5], v[38:39]
	s_delay_alu instid0(VALU_DEP_2) | instskip(NEXT) | instid1(VALU_DEP_2)
	v_add_f64 v[2:3], v[2:3], v[44:45]
	v_add_f64 v[4:5], v[4:5], v[42:43]
	s_delay_alu instid0(VALU_DEP_2) | instskip(NEXT) | instid1(VALU_DEP_2)
	;; [unrolled: 3-line block ×36, first 2 shown]
	v_add_f64 v[22:23], v[2:3], v[249:250]
	v_add_f64 v[30:31], v[4:5], v[247:248]
	scratch_load_b128 v[2:5], off, off offset:976
	v_add_f64 v[24:25], v[22:23], v[253:254]
	v_add_f64 v[22:23], v[30:31], v[251:252]
	scratch_load_b128 v[30:33], off, off offset:208
	v_add_f64 v[28:29], v[24:25], v[28:29]
	v_add_f64 v[26:27], v[22:23], v[26:27]
	ds_load_b128 v[22:25], v1 offset:1936
	v_add_f64 v[20:21], v[28:29], v[20:21]
	v_add_f64 v[18:19], v[26:27], v[18:19]
	s_delay_alu instid0(VALU_DEP_2) | instskip(NEXT) | instid1(VALU_DEP_2)
	v_add_f64 v[20:21], v[20:21], v[16:17]
	v_add_f64 v[18:19], v[18:19], v[14:15]
	ds_load_b128 v[14:17], v1 offset:1968
	s_waitcnt vmcnt(2) lgkmcnt(1)
	v_mul_f64 v[28:29], v[22:23], v[12:13]
	v_mul_f64 v[12:13], v[24:25], v[12:13]
	s_delay_alu instid0(VALU_DEP_2) | instskip(NEXT) | instid1(VALU_DEP_2)
	v_fma_f64 v[24:25], v[24:25], v[10:11], v[28:29]
	v_fma_f64 v[22:23], v[22:23], v[10:11], -v[12:13]
	ds_load_b128 v[10:13], v1 offset:1952
	s_waitcnt lgkmcnt(0)
	v_mul_f64 v[26:27], v[10:11], v[8:9]
	v_mul_f64 v[8:9], v[12:13], v[8:9]
	s_delay_alu instid0(VALU_DEP_2) | instskip(NEXT) | instid1(VALU_DEP_2)
	v_fma_f64 v[12:13], v[12:13], v[6:7], v[26:27]
	v_fma_f64 v[6:7], v[10:11], v[6:7], -v[8:9]
	v_add_f64 v[8:9], v[20:21], v[22:23]
	v_add_f64 v[10:11], v[18:19], v[24:25]
	s_waitcnt vmcnt(1)
	v_mul_f64 v[28:29], v[14:15], v[4:5]
	v_mul_f64 v[4:5], v[16:17], v[4:5]
	s_delay_alu instid0(VALU_DEP_2) | instskip(NEXT) | instid1(VALU_DEP_2)
	v_fma_f64 v[16:17], v[16:17], v[2:3], v[28:29]
	v_fma_f64 v[1:2], v[14:15], v[2:3], -v[4:5]
	v_add_f64 v[3:4], v[8:9], v[6:7]
	v_add_f64 v[5:6], v[10:11], v[12:13]
	s_delay_alu instid0(VALU_DEP_2) | instskip(NEXT) | instid1(VALU_DEP_2)
	v_add_f64 v[1:2], v[3:4], v[1:2]
	v_add_f64 v[3:4], v[5:6], v[16:17]
	s_waitcnt vmcnt(0)
	s_delay_alu instid0(VALU_DEP_2) | instskip(NEXT) | instid1(VALU_DEP_2)
	v_add_f64 v[1:2], v[30:31], -v[1:2]
	v_add_f64 v[3:4], v[32:33], -v[3:4]
	scratch_store_b128 off, v[1:4], off offset:208
	v_cmpx_lt_u32_e32 12, v174
	s_cbranch_execz .LBB61_373
; %bb.372:
	scratch_load_b32 v1, off, off offset:1144 ; 4-byte Folded Reload
	v_mov_b32_e32 v5, 0
	s_delay_alu instid0(VALU_DEP_1)
	v_mov_b32_e32 v6, v5
	v_mov_b32_e32 v7, v5
	;; [unrolled: 1-line block ×3, first 2 shown]
	s_waitcnt vmcnt(0)
	scratch_load_b128 v[1:4], v1, off
	scratch_store_b128 off, v[5:8], off offset:192
	s_waitcnt vmcnt(0)
	ds_store_b128 v236, v[1:4]
.LBB61_373:
	s_or_b32 exec_lo, exec_lo, s2
	s_waitcnt lgkmcnt(0)
	s_waitcnt_vscnt null, 0x0
	s_barrier
	buffer_gl0_inv
	s_clause 0x5
	scratch_load_b128 v[2:5], off, off offset:208
	scratch_load_b128 v[6:9], off, off offset:224
	;; [unrolled: 1-line block ×6, first 2 shown]
	v_mov_b32_e32 v1, 0
	s_mov_b32 s2, exec_lo
	ds_load_b128 v[26:29], v1 offset:1200
	s_waitcnt vmcnt(5) lgkmcnt(0)
	v_mul_f64 v[30:31], v[28:29], v[4:5]
	v_mul_f64 v[4:5], v[26:27], v[4:5]
	s_delay_alu instid0(VALU_DEP_2) | instskip(NEXT) | instid1(VALU_DEP_2)
	v_fma_f64 v[26:27], v[26:27], v[2:3], -v[30:31]
	v_fma_f64 v[28:29], v[28:29], v[2:3], v[4:5]
	ds_load_b128 v[2:5], v1 offset:1216
	s_waitcnt vmcnt(4) lgkmcnt(0)
	v_mul_f64 v[30:31], v[2:3], v[8:9]
	v_mul_f64 v[8:9], v[4:5], v[8:9]
	s_delay_alu instid0(VALU_DEP_2) | instskip(NEXT) | instid1(VALU_DEP_2)
	v_fma_f64 v[30:31], v[4:5], v[6:7], v[30:31]
	v_fma_f64 v[32:33], v[2:3], v[6:7], -v[8:9]
	ds_load_b128 v[2:5], v1 offset:1232
	s_waitcnt vmcnt(3) lgkmcnt(0)
	v_mul_f64 v[6:7], v[2:3], v[12:13]
	v_mul_f64 v[8:9], v[4:5], v[12:13]
	s_delay_alu instid0(VALU_DEP_2) | instskip(NEXT) | instid1(VALU_DEP_2)
	v_fma_f64 v[12:13], v[4:5], v[10:11], v[6:7]
	v_fma_f64 v[10:11], v[2:3], v[10:11], -v[8:9]
	;; [unrolled: 7-line block ×5, first 2 shown]
	scratch_load_b128 v[2:5], off, off offset:304
	ds_load_b128 v[6:9], v1 offset:1296
	s_waitcnt vmcnt(0) lgkmcnt(0)
	v_mul_f64 v[14:15], v[6:7], v[4:5]
	v_mul_f64 v[4:5], v[8:9], v[4:5]
	s_delay_alu instid0(VALU_DEP_2) | instskip(NEXT) | instid1(VALU_DEP_2)
	v_fma_f64 v[46:47], v[8:9], v[2:3], v[14:15]
	v_fma_f64 v[48:49], v[6:7], v[2:3], -v[4:5]
	scratch_load_b128 v[2:5], off, off offset:320
	ds_load_b128 v[6:9], v1 offset:1312
	s_waitcnt vmcnt(0) lgkmcnt(0)
	v_mul_f64 v[14:15], v[6:7], v[4:5]
	v_mul_f64 v[4:5], v[8:9], v[4:5]
	s_delay_alu instid0(VALU_DEP_2) | instskip(NEXT) | instid1(VALU_DEP_2)
	v_fma_f64 v[52:53], v[8:9], v[2:3], v[14:15]
	v_fma_f64 v[54:55], v[6:7], v[2:3], -v[4:5]
	;; [unrolled: 8-line block ×40, first 2 shown]
	v_add_f64 v[2:3], v[26:27], 0
	v_add_f64 v[4:5], v[28:29], 0
	scratch_load_b128 v[6:9], off, off offset:960
	v_add_f64 v[2:3], v[2:3], v[32:33]
	v_add_f64 v[4:5], v[4:5], v[30:31]
	s_delay_alu instid0(VALU_DEP_2) | instskip(NEXT) | instid1(VALU_DEP_2)
	v_add_f64 v[2:3], v[2:3], v[10:11]
	v_add_f64 v[4:5], v[4:5], v[12:13]
	scratch_load_b128 v[10:13], off, off offset:944
	v_add_f64 v[2:3], v[2:3], v[36:37]
	v_add_f64 v[4:5], v[4:5], v[34:35]
	s_delay_alu instid0(VALU_DEP_2) | instskip(NEXT) | instid1(VALU_DEP_2)
	v_add_f64 v[2:3], v[2:3], v[40:41]
	v_add_f64 v[4:5], v[4:5], v[38:39]
	s_delay_alu instid0(VALU_DEP_2) | instskip(NEXT) | instid1(VALU_DEP_2)
	;; [unrolled: 3-line block ×38, first 2 shown]
	v_add_f64 v[26:27], v[2:3], v[253:254]
	v_add_f64 v[30:31], v[4:5], v[251:252]
	scratch_load_b128 v[2:5], off, off offset:976
	v_add_f64 v[28:29], v[26:27], v[118:119]
	v_add_f64 v[26:27], v[30:31], v[116:117]
	scratch_load_b128 v[30:33], off, off offset:192
	v_add_f64 v[22:23], v[28:29], v[22:23]
	v_add_f64 v[18:19], v[26:27], v[18:19]
	ds_load_b128 v[26:29], v1 offset:1936
	v_add_f64 v[22:23], v[22:23], v[24:25]
	v_add_f64 v[18:19], v[18:19], v[20:21]
	s_delay_alu instid0(VALU_DEP_2) | instskip(NEXT) | instid1(VALU_DEP_2)
	v_add_f64 v[22:23], v[22:23], v[16:17]
	v_add_f64 v[18:19], v[18:19], v[14:15]
	ds_load_b128 v[14:17], v1 offset:1968
	s_waitcnt vmcnt(2) lgkmcnt(1)
	v_mul_f64 v[24:25], v[26:27], v[12:13]
	v_mul_f64 v[12:13], v[28:29], v[12:13]
	s_delay_alu instid0(VALU_DEP_2) | instskip(NEXT) | instid1(VALU_DEP_2)
	v_fma_f64 v[20:21], v[28:29], v[10:11], v[24:25]
	v_fma_f64 v[24:25], v[26:27], v[10:11], -v[12:13]
	ds_load_b128 v[10:13], v1 offset:1952
	s_waitcnt lgkmcnt(0)
	v_mul_f64 v[26:27], v[10:11], v[8:9]
	v_mul_f64 v[8:9], v[12:13], v[8:9]
	v_add_f64 v[18:19], v[18:19], v[20:21]
	s_delay_alu instid0(VALU_DEP_3) | instskip(NEXT) | instid1(VALU_DEP_3)
	v_fma_f64 v[12:13], v[12:13], v[6:7], v[26:27]
	v_fma_f64 v[6:7], v[10:11], v[6:7], -v[8:9]
	v_add_f64 v[10:11], v[22:23], v[24:25]
	s_waitcnt vmcnt(1)
	v_mul_f64 v[8:9], v[14:15], v[4:5]
	v_mul_f64 v[4:5], v[16:17], v[4:5]
	s_delay_alu instid0(VALU_DEP_2) | instskip(NEXT) | instid1(VALU_DEP_2)
	v_fma_f64 v[8:9], v[16:17], v[2:3], v[8:9]
	v_fma_f64 v[2:3], v[14:15], v[2:3], -v[4:5]
	v_add_f64 v[4:5], v[10:11], v[6:7]
	v_add_f64 v[6:7], v[18:19], v[12:13]
	s_delay_alu instid0(VALU_DEP_2) | instskip(NEXT) | instid1(VALU_DEP_2)
	v_add_f64 v[2:3], v[4:5], v[2:3]
	v_add_f64 v[4:5], v[6:7], v[8:9]
	s_waitcnt vmcnt(0)
	s_delay_alu instid0(VALU_DEP_2) | instskip(NEXT) | instid1(VALU_DEP_2)
	v_add_f64 v[2:3], v[30:31], -v[2:3]
	v_add_f64 v[4:5], v[32:33], -v[4:5]
	scratch_store_b128 off, v[2:5], off offset:192
	v_cmpx_lt_u32_e32 11, v174
	s_cbranch_execz .LBB61_375
; %bb.374:
	scratch_load_b32 v2, off, off offset:1148 ; 4-byte Folded Reload
	v_mov_b32_e32 v3, v1
	v_mov_b32_e32 v4, v1
	s_waitcnt vmcnt(0)
	scratch_load_b128 v[5:8], v2, off
	v_mov_b32_e32 v2, v1
	scratch_store_b128 off, v[1:4], off offset:176
	s_waitcnt vmcnt(0)
	ds_store_b128 v236, v[5:8]
.LBB61_375:
	s_or_b32 exec_lo, exec_lo, s2
	s_waitcnt lgkmcnt(0)
	s_waitcnt_vscnt null, 0x0
	s_barrier
	buffer_gl0_inv
	s_clause 0x8
	scratch_load_b128 v[34:37], off, off offset:192
	scratch_load_b128 v[38:41], off, off offset:208
	;; [unrolled: 1-line block ×9, first 2 shown]
	ds_load_b128 v[46:49], v1 offset:1184
	ds_load_b128 v[42:45], v1 offset:1200
	s_clause 0x1
	scratch_load_b128 v[2:5], off, off offset:176
	scratch_load_b128 v[52:55], off, off offset:336
	s_mov_b32 s2, exec_lo
	ds_load_b128 v[187:190], v1 offset:1232
	ds_load_b128 v[237:240], v1 offset:1360
	s_waitcnt vmcnt(10) lgkmcnt(3)
	v_mul_f64 v[56:57], v[48:49], v[36:37]
	v_mul_f64 v[36:37], v[46:47], v[36:37]
	s_waitcnt vmcnt(9) lgkmcnt(2)
	v_mul_f64 v[58:59], v[42:43], v[40:41]
	v_mul_f64 v[40:41], v[44:45], v[40:41]
	s_waitcnt vmcnt(7) lgkmcnt(1)
	v_mul_f64 v[64:65], v[189:190], v[28:29]
	v_fma_f64 v[56:57], v[46:47], v[34:35], -v[56:57]
	v_fma_f64 v[60:61], v[48:49], v[34:35], v[36:37]
	ds_load_b128 v[34:37], v1 offset:1216
	scratch_load_b128 v[46:49], off, off offset:352
	v_fma_f64 v[44:45], v[44:45], v[38:39], v[58:59]
	v_fma_f64 v[42:43], v[42:43], v[38:39], -v[40:41]
	scratch_load_b128 v[38:41], off, off offset:368
	v_fma_f64 v[64:65], v[187:188], v[26:27], -v[64:65]
	s_waitcnt lgkmcnt(0)
	v_mul_f64 v[62:63], v[34:35], v[32:33]
	v_mul_f64 v[32:33], v[36:37], v[32:33]
	v_add_f64 v[56:57], v[56:57], 0
	v_add_f64 v[58:59], v[60:61], 0
	v_mul_f64 v[60:61], v[187:188], v[28:29]
	v_fma_f64 v[36:37], v[36:37], v[30:31], v[62:63]
	v_fma_f64 v[62:63], v[34:35], v[30:31], -v[32:33]
	ds_load_b128 v[28:31], v1 offset:1248
	scratch_load_b128 v[32:35], off, off offset:384
	v_add_f64 v[56:57], v[56:57], v[42:43]
	v_add_f64 v[58:59], v[58:59], v[44:45]
	ds_load_b128 v[42:45], v1 offset:1264
	v_fma_f64 v[60:61], v[189:190], v[26:27], v[60:61]
	ds_load_b128 v[187:190], v1 offset:1296
	s_waitcnt vmcnt(9) lgkmcnt(2)
	v_mul_f64 v[66:67], v[28:29], v[24:25]
	v_mul_f64 v[68:69], v[30:31], v[24:25]
	scratch_load_b128 v[24:27], off, off offset:400
	v_add_f64 v[56:57], v[56:57], v[62:63]
	v_add_f64 v[36:37], v[58:59], v[36:37]
	s_waitcnt vmcnt(9) lgkmcnt(1)
	v_mul_f64 v[58:59], v[42:43], v[20:21]
	v_mul_f64 v[62:63], v[44:45], v[20:21]
	v_fma_f64 v[66:67], v[30:31], v[22:23], v[66:67]
	v_fma_f64 v[68:69], v[28:29], v[22:23], -v[68:69]
	ds_load_b128 v[20:23], v1 offset:1280
	scratch_load_b128 v[28:31], off, off offset:416
	v_add_f64 v[56:57], v[56:57], v[64:65]
	v_add_f64 v[36:37], v[36:37], v[60:61]
	s_waitcnt vmcnt(9) lgkmcnt(0)
	v_mul_f64 v[60:61], v[20:21], v[16:17]
	v_mul_f64 v[64:65], v[22:23], v[16:17]
	v_fma_f64 v[44:45], v[44:45], v[18:19], v[58:59]
	v_fma_f64 v[42:43], v[42:43], v[18:19], -v[62:63]
	scratch_load_b128 v[16:19], off, off offset:432
	s_waitcnt vmcnt(9)
	v_mul_f64 v[58:59], v[187:188], v[12:13]
	v_mul_f64 v[62:63], v[189:190], v[12:13]
	v_add_f64 v[56:57], v[56:57], v[68:69]
	v_add_f64 v[36:37], v[36:37], v[66:67]
	v_fma_f64 v[60:61], v[22:23], v[14:15], v[60:61]
	v_fma_f64 v[64:65], v[20:21], v[14:15], -v[64:65]
	ds_load_b128 v[12:15], v1 offset:1312
	scratch_load_b128 v[20:23], off, off offset:448
	v_fma_f64 v[58:59], v[189:190], v[10:11], v[58:59]
	v_fma_f64 v[62:63], v[187:188], v[10:11], -v[62:63]
	scratch_load_b128 v[187:190], off, off offset:480
	v_add_f64 v[56:57], v[56:57], v[42:43]
	v_add_f64 v[36:37], v[36:37], v[44:45]
	ds_load_b128 v[42:45], v1 offset:1328
	s_waitcnt vmcnt(10) lgkmcnt(1)
	v_mul_f64 v[66:67], v[12:13], v[8:9]
	v_mul_f64 v[68:69], v[14:15], v[8:9]
	scratch_load_b128 v[8:11], off, off offset:464
	v_add_f64 v[56:57], v[56:57], v[64:65]
	v_add_f64 v[36:37], v[36:37], v[60:61]
	s_waitcnt vmcnt(9) lgkmcnt(0)
	v_mul_f64 v[60:61], v[42:43], v[54:55]
	v_mul_f64 v[54:55], v[44:45], v[54:55]
	v_fma_f64 v[64:65], v[14:15], v[6:7], v[66:67]
	v_fma_f64 v[6:7], v[12:13], v[6:7], -v[68:69]
	ds_load_b128 v[12:15], v1 offset:1344
	v_add_f64 v[56:57], v[56:57], v[62:63]
	v_add_f64 v[36:37], v[36:37], v[58:59]
	v_fma_f64 v[60:61], v[44:45], v[52:53], v[60:61]
	v_fma_f64 v[52:53], v[42:43], v[52:53], -v[54:55]
	scratch_load_b128 v[42:45], off, off offset:496
	s_waitcnt vmcnt(9) lgkmcnt(0)
	v_mul_f64 v[58:59], v[12:13], v[48:49]
	v_mul_f64 v[48:49], v[14:15], v[48:49]
	v_add_f64 v[6:7], v[56:57], v[6:7]
	v_add_f64 v[36:37], v[36:37], v[64:65]
	s_waitcnt vmcnt(8)
	v_mul_f64 v[56:57], v[237:238], v[40:41]
	v_mul_f64 v[40:41], v[239:240], v[40:41]
	v_fma_f64 v[58:59], v[14:15], v[46:47], v[58:59]
	v_fma_f64 v[62:63], v[12:13], v[46:47], -v[48:49]
	ds_load_b128 v[12:15], v1 offset:1376
	scratch_load_b128 v[46:49], off, off offset:512
	v_add_f64 v[6:7], v[6:7], v[52:53]
	v_add_f64 v[36:37], v[36:37], v[60:61]
	ds_load_b128 v[52:55], v1 offset:1392
	s_waitcnt vmcnt(8) lgkmcnt(1)
	v_mul_f64 v[60:61], v[12:13], v[34:35]
	v_mul_f64 v[64:65], v[14:15], v[34:35]
	v_fma_f64 v[56:57], v[239:240], v[38:39], v[56:57]
	v_fma_f64 v[38:39], v[237:238], v[38:39], -v[40:41]
	ds_load_b128 v[237:240], v1 offset:1424
	v_add_f64 v[6:7], v[6:7], v[62:63]
	v_add_f64 v[40:41], v[36:37], v[58:59]
	scratch_load_b128 v[34:37], off, off offset:528
	s_waitcnt vmcnt(8) lgkmcnt(1)
	v_mul_f64 v[58:59], v[52:53], v[26:27]
	v_mul_f64 v[26:27], v[54:55], v[26:27]
	v_fma_f64 v[60:61], v[14:15], v[32:33], v[60:61]
	v_fma_f64 v[32:33], v[12:13], v[32:33], -v[64:65]
	ds_load_b128 v[12:15], v1 offset:1408
	s_waitcnt vmcnt(7) lgkmcnt(0)
	v_mul_f64 v[62:63], v[12:13], v[30:31]
	v_mul_f64 v[30:31], v[14:15], v[30:31]
	v_add_f64 v[6:7], v[6:7], v[38:39]
	v_add_f64 v[56:57], v[40:41], v[56:57]
	scratch_load_b128 v[38:41], off, off offset:544
	v_fma_f64 v[54:55], v[54:55], v[24:25], v[58:59]
	v_fma_f64 v[52:53], v[52:53], v[24:25], -v[26:27]
	scratch_load_b128 v[24:27], off, off offset:560
	v_fma_f64 v[58:59], v[14:15], v[28:29], v[62:63]
	v_add_f64 v[6:7], v[6:7], v[32:33]
	v_add_f64 v[32:33], v[56:57], v[60:61]
	s_waitcnt vmcnt(8)
	v_mul_f64 v[56:57], v[237:238], v[18:19]
	v_mul_f64 v[18:19], v[239:240], v[18:19]
	v_fma_f64 v[60:61], v[12:13], v[28:29], -v[30:31]
	ds_load_b128 v[12:15], v1 offset:1440
	scratch_load_b128 v[28:31], off, off offset:576
	v_add_f64 v[6:7], v[6:7], v[52:53]
	v_add_f64 v[32:33], v[32:33], v[54:55]
	ds_load_b128 v[52:55], v1 offset:1456
	s_waitcnt vmcnt(8) lgkmcnt(1)
	v_mul_f64 v[62:63], v[12:13], v[22:23]
	v_mul_f64 v[22:23], v[14:15], v[22:23]
	v_fma_f64 v[56:57], v[239:240], v[16:17], v[56:57]
	v_fma_f64 v[64:65], v[237:238], v[16:17], -v[18:19]
	scratch_load_b128 v[16:19], off, off offset:592
	ds_load_b128 v[237:240], v1 offset:1488
	v_add_f64 v[6:7], v[6:7], v[60:61]
	v_add_f64 v[32:33], v[32:33], v[58:59]
	s_waitcnt vmcnt(7) lgkmcnt(1)
	v_mul_f64 v[58:59], v[52:53], v[10:11]
	v_mul_f64 v[60:61], v[54:55], v[10:11]
	v_fma_f64 v[14:15], v[14:15], v[20:21], v[62:63]
	v_fma_f64 v[62:63], v[12:13], v[20:21], -v[22:23]
	ds_load_b128 v[10:13], v1 offset:1472
	scratch_load_b128 v[20:23], off, off offset:608
	v_add_f64 v[6:7], v[6:7], v[64:65]
	v_add_f64 v[32:33], v[32:33], v[56:57]
	s_waitcnt lgkmcnt(0)
	v_mul_f64 v[56:57], v[10:11], v[189:190]
	v_mul_f64 v[64:65], v[12:13], v[189:190]
	v_fma_f64 v[54:55], v[54:55], v[8:9], v[58:59]
	v_fma_f64 v[52:53], v[52:53], v[8:9], -v[60:61]
	v_add_f64 v[58:59], v[6:7], v[62:63]
	scratch_load_b128 v[6:9], off, off offset:624
	v_add_f64 v[14:15], v[32:33], v[14:15]
	s_waitcnt vmcnt(8)
	v_mul_f64 v[32:33], v[237:238], v[44:45]
	v_mul_f64 v[44:45], v[239:240], v[44:45]
	v_fma_f64 v[56:57], v[12:13], v[187:188], v[56:57]
	v_fma_f64 v[60:61], v[10:11], v[187:188], -v[64:65]
	ds_load_b128 v[10:13], v1 offset:1504
	ds_load_b128 v[187:190], v1 offset:1520
	s_waitcnt vmcnt(7) lgkmcnt(1)
	v_mul_f64 v[62:63], v[10:11], v[48:49]
	v_add_f64 v[58:59], v[58:59], v[52:53]
	v_add_f64 v[14:15], v[14:15], v[54:55]
	scratch_load_b128 v[52:55], off, off offset:640
	v_mul_f64 v[48:49], v[12:13], v[48:49]
	v_fma_f64 v[32:33], v[239:240], v[42:43], v[32:33]
	v_fma_f64 v[64:65], v[237:238], v[42:43], -v[44:45]
	scratch_load_b128 v[42:45], off, off offset:656
	ds_load_b128 v[237:240], v1 offset:1552
	v_add_f64 v[58:59], v[58:59], v[60:61]
	v_add_f64 v[14:15], v[14:15], v[56:57]
	v_fma_f64 v[60:61], v[12:13], v[46:47], v[62:63]
	v_fma_f64 v[62:63], v[10:11], v[46:47], -v[48:49]
	ds_load_b128 v[10:13], v1 offset:1536
	scratch_load_b128 v[46:49], off, off offset:672
	s_waitcnt vmcnt(9) lgkmcnt(2)
	v_mul_f64 v[56:57], v[187:188], v[36:37]
	v_mul_f64 v[36:37], v[189:190], v[36:37]
	v_add_f64 v[58:59], v[58:59], v[64:65]
	v_add_f64 v[14:15], v[14:15], v[32:33]
	s_waitcnt vmcnt(8) lgkmcnt(0)
	v_mul_f64 v[64:65], v[10:11], v[40:41]
	v_mul_f64 v[40:41], v[12:13], v[40:41]
	v_fma_f64 v[56:57], v[189:190], v[34:35], v[56:57]
	v_fma_f64 v[36:37], v[187:188], v[34:35], -v[36:37]
	scratch_load_b128 v[32:35], off, off offset:688
	ds_load_b128 v[187:190], v1 offset:1584
	v_add_f64 v[58:59], v[58:59], v[62:63]
	v_add_f64 v[14:15], v[14:15], v[60:61]
	s_waitcnt vmcnt(8)
	v_mul_f64 v[60:61], v[237:238], v[26:27]
	v_mul_f64 v[26:27], v[239:240], v[26:27]
	v_fma_f64 v[62:63], v[12:13], v[38:39], v[64:65]
	v_fma_f64 v[40:41], v[10:11], v[38:39], -v[40:41]
	ds_load_b128 v[10:13], v1 offset:1568
	v_add_f64 v[58:59], v[58:59], v[36:37]
	v_add_f64 v[14:15], v[14:15], v[56:57]
	scratch_load_b128 v[36:39], off, off offset:704
	s_waitcnt vmcnt(8) lgkmcnt(0)
	v_mul_f64 v[56:57], v[10:11], v[30:31]
	v_mul_f64 v[30:31], v[12:13], v[30:31]
	v_fma_f64 v[60:61], v[239:240], v[24:25], v[60:61]
	v_fma_f64 v[64:65], v[237:238], v[24:25], -v[26:27]
	scratch_load_b128 v[24:27], off, off offset:720
	ds_load_b128 v[237:240], v1 offset:1616
	v_add_f64 v[40:41], v[58:59], v[40:41]
	v_add_f64 v[14:15], v[14:15], v[62:63]
	s_waitcnt vmcnt(8)
	v_mul_f64 v[58:59], v[187:188], v[18:19]
	v_mul_f64 v[18:19], v[189:190], v[18:19]
	v_fma_f64 v[56:57], v[12:13], v[28:29], v[56:57]
	v_fma_f64 v[62:63], v[10:11], v[28:29], -v[30:31]
	ds_load_b128 v[10:13], v1 offset:1600
	scratch_load_b128 v[28:31], off, off offset:736
	v_add_f64 v[40:41], v[40:41], v[64:65]
	v_add_f64 v[14:15], v[14:15], v[60:61]
	s_waitcnt vmcnt(8) lgkmcnt(0)
	v_mul_f64 v[60:61], v[10:11], v[22:23]
	v_mul_f64 v[22:23], v[12:13], v[22:23]
	v_fma_f64 v[58:59], v[189:190], v[16:17], v[58:59]
	v_fma_f64 v[18:19], v[187:188], v[16:17], -v[18:19]
	ds_load_b128 v[187:190], v1 offset:1648
	v_add_f64 v[40:41], v[40:41], v[62:63]
	v_add_f64 v[56:57], v[14:15], v[56:57]
	scratch_load_b128 v[14:17], off, off offset:752
	v_fma_f64 v[12:13], v[12:13], v[20:21], v[60:61]
	v_fma_f64 v[22:23], v[10:11], v[20:21], -v[22:23]
	s_waitcnt vmcnt(8)
	v_mul_f64 v[62:63], v[237:238], v[8:9]
	v_mul_f64 v[64:65], v[239:240], v[8:9]
	ds_load_b128 v[8:11], v1 offset:1632
	v_add_f64 v[40:41], v[40:41], v[18:19]
	v_add_f64 v[56:57], v[56:57], v[58:59]
	scratch_load_b128 v[18:21], off, off offset:768
	v_fma_f64 v[60:61], v[239:240], v[6:7], v[62:63]
	v_fma_f64 v[6:7], v[237:238], v[6:7], -v[64:65]
	scratch_load_b128 v[237:240], off, off offset:784
	s_waitcnt vmcnt(9) lgkmcnt(0)
	v_mul_f64 v[58:59], v[8:9], v[54:55]
	v_mul_f64 v[54:55], v[10:11], v[54:55]
	v_add_f64 v[22:23], v[40:41], v[22:23]
	v_add_f64 v[12:13], v[56:57], v[12:13]
	s_waitcnt vmcnt(8)
	v_mul_f64 v[40:41], v[187:188], v[44:45]
	v_mul_f64 v[44:45], v[189:190], v[44:45]
	v_fma_f64 v[56:57], v[10:11], v[52:53], v[58:59]
	v_fma_f64 v[58:59], v[8:9], v[52:53], -v[54:55]
	ds_load_b128 v[52:55], v1 offset:1680
	v_add_f64 v[22:23], v[22:23], v[6:7]
	v_add_f64 v[60:61], v[12:13], v[60:61]
	ds_load_b128 v[6:9], v1 offset:1664
	scratch_load_b128 v[10:13], off, off offset:800
	v_fma_f64 v[64:65], v[189:190], v[42:43], v[40:41]
	v_fma_f64 v[44:45], v[187:188], v[42:43], -v[44:45]
	scratch_load_b128 v[40:43], off, off offset:816
	ds_load_b128 v[187:190], v1 offset:1712
	s_waitcnt vmcnt(9) lgkmcnt(1)
	v_mul_f64 v[62:63], v[6:7], v[48:49]
	v_mul_f64 v[48:49], v[8:9], v[48:49]
	v_add_f64 v[22:23], v[22:23], v[58:59]
	v_add_f64 v[56:57], v[60:61], v[56:57]
	s_waitcnt vmcnt(8)
	v_mul_f64 v[58:59], v[52:53], v[34:35]
	v_mul_f64 v[34:35], v[54:55], v[34:35]
	v_fma_f64 v[60:61], v[8:9], v[46:47], v[62:63]
	v_fma_f64 v[48:49], v[6:7], v[46:47], -v[48:49]
	ds_load_b128 v[6:9], v1 offset:1696
	v_add_f64 v[22:23], v[22:23], v[44:45]
	v_add_f64 v[56:57], v[56:57], v[64:65]
	scratch_load_b128 v[44:47], off, off offset:832
	v_fma_f64 v[54:55], v[54:55], v[32:33], v[58:59]
	v_fma_f64 v[52:53], v[52:53], v[32:33], -v[34:35]
	scratch_load_b128 v[32:35], off, off offset:848
	s_waitcnt vmcnt(9) lgkmcnt(0)
	v_mul_f64 v[62:63], v[6:7], v[38:39]
	v_mul_f64 v[38:39], v[8:9], v[38:39]
	v_add_f64 v[22:23], v[22:23], v[48:49]
	v_add_f64 v[48:49], v[56:57], v[60:61]
	s_waitcnt vmcnt(8)
	v_mul_f64 v[56:57], v[187:188], v[26:27]
	v_mul_f64 v[26:27], v[189:190], v[26:27]
	v_fma_f64 v[58:59], v[8:9], v[36:37], v[62:63]
	v_fma_f64 v[60:61], v[6:7], v[36:37], -v[38:39]
	ds_load_b128 v[6:9], v1 offset:1728
	scratch_load_b128 v[36:39], off, off offset:864
	v_add_f64 v[22:23], v[22:23], v[52:53]
	v_add_f64 v[48:49], v[48:49], v[54:55]
	ds_load_b128 v[52:55], v1 offset:1744
	s_waitcnt vmcnt(8) lgkmcnt(1)
	v_mul_f64 v[62:63], v[6:7], v[30:31]
	v_mul_f64 v[30:31], v[8:9], v[30:31]
	v_fma_f64 v[56:57], v[189:190], v[24:25], v[56:57]
	v_fma_f64 v[26:27], v[187:188], v[24:25], -v[26:27]
	ds_load_b128 v[187:190], v1 offset:1776
	v_add_f64 v[60:61], v[22:23], v[60:61]
	scratch_load_b128 v[22:25], off, off offset:880
	v_add_f64 v[48:49], v[48:49], v[58:59]
	v_fma_f64 v[62:63], v[8:9], v[28:29], v[62:63]
	v_fma_f64 v[30:31], v[6:7], v[28:29], -v[30:31]
	ds_load_b128 v[6:9], v1 offset:1760
	s_waitcnt vmcnt(8) lgkmcnt(2)
	v_mul_f64 v[58:59], v[52:53], v[16:17]
	v_mul_f64 v[16:17], v[54:55], v[16:17]
	v_add_f64 v[60:61], v[60:61], v[26:27]
	scratch_load_b128 v[26:29], off, off offset:896
	v_add_f64 v[48:49], v[48:49], v[56:57]
	s_waitcnt vmcnt(8) lgkmcnt(0)
	v_mul_f64 v[56:57], v[6:7], v[20:21]
	v_mul_f64 v[20:21], v[8:9], v[20:21]
	v_fma_f64 v[54:55], v[54:55], v[14:15], v[58:59]
	v_fma_f64 v[52:53], v[52:53], v[14:15], -v[16:17]
	scratch_load_b128 v[14:17], off, off offset:912
	s_waitcnt vmcnt(8)
	v_mul_f64 v[58:59], v[187:188], v[239:240]
	v_add_f64 v[30:31], v[60:61], v[30:31]
	v_mul_f64 v[60:61], v[189:190], v[239:240]
	v_add_f64 v[48:49], v[48:49], v[62:63]
	v_fma_f64 v[56:57], v[8:9], v[18:19], v[56:57]
	v_fma_f64 v[62:63], v[6:7], v[18:19], -v[20:21]
	ds_load_b128 v[6:9], v1 offset:1792
	scratch_load_b128 v[18:21], off, off offset:928
	v_fma_f64 v[58:59], v[189:190], v[237:238], v[58:59]
	v_add_f64 v[30:31], v[30:31], v[52:53]
	v_fma_f64 v[60:61], v[187:188], v[237:238], -v[60:61]
	scratch_load_b128 v[187:190], off, off offset:944
	v_add_f64 v[48:49], v[48:49], v[54:55]
	ds_load_b128 v[52:55], v1 offset:1808
	ds_load_b128 v[237:240], v1 offset:1840
	s_waitcnt vmcnt(9) lgkmcnt(2)
	v_mul_f64 v[64:65], v[6:7], v[12:13]
	v_mul_f64 v[12:13], v[8:9], v[12:13]
	v_add_f64 v[30:31], v[30:31], v[62:63]
	v_add_f64 v[48:49], v[48:49], v[56:57]
	s_waitcnt vmcnt(8) lgkmcnt(1)
	v_mul_f64 v[56:57], v[52:53], v[42:43]
	v_mul_f64 v[42:43], v[54:55], v[42:43]
	v_fma_f64 v[62:63], v[8:9], v[10:11], v[64:65]
	v_fma_f64 v[64:65], v[6:7], v[10:11], -v[12:13]
	ds_load_b128 v[6:9], v1 offset:1824
	scratch_load_b128 v[10:13], off, off offset:960
	v_add_f64 v[30:31], v[30:31], v[60:61]
	v_add_f64 v[48:49], v[48:49], v[58:59]
	v_fma_f64 v[54:55], v[54:55], v[40:41], v[56:57]
	v_fma_f64 v[52:53], v[52:53], v[40:41], -v[42:43]
	scratch_load_b128 v[40:43], off, off offset:976
	s_waitcnt vmcnt(9) lgkmcnt(0)
	v_mul_f64 v[58:59], v[6:7], v[46:47]
	v_mul_f64 v[46:47], v[8:9], v[46:47]
	s_waitcnt vmcnt(8)
	v_mul_f64 v[56:57], v[237:238], v[34:35]
	v_mul_f64 v[34:35], v[239:240], v[34:35]
	v_add_f64 v[30:31], v[30:31], v[64:65]
	v_add_f64 v[48:49], v[48:49], v[62:63]
	v_fma_f64 v[58:59], v[8:9], v[44:45], v[58:59]
	v_fma_f64 v[60:61], v[6:7], v[44:45], -v[46:47]
	ds_load_b128 v[6:9], v1 offset:1856
	ds_load_b128 v[44:47], v1 offset:1872
	v_add_f64 v[30:31], v[30:31], v[52:53]
	s_waitcnt vmcnt(7) lgkmcnt(1)
	v_mul_f64 v[52:53], v[6:7], v[38:39]
	v_mul_f64 v[38:39], v[8:9], v[38:39]
	v_add_f64 v[48:49], v[48:49], v[54:55]
	v_fma_f64 v[54:55], v[239:240], v[32:33], v[56:57]
	v_fma_f64 v[32:33], v[237:238], v[32:33], -v[34:35]
	v_add_f64 v[30:31], v[30:31], v[60:61]
	v_fma_f64 v[52:53], v[8:9], v[36:37], v[52:53]
	v_fma_f64 v[36:37], v[6:7], v[36:37], -v[38:39]
	v_add_f64 v[34:35], v[48:49], v[58:59]
	s_waitcnt vmcnt(6) lgkmcnt(0)
	v_mul_f64 v[48:49], v[44:45], v[24:25]
	v_mul_f64 v[24:25], v[46:47], v[24:25]
	v_add_f64 v[38:39], v[30:31], v[32:33]
	ds_load_b128 v[6:9], v1 offset:1888
	ds_load_b128 v[30:33], v1 offset:1904
	v_add_f64 v[34:35], v[34:35], v[54:55]
	v_fma_f64 v[46:47], v[46:47], v[22:23], v[48:49]
	v_fma_f64 v[22:23], v[44:45], v[22:23], -v[24:25]
	s_waitcnt vmcnt(5) lgkmcnt(1)
	v_mul_f64 v[54:55], v[6:7], v[28:29]
	v_mul_f64 v[28:29], v[8:9], v[28:29]
	v_add_f64 v[24:25], v[38:39], v[36:37]
	s_waitcnt vmcnt(4) lgkmcnt(0)
	v_mul_f64 v[36:37], v[30:31], v[16:17]
	v_mul_f64 v[16:17], v[32:33], v[16:17]
	v_add_f64 v[34:35], v[34:35], v[52:53]
	v_fma_f64 v[38:39], v[8:9], v[26:27], v[54:55]
	v_fma_f64 v[26:27], v[6:7], v[26:27], -v[28:29]
	v_add_f64 v[28:29], v[24:25], v[22:23]
	ds_load_b128 v[6:9], v1 offset:1920
	ds_load_b128 v[22:25], v1 offset:1936
	v_fma_f64 v[32:33], v[32:33], v[14:15], v[36:37]
	v_add_f64 v[34:35], v[34:35], v[46:47]
	v_fma_f64 v[14:15], v[30:31], v[14:15], -v[16:17]
	s_waitcnt vmcnt(3) lgkmcnt(1)
	v_mul_f64 v[44:45], v[6:7], v[20:21]
	v_mul_f64 v[20:21], v[8:9], v[20:21]
	s_waitcnt vmcnt(2) lgkmcnt(0)
	v_mul_f64 v[30:31], v[24:25], v[189:190]
	v_add_f64 v[16:17], v[28:29], v[26:27]
	v_mul_f64 v[28:29], v[22:23], v[189:190]
	v_add_f64 v[26:27], v[34:35], v[38:39]
	v_fma_f64 v[34:35], v[8:9], v[18:19], v[44:45]
	v_fma_f64 v[18:19], v[6:7], v[18:19], -v[20:21]
	v_fma_f64 v[22:23], v[22:23], v[187:188], -v[30:31]
	v_add_f64 v[20:21], v[16:17], v[14:15]
	ds_load_b128 v[6:9], v1 offset:1952
	ds_load_b128 v[14:17], v1 offset:1968
	v_fma_f64 v[24:25], v[24:25], v[187:188], v[28:29]
	v_add_f64 v[26:27], v[26:27], v[32:33]
	s_waitcnt vmcnt(1) lgkmcnt(1)
	v_mul_f64 v[32:33], v[6:7], v[12:13]
	v_mul_f64 v[12:13], v[8:9], v[12:13]
	s_waitcnt vmcnt(0) lgkmcnt(0)
	v_mul_f64 v[28:29], v[16:17], v[42:43]
	v_add_f64 v[18:19], v[20:21], v[18:19]
	v_add_f64 v[20:21], v[26:27], v[34:35]
	v_mul_f64 v[26:27], v[14:15], v[42:43]
	v_fma_f64 v[8:9], v[8:9], v[10:11], v[32:33]
	v_fma_f64 v[6:7], v[6:7], v[10:11], -v[12:13]
	v_fma_f64 v[14:15], v[14:15], v[40:41], -v[28:29]
	v_add_f64 v[10:11], v[18:19], v[22:23]
	v_add_f64 v[12:13], v[20:21], v[24:25]
	v_fma_f64 v[16:17], v[16:17], v[40:41], v[26:27]
	s_delay_alu instid0(VALU_DEP_3) | instskip(NEXT) | instid1(VALU_DEP_3)
	v_add_f64 v[6:7], v[10:11], v[6:7]
	v_add_f64 v[8:9], v[12:13], v[8:9]
	s_delay_alu instid0(VALU_DEP_2) | instskip(NEXT) | instid1(VALU_DEP_2)
	v_add_f64 v[6:7], v[6:7], v[14:15]
	v_add_f64 v[8:9], v[8:9], v[16:17]
	s_delay_alu instid0(VALU_DEP_2) | instskip(NEXT) | instid1(VALU_DEP_2)
	v_add_f64 v[1:2], v[2:3], -v[6:7]
	v_add_f64 v[3:4], v[4:5], -v[8:9]
	scratch_store_b128 off, v[1:4], off offset:176
	v_cmpx_lt_u32_e32 10, v174
	s_cbranch_execz .LBB61_377
; %bb.376:
	scratch_load_b32 v1, off, off offset:1152 ; 4-byte Folded Reload
	v_mov_b32_e32 v5, 0
	s_delay_alu instid0(VALU_DEP_1)
	v_mov_b32_e32 v6, v5
	v_mov_b32_e32 v7, v5
	v_mov_b32_e32 v8, v5
	s_waitcnt vmcnt(0)
	scratch_load_b128 v[1:4], v1, off
	scratch_store_b128 off, v[5:8], off offset:160
	s_waitcnt vmcnt(0)
	ds_store_b128 v236, v[1:4]
.LBB61_377:
	s_or_b32 exec_lo, exec_lo, s2
	s_waitcnt lgkmcnt(0)
	s_waitcnt_vscnt null, 0x0
	s_barrier
	buffer_gl0_inv
	s_clause 0x7
	scratch_load_b128 v[34:37], off, off offset:176
	scratch_load_b128 v[38:41], off, off offset:192
	;; [unrolled: 1-line block ×8, first 2 shown]
	v_mov_b32_e32 v1, 0
	s_mov_b32 s2, exec_lo
	ds_load_b128 v[46:49], v1 offset:1168
	s_clause 0x2
	scratch_load_b128 v[14:17], off, off offset:304
	scratch_load_b128 v[2:5], off, off offset:160
	;; [unrolled: 1-line block ×3, first 2 shown]
	ds_load_b128 v[42:45], v1 offset:1184
	ds_load_b128 v[187:190], v1 offset:1216
	;; [unrolled: 1-line block ×3, first 2 shown]
	s_waitcnt vmcnt(10) lgkmcnt(3)
	v_mul_f64 v[56:57], v[48:49], v[36:37]
	v_mul_f64 v[36:37], v[46:47], v[36:37]
	s_delay_alu instid0(VALU_DEP_2) | instskip(NEXT) | instid1(VALU_DEP_2)
	v_fma_f64 v[56:57], v[46:47], v[34:35], -v[56:57]
	v_fma_f64 v[60:61], v[48:49], v[34:35], v[36:37]
	ds_load_b128 v[34:37], v1 offset:1200
	s_waitcnt vmcnt(9) lgkmcnt(3)
	v_mul_f64 v[58:59], v[42:43], v[40:41]
	v_mul_f64 v[40:41], v[44:45], v[40:41]
	scratch_load_b128 v[46:49], off, off offset:336
	s_waitcnt vmcnt(9) lgkmcnt(0)
	v_mul_f64 v[62:63], v[34:35], v[32:33]
	v_mul_f64 v[32:33], v[36:37], v[32:33]
	v_add_f64 v[56:57], v[56:57], 0
	v_fma_f64 v[44:45], v[44:45], v[38:39], v[58:59]
	v_fma_f64 v[42:43], v[42:43], v[38:39], -v[40:41]
	v_add_f64 v[58:59], v[60:61], 0
	scratch_load_b128 v[38:41], off, off offset:352
	v_fma_f64 v[36:37], v[36:37], v[30:31], v[62:63]
	v_fma_f64 v[62:63], v[34:35], v[30:31], -v[32:33]
	scratch_load_b128 v[32:35], off, off offset:368
	v_add_f64 v[56:57], v[56:57], v[42:43]
	v_add_f64 v[58:59], v[58:59], v[44:45]
	ds_load_b128 v[42:45], v1 offset:1248
	s_waitcnt vmcnt(10)
	v_mul_f64 v[60:61], v[187:188], v[28:29]
	v_mul_f64 v[64:65], v[189:190], v[28:29]
	ds_load_b128 v[28:31], v1 offset:1232
	v_add_f64 v[56:57], v[56:57], v[62:63]
	v_add_f64 v[36:37], v[58:59], v[36:37]
	s_waitcnt vmcnt(8) lgkmcnt(1)
	v_mul_f64 v[58:59], v[42:43], v[20:21]
	v_fma_f64 v[60:61], v[189:190], v[26:27], v[60:61]
	v_fma_f64 v[64:65], v[187:188], v[26:27], -v[64:65]
	ds_load_b128 v[187:190], v1 offset:1280
	s_waitcnt lgkmcnt(1)
	v_mul_f64 v[66:67], v[28:29], v[24:25]
	v_mul_f64 v[68:69], v[30:31], v[24:25]
	scratch_load_b128 v[24:27], off, off offset:384
	v_mul_f64 v[62:63], v[44:45], v[20:21]
	v_fma_f64 v[58:59], v[44:45], v[18:19], v[58:59]
	v_add_f64 v[36:37], v[36:37], v[60:61]
	v_add_f64 v[56:57], v[56:57], v[64:65]
	s_waitcnt vmcnt(7) lgkmcnt(0)
	v_mul_f64 v[64:65], v[189:190], v[8:9]
	v_fma_f64 v[66:67], v[30:31], v[22:23], v[66:67]
	v_fma_f64 v[68:69], v[28:29], v[22:23], -v[68:69]
	scratch_load_b128 v[28:31], off, off offset:400
	ds_load_b128 v[20:23], v1 offset:1264
	v_fma_f64 v[18:19], v[42:43], v[18:19], -v[62:63]
	v_mul_f64 v[62:63], v[187:188], v[8:9]
	scratch_load_b128 v[42:45], off, off offset:416
	s_waitcnt lgkmcnt(0)
	v_mul_f64 v[60:61], v[20:21], v[12:13]
	v_mul_f64 v[12:13], v[22:23], v[12:13]
	v_add_f64 v[36:37], v[36:37], v[66:67]
	v_add_f64 v[56:57], v[56:57], v[68:69]
	s_delay_alu instid0(VALU_DEP_4) | instskip(NEXT) | instid1(VALU_DEP_4)
	v_fma_f64 v[22:23], v[22:23], v[10:11], v[60:61]
	v_fma_f64 v[12:13], v[20:21], v[10:11], -v[12:13]
	ds_load_b128 v[8:11], v1 offset:1296
	v_fma_f64 v[60:61], v[189:190], v[6:7], v[62:63]
	v_fma_f64 v[6:7], v[187:188], v[6:7], -v[64:65]
	scratch_load_b128 v[187:190], off, off offset:448
	v_add_f64 v[36:37], v[36:37], v[58:59]
	v_add_f64 v[56:57], v[56:57], v[18:19]
	scratch_load_b128 v[18:21], off, off offset:432
	v_add_f64 v[22:23], v[36:37], v[22:23]
	s_waitcnt vmcnt(8)
	v_mul_f64 v[36:37], v[237:238], v[54:55]
	v_mul_f64 v[54:55], v[239:240], v[54:55]
	v_add_f64 v[12:13], v[56:57], v[12:13]
	s_delay_alu instid0(VALU_DEP_4) | instskip(NEXT) | instid1(VALU_DEP_4)
	v_add_f64 v[22:23], v[22:23], v[60:61]
	v_fma_f64 v[36:37], v[239:240], v[52:53], v[36:37]
	s_delay_alu instid0(VALU_DEP_4)
	v_fma_f64 v[64:65], v[237:238], v[52:53], -v[54:55]
	ds_load_b128 v[237:240], v1 offset:1376
	s_waitcnt lgkmcnt(1)
	v_mul_f64 v[58:59], v[8:9], v[16:17]
	v_mul_f64 v[16:17], v[10:11], v[16:17]
	v_add_f64 v[62:63], v[12:13], v[6:7]
	scratch_load_b128 v[52:55], off, off offset:480
	v_fma_f64 v[56:57], v[10:11], v[14:15], v[58:59]
	v_fma_f64 v[58:59], v[8:9], v[14:15], -v[16:17]
	ds_load_b128 v[6:9], v1 offset:1328
	ds_load_b128 v[14:17], v1 offset:1344
	scratch_load_b128 v[10:13], off, off offset:464
	s_waitcnt vmcnt(9) lgkmcnt(1)
	v_mul_f64 v[60:61], v[6:7], v[48:49]
	v_mul_f64 v[48:49], v[8:9], v[48:49]
	v_add_f64 v[22:23], v[22:23], v[56:57]
	v_add_f64 v[58:59], v[62:63], v[58:59]
	s_waitcnt vmcnt(8) lgkmcnt(0)
	v_mul_f64 v[56:57], v[14:15], v[40:41]
	v_mul_f64 v[40:41], v[16:17], v[40:41]
	v_fma_f64 v[60:61], v[8:9], v[46:47], v[60:61]
	v_fma_f64 v[62:63], v[6:7], v[46:47], -v[48:49]
	ds_load_b128 v[6:9], v1 offset:1360
	scratch_load_b128 v[46:49], off, off offset:496
	v_add_f64 v[22:23], v[22:23], v[36:37]
	v_add_f64 v[58:59], v[58:59], v[64:65]
	v_fma_f64 v[56:57], v[16:17], v[38:39], v[56:57]
	v_fma_f64 v[38:39], v[14:15], v[38:39], -v[40:41]
	scratch_load_b128 v[14:17], off, off offset:512
	v_add_f64 v[22:23], v[22:23], v[60:61]
	v_add_f64 v[40:41], v[58:59], v[62:63]
	s_waitcnt vmcnt(8)
	v_mul_f64 v[58:59], v[237:238], v[26:27]
	v_mul_f64 v[26:27], v[239:240], v[26:27]
	s_delay_alu instid0(VALU_DEP_4) | instskip(NEXT) | instid1(VALU_DEP_4)
	v_add_f64 v[22:23], v[22:23], v[56:57]
	v_add_f64 v[40:41], v[40:41], v[38:39]
	s_delay_alu instid0(VALU_DEP_4) | instskip(NEXT) | instid1(VALU_DEP_4)
	v_fma_f64 v[58:59], v[239:240], v[24:25], v[58:59]
	v_fma_f64 v[26:27], v[237:238], v[24:25], -v[26:27]
	ds_load_b128 v[237:240], v1 offset:1440
	s_waitcnt lgkmcnt(1)
	v_mul_f64 v[36:37], v[6:7], v[34:35]
	v_mul_f64 v[34:35], v[8:9], v[34:35]
	s_delay_alu instid0(VALU_DEP_2) | instskip(NEXT) | instid1(VALU_DEP_2)
	v_fma_f64 v[60:61], v[8:9], v[32:33], v[36:37]
	v_fma_f64 v[62:63], v[6:7], v[32:33], -v[34:35]
	scratch_load_b128 v[32:35], off, off offset:528
	ds_load_b128 v[6:9], v1 offset:1392
	ds_load_b128 v[36:39], v1 offset:1408
	s_waitcnt vmcnt(8) lgkmcnt(1)
	v_mul_f64 v[56:57], v[6:7], v[30:31]
	v_mul_f64 v[30:31], v[8:9], v[30:31]
	v_add_f64 v[60:61], v[22:23], v[60:61]
	v_add_f64 v[40:41], v[40:41], v[62:63]
	s_waitcnt vmcnt(7) lgkmcnt(0)
	v_mul_f64 v[62:63], v[36:37], v[44:45]
	v_mul_f64 v[44:45], v[38:39], v[44:45]
	scratch_load_b128 v[22:25], off, off offset:544
	v_fma_f64 v[56:57], v[8:9], v[28:29], v[56:57]
	v_fma_f64 v[30:31], v[6:7], v[28:29], -v[30:31]
	ds_load_b128 v[6:9], v1 offset:1424
	v_add_f64 v[58:59], v[60:61], v[58:59]
	v_add_f64 v[40:41], v[40:41], v[26:27]
	v_fma_f64 v[62:63], v[38:39], v[42:43], v[62:63]
	v_fma_f64 v[42:43], v[36:37], v[42:43], -v[44:45]
	s_waitcnt vmcnt(7)
	v_mul_f64 v[44:45], v[237:238], v[189:190]
	s_clause 0x1
	scratch_load_b128 v[26:29], off, off offset:560
	scratch_load_b128 v[36:39], off, off offset:576
	v_add_f64 v[30:31], v[40:41], v[30:31]
	v_add_f64 v[40:41], v[58:59], v[56:57]
	v_mul_f64 v[56:57], v[239:240], v[189:190]
	v_fma_f64 v[44:45], v[239:240], v[187:188], v[44:45]
	s_delay_alu instid0(VALU_DEP_4) | instskip(NEXT) | instid1(VALU_DEP_4)
	v_add_f64 v[30:31], v[30:31], v[42:43]
	v_add_f64 v[62:63], v[40:41], v[62:63]
	ds_load_b128 v[40:43], v1 offset:1472
	s_waitcnt vmcnt(8) lgkmcnt(1)
	v_mul_f64 v[60:61], v[6:7], v[20:21]
	v_mul_f64 v[20:21], v[8:9], v[20:21]
	v_fma_f64 v[56:57], v[237:238], v[187:188], -v[56:57]
	scratch_load_b128 v[187:190], off, off offset:608
	ds_load_b128 v[237:240], v1 offset:1504
	v_fma_f64 v[58:59], v[8:9], v[18:19], v[60:61]
	v_fma_f64 v[60:61], v[6:7], v[18:19], -v[20:21]
	ds_load_b128 v[6:9], v1 offset:1456
	scratch_load_b128 v[18:21], off, off offset:592
	s_waitcnt vmcnt(8) lgkmcnt(0)
	v_mul_f64 v[64:65], v[6:7], v[12:13]
	v_mul_f64 v[12:13], v[8:9], v[12:13]
	v_add_f64 v[58:59], v[62:63], v[58:59]
	v_add_f64 v[30:31], v[30:31], v[60:61]
	v_mul_f64 v[60:61], v[40:41], v[54:55]
	v_mul_f64 v[54:55], v[42:43], v[54:55]
	v_fma_f64 v[62:63], v[8:9], v[10:11], v[64:65]
	v_fma_f64 v[64:65], v[6:7], v[10:11], -v[12:13]
	ds_load_b128 v[6:9], v1 offset:1488
	scratch_load_b128 v[10:13], off, off offset:624
	v_add_f64 v[44:45], v[58:59], v[44:45]
	v_add_f64 v[30:31], v[30:31], v[56:57]
	v_fma_f64 v[58:59], v[42:43], v[52:53], v[60:61]
	v_fma_f64 v[52:53], v[40:41], v[52:53], -v[54:55]
	s_waitcnt vmcnt(7)
	v_mul_f64 v[60:61], v[237:238], v[16:17]
	v_mul_f64 v[16:17], v[239:240], v[16:17]
	scratch_load_b128 v[40:43], off, off offset:640
	v_add_f64 v[44:45], v[44:45], v[62:63]
	v_add_f64 v[30:31], v[30:31], v[64:65]
	v_fma_f64 v[60:61], v[239:240], v[14:15], v[60:61]
	v_fma_f64 v[64:65], v[237:238], v[14:15], -v[16:17]
	scratch_load_b128 v[14:17], off, off offset:672
	ds_load_b128 v[237:240], v1 offset:1568
	v_add_f64 v[58:59], v[44:45], v[58:59]
	v_add_f64 v[30:31], v[30:31], v[52:53]
	ds_load_b128 v[52:55], v1 offset:1536
	s_waitcnt lgkmcnt(2)
	v_mul_f64 v[56:57], v[6:7], v[48:49]
	v_mul_f64 v[48:49], v[8:9], v[48:49]
	s_delay_alu instid0(VALU_DEP_2) | instskip(NEXT) | instid1(VALU_DEP_2)
	v_fma_f64 v[56:57], v[8:9], v[46:47], v[56:57]
	v_fma_f64 v[48:49], v[6:7], v[46:47], -v[48:49]
	ds_load_b128 v[6:9], v1 offset:1520
	scratch_load_b128 v[44:47], off, off offset:656
	s_waitcnt vmcnt(9) lgkmcnt(0)
	v_mul_f64 v[62:63], v[6:7], v[34:35]
	v_mul_f64 v[34:35], v[8:9], v[34:35]
	v_add_f64 v[30:31], v[30:31], v[48:49]
	v_add_f64 v[48:49], v[58:59], v[56:57]
	s_waitcnt vmcnt(8)
	v_mul_f64 v[56:57], v[52:53], v[24:25]
	v_mul_f64 v[24:25], v[54:55], v[24:25]
	v_fma_f64 v[58:59], v[8:9], v[32:33], v[62:63]
	v_fma_f64 v[34:35], v[6:7], v[32:33], -v[34:35]
	ds_load_b128 v[6:9], v1 offset:1552
	v_add_f64 v[62:63], v[30:31], v[64:65]
	v_add_f64 v[48:49], v[48:49], v[60:61]
	v_fma_f64 v[54:55], v[54:55], v[22:23], v[56:57]
	v_fma_f64 v[52:53], v[52:53], v[22:23], -v[24:25]
	scratch_load_b128 v[30:33], off, off offset:688
	s_waitcnt vmcnt(7)
	v_mul_f64 v[56:57], v[237:238], v[38:39]
	v_mul_f64 v[38:39], v[239:240], v[38:39]
	scratch_load_b128 v[22:25], off, off offset:704
	v_add_f64 v[34:35], v[62:63], v[34:35]
	v_add_f64 v[48:49], v[48:49], v[58:59]
	v_fma_f64 v[56:57], v[239:240], v[36:37], v[56:57]
	v_fma_f64 v[38:39], v[237:238], v[36:37], -v[38:39]
	ds_load_b128 v[237:240], v1 offset:1632
	v_add_f64 v[34:35], v[34:35], v[52:53]
	v_add_f64 v[48:49], v[48:49], v[54:55]
	ds_load_b128 v[52:55], v1 offset:1600
	s_waitcnt lgkmcnt(2)
	v_mul_f64 v[60:61], v[6:7], v[28:29]
	v_mul_f64 v[28:29], v[8:9], v[28:29]
	s_waitcnt vmcnt(7) lgkmcnt(0)
	v_mul_f64 v[64:65], v[54:55], v[189:190]
	s_delay_alu instid0(VALU_DEP_3) | instskip(NEXT) | instid1(VALU_DEP_3)
	v_fma_f64 v[58:59], v[8:9], v[26:27], v[60:61]
	v_fma_f64 v[60:61], v[6:7], v[26:27], -v[28:29]
	scratch_load_b128 v[26:29], off, off offset:720
	ds_load_b128 v[6:9], v1 offset:1584
	s_waitcnt vmcnt(7) lgkmcnt(0)
	v_mul_f64 v[62:63], v[6:7], v[20:21]
	v_mul_f64 v[20:21], v[8:9], v[20:21]
	v_add_f64 v[48:49], v[48:49], v[58:59]
	v_add_f64 v[60:61], v[34:35], v[60:61]
	v_mul_f64 v[58:59], v[52:53], v[189:190]
	scratch_load_b128 v[34:37], off, off offset:736
	v_fma_f64 v[62:63], v[8:9], v[18:19], v[62:63]
	v_fma_f64 v[66:67], v[6:7], v[18:19], -v[20:21]
	scratch_load_b128 v[18:21], off, off offset:752
	ds_load_b128 v[6:9], v1 offset:1616
	v_add_f64 v[48:49], v[48:49], v[56:57]
	v_add_f64 v[38:39], v[60:61], v[38:39]
	v_fma_f64 v[58:59], v[54:55], v[187:188], v[58:59]
	v_fma_f64 v[60:61], v[52:53], v[187:188], -v[64:65]
	ds_load_b128 v[187:190], v1 offset:1664
	scratch_load_b128 v[52:55], off, off offset:768
	s_waitcnt vmcnt(9) lgkmcnt(1)
	v_mul_f64 v[56:57], v[6:7], v[12:13]
	v_mul_f64 v[12:13], v[8:9], v[12:13]
	v_add_f64 v[48:49], v[48:49], v[62:63]
	v_add_f64 v[38:39], v[38:39], v[66:67]
	s_waitcnt vmcnt(8)
	v_mul_f64 v[62:63], v[237:238], v[42:43]
	v_mul_f64 v[42:43], v[239:240], v[42:43]
	v_fma_f64 v[56:57], v[8:9], v[10:11], v[56:57]
	v_fma_f64 v[64:65], v[6:7], v[10:11], -v[12:13]
	scratch_load_b128 v[10:13], off, off offset:784
	ds_load_b128 v[6:9], v1 offset:1648
	v_add_f64 v[48:49], v[48:49], v[58:59]
	v_add_f64 v[38:39], v[38:39], v[60:61]
	v_fma_f64 v[60:61], v[239:240], v[40:41], v[62:63]
	v_fma_f64 v[42:43], v[237:238], v[40:41], -v[42:43]
	s_delay_alu instid0(VALU_DEP_4)
	v_add_f64 v[48:49], v[48:49], v[56:57]
	s_waitcnt vmcnt(8) lgkmcnt(1)
	v_mul_f64 v[56:57], v[187:188], v[16:17]
	v_mul_f64 v[16:17], v[189:190], v[16:17]
	v_add_f64 v[62:63], v[38:39], v[64:65]
	scratch_load_b128 v[38:41], off, off offset:800
	v_add_f64 v[60:61], v[48:49], v[60:61]
	v_fma_f64 v[56:57], v[189:190], v[14:15], v[56:57]
	v_fma_f64 v[68:69], v[187:188], v[14:15], -v[16:17]
	ds_load_b128 v[187:190], v1 offset:1728
	s_waitcnt vmcnt(8) lgkmcnt(1)
	v_mul_f64 v[58:59], v[6:7], v[46:47]
	v_mul_f64 v[46:47], v[8:9], v[46:47]
	v_add_f64 v[62:63], v[62:63], v[42:43]
	scratch_load_b128 v[14:17], off, off offset:832
	v_fma_f64 v[58:59], v[8:9], v[44:45], v[58:59]
	v_fma_f64 v[64:65], v[6:7], v[44:45], -v[46:47]
	ds_load_b128 v[6:9], v1 offset:1680
	ds_load_b128 v[46:49], v1 offset:1696
	scratch_load_b128 v[42:45], off, off offset:816
	s_waitcnt vmcnt(9) lgkmcnt(1)
	v_mul_f64 v[66:67], v[6:7], v[32:33]
	v_mul_f64 v[32:33], v[8:9], v[32:33]
	v_add_f64 v[58:59], v[60:61], v[58:59]
	v_add_f64 v[62:63], v[62:63], v[64:65]
	s_waitcnt vmcnt(8) lgkmcnt(0)
	v_mul_f64 v[60:61], v[46:47], v[24:25]
	v_mul_f64 v[24:25], v[48:49], v[24:25]
	v_fma_f64 v[64:65], v[8:9], v[30:31], v[66:67]
	v_fma_f64 v[66:67], v[6:7], v[30:31], -v[32:33]
	ds_load_b128 v[6:9], v1 offset:1712
	scratch_load_b128 v[30:33], off, off offset:848
	v_add_f64 v[56:57], v[58:59], v[56:57]
	v_add_f64 v[62:63], v[62:63], v[68:69]
	v_fma_f64 v[48:49], v[48:49], v[22:23], v[60:61]
	v_fma_f64 v[46:47], v[46:47], v[22:23], -v[24:25]
	scratch_load_b128 v[22:25], off, off offset:864
	v_add_f64 v[56:57], v[56:57], v[64:65]
	v_add_f64 v[60:61], v[62:63], v[66:67]
	s_waitcnt vmcnt(8)
	v_mul_f64 v[62:63], v[187:188], v[36:37]
	v_mul_f64 v[36:37], v[189:190], v[36:37]
	s_delay_alu instid0(VALU_DEP_4) | instskip(NEXT) | instid1(VALU_DEP_4)
	v_add_f64 v[56:57], v[56:57], v[48:49]
	v_add_f64 v[60:61], v[60:61], v[46:47]
	ds_load_b128 v[46:49], v1 offset:1760
	s_waitcnt lgkmcnt(1)
	v_mul_f64 v[58:59], v[6:7], v[28:29]
	v_mul_f64 v[28:29], v[8:9], v[28:29]
	v_fma_f64 v[62:63], v[189:190], v[34:35], v[62:63]
	v_fma_f64 v[68:69], v[187:188], v[34:35], -v[36:37]
	ds_load_b128 v[187:190], v1 offset:1792
	scratch_load_b128 v[34:37], off, off offset:896
	v_fma_f64 v[58:59], v[8:9], v[26:27], v[58:59]
	v_fma_f64 v[64:65], v[6:7], v[26:27], -v[28:29]
	ds_load_b128 v[6:9], v1 offset:1744
	scratch_load_b128 v[26:29], off, off offset:880
	s_waitcnt vmcnt(9) lgkmcnt(0)
	v_mul_f64 v[66:67], v[6:7], v[20:21]
	v_mul_f64 v[20:21], v[8:9], v[20:21]
	v_add_f64 v[56:57], v[56:57], v[58:59]
	v_add_f64 v[60:61], v[60:61], v[64:65]
	s_waitcnt vmcnt(8)
	v_mul_f64 v[58:59], v[46:47], v[54:55]
	v_mul_f64 v[54:55], v[48:49], v[54:55]
	v_fma_f64 v[64:65], v[8:9], v[18:19], v[66:67]
	v_fma_f64 v[66:67], v[6:7], v[18:19], -v[20:21]
	ds_load_b128 v[6:9], v1 offset:1776
	scratch_load_b128 v[18:21], off, off offset:912
	v_add_f64 v[56:57], v[56:57], v[62:63]
	v_add_f64 v[60:61], v[60:61], v[68:69]
	v_fma_f64 v[58:59], v[48:49], v[52:53], v[58:59]
	v_fma_f64 v[52:53], v[46:47], v[52:53], -v[54:55]
	scratch_load_b128 v[46:49], off, off offset:928
	v_add_f64 v[56:57], v[56:57], v[64:65]
	v_add_f64 v[54:55], v[60:61], v[66:67]
	s_waitcnt vmcnt(8)
	v_mul_f64 v[60:61], v[187:188], v[40:41]
	v_mul_f64 v[40:41], v[189:190], v[40:41]
	s_delay_alu instid0(VALU_DEP_4) | instskip(NEXT) | instid1(VALU_DEP_4)
	v_add_f64 v[56:57], v[56:57], v[58:59]
	v_add_f64 v[66:67], v[54:55], v[52:53]
	ds_load_b128 v[52:55], v1 offset:1824
	s_waitcnt lgkmcnt(1)
	v_mul_f64 v[62:63], v[6:7], v[12:13]
	v_mul_f64 v[12:13], v[8:9], v[12:13]
	v_fma_f64 v[60:61], v[189:190], v[38:39], v[60:61]
	v_fma_f64 v[68:69], v[187:188], v[38:39], -v[40:41]
	ds_load_b128 v[187:190], v1 offset:1856
	scratch_load_b128 v[38:41], off, off offset:960
	v_fma_f64 v[62:63], v[8:9], v[10:11], v[62:63]
	v_fma_f64 v[64:65], v[6:7], v[10:11], -v[12:13]
	ds_load_b128 v[6:9], v1 offset:1808
	scratch_load_b128 v[10:13], off, off offset:944
	s_waitcnt vmcnt(8) lgkmcnt(0)
	v_mul_f64 v[58:59], v[6:7], v[44:45]
	v_mul_f64 v[44:45], v[8:9], v[44:45]
	v_add_f64 v[56:57], v[56:57], v[62:63]
	v_add_f64 v[64:65], v[66:67], v[64:65]
	v_mul_f64 v[62:63], v[52:53], v[16:17]
	v_mul_f64 v[16:17], v[54:55], v[16:17]
	v_fma_f64 v[58:59], v[8:9], v[42:43], v[58:59]
	v_fma_f64 v[66:67], v[6:7], v[42:43], -v[44:45]
	ds_load_b128 v[6:9], v1 offset:1840
	scratch_load_b128 v[42:45], off, off offset:976
	v_add_f64 v[56:57], v[56:57], v[60:61]
	v_add_f64 v[64:65], v[64:65], v[68:69]
	v_fma_f64 v[54:55], v[54:55], v[14:15], v[62:63]
	v_fma_f64 v[14:15], v[52:53], v[14:15], -v[16:17]
	s_waitcnt vmcnt(8) lgkmcnt(0)
	v_mul_f64 v[60:61], v[6:7], v[32:33]
	v_mul_f64 v[32:33], v[8:9], v[32:33]
	v_add_f64 v[52:53], v[56:57], v[58:59]
	v_add_f64 v[16:17], v[64:65], v[66:67]
	s_waitcnt vmcnt(7)
	v_mul_f64 v[56:57], v[187:188], v[24:25]
	v_mul_f64 v[24:25], v[189:190], v[24:25]
	v_fma_f64 v[58:59], v[8:9], v[30:31], v[60:61]
	v_fma_f64 v[30:31], v[6:7], v[30:31], -v[32:33]
	v_add_f64 v[52:53], v[52:53], v[54:55]
	v_add_f64 v[32:33], v[16:17], v[14:15]
	ds_load_b128 v[6:9], v1 offset:1872
	ds_load_b128 v[14:17], v1 offset:1888
	v_fma_f64 v[56:57], v[189:190], v[22:23], v[56:57]
	v_fma_f64 v[22:23], v[187:188], v[22:23], -v[24:25]
	s_waitcnt vmcnt(5) lgkmcnt(1)
	v_mul_f64 v[54:55], v[6:7], v[28:29]
	v_mul_f64 v[28:29], v[8:9], v[28:29]
	v_add_f64 v[24:25], v[32:33], v[30:31]
	v_add_f64 v[30:31], v[52:53], v[58:59]
	s_waitcnt lgkmcnt(0)
	v_mul_f64 v[32:33], v[14:15], v[36:37]
	v_mul_f64 v[36:37], v[16:17], v[36:37]
	v_fma_f64 v[52:53], v[8:9], v[26:27], v[54:55]
	v_fma_f64 v[26:27], v[6:7], v[26:27], -v[28:29]
	v_add_f64 v[28:29], v[24:25], v[22:23]
	v_add_f64 v[30:31], v[30:31], v[56:57]
	ds_load_b128 v[6:9], v1 offset:1904
	ds_load_b128 v[22:25], v1 offset:1920
	v_fma_f64 v[16:17], v[16:17], v[34:35], v[32:33]
	v_fma_f64 v[14:15], v[14:15], v[34:35], -v[36:37]
	s_waitcnt vmcnt(4) lgkmcnt(1)
	v_mul_f64 v[54:55], v[6:7], v[20:21]
	v_mul_f64 v[20:21], v[8:9], v[20:21]
	s_waitcnt vmcnt(3) lgkmcnt(0)
	v_mul_f64 v[32:33], v[24:25], v[48:49]
	v_add_f64 v[26:27], v[28:29], v[26:27]
	v_add_f64 v[28:29], v[30:31], v[52:53]
	v_mul_f64 v[30:31], v[22:23], v[48:49]
	v_fma_f64 v[34:35], v[8:9], v[18:19], v[54:55]
	v_fma_f64 v[18:19], v[6:7], v[18:19], -v[20:21]
	v_fma_f64 v[22:23], v[22:23], v[46:47], -v[32:33]
	v_add_f64 v[20:21], v[26:27], v[14:15]
	v_add_f64 v[26:27], v[28:29], v[16:17]
	ds_load_b128 v[6:9], v1 offset:1936
	ds_load_b128 v[14:17], v1 offset:1952
	v_fma_f64 v[24:25], v[24:25], v[46:47], v[30:31]
	s_waitcnt vmcnt(1) lgkmcnt(1)
	v_mul_f64 v[28:29], v[6:7], v[12:13]
	v_mul_f64 v[12:13], v[8:9], v[12:13]
	s_waitcnt lgkmcnt(0)
	v_mul_f64 v[30:31], v[16:17], v[40:41]
	v_add_f64 v[18:19], v[20:21], v[18:19]
	v_add_f64 v[20:21], v[26:27], v[34:35]
	v_mul_f64 v[26:27], v[14:15], v[40:41]
	v_fma_f64 v[28:29], v[8:9], v[10:11], v[28:29]
	v_fma_f64 v[10:11], v[6:7], v[10:11], -v[12:13]
	ds_load_b128 v[6:9], v1 offset:1968
	v_fma_f64 v[14:15], v[14:15], v[38:39], -v[30:31]
	v_add_f64 v[12:13], v[18:19], v[22:23]
	v_add_f64 v[18:19], v[20:21], v[24:25]
	v_fma_f64 v[16:17], v[16:17], v[38:39], v[26:27]
	s_waitcnt vmcnt(0) lgkmcnt(0)
	v_mul_f64 v[20:21], v[6:7], v[44:45]
	v_mul_f64 v[22:23], v[8:9], v[44:45]
	v_add_f64 v[10:11], v[12:13], v[10:11]
	v_add_f64 v[12:13], v[18:19], v[28:29]
	s_delay_alu instid0(VALU_DEP_4) | instskip(NEXT) | instid1(VALU_DEP_4)
	v_fma_f64 v[8:9], v[8:9], v[42:43], v[20:21]
	v_fma_f64 v[6:7], v[6:7], v[42:43], -v[22:23]
	s_delay_alu instid0(VALU_DEP_4) | instskip(NEXT) | instid1(VALU_DEP_4)
	v_add_f64 v[10:11], v[10:11], v[14:15]
	v_add_f64 v[12:13], v[12:13], v[16:17]
	s_delay_alu instid0(VALU_DEP_2) | instskip(NEXT) | instid1(VALU_DEP_2)
	v_add_f64 v[6:7], v[10:11], v[6:7]
	v_add_f64 v[8:9], v[12:13], v[8:9]
	s_delay_alu instid0(VALU_DEP_2) | instskip(NEXT) | instid1(VALU_DEP_2)
	v_add_f64 v[2:3], v[2:3], -v[6:7]
	v_add_f64 v[4:5], v[4:5], -v[8:9]
	scratch_store_b128 off, v[2:5], off offset:160
	v_cmpx_lt_u32_e32 9, v174
	s_cbranch_execz .LBB61_379
; %bb.378:
	scratch_load_b32 v2, off, off offset:1160 ; 4-byte Folded Reload
	v_mov_b32_e32 v3, v1
	v_mov_b32_e32 v4, v1
	s_waitcnt vmcnt(0)
	scratch_load_b128 v[5:8], v2, off
	v_mov_b32_e32 v2, v1
	scratch_store_b128 off, v[1:4], off offset:144
	s_waitcnt vmcnt(0)
	ds_store_b128 v236, v[5:8]
.LBB61_379:
	s_or_b32 exec_lo, exec_lo, s2
	s_waitcnt lgkmcnt(0)
	s_waitcnt_vscnt null, 0x0
	s_barrier
	buffer_gl0_inv
	s_clause 0x8
	scratch_load_b128 v[34:37], off, off offset:160
	scratch_load_b128 v[38:41], off, off offset:176
	;; [unrolled: 1-line block ×9, first 2 shown]
	ds_load_b128 v[46:49], v1 offset:1152
	ds_load_b128 v[42:45], v1 offset:1168
	s_clause 0x1
	scratch_load_b128 v[2:5], off, off offset:144
	scratch_load_b128 v[52:55], off, off offset:304
	s_mov_b32 s2, exec_lo
	ds_load_b128 v[187:190], v1 offset:1200
	ds_load_b128 v[237:240], v1 offset:1328
	s_waitcnt vmcnt(10) lgkmcnt(3)
	v_mul_f64 v[56:57], v[48:49], v[36:37]
	v_mul_f64 v[36:37], v[46:47], v[36:37]
	s_waitcnt vmcnt(9) lgkmcnt(2)
	v_mul_f64 v[58:59], v[42:43], v[40:41]
	v_mul_f64 v[40:41], v[44:45], v[40:41]
	s_waitcnt vmcnt(7) lgkmcnt(1)
	v_mul_f64 v[64:65], v[189:190], v[28:29]
	v_fma_f64 v[56:57], v[46:47], v[34:35], -v[56:57]
	v_fma_f64 v[60:61], v[48:49], v[34:35], v[36:37]
	ds_load_b128 v[34:37], v1 offset:1184
	scratch_load_b128 v[46:49], off, off offset:320
	v_fma_f64 v[44:45], v[44:45], v[38:39], v[58:59]
	v_fma_f64 v[42:43], v[42:43], v[38:39], -v[40:41]
	scratch_load_b128 v[38:41], off, off offset:336
	v_fma_f64 v[64:65], v[187:188], v[26:27], -v[64:65]
	s_waitcnt lgkmcnt(0)
	v_mul_f64 v[62:63], v[34:35], v[32:33]
	v_mul_f64 v[32:33], v[36:37], v[32:33]
	v_add_f64 v[56:57], v[56:57], 0
	v_add_f64 v[58:59], v[60:61], 0
	v_mul_f64 v[60:61], v[187:188], v[28:29]
	v_fma_f64 v[36:37], v[36:37], v[30:31], v[62:63]
	v_fma_f64 v[62:63], v[34:35], v[30:31], -v[32:33]
	ds_load_b128 v[28:31], v1 offset:1216
	scratch_load_b128 v[32:35], off, off offset:352
	v_add_f64 v[56:57], v[56:57], v[42:43]
	v_add_f64 v[58:59], v[58:59], v[44:45]
	ds_load_b128 v[42:45], v1 offset:1232
	v_fma_f64 v[60:61], v[189:190], v[26:27], v[60:61]
	ds_load_b128 v[187:190], v1 offset:1264
	s_waitcnt vmcnt(9) lgkmcnt(2)
	v_mul_f64 v[66:67], v[28:29], v[24:25]
	v_mul_f64 v[68:69], v[30:31], v[24:25]
	scratch_load_b128 v[24:27], off, off offset:368
	v_add_f64 v[56:57], v[56:57], v[62:63]
	v_add_f64 v[36:37], v[58:59], v[36:37]
	s_waitcnt vmcnt(9) lgkmcnt(1)
	v_mul_f64 v[58:59], v[42:43], v[20:21]
	v_mul_f64 v[62:63], v[44:45], v[20:21]
	v_fma_f64 v[66:67], v[30:31], v[22:23], v[66:67]
	v_fma_f64 v[68:69], v[28:29], v[22:23], -v[68:69]
	ds_load_b128 v[20:23], v1 offset:1248
	scratch_load_b128 v[28:31], off, off offset:384
	v_add_f64 v[56:57], v[56:57], v[64:65]
	v_add_f64 v[36:37], v[36:37], v[60:61]
	s_waitcnt vmcnt(9) lgkmcnt(0)
	v_mul_f64 v[60:61], v[20:21], v[16:17]
	v_mul_f64 v[64:65], v[22:23], v[16:17]
	v_fma_f64 v[44:45], v[44:45], v[18:19], v[58:59]
	v_fma_f64 v[42:43], v[42:43], v[18:19], -v[62:63]
	scratch_load_b128 v[16:19], off, off offset:400
	s_waitcnt vmcnt(9)
	v_mul_f64 v[58:59], v[187:188], v[12:13]
	v_mul_f64 v[62:63], v[189:190], v[12:13]
	v_add_f64 v[56:57], v[56:57], v[68:69]
	v_add_f64 v[36:37], v[36:37], v[66:67]
	v_fma_f64 v[60:61], v[22:23], v[14:15], v[60:61]
	v_fma_f64 v[64:65], v[20:21], v[14:15], -v[64:65]
	ds_load_b128 v[12:15], v1 offset:1280
	scratch_load_b128 v[20:23], off, off offset:416
	v_fma_f64 v[58:59], v[189:190], v[10:11], v[58:59]
	v_fma_f64 v[62:63], v[187:188], v[10:11], -v[62:63]
	scratch_load_b128 v[187:190], off, off offset:448
	v_add_f64 v[56:57], v[56:57], v[42:43]
	v_add_f64 v[36:37], v[36:37], v[44:45]
	ds_load_b128 v[42:45], v1 offset:1296
	s_waitcnt vmcnt(10) lgkmcnt(1)
	v_mul_f64 v[66:67], v[12:13], v[8:9]
	v_mul_f64 v[68:69], v[14:15], v[8:9]
	scratch_load_b128 v[8:11], off, off offset:432
	v_add_f64 v[56:57], v[56:57], v[64:65]
	v_add_f64 v[36:37], v[36:37], v[60:61]
	s_waitcnt vmcnt(9) lgkmcnt(0)
	v_mul_f64 v[60:61], v[42:43], v[54:55]
	v_mul_f64 v[54:55], v[44:45], v[54:55]
	v_fma_f64 v[64:65], v[14:15], v[6:7], v[66:67]
	v_fma_f64 v[6:7], v[12:13], v[6:7], -v[68:69]
	ds_load_b128 v[12:15], v1 offset:1312
	v_add_f64 v[56:57], v[56:57], v[62:63]
	v_add_f64 v[36:37], v[36:37], v[58:59]
	v_fma_f64 v[60:61], v[44:45], v[52:53], v[60:61]
	v_fma_f64 v[52:53], v[42:43], v[52:53], -v[54:55]
	scratch_load_b128 v[42:45], off, off offset:464
	s_waitcnt vmcnt(9) lgkmcnt(0)
	v_mul_f64 v[58:59], v[12:13], v[48:49]
	v_mul_f64 v[48:49], v[14:15], v[48:49]
	v_add_f64 v[6:7], v[56:57], v[6:7]
	v_add_f64 v[36:37], v[36:37], v[64:65]
	s_waitcnt vmcnt(8)
	v_mul_f64 v[56:57], v[237:238], v[40:41]
	v_mul_f64 v[40:41], v[239:240], v[40:41]
	v_fma_f64 v[58:59], v[14:15], v[46:47], v[58:59]
	v_fma_f64 v[62:63], v[12:13], v[46:47], -v[48:49]
	ds_load_b128 v[12:15], v1 offset:1344
	scratch_load_b128 v[46:49], off, off offset:480
	v_add_f64 v[6:7], v[6:7], v[52:53]
	v_add_f64 v[36:37], v[36:37], v[60:61]
	ds_load_b128 v[52:55], v1 offset:1360
	s_waitcnt vmcnt(8) lgkmcnt(1)
	v_mul_f64 v[60:61], v[12:13], v[34:35]
	v_mul_f64 v[64:65], v[14:15], v[34:35]
	v_fma_f64 v[56:57], v[239:240], v[38:39], v[56:57]
	v_fma_f64 v[38:39], v[237:238], v[38:39], -v[40:41]
	ds_load_b128 v[237:240], v1 offset:1392
	v_add_f64 v[6:7], v[6:7], v[62:63]
	v_add_f64 v[40:41], v[36:37], v[58:59]
	scratch_load_b128 v[34:37], off, off offset:496
	s_waitcnt vmcnt(8) lgkmcnt(1)
	v_mul_f64 v[58:59], v[52:53], v[26:27]
	v_mul_f64 v[26:27], v[54:55], v[26:27]
	v_fma_f64 v[60:61], v[14:15], v[32:33], v[60:61]
	v_fma_f64 v[32:33], v[12:13], v[32:33], -v[64:65]
	ds_load_b128 v[12:15], v1 offset:1376
	s_waitcnt vmcnt(7) lgkmcnt(0)
	v_mul_f64 v[62:63], v[12:13], v[30:31]
	v_mul_f64 v[30:31], v[14:15], v[30:31]
	v_add_f64 v[6:7], v[6:7], v[38:39]
	v_add_f64 v[56:57], v[40:41], v[56:57]
	scratch_load_b128 v[38:41], off, off offset:512
	v_fma_f64 v[54:55], v[54:55], v[24:25], v[58:59]
	v_fma_f64 v[52:53], v[52:53], v[24:25], -v[26:27]
	scratch_load_b128 v[24:27], off, off offset:528
	v_fma_f64 v[58:59], v[14:15], v[28:29], v[62:63]
	v_add_f64 v[6:7], v[6:7], v[32:33]
	v_add_f64 v[32:33], v[56:57], v[60:61]
	s_waitcnt vmcnt(8)
	v_mul_f64 v[56:57], v[237:238], v[18:19]
	v_mul_f64 v[18:19], v[239:240], v[18:19]
	v_fma_f64 v[60:61], v[12:13], v[28:29], -v[30:31]
	ds_load_b128 v[12:15], v1 offset:1408
	scratch_load_b128 v[28:31], off, off offset:544
	v_add_f64 v[6:7], v[6:7], v[52:53]
	v_add_f64 v[32:33], v[32:33], v[54:55]
	ds_load_b128 v[52:55], v1 offset:1424
	s_waitcnt vmcnt(8) lgkmcnt(1)
	v_mul_f64 v[62:63], v[12:13], v[22:23]
	v_mul_f64 v[22:23], v[14:15], v[22:23]
	v_fma_f64 v[56:57], v[239:240], v[16:17], v[56:57]
	v_fma_f64 v[64:65], v[237:238], v[16:17], -v[18:19]
	scratch_load_b128 v[16:19], off, off offset:560
	ds_load_b128 v[237:240], v1 offset:1456
	v_add_f64 v[6:7], v[6:7], v[60:61]
	v_add_f64 v[32:33], v[32:33], v[58:59]
	s_waitcnt vmcnt(7) lgkmcnt(1)
	v_mul_f64 v[58:59], v[52:53], v[10:11]
	v_mul_f64 v[60:61], v[54:55], v[10:11]
	v_fma_f64 v[14:15], v[14:15], v[20:21], v[62:63]
	v_fma_f64 v[62:63], v[12:13], v[20:21], -v[22:23]
	ds_load_b128 v[10:13], v1 offset:1440
	scratch_load_b128 v[20:23], off, off offset:576
	v_add_f64 v[6:7], v[6:7], v[64:65]
	v_add_f64 v[32:33], v[32:33], v[56:57]
	s_waitcnt lgkmcnt(0)
	v_mul_f64 v[56:57], v[10:11], v[189:190]
	v_mul_f64 v[64:65], v[12:13], v[189:190]
	v_fma_f64 v[54:55], v[54:55], v[8:9], v[58:59]
	v_fma_f64 v[52:53], v[52:53], v[8:9], -v[60:61]
	v_add_f64 v[58:59], v[6:7], v[62:63]
	scratch_load_b128 v[6:9], off, off offset:592
	v_add_f64 v[14:15], v[32:33], v[14:15]
	s_waitcnt vmcnt(8)
	v_mul_f64 v[32:33], v[237:238], v[44:45]
	v_mul_f64 v[44:45], v[239:240], v[44:45]
	v_fma_f64 v[56:57], v[12:13], v[187:188], v[56:57]
	v_fma_f64 v[60:61], v[10:11], v[187:188], -v[64:65]
	ds_load_b128 v[10:13], v1 offset:1472
	ds_load_b128 v[187:190], v1 offset:1488
	s_waitcnt vmcnt(7) lgkmcnt(1)
	v_mul_f64 v[62:63], v[10:11], v[48:49]
	v_add_f64 v[58:59], v[58:59], v[52:53]
	v_add_f64 v[14:15], v[14:15], v[54:55]
	scratch_load_b128 v[52:55], off, off offset:608
	v_mul_f64 v[48:49], v[12:13], v[48:49]
	v_fma_f64 v[32:33], v[239:240], v[42:43], v[32:33]
	v_fma_f64 v[64:65], v[237:238], v[42:43], -v[44:45]
	scratch_load_b128 v[42:45], off, off offset:624
	ds_load_b128 v[237:240], v1 offset:1520
	v_add_f64 v[58:59], v[58:59], v[60:61]
	v_add_f64 v[14:15], v[14:15], v[56:57]
	v_fma_f64 v[60:61], v[12:13], v[46:47], v[62:63]
	v_fma_f64 v[62:63], v[10:11], v[46:47], -v[48:49]
	ds_load_b128 v[10:13], v1 offset:1504
	scratch_load_b128 v[46:49], off, off offset:640
	s_waitcnt vmcnt(9) lgkmcnt(2)
	v_mul_f64 v[56:57], v[187:188], v[36:37]
	v_mul_f64 v[36:37], v[189:190], v[36:37]
	v_add_f64 v[58:59], v[58:59], v[64:65]
	v_add_f64 v[14:15], v[14:15], v[32:33]
	s_waitcnt vmcnt(8) lgkmcnt(0)
	v_mul_f64 v[64:65], v[10:11], v[40:41]
	v_mul_f64 v[40:41], v[12:13], v[40:41]
	v_fma_f64 v[56:57], v[189:190], v[34:35], v[56:57]
	v_fma_f64 v[36:37], v[187:188], v[34:35], -v[36:37]
	scratch_load_b128 v[32:35], off, off offset:656
	ds_load_b128 v[187:190], v1 offset:1552
	v_add_f64 v[58:59], v[58:59], v[62:63]
	v_add_f64 v[14:15], v[14:15], v[60:61]
	s_waitcnt vmcnt(8)
	v_mul_f64 v[60:61], v[237:238], v[26:27]
	v_mul_f64 v[26:27], v[239:240], v[26:27]
	v_fma_f64 v[62:63], v[12:13], v[38:39], v[64:65]
	v_fma_f64 v[40:41], v[10:11], v[38:39], -v[40:41]
	ds_load_b128 v[10:13], v1 offset:1536
	v_add_f64 v[58:59], v[58:59], v[36:37]
	v_add_f64 v[14:15], v[14:15], v[56:57]
	scratch_load_b128 v[36:39], off, off offset:672
	s_waitcnt vmcnt(8) lgkmcnt(0)
	v_mul_f64 v[56:57], v[10:11], v[30:31]
	v_mul_f64 v[30:31], v[12:13], v[30:31]
	v_fma_f64 v[60:61], v[239:240], v[24:25], v[60:61]
	v_fma_f64 v[64:65], v[237:238], v[24:25], -v[26:27]
	scratch_load_b128 v[24:27], off, off offset:688
	ds_load_b128 v[237:240], v1 offset:1584
	v_add_f64 v[40:41], v[58:59], v[40:41]
	v_add_f64 v[14:15], v[14:15], v[62:63]
	s_waitcnt vmcnt(8)
	v_mul_f64 v[58:59], v[187:188], v[18:19]
	v_mul_f64 v[18:19], v[189:190], v[18:19]
	v_fma_f64 v[56:57], v[12:13], v[28:29], v[56:57]
	v_fma_f64 v[62:63], v[10:11], v[28:29], -v[30:31]
	ds_load_b128 v[10:13], v1 offset:1568
	scratch_load_b128 v[28:31], off, off offset:704
	v_add_f64 v[40:41], v[40:41], v[64:65]
	v_add_f64 v[14:15], v[14:15], v[60:61]
	s_waitcnt vmcnt(8) lgkmcnt(0)
	v_mul_f64 v[60:61], v[10:11], v[22:23]
	v_mul_f64 v[22:23], v[12:13], v[22:23]
	v_fma_f64 v[58:59], v[189:190], v[16:17], v[58:59]
	v_fma_f64 v[18:19], v[187:188], v[16:17], -v[18:19]
	ds_load_b128 v[187:190], v1 offset:1616
	v_add_f64 v[40:41], v[40:41], v[62:63]
	v_add_f64 v[56:57], v[14:15], v[56:57]
	scratch_load_b128 v[14:17], off, off offset:720
	v_fma_f64 v[12:13], v[12:13], v[20:21], v[60:61]
	v_fma_f64 v[22:23], v[10:11], v[20:21], -v[22:23]
	s_waitcnt vmcnt(8)
	v_mul_f64 v[62:63], v[237:238], v[8:9]
	v_mul_f64 v[64:65], v[239:240], v[8:9]
	ds_load_b128 v[8:11], v1 offset:1600
	v_add_f64 v[40:41], v[40:41], v[18:19]
	v_add_f64 v[56:57], v[56:57], v[58:59]
	scratch_load_b128 v[18:21], off, off offset:736
	v_fma_f64 v[60:61], v[239:240], v[6:7], v[62:63]
	v_fma_f64 v[6:7], v[237:238], v[6:7], -v[64:65]
	scratch_load_b128 v[237:240], off, off offset:752
	s_waitcnt vmcnt(9) lgkmcnt(0)
	v_mul_f64 v[58:59], v[8:9], v[54:55]
	v_mul_f64 v[54:55], v[10:11], v[54:55]
	v_add_f64 v[22:23], v[40:41], v[22:23]
	v_add_f64 v[12:13], v[56:57], v[12:13]
	s_waitcnt vmcnt(8)
	v_mul_f64 v[40:41], v[187:188], v[44:45]
	v_mul_f64 v[44:45], v[189:190], v[44:45]
	v_fma_f64 v[56:57], v[10:11], v[52:53], v[58:59]
	v_fma_f64 v[58:59], v[8:9], v[52:53], -v[54:55]
	ds_load_b128 v[52:55], v1 offset:1648
	v_add_f64 v[22:23], v[22:23], v[6:7]
	v_add_f64 v[60:61], v[12:13], v[60:61]
	ds_load_b128 v[6:9], v1 offset:1632
	scratch_load_b128 v[10:13], off, off offset:768
	v_fma_f64 v[64:65], v[189:190], v[42:43], v[40:41]
	v_fma_f64 v[44:45], v[187:188], v[42:43], -v[44:45]
	scratch_load_b128 v[40:43], off, off offset:784
	ds_load_b128 v[187:190], v1 offset:1680
	s_waitcnt vmcnt(9) lgkmcnt(1)
	v_mul_f64 v[62:63], v[6:7], v[48:49]
	v_mul_f64 v[48:49], v[8:9], v[48:49]
	v_add_f64 v[22:23], v[22:23], v[58:59]
	v_add_f64 v[56:57], v[60:61], v[56:57]
	s_waitcnt vmcnt(8)
	v_mul_f64 v[58:59], v[52:53], v[34:35]
	v_mul_f64 v[34:35], v[54:55], v[34:35]
	v_fma_f64 v[60:61], v[8:9], v[46:47], v[62:63]
	v_fma_f64 v[48:49], v[6:7], v[46:47], -v[48:49]
	ds_load_b128 v[6:9], v1 offset:1664
	v_add_f64 v[22:23], v[22:23], v[44:45]
	v_add_f64 v[56:57], v[56:57], v[64:65]
	scratch_load_b128 v[44:47], off, off offset:800
	v_fma_f64 v[54:55], v[54:55], v[32:33], v[58:59]
	v_fma_f64 v[52:53], v[52:53], v[32:33], -v[34:35]
	scratch_load_b128 v[32:35], off, off offset:816
	s_waitcnt vmcnt(9) lgkmcnt(0)
	v_mul_f64 v[62:63], v[6:7], v[38:39]
	v_mul_f64 v[38:39], v[8:9], v[38:39]
	v_add_f64 v[22:23], v[22:23], v[48:49]
	v_add_f64 v[48:49], v[56:57], v[60:61]
	s_waitcnt vmcnt(8)
	v_mul_f64 v[56:57], v[187:188], v[26:27]
	v_mul_f64 v[26:27], v[189:190], v[26:27]
	v_fma_f64 v[58:59], v[8:9], v[36:37], v[62:63]
	v_fma_f64 v[60:61], v[6:7], v[36:37], -v[38:39]
	ds_load_b128 v[6:9], v1 offset:1696
	scratch_load_b128 v[36:39], off, off offset:832
	v_add_f64 v[22:23], v[22:23], v[52:53]
	v_add_f64 v[48:49], v[48:49], v[54:55]
	ds_load_b128 v[52:55], v1 offset:1712
	s_waitcnt vmcnt(8) lgkmcnt(1)
	v_mul_f64 v[62:63], v[6:7], v[30:31]
	v_mul_f64 v[30:31], v[8:9], v[30:31]
	v_fma_f64 v[56:57], v[189:190], v[24:25], v[56:57]
	v_fma_f64 v[26:27], v[187:188], v[24:25], -v[26:27]
	ds_load_b128 v[187:190], v1 offset:1744
	v_add_f64 v[60:61], v[22:23], v[60:61]
	scratch_load_b128 v[22:25], off, off offset:848
	v_add_f64 v[48:49], v[48:49], v[58:59]
	v_fma_f64 v[62:63], v[8:9], v[28:29], v[62:63]
	v_fma_f64 v[30:31], v[6:7], v[28:29], -v[30:31]
	ds_load_b128 v[6:9], v1 offset:1728
	s_waitcnt vmcnt(8) lgkmcnt(2)
	v_mul_f64 v[58:59], v[52:53], v[16:17]
	v_mul_f64 v[16:17], v[54:55], v[16:17]
	v_add_f64 v[60:61], v[60:61], v[26:27]
	scratch_load_b128 v[26:29], off, off offset:864
	v_add_f64 v[48:49], v[48:49], v[56:57]
	s_waitcnt vmcnt(8) lgkmcnt(0)
	v_mul_f64 v[56:57], v[6:7], v[20:21]
	v_mul_f64 v[20:21], v[8:9], v[20:21]
	v_fma_f64 v[54:55], v[54:55], v[14:15], v[58:59]
	v_fma_f64 v[52:53], v[52:53], v[14:15], -v[16:17]
	scratch_load_b128 v[14:17], off, off offset:880
	s_waitcnt vmcnt(8)
	v_mul_f64 v[58:59], v[187:188], v[239:240]
	v_add_f64 v[30:31], v[60:61], v[30:31]
	v_mul_f64 v[60:61], v[189:190], v[239:240]
	v_add_f64 v[48:49], v[48:49], v[62:63]
	v_fma_f64 v[56:57], v[8:9], v[18:19], v[56:57]
	v_fma_f64 v[62:63], v[6:7], v[18:19], -v[20:21]
	ds_load_b128 v[6:9], v1 offset:1760
	scratch_load_b128 v[18:21], off, off offset:896
	v_fma_f64 v[58:59], v[189:190], v[237:238], v[58:59]
	v_add_f64 v[30:31], v[30:31], v[52:53]
	v_fma_f64 v[60:61], v[187:188], v[237:238], -v[60:61]
	scratch_load_b128 v[187:190], off, off offset:912
	v_add_f64 v[48:49], v[48:49], v[54:55]
	ds_load_b128 v[52:55], v1 offset:1776
	ds_load_b128 v[237:240], v1 offset:1808
	s_waitcnt vmcnt(9) lgkmcnt(2)
	v_mul_f64 v[64:65], v[6:7], v[12:13]
	v_mul_f64 v[12:13], v[8:9], v[12:13]
	v_add_f64 v[30:31], v[30:31], v[62:63]
	v_add_f64 v[48:49], v[48:49], v[56:57]
	s_waitcnt vmcnt(8) lgkmcnt(1)
	v_mul_f64 v[56:57], v[52:53], v[42:43]
	v_mul_f64 v[42:43], v[54:55], v[42:43]
	v_fma_f64 v[62:63], v[8:9], v[10:11], v[64:65]
	v_fma_f64 v[64:65], v[6:7], v[10:11], -v[12:13]
	ds_load_b128 v[6:9], v1 offset:1792
	scratch_load_b128 v[10:13], off, off offset:928
	v_add_f64 v[30:31], v[30:31], v[60:61]
	v_add_f64 v[48:49], v[48:49], v[58:59]
	v_fma_f64 v[54:55], v[54:55], v[40:41], v[56:57]
	v_fma_f64 v[52:53], v[52:53], v[40:41], -v[42:43]
	scratch_load_b128 v[40:43], off, off offset:944
	s_waitcnt vmcnt(9) lgkmcnt(0)
	v_mul_f64 v[58:59], v[6:7], v[46:47]
	v_mul_f64 v[46:47], v[8:9], v[46:47]
	s_waitcnt vmcnt(8)
	v_mul_f64 v[56:57], v[237:238], v[34:35]
	v_mul_f64 v[34:35], v[239:240], v[34:35]
	v_add_f64 v[30:31], v[30:31], v[64:65]
	v_add_f64 v[48:49], v[48:49], v[62:63]
	v_fma_f64 v[58:59], v[8:9], v[44:45], v[58:59]
	v_fma_f64 v[60:61], v[6:7], v[44:45], -v[46:47]
	ds_load_b128 v[6:9], v1 offset:1824
	scratch_load_b128 v[44:47], off, off offset:960
	v_fma_f64 v[56:57], v[239:240], v[32:33], v[56:57]
	v_fma_f64 v[34:35], v[237:238], v[32:33], -v[34:35]
	v_add_f64 v[30:31], v[30:31], v[52:53]
	v_add_f64 v[48:49], v[48:49], v[54:55]
	ds_load_b128 v[52:55], v1 offset:1840
	s_waitcnt vmcnt(8) lgkmcnt(1)
	v_mul_f64 v[62:63], v[6:7], v[38:39]
	v_mul_f64 v[38:39], v[8:9], v[38:39]
	v_add_f64 v[60:61], v[30:31], v[60:61]
	scratch_load_b128 v[30:33], off, off offset:976
	v_add_f64 v[48:49], v[48:49], v[58:59]
	v_fma_f64 v[62:63], v[8:9], v[36:37], v[62:63]
	v_fma_f64 v[38:39], v[6:7], v[36:37], -v[38:39]
	s_waitcnt vmcnt(8) lgkmcnt(0)
	v_mul_f64 v[58:59], v[52:53], v[24:25]
	v_mul_f64 v[24:25], v[54:55], v[24:25]
	v_add_f64 v[60:61], v[60:61], v[34:35]
	ds_load_b128 v[6:9], v1 offset:1856
	ds_load_b128 v[34:37], v1 offset:1872
	v_add_f64 v[48:49], v[48:49], v[56:57]
	v_fma_f64 v[54:55], v[54:55], v[22:23], v[58:59]
	v_fma_f64 v[22:23], v[52:53], v[22:23], -v[24:25]
	s_waitcnt vmcnt(7) lgkmcnt(1)
	v_mul_f64 v[56:57], v[6:7], v[28:29]
	v_mul_f64 v[28:29], v[8:9], v[28:29]
	v_add_f64 v[24:25], v[60:61], v[38:39]
	v_add_f64 v[38:39], v[48:49], v[62:63]
	s_waitcnt vmcnt(6) lgkmcnt(0)
	v_mul_f64 v[48:49], v[34:35], v[16:17]
	v_mul_f64 v[16:17], v[36:37], v[16:17]
	v_fma_f64 v[52:53], v[8:9], v[26:27], v[56:57]
	v_fma_f64 v[26:27], v[6:7], v[26:27], -v[28:29]
	v_add_f64 v[28:29], v[24:25], v[22:23]
	ds_load_b128 v[6:9], v1 offset:1888
	ds_load_b128 v[22:25], v1 offset:1904
	v_add_f64 v[38:39], v[38:39], v[54:55]
	v_fma_f64 v[36:37], v[36:37], v[14:15], v[48:49]
	v_fma_f64 v[14:15], v[34:35], v[14:15], -v[16:17]
	s_waitcnt vmcnt(5) lgkmcnt(1)
	v_mul_f64 v[54:55], v[6:7], v[20:21]
	v_mul_f64 v[20:21], v[8:9], v[20:21]
	s_waitcnt vmcnt(4) lgkmcnt(0)
	v_mul_f64 v[34:35], v[24:25], v[189:190]
	v_add_f64 v[16:17], v[28:29], v[26:27]
	v_mul_f64 v[28:29], v[22:23], v[189:190]
	v_add_f64 v[26:27], v[38:39], v[52:53]
	v_fma_f64 v[38:39], v[8:9], v[18:19], v[54:55]
	v_fma_f64 v[18:19], v[6:7], v[18:19], -v[20:21]
	v_fma_f64 v[22:23], v[22:23], v[187:188], -v[34:35]
	v_add_f64 v[20:21], v[16:17], v[14:15]
	ds_load_b128 v[6:9], v1 offset:1920
	ds_load_b128 v[14:17], v1 offset:1936
	v_fma_f64 v[24:25], v[24:25], v[187:188], v[28:29]
	v_add_f64 v[26:27], v[26:27], v[36:37]
	s_waitcnt vmcnt(3) lgkmcnt(1)
	v_mul_f64 v[36:37], v[6:7], v[12:13]
	v_mul_f64 v[12:13], v[8:9], v[12:13]
	s_waitcnt vmcnt(2) lgkmcnt(0)
	v_mul_f64 v[28:29], v[16:17], v[42:43]
	v_add_f64 v[18:19], v[20:21], v[18:19]
	v_add_f64 v[20:21], v[26:27], v[38:39]
	v_mul_f64 v[26:27], v[14:15], v[42:43]
	v_fma_f64 v[34:35], v[8:9], v[10:11], v[36:37]
	v_fma_f64 v[36:37], v[6:7], v[10:11], -v[12:13]
	ds_load_b128 v[6:9], v1 offset:1952
	ds_load_b128 v[10:13], v1 offset:1968
	v_fma_f64 v[14:15], v[14:15], v[40:41], -v[28:29]
	v_add_f64 v[18:19], v[18:19], v[22:23]
	v_add_f64 v[20:21], v[20:21], v[24:25]
	s_waitcnt vmcnt(1) lgkmcnt(1)
	v_mul_f64 v[22:23], v[6:7], v[46:47]
	v_mul_f64 v[24:25], v[8:9], v[46:47]
	v_fma_f64 v[16:17], v[16:17], v[40:41], v[26:27]
	v_add_f64 v[18:19], v[18:19], v[36:37]
	v_add_f64 v[20:21], v[20:21], v[34:35]
	v_fma_f64 v[8:9], v[8:9], v[44:45], v[22:23]
	v_fma_f64 v[6:7], v[6:7], v[44:45], -v[24:25]
	s_waitcnt vmcnt(0) lgkmcnt(0)
	v_mul_f64 v[26:27], v[10:11], v[32:33]
	v_mul_f64 v[28:29], v[12:13], v[32:33]
	v_add_f64 v[14:15], v[18:19], v[14:15]
	v_add_f64 v[16:17], v[20:21], v[16:17]
	s_delay_alu instid0(VALU_DEP_4) | instskip(NEXT) | instid1(VALU_DEP_4)
	v_fma_f64 v[12:13], v[12:13], v[30:31], v[26:27]
	v_fma_f64 v[10:11], v[10:11], v[30:31], -v[28:29]
	s_delay_alu instid0(VALU_DEP_4) | instskip(NEXT) | instid1(VALU_DEP_4)
	v_add_f64 v[6:7], v[14:15], v[6:7]
	v_add_f64 v[8:9], v[16:17], v[8:9]
	s_delay_alu instid0(VALU_DEP_2) | instskip(NEXT) | instid1(VALU_DEP_2)
	v_add_f64 v[6:7], v[6:7], v[10:11]
	v_add_f64 v[8:9], v[8:9], v[12:13]
	s_delay_alu instid0(VALU_DEP_2) | instskip(NEXT) | instid1(VALU_DEP_2)
	v_add_f64 v[1:2], v[2:3], -v[6:7]
	v_add_f64 v[3:4], v[4:5], -v[8:9]
	scratch_store_b128 off, v[1:4], off offset:144
	v_cmpx_lt_u32_e32 8, v174
	s_cbranch_execz .LBB61_381
; %bb.380:
	scratch_load_b32 v1, off, off offset:1168 ; 4-byte Folded Reload
	v_mov_b32_e32 v5, 0
	s_delay_alu instid0(VALU_DEP_1)
	v_mov_b32_e32 v6, v5
	v_mov_b32_e32 v7, v5
	;; [unrolled: 1-line block ×3, first 2 shown]
	s_waitcnt vmcnt(0)
	scratch_load_b128 v[1:4], v1, off
	scratch_store_b128 off, v[5:8], off offset:128
	s_waitcnt vmcnt(0)
	ds_store_b128 v236, v[1:4]
.LBB61_381:
	s_or_b32 exec_lo, exec_lo, s2
	s_waitcnt lgkmcnt(0)
	s_waitcnt_vscnt null, 0x0
	s_barrier
	buffer_gl0_inv
	s_clause 0x7
	scratch_load_b128 v[34:37], off, off offset:144
	scratch_load_b128 v[38:41], off, off offset:160
	;; [unrolled: 1-line block ×8, first 2 shown]
	v_mov_b32_e32 v1, 0
	s_mov_b32 s2, exec_lo
	ds_load_b128 v[46:49], v1 offset:1136
	s_clause 0x2
	scratch_load_b128 v[14:17], off, off offset:272
	scratch_load_b128 v[2:5], off, off offset:128
	;; [unrolled: 1-line block ×3, first 2 shown]
	ds_load_b128 v[42:45], v1 offset:1152
	ds_load_b128 v[187:190], v1 offset:1184
	;; [unrolled: 1-line block ×3, first 2 shown]
	s_waitcnt vmcnt(10) lgkmcnt(3)
	v_mul_f64 v[56:57], v[48:49], v[36:37]
	v_mul_f64 v[36:37], v[46:47], v[36:37]
	s_delay_alu instid0(VALU_DEP_2) | instskip(NEXT) | instid1(VALU_DEP_2)
	v_fma_f64 v[56:57], v[46:47], v[34:35], -v[56:57]
	v_fma_f64 v[60:61], v[48:49], v[34:35], v[36:37]
	ds_load_b128 v[34:37], v1 offset:1168
	s_waitcnt vmcnt(9) lgkmcnt(3)
	v_mul_f64 v[58:59], v[42:43], v[40:41]
	v_mul_f64 v[40:41], v[44:45], v[40:41]
	scratch_load_b128 v[46:49], off, off offset:304
	s_waitcnt vmcnt(9) lgkmcnt(0)
	v_mul_f64 v[62:63], v[34:35], v[32:33]
	v_mul_f64 v[32:33], v[36:37], v[32:33]
	v_add_f64 v[56:57], v[56:57], 0
	v_fma_f64 v[44:45], v[44:45], v[38:39], v[58:59]
	v_fma_f64 v[42:43], v[42:43], v[38:39], -v[40:41]
	v_add_f64 v[58:59], v[60:61], 0
	scratch_load_b128 v[38:41], off, off offset:320
	v_fma_f64 v[36:37], v[36:37], v[30:31], v[62:63]
	v_fma_f64 v[62:63], v[34:35], v[30:31], -v[32:33]
	scratch_load_b128 v[32:35], off, off offset:336
	v_add_f64 v[56:57], v[56:57], v[42:43]
	v_add_f64 v[58:59], v[58:59], v[44:45]
	ds_load_b128 v[42:45], v1 offset:1216
	s_waitcnt vmcnt(10)
	v_mul_f64 v[60:61], v[187:188], v[28:29]
	v_mul_f64 v[64:65], v[189:190], v[28:29]
	ds_load_b128 v[28:31], v1 offset:1200
	v_add_f64 v[56:57], v[56:57], v[62:63]
	v_add_f64 v[36:37], v[58:59], v[36:37]
	s_waitcnt vmcnt(8) lgkmcnt(1)
	v_mul_f64 v[58:59], v[42:43], v[20:21]
	v_fma_f64 v[60:61], v[189:190], v[26:27], v[60:61]
	v_fma_f64 v[64:65], v[187:188], v[26:27], -v[64:65]
	ds_load_b128 v[187:190], v1 offset:1248
	s_waitcnt lgkmcnt(1)
	v_mul_f64 v[66:67], v[28:29], v[24:25]
	v_mul_f64 v[68:69], v[30:31], v[24:25]
	scratch_load_b128 v[24:27], off, off offset:352
	v_mul_f64 v[62:63], v[44:45], v[20:21]
	v_fma_f64 v[58:59], v[44:45], v[18:19], v[58:59]
	v_add_f64 v[36:37], v[36:37], v[60:61]
	v_add_f64 v[56:57], v[56:57], v[64:65]
	s_waitcnt vmcnt(7) lgkmcnt(0)
	v_mul_f64 v[64:65], v[189:190], v[8:9]
	v_fma_f64 v[66:67], v[30:31], v[22:23], v[66:67]
	v_fma_f64 v[68:69], v[28:29], v[22:23], -v[68:69]
	scratch_load_b128 v[28:31], off, off offset:368
	ds_load_b128 v[20:23], v1 offset:1232
	v_fma_f64 v[18:19], v[42:43], v[18:19], -v[62:63]
	v_mul_f64 v[62:63], v[187:188], v[8:9]
	scratch_load_b128 v[42:45], off, off offset:384
	s_waitcnt lgkmcnt(0)
	v_mul_f64 v[60:61], v[20:21], v[12:13]
	v_mul_f64 v[12:13], v[22:23], v[12:13]
	v_add_f64 v[36:37], v[36:37], v[66:67]
	v_add_f64 v[56:57], v[56:57], v[68:69]
	s_delay_alu instid0(VALU_DEP_4) | instskip(NEXT) | instid1(VALU_DEP_4)
	v_fma_f64 v[22:23], v[22:23], v[10:11], v[60:61]
	v_fma_f64 v[12:13], v[20:21], v[10:11], -v[12:13]
	ds_load_b128 v[8:11], v1 offset:1264
	v_fma_f64 v[60:61], v[189:190], v[6:7], v[62:63]
	v_fma_f64 v[6:7], v[187:188], v[6:7], -v[64:65]
	scratch_load_b128 v[187:190], off, off offset:416
	v_add_f64 v[36:37], v[36:37], v[58:59]
	v_add_f64 v[56:57], v[56:57], v[18:19]
	scratch_load_b128 v[18:21], off, off offset:400
	v_add_f64 v[22:23], v[36:37], v[22:23]
	s_waitcnt vmcnt(8)
	v_mul_f64 v[36:37], v[237:238], v[54:55]
	v_mul_f64 v[54:55], v[239:240], v[54:55]
	v_add_f64 v[12:13], v[56:57], v[12:13]
	s_delay_alu instid0(VALU_DEP_4) | instskip(NEXT) | instid1(VALU_DEP_4)
	v_add_f64 v[22:23], v[22:23], v[60:61]
	v_fma_f64 v[36:37], v[239:240], v[52:53], v[36:37]
	s_delay_alu instid0(VALU_DEP_4)
	v_fma_f64 v[64:65], v[237:238], v[52:53], -v[54:55]
	ds_load_b128 v[237:240], v1 offset:1344
	s_waitcnt lgkmcnt(1)
	v_mul_f64 v[58:59], v[8:9], v[16:17]
	v_mul_f64 v[16:17], v[10:11], v[16:17]
	v_add_f64 v[62:63], v[12:13], v[6:7]
	scratch_load_b128 v[52:55], off, off offset:448
	v_fma_f64 v[56:57], v[10:11], v[14:15], v[58:59]
	v_fma_f64 v[58:59], v[8:9], v[14:15], -v[16:17]
	ds_load_b128 v[6:9], v1 offset:1296
	ds_load_b128 v[14:17], v1 offset:1312
	scratch_load_b128 v[10:13], off, off offset:432
	s_waitcnt vmcnt(9) lgkmcnt(1)
	v_mul_f64 v[60:61], v[6:7], v[48:49]
	v_mul_f64 v[48:49], v[8:9], v[48:49]
	v_add_f64 v[22:23], v[22:23], v[56:57]
	v_add_f64 v[58:59], v[62:63], v[58:59]
	s_waitcnt vmcnt(8) lgkmcnt(0)
	v_mul_f64 v[56:57], v[14:15], v[40:41]
	v_mul_f64 v[40:41], v[16:17], v[40:41]
	v_fma_f64 v[60:61], v[8:9], v[46:47], v[60:61]
	v_fma_f64 v[62:63], v[6:7], v[46:47], -v[48:49]
	ds_load_b128 v[6:9], v1 offset:1328
	scratch_load_b128 v[46:49], off, off offset:464
	v_add_f64 v[22:23], v[22:23], v[36:37]
	v_add_f64 v[58:59], v[58:59], v[64:65]
	v_fma_f64 v[56:57], v[16:17], v[38:39], v[56:57]
	v_fma_f64 v[38:39], v[14:15], v[38:39], -v[40:41]
	scratch_load_b128 v[14:17], off, off offset:480
	v_add_f64 v[22:23], v[22:23], v[60:61]
	v_add_f64 v[40:41], v[58:59], v[62:63]
	s_waitcnt vmcnt(8)
	v_mul_f64 v[58:59], v[237:238], v[26:27]
	v_mul_f64 v[26:27], v[239:240], v[26:27]
	s_delay_alu instid0(VALU_DEP_4) | instskip(NEXT) | instid1(VALU_DEP_4)
	v_add_f64 v[22:23], v[22:23], v[56:57]
	v_add_f64 v[40:41], v[40:41], v[38:39]
	s_delay_alu instid0(VALU_DEP_4) | instskip(NEXT) | instid1(VALU_DEP_4)
	v_fma_f64 v[58:59], v[239:240], v[24:25], v[58:59]
	v_fma_f64 v[26:27], v[237:238], v[24:25], -v[26:27]
	ds_load_b128 v[237:240], v1 offset:1408
	s_waitcnt lgkmcnt(1)
	v_mul_f64 v[36:37], v[6:7], v[34:35]
	v_mul_f64 v[34:35], v[8:9], v[34:35]
	s_delay_alu instid0(VALU_DEP_2) | instskip(NEXT) | instid1(VALU_DEP_2)
	v_fma_f64 v[60:61], v[8:9], v[32:33], v[36:37]
	v_fma_f64 v[62:63], v[6:7], v[32:33], -v[34:35]
	scratch_load_b128 v[32:35], off, off offset:496
	ds_load_b128 v[6:9], v1 offset:1360
	ds_load_b128 v[36:39], v1 offset:1376
	s_waitcnt vmcnt(8) lgkmcnt(1)
	v_mul_f64 v[56:57], v[6:7], v[30:31]
	v_mul_f64 v[30:31], v[8:9], v[30:31]
	v_add_f64 v[60:61], v[22:23], v[60:61]
	v_add_f64 v[40:41], v[40:41], v[62:63]
	s_waitcnt vmcnt(7) lgkmcnt(0)
	v_mul_f64 v[62:63], v[36:37], v[44:45]
	v_mul_f64 v[44:45], v[38:39], v[44:45]
	scratch_load_b128 v[22:25], off, off offset:512
	v_fma_f64 v[56:57], v[8:9], v[28:29], v[56:57]
	v_fma_f64 v[30:31], v[6:7], v[28:29], -v[30:31]
	ds_load_b128 v[6:9], v1 offset:1392
	v_add_f64 v[58:59], v[60:61], v[58:59]
	v_add_f64 v[40:41], v[40:41], v[26:27]
	v_fma_f64 v[62:63], v[38:39], v[42:43], v[62:63]
	v_fma_f64 v[42:43], v[36:37], v[42:43], -v[44:45]
	s_waitcnt vmcnt(7)
	v_mul_f64 v[44:45], v[237:238], v[189:190]
	s_clause 0x1
	scratch_load_b128 v[26:29], off, off offset:528
	scratch_load_b128 v[36:39], off, off offset:544
	v_add_f64 v[30:31], v[40:41], v[30:31]
	v_add_f64 v[40:41], v[58:59], v[56:57]
	v_mul_f64 v[56:57], v[239:240], v[189:190]
	v_fma_f64 v[44:45], v[239:240], v[187:188], v[44:45]
	s_delay_alu instid0(VALU_DEP_4) | instskip(NEXT) | instid1(VALU_DEP_4)
	v_add_f64 v[30:31], v[30:31], v[42:43]
	v_add_f64 v[62:63], v[40:41], v[62:63]
	ds_load_b128 v[40:43], v1 offset:1440
	s_waitcnt vmcnt(8) lgkmcnt(1)
	v_mul_f64 v[60:61], v[6:7], v[20:21]
	v_mul_f64 v[20:21], v[8:9], v[20:21]
	v_fma_f64 v[56:57], v[237:238], v[187:188], -v[56:57]
	scratch_load_b128 v[187:190], off, off offset:576
	ds_load_b128 v[237:240], v1 offset:1472
	v_fma_f64 v[58:59], v[8:9], v[18:19], v[60:61]
	v_fma_f64 v[60:61], v[6:7], v[18:19], -v[20:21]
	ds_load_b128 v[6:9], v1 offset:1424
	scratch_load_b128 v[18:21], off, off offset:560
	s_waitcnt vmcnt(8) lgkmcnt(0)
	v_mul_f64 v[64:65], v[6:7], v[12:13]
	v_mul_f64 v[12:13], v[8:9], v[12:13]
	v_add_f64 v[58:59], v[62:63], v[58:59]
	v_add_f64 v[30:31], v[30:31], v[60:61]
	v_mul_f64 v[60:61], v[40:41], v[54:55]
	v_mul_f64 v[54:55], v[42:43], v[54:55]
	v_fma_f64 v[62:63], v[8:9], v[10:11], v[64:65]
	v_fma_f64 v[64:65], v[6:7], v[10:11], -v[12:13]
	ds_load_b128 v[6:9], v1 offset:1456
	scratch_load_b128 v[10:13], off, off offset:592
	v_add_f64 v[44:45], v[58:59], v[44:45]
	v_add_f64 v[30:31], v[30:31], v[56:57]
	v_fma_f64 v[58:59], v[42:43], v[52:53], v[60:61]
	v_fma_f64 v[52:53], v[40:41], v[52:53], -v[54:55]
	s_waitcnt vmcnt(7)
	v_mul_f64 v[60:61], v[237:238], v[16:17]
	v_mul_f64 v[16:17], v[239:240], v[16:17]
	scratch_load_b128 v[40:43], off, off offset:608
	v_add_f64 v[44:45], v[44:45], v[62:63]
	v_add_f64 v[30:31], v[30:31], v[64:65]
	v_fma_f64 v[60:61], v[239:240], v[14:15], v[60:61]
	v_fma_f64 v[64:65], v[237:238], v[14:15], -v[16:17]
	scratch_load_b128 v[14:17], off, off offset:640
	ds_load_b128 v[237:240], v1 offset:1536
	v_add_f64 v[58:59], v[44:45], v[58:59]
	v_add_f64 v[30:31], v[30:31], v[52:53]
	ds_load_b128 v[52:55], v1 offset:1504
	s_waitcnt lgkmcnt(2)
	v_mul_f64 v[56:57], v[6:7], v[48:49]
	v_mul_f64 v[48:49], v[8:9], v[48:49]
	s_delay_alu instid0(VALU_DEP_2) | instskip(NEXT) | instid1(VALU_DEP_2)
	v_fma_f64 v[56:57], v[8:9], v[46:47], v[56:57]
	v_fma_f64 v[48:49], v[6:7], v[46:47], -v[48:49]
	ds_load_b128 v[6:9], v1 offset:1488
	scratch_load_b128 v[44:47], off, off offset:624
	s_waitcnt vmcnt(9) lgkmcnt(0)
	v_mul_f64 v[62:63], v[6:7], v[34:35]
	v_mul_f64 v[34:35], v[8:9], v[34:35]
	v_add_f64 v[30:31], v[30:31], v[48:49]
	v_add_f64 v[48:49], v[58:59], v[56:57]
	s_waitcnt vmcnt(8)
	v_mul_f64 v[56:57], v[52:53], v[24:25]
	v_mul_f64 v[24:25], v[54:55], v[24:25]
	v_fma_f64 v[58:59], v[8:9], v[32:33], v[62:63]
	v_fma_f64 v[34:35], v[6:7], v[32:33], -v[34:35]
	ds_load_b128 v[6:9], v1 offset:1520
	v_add_f64 v[62:63], v[30:31], v[64:65]
	v_add_f64 v[48:49], v[48:49], v[60:61]
	v_fma_f64 v[54:55], v[54:55], v[22:23], v[56:57]
	v_fma_f64 v[52:53], v[52:53], v[22:23], -v[24:25]
	scratch_load_b128 v[30:33], off, off offset:656
	s_waitcnt vmcnt(7)
	v_mul_f64 v[56:57], v[237:238], v[38:39]
	v_mul_f64 v[38:39], v[239:240], v[38:39]
	scratch_load_b128 v[22:25], off, off offset:672
	v_add_f64 v[34:35], v[62:63], v[34:35]
	v_add_f64 v[48:49], v[48:49], v[58:59]
	v_fma_f64 v[56:57], v[239:240], v[36:37], v[56:57]
	v_fma_f64 v[38:39], v[237:238], v[36:37], -v[38:39]
	ds_load_b128 v[237:240], v1 offset:1600
	v_add_f64 v[34:35], v[34:35], v[52:53]
	v_add_f64 v[48:49], v[48:49], v[54:55]
	ds_load_b128 v[52:55], v1 offset:1568
	s_waitcnt lgkmcnt(2)
	v_mul_f64 v[60:61], v[6:7], v[28:29]
	v_mul_f64 v[28:29], v[8:9], v[28:29]
	s_waitcnt vmcnt(7) lgkmcnt(0)
	v_mul_f64 v[64:65], v[54:55], v[189:190]
	s_delay_alu instid0(VALU_DEP_3) | instskip(NEXT) | instid1(VALU_DEP_3)
	v_fma_f64 v[58:59], v[8:9], v[26:27], v[60:61]
	v_fma_f64 v[60:61], v[6:7], v[26:27], -v[28:29]
	scratch_load_b128 v[26:29], off, off offset:688
	ds_load_b128 v[6:9], v1 offset:1552
	s_waitcnt vmcnt(7) lgkmcnt(0)
	v_mul_f64 v[62:63], v[6:7], v[20:21]
	v_mul_f64 v[20:21], v[8:9], v[20:21]
	v_add_f64 v[48:49], v[48:49], v[58:59]
	v_add_f64 v[60:61], v[34:35], v[60:61]
	v_mul_f64 v[58:59], v[52:53], v[189:190]
	scratch_load_b128 v[34:37], off, off offset:704
	v_fma_f64 v[62:63], v[8:9], v[18:19], v[62:63]
	v_fma_f64 v[66:67], v[6:7], v[18:19], -v[20:21]
	scratch_load_b128 v[18:21], off, off offset:720
	ds_load_b128 v[6:9], v1 offset:1584
	v_add_f64 v[48:49], v[48:49], v[56:57]
	v_add_f64 v[38:39], v[60:61], v[38:39]
	v_fma_f64 v[58:59], v[54:55], v[187:188], v[58:59]
	v_fma_f64 v[60:61], v[52:53], v[187:188], -v[64:65]
	ds_load_b128 v[187:190], v1 offset:1632
	scratch_load_b128 v[52:55], off, off offset:736
	s_waitcnt vmcnt(9) lgkmcnt(1)
	v_mul_f64 v[56:57], v[6:7], v[12:13]
	v_mul_f64 v[12:13], v[8:9], v[12:13]
	v_add_f64 v[48:49], v[48:49], v[62:63]
	v_add_f64 v[38:39], v[38:39], v[66:67]
	s_waitcnt vmcnt(8)
	v_mul_f64 v[62:63], v[237:238], v[42:43]
	v_mul_f64 v[42:43], v[239:240], v[42:43]
	v_fma_f64 v[56:57], v[8:9], v[10:11], v[56:57]
	v_fma_f64 v[64:65], v[6:7], v[10:11], -v[12:13]
	scratch_load_b128 v[10:13], off, off offset:752
	ds_load_b128 v[6:9], v1 offset:1616
	v_add_f64 v[48:49], v[48:49], v[58:59]
	v_add_f64 v[38:39], v[38:39], v[60:61]
	v_fma_f64 v[60:61], v[239:240], v[40:41], v[62:63]
	v_fma_f64 v[42:43], v[237:238], v[40:41], -v[42:43]
	s_delay_alu instid0(VALU_DEP_4)
	v_add_f64 v[48:49], v[48:49], v[56:57]
	s_waitcnt vmcnt(8) lgkmcnt(1)
	v_mul_f64 v[56:57], v[187:188], v[16:17]
	v_mul_f64 v[16:17], v[189:190], v[16:17]
	v_add_f64 v[62:63], v[38:39], v[64:65]
	scratch_load_b128 v[38:41], off, off offset:768
	v_add_f64 v[60:61], v[48:49], v[60:61]
	v_fma_f64 v[56:57], v[189:190], v[14:15], v[56:57]
	v_fma_f64 v[68:69], v[187:188], v[14:15], -v[16:17]
	ds_load_b128 v[187:190], v1 offset:1696
	s_waitcnt vmcnt(8) lgkmcnt(1)
	v_mul_f64 v[58:59], v[6:7], v[46:47]
	v_mul_f64 v[46:47], v[8:9], v[46:47]
	v_add_f64 v[62:63], v[62:63], v[42:43]
	scratch_load_b128 v[14:17], off, off offset:800
	v_fma_f64 v[58:59], v[8:9], v[44:45], v[58:59]
	v_fma_f64 v[64:65], v[6:7], v[44:45], -v[46:47]
	ds_load_b128 v[6:9], v1 offset:1648
	ds_load_b128 v[46:49], v1 offset:1664
	scratch_load_b128 v[42:45], off, off offset:784
	s_waitcnt vmcnt(9) lgkmcnt(1)
	v_mul_f64 v[66:67], v[6:7], v[32:33]
	v_mul_f64 v[32:33], v[8:9], v[32:33]
	v_add_f64 v[58:59], v[60:61], v[58:59]
	v_add_f64 v[62:63], v[62:63], v[64:65]
	s_waitcnt vmcnt(8) lgkmcnt(0)
	v_mul_f64 v[60:61], v[46:47], v[24:25]
	v_mul_f64 v[24:25], v[48:49], v[24:25]
	v_fma_f64 v[64:65], v[8:9], v[30:31], v[66:67]
	v_fma_f64 v[66:67], v[6:7], v[30:31], -v[32:33]
	ds_load_b128 v[6:9], v1 offset:1680
	scratch_load_b128 v[30:33], off, off offset:816
	v_add_f64 v[56:57], v[58:59], v[56:57]
	v_add_f64 v[62:63], v[62:63], v[68:69]
	v_fma_f64 v[48:49], v[48:49], v[22:23], v[60:61]
	v_fma_f64 v[46:47], v[46:47], v[22:23], -v[24:25]
	scratch_load_b128 v[22:25], off, off offset:832
	v_add_f64 v[56:57], v[56:57], v[64:65]
	v_add_f64 v[60:61], v[62:63], v[66:67]
	s_waitcnt vmcnt(8)
	v_mul_f64 v[62:63], v[187:188], v[36:37]
	v_mul_f64 v[36:37], v[189:190], v[36:37]
	s_delay_alu instid0(VALU_DEP_4) | instskip(NEXT) | instid1(VALU_DEP_4)
	v_add_f64 v[56:57], v[56:57], v[48:49]
	v_add_f64 v[60:61], v[60:61], v[46:47]
	ds_load_b128 v[46:49], v1 offset:1728
	s_waitcnt lgkmcnt(1)
	v_mul_f64 v[58:59], v[6:7], v[28:29]
	v_mul_f64 v[28:29], v[8:9], v[28:29]
	v_fma_f64 v[62:63], v[189:190], v[34:35], v[62:63]
	v_fma_f64 v[68:69], v[187:188], v[34:35], -v[36:37]
	ds_load_b128 v[187:190], v1 offset:1760
	scratch_load_b128 v[34:37], off, off offset:864
	v_fma_f64 v[58:59], v[8:9], v[26:27], v[58:59]
	v_fma_f64 v[64:65], v[6:7], v[26:27], -v[28:29]
	ds_load_b128 v[6:9], v1 offset:1712
	scratch_load_b128 v[26:29], off, off offset:848
	s_waitcnt vmcnt(9) lgkmcnt(0)
	v_mul_f64 v[66:67], v[6:7], v[20:21]
	v_mul_f64 v[20:21], v[8:9], v[20:21]
	v_add_f64 v[56:57], v[56:57], v[58:59]
	v_add_f64 v[60:61], v[60:61], v[64:65]
	s_waitcnt vmcnt(8)
	v_mul_f64 v[58:59], v[46:47], v[54:55]
	v_mul_f64 v[54:55], v[48:49], v[54:55]
	v_fma_f64 v[64:65], v[8:9], v[18:19], v[66:67]
	v_fma_f64 v[66:67], v[6:7], v[18:19], -v[20:21]
	ds_load_b128 v[6:9], v1 offset:1744
	scratch_load_b128 v[18:21], off, off offset:880
	v_add_f64 v[56:57], v[56:57], v[62:63]
	v_add_f64 v[60:61], v[60:61], v[68:69]
	v_fma_f64 v[58:59], v[48:49], v[52:53], v[58:59]
	v_fma_f64 v[52:53], v[46:47], v[52:53], -v[54:55]
	scratch_load_b128 v[46:49], off, off offset:896
	v_add_f64 v[56:57], v[56:57], v[64:65]
	v_add_f64 v[54:55], v[60:61], v[66:67]
	s_waitcnt vmcnt(8)
	v_mul_f64 v[60:61], v[187:188], v[40:41]
	v_mul_f64 v[40:41], v[189:190], v[40:41]
	s_delay_alu instid0(VALU_DEP_4) | instskip(NEXT) | instid1(VALU_DEP_4)
	v_add_f64 v[56:57], v[56:57], v[58:59]
	v_add_f64 v[66:67], v[54:55], v[52:53]
	ds_load_b128 v[52:55], v1 offset:1792
	s_waitcnt lgkmcnt(1)
	v_mul_f64 v[62:63], v[6:7], v[12:13]
	v_mul_f64 v[12:13], v[8:9], v[12:13]
	v_fma_f64 v[60:61], v[189:190], v[38:39], v[60:61]
	v_fma_f64 v[68:69], v[187:188], v[38:39], -v[40:41]
	ds_load_b128 v[187:190], v1 offset:1824
	scratch_load_b128 v[38:41], off, off offset:928
	v_fma_f64 v[62:63], v[8:9], v[10:11], v[62:63]
	v_fma_f64 v[64:65], v[6:7], v[10:11], -v[12:13]
	ds_load_b128 v[6:9], v1 offset:1776
	scratch_load_b128 v[10:13], off, off offset:912
	s_waitcnt vmcnt(8) lgkmcnt(0)
	v_mul_f64 v[58:59], v[6:7], v[44:45]
	v_mul_f64 v[44:45], v[8:9], v[44:45]
	v_add_f64 v[56:57], v[56:57], v[62:63]
	v_add_f64 v[64:65], v[66:67], v[64:65]
	v_mul_f64 v[62:63], v[52:53], v[16:17]
	v_mul_f64 v[16:17], v[54:55], v[16:17]
	v_fma_f64 v[58:59], v[8:9], v[42:43], v[58:59]
	v_fma_f64 v[66:67], v[6:7], v[42:43], -v[44:45]
	ds_load_b128 v[6:9], v1 offset:1808
	scratch_load_b128 v[42:45], off, off offset:944
	v_add_f64 v[56:57], v[56:57], v[60:61]
	v_add_f64 v[64:65], v[64:65], v[68:69]
	v_fma_f64 v[54:55], v[54:55], v[14:15], v[62:63]
	v_fma_f64 v[52:53], v[52:53], v[14:15], -v[16:17]
	scratch_load_b128 v[14:17], off, off offset:960
	v_add_f64 v[56:57], v[56:57], v[58:59]
	v_add_f64 v[62:63], v[64:65], v[66:67]
	s_waitcnt vmcnt(8)
	v_mul_f64 v[58:59], v[187:188], v[24:25]
	v_mul_f64 v[24:25], v[189:190], v[24:25]
	s_delay_alu instid0(VALU_DEP_4) | instskip(NEXT) | instid1(VALU_DEP_4)
	v_add_f64 v[56:57], v[56:57], v[54:55]
	v_add_f64 v[62:63], v[62:63], v[52:53]
	ds_load_b128 v[52:55], v1 offset:1856
	s_waitcnt lgkmcnt(1)
	v_mul_f64 v[60:61], v[6:7], v[32:33]
	v_mul_f64 v[32:33], v[8:9], v[32:33]
	v_fma_f64 v[58:59], v[189:190], v[22:23], v[58:59]
	v_fma_f64 v[22:23], v[187:188], v[22:23], -v[24:25]
	s_delay_alu instid0(VALU_DEP_4) | instskip(NEXT) | instid1(VALU_DEP_4)
	v_fma_f64 v[60:61], v[8:9], v[30:31], v[60:61]
	v_fma_f64 v[64:65], v[6:7], v[30:31], -v[32:33]
	scratch_load_b128 v[30:33], off, off offset:976
	ds_load_b128 v[6:9], v1 offset:1840
	s_waitcnt vmcnt(7) lgkmcnt(0)
	v_mul_f64 v[66:67], v[6:7], v[28:29]
	v_mul_f64 v[28:29], v[8:9], v[28:29]
	v_add_f64 v[56:57], v[56:57], v[60:61]
	v_add_f64 v[24:25], v[62:63], v[64:65]
	v_mul_f64 v[60:61], v[52:53], v[36:37]
	v_mul_f64 v[36:37], v[54:55], v[36:37]
	v_fma_f64 v[62:63], v[8:9], v[26:27], v[66:67]
	v_fma_f64 v[26:27], v[6:7], v[26:27], -v[28:29]
	v_add_f64 v[56:57], v[56:57], v[58:59]
	v_add_f64 v[28:29], v[24:25], v[22:23]
	ds_load_b128 v[6:9], v1 offset:1872
	ds_load_b128 v[22:25], v1 offset:1888
	v_fma_f64 v[54:55], v[54:55], v[34:35], v[60:61]
	v_fma_f64 v[34:35], v[52:53], v[34:35], -v[36:37]
	s_waitcnt vmcnt(6) lgkmcnt(1)
	v_mul_f64 v[58:59], v[6:7], v[20:21]
	v_mul_f64 v[20:21], v[8:9], v[20:21]
	s_waitcnt vmcnt(5) lgkmcnt(0)
	v_mul_f64 v[36:37], v[22:23], v[48:49]
	v_mul_f64 v[48:49], v[24:25], v[48:49]
	v_add_f64 v[26:27], v[28:29], v[26:27]
	v_add_f64 v[28:29], v[56:57], v[62:63]
	v_fma_f64 v[52:53], v[8:9], v[18:19], v[58:59]
	v_fma_f64 v[56:57], v[6:7], v[18:19], -v[20:21]
	ds_load_b128 v[6:9], v1 offset:1904
	ds_load_b128 v[18:21], v1 offset:1920
	v_fma_f64 v[24:25], v[24:25], v[46:47], v[36:37]
	v_fma_f64 v[22:23], v[22:23], v[46:47], -v[48:49]
	v_add_f64 v[26:27], v[26:27], v[34:35]
	v_add_f64 v[28:29], v[28:29], v[54:55]
	s_waitcnt vmcnt(3) lgkmcnt(1)
	v_mul_f64 v[34:35], v[6:7], v[12:13]
	v_mul_f64 v[12:13], v[8:9], v[12:13]
	s_waitcnt lgkmcnt(0)
	v_mul_f64 v[36:37], v[18:19], v[40:41]
	v_mul_f64 v[40:41], v[20:21], v[40:41]
	v_add_f64 v[26:27], v[26:27], v[56:57]
	v_add_f64 v[28:29], v[28:29], v[52:53]
	v_fma_f64 v[34:35], v[8:9], v[10:11], v[34:35]
	v_fma_f64 v[46:47], v[6:7], v[10:11], -v[12:13]
	ds_load_b128 v[6:9], v1 offset:1936
	ds_load_b128 v[10:13], v1 offset:1952
	v_fma_f64 v[20:21], v[20:21], v[38:39], v[36:37]
	v_fma_f64 v[18:19], v[18:19], v[38:39], -v[40:41]
	v_add_f64 v[22:23], v[26:27], v[22:23]
	v_add_f64 v[24:25], v[28:29], v[24:25]
	s_waitcnt vmcnt(2) lgkmcnt(1)
	v_mul_f64 v[26:27], v[6:7], v[44:45]
	v_mul_f64 v[28:29], v[8:9], v[44:45]
	s_delay_alu instid0(VALU_DEP_4) | instskip(NEXT) | instid1(VALU_DEP_4)
	v_add_f64 v[22:23], v[22:23], v[46:47]
	v_add_f64 v[24:25], v[24:25], v[34:35]
	s_waitcnt vmcnt(1) lgkmcnt(0)
	v_mul_f64 v[34:35], v[10:11], v[16:17]
	v_mul_f64 v[16:17], v[12:13], v[16:17]
	v_fma_f64 v[26:27], v[8:9], v[42:43], v[26:27]
	v_fma_f64 v[28:29], v[6:7], v[42:43], -v[28:29]
	ds_load_b128 v[6:9], v1 offset:1968
	v_add_f64 v[18:19], v[22:23], v[18:19]
	v_add_f64 v[20:21], v[24:25], v[20:21]
	v_fma_f64 v[12:13], v[12:13], v[14:15], v[34:35]
	v_fma_f64 v[10:11], v[10:11], v[14:15], -v[16:17]
	s_waitcnt vmcnt(0) lgkmcnt(0)
	v_mul_f64 v[22:23], v[6:7], v[32:33]
	v_mul_f64 v[24:25], v[8:9], v[32:33]
	v_add_f64 v[14:15], v[18:19], v[28:29]
	v_add_f64 v[16:17], v[20:21], v[26:27]
	s_delay_alu instid0(VALU_DEP_4) | instskip(NEXT) | instid1(VALU_DEP_4)
	v_fma_f64 v[8:9], v[8:9], v[30:31], v[22:23]
	v_fma_f64 v[6:7], v[6:7], v[30:31], -v[24:25]
	s_delay_alu instid0(VALU_DEP_4) | instskip(NEXT) | instid1(VALU_DEP_4)
	v_add_f64 v[10:11], v[14:15], v[10:11]
	v_add_f64 v[12:13], v[16:17], v[12:13]
	s_delay_alu instid0(VALU_DEP_2) | instskip(NEXT) | instid1(VALU_DEP_2)
	v_add_f64 v[6:7], v[10:11], v[6:7]
	v_add_f64 v[8:9], v[12:13], v[8:9]
	s_delay_alu instid0(VALU_DEP_2) | instskip(NEXT) | instid1(VALU_DEP_2)
	v_add_f64 v[2:3], v[2:3], -v[6:7]
	v_add_f64 v[4:5], v[4:5], -v[8:9]
	scratch_store_b128 off, v[2:5], off offset:128
	v_cmpx_lt_u32_e32 7, v174
	s_cbranch_execz .LBB61_383
; %bb.382:
	scratch_load_b32 v2, off, off offset:1172 ; 4-byte Folded Reload
	v_mov_b32_e32 v3, v1
	v_mov_b32_e32 v4, v1
	s_waitcnt vmcnt(0)
	scratch_load_b128 v[5:8], v2, off
	v_mov_b32_e32 v2, v1
	scratch_store_b128 off, v[1:4], off offset:112
	s_waitcnt vmcnt(0)
	ds_store_b128 v236, v[5:8]
.LBB61_383:
	s_or_b32 exec_lo, exec_lo, s2
	s_waitcnt lgkmcnt(0)
	s_waitcnt_vscnt null, 0x0
	s_barrier
	buffer_gl0_inv
	s_clause 0x8
	scratch_load_b128 v[34:37], off, off offset:128
	scratch_load_b128 v[38:41], off, off offset:144
	;; [unrolled: 1-line block ×9, first 2 shown]
	ds_load_b128 v[46:49], v1 offset:1120
	ds_load_b128 v[42:45], v1 offset:1136
	s_clause 0x1
	scratch_load_b128 v[2:5], off, off offset:112
	scratch_load_b128 v[52:55], off, off offset:272
	s_mov_b32 s2, exec_lo
	ds_load_b128 v[187:190], v1 offset:1168
	ds_load_b128 v[237:240], v1 offset:1296
	s_waitcnt vmcnt(10) lgkmcnt(3)
	v_mul_f64 v[56:57], v[48:49], v[36:37]
	v_mul_f64 v[36:37], v[46:47], v[36:37]
	s_waitcnt vmcnt(9) lgkmcnt(2)
	v_mul_f64 v[58:59], v[42:43], v[40:41]
	v_mul_f64 v[40:41], v[44:45], v[40:41]
	s_waitcnt vmcnt(7) lgkmcnt(1)
	v_mul_f64 v[64:65], v[189:190], v[28:29]
	v_fma_f64 v[56:57], v[46:47], v[34:35], -v[56:57]
	v_fma_f64 v[60:61], v[48:49], v[34:35], v[36:37]
	ds_load_b128 v[34:37], v1 offset:1152
	scratch_load_b128 v[46:49], off, off offset:288
	v_fma_f64 v[44:45], v[44:45], v[38:39], v[58:59]
	v_fma_f64 v[42:43], v[42:43], v[38:39], -v[40:41]
	scratch_load_b128 v[38:41], off, off offset:304
	v_fma_f64 v[64:65], v[187:188], v[26:27], -v[64:65]
	s_waitcnt lgkmcnt(0)
	v_mul_f64 v[62:63], v[34:35], v[32:33]
	v_mul_f64 v[32:33], v[36:37], v[32:33]
	v_add_f64 v[56:57], v[56:57], 0
	v_add_f64 v[58:59], v[60:61], 0
	v_mul_f64 v[60:61], v[187:188], v[28:29]
	v_fma_f64 v[36:37], v[36:37], v[30:31], v[62:63]
	v_fma_f64 v[62:63], v[34:35], v[30:31], -v[32:33]
	ds_load_b128 v[28:31], v1 offset:1184
	scratch_load_b128 v[32:35], off, off offset:320
	v_add_f64 v[56:57], v[56:57], v[42:43]
	v_add_f64 v[58:59], v[58:59], v[44:45]
	ds_load_b128 v[42:45], v1 offset:1200
	v_fma_f64 v[60:61], v[189:190], v[26:27], v[60:61]
	ds_load_b128 v[187:190], v1 offset:1232
	s_waitcnt vmcnt(9) lgkmcnt(2)
	v_mul_f64 v[66:67], v[28:29], v[24:25]
	v_mul_f64 v[68:69], v[30:31], v[24:25]
	scratch_load_b128 v[24:27], off, off offset:336
	v_add_f64 v[56:57], v[56:57], v[62:63]
	v_add_f64 v[36:37], v[58:59], v[36:37]
	s_waitcnt vmcnt(9) lgkmcnt(1)
	v_mul_f64 v[58:59], v[42:43], v[20:21]
	v_mul_f64 v[62:63], v[44:45], v[20:21]
	v_fma_f64 v[66:67], v[30:31], v[22:23], v[66:67]
	v_fma_f64 v[68:69], v[28:29], v[22:23], -v[68:69]
	ds_load_b128 v[20:23], v1 offset:1216
	scratch_load_b128 v[28:31], off, off offset:352
	v_add_f64 v[56:57], v[56:57], v[64:65]
	v_add_f64 v[36:37], v[36:37], v[60:61]
	s_waitcnt vmcnt(9) lgkmcnt(0)
	v_mul_f64 v[60:61], v[20:21], v[16:17]
	v_mul_f64 v[64:65], v[22:23], v[16:17]
	v_fma_f64 v[44:45], v[44:45], v[18:19], v[58:59]
	v_fma_f64 v[42:43], v[42:43], v[18:19], -v[62:63]
	scratch_load_b128 v[16:19], off, off offset:368
	s_waitcnt vmcnt(9)
	v_mul_f64 v[58:59], v[187:188], v[12:13]
	v_mul_f64 v[62:63], v[189:190], v[12:13]
	v_add_f64 v[56:57], v[56:57], v[68:69]
	v_add_f64 v[36:37], v[36:37], v[66:67]
	v_fma_f64 v[60:61], v[22:23], v[14:15], v[60:61]
	v_fma_f64 v[64:65], v[20:21], v[14:15], -v[64:65]
	ds_load_b128 v[12:15], v1 offset:1248
	scratch_load_b128 v[20:23], off, off offset:384
	v_fma_f64 v[58:59], v[189:190], v[10:11], v[58:59]
	v_fma_f64 v[62:63], v[187:188], v[10:11], -v[62:63]
	scratch_load_b128 v[187:190], off, off offset:416
	v_add_f64 v[56:57], v[56:57], v[42:43]
	v_add_f64 v[36:37], v[36:37], v[44:45]
	ds_load_b128 v[42:45], v1 offset:1264
	s_waitcnt vmcnt(10) lgkmcnt(1)
	v_mul_f64 v[66:67], v[12:13], v[8:9]
	v_mul_f64 v[68:69], v[14:15], v[8:9]
	scratch_load_b128 v[8:11], off, off offset:400
	v_add_f64 v[56:57], v[56:57], v[64:65]
	v_add_f64 v[36:37], v[36:37], v[60:61]
	s_waitcnt vmcnt(9) lgkmcnt(0)
	v_mul_f64 v[60:61], v[42:43], v[54:55]
	v_mul_f64 v[54:55], v[44:45], v[54:55]
	v_fma_f64 v[64:65], v[14:15], v[6:7], v[66:67]
	v_fma_f64 v[6:7], v[12:13], v[6:7], -v[68:69]
	ds_load_b128 v[12:15], v1 offset:1280
	v_add_f64 v[56:57], v[56:57], v[62:63]
	v_add_f64 v[36:37], v[36:37], v[58:59]
	v_fma_f64 v[60:61], v[44:45], v[52:53], v[60:61]
	v_fma_f64 v[52:53], v[42:43], v[52:53], -v[54:55]
	scratch_load_b128 v[42:45], off, off offset:432
	s_waitcnt vmcnt(9) lgkmcnt(0)
	v_mul_f64 v[58:59], v[12:13], v[48:49]
	v_mul_f64 v[48:49], v[14:15], v[48:49]
	v_add_f64 v[6:7], v[56:57], v[6:7]
	v_add_f64 v[36:37], v[36:37], v[64:65]
	s_waitcnt vmcnt(8)
	v_mul_f64 v[56:57], v[237:238], v[40:41]
	v_mul_f64 v[40:41], v[239:240], v[40:41]
	v_fma_f64 v[58:59], v[14:15], v[46:47], v[58:59]
	v_fma_f64 v[62:63], v[12:13], v[46:47], -v[48:49]
	ds_load_b128 v[12:15], v1 offset:1312
	scratch_load_b128 v[46:49], off, off offset:448
	v_add_f64 v[6:7], v[6:7], v[52:53]
	v_add_f64 v[36:37], v[36:37], v[60:61]
	ds_load_b128 v[52:55], v1 offset:1328
	s_waitcnt vmcnt(8) lgkmcnt(1)
	v_mul_f64 v[60:61], v[12:13], v[34:35]
	v_mul_f64 v[64:65], v[14:15], v[34:35]
	v_fma_f64 v[56:57], v[239:240], v[38:39], v[56:57]
	v_fma_f64 v[38:39], v[237:238], v[38:39], -v[40:41]
	ds_load_b128 v[237:240], v1 offset:1360
	v_add_f64 v[6:7], v[6:7], v[62:63]
	v_add_f64 v[40:41], v[36:37], v[58:59]
	scratch_load_b128 v[34:37], off, off offset:464
	s_waitcnt vmcnt(8) lgkmcnt(1)
	v_mul_f64 v[58:59], v[52:53], v[26:27]
	v_mul_f64 v[26:27], v[54:55], v[26:27]
	v_fma_f64 v[60:61], v[14:15], v[32:33], v[60:61]
	v_fma_f64 v[32:33], v[12:13], v[32:33], -v[64:65]
	ds_load_b128 v[12:15], v1 offset:1344
	s_waitcnt vmcnt(7) lgkmcnt(0)
	v_mul_f64 v[62:63], v[12:13], v[30:31]
	v_mul_f64 v[30:31], v[14:15], v[30:31]
	v_add_f64 v[6:7], v[6:7], v[38:39]
	v_add_f64 v[56:57], v[40:41], v[56:57]
	scratch_load_b128 v[38:41], off, off offset:480
	v_fma_f64 v[54:55], v[54:55], v[24:25], v[58:59]
	v_fma_f64 v[52:53], v[52:53], v[24:25], -v[26:27]
	scratch_load_b128 v[24:27], off, off offset:496
	v_fma_f64 v[58:59], v[14:15], v[28:29], v[62:63]
	v_add_f64 v[6:7], v[6:7], v[32:33]
	v_add_f64 v[32:33], v[56:57], v[60:61]
	s_waitcnt vmcnt(8)
	v_mul_f64 v[56:57], v[237:238], v[18:19]
	v_mul_f64 v[18:19], v[239:240], v[18:19]
	v_fma_f64 v[60:61], v[12:13], v[28:29], -v[30:31]
	ds_load_b128 v[12:15], v1 offset:1376
	scratch_load_b128 v[28:31], off, off offset:512
	v_add_f64 v[6:7], v[6:7], v[52:53]
	v_add_f64 v[32:33], v[32:33], v[54:55]
	ds_load_b128 v[52:55], v1 offset:1392
	s_waitcnt vmcnt(8) lgkmcnt(1)
	v_mul_f64 v[62:63], v[12:13], v[22:23]
	v_mul_f64 v[22:23], v[14:15], v[22:23]
	v_fma_f64 v[56:57], v[239:240], v[16:17], v[56:57]
	v_fma_f64 v[64:65], v[237:238], v[16:17], -v[18:19]
	scratch_load_b128 v[16:19], off, off offset:528
	ds_load_b128 v[237:240], v1 offset:1424
	v_add_f64 v[6:7], v[6:7], v[60:61]
	v_add_f64 v[32:33], v[32:33], v[58:59]
	s_waitcnt vmcnt(7) lgkmcnt(1)
	v_mul_f64 v[58:59], v[52:53], v[10:11]
	v_mul_f64 v[60:61], v[54:55], v[10:11]
	v_fma_f64 v[14:15], v[14:15], v[20:21], v[62:63]
	v_fma_f64 v[62:63], v[12:13], v[20:21], -v[22:23]
	ds_load_b128 v[10:13], v1 offset:1408
	scratch_load_b128 v[20:23], off, off offset:544
	v_add_f64 v[6:7], v[6:7], v[64:65]
	v_add_f64 v[32:33], v[32:33], v[56:57]
	s_waitcnt lgkmcnt(0)
	v_mul_f64 v[56:57], v[10:11], v[189:190]
	v_mul_f64 v[64:65], v[12:13], v[189:190]
	v_fma_f64 v[54:55], v[54:55], v[8:9], v[58:59]
	v_fma_f64 v[52:53], v[52:53], v[8:9], -v[60:61]
	v_add_f64 v[58:59], v[6:7], v[62:63]
	scratch_load_b128 v[6:9], off, off offset:560
	v_add_f64 v[14:15], v[32:33], v[14:15]
	s_waitcnt vmcnt(8)
	v_mul_f64 v[32:33], v[237:238], v[44:45]
	v_mul_f64 v[44:45], v[239:240], v[44:45]
	v_fma_f64 v[56:57], v[12:13], v[187:188], v[56:57]
	v_fma_f64 v[60:61], v[10:11], v[187:188], -v[64:65]
	ds_load_b128 v[10:13], v1 offset:1440
	ds_load_b128 v[187:190], v1 offset:1456
	s_waitcnt vmcnt(7) lgkmcnt(1)
	v_mul_f64 v[62:63], v[10:11], v[48:49]
	v_add_f64 v[58:59], v[58:59], v[52:53]
	v_add_f64 v[14:15], v[14:15], v[54:55]
	scratch_load_b128 v[52:55], off, off offset:576
	v_mul_f64 v[48:49], v[12:13], v[48:49]
	v_fma_f64 v[32:33], v[239:240], v[42:43], v[32:33]
	v_fma_f64 v[64:65], v[237:238], v[42:43], -v[44:45]
	scratch_load_b128 v[42:45], off, off offset:592
	ds_load_b128 v[237:240], v1 offset:1488
	v_add_f64 v[58:59], v[58:59], v[60:61]
	v_add_f64 v[14:15], v[14:15], v[56:57]
	v_fma_f64 v[60:61], v[12:13], v[46:47], v[62:63]
	v_fma_f64 v[62:63], v[10:11], v[46:47], -v[48:49]
	ds_load_b128 v[10:13], v1 offset:1472
	scratch_load_b128 v[46:49], off, off offset:608
	s_waitcnt vmcnt(9) lgkmcnt(2)
	v_mul_f64 v[56:57], v[187:188], v[36:37]
	v_mul_f64 v[36:37], v[189:190], v[36:37]
	v_add_f64 v[58:59], v[58:59], v[64:65]
	v_add_f64 v[14:15], v[14:15], v[32:33]
	s_waitcnt vmcnt(8) lgkmcnt(0)
	v_mul_f64 v[64:65], v[10:11], v[40:41]
	v_mul_f64 v[40:41], v[12:13], v[40:41]
	v_fma_f64 v[56:57], v[189:190], v[34:35], v[56:57]
	v_fma_f64 v[36:37], v[187:188], v[34:35], -v[36:37]
	scratch_load_b128 v[32:35], off, off offset:624
	ds_load_b128 v[187:190], v1 offset:1520
	v_add_f64 v[58:59], v[58:59], v[62:63]
	v_add_f64 v[14:15], v[14:15], v[60:61]
	s_waitcnt vmcnt(8)
	v_mul_f64 v[60:61], v[237:238], v[26:27]
	v_mul_f64 v[26:27], v[239:240], v[26:27]
	v_fma_f64 v[62:63], v[12:13], v[38:39], v[64:65]
	v_fma_f64 v[40:41], v[10:11], v[38:39], -v[40:41]
	ds_load_b128 v[10:13], v1 offset:1504
	v_add_f64 v[58:59], v[58:59], v[36:37]
	v_add_f64 v[14:15], v[14:15], v[56:57]
	scratch_load_b128 v[36:39], off, off offset:640
	s_waitcnt vmcnt(8) lgkmcnt(0)
	v_mul_f64 v[56:57], v[10:11], v[30:31]
	v_mul_f64 v[30:31], v[12:13], v[30:31]
	v_fma_f64 v[60:61], v[239:240], v[24:25], v[60:61]
	v_fma_f64 v[64:65], v[237:238], v[24:25], -v[26:27]
	scratch_load_b128 v[24:27], off, off offset:656
	ds_load_b128 v[237:240], v1 offset:1552
	v_add_f64 v[40:41], v[58:59], v[40:41]
	v_add_f64 v[14:15], v[14:15], v[62:63]
	s_waitcnt vmcnt(8)
	v_mul_f64 v[58:59], v[187:188], v[18:19]
	v_mul_f64 v[18:19], v[189:190], v[18:19]
	v_fma_f64 v[56:57], v[12:13], v[28:29], v[56:57]
	v_fma_f64 v[62:63], v[10:11], v[28:29], -v[30:31]
	ds_load_b128 v[10:13], v1 offset:1536
	scratch_load_b128 v[28:31], off, off offset:672
	v_add_f64 v[40:41], v[40:41], v[64:65]
	v_add_f64 v[14:15], v[14:15], v[60:61]
	s_waitcnt vmcnt(8) lgkmcnt(0)
	v_mul_f64 v[60:61], v[10:11], v[22:23]
	v_mul_f64 v[22:23], v[12:13], v[22:23]
	v_fma_f64 v[58:59], v[189:190], v[16:17], v[58:59]
	v_fma_f64 v[18:19], v[187:188], v[16:17], -v[18:19]
	ds_load_b128 v[187:190], v1 offset:1584
	v_add_f64 v[40:41], v[40:41], v[62:63]
	v_add_f64 v[56:57], v[14:15], v[56:57]
	scratch_load_b128 v[14:17], off, off offset:688
	v_fma_f64 v[12:13], v[12:13], v[20:21], v[60:61]
	v_fma_f64 v[22:23], v[10:11], v[20:21], -v[22:23]
	s_waitcnt vmcnt(8)
	v_mul_f64 v[62:63], v[237:238], v[8:9]
	v_mul_f64 v[64:65], v[239:240], v[8:9]
	ds_load_b128 v[8:11], v1 offset:1568
	v_add_f64 v[40:41], v[40:41], v[18:19]
	v_add_f64 v[56:57], v[56:57], v[58:59]
	scratch_load_b128 v[18:21], off, off offset:704
	v_fma_f64 v[60:61], v[239:240], v[6:7], v[62:63]
	v_fma_f64 v[6:7], v[237:238], v[6:7], -v[64:65]
	scratch_load_b128 v[237:240], off, off offset:720
	s_waitcnt vmcnt(9) lgkmcnt(0)
	v_mul_f64 v[58:59], v[8:9], v[54:55]
	v_mul_f64 v[54:55], v[10:11], v[54:55]
	v_add_f64 v[22:23], v[40:41], v[22:23]
	v_add_f64 v[12:13], v[56:57], v[12:13]
	s_waitcnt vmcnt(8)
	v_mul_f64 v[40:41], v[187:188], v[44:45]
	v_mul_f64 v[44:45], v[189:190], v[44:45]
	v_fma_f64 v[56:57], v[10:11], v[52:53], v[58:59]
	v_fma_f64 v[58:59], v[8:9], v[52:53], -v[54:55]
	ds_load_b128 v[52:55], v1 offset:1616
	v_add_f64 v[22:23], v[22:23], v[6:7]
	v_add_f64 v[60:61], v[12:13], v[60:61]
	ds_load_b128 v[6:9], v1 offset:1600
	scratch_load_b128 v[10:13], off, off offset:736
	v_fma_f64 v[64:65], v[189:190], v[42:43], v[40:41]
	v_fma_f64 v[44:45], v[187:188], v[42:43], -v[44:45]
	scratch_load_b128 v[40:43], off, off offset:752
	ds_load_b128 v[187:190], v1 offset:1648
	s_waitcnt vmcnt(9) lgkmcnt(1)
	v_mul_f64 v[62:63], v[6:7], v[48:49]
	v_mul_f64 v[48:49], v[8:9], v[48:49]
	v_add_f64 v[22:23], v[22:23], v[58:59]
	v_add_f64 v[56:57], v[60:61], v[56:57]
	s_waitcnt vmcnt(8)
	v_mul_f64 v[58:59], v[52:53], v[34:35]
	v_mul_f64 v[34:35], v[54:55], v[34:35]
	v_fma_f64 v[60:61], v[8:9], v[46:47], v[62:63]
	v_fma_f64 v[48:49], v[6:7], v[46:47], -v[48:49]
	ds_load_b128 v[6:9], v1 offset:1632
	v_add_f64 v[22:23], v[22:23], v[44:45]
	v_add_f64 v[56:57], v[56:57], v[64:65]
	scratch_load_b128 v[44:47], off, off offset:768
	v_fma_f64 v[54:55], v[54:55], v[32:33], v[58:59]
	v_fma_f64 v[52:53], v[52:53], v[32:33], -v[34:35]
	scratch_load_b128 v[32:35], off, off offset:784
	s_waitcnt vmcnt(9) lgkmcnt(0)
	v_mul_f64 v[62:63], v[6:7], v[38:39]
	v_mul_f64 v[38:39], v[8:9], v[38:39]
	v_add_f64 v[22:23], v[22:23], v[48:49]
	v_add_f64 v[48:49], v[56:57], v[60:61]
	s_waitcnt vmcnt(8)
	v_mul_f64 v[56:57], v[187:188], v[26:27]
	v_mul_f64 v[26:27], v[189:190], v[26:27]
	v_fma_f64 v[58:59], v[8:9], v[36:37], v[62:63]
	v_fma_f64 v[60:61], v[6:7], v[36:37], -v[38:39]
	ds_load_b128 v[6:9], v1 offset:1664
	scratch_load_b128 v[36:39], off, off offset:800
	v_add_f64 v[22:23], v[22:23], v[52:53]
	v_add_f64 v[48:49], v[48:49], v[54:55]
	ds_load_b128 v[52:55], v1 offset:1680
	s_waitcnt vmcnt(8) lgkmcnt(1)
	v_mul_f64 v[62:63], v[6:7], v[30:31]
	v_mul_f64 v[30:31], v[8:9], v[30:31]
	v_fma_f64 v[56:57], v[189:190], v[24:25], v[56:57]
	v_fma_f64 v[26:27], v[187:188], v[24:25], -v[26:27]
	ds_load_b128 v[187:190], v1 offset:1712
	v_add_f64 v[60:61], v[22:23], v[60:61]
	scratch_load_b128 v[22:25], off, off offset:816
	v_add_f64 v[48:49], v[48:49], v[58:59]
	v_fma_f64 v[62:63], v[8:9], v[28:29], v[62:63]
	v_fma_f64 v[30:31], v[6:7], v[28:29], -v[30:31]
	ds_load_b128 v[6:9], v1 offset:1696
	s_waitcnt vmcnt(8) lgkmcnt(2)
	v_mul_f64 v[58:59], v[52:53], v[16:17]
	v_mul_f64 v[16:17], v[54:55], v[16:17]
	v_add_f64 v[60:61], v[60:61], v[26:27]
	scratch_load_b128 v[26:29], off, off offset:832
	v_add_f64 v[48:49], v[48:49], v[56:57]
	s_waitcnt vmcnt(8) lgkmcnt(0)
	v_mul_f64 v[56:57], v[6:7], v[20:21]
	v_mul_f64 v[20:21], v[8:9], v[20:21]
	v_fma_f64 v[54:55], v[54:55], v[14:15], v[58:59]
	v_fma_f64 v[52:53], v[52:53], v[14:15], -v[16:17]
	scratch_load_b128 v[14:17], off, off offset:848
	s_waitcnt vmcnt(8)
	v_mul_f64 v[58:59], v[187:188], v[239:240]
	v_add_f64 v[30:31], v[60:61], v[30:31]
	v_mul_f64 v[60:61], v[189:190], v[239:240]
	v_add_f64 v[48:49], v[48:49], v[62:63]
	v_fma_f64 v[56:57], v[8:9], v[18:19], v[56:57]
	v_fma_f64 v[62:63], v[6:7], v[18:19], -v[20:21]
	ds_load_b128 v[6:9], v1 offset:1728
	scratch_load_b128 v[18:21], off, off offset:864
	v_fma_f64 v[58:59], v[189:190], v[237:238], v[58:59]
	v_add_f64 v[30:31], v[30:31], v[52:53]
	v_fma_f64 v[60:61], v[187:188], v[237:238], -v[60:61]
	scratch_load_b128 v[187:190], off, off offset:880
	v_add_f64 v[48:49], v[48:49], v[54:55]
	ds_load_b128 v[52:55], v1 offset:1744
	ds_load_b128 v[237:240], v1 offset:1776
	s_waitcnt vmcnt(9) lgkmcnt(2)
	v_mul_f64 v[64:65], v[6:7], v[12:13]
	v_mul_f64 v[12:13], v[8:9], v[12:13]
	v_add_f64 v[30:31], v[30:31], v[62:63]
	v_add_f64 v[48:49], v[48:49], v[56:57]
	s_waitcnt vmcnt(8) lgkmcnt(1)
	v_mul_f64 v[56:57], v[52:53], v[42:43]
	v_mul_f64 v[42:43], v[54:55], v[42:43]
	v_fma_f64 v[62:63], v[8:9], v[10:11], v[64:65]
	v_fma_f64 v[64:65], v[6:7], v[10:11], -v[12:13]
	ds_load_b128 v[6:9], v1 offset:1760
	scratch_load_b128 v[10:13], off, off offset:896
	v_add_f64 v[30:31], v[30:31], v[60:61]
	v_add_f64 v[48:49], v[48:49], v[58:59]
	v_fma_f64 v[54:55], v[54:55], v[40:41], v[56:57]
	v_fma_f64 v[52:53], v[52:53], v[40:41], -v[42:43]
	scratch_load_b128 v[40:43], off, off offset:912
	s_waitcnt vmcnt(9) lgkmcnt(0)
	v_mul_f64 v[58:59], v[6:7], v[46:47]
	v_mul_f64 v[46:47], v[8:9], v[46:47]
	s_waitcnt vmcnt(8)
	v_mul_f64 v[56:57], v[237:238], v[34:35]
	v_mul_f64 v[34:35], v[239:240], v[34:35]
	v_add_f64 v[30:31], v[30:31], v[64:65]
	v_add_f64 v[48:49], v[48:49], v[62:63]
	v_fma_f64 v[58:59], v[8:9], v[44:45], v[58:59]
	v_fma_f64 v[60:61], v[6:7], v[44:45], -v[46:47]
	ds_load_b128 v[6:9], v1 offset:1792
	scratch_load_b128 v[44:47], off, off offset:928
	v_fma_f64 v[56:57], v[239:240], v[32:33], v[56:57]
	v_fma_f64 v[34:35], v[237:238], v[32:33], -v[34:35]
	ds_load_b128 v[237:240], v1 offset:1840
	v_add_f64 v[30:31], v[30:31], v[52:53]
	v_add_f64 v[48:49], v[48:49], v[54:55]
	ds_load_b128 v[52:55], v1 offset:1808
	s_waitcnt vmcnt(8) lgkmcnt(2)
	v_mul_f64 v[62:63], v[6:7], v[38:39]
	v_mul_f64 v[38:39], v[8:9], v[38:39]
	v_add_f64 v[60:61], v[30:31], v[60:61]
	scratch_load_b128 v[30:33], off, off offset:944
	v_add_f64 v[48:49], v[48:49], v[58:59]
	v_fma_f64 v[62:63], v[8:9], v[36:37], v[62:63]
	v_fma_f64 v[38:39], v[6:7], v[36:37], -v[38:39]
	ds_load_b128 v[6:9], v1 offset:1824
	s_waitcnt vmcnt(8) lgkmcnt(1)
	v_mul_f64 v[58:59], v[52:53], v[24:25]
	v_mul_f64 v[24:25], v[54:55], v[24:25]
	v_add_f64 v[60:61], v[60:61], v[34:35]
	scratch_load_b128 v[34:37], off, off offset:960
	v_add_f64 v[48:49], v[48:49], v[56:57]
	s_waitcnt vmcnt(8) lgkmcnt(0)
	v_mul_f64 v[56:57], v[6:7], v[28:29]
	v_mul_f64 v[28:29], v[8:9], v[28:29]
	v_fma_f64 v[54:55], v[54:55], v[22:23], v[58:59]
	v_fma_f64 v[52:53], v[52:53], v[22:23], -v[24:25]
	scratch_load_b128 v[22:25], off, off offset:976
	s_waitcnt vmcnt(8)
	v_mul_f64 v[58:59], v[237:238], v[16:17]
	v_add_f64 v[38:39], v[60:61], v[38:39]
	v_mul_f64 v[16:17], v[239:240], v[16:17]
	v_add_f64 v[48:49], v[48:49], v[62:63]
	v_fma_f64 v[56:57], v[8:9], v[26:27], v[56:57]
	v_fma_f64 v[60:61], v[6:7], v[26:27], -v[28:29]
	ds_load_b128 v[6:9], v1 offset:1856
	ds_load_b128 v[26:29], v1 offset:1872
	v_add_f64 v[38:39], v[38:39], v[52:53]
	s_waitcnt vmcnt(7) lgkmcnt(1)
	v_mul_f64 v[52:53], v[6:7], v[20:21]
	v_add_f64 v[48:49], v[48:49], v[54:55]
	v_mul_f64 v[20:21], v[8:9], v[20:21]
	v_fma_f64 v[54:55], v[239:240], v[14:15], v[58:59]
	v_fma_f64 v[14:15], v[237:238], v[14:15], -v[16:17]
	v_add_f64 v[16:17], v[38:39], v[60:61]
	v_fma_f64 v[52:53], v[8:9], v[18:19], v[52:53]
	v_add_f64 v[38:39], v[48:49], v[56:57]
	s_waitcnt vmcnt(6) lgkmcnt(0)
	v_mul_f64 v[48:49], v[26:27], v[189:190]
	v_mul_f64 v[56:57], v[28:29], v[189:190]
	v_fma_f64 v[18:19], v[6:7], v[18:19], -v[20:21]
	v_add_f64 v[20:21], v[16:17], v[14:15]
	ds_load_b128 v[6:9], v1 offset:1888
	ds_load_b128 v[14:17], v1 offset:1904
	v_add_f64 v[38:39], v[38:39], v[54:55]
	v_fma_f64 v[28:29], v[28:29], v[187:188], v[48:49]
	v_fma_f64 v[26:27], v[26:27], v[187:188], -v[56:57]
	s_waitcnt vmcnt(5) lgkmcnt(1)
	v_mul_f64 v[54:55], v[6:7], v[12:13]
	v_mul_f64 v[12:13], v[8:9], v[12:13]
	v_add_f64 v[18:19], v[20:21], v[18:19]
	v_add_f64 v[20:21], v[38:39], v[52:53]
	s_waitcnt vmcnt(4) lgkmcnt(0)
	v_mul_f64 v[38:39], v[14:15], v[42:43]
	v_mul_f64 v[42:43], v[16:17], v[42:43]
	v_fma_f64 v[48:49], v[8:9], v[10:11], v[54:55]
	v_fma_f64 v[52:53], v[6:7], v[10:11], -v[12:13]
	ds_load_b128 v[6:9], v1 offset:1920
	ds_load_b128 v[10:13], v1 offset:1936
	v_add_f64 v[18:19], v[18:19], v[26:27]
	v_add_f64 v[20:21], v[20:21], v[28:29]
	s_waitcnt vmcnt(3) lgkmcnt(1)
	v_mul_f64 v[26:27], v[6:7], v[46:47]
	v_mul_f64 v[28:29], v[8:9], v[46:47]
	v_fma_f64 v[16:17], v[16:17], v[40:41], v[38:39]
	v_fma_f64 v[14:15], v[14:15], v[40:41], -v[42:43]
	v_add_f64 v[18:19], v[18:19], v[52:53]
	v_add_f64 v[20:21], v[20:21], v[48:49]
	v_fma_f64 v[26:27], v[8:9], v[44:45], v[26:27]
	v_fma_f64 v[28:29], v[6:7], v[44:45], -v[28:29]
	s_waitcnt vmcnt(2) lgkmcnt(0)
	v_mul_f64 v[38:39], v[10:11], v[32:33]
	v_mul_f64 v[32:33], v[12:13], v[32:33]
	v_add_f64 v[18:19], v[18:19], v[14:15]
	v_add_f64 v[20:21], v[20:21], v[16:17]
	ds_load_b128 v[6:9], v1 offset:1952
	ds_load_b128 v[14:17], v1 offset:1968
	v_fma_f64 v[12:13], v[12:13], v[30:31], v[38:39]
	v_fma_f64 v[10:11], v[10:11], v[30:31], -v[32:33]
	s_waitcnt vmcnt(1) lgkmcnt(1)
	v_mul_f64 v[40:41], v[6:7], v[36:37]
	v_mul_f64 v[36:37], v[8:9], v[36:37]
	v_add_f64 v[18:19], v[18:19], v[28:29]
	v_add_f64 v[20:21], v[20:21], v[26:27]
	s_waitcnt vmcnt(0) lgkmcnt(0)
	v_mul_f64 v[26:27], v[14:15], v[24:25]
	v_mul_f64 v[24:25], v[16:17], v[24:25]
	v_fma_f64 v[8:9], v[8:9], v[34:35], v[40:41]
	v_fma_f64 v[6:7], v[6:7], v[34:35], -v[36:37]
	v_add_f64 v[10:11], v[18:19], v[10:11]
	v_add_f64 v[12:13], v[20:21], v[12:13]
	v_fma_f64 v[16:17], v[16:17], v[22:23], v[26:27]
	v_fma_f64 v[14:15], v[14:15], v[22:23], -v[24:25]
	s_delay_alu instid0(VALU_DEP_4) | instskip(NEXT) | instid1(VALU_DEP_4)
	v_add_f64 v[6:7], v[10:11], v[6:7]
	v_add_f64 v[8:9], v[12:13], v[8:9]
	s_delay_alu instid0(VALU_DEP_2) | instskip(NEXT) | instid1(VALU_DEP_2)
	v_add_f64 v[6:7], v[6:7], v[14:15]
	v_add_f64 v[8:9], v[8:9], v[16:17]
	s_delay_alu instid0(VALU_DEP_2) | instskip(NEXT) | instid1(VALU_DEP_2)
	v_add_f64 v[1:2], v[2:3], -v[6:7]
	v_add_f64 v[3:4], v[4:5], -v[8:9]
	scratch_store_b128 off, v[1:4], off offset:112
	v_cmpx_lt_u32_e32 6, v174
	s_cbranch_execz .LBB61_385
; %bb.384:
	scratch_load_b32 v1, off, off offset:1176 ; 4-byte Folded Reload
	v_mov_b32_e32 v5, 0
	s_delay_alu instid0(VALU_DEP_1)
	v_mov_b32_e32 v6, v5
	v_mov_b32_e32 v7, v5
	;; [unrolled: 1-line block ×3, first 2 shown]
	s_waitcnt vmcnt(0)
	scratch_load_b128 v[1:4], v1, off
	scratch_store_b128 off, v[5:8], off offset:96
	s_waitcnt vmcnt(0)
	ds_store_b128 v236, v[1:4]
.LBB61_385:
	s_or_b32 exec_lo, exec_lo, s2
	s_waitcnt lgkmcnt(0)
	s_waitcnt_vscnt null, 0x0
	s_barrier
	buffer_gl0_inv
	s_clause 0x7
	scratch_load_b128 v[34:37], off, off offset:112
	scratch_load_b128 v[38:41], off, off offset:128
	;; [unrolled: 1-line block ×8, first 2 shown]
	v_mov_b32_e32 v1, 0
	s_mov_b32 s2, exec_lo
	ds_load_b128 v[46:49], v1 offset:1104
	s_clause 0x2
	scratch_load_b128 v[14:17], off, off offset:240
	scratch_load_b128 v[2:5], off, off offset:96
	;; [unrolled: 1-line block ×3, first 2 shown]
	ds_load_b128 v[42:45], v1 offset:1120
	ds_load_b128 v[187:190], v1 offset:1152
	;; [unrolled: 1-line block ×3, first 2 shown]
	s_waitcnt vmcnt(10) lgkmcnt(3)
	v_mul_f64 v[56:57], v[48:49], v[36:37]
	v_mul_f64 v[36:37], v[46:47], v[36:37]
	s_delay_alu instid0(VALU_DEP_2) | instskip(NEXT) | instid1(VALU_DEP_2)
	v_fma_f64 v[56:57], v[46:47], v[34:35], -v[56:57]
	v_fma_f64 v[60:61], v[48:49], v[34:35], v[36:37]
	ds_load_b128 v[34:37], v1 offset:1136
	s_waitcnt vmcnt(9) lgkmcnt(3)
	v_mul_f64 v[58:59], v[42:43], v[40:41]
	v_mul_f64 v[40:41], v[44:45], v[40:41]
	scratch_load_b128 v[46:49], off, off offset:272
	s_waitcnt vmcnt(9) lgkmcnt(0)
	v_mul_f64 v[62:63], v[34:35], v[32:33]
	v_mul_f64 v[32:33], v[36:37], v[32:33]
	v_add_f64 v[56:57], v[56:57], 0
	v_fma_f64 v[44:45], v[44:45], v[38:39], v[58:59]
	v_fma_f64 v[42:43], v[42:43], v[38:39], -v[40:41]
	v_add_f64 v[58:59], v[60:61], 0
	scratch_load_b128 v[38:41], off, off offset:288
	v_fma_f64 v[36:37], v[36:37], v[30:31], v[62:63]
	v_fma_f64 v[62:63], v[34:35], v[30:31], -v[32:33]
	scratch_load_b128 v[32:35], off, off offset:304
	v_add_f64 v[56:57], v[56:57], v[42:43]
	v_add_f64 v[58:59], v[58:59], v[44:45]
	ds_load_b128 v[42:45], v1 offset:1184
	s_waitcnt vmcnt(10)
	v_mul_f64 v[60:61], v[187:188], v[28:29]
	v_mul_f64 v[64:65], v[189:190], v[28:29]
	ds_load_b128 v[28:31], v1 offset:1168
	v_add_f64 v[56:57], v[56:57], v[62:63]
	v_add_f64 v[36:37], v[58:59], v[36:37]
	s_waitcnt vmcnt(8) lgkmcnt(1)
	v_mul_f64 v[58:59], v[42:43], v[20:21]
	v_fma_f64 v[60:61], v[189:190], v[26:27], v[60:61]
	v_fma_f64 v[64:65], v[187:188], v[26:27], -v[64:65]
	ds_load_b128 v[187:190], v1 offset:1216
	s_waitcnt lgkmcnt(1)
	v_mul_f64 v[66:67], v[28:29], v[24:25]
	v_mul_f64 v[68:69], v[30:31], v[24:25]
	scratch_load_b128 v[24:27], off, off offset:320
	v_mul_f64 v[62:63], v[44:45], v[20:21]
	v_fma_f64 v[58:59], v[44:45], v[18:19], v[58:59]
	v_add_f64 v[36:37], v[36:37], v[60:61]
	v_add_f64 v[56:57], v[56:57], v[64:65]
	s_waitcnt vmcnt(7) lgkmcnt(0)
	v_mul_f64 v[64:65], v[189:190], v[8:9]
	v_fma_f64 v[66:67], v[30:31], v[22:23], v[66:67]
	v_fma_f64 v[68:69], v[28:29], v[22:23], -v[68:69]
	scratch_load_b128 v[28:31], off, off offset:336
	ds_load_b128 v[20:23], v1 offset:1200
	v_fma_f64 v[18:19], v[42:43], v[18:19], -v[62:63]
	v_mul_f64 v[62:63], v[187:188], v[8:9]
	scratch_load_b128 v[42:45], off, off offset:352
	s_waitcnt lgkmcnt(0)
	v_mul_f64 v[60:61], v[20:21], v[12:13]
	v_mul_f64 v[12:13], v[22:23], v[12:13]
	v_add_f64 v[36:37], v[36:37], v[66:67]
	v_add_f64 v[56:57], v[56:57], v[68:69]
	s_delay_alu instid0(VALU_DEP_4) | instskip(NEXT) | instid1(VALU_DEP_4)
	v_fma_f64 v[22:23], v[22:23], v[10:11], v[60:61]
	v_fma_f64 v[12:13], v[20:21], v[10:11], -v[12:13]
	ds_load_b128 v[8:11], v1 offset:1232
	v_fma_f64 v[60:61], v[189:190], v[6:7], v[62:63]
	v_fma_f64 v[6:7], v[187:188], v[6:7], -v[64:65]
	scratch_load_b128 v[187:190], off, off offset:384
	v_add_f64 v[36:37], v[36:37], v[58:59]
	v_add_f64 v[56:57], v[56:57], v[18:19]
	scratch_load_b128 v[18:21], off, off offset:368
	v_add_f64 v[22:23], v[36:37], v[22:23]
	s_waitcnt vmcnt(8)
	v_mul_f64 v[36:37], v[237:238], v[54:55]
	v_mul_f64 v[54:55], v[239:240], v[54:55]
	v_add_f64 v[12:13], v[56:57], v[12:13]
	s_delay_alu instid0(VALU_DEP_4) | instskip(NEXT) | instid1(VALU_DEP_4)
	v_add_f64 v[22:23], v[22:23], v[60:61]
	v_fma_f64 v[36:37], v[239:240], v[52:53], v[36:37]
	s_delay_alu instid0(VALU_DEP_4)
	v_fma_f64 v[64:65], v[237:238], v[52:53], -v[54:55]
	ds_load_b128 v[237:240], v1 offset:1312
	s_waitcnt lgkmcnt(1)
	v_mul_f64 v[58:59], v[8:9], v[16:17]
	v_mul_f64 v[16:17], v[10:11], v[16:17]
	v_add_f64 v[62:63], v[12:13], v[6:7]
	scratch_load_b128 v[52:55], off, off offset:416
	v_fma_f64 v[56:57], v[10:11], v[14:15], v[58:59]
	v_fma_f64 v[58:59], v[8:9], v[14:15], -v[16:17]
	ds_load_b128 v[6:9], v1 offset:1264
	ds_load_b128 v[14:17], v1 offset:1280
	scratch_load_b128 v[10:13], off, off offset:400
	s_waitcnt vmcnt(9) lgkmcnt(1)
	v_mul_f64 v[60:61], v[6:7], v[48:49]
	v_mul_f64 v[48:49], v[8:9], v[48:49]
	v_add_f64 v[22:23], v[22:23], v[56:57]
	v_add_f64 v[58:59], v[62:63], v[58:59]
	s_waitcnt vmcnt(8) lgkmcnt(0)
	v_mul_f64 v[56:57], v[14:15], v[40:41]
	v_mul_f64 v[40:41], v[16:17], v[40:41]
	v_fma_f64 v[60:61], v[8:9], v[46:47], v[60:61]
	v_fma_f64 v[62:63], v[6:7], v[46:47], -v[48:49]
	ds_load_b128 v[6:9], v1 offset:1296
	scratch_load_b128 v[46:49], off, off offset:432
	v_add_f64 v[22:23], v[22:23], v[36:37]
	v_add_f64 v[58:59], v[58:59], v[64:65]
	v_fma_f64 v[56:57], v[16:17], v[38:39], v[56:57]
	v_fma_f64 v[38:39], v[14:15], v[38:39], -v[40:41]
	scratch_load_b128 v[14:17], off, off offset:448
	v_add_f64 v[22:23], v[22:23], v[60:61]
	v_add_f64 v[40:41], v[58:59], v[62:63]
	s_waitcnt vmcnt(8)
	v_mul_f64 v[58:59], v[237:238], v[26:27]
	v_mul_f64 v[26:27], v[239:240], v[26:27]
	s_delay_alu instid0(VALU_DEP_4) | instskip(NEXT) | instid1(VALU_DEP_4)
	v_add_f64 v[22:23], v[22:23], v[56:57]
	v_add_f64 v[40:41], v[40:41], v[38:39]
	s_delay_alu instid0(VALU_DEP_4) | instskip(NEXT) | instid1(VALU_DEP_4)
	v_fma_f64 v[58:59], v[239:240], v[24:25], v[58:59]
	v_fma_f64 v[26:27], v[237:238], v[24:25], -v[26:27]
	ds_load_b128 v[237:240], v1 offset:1376
	s_waitcnt lgkmcnt(1)
	v_mul_f64 v[36:37], v[6:7], v[34:35]
	v_mul_f64 v[34:35], v[8:9], v[34:35]
	s_delay_alu instid0(VALU_DEP_2) | instskip(NEXT) | instid1(VALU_DEP_2)
	v_fma_f64 v[60:61], v[8:9], v[32:33], v[36:37]
	v_fma_f64 v[62:63], v[6:7], v[32:33], -v[34:35]
	scratch_load_b128 v[32:35], off, off offset:464
	ds_load_b128 v[6:9], v1 offset:1328
	ds_load_b128 v[36:39], v1 offset:1344
	s_waitcnt vmcnt(8) lgkmcnt(1)
	v_mul_f64 v[56:57], v[6:7], v[30:31]
	v_mul_f64 v[30:31], v[8:9], v[30:31]
	v_add_f64 v[60:61], v[22:23], v[60:61]
	v_add_f64 v[40:41], v[40:41], v[62:63]
	s_waitcnt vmcnt(7) lgkmcnt(0)
	v_mul_f64 v[62:63], v[36:37], v[44:45]
	v_mul_f64 v[44:45], v[38:39], v[44:45]
	scratch_load_b128 v[22:25], off, off offset:480
	v_fma_f64 v[56:57], v[8:9], v[28:29], v[56:57]
	v_fma_f64 v[30:31], v[6:7], v[28:29], -v[30:31]
	ds_load_b128 v[6:9], v1 offset:1360
	v_add_f64 v[58:59], v[60:61], v[58:59]
	v_add_f64 v[40:41], v[40:41], v[26:27]
	v_fma_f64 v[62:63], v[38:39], v[42:43], v[62:63]
	v_fma_f64 v[42:43], v[36:37], v[42:43], -v[44:45]
	s_waitcnt vmcnt(7)
	v_mul_f64 v[44:45], v[237:238], v[189:190]
	s_clause 0x1
	scratch_load_b128 v[26:29], off, off offset:496
	scratch_load_b128 v[36:39], off, off offset:512
	v_add_f64 v[30:31], v[40:41], v[30:31]
	v_add_f64 v[40:41], v[58:59], v[56:57]
	v_mul_f64 v[56:57], v[239:240], v[189:190]
	v_fma_f64 v[44:45], v[239:240], v[187:188], v[44:45]
	s_delay_alu instid0(VALU_DEP_4) | instskip(NEXT) | instid1(VALU_DEP_4)
	v_add_f64 v[30:31], v[30:31], v[42:43]
	v_add_f64 v[62:63], v[40:41], v[62:63]
	ds_load_b128 v[40:43], v1 offset:1408
	s_waitcnt vmcnt(8) lgkmcnt(1)
	v_mul_f64 v[60:61], v[6:7], v[20:21]
	v_mul_f64 v[20:21], v[8:9], v[20:21]
	v_fma_f64 v[56:57], v[237:238], v[187:188], -v[56:57]
	scratch_load_b128 v[187:190], off, off offset:544
	ds_load_b128 v[237:240], v1 offset:1440
	v_fma_f64 v[58:59], v[8:9], v[18:19], v[60:61]
	v_fma_f64 v[60:61], v[6:7], v[18:19], -v[20:21]
	ds_load_b128 v[6:9], v1 offset:1392
	scratch_load_b128 v[18:21], off, off offset:528
	s_waitcnt vmcnt(8) lgkmcnt(0)
	v_mul_f64 v[64:65], v[6:7], v[12:13]
	v_mul_f64 v[12:13], v[8:9], v[12:13]
	v_add_f64 v[58:59], v[62:63], v[58:59]
	v_add_f64 v[30:31], v[30:31], v[60:61]
	v_mul_f64 v[60:61], v[40:41], v[54:55]
	v_mul_f64 v[54:55], v[42:43], v[54:55]
	v_fma_f64 v[62:63], v[8:9], v[10:11], v[64:65]
	v_fma_f64 v[64:65], v[6:7], v[10:11], -v[12:13]
	ds_load_b128 v[6:9], v1 offset:1424
	scratch_load_b128 v[10:13], off, off offset:560
	v_add_f64 v[44:45], v[58:59], v[44:45]
	v_add_f64 v[30:31], v[30:31], v[56:57]
	v_fma_f64 v[58:59], v[42:43], v[52:53], v[60:61]
	v_fma_f64 v[52:53], v[40:41], v[52:53], -v[54:55]
	s_waitcnt vmcnt(7)
	v_mul_f64 v[60:61], v[237:238], v[16:17]
	v_mul_f64 v[16:17], v[239:240], v[16:17]
	scratch_load_b128 v[40:43], off, off offset:576
	v_add_f64 v[44:45], v[44:45], v[62:63]
	v_add_f64 v[30:31], v[30:31], v[64:65]
	v_fma_f64 v[60:61], v[239:240], v[14:15], v[60:61]
	v_fma_f64 v[64:65], v[237:238], v[14:15], -v[16:17]
	scratch_load_b128 v[14:17], off, off offset:608
	ds_load_b128 v[237:240], v1 offset:1504
	v_add_f64 v[58:59], v[44:45], v[58:59]
	v_add_f64 v[30:31], v[30:31], v[52:53]
	ds_load_b128 v[52:55], v1 offset:1472
	s_waitcnt lgkmcnt(2)
	v_mul_f64 v[56:57], v[6:7], v[48:49]
	v_mul_f64 v[48:49], v[8:9], v[48:49]
	s_delay_alu instid0(VALU_DEP_2) | instskip(NEXT) | instid1(VALU_DEP_2)
	v_fma_f64 v[56:57], v[8:9], v[46:47], v[56:57]
	v_fma_f64 v[48:49], v[6:7], v[46:47], -v[48:49]
	ds_load_b128 v[6:9], v1 offset:1456
	scratch_load_b128 v[44:47], off, off offset:592
	s_waitcnt vmcnt(9) lgkmcnt(0)
	v_mul_f64 v[62:63], v[6:7], v[34:35]
	v_mul_f64 v[34:35], v[8:9], v[34:35]
	v_add_f64 v[30:31], v[30:31], v[48:49]
	v_add_f64 v[48:49], v[58:59], v[56:57]
	s_waitcnt vmcnt(8)
	v_mul_f64 v[56:57], v[52:53], v[24:25]
	v_mul_f64 v[24:25], v[54:55], v[24:25]
	v_fma_f64 v[58:59], v[8:9], v[32:33], v[62:63]
	v_fma_f64 v[34:35], v[6:7], v[32:33], -v[34:35]
	ds_load_b128 v[6:9], v1 offset:1488
	v_add_f64 v[62:63], v[30:31], v[64:65]
	v_add_f64 v[48:49], v[48:49], v[60:61]
	v_fma_f64 v[54:55], v[54:55], v[22:23], v[56:57]
	v_fma_f64 v[52:53], v[52:53], v[22:23], -v[24:25]
	scratch_load_b128 v[30:33], off, off offset:624
	s_waitcnt vmcnt(7)
	v_mul_f64 v[56:57], v[237:238], v[38:39]
	v_mul_f64 v[38:39], v[239:240], v[38:39]
	scratch_load_b128 v[22:25], off, off offset:640
	v_add_f64 v[34:35], v[62:63], v[34:35]
	v_add_f64 v[48:49], v[48:49], v[58:59]
	v_fma_f64 v[56:57], v[239:240], v[36:37], v[56:57]
	v_fma_f64 v[38:39], v[237:238], v[36:37], -v[38:39]
	ds_load_b128 v[237:240], v1 offset:1568
	v_add_f64 v[34:35], v[34:35], v[52:53]
	v_add_f64 v[48:49], v[48:49], v[54:55]
	ds_load_b128 v[52:55], v1 offset:1536
	s_waitcnt lgkmcnt(2)
	v_mul_f64 v[60:61], v[6:7], v[28:29]
	v_mul_f64 v[28:29], v[8:9], v[28:29]
	s_waitcnt vmcnt(7) lgkmcnt(0)
	v_mul_f64 v[64:65], v[54:55], v[189:190]
	s_delay_alu instid0(VALU_DEP_3) | instskip(NEXT) | instid1(VALU_DEP_3)
	v_fma_f64 v[58:59], v[8:9], v[26:27], v[60:61]
	v_fma_f64 v[60:61], v[6:7], v[26:27], -v[28:29]
	scratch_load_b128 v[26:29], off, off offset:656
	ds_load_b128 v[6:9], v1 offset:1520
	s_waitcnt vmcnt(7) lgkmcnt(0)
	v_mul_f64 v[62:63], v[6:7], v[20:21]
	v_mul_f64 v[20:21], v[8:9], v[20:21]
	v_add_f64 v[48:49], v[48:49], v[58:59]
	v_add_f64 v[60:61], v[34:35], v[60:61]
	v_mul_f64 v[58:59], v[52:53], v[189:190]
	scratch_load_b128 v[34:37], off, off offset:672
	v_fma_f64 v[62:63], v[8:9], v[18:19], v[62:63]
	v_fma_f64 v[66:67], v[6:7], v[18:19], -v[20:21]
	scratch_load_b128 v[18:21], off, off offset:688
	ds_load_b128 v[6:9], v1 offset:1552
	v_add_f64 v[48:49], v[48:49], v[56:57]
	v_add_f64 v[38:39], v[60:61], v[38:39]
	v_fma_f64 v[58:59], v[54:55], v[187:188], v[58:59]
	v_fma_f64 v[60:61], v[52:53], v[187:188], -v[64:65]
	ds_load_b128 v[187:190], v1 offset:1600
	scratch_load_b128 v[52:55], off, off offset:704
	s_waitcnt vmcnt(9) lgkmcnt(1)
	v_mul_f64 v[56:57], v[6:7], v[12:13]
	v_mul_f64 v[12:13], v[8:9], v[12:13]
	v_add_f64 v[48:49], v[48:49], v[62:63]
	v_add_f64 v[38:39], v[38:39], v[66:67]
	s_waitcnt vmcnt(8)
	v_mul_f64 v[62:63], v[237:238], v[42:43]
	v_mul_f64 v[42:43], v[239:240], v[42:43]
	v_fma_f64 v[56:57], v[8:9], v[10:11], v[56:57]
	v_fma_f64 v[64:65], v[6:7], v[10:11], -v[12:13]
	scratch_load_b128 v[10:13], off, off offset:720
	ds_load_b128 v[6:9], v1 offset:1584
	v_add_f64 v[48:49], v[48:49], v[58:59]
	v_add_f64 v[38:39], v[38:39], v[60:61]
	v_fma_f64 v[60:61], v[239:240], v[40:41], v[62:63]
	v_fma_f64 v[42:43], v[237:238], v[40:41], -v[42:43]
	s_delay_alu instid0(VALU_DEP_4)
	v_add_f64 v[48:49], v[48:49], v[56:57]
	s_waitcnt vmcnt(8) lgkmcnt(1)
	v_mul_f64 v[56:57], v[187:188], v[16:17]
	v_mul_f64 v[16:17], v[189:190], v[16:17]
	v_add_f64 v[62:63], v[38:39], v[64:65]
	scratch_load_b128 v[38:41], off, off offset:736
	v_add_f64 v[60:61], v[48:49], v[60:61]
	v_fma_f64 v[56:57], v[189:190], v[14:15], v[56:57]
	v_fma_f64 v[68:69], v[187:188], v[14:15], -v[16:17]
	ds_load_b128 v[187:190], v1 offset:1664
	s_waitcnt vmcnt(8) lgkmcnt(1)
	v_mul_f64 v[58:59], v[6:7], v[46:47]
	v_mul_f64 v[46:47], v[8:9], v[46:47]
	v_add_f64 v[62:63], v[62:63], v[42:43]
	scratch_load_b128 v[14:17], off, off offset:768
	v_fma_f64 v[58:59], v[8:9], v[44:45], v[58:59]
	v_fma_f64 v[64:65], v[6:7], v[44:45], -v[46:47]
	ds_load_b128 v[6:9], v1 offset:1616
	ds_load_b128 v[46:49], v1 offset:1632
	scratch_load_b128 v[42:45], off, off offset:752
	s_waitcnt vmcnt(9) lgkmcnt(1)
	v_mul_f64 v[66:67], v[6:7], v[32:33]
	v_mul_f64 v[32:33], v[8:9], v[32:33]
	v_add_f64 v[58:59], v[60:61], v[58:59]
	v_add_f64 v[62:63], v[62:63], v[64:65]
	s_waitcnt vmcnt(8) lgkmcnt(0)
	v_mul_f64 v[60:61], v[46:47], v[24:25]
	v_mul_f64 v[24:25], v[48:49], v[24:25]
	v_fma_f64 v[64:65], v[8:9], v[30:31], v[66:67]
	v_fma_f64 v[66:67], v[6:7], v[30:31], -v[32:33]
	ds_load_b128 v[6:9], v1 offset:1648
	scratch_load_b128 v[30:33], off, off offset:784
	v_add_f64 v[56:57], v[58:59], v[56:57]
	v_add_f64 v[62:63], v[62:63], v[68:69]
	v_fma_f64 v[48:49], v[48:49], v[22:23], v[60:61]
	v_fma_f64 v[46:47], v[46:47], v[22:23], -v[24:25]
	scratch_load_b128 v[22:25], off, off offset:800
	v_add_f64 v[56:57], v[56:57], v[64:65]
	v_add_f64 v[60:61], v[62:63], v[66:67]
	s_waitcnt vmcnt(8)
	v_mul_f64 v[62:63], v[187:188], v[36:37]
	v_mul_f64 v[36:37], v[189:190], v[36:37]
	s_delay_alu instid0(VALU_DEP_4) | instskip(NEXT) | instid1(VALU_DEP_4)
	v_add_f64 v[56:57], v[56:57], v[48:49]
	v_add_f64 v[60:61], v[60:61], v[46:47]
	ds_load_b128 v[46:49], v1 offset:1696
	s_waitcnt lgkmcnt(1)
	v_mul_f64 v[58:59], v[6:7], v[28:29]
	v_mul_f64 v[28:29], v[8:9], v[28:29]
	v_fma_f64 v[62:63], v[189:190], v[34:35], v[62:63]
	v_fma_f64 v[68:69], v[187:188], v[34:35], -v[36:37]
	ds_load_b128 v[187:190], v1 offset:1728
	scratch_load_b128 v[34:37], off, off offset:832
	v_fma_f64 v[58:59], v[8:9], v[26:27], v[58:59]
	v_fma_f64 v[64:65], v[6:7], v[26:27], -v[28:29]
	ds_load_b128 v[6:9], v1 offset:1680
	scratch_load_b128 v[26:29], off, off offset:816
	s_waitcnt vmcnt(9) lgkmcnt(0)
	v_mul_f64 v[66:67], v[6:7], v[20:21]
	v_mul_f64 v[20:21], v[8:9], v[20:21]
	v_add_f64 v[56:57], v[56:57], v[58:59]
	v_add_f64 v[60:61], v[60:61], v[64:65]
	s_waitcnt vmcnt(8)
	v_mul_f64 v[58:59], v[46:47], v[54:55]
	v_mul_f64 v[54:55], v[48:49], v[54:55]
	v_fma_f64 v[64:65], v[8:9], v[18:19], v[66:67]
	v_fma_f64 v[66:67], v[6:7], v[18:19], -v[20:21]
	ds_load_b128 v[6:9], v1 offset:1712
	scratch_load_b128 v[18:21], off, off offset:848
	v_add_f64 v[56:57], v[56:57], v[62:63]
	v_add_f64 v[60:61], v[60:61], v[68:69]
	v_fma_f64 v[58:59], v[48:49], v[52:53], v[58:59]
	v_fma_f64 v[52:53], v[46:47], v[52:53], -v[54:55]
	scratch_load_b128 v[46:49], off, off offset:864
	v_add_f64 v[56:57], v[56:57], v[64:65]
	v_add_f64 v[54:55], v[60:61], v[66:67]
	s_waitcnt vmcnt(8)
	v_mul_f64 v[60:61], v[187:188], v[40:41]
	v_mul_f64 v[40:41], v[189:190], v[40:41]
	s_delay_alu instid0(VALU_DEP_4) | instskip(NEXT) | instid1(VALU_DEP_4)
	v_add_f64 v[56:57], v[56:57], v[58:59]
	v_add_f64 v[66:67], v[54:55], v[52:53]
	ds_load_b128 v[52:55], v1 offset:1760
	s_waitcnt lgkmcnt(1)
	v_mul_f64 v[62:63], v[6:7], v[12:13]
	v_mul_f64 v[12:13], v[8:9], v[12:13]
	v_fma_f64 v[60:61], v[189:190], v[38:39], v[60:61]
	v_fma_f64 v[68:69], v[187:188], v[38:39], -v[40:41]
	ds_load_b128 v[187:190], v1 offset:1792
	scratch_load_b128 v[38:41], off, off offset:896
	v_fma_f64 v[62:63], v[8:9], v[10:11], v[62:63]
	v_fma_f64 v[64:65], v[6:7], v[10:11], -v[12:13]
	ds_load_b128 v[6:9], v1 offset:1744
	scratch_load_b128 v[10:13], off, off offset:880
	s_waitcnt vmcnt(8) lgkmcnt(0)
	v_mul_f64 v[58:59], v[6:7], v[44:45]
	v_mul_f64 v[44:45], v[8:9], v[44:45]
	v_add_f64 v[56:57], v[56:57], v[62:63]
	v_add_f64 v[64:65], v[66:67], v[64:65]
	v_mul_f64 v[62:63], v[52:53], v[16:17]
	v_mul_f64 v[16:17], v[54:55], v[16:17]
	v_fma_f64 v[58:59], v[8:9], v[42:43], v[58:59]
	v_fma_f64 v[66:67], v[6:7], v[42:43], -v[44:45]
	ds_load_b128 v[6:9], v1 offset:1776
	scratch_load_b128 v[42:45], off, off offset:912
	v_add_f64 v[56:57], v[56:57], v[60:61]
	v_add_f64 v[64:65], v[64:65], v[68:69]
	v_fma_f64 v[54:55], v[54:55], v[14:15], v[62:63]
	v_fma_f64 v[52:53], v[52:53], v[14:15], -v[16:17]
	scratch_load_b128 v[14:17], off, off offset:928
	v_add_f64 v[56:57], v[56:57], v[58:59]
	v_add_f64 v[62:63], v[64:65], v[66:67]
	s_waitcnt vmcnt(8)
	v_mul_f64 v[58:59], v[187:188], v[24:25]
	v_mul_f64 v[24:25], v[189:190], v[24:25]
	s_delay_alu instid0(VALU_DEP_4) | instskip(NEXT) | instid1(VALU_DEP_4)
	v_add_f64 v[56:57], v[56:57], v[54:55]
	v_add_f64 v[62:63], v[62:63], v[52:53]
	ds_load_b128 v[52:55], v1 offset:1824
	s_waitcnt lgkmcnt(1)
	v_mul_f64 v[60:61], v[6:7], v[32:33]
	v_mul_f64 v[32:33], v[8:9], v[32:33]
	v_fma_f64 v[58:59], v[189:190], v[22:23], v[58:59]
	v_fma_f64 v[68:69], v[187:188], v[22:23], -v[24:25]
	ds_load_b128 v[187:190], v1 offset:1856
	scratch_load_b128 v[22:25], off, off offset:960
	v_fma_f64 v[60:61], v[8:9], v[30:31], v[60:61]
	v_fma_f64 v[64:65], v[6:7], v[30:31], -v[32:33]
	ds_load_b128 v[6:9], v1 offset:1808
	scratch_load_b128 v[30:33], off, off offset:944
	s_waitcnt vmcnt(8) lgkmcnt(0)
	v_mul_f64 v[66:67], v[6:7], v[28:29]
	v_mul_f64 v[28:29], v[8:9], v[28:29]
	v_add_f64 v[56:57], v[56:57], v[60:61]
	v_add_f64 v[62:63], v[62:63], v[64:65]
	v_mul_f64 v[60:61], v[52:53], v[36:37]
	v_mul_f64 v[36:37], v[54:55], v[36:37]
	v_fma_f64 v[64:65], v[8:9], v[26:27], v[66:67]
	v_fma_f64 v[66:67], v[6:7], v[26:27], -v[28:29]
	ds_load_b128 v[6:9], v1 offset:1840
	scratch_load_b128 v[26:29], off, off offset:976
	v_add_f64 v[56:57], v[56:57], v[58:59]
	v_add_f64 v[62:63], v[62:63], v[68:69]
	v_fma_f64 v[54:55], v[54:55], v[34:35], v[60:61]
	v_fma_f64 v[34:35], v[52:53], v[34:35], -v[36:37]
	s_waitcnt vmcnt(8) lgkmcnt(0)
	v_mul_f64 v[58:59], v[6:7], v[20:21]
	v_mul_f64 v[20:21], v[8:9], v[20:21]
	v_add_f64 v[52:53], v[56:57], v[64:65]
	v_add_f64 v[36:37], v[62:63], v[66:67]
	s_waitcnt vmcnt(7)
	v_mul_f64 v[56:57], v[187:188], v[48:49]
	v_mul_f64 v[48:49], v[189:190], v[48:49]
	v_fma_f64 v[58:59], v[8:9], v[18:19], v[58:59]
	v_fma_f64 v[60:61], v[6:7], v[18:19], -v[20:21]
	ds_load_b128 v[6:9], v1 offset:1872
	ds_load_b128 v[18:21], v1 offset:1888
	v_add_f64 v[34:35], v[36:37], v[34:35]
	v_add_f64 v[36:37], v[52:53], v[54:55]
	s_waitcnt vmcnt(5) lgkmcnt(1)
	v_mul_f64 v[52:53], v[6:7], v[12:13]
	v_mul_f64 v[12:13], v[8:9], v[12:13]
	v_fma_f64 v[54:55], v[189:190], v[46:47], v[56:57]
	v_fma_f64 v[46:47], v[187:188], v[46:47], -v[48:49]
	s_waitcnt lgkmcnt(0)
	v_mul_f64 v[48:49], v[18:19], v[40:41]
	v_mul_f64 v[40:41], v[20:21], v[40:41]
	v_add_f64 v[34:35], v[34:35], v[60:61]
	v_add_f64 v[36:37], v[36:37], v[58:59]
	v_fma_f64 v[52:53], v[8:9], v[10:11], v[52:53]
	v_fma_f64 v[56:57], v[6:7], v[10:11], -v[12:13]
	ds_load_b128 v[6:9], v1 offset:1904
	ds_load_b128 v[10:13], v1 offset:1920
	v_fma_f64 v[20:21], v[20:21], v[38:39], v[48:49]
	v_fma_f64 v[18:19], v[18:19], v[38:39], -v[40:41]
	s_waitcnt vmcnt(3) lgkmcnt(0)
	v_mul_f64 v[38:39], v[10:11], v[16:17]
	v_mul_f64 v[40:41], v[12:13], v[16:17]
	v_add_f64 v[34:35], v[34:35], v[46:47]
	v_add_f64 v[36:37], v[36:37], v[54:55]
	v_mul_f64 v[46:47], v[6:7], v[44:45]
	v_mul_f64 v[44:45], v[8:9], v[44:45]
	v_fma_f64 v[12:13], v[12:13], v[14:15], v[38:39]
	v_fma_f64 v[10:11], v[10:11], v[14:15], -v[40:41]
	v_add_f64 v[34:35], v[34:35], v[56:57]
	v_add_f64 v[36:37], v[36:37], v[52:53]
	v_fma_f64 v[46:47], v[8:9], v[42:43], v[46:47]
	v_fma_f64 v[42:43], v[6:7], v[42:43], -v[44:45]
	s_delay_alu instid0(VALU_DEP_4) | instskip(NEXT) | instid1(VALU_DEP_4)
	v_add_f64 v[34:35], v[34:35], v[18:19]
	v_add_f64 v[20:21], v[36:37], v[20:21]
	ds_load_b128 v[6:9], v1 offset:1936
	ds_load_b128 v[16:19], v1 offset:1952
	s_waitcnt vmcnt(1) lgkmcnt(1)
	v_mul_f64 v[36:37], v[6:7], v[32:33]
	v_mul_f64 v[32:33], v[8:9], v[32:33]
	v_add_f64 v[14:15], v[34:35], v[42:43]
	v_add_f64 v[20:21], v[20:21], v[46:47]
	s_waitcnt lgkmcnt(0)
	v_mul_f64 v[34:35], v[16:17], v[24:25]
	v_mul_f64 v[24:25], v[18:19], v[24:25]
	v_fma_f64 v[36:37], v[8:9], v[30:31], v[36:37]
	v_fma_f64 v[30:31], v[6:7], v[30:31], -v[32:33]
	ds_load_b128 v[6:9], v1 offset:1968
	v_add_f64 v[10:11], v[14:15], v[10:11]
	v_add_f64 v[12:13], v[20:21], v[12:13]
	v_fma_f64 v[18:19], v[18:19], v[22:23], v[34:35]
	v_fma_f64 v[16:17], v[16:17], v[22:23], -v[24:25]
	s_waitcnt vmcnt(0) lgkmcnt(0)
	v_mul_f64 v[14:15], v[6:7], v[28:29]
	v_mul_f64 v[20:21], v[8:9], v[28:29]
	v_add_f64 v[10:11], v[10:11], v[30:31]
	v_add_f64 v[12:13], v[12:13], v[36:37]
	s_delay_alu instid0(VALU_DEP_4) | instskip(NEXT) | instid1(VALU_DEP_4)
	v_fma_f64 v[8:9], v[8:9], v[26:27], v[14:15]
	v_fma_f64 v[6:7], v[6:7], v[26:27], -v[20:21]
	s_delay_alu instid0(VALU_DEP_4) | instskip(NEXT) | instid1(VALU_DEP_4)
	v_add_f64 v[10:11], v[10:11], v[16:17]
	v_add_f64 v[12:13], v[12:13], v[18:19]
	s_delay_alu instid0(VALU_DEP_2) | instskip(NEXT) | instid1(VALU_DEP_2)
	v_add_f64 v[6:7], v[10:11], v[6:7]
	v_add_f64 v[8:9], v[12:13], v[8:9]
	s_delay_alu instid0(VALU_DEP_2) | instskip(NEXT) | instid1(VALU_DEP_2)
	v_add_f64 v[2:3], v[2:3], -v[6:7]
	v_add_f64 v[4:5], v[4:5], -v[8:9]
	scratch_store_b128 off, v[2:5], off offset:96
	v_cmpx_lt_u32_e32 5, v174
	s_cbranch_execz .LBB61_387
; %bb.386:
	scratch_load_b32 v2, off, off offset:1184 ; 4-byte Folded Reload
	v_mov_b32_e32 v3, v1
	v_mov_b32_e32 v4, v1
	s_waitcnt vmcnt(0)
	scratch_load_b128 v[5:8], v2, off
	v_mov_b32_e32 v2, v1
	scratch_store_b128 off, v[1:4], off offset:80
	s_waitcnt vmcnt(0)
	ds_store_b128 v236, v[5:8]
.LBB61_387:
	s_or_b32 exec_lo, exec_lo, s2
	s_waitcnt lgkmcnt(0)
	s_waitcnt_vscnt null, 0x0
	s_barrier
	buffer_gl0_inv
	s_clause 0x8
	scratch_load_b128 v[34:37], off, off offset:96
	scratch_load_b128 v[38:41], off, off offset:112
	;; [unrolled: 1-line block ×9, first 2 shown]
	ds_load_b128 v[46:49], v1 offset:1088
	ds_load_b128 v[42:45], v1 offset:1104
	s_clause 0x1
	scratch_load_b128 v[2:5], off, off offset:80
	scratch_load_b128 v[52:55], off, off offset:240
	s_mov_b32 s2, exec_lo
	ds_load_b128 v[187:190], v1 offset:1136
	ds_load_b128 v[237:240], v1 offset:1264
	s_waitcnt vmcnt(10) lgkmcnt(3)
	v_mul_f64 v[56:57], v[48:49], v[36:37]
	v_mul_f64 v[36:37], v[46:47], v[36:37]
	s_waitcnt vmcnt(9) lgkmcnt(2)
	v_mul_f64 v[58:59], v[42:43], v[40:41]
	v_mul_f64 v[40:41], v[44:45], v[40:41]
	s_waitcnt vmcnt(7) lgkmcnt(1)
	v_mul_f64 v[64:65], v[189:190], v[28:29]
	v_fma_f64 v[56:57], v[46:47], v[34:35], -v[56:57]
	v_fma_f64 v[60:61], v[48:49], v[34:35], v[36:37]
	ds_load_b128 v[34:37], v1 offset:1120
	scratch_load_b128 v[46:49], off, off offset:256
	v_fma_f64 v[44:45], v[44:45], v[38:39], v[58:59]
	v_fma_f64 v[42:43], v[42:43], v[38:39], -v[40:41]
	scratch_load_b128 v[38:41], off, off offset:272
	v_fma_f64 v[64:65], v[187:188], v[26:27], -v[64:65]
	s_waitcnt lgkmcnt(0)
	v_mul_f64 v[62:63], v[34:35], v[32:33]
	v_mul_f64 v[32:33], v[36:37], v[32:33]
	v_add_f64 v[56:57], v[56:57], 0
	v_add_f64 v[58:59], v[60:61], 0
	v_mul_f64 v[60:61], v[187:188], v[28:29]
	v_fma_f64 v[36:37], v[36:37], v[30:31], v[62:63]
	v_fma_f64 v[62:63], v[34:35], v[30:31], -v[32:33]
	ds_load_b128 v[28:31], v1 offset:1152
	scratch_load_b128 v[32:35], off, off offset:288
	v_add_f64 v[56:57], v[56:57], v[42:43]
	v_add_f64 v[58:59], v[58:59], v[44:45]
	ds_load_b128 v[42:45], v1 offset:1168
	v_fma_f64 v[60:61], v[189:190], v[26:27], v[60:61]
	ds_load_b128 v[187:190], v1 offset:1200
	s_waitcnt vmcnt(9) lgkmcnt(2)
	v_mul_f64 v[66:67], v[28:29], v[24:25]
	v_mul_f64 v[68:69], v[30:31], v[24:25]
	scratch_load_b128 v[24:27], off, off offset:304
	v_add_f64 v[56:57], v[56:57], v[62:63]
	v_add_f64 v[36:37], v[58:59], v[36:37]
	s_waitcnt vmcnt(9) lgkmcnt(1)
	v_mul_f64 v[58:59], v[42:43], v[20:21]
	v_mul_f64 v[62:63], v[44:45], v[20:21]
	v_fma_f64 v[66:67], v[30:31], v[22:23], v[66:67]
	v_fma_f64 v[68:69], v[28:29], v[22:23], -v[68:69]
	ds_load_b128 v[20:23], v1 offset:1184
	scratch_load_b128 v[28:31], off, off offset:320
	v_add_f64 v[56:57], v[56:57], v[64:65]
	v_add_f64 v[36:37], v[36:37], v[60:61]
	s_waitcnt vmcnt(9) lgkmcnt(0)
	v_mul_f64 v[60:61], v[20:21], v[16:17]
	v_mul_f64 v[64:65], v[22:23], v[16:17]
	v_fma_f64 v[44:45], v[44:45], v[18:19], v[58:59]
	v_fma_f64 v[42:43], v[42:43], v[18:19], -v[62:63]
	scratch_load_b128 v[16:19], off, off offset:336
	s_waitcnt vmcnt(9)
	v_mul_f64 v[58:59], v[187:188], v[12:13]
	v_mul_f64 v[62:63], v[189:190], v[12:13]
	v_add_f64 v[56:57], v[56:57], v[68:69]
	v_add_f64 v[36:37], v[36:37], v[66:67]
	v_fma_f64 v[60:61], v[22:23], v[14:15], v[60:61]
	v_fma_f64 v[64:65], v[20:21], v[14:15], -v[64:65]
	ds_load_b128 v[12:15], v1 offset:1216
	scratch_load_b128 v[20:23], off, off offset:352
	v_fma_f64 v[58:59], v[189:190], v[10:11], v[58:59]
	v_fma_f64 v[62:63], v[187:188], v[10:11], -v[62:63]
	scratch_load_b128 v[187:190], off, off offset:384
	v_add_f64 v[56:57], v[56:57], v[42:43]
	v_add_f64 v[36:37], v[36:37], v[44:45]
	ds_load_b128 v[42:45], v1 offset:1232
	s_waitcnt vmcnt(10) lgkmcnt(1)
	v_mul_f64 v[66:67], v[12:13], v[8:9]
	v_mul_f64 v[68:69], v[14:15], v[8:9]
	scratch_load_b128 v[8:11], off, off offset:368
	v_add_f64 v[56:57], v[56:57], v[64:65]
	v_add_f64 v[36:37], v[36:37], v[60:61]
	s_waitcnt vmcnt(9) lgkmcnt(0)
	v_mul_f64 v[60:61], v[42:43], v[54:55]
	v_mul_f64 v[54:55], v[44:45], v[54:55]
	v_fma_f64 v[64:65], v[14:15], v[6:7], v[66:67]
	v_fma_f64 v[6:7], v[12:13], v[6:7], -v[68:69]
	ds_load_b128 v[12:15], v1 offset:1248
	v_add_f64 v[56:57], v[56:57], v[62:63]
	v_add_f64 v[36:37], v[36:37], v[58:59]
	v_fma_f64 v[60:61], v[44:45], v[52:53], v[60:61]
	v_fma_f64 v[52:53], v[42:43], v[52:53], -v[54:55]
	scratch_load_b128 v[42:45], off, off offset:400
	s_waitcnt vmcnt(9) lgkmcnt(0)
	v_mul_f64 v[58:59], v[12:13], v[48:49]
	v_mul_f64 v[48:49], v[14:15], v[48:49]
	v_add_f64 v[6:7], v[56:57], v[6:7]
	v_add_f64 v[36:37], v[36:37], v[64:65]
	s_waitcnt vmcnt(8)
	v_mul_f64 v[56:57], v[237:238], v[40:41]
	v_mul_f64 v[40:41], v[239:240], v[40:41]
	v_fma_f64 v[58:59], v[14:15], v[46:47], v[58:59]
	v_fma_f64 v[62:63], v[12:13], v[46:47], -v[48:49]
	ds_load_b128 v[12:15], v1 offset:1280
	scratch_load_b128 v[46:49], off, off offset:416
	v_add_f64 v[6:7], v[6:7], v[52:53]
	v_add_f64 v[36:37], v[36:37], v[60:61]
	ds_load_b128 v[52:55], v1 offset:1296
	s_waitcnt vmcnt(8) lgkmcnt(1)
	v_mul_f64 v[60:61], v[12:13], v[34:35]
	v_mul_f64 v[64:65], v[14:15], v[34:35]
	v_fma_f64 v[56:57], v[239:240], v[38:39], v[56:57]
	v_fma_f64 v[38:39], v[237:238], v[38:39], -v[40:41]
	ds_load_b128 v[237:240], v1 offset:1328
	v_add_f64 v[6:7], v[6:7], v[62:63]
	v_add_f64 v[40:41], v[36:37], v[58:59]
	scratch_load_b128 v[34:37], off, off offset:432
	s_waitcnt vmcnt(8) lgkmcnt(1)
	v_mul_f64 v[58:59], v[52:53], v[26:27]
	v_mul_f64 v[26:27], v[54:55], v[26:27]
	v_fma_f64 v[60:61], v[14:15], v[32:33], v[60:61]
	v_fma_f64 v[32:33], v[12:13], v[32:33], -v[64:65]
	ds_load_b128 v[12:15], v1 offset:1312
	s_waitcnt vmcnt(7) lgkmcnt(0)
	v_mul_f64 v[62:63], v[12:13], v[30:31]
	v_mul_f64 v[30:31], v[14:15], v[30:31]
	v_add_f64 v[6:7], v[6:7], v[38:39]
	v_add_f64 v[56:57], v[40:41], v[56:57]
	scratch_load_b128 v[38:41], off, off offset:448
	v_fma_f64 v[54:55], v[54:55], v[24:25], v[58:59]
	v_fma_f64 v[52:53], v[52:53], v[24:25], -v[26:27]
	scratch_load_b128 v[24:27], off, off offset:464
	v_fma_f64 v[58:59], v[14:15], v[28:29], v[62:63]
	v_add_f64 v[6:7], v[6:7], v[32:33]
	v_add_f64 v[32:33], v[56:57], v[60:61]
	s_waitcnt vmcnt(8)
	v_mul_f64 v[56:57], v[237:238], v[18:19]
	v_mul_f64 v[18:19], v[239:240], v[18:19]
	v_fma_f64 v[60:61], v[12:13], v[28:29], -v[30:31]
	ds_load_b128 v[12:15], v1 offset:1344
	scratch_load_b128 v[28:31], off, off offset:480
	v_add_f64 v[6:7], v[6:7], v[52:53]
	v_add_f64 v[32:33], v[32:33], v[54:55]
	ds_load_b128 v[52:55], v1 offset:1360
	s_waitcnt vmcnt(8) lgkmcnt(1)
	v_mul_f64 v[62:63], v[12:13], v[22:23]
	v_mul_f64 v[22:23], v[14:15], v[22:23]
	v_fma_f64 v[56:57], v[239:240], v[16:17], v[56:57]
	v_fma_f64 v[64:65], v[237:238], v[16:17], -v[18:19]
	scratch_load_b128 v[16:19], off, off offset:496
	ds_load_b128 v[237:240], v1 offset:1392
	v_add_f64 v[6:7], v[6:7], v[60:61]
	v_add_f64 v[32:33], v[32:33], v[58:59]
	s_waitcnt vmcnt(7) lgkmcnt(1)
	v_mul_f64 v[58:59], v[52:53], v[10:11]
	v_mul_f64 v[60:61], v[54:55], v[10:11]
	v_fma_f64 v[14:15], v[14:15], v[20:21], v[62:63]
	v_fma_f64 v[62:63], v[12:13], v[20:21], -v[22:23]
	ds_load_b128 v[10:13], v1 offset:1376
	scratch_load_b128 v[20:23], off, off offset:512
	v_add_f64 v[6:7], v[6:7], v[64:65]
	v_add_f64 v[32:33], v[32:33], v[56:57]
	s_waitcnt lgkmcnt(0)
	v_mul_f64 v[56:57], v[10:11], v[189:190]
	v_mul_f64 v[64:65], v[12:13], v[189:190]
	v_fma_f64 v[54:55], v[54:55], v[8:9], v[58:59]
	v_fma_f64 v[52:53], v[52:53], v[8:9], -v[60:61]
	v_add_f64 v[58:59], v[6:7], v[62:63]
	scratch_load_b128 v[6:9], off, off offset:528
	v_add_f64 v[14:15], v[32:33], v[14:15]
	s_waitcnt vmcnt(8)
	v_mul_f64 v[32:33], v[237:238], v[44:45]
	v_mul_f64 v[44:45], v[239:240], v[44:45]
	v_fma_f64 v[56:57], v[12:13], v[187:188], v[56:57]
	v_fma_f64 v[60:61], v[10:11], v[187:188], -v[64:65]
	ds_load_b128 v[10:13], v1 offset:1408
	ds_load_b128 v[187:190], v1 offset:1424
	s_waitcnt vmcnt(7) lgkmcnt(1)
	v_mul_f64 v[62:63], v[10:11], v[48:49]
	v_add_f64 v[58:59], v[58:59], v[52:53]
	v_add_f64 v[14:15], v[14:15], v[54:55]
	scratch_load_b128 v[52:55], off, off offset:544
	v_mul_f64 v[48:49], v[12:13], v[48:49]
	v_fma_f64 v[32:33], v[239:240], v[42:43], v[32:33]
	v_fma_f64 v[64:65], v[237:238], v[42:43], -v[44:45]
	scratch_load_b128 v[42:45], off, off offset:560
	ds_load_b128 v[237:240], v1 offset:1456
	v_add_f64 v[58:59], v[58:59], v[60:61]
	v_add_f64 v[14:15], v[14:15], v[56:57]
	v_fma_f64 v[60:61], v[12:13], v[46:47], v[62:63]
	v_fma_f64 v[62:63], v[10:11], v[46:47], -v[48:49]
	ds_load_b128 v[10:13], v1 offset:1440
	scratch_load_b128 v[46:49], off, off offset:576
	s_waitcnt vmcnt(9) lgkmcnt(2)
	v_mul_f64 v[56:57], v[187:188], v[36:37]
	v_mul_f64 v[36:37], v[189:190], v[36:37]
	v_add_f64 v[58:59], v[58:59], v[64:65]
	v_add_f64 v[14:15], v[14:15], v[32:33]
	s_waitcnt vmcnt(8) lgkmcnt(0)
	v_mul_f64 v[64:65], v[10:11], v[40:41]
	v_mul_f64 v[40:41], v[12:13], v[40:41]
	v_fma_f64 v[56:57], v[189:190], v[34:35], v[56:57]
	v_fma_f64 v[36:37], v[187:188], v[34:35], -v[36:37]
	scratch_load_b128 v[32:35], off, off offset:592
	ds_load_b128 v[187:190], v1 offset:1488
	v_add_f64 v[58:59], v[58:59], v[62:63]
	v_add_f64 v[14:15], v[14:15], v[60:61]
	s_waitcnt vmcnt(8)
	v_mul_f64 v[60:61], v[237:238], v[26:27]
	v_mul_f64 v[26:27], v[239:240], v[26:27]
	v_fma_f64 v[62:63], v[12:13], v[38:39], v[64:65]
	v_fma_f64 v[40:41], v[10:11], v[38:39], -v[40:41]
	ds_load_b128 v[10:13], v1 offset:1472
	v_add_f64 v[58:59], v[58:59], v[36:37]
	v_add_f64 v[14:15], v[14:15], v[56:57]
	scratch_load_b128 v[36:39], off, off offset:608
	s_waitcnt vmcnt(8) lgkmcnt(0)
	v_mul_f64 v[56:57], v[10:11], v[30:31]
	v_mul_f64 v[30:31], v[12:13], v[30:31]
	v_fma_f64 v[60:61], v[239:240], v[24:25], v[60:61]
	v_fma_f64 v[64:65], v[237:238], v[24:25], -v[26:27]
	scratch_load_b128 v[24:27], off, off offset:624
	ds_load_b128 v[237:240], v1 offset:1520
	v_add_f64 v[40:41], v[58:59], v[40:41]
	v_add_f64 v[14:15], v[14:15], v[62:63]
	s_waitcnt vmcnt(8)
	v_mul_f64 v[58:59], v[187:188], v[18:19]
	v_mul_f64 v[18:19], v[189:190], v[18:19]
	v_fma_f64 v[56:57], v[12:13], v[28:29], v[56:57]
	v_fma_f64 v[62:63], v[10:11], v[28:29], -v[30:31]
	ds_load_b128 v[10:13], v1 offset:1504
	scratch_load_b128 v[28:31], off, off offset:640
	v_add_f64 v[40:41], v[40:41], v[64:65]
	v_add_f64 v[14:15], v[14:15], v[60:61]
	s_waitcnt vmcnt(8) lgkmcnt(0)
	v_mul_f64 v[60:61], v[10:11], v[22:23]
	v_mul_f64 v[22:23], v[12:13], v[22:23]
	v_fma_f64 v[58:59], v[189:190], v[16:17], v[58:59]
	v_fma_f64 v[18:19], v[187:188], v[16:17], -v[18:19]
	ds_load_b128 v[187:190], v1 offset:1552
	v_add_f64 v[40:41], v[40:41], v[62:63]
	v_add_f64 v[56:57], v[14:15], v[56:57]
	scratch_load_b128 v[14:17], off, off offset:656
	v_fma_f64 v[12:13], v[12:13], v[20:21], v[60:61]
	v_fma_f64 v[22:23], v[10:11], v[20:21], -v[22:23]
	s_waitcnt vmcnt(8)
	v_mul_f64 v[62:63], v[237:238], v[8:9]
	v_mul_f64 v[64:65], v[239:240], v[8:9]
	ds_load_b128 v[8:11], v1 offset:1536
	v_add_f64 v[40:41], v[40:41], v[18:19]
	v_add_f64 v[56:57], v[56:57], v[58:59]
	scratch_load_b128 v[18:21], off, off offset:672
	v_fma_f64 v[60:61], v[239:240], v[6:7], v[62:63]
	v_fma_f64 v[6:7], v[237:238], v[6:7], -v[64:65]
	scratch_load_b128 v[237:240], off, off offset:688
	s_waitcnt vmcnt(9) lgkmcnt(0)
	v_mul_f64 v[58:59], v[8:9], v[54:55]
	v_mul_f64 v[54:55], v[10:11], v[54:55]
	v_add_f64 v[22:23], v[40:41], v[22:23]
	v_add_f64 v[12:13], v[56:57], v[12:13]
	s_waitcnt vmcnt(8)
	v_mul_f64 v[40:41], v[187:188], v[44:45]
	v_mul_f64 v[44:45], v[189:190], v[44:45]
	v_fma_f64 v[56:57], v[10:11], v[52:53], v[58:59]
	v_fma_f64 v[58:59], v[8:9], v[52:53], -v[54:55]
	ds_load_b128 v[52:55], v1 offset:1584
	v_add_f64 v[22:23], v[22:23], v[6:7]
	v_add_f64 v[60:61], v[12:13], v[60:61]
	ds_load_b128 v[6:9], v1 offset:1568
	scratch_load_b128 v[10:13], off, off offset:704
	v_fma_f64 v[64:65], v[189:190], v[42:43], v[40:41]
	v_fma_f64 v[44:45], v[187:188], v[42:43], -v[44:45]
	scratch_load_b128 v[40:43], off, off offset:720
	ds_load_b128 v[187:190], v1 offset:1616
	s_waitcnt vmcnt(9) lgkmcnt(1)
	v_mul_f64 v[62:63], v[6:7], v[48:49]
	v_mul_f64 v[48:49], v[8:9], v[48:49]
	v_add_f64 v[22:23], v[22:23], v[58:59]
	v_add_f64 v[56:57], v[60:61], v[56:57]
	s_waitcnt vmcnt(8)
	v_mul_f64 v[58:59], v[52:53], v[34:35]
	v_mul_f64 v[34:35], v[54:55], v[34:35]
	v_fma_f64 v[60:61], v[8:9], v[46:47], v[62:63]
	v_fma_f64 v[48:49], v[6:7], v[46:47], -v[48:49]
	ds_load_b128 v[6:9], v1 offset:1600
	v_add_f64 v[22:23], v[22:23], v[44:45]
	v_add_f64 v[56:57], v[56:57], v[64:65]
	scratch_load_b128 v[44:47], off, off offset:736
	v_fma_f64 v[54:55], v[54:55], v[32:33], v[58:59]
	v_fma_f64 v[52:53], v[52:53], v[32:33], -v[34:35]
	scratch_load_b128 v[32:35], off, off offset:752
	s_waitcnt vmcnt(9) lgkmcnt(0)
	v_mul_f64 v[62:63], v[6:7], v[38:39]
	v_mul_f64 v[38:39], v[8:9], v[38:39]
	v_add_f64 v[22:23], v[22:23], v[48:49]
	v_add_f64 v[48:49], v[56:57], v[60:61]
	s_waitcnt vmcnt(8)
	v_mul_f64 v[56:57], v[187:188], v[26:27]
	v_mul_f64 v[26:27], v[189:190], v[26:27]
	v_fma_f64 v[58:59], v[8:9], v[36:37], v[62:63]
	v_fma_f64 v[60:61], v[6:7], v[36:37], -v[38:39]
	ds_load_b128 v[6:9], v1 offset:1632
	scratch_load_b128 v[36:39], off, off offset:768
	v_add_f64 v[22:23], v[22:23], v[52:53]
	v_add_f64 v[48:49], v[48:49], v[54:55]
	ds_load_b128 v[52:55], v1 offset:1648
	s_waitcnt vmcnt(8) lgkmcnt(1)
	v_mul_f64 v[62:63], v[6:7], v[30:31]
	v_mul_f64 v[30:31], v[8:9], v[30:31]
	v_fma_f64 v[56:57], v[189:190], v[24:25], v[56:57]
	v_fma_f64 v[26:27], v[187:188], v[24:25], -v[26:27]
	ds_load_b128 v[187:190], v1 offset:1680
	v_add_f64 v[60:61], v[22:23], v[60:61]
	scratch_load_b128 v[22:25], off, off offset:784
	v_add_f64 v[48:49], v[48:49], v[58:59]
	v_fma_f64 v[62:63], v[8:9], v[28:29], v[62:63]
	v_fma_f64 v[30:31], v[6:7], v[28:29], -v[30:31]
	ds_load_b128 v[6:9], v1 offset:1664
	s_waitcnt vmcnt(8) lgkmcnt(2)
	v_mul_f64 v[58:59], v[52:53], v[16:17]
	v_mul_f64 v[16:17], v[54:55], v[16:17]
	v_add_f64 v[60:61], v[60:61], v[26:27]
	scratch_load_b128 v[26:29], off, off offset:800
	v_add_f64 v[48:49], v[48:49], v[56:57]
	s_waitcnt vmcnt(8) lgkmcnt(0)
	v_mul_f64 v[56:57], v[6:7], v[20:21]
	v_mul_f64 v[20:21], v[8:9], v[20:21]
	v_fma_f64 v[54:55], v[54:55], v[14:15], v[58:59]
	v_fma_f64 v[52:53], v[52:53], v[14:15], -v[16:17]
	scratch_load_b128 v[14:17], off, off offset:816
	s_waitcnt vmcnt(8)
	v_mul_f64 v[58:59], v[187:188], v[239:240]
	v_add_f64 v[30:31], v[60:61], v[30:31]
	v_mul_f64 v[60:61], v[189:190], v[239:240]
	v_add_f64 v[48:49], v[48:49], v[62:63]
	v_fma_f64 v[56:57], v[8:9], v[18:19], v[56:57]
	v_fma_f64 v[62:63], v[6:7], v[18:19], -v[20:21]
	ds_load_b128 v[6:9], v1 offset:1696
	scratch_load_b128 v[18:21], off, off offset:832
	v_fma_f64 v[58:59], v[189:190], v[237:238], v[58:59]
	v_add_f64 v[30:31], v[30:31], v[52:53]
	v_fma_f64 v[60:61], v[187:188], v[237:238], -v[60:61]
	scratch_load_b128 v[187:190], off, off offset:848
	v_add_f64 v[48:49], v[48:49], v[54:55]
	ds_load_b128 v[52:55], v1 offset:1712
	ds_load_b128 v[237:240], v1 offset:1744
	s_waitcnt vmcnt(9) lgkmcnt(2)
	v_mul_f64 v[64:65], v[6:7], v[12:13]
	v_mul_f64 v[12:13], v[8:9], v[12:13]
	v_add_f64 v[30:31], v[30:31], v[62:63]
	v_add_f64 v[48:49], v[48:49], v[56:57]
	s_waitcnt vmcnt(8) lgkmcnt(1)
	v_mul_f64 v[56:57], v[52:53], v[42:43]
	v_mul_f64 v[42:43], v[54:55], v[42:43]
	v_fma_f64 v[62:63], v[8:9], v[10:11], v[64:65]
	v_fma_f64 v[64:65], v[6:7], v[10:11], -v[12:13]
	ds_load_b128 v[6:9], v1 offset:1728
	scratch_load_b128 v[10:13], off, off offset:864
	v_add_f64 v[30:31], v[30:31], v[60:61]
	v_add_f64 v[48:49], v[48:49], v[58:59]
	v_fma_f64 v[54:55], v[54:55], v[40:41], v[56:57]
	v_fma_f64 v[52:53], v[52:53], v[40:41], -v[42:43]
	scratch_load_b128 v[40:43], off, off offset:880
	s_waitcnt vmcnt(9) lgkmcnt(0)
	v_mul_f64 v[58:59], v[6:7], v[46:47]
	v_mul_f64 v[46:47], v[8:9], v[46:47]
	s_waitcnt vmcnt(8)
	v_mul_f64 v[56:57], v[237:238], v[34:35]
	v_mul_f64 v[34:35], v[239:240], v[34:35]
	v_add_f64 v[30:31], v[30:31], v[64:65]
	v_add_f64 v[48:49], v[48:49], v[62:63]
	v_fma_f64 v[58:59], v[8:9], v[44:45], v[58:59]
	v_fma_f64 v[60:61], v[6:7], v[44:45], -v[46:47]
	ds_load_b128 v[6:9], v1 offset:1760
	scratch_load_b128 v[44:47], off, off offset:896
	v_fma_f64 v[56:57], v[239:240], v[32:33], v[56:57]
	v_fma_f64 v[34:35], v[237:238], v[32:33], -v[34:35]
	ds_load_b128 v[237:240], v1 offset:1808
	v_add_f64 v[30:31], v[30:31], v[52:53]
	v_add_f64 v[48:49], v[48:49], v[54:55]
	ds_load_b128 v[52:55], v1 offset:1776
	s_waitcnt vmcnt(8) lgkmcnt(2)
	v_mul_f64 v[62:63], v[6:7], v[38:39]
	v_mul_f64 v[38:39], v[8:9], v[38:39]
	v_add_f64 v[60:61], v[30:31], v[60:61]
	scratch_load_b128 v[30:33], off, off offset:912
	v_add_f64 v[48:49], v[48:49], v[58:59]
	v_fma_f64 v[62:63], v[8:9], v[36:37], v[62:63]
	v_fma_f64 v[38:39], v[6:7], v[36:37], -v[38:39]
	ds_load_b128 v[6:9], v1 offset:1792
	s_waitcnt vmcnt(8) lgkmcnt(1)
	v_mul_f64 v[58:59], v[52:53], v[24:25]
	v_mul_f64 v[24:25], v[54:55], v[24:25]
	v_add_f64 v[60:61], v[60:61], v[34:35]
	scratch_load_b128 v[34:37], off, off offset:928
	v_add_f64 v[48:49], v[48:49], v[56:57]
	s_waitcnt vmcnt(8) lgkmcnt(0)
	v_mul_f64 v[56:57], v[6:7], v[28:29]
	v_mul_f64 v[28:29], v[8:9], v[28:29]
	v_fma_f64 v[54:55], v[54:55], v[22:23], v[58:59]
	v_fma_f64 v[52:53], v[52:53], v[22:23], -v[24:25]
	scratch_load_b128 v[22:25], off, off offset:944
	s_waitcnt vmcnt(8)
	v_mul_f64 v[58:59], v[237:238], v[16:17]
	v_add_f64 v[38:39], v[60:61], v[38:39]
	v_mul_f64 v[16:17], v[239:240], v[16:17]
	v_add_f64 v[48:49], v[48:49], v[62:63]
	v_fma_f64 v[56:57], v[8:9], v[26:27], v[56:57]
	v_fma_f64 v[60:61], v[6:7], v[26:27], -v[28:29]
	ds_load_b128 v[6:9], v1 offset:1824
	scratch_load_b128 v[26:29], off, off offset:960
	v_fma_f64 v[58:59], v[239:240], v[14:15], v[58:59]
	v_add_f64 v[38:39], v[38:39], v[52:53]
	v_fma_f64 v[64:65], v[237:238], v[14:15], -v[16:17]
	scratch_load_b128 v[14:17], off, off offset:976
	v_add_f64 v[48:49], v[48:49], v[54:55]
	ds_load_b128 v[52:55], v1 offset:1840
	s_waitcnt vmcnt(9) lgkmcnt(1)
	v_mul_f64 v[62:63], v[6:7], v[20:21]
	v_mul_f64 v[20:21], v[8:9], v[20:21]
	v_add_f64 v[38:39], v[38:39], v[60:61]
	s_waitcnt vmcnt(8) lgkmcnt(0)
	v_mul_f64 v[60:61], v[54:55], v[189:190]
	v_add_f64 v[48:49], v[48:49], v[56:57]
	v_mul_f64 v[56:57], v[52:53], v[189:190]
	v_fma_f64 v[62:63], v[8:9], v[18:19], v[62:63]
	v_fma_f64 v[66:67], v[6:7], v[18:19], -v[20:21]
	ds_load_b128 v[6:9], v1 offset:1856
	ds_load_b128 v[18:21], v1 offset:1872
	v_add_f64 v[38:39], v[38:39], v[64:65]
	v_fma_f64 v[52:53], v[52:53], v[187:188], -v[60:61]
	v_add_f64 v[48:49], v[48:49], v[58:59]
	s_waitcnt vmcnt(7) lgkmcnt(1)
	v_mul_f64 v[58:59], v[6:7], v[12:13]
	v_mul_f64 v[12:13], v[8:9], v[12:13]
	v_fma_f64 v[54:55], v[54:55], v[187:188], v[56:57]
	s_waitcnt vmcnt(6) lgkmcnt(0)
	v_mul_f64 v[56:57], v[18:19], v[42:43]
	v_mul_f64 v[42:43], v[20:21], v[42:43]
	v_add_f64 v[38:39], v[38:39], v[66:67]
	v_add_f64 v[48:49], v[48:49], v[62:63]
	v_fma_f64 v[58:59], v[8:9], v[10:11], v[58:59]
	v_fma_f64 v[60:61], v[6:7], v[10:11], -v[12:13]
	ds_load_b128 v[6:9], v1 offset:1888
	ds_load_b128 v[10:13], v1 offset:1904
	v_fma_f64 v[20:21], v[20:21], v[40:41], v[56:57]
	v_fma_f64 v[18:19], v[18:19], v[40:41], -v[42:43]
	v_add_f64 v[38:39], v[38:39], v[52:53]
	s_waitcnt vmcnt(5) lgkmcnt(1)
	v_mul_f64 v[52:53], v[6:7], v[46:47]
	v_mul_f64 v[46:47], v[8:9], v[46:47]
	v_add_f64 v[48:49], v[48:49], v[54:55]
	s_delay_alu instid0(VALU_DEP_4) | instskip(NEXT) | instid1(VALU_DEP_2)
	v_add_f64 v[38:39], v[38:39], v[60:61]
	v_add_f64 v[40:41], v[48:49], v[58:59]
	v_fma_f64 v[48:49], v[8:9], v[44:45], v[52:53]
	v_fma_f64 v[44:45], v[6:7], v[44:45], -v[46:47]
	s_waitcnt vmcnt(4) lgkmcnt(0)
	v_mul_f64 v[42:43], v[10:11], v[32:33]
	v_mul_f64 v[32:33], v[12:13], v[32:33]
	v_add_f64 v[38:39], v[38:39], v[18:19]
	v_add_f64 v[40:41], v[40:41], v[20:21]
	ds_load_b128 v[6:9], v1 offset:1920
	ds_load_b128 v[18:21], v1 offset:1936
	v_fma_f64 v[12:13], v[12:13], v[30:31], v[42:43]
	v_fma_f64 v[10:11], v[10:11], v[30:31], -v[32:33]
	s_waitcnt vmcnt(3) lgkmcnt(1)
	v_mul_f64 v[46:47], v[6:7], v[36:37]
	v_mul_f64 v[36:37], v[8:9], v[36:37]
	v_add_f64 v[30:31], v[38:39], v[44:45]
	s_waitcnt vmcnt(2) lgkmcnt(0)
	v_mul_f64 v[38:39], v[18:19], v[24:25]
	v_mul_f64 v[24:25], v[20:21], v[24:25]
	v_add_f64 v[32:33], v[40:41], v[48:49]
	v_fma_f64 v[40:41], v[8:9], v[34:35], v[46:47]
	v_fma_f64 v[34:35], v[6:7], v[34:35], -v[36:37]
	v_add_f64 v[30:31], v[30:31], v[10:11]
	v_fma_f64 v[20:21], v[20:21], v[22:23], v[38:39]
	v_fma_f64 v[18:19], v[18:19], v[22:23], -v[24:25]
	v_add_f64 v[32:33], v[32:33], v[12:13]
	ds_load_b128 v[6:9], v1 offset:1952
	ds_load_b128 v[10:13], v1 offset:1968
	s_waitcnt vmcnt(1) lgkmcnt(1)
	v_mul_f64 v[36:37], v[6:7], v[28:29]
	v_mul_f64 v[28:29], v[8:9], v[28:29]
	v_add_f64 v[22:23], v[30:31], v[34:35]
	s_waitcnt vmcnt(0) lgkmcnt(0)
	v_mul_f64 v[30:31], v[10:11], v[16:17]
	v_mul_f64 v[16:17], v[12:13], v[16:17]
	v_add_f64 v[24:25], v[32:33], v[40:41]
	v_fma_f64 v[8:9], v[8:9], v[26:27], v[36:37]
	v_fma_f64 v[6:7], v[6:7], v[26:27], -v[28:29]
	v_add_f64 v[18:19], v[22:23], v[18:19]
	v_fma_f64 v[12:13], v[12:13], v[14:15], v[30:31]
	v_fma_f64 v[10:11], v[10:11], v[14:15], -v[16:17]
	v_add_f64 v[20:21], v[24:25], v[20:21]
	s_delay_alu instid0(VALU_DEP_4) | instskip(NEXT) | instid1(VALU_DEP_2)
	v_add_f64 v[6:7], v[18:19], v[6:7]
	v_add_f64 v[8:9], v[20:21], v[8:9]
	s_delay_alu instid0(VALU_DEP_2) | instskip(NEXT) | instid1(VALU_DEP_2)
	v_add_f64 v[6:7], v[6:7], v[10:11]
	v_add_f64 v[8:9], v[8:9], v[12:13]
	s_delay_alu instid0(VALU_DEP_2) | instskip(NEXT) | instid1(VALU_DEP_2)
	v_add_f64 v[1:2], v[2:3], -v[6:7]
	v_add_f64 v[3:4], v[4:5], -v[8:9]
	scratch_store_b128 off, v[1:4], off offset:80
	v_cmpx_lt_u32_e32 4, v174
	s_cbranch_execz .LBB61_389
; %bb.388:
	v_add_nc_u32_e64 v1, 0, 64
	v_mov_b32_e32 v5, 0
	scratch_load_b128 v[1:4], v1, off
	v_mov_b32_e32 v6, v5
	v_mov_b32_e32 v7, v5
	;; [unrolled: 1-line block ×3, first 2 shown]
	scratch_store_b128 off, v[5:8], off offset:64
	s_waitcnt vmcnt(0)
	ds_store_b128 v236, v[1:4]
.LBB61_389:
	s_or_b32 exec_lo, exec_lo, s2
	s_waitcnt lgkmcnt(0)
	s_waitcnt_vscnt null, 0x0
	s_barrier
	buffer_gl0_inv
	s_clause 0x7
	scratch_load_b128 v[34:37], off, off offset:80
	scratch_load_b128 v[38:41], off, off offset:96
	;; [unrolled: 1-line block ×8, first 2 shown]
	v_mov_b32_e32 v1, 0
	s_mov_b32 s2, exec_lo
	ds_load_b128 v[46:49], v1 offset:1072
	s_clause 0x2
	scratch_load_b128 v[14:17], off, off offset:208
	scratch_load_b128 v[2:5], off, off offset:64
	;; [unrolled: 1-line block ×3, first 2 shown]
	ds_load_b128 v[42:45], v1 offset:1088
	ds_load_b128 v[187:190], v1 offset:1120
	;; [unrolled: 1-line block ×3, first 2 shown]
	s_waitcnt vmcnt(10) lgkmcnt(3)
	v_mul_f64 v[56:57], v[48:49], v[36:37]
	v_mul_f64 v[36:37], v[46:47], v[36:37]
	s_delay_alu instid0(VALU_DEP_2) | instskip(NEXT) | instid1(VALU_DEP_2)
	v_fma_f64 v[56:57], v[46:47], v[34:35], -v[56:57]
	v_fma_f64 v[60:61], v[48:49], v[34:35], v[36:37]
	ds_load_b128 v[34:37], v1 offset:1104
	s_waitcnt vmcnt(9) lgkmcnt(3)
	v_mul_f64 v[58:59], v[42:43], v[40:41]
	v_mul_f64 v[40:41], v[44:45], v[40:41]
	scratch_load_b128 v[46:49], off, off offset:240
	s_waitcnt vmcnt(9) lgkmcnt(0)
	v_mul_f64 v[62:63], v[34:35], v[32:33]
	v_mul_f64 v[32:33], v[36:37], v[32:33]
	v_add_f64 v[56:57], v[56:57], 0
	v_fma_f64 v[44:45], v[44:45], v[38:39], v[58:59]
	v_fma_f64 v[42:43], v[42:43], v[38:39], -v[40:41]
	v_add_f64 v[58:59], v[60:61], 0
	scratch_load_b128 v[38:41], off, off offset:256
	v_fma_f64 v[36:37], v[36:37], v[30:31], v[62:63]
	v_fma_f64 v[62:63], v[34:35], v[30:31], -v[32:33]
	scratch_load_b128 v[32:35], off, off offset:272
	v_add_f64 v[56:57], v[56:57], v[42:43]
	v_add_f64 v[58:59], v[58:59], v[44:45]
	ds_load_b128 v[42:45], v1 offset:1152
	s_waitcnt vmcnt(10)
	v_mul_f64 v[60:61], v[187:188], v[28:29]
	v_mul_f64 v[64:65], v[189:190], v[28:29]
	ds_load_b128 v[28:31], v1 offset:1136
	v_add_f64 v[56:57], v[56:57], v[62:63]
	v_add_f64 v[36:37], v[58:59], v[36:37]
	s_waitcnt vmcnt(8) lgkmcnt(1)
	v_mul_f64 v[58:59], v[42:43], v[20:21]
	v_fma_f64 v[60:61], v[189:190], v[26:27], v[60:61]
	v_fma_f64 v[64:65], v[187:188], v[26:27], -v[64:65]
	ds_load_b128 v[187:190], v1 offset:1184
	s_waitcnt lgkmcnt(1)
	v_mul_f64 v[66:67], v[28:29], v[24:25]
	v_mul_f64 v[68:69], v[30:31], v[24:25]
	scratch_load_b128 v[24:27], off, off offset:288
	v_mul_f64 v[62:63], v[44:45], v[20:21]
	v_fma_f64 v[58:59], v[44:45], v[18:19], v[58:59]
	v_add_f64 v[36:37], v[36:37], v[60:61]
	v_add_f64 v[56:57], v[56:57], v[64:65]
	s_waitcnt vmcnt(7) lgkmcnt(0)
	v_mul_f64 v[64:65], v[189:190], v[8:9]
	v_fma_f64 v[66:67], v[30:31], v[22:23], v[66:67]
	v_fma_f64 v[68:69], v[28:29], v[22:23], -v[68:69]
	scratch_load_b128 v[28:31], off, off offset:304
	ds_load_b128 v[20:23], v1 offset:1168
	v_fma_f64 v[18:19], v[42:43], v[18:19], -v[62:63]
	v_mul_f64 v[62:63], v[187:188], v[8:9]
	scratch_load_b128 v[42:45], off, off offset:320
	s_waitcnt lgkmcnt(0)
	v_mul_f64 v[60:61], v[20:21], v[12:13]
	v_mul_f64 v[12:13], v[22:23], v[12:13]
	v_add_f64 v[36:37], v[36:37], v[66:67]
	v_add_f64 v[56:57], v[56:57], v[68:69]
	s_delay_alu instid0(VALU_DEP_4) | instskip(NEXT) | instid1(VALU_DEP_4)
	v_fma_f64 v[22:23], v[22:23], v[10:11], v[60:61]
	v_fma_f64 v[12:13], v[20:21], v[10:11], -v[12:13]
	ds_load_b128 v[8:11], v1 offset:1200
	v_fma_f64 v[60:61], v[189:190], v[6:7], v[62:63]
	v_fma_f64 v[6:7], v[187:188], v[6:7], -v[64:65]
	scratch_load_b128 v[187:190], off, off offset:352
	v_add_f64 v[36:37], v[36:37], v[58:59]
	v_add_f64 v[56:57], v[56:57], v[18:19]
	scratch_load_b128 v[18:21], off, off offset:336
	v_add_f64 v[22:23], v[36:37], v[22:23]
	s_waitcnt vmcnt(8)
	v_mul_f64 v[36:37], v[237:238], v[54:55]
	v_mul_f64 v[54:55], v[239:240], v[54:55]
	v_add_f64 v[12:13], v[56:57], v[12:13]
	s_delay_alu instid0(VALU_DEP_4) | instskip(NEXT) | instid1(VALU_DEP_4)
	v_add_f64 v[22:23], v[22:23], v[60:61]
	v_fma_f64 v[36:37], v[239:240], v[52:53], v[36:37]
	s_delay_alu instid0(VALU_DEP_4)
	v_fma_f64 v[64:65], v[237:238], v[52:53], -v[54:55]
	ds_load_b128 v[237:240], v1 offset:1280
	s_waitcnt lgkmcnt(1)
	v_mul_f64 v[58:59], v[8:9], v[16:17]
	v_mul_f64 v[16:17], v[10:11], v[16:17]
	v_add_f64 v[62:63], v[12:13], v[6:7]
	scratch_load_b128 v[52:55], off, off offset:384
	v_fma_f64 v[56:57], v[10:11], v[14:15], v[58:59]
	v_fma_f64 v[58:59], v[8:9], v[14:15], -v[16:17]
	ds_load_b128 v[6:9], v1 offset:1232
	ds_load_b128 v[14:17], v1 offset:1248
	scratch_load_b128 v[10:13], off, off offset:368
	s_waitcnt vmcnt(9) lgkmcnt(1)
	v_mul_f64 v[60:61], v[6:7], v[48:49]
	v_mul_f64 v[48:49], v[8:9], v[48:49]
	v_add_f64 v[22:23], v[22:23], v[56:57]
	v_add_f64 v[58:59], v[62:63], v[58:59]
	s_waitcnt vmcnt(8) lgkmcnt(0)
	v_mul_f64 v[56:57], v[14:15], v[40:41]
	v_mul_f64 v[40:41], v[16:17], v[40:41]
	v_fma_f64 v[60:61], v[8:9], v[46:47], v[60:61]
	v_fma_f64 v[62:63], v[6:7], v[46:47], -v[48:49]
	ds_load_b128 v[6:9], v1 offset:1264
	scratch_load_b128 v[46:49], off, off offset:400
	v_add_f64 v[22:23], v[22:23], v[36:37]
	v_add_f64 v[58:59], v[58:59], v[64:65]
	v_fma_f64 v[56:57], v[16:17], v[38:39], v[56:57]
	v_fma_f64 v[38:39], v[14:15], v[38:39], -v[40:41]
	scratch_load_b128 v[14:17], off, off offset:416
	v_add_f64 v[22:23], v[22:23], v[60:61]
	v_add_f64 v[40:41], v[58:59], v[62:63]
	s_waitcnt vmcnt(8)
	v_mul_f64 v[58:59], v[237:238], v[26:27]
	v_mul_f64 v[26:27], v[239:240], v[26:27]
	s_delay_alu instid0(VALU_DEP_4) | instskip(NEXT) | instid1(VALU_DEP_4)
	v_add_f64 v[22:23], v[22:23], v[56:57]
	v_add_f64 v[40:41], v[40:41], v[38:39]
	s_delay_alu instid0(VALU_DEP_4) | instskip(NEXT) | instid1(VALU_DEP_4)
	v_fma_f64 v[58:59], v[239:240], v[24:25], v[58:59]
	v_fma_f64 v[26:27], v[237:238], v[24:25], -v[26:27]
	ds_load_b128 v[237:240], v1 offset:1344
	s_waitcnt lgkmcnt(1)
	v_mul_f64 v[36:37], v[6:7], v[34:35]
	v_mul_f64 v[34:35], v[8:9], v[34:35]
	s_delay_alu instid0(VALU_DEP_2) | instskip(NEXT) | instid1(VALU_DEP_2)
	v_fma_f64 v[60:61], v[8:9], v[32:33], v[36:37]
	v_fma_f64 v[62:63], v[6:7], v[32:33], -v[34:35]
	scratch_load_b128 v[32:35], off, off offset:432
	ds_load_b128 v[6:9], v1 offset:1296
	ds_load_b128 v[36:39], v1 offset:1312
	s_waitcnt vmcnt(8) lgkmcnt(1)
	v_mul_f64 v[56:57], v[6:7], v[30:31]
	v_mul_f64 v[30:31], v[8:9], v[30:31]
	v_add_f64 v[60:61], v[22:23], v[60:61]
	v_add_f64 v[40:41], v[40:41], v[62:63]
	s_waitcnt vmcnt(7) lgkmcnt(0)
	v_mul_f64 v[62:63], v[36:37], v[44:45]
	v_mul_f64 v[44:45], v[38:39], v[44:45]
	scratch_load_b128 v[22:25], off, off offset:448
	v_fma_f64 v[56:57], v[8:9], v[28:29], v[56:57]
	v_fma_f64 v[30:31], v[6:7], v[28:29], -v[30:31]
	ds_load_b128 v[6:9], v1 offset:1328
	v_add_f64 v[58:59], v[60:61], v[58:59]
	v_add_f64 v[40:41], v[40:41], v[26:27]
	v_fma_f64 v[62:63], v[38:39], v[42:43], v[62:63]
	v_fma_f64 v[42:43], v[36:37], v[42:43], -v[44:45]
	s_waitcnt vmcnt(7)
	v_mul_f64 v[44:45], v[237:238], v[189:190]
	s_clause 0x1
	scratch_load_b128 v[26:29], off, off offset:464
	scratch_load_b128 v[36:39], off, off offset:480
	v_add_f64 v[30:31], v[40:41], v[30:31]
	v_add_f64 v[40:41], v[58:59], v[56:57]
	v_mul_f64 v[56:57], v[239:240], v[189:190]
	v_fma_f64 v[44:45], v[239:240], v[187:188], v[44:45]
	s_delay_alu instid0(VALU_DEP_4) | instskip(NEXT) | instid1(VALU_DEP_4)
	v_add_f64 v[30:31], v[30:31], v[42:43]
	v_add_f64 v[62:63], v[40:41], v[62:63]
	ds_load_b128 v[40:43], v1 offset:1376
	s_waitcnt vmcnt(8) lgkmcnt(1)
	v_mul_f64 v[60:61], v[6:7], v[20:21]
	v_mul_f64 v[20:21], v[8:9], v[20:21]
	v_fma_f64 v[56:57], v[237:238], v[187:188], -v[56:57]
	scratch_load_b128 v[187:190], off, off offset:512
	ds_load_b128 v[237:240], v1 offset:1408
	v_fma_f64 v[58:59], v[8:9], v[18:19], v[60:61]
	v_fma_f64 v[60:61], v[6:7], v[18:19], -v[20:21]
	ds_load_b128 v[6:9], v1 offset:1360
	scratch_load_b128 v[18:21], off, off offset:496
	s_waitcnt vmcnt(8) lgkmcnt(0)
	v_mul_f64 v[64:65], v[6:7], v[12:13]
	v_mul_f64 v[12:13], v[8:9], v[12:13]
	v_add_f64 v[58:59], v[62:63], v[58:59]
	v_add_f64 v[30:31], v[30:31], v[60:61]
	v_mul_f64 v[60:61], v[40:41], v[54:55]
	v_mul_f64 v[54:55], v[42:43], v[54:55]
	v_fma_f64 v[62:63], v[8:9], v[10:11], v[64:65]
	v_fma_f64 v[64:65], v[6:7], v[10:11], -v[12:13]
	ds_load_b128 v[6:9], v1 offset:1392
	scratch_load_b128 v[10:13], off, off offset:528
	v_add_f64 v[44:45], v[58:59], v[44:45]
	v_add_f64 v[30:31], v[30:31], v[56:57]
	v_fma_f64 v[58:59], v[42:43], v[52:53], v[60:61]
	v_fma_f64 v[52:53], v[40:41], v[52:53], -v[54:55]
	s_waitcnt vmcnt(7)
	v_mul_f64 v[60:61], v[237:238], v[16:17]
	v_mul_f64 v[16:17], v[239:240], v[16:17]
	scratch_load_b128 v[40:43], off, off offset:544
	v_add_f64 v[44:45], v[44:45], v[62:63]
	v_add_f64 v[30:31], v[30:31], v[64:65]
	v_fma_f64 v[60:61], v[239:240], v[14:15], v[60:61]
	v_fma_f64 v[64:65], v[237:238], v[14:15], -v[16:17]
	scratch_load_b128 v[14:17], off, off offset:576
	ds_load_b128 v[237:240], v1 offset:1472
	v_add_f64 v[58:59], v[44:45], v[58:59]
	v_add_f64 v[30:31], v[30:31], v[52:53]
	ds_load_b128 v[52:55], v1 offset:1440
	s_waitcnt lgkmcnt(2)
	v_mul_f64 v[56:57], v[6:7], v[48:49]
	v_mul_f64 v[48:49], v[8:9], v[48:49]
	s_delay_alu instid0(VALU_DEP_2) | instskip(NEXT) | instid1(VALU_DEP_2)
	v_fma_f64 v[56:57], v[8:9], v[46:47], v[56:57]
	v_fma_f64 v[48:49], v[6:7], v[46:47], -v[48:49]
	ds_load_b128 v[6:9], v1 offset:1424
	scratch_load_b128 v[44:47], off, off offset:560
	s_waitcnt vmcnt(9) lgkmcnt(0)
	v_mul_f64 v[62:63], v[6:7], v[34:35]
	v_mul_f64 v[34:35], v[8:9], v[34:35]
	v_add_f64 v[30:31], v[30:31], v[48:49]
	v_add_f64 v[48:49], v[58:59], v[56:57]
	s_waitcnt vmcnt(8)
	v_mul_f64 v[56:57], v[52:53], v[24:25]
	v_mul_f64 v[24:25], v[54:55], v[24:25]
	v_fma_f64 v[58:59], v[8:9], v[32:33], v[62:63]
	v_fma_f64 v[34:35], v[6:7], v[32:33], -v[34:35]
	ds_load_b128 v[6:9], v1 offset:1456
	v_add_f64 v[62:63], v[30:31], v[64:65]
	v_add_f64 v[48:49], v[48:49], v[60:61]
	v_fma_f64 v[54:55], v[54:55], v[22:23], v[56:57]
	v_fma_f64 v[52:53], v[52:53], v[22:23], -v[24:25]
	scratch_load_b128 v[30:33], off, off offset:592
	s_waitcnt vmcnt(7)
	v_mul_f64 v[56:57], v[237:238], v[38:39]
	v_mul_f64 v[38:39], v[239:240], v[38:39]
	scratch_load_b128 v[22:25], off, off offset:608
	v_add_f64 v[34:35], v[62:63], v[34:35]
	v_add_f64 v[48:49], v[48:49], v[58:59]
	v_fma_f64 v[56:57], v[239:240], v[36:37], v[56:57]
	v_fma_f64 v[38:39], v[237:238], v[36:37], -v[38:39]
	ds_load_b128 v[237:240], v1 offset:1536
	v_add_f64 v[34:35], v[34:35], v[52:53]
	v_add_f64 v[48:49], v[48:49], v[54:55]
	ds_load_b128 v[52:55], v1 offset:1504
	s_waitcnt lgkmcnt(2)
	v_mul_f64 v[60:61], v[6:7], v[28:29]
	v_mul_f64 v[28:29], v[8:9], v[28:29]
	s_waitcnt vmcnt(7) lgkmcnt(0)
	v_mul_f64 v[64:65], v[54:55], v[189:190]
	s_delay_alu instid0(VALU_DEP_3) | instskip(NEXT) | instid1(VALU_DEP_3)
	v_fma_f64 v[58:59], v[8:9], v[26:27], v[60:61]
	v_fma_f64 v[60:61], v[6:7], v[26:27], -v[28:29]
	scratch_load_b128 v[26:29], off, off offset:624
	ds_load_b128 v[6:9], v1 offset:1488
	s_waitcnt vmcnt(7) lgkmcnt(0)
	v_mul_f64 v[62:63], v[6:7], v[20:21]
	v_mul_f64 v[20:21], v[8:9], v[20:21]
	v_add_f64 v[48:49], v[48:49], v[58:59]
	v_add_f64 v[60:61], v[34:35], v[60:61]
	v_mul_f64 v[58:59], v[52:53], v[189:190]
	scratch_load_b128 v[34:37], off, off offset:640
	v_fma_f64 v[62:63], v[8:9], v[18:19], v[62:63]
	v_fma_f64 v[66:67], v[6:7], v[18:19], -v[20:21]
	scratch_load_b128 v[18:21], off, off offset:656
	ds_load_b128 v[6:9], v1 offset:1520
	v_add_f64 v[48:49], v[48:49], v[56:57]
	v_add_f64 v[38:39], v[60:61], v[38:39]
	v_fma_f64 v[58:59], v[54:55], v[187:188], v[58:59]
	v_fma_f64 v[60:61], v[52:53], v[187:188], -v[64:65]
	ds_load_b128 v[187:190], v1 offset:1568
	scratch_load_b128 v[52:55], off, off offset:672
	s_waitcnt vmcnt(9) lgkmcnt(1)
	v_mul_f64 v[56:57], v[6:7], v[12:13]
	v_mul_f64 v[12:13], v[8:9], v[12:13]
	v_add_f64 v[48:49], v[48:49], v[62:63]
	v_add_f64 v[38:39], v[38:39], v[66:67]
	s_waitcnt vmcnt(8)
	v_mul_f64 v[62:63], v[237:238], v[42:43]
	v_mul_f64 v[42:43], v[239:240], v[42:43]
	v_fma_f64 v[56:57], v[8:9], v[10:11], v[56:57]
	v_fma_f64 v[64:65], v[6:7], v[10:11], -v[12:13]
	scratch_load_b128 v[10:13], off, off offset:688
	ds_load_b128 v[6:9], v1 offset:1552
	v_add_f64 v[48:49], v[48:49], v[58:59]
	v_add_f64 v[38:39], v[38:39], v[60:61]
	v_fma_f64 v[60:61], v[239:240], v[40:41], v[62:63]
	v_fma_f64 v[42:43], v[237:238], v[40:41], -v[42:43]
	s_delay_alu instid0(VALU_DEP_4)
	v_add_f64 v[48:49], v[48:49], v[56:57]
	s_waitcnt vmcnt(8) lgkmcnt(1)
	v_mul_f64 v[56:57], v[187:188], v[16:17]
	v_mul_f64 v[16:17], v[189:190], v[16:17]
	v_add_f64 v[62:63], v[38:39], v[64:65]
	scratch_load_b128 v[38:41], off, off offset:704
	v_add_f64 v[60:61], v[48:49], v[60:61]
	v_fma_f64 v[56:57], v[189:190], v[14:15], v[56:57]
	v_fma_f64 v[68:69], v[187:188], v[14:15], -v[16:17]
	ds_load_b128 v[187:190], v1 offset:1632
	s_waitcnt vmcnt(8) lgkmcnt(1)
	v_mul_f64 v[58:59], v[6:7], v[46:47]
	v_mul_f64 v[46:47], v[8:9], v[46:47]
	v_add_f64 v[62:63], v[62:63], v[42:43]
	scratch_load_b128 v[14:17], off, off offset:736
	v_fma_f64 v[58:59], v[8:9], v[44:45], v[58:59]
	v_fma_f64 v[64:65], v[6:7], v[44:45], -v[46:47]
	ds_load_b128 v[6:9], v1 offset:1584
	ds_load_b128 v[46:49], v1 offset:1600
	scratch_load_b128 v[42:45], off, off offset:720
	s_waitcnt vmcnt(9) lgkmcnt(1)
	v_mul_f64 v[66:67], v[6:7], v[32:33]
	v_mul_f64 v[32:33], v[8:9], v[32:33]
	v_add_f64 v[58:59], v[60:61], v[58:59]
	v_add_f64 v[62:63], v[62:63], v[64:65]
	s_waitcnt vmcnt(8) lgkmcnt(0)
	v_mul_f64 v[60:61], v[46:47], v[24:25]
	v_mul_f64 v[24:25], v[48:49], v[24:25]
	v_fma_f64 v[64:65], v[8:9], v[30:31], v[66:67]
	v_fma_f64 v[66:67], v[6:7], v[30:31], -v[32:33]
	ds_load_b128 v[6:9], v1 offset:1616
	scratch_load_b128 v[30:33], off, off offset:752
	v_add_f64 v[56:57], v[58:59], v[56:57]
	v_add_f64 v[62:63], v[62:63], v[68:69]
	v_fma_f64 v[48:49], v[48:49], v[22:23], v[60:61]
	v_fma_f64 v[46:47], v[46:47], v[22:23], -v[24:25]
	scratch_load_b128 v[22:25], off, off offset:768
	v_add_f64 v[56:57], v[56:57], v[64:65]
	v_add_f64 v[60:61], v[62:63], v[66:67]
	s_waitcnt vmcnt(8)
	v_mul_f64 v[62:63], v[187:188], v[36:37]
	v_mul_f64 v[36:37], v[189:190], v[36:37]
	s_delay_alu instid0(VALU_DEP_4) | instskip(NEXT) | instid1(VALU_DEP_4)
	v_add_f64 v[56:57], v[56:57], v[48:49]
	v_add_f64 v[60:61], v[60:61], v[46:47]
	ds_load_b128 v[46:49], v1 offset:1664
	s_waitcnt lgkmcnt(1)
	v_mul_f64 v[58:59], v[6:7], v[28:29]
	v_mul_f64 v[28:29], v[8:9], v[28:29]
	v_fma_f64 v[62:63], v[189:190], v[34:35], v[62:63]
	v_fma_f64 v[68:69], v[187:188], v[34:35], -v[36:37]
	ds_load_b128 v[187:190], v1 offset:1696
	scratch_load_b128 v[34:37], off, off offset:800
	v_fma_f64 v[58:59], v[8:9], v[26:27], v[58:59]
	v_fma_f64 v[64:65], v[6:7], v[26:27], -v[28:29]
	ds_load_b128 v[6:9], v1 offset:1648
	scratch_load_b128 v[26:29], off, off offset:784
	s_waitcnt vmcnt(9) lgkmcnt(0)
	v_mul_f64 v[66:67], v[6:7], v[20:21]
	v_mul_f64 v[20:21], v[8:9], v[20:21]
	v_add_f64 v[56:57], v[56:57], v[58:59]
	v_add_f64 v[60:61], v[60:61], v[64:65]
	s_waitcnt vmcnt(8)
	v_mul_f64 v[58:59], v[46:47], v[54:55]
	v_mul_f64 v[54:55], v[48:49], v[54:55]
	v_fma_f64 v[64:65], v[8:9], v[18:19], v[66:67]
	v_fma_f64 v[66:67], v[6:7], v[18:19], -v[20:21]
	ds_load_b128 v[6:9], v1 offset:1680
	scratch_load_b128 v[18:21], off, off offset:816
	v_add_f64 v[56:57], v[56:57], v[62:63]
	v_add_f64 v[60:61], v[60:61], v[68:69]
	v_fma_f64 v[58:59], v[48:49], v[52:53], v[58:59]
	v_fma_f64 v[52:53], v[46:47], v[52:53], -v[54:55]
	scratch_load_b128 v[46:49], off, off offset:832
	v_add_f64 v[56:57], v[56:57], v[64:65]
	v_add_f64 v[54:55], v[60:61], v[66:67]
	s_waitcnt vmcnt(8)
	v_mul_f64 v[60:61], v[187:188], v[40:41]
	v_mul_f64 v[40:41], v[189:190], v[40:41]
	s_delay_alu instid0(VALU_DEP_4) | instskip(NEXT) | instid1(VALU_DEP_4)
	v_add_f64 v[56:57], v[56:57], v[58:59]
	v_add_f64 v[66:67], v[54:55], v[52:53]
	ds_load_b128 v[52:55], v1 offset:1728
	s_waitcnt lgkmcnt(1)
	v_mul_f64 v[62:63], v[6:7], v[12:13]
	v_mul_f64 v[12:13], v[8:9], v[12:13]
	v_fma_f64 v[60:61], v[189:190], v[38:39], v[60:61]
	v_fma_f64 v[68:69], v[187:188], v[38:39], -v[40:41]
	ds_load_b128 v[187:190], v1 offset:1760
	scratch_load_b128 v[38:41], off, off offset:864
	v_fma_f64 v[62:63], v[8:9], v[10:11], v[62:63]
	v_fma_f64 v[64:65], v[6:7], v[10:11], -v[12:13]
	ds_load_b128 v[6:9], v1 offset:1712
	scratch_load_b128 v[10:13], off, off offset:848
	s_waitcnt vmcnt(8) lgkmcnt(0)
	v_mul_f64 v[58:59], v[6:7], v[44:45]
	v_mul_f64 v[44:45], v[8:9], v[44:45]
	v_add_f64 v[56:57], v[56:57], v[62:63]
	v_add_f64 v[64:65], v[66:67], v[64:65]
	v_mul_f64 v[62:63], v[52:53], v[16:17]
	v_mul_f64 v[16:17], v[54:55], v[16:17]
	v_fma_f64 v[58:59], v[8:9], v[42:43], v[58:59]
	v_fma_f64 v[66:67], v[6:7], v[42:43], -v[44:45]
	ds_load_b128 v[6:9], v1 offset:1744
	scratch_load_b128 v[42:45], off, off offset:880
	v_add_f64 v[56:57], v[56:57], v[60:61]
	v_add_f64 v[64:65], v[64:65], v[68:69]
	v_fma_f64 v[54:55], v[54:55], v[14:15], v[62:63]
	v_fma_f64 v[52:53], v[52:53], v[14:15], -v[16:17]
	scratch_load_b128 v[14:17], off, off offset:896
	v_add_f64 v[56:57], v[56:57], v[58:59]
	v_add_f64 v[62:63], v[64:65], v[66:67]
	s_waitcnt vmcnt(8)
	v_mul_f64 v[58:59], v[187:188], v[24:25]
	v_mul_f64 v[24:25], v[189:190], v[24:25]
	s_delay_alu instid0(VALU_DEP_4) | instskip(NEXT) | instid1(VALU_DEP_4)
	v_add_f64 v[56:57], v[56:57], v[54:55]
	v_add_f64 v[62:63], v[62:63], v[52:53]
	ds_load_b128 v[52:55], v1 offset:1792
	s_waitcnt lgkmcnt(1)
	v_mul_f64 v[60:61], v[6:7], v[32:33]
	v_mul_f64 v[32:33], v[8:9], v[32:33]
	v_fma_f64 v[58:59], v[189:190], v[22:23], v[58:59]
	v_fma_f64 v[68:69], v[187:188], v[22:23], -v[24:25]
	ds_load_b128 v[187:190], v1 offset:1824
	scratch_load_b128 v[22:25], off, off offset:928
	v_fma_f64 v[60:61], v[8:9], v[30:31], v[60:61]
	v_fma_f64 v[64:65], v[6:7], v[30:31], -v[32:33]
	ds_load_b128 v[6:9], v1 offset:1776
	scratch_load_b128 v[30:33], off, off offset:912
	s_waitcnt vmcnt(8) lgkmcnt(0)
	v_mul_f64 v[66:67], v[6:7], v[28:29]
	v_mul_f64 v[28:29], v[8:9], v[28:29]
	v_add_f64 v[56:57], v[56:57], v[60:61]
	v_add_f64 v[62:63], v[62:63], v[64:65]
	v_mul_f64 v[60:61], v[52:53], v[36:37]
	v_mul_f64 v[36:37], v[54:55], v[36:37]
	v_fma_f64 v[64:65], v[8:9], v[26:27], v[66:67]
	v_fma_f64 v[66:67], v[6:7], v[26:27], -v[28:29]
	ds_load_b128 v[6:9], v1 offset:1808
	scratch_load_b128 v[26:29], off, off offset:944
	v_add_f64 v[56:57], v[56:57], v[58:59]
	v_add_f64 v[62:63], v[62:63], v[68:69]
	v_fma_f64 v[54:55], v[54:55], v[34:35], v[60:61]
	v_fma_f64 v[52:53], v[52:53], v[34:35], -v[36:37]
	scratch_load_b128 v[34:37], off, off offset:960
	v_add_f64 v[56:57], v[56:57], v[64:65]
	v_add_f64 v[60:61], v[62:63], v[66:67]
	s_waitcnt vmcnt(8)
	v_mul_f64 v[62:63], v[187:188], v[48:49]
	v_mul_f64 v[48:49], v[189:190], v[48:49]
	s_delay_alu instid0(VALU_DEP_4) | instskip(NEXT) | instid1(VALU_DEP_4)
	v_add_f64 v[56:57], v[56:57], v[54:55]
	v_add_f64 v[60:61], v[60:61], v[52:53]
	ds_load_b128 v[52:55], v1 offset:1856
	s_waitcnt lgkmcnt(1)
	v_mul_f64 v[58:59], v[6:7], v[20:21]
	v_mul_f64 v[20:21], v[8:9], v[20:21]
	v_fma_f64 v[62:63], v[189:190], v[46:47], v[62:63]
	v_fma_f64 v[46:47], v[187:188], v[46:47], -v[48:49]
	s_delay_alu instid0(VALU_DEP_4) | instskip(NEXT) | instid1(VALU_DEP_4)
	v_fma_f64 v[58:59], v[8:9], v[18:19], v[58:59]
	v_fma_f64 v[64:65], v[6:7], v[18:19], -v[20:21]
	scratch_load_b128 v[18:21], off, off offset:976
	ds_load_b128 v[6:9], v1 offset:1840
	s_waitcnt vmcnt(7) lgkmcnt(0)
	v_mul_f64 v[66:67], v[6:7], v[12:13]
	v_mul_f64 v[12:13], v[8:9], v[12:13]
	v_add_f64 v[56:57], v[56:57], v[58:59]
	v_add_f64 v[48:49], v[60:61], v[64:65]
	v_mul_f64 v[58:59], v[52:53], v[40:41]
	v_mul_f64 v[40:41], v[54:55], v[40:41]
	v_fma_f64 v[60:61], v[8:9], v[10:11], v[66:67]
	v_fma_f64 v[64:65], v[6:7], v[10:11], -v[12:13]
	ds_load_b128 v[6:9], v1 offset:1872
	ds_load_b128 v[10:13], v1 offset:1888
	v_add_f64 v[46:47], v[48:49], v[46:47]
	v_add_f64 v[48:49], v[56:57], v[62:63]
	v_fma_f64 v[54:55], v[54:55], v[38:39], v[58:59]
	v_fma_f64 v[38:39], v[52:53], v[38:39], -v[40:41]
	s_waitcnt vmcnt(6) lgkmcnt(1)
	v_mul_f64 v[56:57], v[6:7], v[44:45]
	v_mul_f64 v[44:45], v[8:9], v[44:45]
	v_add_f64 v[40:41], v[46:47], v[64:65]
	v_add_f64 v[46:47], v[48:49], v[60:61]
	s_waitcnt vmcnt(5) lgkmcnt(0)
	v_mul_f64 v[48:49], v[10:11], v[16:17]
	v_mul_f64 v[16:17], v[12:13], v[16:17]
	v_fma_f64 v[52:53], v[8:9], v[42:43], v[56:57]
	v_fma_f64 v[42:43], v[6:7], v[42:43], -v[44:45]
	v_add_f64 v[44:45], v[40:41], v[38:39]
	v_add_f64 v[46:47], v[46:47], v[54:55]
	ds_load_b128 v[6:9], v1 offset:1904
	ds_load_b128 v[38:41], v1 offset:1920
	v_fma_f64 v[12:13], v[12:13], v[14:15], v[48:49]
	v_fma_f64 v[10:11], v[10:11], v[14:15], -v[16:17]
	s_waitcnt vmcnt(3) lgkmcnt(1)
	v_mul_f64 v[54:55], v[6:7], v[32:33]
	v_mul_f64 v[32:33], v[8:9], v[32:33]
	v_add_f64 v[14:15], v[44:45], v[42:43]
	v_add_f64 v[16:17], v[46:47], v[52:53]
	s_waitcnt lgkmcnt(0)
	v_mul_f64 v[42:43], v[38:39], v[24:25]
	v_mul_f64 v[24:25], v[40:41], v[24:25]
	v_fma_f64 v[44:45], v[8:9], v[30:31], v[54:55]
	v_fma_f64 v[30:31], v[6:7], v[30:31], -v[32:33]
	v_add_f64 v[14:15], v[14:15], v[10:11]
	v_add_f64 v[16:17], v[16:17], v[12:13]
	ds_load_b128 v[6:9], v1 offset:1936
	ds_load_b128 v[10:13], v1 offset:1952
	v_fma_f64 v[40:41], v[40:41], v[22:23], v[42:43]
	v_fma_f64 v[22:23], v[38:39], v[22:23], -v[24:25]
	s_waitcnt vmcnt(2) lgkmcnt(1)
	v_mul_f64 v[32:33], v[6:7], v[28:29]
	v_mul_f64 v[28:29], v[8:9], v[28:29]
	s_waitcnt vmcnt(1) lgkmcnt(0)
	v_mul_f64 v[24:25], v[10:11], v[36:37]
	v_add_f64 v[14:15], v[14:15], v[30:31]
	v_add_f64 v[16:17], v[16:17], v[44:45]
	v_mul_f64 v[30:31], v[12:13], v[36:37]
	v_fma_f64 v[32:33], v[8:9], v[26:27], v[32:33]
	v_fma_f64 v[26:27], v[6:7], v[26:27], -v[28:29]
	ds_load_b128 v[6:9], v1 offset:1968
	v_fma_f64 v[12:13], v[12:13], v[34:35], v[24:25]
	v_add_f64 v[14:15], v[14:15], v[22:23]
	v_add_f64 v[16:17], v[16:17], v[40:41]
	v_fma_f64 v[10:11], v[10:11], v[34:35], -v[30:31]
	s_waitcnt vmcnt(0) lgkmcnt(0)
	v_mul_f64 v[22:23], v[6:7], v[20:21]
	v_mul_f64 v[20:21], v[8:9], v[20:21]
	v_add_f64 v[14:15], v[14:15], v[26:27]
	v_add_f64 v[16:17], v[16:17], v[32:33]
	s_delay_alu instid0(VALU_DEP_4) | instskip(NEXT) | instid1(VALU_DEP_4)
	v_fma_f64 v[8:9], v[8:9], v[18:19], v[22:23]
	v_fma_f64 v[6:7], v[6:7], v[18:19], -v[20:21]
	s_delay_alu instid0(VALU_DEP_4) | instskip(NEXT) | instid1(VALU_DEP_4)
	v_add_f64 v[10:11], v[14:15], v[10:11]
	v_add_f64 v[12:13], v[16:17], v[12:13]
	s_delay_alu instid0(VALU_DEP_2) | instskip(NEXT) | instid1(VALU_DEP_2)
	v_add_f64 v[6:7], v[10:11], v[6:7]
	v_add_f64 v[8:9], v[12:13], v[8:9]
	s_delay_alu instid0(VALU_DEP_2) | instskip(NEXT) | instid1(VALU_DEP_2)
	v_add_f64 v[2:3], v[2:3], -v[6:7]
	v_add_f64 v[4:5], v[4:5], -v[8:9]
	scratch_store_b128 off, v[2:5], off offset:64
	v_cmpx_lt_u32_e32 3, v174
	s_cbranch_execz .LBB61_391
; %bb.390:
	v_add_nc_u32_e64 v2, 0, 48
	v_mov_b32_e32 v3, v1
	v_mov_b32_e32 v4, v1
	scratch_load_b128 v[5:8], v2, off
	v_mov_b32_e32 v2, v1
	scratch_store_b128 off, v[1:4], off offset:48
	s_waitcnt vmcnt(0)
	ds_store_b128 v236, v[5:8]
.LBB61_391:
	s_or_b32 exec_lo, exec_lo, s2
	s_waitcnt lgkmcnt(0)
	s_waitcnt_vscnt null, 0x0
	s_barrier
	buffer_gl0_inv
	s_clause 0x8
	scratch_load_b128 v[34:37], off, off offset:64
	scratch_load_b128 v[38:41], off, off offset:80
	scratch_load_b128 v[30:33], off, off offset:96
	scratch_load_b128 v[26:29], off, off offset:112
	scratch_load_b128 v[22:25], off, off offset:128
	scratch_load_b128 v[18:21], off, off offset:144
	scratch_load_b128 v[14:17], off, off offset:160
	scratch_load_b128 v[10:13], off, off offset:176
	scratch_load_b128 v[6:9], off, off offset:192
	ds_load_b128 v[46:49], v1 offset:1056
	ds_load_b128 v[42:45], v1 offset:1072
	s_clause 0x1
	scratch_load_b128 v[2:5], off, off offset:48
	scratch_load_b128 v[52:55], off, off offset:208
	s_mov_b32 s2, exec_lo
	ds_load_b128 v[187:190], v1 offset:1104
	ds_load_b128 v[237:240], v1 offset:1232
	s_waitcnt vmcnt(10) lgkmcnt(3)
	v_mul_f64 v[56:57], v[48:49], v[36:37]
	v_mul_f64 v[36:37], v[46:47], v[36:37]
	s_waitcnt vmcnt(9) lgkmcnt(2)
	v_mul_f64 v[58:59], v[42:43], v[40:41]
	v_mul_f64 v[40:41], v[44:45], v[40:41]
	s_waitcnt vmcnt(7) lgkmcnt(1)
	v_mul_f64 v[64:65], v[189:190], v[28:29]
	v_fma_f64 v[56:57], v[46:47], v[34:35], -v[56:57]
	v_fma_f64 v[60:61], v[48:49], v[34:35], v[36:37]
	ds_load_b128 v[34:37], v1 offset:1088
	scratch_load_b128 v[46:49], off, off offset:224
	v_fma_f64 v[44:45], v[44:45], v[38:39], v[58:59]
	v_fma_f64 v[42:43], v[42:43], v[38:39], -v[40:41]
	scratch_load_b128 v[38:41], off, off offset:240
	v_fma_f64 v[64:65], v[187:188], v[26:27], -v[64:65]
	s_waitcnt lgkmcnt(0)
	v_mul_f64 v[62:63], v[34:35], v[32:33]
	v_mul_f64 v[32:33], v[36:37], v[32:33]
	v_add_f64 v[56:57], v[56:57], 0
	v_add_f64 v[58:59], v[60:61], 0
	v_mul_f64 v[60:61], v[187:188], v[28:29]
	v_fma_f64 v[36:37], v[36:37], v[30:31], v[62:63]
	v_fma_f64 v[62:63], v[34:35], v[30:31], -v[32:33]
	ds_load_b128 v[28:31], v1 offset:1120
	scratch_load_b128 v[32:35], off, off offset:256
	v_add_f64 v[56:57], v[56:57], v[42:43]
	v_add_f64 v[58:59], v[58:59], v[44:45]
	ds_load_b128 v[42:45], v1 offset:1136
	v_fma_f64 v[60:61], v[189:190], v[26:27], v[60:61]
	ds_load_b128 v[187:190], v1 offset:1168
	s_waitcnt vmcnt(9) lgkmcnt(2)
	v_mul_f64 v[66:67], v[28:29], v[24:25]
	v_mul_f64 v[68:69], v[30:31], v[24:25]
	scratch_load_b128 v[24:27], off, off offset:272
	v_add_f64 v[56:57], v[56:57], v[62:63]
	v_add_f64 v[36:37], v[58:59], v[36:37]
	s_waitcnt vmcnt(9) lgkmcnt(1)
	v_mul_f64 v[58:59], v[42:43], v[20:21]
	v_mul_f64 v[62:63], v[44:45], v[20:21]
	v_fma_f64 v[66:67], v[30:31], v[22:23], v[66:67]
	v_fma_f64 v[68:69], v[28:29], v[22:23], -v[68:69]
	ds_load_b128 v[20:23], v1 offset:1152
	scratch_load_b128 v[28:31], off, off offset:288
	v_add_f64 v[56:57], v[56:57], v[64:65]
	v_add_f64 v[36:37], v[36:37], v[60:61]
	s_waitcnt vmcnt(9) lgkmcnt(0)
	v_mul_f64 v[60:61], v[20:21], v[16:17]
	v_mul_f64 v[64:65], v[22:23], v[16:17]
	v_fma_f64 v[44:45], v[44:45], v[18:19], v[58:59]
	v_fma_f64 v[42:43], v[42:43], v[18:19], -v[62:63]
	scratch_load_b128 v[16:19], off, off offset:304
	s_waitcnt vmcnt(9)
	v_mul_f64 v[58:59], v[187:188], v[12:13]
	v_mul_f64 v[62:63], v[189:190], v[12:13]
	v_add_f64 v[56:57], v[56:57], v[68:69]
	v_add_f64 v[36:37], v[36:37], v[66:67]
	v_fma_f64 v[60:61], v[22:23], v[14:15], v[60:61]
	v_fma_f64 v[64:65], v[20:21], v[14:15], -v[64:65]
	ds_load_b128 v[12:15], v1 offset:1184
	scratch_load_b128 v[20:23], off, off offset:320
	v_fma_f64 v[58:59], v[189:190], v[10:11], v[58:59]
	v_fma_f64 v[62:63], v[187:188], v[10:11], -v[62:63]
	scratch_load_b128 v[187:190], off, off offset:352
	v_add_f64 v[56:57], v[56:57], v[42:43]
	v_add_f64 v[36:37], v[36:37], v[44:45]
	ds_load_b128 v[42:45], v1 offset:1200
	s_waitcnt vmcnt(10) lgkmcnt(1)
	v_mul_f64 v[66:67], v[12:13], v[8:9]
	v_mul_f64 v[68:69], v[14:15], v[8:9]
	scratch_load_b128 v[8:11], off, off offset:336
	v_add_f64 v[56:57], v[56:57], v[64:65]
	v_add_f64 v[36:37], v[36:37], v[60:61]
	s_waitcnt vmcnt(9) lgkmcnt(0)
	v_mul_f64 v[60:61], v[42:43], v[54:55]
	v_mul_f64 v[54:55], v[44:45], v[54:55]
	v_fma_f64 v[64:65], v[14:15], v[6:7], v[66:67]
	v_fma_f64 v[6:7], v[12:13], v[6:7], -v[68:69]
	ds_load_b128 v[12:15], v1 offset:1216
	v_add_f64 v[56:57], v[56:57], v[62:63]
	v_add_f64 v[36:37], v[36:37], v[58:59]
	v_fma_f64 v[60:61], v[44:45], v[52:53], v[60:61]
	v_fma_f64 v[52:53], v[42:43], v[52:53], -v[54:55]
	scratch_load_b128 v[42:45], off, off offset:368
	s_waitcnt vmcnt(9) lgkmcnt(0)
	v_mul_f64 v[58:59], v[12:13], v[48:49]
	v_mul_f64 v[48:49], v[14:15], v[48:49]
	v_add_f64 v[6:7], v[56:57], v[6:7]
	v_add_f64 v[36:37], v[36:37], v[64:65]
	s_waitcnt vmcnt(8)
	v_mul_f64 v[56:57], v[237:238], v[40:41]
	v_mul_f64 v[40:41], v[239:240], v[40:41]
	v_fma_f64 v[58:59], v[14:15], v[46:47], v[58:59]
	v_fma_f64 v[62:63], v[12:13], v[46:47], -v[48:49]
	ds_load_b128 v[12:15], v1 offset:1248
	scratch_load_b128 v[46:49], off, off offset:384
	v_add_f64 v[6:7], v[6:7], v[52:53]
	v_add_f64 v[36:37], v[36:37], v[60:61]
	ds_load_b128 v[52:55], v1 offset:1264
	s_waitcnt vmcnt(8) lgkmcnt(1)
	v_mul_f64 v[60:61], v[12:13], v[34:35]
	v_mul_f64 v[64:65], v[14:15], v[34:35]
	v_fma_f64 v[56:57], v[239:240], v[38:39], v[56:57]
	v_fma_f64 v[38:39], v[237:238], v[38:39], -v[40:41]
	ds_load_b128 v[237:240], v1 offset:1296
	v_add_f64 v[6:7], v[6:7], v[62:63]
	v_add_f64 v[40:41], v[36:37], v[58:59]
	scratch_load_b128 v[34:37], off, off offset:400
	s_waitcnt vmcnt(8) lgkmcnt(1)
	v_mul_f64 v[58:59], v[52:53], v[26:27]
	v_mul_f64 v[26:27], v[54:55], v[26:27]
	v_fma_f64 v[60:61], v[14:15], v[32:33], v[60:61]
	v_fma_f64 v[32:33], v[12:13], v[32:33], -v[64:65]
	ds_load_b128 v[12:15], v1 offset:1280
	s_waitcnt vmcnt(7) lgkmcnt(0)
	v_mul_f64 v[62:63], v[12:13], v[30:31]
	v_mul_f64 v[30:31], v[14:15], v[30:31]
	v_add_f64 v[6:7], v[6:7], v[38:39]
	v_add_f64 v[56:57], v[40:41], v[56:57]
	scratch_load_b128 v[38:41], off, off offset:416
	v_fma_f64 v[54:55], v[54:55], v[24:25], v[58:59]
	v_fma_f64 v[52:53], v[52:53], v[24:25], -v[26:27]
	scratch_load_b128 v[24:27], off, off offset:432
	v_fma_f64 v[58:59], v[14:15], v[28:29], v[62:63]
	v_add_f64 v[6:7], v[6:7], v[32:33]
	v_add_f64 v[32:33], v[56:57], v[60:61]
	s_waitcnt vmcnt(8)
	v_mul_f64 v[56:57], v[237:238], v[18:19]
	v_mul_f64 v[18:19], v[239:240], v[18:19]
	v_fma_f64 v[60:61], v[12:13], v[28:29], -v[30:31]
	ds_load_b128 v[12:15], v1 offset:1312
	scratch_load_b128 v[28:31], off, off offset:448
	v_add_f64 v[6:7], v[6:7], v[52:53]
	v_add_f64 v[32:33], v[32:33], v[54:55]
	ds_load_b128 v[52:55], v1 offset:1328
	s_waitcnt vmcnt(8) lgkmcnt(1)
	v_mul_f64 v[62:63], v[12:13], v[22:23]
	v_mul_f64 v[22:23], v[14:15], v[22:23]
	v_fma_f64 v[56:57], v[239:240], v[16:17], v[56:57]
	v_fma_f64 v[64:65], v[237:238], v[16:17], -v[18:19]
	scratch_load_b128 v[16:19], off, off offset:464
	ds_load_b128 v[237:240], v1 offset:1360
	v_add_f64 v[6:7], v[6:7], v[60:61]
	v_add_f64 v[32:33], v[32:33], v[58:59]
	s_waitcnt vmcnt(7) lgkmcnt(1)
	v_mul_f64 v[58:59], v[52:53], v[10:11]
	v_mul_f64 v[60:61], v[54:55], v[10:11]
	v_fma_f64 v[14:15], v[14:15], v[20:21], v[62:63]
	v_fma_f64 v[62:63], v[12:13], v[20:21], -v[22:23]
	ds_load_b128 v[10:13], v1 offset:1344
	scratch_load_b128 v[20:23], off, off offset:480
	v_add_f64 v[6:7], v[6:7], v[64:65]
	v_add_f64 v[32:33], v[32:33], v[56:57]
	s_waitcnt lgkmcnt(0)
	v_mul_f64 v[56:57], v[10:11], v[189:190]
	v_mul_f64 v[64:65], v[12:13], v[189:190]
	v_fma_f64 v[54:55], v[54:55], v[8:9], v[58:59]
	v_fma_f64 v[52:53], v[52:53], v[8:9], -v[60:61]
	v_add_f64 v[58:59], v[6:7], v[62:63]
	scratch_load_b128 v[6:9], off, off offset:496
	v_add_f64 v[14:15], v[32:33], v[14:15]
	s_waitcnt vmcnt(8)
	v_mul_f64 v[32:33], v[237:238], v[44:45]
	v_mul_f64 v[44:45], v[239:240], v[44:45]
	v_fma_f64 v[56:57], v[12:13], v[187:188], v[56:57]
	v_fma_f64 v[60:61], v[10:11], v[187:188], -v[64:65]
	ds_load_b128 v[10:13], v1 offset:1376
	ds_load_b128 v[187:190], v1 offset:1392
	s_waitcnt vmcnt(7) lgkmcnt(1)
	v_mul_f64 v[62:63], v[10:11], v[48:49]
	v_add_f64 v[58:59], v[58:59], v[52:53]
	v_add_f64 v[14:15], v[14:15], v[54:55]
	scratch_load_b128 v[52:55], off, off offset:512
	v_mul_f64 v[48:49], v[12:13], v[48:49]
	v_fma_f64 v[32:33], v[239:240], v[42:43], v[32:33]
	v_fma_f64 v[64:65], v[237:238], v[42:43], -v[44:45]
	scratch_load_b128 v[42:45], off, off offset:528
	ds_load_b128 v[237:240], v1 offset:1424
	v_add_f64 v[58:59], v[58:59], v[60:61]
	v_add_f64 v[14:15], v[14:15], v[56:57]
	v_fma_f64 v[60:61], v[12:13], v[46:47], v[62:63]
	v_fma_f64 v[62:63], v[10:11], v[46:47], -v[48:49]
	ds_load_b128 v[10:13], v1 offset:1408
	scratch_load_b128 v[46:49], off, off offset:544
	s_waitcnt vmcnt(9) lgkmcnt(2)
	v_mul_f64 v[56:57], v[187:188], v[36:37]
	v_mul_f64 v[36:37], v[189:190], v[36:37]
	v_add_f64 v[58:59], v[58:59], v[64:65]
	v_add_f64 v[14:15], v[14:15], v[32:33]
	s_waitcnt vmcnt(8) lgkmcnt(0)
	v_mul_f64 v[64:65], v[10:11], v[40:41]
	v_mul_f64 v[40:41], v[12:13], v[40:41]
	v_fma_f64 v[56:57], v[189:190], v[34:35], v[56:57]
	v_fma_f64 v[36:37], v[187:188], v[34:35], -v[36:37]
	scratch_load_b128 v[32:35], off, off offset:560
	ds_load_b128 v[187:190], v1 offset:1456
	v_add_f64 v[58:59], v[58:59], v[62:63]
	v_add_f64 v[14:15], v[14:15], v[60:61]
	s_waitcnt vmcnt(8)
	v_mul_f64 v[60:61], v[237:238], v[26:27]
	v_mul_f64 v[26:27], v[239:240], v[26:27]
	v_fma_f64 v[62:63], v[12:13], v[38:39], v[64:65]
	v_fma_f64 v[40:41], v[10:11], v[38:39], -v[40:41]
	ds_load_b128 v[10:13], v1 offset:1440
	v_add_f64 v[58:59], v[58:59], v[36:37]
	v_add_f64 v[14:15], v[14:15], v[56:57]
	scratch_load_b128 v[36:39], off, off offset:576
	s_waitcnt vmcnt(8) lgkmcnt(0)
	v_mul_f64 v[56:57], v[10:11], v[30:31]
	v_mul_f64 v[30:31], v[12:13], v[30:31]
	v_fma_f64 v[60:61], v[239:240], v[24:25], v[60:61]
	v_fma_f64 v[64:65], v[237:238], v[24:25], -v[26:27]
	scratch_load_b128 v[24:27], off, off offset:592
	ds_load_b128 v[237:240], v1 offset:1488
	v_add_f64 v[40:41], v[58:59], v[40:41]
	v_add_f64 v[14:15], v[14:15], v[62:63]
	s_waitcnt vmcnt(8)
	v_mul_f64 v[58:59], v[187:188], v[18:19]
	v_mul_f64 v[18:19], v[189:190], v[18:19]
	v_fma_f64 v[56:57], v[12:13], v[28:29], v[56:57]
	v_fma_f64 v[62:63], v[10:11], v[28:29], -v[30:31]
	ds_load_b128 v[10:13], v1 offset:1472
	scratch_load_b128 v[28:31], off, off offset:608
	v_add_f64 v[40:41], v[40:41], v[64:65]
	v_add_f64 v[14:15], v[14:15], v[60:61]
	s_waitcnt vmcnt(8) lgkmcnt(0)
	v_mul_f64 v[60:61], v[10:11], v[22:23]
	v_mul_f64 v[22:23], v[12:13], v[22:23]
	v_fma_f64 v[58:59], v[189:190], v[16:17], v[58:59]
	v_fma_f64 v[18:19], v[187:188], v[16:17], -v[18:19]
	ds_load_b128 v[187:190], v1 offset:1520
	v_add_f64 v[40:41], v[40:41], v[62:63]
	v_add_f64 v[56:57], v[14:15], v[56:57]
	scratch_load_b128 v[14:17], off, off offset:624
	v_fma_f64 v[12:13], v[12:13], v[20:21], v[60:61]
	v_fma_f64 v[22:23], v[10:11], v[20:21], -v[22:23]
	s_waitcnt vmcnt(8)
	v_mul_f64 v[62:63], v[237:238], v[8:9]
	v_mul_f64 v[64:65], v[239:240], v[8:9]
	ds_load_b128 v[8:11], v1 offset:1504
	v_add_f64 v[40:41], v[40:41], v[18:19]
	v_add_f64 v[56:57], v[56:57], v[58:59]
	scratch_load_b128 v[18:21], off, off offset:640
	v_fma_f64 v[60:61], v[239:240], v[6:7], v[62:63]
	v_fma_f64 v[6:7], v[237:238], v[6:7], -v[64:65]
	scratch_load_b128 v[237:240], off, off offset:656
	s_waitcnt vmcnt(9) lgkmcnt(0)
	v_mul_f64 v[58:59], v[8:9], v[54:55]
	v_mul_f64 v[54:55], v[10:11], v[54:55]
	v_add_f64 v[22:23], v[40:41], v[22:23]
	v_add_f64 v[12:13], v[56:57], v[12:13]
	s_waitcnt vmcnt(8)
	v_mul_f64 v[40:41], v[187:188], v[44:45]
	v_mul_f64 v[44:45], v[189:190], v[44:45]
	v_fma_f64 v[56:57], v[10:11], v[52:53], v[58:59]
	v_fma_f64 v[58:59], v[8:9], v[52:53], -v[54:55]
	ds_load_b128 v[52:55], v1 offset:1552
	v_add_f64 v[22:23], v[22:23], v[6:7]
	v_add_f64 v[60:61], v[12:13], v[60:61]
	ds_load_b128 v[6:9], v1 offset:1536
	scratch_load_b128 v[10:13], off, off offset:672
	v_fma_f64 v[64:65], v[189:190], v[42:43], v[40:41]
	v_fma_f64 v[44:45], v[187:188], v[42:43], -v[44:45]
	scratch_load_b128 v[40:43], off, off offset:688
	ds_load_b128 v[187:190], v1 offset:1584
	s_waitcnt vmcnt(9) lgkmcnt(1)
	v_mul_f64 v[62:63], v[6:7], v[48:49]
	v_mul_f64 v[48:49], v[8:9], v[48:49]
	v_add_f64 v[22:23], v[22:23], v[58:59]
	v_add_f64 v[56:57], v[60:61], v[56:57]
	s_waitcnt vmcnt(8)
	v_mul_f64 v[58:59], v[52:53], v[34:35]
	v_mul_f64 v[34:35], v[54:55], v[34:35]
	v_fma_f64 v[60:61], v[8:9], v[46:47], v[62:63]
	v_fma_f64 v[48:49], v[6:7], v[46:47], -v[48:49]
	ds_load_b128 v[6:9], v1 offset:1568
	v_add_f64 v[22:23], v[22:23], v[44:45]
	v_add_f64 v[56:57], v[56:57], v[64:65]
	scratch_load_b128 v[44:47], off, off offset:704
	v_fma_f64 v[54:55], v[54:55], v[32:33], v[58:59]
	v_fma_f64 v[52:53], v[52:53], v[32:33], -v[34:35]
	scratch_load_b128 v[32:35], off, off offset:720
	s_waitcnt vmcnt(9) lgkmcnt(0)
	v_mul_f64 v[62:63], v[6:7], v[38:39]
	v_mul_f64 v[38:39], v[8:9], v[38:39]
	v_add_f64 v[22:23], v[22:23], v[48:49]
	v_add_f64 v[48:49], v[56:57], v[60:61]
	s_waitcnt vmcnt(8)
	v_mul_f64 v[56:57], v[187:188], v[26:27]
	v_mul_f64 v[26:27], v[189:190], v[26:27]
	v_fma_f64 v[58:59], v[8:9], v[36:37], v[62:63]
	v_fma_f64 v[60:61], v[6:7], v[36:37], -v[38:39]
	ds_load_b128 v[6:9], v1 offset:1600
	scratch_load_b128 v[36:39], off, off offset:736
	v_add_f64 v[22:23], v[22:23], v[52:53]
	v_add_f64 v[48:49], v[48:49], v[54:55]
	ds_load_b128 v[52:55], v1 offset:1616
	s_waitcnt vmcnt(8) lgkmcnt(1)
	v_mul_f64 v[62:63], v[6:7], v[30:31]
	v_mul_f64 v[30:31], v[8:9], v[30:31]
	v_fma_f64 v[56:57], v[189:190], v[24:25], v[56:57]
	v_fma_f64 v[26:27], v[187:188], v[24:25], -v[26:27]
	ds_load_b128 v[187:190], v1 offset:1648
	v_add_f64 v[60:61], v[22:23], v[60:61]
	scratch_load_b128 v[22:25], off, off offset:752
	v_add_f64 v[48:49], v[48:49], v[58:59]
	v_fma_f64 v[62:63], v[8:9], v[28:29], v[62:63]
	v_fma_f64 v[30:31], v[6:7], v[28:29], -v[30:31]
	ds_load_b128 v[6:9], v1 offset:1632
	s_waitcnt vmcnt(8) lgkmcnt(2)
	v_mul_f64 v[58:59], v[52:53], v[16:17]
	v_mul_f64 v[16:17], v[54:55], v[16:17]
	v_add_f64 v[60:61], v[60:61], v[26:27]
	scratch_load_b128 v[26:29], off, off offset:768
	v_add_f64 v[48:49], v[48:49], v[56:57]
	s_waitcnt vmcnt(8) lgkmcnt(0)
	v_mul_f64 v[56:57], v[6:7], v[20:21]
	v_mul_f64 v[20:21], v[8:9], v[20:21]
	v_fma_f64 v[54:55], v[54:55], v[14:15], v[58:59]
	v_fma_f64 v[52:53], v[52:53], v[14:15], -v[16:17]
	scratch_load_b128 v[14:17], off, off offset:784
	s_waitcnt vmcnt(8)
	v_mul_f64 v[58:59], v[187:188], v[239:240]
	v_add_f64 v[30:31], v[60:61], v[30:31]
	v_mul_f64 v[60:61], v[189:190], v[239:240]
	v_add_f64 v[48:49], v[48:49], v[62:63]
	v_fma_f64 v[56:57], v[8:9], v[18:19], v[56:57]
	v_fma_f64 v[62:63], v[6:7], v[18:19], -v[20:21]
	ds_load_b128 v[6:9], v1 offset:1664
	scratch_load_b128 v[18:21], off, off offset:800
	v_fma_f64 v[58:59], v[189:190], v[237:238], v[58:59]
	v_add_f64 v[30:31], v[30:31], v[52:53]
	v_fma_f64 v[60:61], v[187:188], v[237:238], -v[60:61]
	scratch_load_b128 v[187:190], off, off offset:816
	v_add_f64 v[48:49], v[48:49], v[54:55]
	ds_load_b128 v[52:55], v1 offset:1680
	ds_load_b128 v[237:240], v1 offset:1712
	s_waitcnt vmcnt(9) lgkmcnt(2)
	v_mul_f64 v[64:65], v[6:7], v[12:13]
	v_mul_f64 v[12:13], v[8:9], v[12:13]
	v_add_f64 v[30:31], v[30:31], v[62:63]
	v_add_f64 v[48:49], v[48:49], v[56:57]
	s_waitcnt vmcnt(8) lgkmcnt(1)
	v_mul_f64 v[56:57], v[52:53], v[42:43]
	v_mul_f64 v[42:43], v[54:55], v[42:43]
	v_fma_f64 v[62:63], v[8:9], v[10:11], v[64:65]
	v_fma_f64 v[64:65], v[6:7], v[10:11], -v[12:13]
	ds_load_b128 v[6:9], v1 offset:1696
	scratch_load_b128 v[10:13], off, off offset:832
	v_add_f64 v[30:31], v[30:31], v[60:61]
	v_add_f64 v[48:49], v[48:49], v[58:59]
	v_fma_f64 v[54:55], v[54:55], v[40:41], v[56:57]
	v_fma_f64 v[52:53], v[52:53], v[40:41], -v[42:43]
	scratch_load_b128 v[40:43], off, off offset:848
	s_waitcnt vmcnt(9) lgkmcnt(0)
	v_mul_f64 v[58:59], v[6:7], v[46:47]
	v_mul_f64 v[46:47], v[8:9], v[46:47]
	s_waitcnt vmcnt(8)
	v_mul_f64 v[56:57], v[237:238], v[34:35]
	v_mul_f64 v[34:35], v[239:240], v[34:35]
	v_add_f64 v[30:31], v[30:31], v[64:65]
	v_add_f64 v[48:49], v[48:49], v[62:63]
	v_fma_f64 v[58:59], v[8:9], v[44:45], v[58:59]
	v_fma_f64 v[60:61], v[6:7], v[44:45], -v[46:47]
	ds_load_b128 v[6:9], v1 offset:1728
	scratch_load_b128 v[44:47], off, off offset:864
	v_fma_f64 v[56:57], v[239:240], v[32:33], v[56:57]
	v_fma_f64 v[34:35], v[237:238], v[32:33], -v[34:35]
	ds_load_b128 v[237:240], v1 offset:1776
	v_add_f64 v[30:31], v[30:31], v[52:53]
	v_add_f64 v[48:49], v[48:49], v[54:55]
	ds_load_b128 v[52:55], v1 offset:1744
	s_waitcnt vmcnt(8) lgkmcnt(2)
	v_mul_f64 v[62:63], v[6:7], v[38:39]
	v_mul_f64 v[38:39], v[8:9], v[38:39]
	v_add_f64 v[60:61], v[30:31], v[60:61]
	scratch_load_b128 v[30:33], off, off offset:880
	v_add_f64 v[48:49], v[48:49], v[58:59]
	v_fma_f64 v[62:63], v[8:9], v[36:37], v[62:63]
	v_fma_f64 v[38:39], v[6:7], v[36:37], -v[38:39]
	ds_load_b128 v[6:9], v1 offset:1760
	s_waitcnt vmcnt(8) lgkmcnt(1)
	v_mul_f64 v[58:59], v[52:53], v[24:25]
	v_mul_f64 v[24:25], v[54:55], v[24:25]
	v_add_f64 v[60:61], v[60:61], v[34:35]
	scratch_load_b128 v[34:37], off, off offset:896
	v_add_f64 v[48:49], v[48:49], v[56:57]
	s_waitcnt vmcnt(8) lgkmcnt(0)
	v_mul_f64 v[56:57], v[6:7], v[28:29]
	v_mul_f64 v[28:29], v[8:9], v[28:29]
	v_fma_f64 v[54:55], v[54:55], v[22:23], v[58:59]
	v_fma_f64 v[52:53], v[52:53], v[22:23], -v[24:25]
	scratch_load_b128 v[22:25], off, off offset:912
	s_waitcnt vmcnt(8)
	v_mul_f64 v[58:59], v[237:238], v[16:17]
	v_add_f64 v[38:39], v[60:61], v[38:39]
	v_mul_f64 v[16:17], v[239:240], v[16:17]
	v_add_f64 v[48:49], v[48:49], v[62:63]
	v_fma_f64 v[56:57], v[8:9], v[26:27], v[56:57]
	v_fma_f64 v[60:61], v[6:7], v[26:27], -v[28:29]
	ds_load_b128 v[6:9], v1 offset:1792
	scratch_load_b128 v[26:29], off, off offset:928
	v_fma_f64 v[58:59], v[239:240], v[14:15], v[58:59]
	v_add_f64 v[38:39], v[38:39], v[52:53]
	v_fma_f64 v[64:65], v[237:238], v[14:15], -v[16:17]
	scratch_load_b128 v[14:17], off, off offset:944
	v_add_f64 v[48:49], v[48:49], v[54:55]
	ds_load_b128 v[52:55], v1 offset:1808
	s_waitcnt vmcnt(9) lgkmcnt(1)
	v_mul_f64 v[62:63], v[6:7], v[20:21]
	v_mul_f64 v[20:21], v[8:9], v[20:21]
	ds_load_b128 v[237:240], v1 offset:1840
	v_add_f64 v[38:39], v[38:39], v[60:61]
	s_waitcnt vmcnt(8) lgkmcnt(1)
	v_mul_f64 v[60:61], v[54:55], v[189:190]
	v_add_f64 v[48:49], v[48:49], v[56:57]
	v_mul_f64 v[56:57], v[52:53], v[189:190]
	v_fma_f64 v[62:63], v[8:9], v[18:19], v[62:63]
	v_fma_f64 v[66:67], v[6:7], v[18:19], -v[20:21]
	ds_load_b128 v[6:9], v1 offset:1824
	scratch_load_b128 v[18:21], off, off offset:960
	v_add_f64 v[38:39], v[38:39], v[64:65]
	v_fma_f64 v[60:61], v[52:53], v[187:188], -v[60:61]
	v_add_f64 v[48:49], v[48:49], v[58:59]
	s_waitcnt vmcnt(8) lgkmcnt(0)
	v_mul_f64 v[58:59], v[6:7], v[12:13]
	v_mul_f64 v[12:13], v[8:9], v[12:13]
	v_fma_f64 v[56:57], v[54:55], v[187:188], v[56:57]
	scratch_load_b128 v[52:55], off, off offset:976
	v_add_f64 v[38:39], v[38:39], v[66:67]
	v_add_f64 v[48:49], v[48:49], v[62:63]
	s_waitcnt vmcnt(8)
	v_mul_f64 v[62:63], v[237:238], v[42:43]
	v_mul_f64 v[42:43], v[239:240], v[42:43]
	v_fma_f64 v[58:59], v[8:9], v[10:11], v[58:59]
	v_fma_f64 v[64:65], v[6:7], v[10:11], -v[12:13]
	ds_load_b128 v[6:9], v1 offset:1856
	ds_load_b128 v[10:13], v1 offset:1872
	v_add_f64 v[38:39], v[38:39], v[60:61]
	v_add_f64 v[48:49], v[48:49], v[56:57]
	s_waitcnt vmcnt(7) lgkmcnt(1)
	v_mul_f64 v[56:57], v[6:7], v[46:47]
	v_mul_f64 v[46:47], v[8:9], v[46:47]
	v_fma_f64 v[60:61], v[239:240], v[40:41], v[62:63]
	v_fma_f64 v[40:41], v[237:238], v[40:41], -v[42:43]
	v_add_f64 v[38:39], v[38:39], v[64:65]
	v_add_f64 v[42:43], v[48:49], v[58:59]
	v_fma_f64 v[56:57], v[8:9], v[44:45], v[56:57]
	v_fma_f64 v[44:45], v[6:7], v[44:45], -v[46:47]
	s_waitcnt vmcnt(6) lgkmcnt(0)
	v_mul_f64 v[48:49], v[10:11], v[32:33]
	v_mul_f64 v[32:33], v[12:13], v[32:33]
	v_add_f64 v[46:47], v[38:39], v[40:41]
	ds_load_b128 v[6:9], v1 offset:1888
	ds_load_b128 v[38:41], v1 offset:1904
	v_add_f64 v[42:43], v[42:43], v[60:61]
	v_fma_f64 v[12:13], v[12:13], v[30:31], v[48:49]
	v_fma_f64 v[10:11], v[10:11], v[30:31], -v[32:33]
	s_waitcnt vmcnt(5) lgkmcnt(1)
	v_mul_f64 v[58:59], v[6:7], v[36:37]
	v_mul_f64 v[36:37], v[8:9], v[36:37]
	v_add_f64 v[30:31], v[46:47], v[44:45]
	v_add_f64 v[32:33], v[42:43], v[56:57]
	s_waitcnt vmcnt(4) lgkmcnt(0)
	v_mul_f64 v[42:43], v[38:39], v[24:25]
	v_mul_f64 v[24:25], v[40:41], v[24:25]
	v_fma_f64 v[44:45], v[8:9], v[34:35], v[58:59]
	v_fma_f64 v[34:35], v[6:7], v[34:35], -v[36:37]
	v_add_f64 v[30:31], v[30:31], v[10:11]
	v_add_f64 v[32:33], v[32:33], v[12:13]
	ds_load_b128 v[6:9], v1 offset:1920
	ds_load_b128 v[10:13], v1 offset:1936
	v_fma_f64 v[40:41], v[40:41], v[22:23], v[42:43]
	v_fma_f64 v[22:23], v[38:39], v[22:23], -v[24:25]
	s_waitcnt vmcnt(3) lgkmcnt(1)
	v_mul_f64 v[36:37], v[6:7], v[28:29]
	v_mul_f64 v[28:29], v[8:9], v[28:29]
	v_add_f64 v[24:25], v[30:31], v[34:35]
	v_add_f64 v[30:31], v[32:33], v[44:45]
	s_waitcnt vmcnt(2) lgkmcnt(0)
	v_mul_f64 v[32:33], v[10:11], v[16:17]
	v_mul_f64 v[16:17], v[12:13], v[16:17]
	v_fma_f64 v[34:35], v[8:9], v[26:27], v[36:37]
	v_fma_f64 v[26:27], v[6:7], v[26:27], -v[28:29]
	v_add_f64 v[28:29], v[24:25], v[22:23]
	ds_load_b128 v[6:9], v1 offset:1952
	ds_load_b128 v[22:25], v1 offset:1968
	v_add_f64 v[30:31], v[30:31], v[40:41]
	v_fma_f64 v[12:13], v[12:13], v[14:15], v[32:33]
	v_fma_f64 v[10:11], v[10:11], v[14:15], -v[16:17]
	s_waitcnt vmcnt(1) lgkmcnt(1)
	v_mul_f64 v[36:37], v[6:7], v[20:21]
	v_mul_f64 v[20:21], v[8:9], v[20:21]
	v_add_f64 v[14:15], v[28:29], v[26:27]
	s_waitcnt vmcnt(0) lgkmcnt(0)
	v_mul_f64 v[26:27], v[22:23], v[54:55]
	v_mul_f64 v[28:29], v[24:25], v[54:55]
	v_add_f64 v[16:17], v[30:31], v[34:35]
	v_fma_f64 v[8:9], v[8:9], v[18:19], v[36:37]
	v_fma_f64 v[6:7], v[6:7], v[18:19], -v[20:21]
	v_add_f64 v[10:11], v[14:15], v[10:11]
	v_fma_f64 v[14:15], v[24:25], v[52:53], v[26:27]
	v_add_f64 v[12:13], v[16:17], v[12:13]
	v_fma_f64 v[16:17], v[22:23], v[52:53], -v[28:29]
	s_delay_alu instid0(VALU_DEP_4) | instskip(NEXT) | instid1(VALU_DEP_3)
	v_add_f64 v[6:7], v[10:11], v[6:7]
	v_add_f64 v[8:9], v[12:13], v[8:9]
	s_delay_alu instid0(VALU_DEP_2) | instskip(NEXT) | instid1(VALU_DEP_2)
	v_add_f64 v[6:7], v[6:7], v[16:17]
	v_add_f64 v[8:9], v[8:9], v[14:15]
	s_delay_alu instid0(VALU_DEP_2) | instskip(NEXT) | instid1(VALU_DEP_2)
	v_add_f64 v[1:2], v[2:3], -v[6:7]
	v_add_f64 v[3:4], v[4:5], -v[8:9]
	scratch_store_b128 off, v[1:4], off offset:48
	v_cmpx_lt_u32_e32 2, v174
	s_cbranch_execz .LBB61_393
; %bb.392:
	v_add_nc_u32_e64 v1, 0, 32
	v_mov_b32_e32 v5, 0
	scratch_load_b128 v[1:4], v1, off
	v_mov_b32_e32 v6, v5
	v_mov_b32_e32 v7, v5
	;; [unrolled: 1-line block ×3, first 2 shown]
	scratch_store_b128 off, v[5:8], off offset:32
	s_waitcnt vmcnt(0)
	ds_store_b128 v236, v[1:4]
.LBB61_393:
	s_or_b32 exec_lo, exec_lo, s2
	s_waitcnt lgkmcnt(0)
	s_waitcnt_vscnt null, 0x0
	s_barrier
	buffer_gl0_inv
	s_clause 0x7
	scratch_load_b128 v[34:37], off, off offset:48
	scratch_load_b128 v[38:41], off, off offset:64
	;; [unrolled: 1-line block ×8, first 2 shown]
	v_mov_b32_e32 v1, 0
	s_mov_b32 s2, exec_lo
	ds_load_b128 v[46:49], v1 offset:1040
	s_clause 0x2
	scratch_load_b128 v[14:17], off, off offset:176
	scratch_load_b128 v[2:5], off, off offset:32
	;; [unrolled: 1-line block ×3, first 2 shown]
	ds_load_b128 v[42:45], v1 offset:1056
	ds_load_b128 v[187:190], v1 offset:1088
	;; [unrolled: 1-line block ×3, first 2 shown]
	s_waitcnt vmcnt(10) lgkmcnt(3)
	v_mul_f64 v[56:57], v[48:49], v[36:37]
	v_mul_f64 v[36:37], v[46:47], v[36:37]
	s_delay_alu instid0(VALU_DEP_2) | instskip(NEXT) | instid1(VALU_DEP_2)
	v_fma_f64 v[56:57], v[46:47], v[34:35], -v[56:57]
	v_fma_f64 v[60:61], v[48:49], v[34:35], v[36:37]
	ds_load_b128 v[34:37], v1 offset:1072
	s_waitcnt vmcnt(9) lgkmcnt(3)
	v_mul_f64 v[58:59], v[42:43], v[40:41]
	v_mul_f64 v[40:41], v[44:45], v[40:41]
	scratch_load_b128 v[46:49], off, off offset:208
	s_waitcnt vmcnt(9) lgkmcnt(0)
	v_mul_f64 v[62:63], v[34:35], v[32:33]
	v_mul_f64 v[32:33], v[36:37], v[32:33]
	v_add_f64 v[56:57], v[56:57], 0
	v_fma_f64 v[44:45], v[44:45], v[38:39], v[58:59]
	v_fma_f64 v[42:43], v[42:43], v[38:39], -v[40:41]
	v_add_f64 v[58:59], v[60:61], 0
	scratch_load_b128 v[38:41], off, off offset:224
	v_fma_f64 v[36:37], v[36:37], v[30:31], v[62:63]
	v_fma_f64 v[62:63], v[34:35], v[30:31], -v[32:33]
	scratch_load_b128 v[32:35], off, off offset:240
	v_add_f64 v[56:57], v[56:57], v[42:43]
	v_add_f64 v[58:59], v[58:59], v[44:45]
	ds_load_b128 v[42:45], v1 offset:1120
	s_waitcnt vmcnt(10)
	v_mul_f64 v[60:61], v[187:188], v[28:29]
	v_mul_f64 v[64:65], v[189:190], v[28:29]
	ds_load_b128 v[28:31], v1 offset:1104
	v_add_f64 v[56:57], v[56:57], v[62:63]
	v_add_f64 v[36:37], v[58:59], v[36:37]
	s_waitcnt vmcnt(8) lgkmcnt(1)
	v_mul_f64 v[58:59], v[42:43], v[20:21]
	v_fma_f64 v[60:61], v[189:190], v[26:27], v[60:61]
	v_fma_f64 v[64:65], v[187:188], v[26:27], -v[64:65]
	ds_load_b128 v[187:190], v1 offset:1152
	s_waitcnt lgkmcnt(1)
	v_mul_f64 v[66:67], v[28:29], v[24:25]
	v_mul_f64 v[68:69], v[30:31], v[24:25]
	scratch_load_b128 v[24:27], off, off offset:256
	v_mul_f64 v[62:63], v[44:45], v[20:21]
	v_fma_f64 v[58:59], v[44:45], v[18:19], v[58:59]
	v_add_f64 v[36:37], v[36:37], v[60:61]
	v_add_f64 v[56:57], v[56:57], v[64:65]
	s_waitcnt vmcnt(7) lgkmcnt(0)
	v_mul_f64 v[64:65], v[189:190], v[8:9]
	v_fma_f64 v[66:67], v[30:31], v[22:23], v[66:67]
	v_fma_f64 v[68:69], v[28:29], v[22:23], -v[68:69]
	scratch_load_b128 v[28:31], off, off offset:272
	ds_load_b128 v[20:23], v1 offset:1136
	v_fma_f64 v[18:19], v[42:43], v[18:19], -v[62:63]
	v_mul_f64 v[62:63], v[187:188], v[8:9]
	scratch_load_b128 v[42:45], off, off offset:288
	s_waitcnt lgkmcnt(0)
	v_mul_f64 v[60:61], v[20:21], v[12:13]
	v_mul_f64 v[12:13], v[22:23], v[12:13]
	v_add_f64 v[36:37], v[36:37], v[66:67]
	v_add_f64 v[56:57], v[56:57], v[68:69]
	s_delay_alu instid0(VALU_DEP_4) | instskip(NEXT) | instid1(VALU_DEP_4)
	v_fma_f64 v[22:23], v[22:23], v[10:11], v[60:61]
	v_fma_f64 v[12:13], v[20:21], v[10:11], -v[12:13]
	ds_load_b128 v[8:11], v1 offset:1168
	v_fma_f64 v[60:61], v[189:190], v[6:7], v[62:63]
	v_fma_f64 v[6:7], v[187:188], v[6:7], -v[64:65]
	scratch_load_b128 v[187:190], off, off offset:320
	v_add_f64 v[36:37], v[36:37], v[58:59]
	v_add_f64 v[56:57], v[56:57], v[18:19]
	scratch_load_b128 v[18:21], off, off offset:304
	v_add_f64 v[22:23], v[36:37], v[22:23]
	s_waitcnt vmcnt(8)
	v_mul_f64 v[36:37], v[237:238], v[54:55]
	v_mul_f64 v[54:55], v[239:240], v[54:55]
	v_add_f64 v[12:13], v[56:57], v[12:13]
	s_delay_alu instid0(VALU_DEP_4) | instskip(NEXT) | instid1(VALU_DEP_4)
	v_add_f64 v[22:23], v[22:23], v[60:61]
	v_fma_f64 v[36:37], v[239:240], v[52:53], v[36:37]
	s_delay_alu instid0(VALU_DEP_4)
	v_fma_f64 v[64:65], v[237:238], v[52:53], -v[54:55]
	ds_load_b128 v[237:240], v1 offset:1248
	s_waitcnt lgkmcnt(1)
	v_mul_f64 v[58:59], v[8:9], v[16:17]
	v_mul_f64 v[16:17], v[10:11], v[16:17]
	v_add_f64 v[62:63], v[12:13], v[6:7]
	scratch_load_b128 v[52:55], off, off offset:352
	v_fma_f64 v[56:57], v[10:11], v[14:15], v[58:59]
	v_fma_f64 v[58:59], v[8:9], v[14:15], -v[16:17]
	ds_load_b128 v[6:9], v1 offset:1200
	ds_load_b128 v[14:17], v1 offset:1216
	scratch_load_b128 v[10:13], off, off offset:336
	s_waitcnt vmcnt(9) lgkmcnt(1)
	v_mul_f64 v[60:61], v[6:7], v[48:49]
	v_mul_f64 v[48:49], v[8:9], v[48:49]
	v_add_f64 v[22:23], v[22:23], v[56:57]
	v_add_f64 v[58:59], v[62:63], v[58:59]
	s_waitcnt vmcnt(8) lgkmcnt(0)
	v_mul_f64 v[56:57], v[14:15], v[40:41]
	v_mul_f64 v[40:41], v[16:17], v[40:41]
	v_fma_f64 v[60:61], v[8:9], v[46:47], v[60:61]
	v_fma_f64 v[62:63], v[6:7], v[46:47], -v[48:49]
	ds_load_b128 v[6:9], v1 offset:1232
	scratch_load_b128 v[46:49], off, off offset:368
	v_add_f64 v[22:23], v[22:23], v[36:37]
	v_add_f64 v[58:59], v[58:59], v[64:65]
	v_fma_f64 v[56:57], v[16:17], v[38:39], v[56:57]
	v_fma_f64 v[38:39], v[14:15], v[38:39], -v[40:41]
	scratch_load_b128 v[14:17], off, off offset:384
	v_add_f64 v[22:23], v[22:23], v[60:61]
	v_add_f64 v[40:41], v[58:59], v[62:63]
	s_waitcnt vmcnt(8)
	v_mul_f64 v[58:59], v[237:238], v[26:27]
	v_mul_f64 v[26:27], v[239:240], v[26:27]
	s_delay_alu instid0(VALU_DEP_4) | instskip(NEXT) | instid1(VALU_DEP_4)
	v_add_f64 v[22:23], v[22:23], v[56:57]
	v_add_f64 v[40:41], v[40:41], v[38:39]
	s_delay_alu instid0(VALU_DEP_4) | instskip(NEXT) | instid1(VALU_DEP_4)
	v_fma_f64 v[58:59], v[239:240], v[24:25], v[58:59]
	v_fma_f64 v[26:27], v[237:238], v[24:25], -v[26:27]
	ds_load_b128 v[237:240], v1 offset:1312
	s_waitcnt lgkmcnt(1)
	v_mul_f64 v[36:37], v[6:7], v[34:35]
	v_mul_f64 v[34:35], v[8:9], v[34:35]
	s_delay_alu instid0(VALU_DEP_2) | instskip(NEXT) | instid1(VALU_DEP_2)
	v_fma_f64 v[60:61], v[8:9], v[32:33], v[36:37]
	v_fma_f64 v[62:63], v[6:7], v[32:33], -v[34:35]
	scratch_load_b128 v[32:35], off, off offset:400
	ds_load_b128 v[6:9], v1 offset:1264
	ds_load_b128 v[36:39], v1 offset:1280
	s_waitcnt vmcnt(8) lgkmcnt(1)
	v_mul_f64 v[56:57], v[6:7], v[30:31]
	v_mul_f64 v[30:31], v[8:9], v[30:31]
	v_add_f64 v[60:61], v[22:23], v[60:61]
	v_add_f64 v[40:41], v[40:41], v[62:63]
	s_waitcnt vmcnt(7) lgkmcnt(0)
	v_mul_f64 v[62:63], v[36:37], v[44:45]
	v_mul_f64 v[44:45], v[38:39], v[44:45]
	scratch_load_b128 v[22:25], off, off offset:416
	v_fma_f64 v[56:57], v[8:9], v[28:29], v[56:57]
	v_fma_f64 v[30:31], v[6:7], v[28:29], -v[30:31]
	ds_load_b128 v[6:9], v1 offset:1296
	v_add_f64 v[58:59], v[60:61], v[58:59]
	v_add_f64 v[40:41], v[40:41], v[26:27]
	v_fma_f64 v[62:63], v[38:39], v[42:43], v[62:63]
	v_fma_f64 v[42:43], v[36:37], v[42:43], -v[44:45]
	s_waitcnt vmcnt(7)
	v_mul_f64 v[44:45], v[237:238], v[189:190]
	s_clause 0x1
	scratch_load_b128 v[26:29], off, off offset:432
	scratch_load_b128 v[36:39], off, off offset:448
	v_add_f64 v[30:31], v[40:41], v[30:31]
	v_add_f64 v[40:41], v[58:59], v[56:57]
	v_mul_f64 v[56:57], v[239:240], v[189:190]
	v_fma_f64 v[44:45], v[239:240], v[187:188], v[44:45]
	s_delay_alu instid0(VALU_DEP_4) | instskip(NEXT) | instid1(VALU_DEP_4)
	v_add_f64 v[30:31], v[30:31], v[42:43]
	v_add_f64 v[62:63], v[40:41], v[62:63]
	ds_load_b128 v[40:43], v1 offset:1344
	s_waitcnt vmcnt(8) lgkmcnt(1)
	v_mul_f64 v[60:61], v[6:7], v[20:21]
	v_mul_f64 v[20:21], v[8:9], v[20:21]
	v_fma_f64 v[56:57], v[237:238], v[187:188], -v[56:57]
	scratch_load_b128 v[187:190], off, off offset:480
	ds_load_b128 v[237:240], v1 offset:1376
	v_fma_f64 v[58:59], v[8:9], v[18:19], v[60:61]
	v_fma_f64 v[60:61], v[6:7], v[18:19], -v[20:21]
	ds_load_b128 v[6:9], v1 offset:1328
	scratch_load_b128 v[18:21], off, off offset:464
	s_waitcnt vmcnt(8) lgkmcnt(0)
	v_mul_f64 v[64:65], v[6:7], v[12:13]
	v_mul_f64 v[12:13], v[8:9], v[12:13]
	v_add_f64 v[58:59], v[62:63], v[58:59]
	v_add_f64 v[30:31], v[30:31], v[60:61]
	v_mul_f64 v[60:61], v[40:41], v[54:55]
	v_mul_f64 v[54:55], v[42:43], v[54:55]
	v_fma_f64 v[62:63], v[8:9], v[10:11], v[64:65]
	v_fma_f64 v[64:65], v[6:7], v[10:11], -v[12:13]
	ds_load_b128 v[6:9], v1 offset:1360
	scratch_load_b128 v[10:13], off, off offset:496
	v_add_f64 v[44:45], v[58:59], v[44:45]
	v_add_f64 v[30:31], v[30:31], v[56:57]
	v_fma_f64 v[58:59], v[42:43], v[52:53], v[60:61]
	v_fma_f64 v[52:53], v[40:41], v[52:53], -v[54:55]
	s_waitcnt vmcnt(7)
	v_mul_f64 v[60:61], v[237:238], v[16:17]
	v_mul_f64 v[16:17], v[239:240], v[16:17]
	scratch_load_b128 v[40:43], off, off offset:512
	v_add_f64 v[44:45], v[44:45], v[62:63]
	v_add_f64 v[30:31], v[30:31], v[64:65]
	v_fma_f64 v[60:61], v[239:240], v[14:15], v[60:61]
	v_fma_f64 v[64:65], v[237:238], v[14:15], -v[16:17]
	scratch_load_b128 v[14:17], off, off offset:544
	ds_load_b128 v[237:240], v1 offset:1440
	v_add_f64 v[58:59], v[44:45], v[58:59]
	v_add_f64 v[30:31], v[30:31], v[52:53]
	ds_load_b128 v[52:55], v1 offset:1408
	s_waitcnt lgkmcnt(2)
	v_mul_f64 v[56:57], v[6:7], v[48:49]
	v_mul_f64 v[48:49], v[8:9], v[48:49]
	s_delay_alu instid0(VALU_DEP_2) | instskip(NEXT) | instid1(VALU_DEP_2)
	v_fma_f64 v[56:57], v[8:9], v[46:47], v[56:57]
	v_fma_f64 v[48:49], v[6:7], v[46:47], -v[48:49]
	ds_load_b128 v[6:9], v1 offset:1392
	scratch_load_b128 v[44:47], off, off offset:528
	s_waitcnt vmcnt(9) lgkmcnt(0)
	v_mul_f64 v[62:63], v[6:7], v[34:35]
	v_mul_f64 v[34:35], v[8:9], v[34:35]
	v_add_f64 v[30:31], v[30:31], v[48:49]
	v_add_f64 v[48:49], v[58:59], v[56:57]
	s_waitcnt vmcnt(8)
	v_mul_f64 v[56:57], v[52:53], v[24:25]
	v_mul_f64 v[24:25], v[54:55], v[24:25]
	v_fma_f64 v[58:59], v[8:9], v[32:33], v[62:63]
	v_fma_f64 v[34:35], v[6:7], v[32:33], -v[34:35]
	ds_load_b128 v[6:9], v1 offset:1424
	v_add_f64 v[62:63], v[30:31], v[64:65]
	v_add_f64 v[48:49], v[48:49], v[60:61]
	v_fma_f64 v[54:55], v[54:55], v[22:23], v[56:57]
	v_fma_f64 v[52:53], v[52:53], v[22:23], -v[24:25]
	scratch_load_b128 v[30:33], off, off offset:560
	s_waitcnt vmcnt(7)
	v_mul_f64 v[56:57], v[237:238], v[38:39]
	v_mul_f64 v[38:39], v[239:240], v[38:39]
	scratch_load_b128 v[22:25], off, off offset:576
	v_add_f64 v[34:35], v[62:63], v[34:35]
	v_add_f64 v[48:49], v[48:49], v[58:59]
	v_fma_f64 v[56:57], v[239:240], v[36:37], v[56:57]
	v_fma_f64 v[38:39], v[237:238], v[36:37], -v[38:39]
	ds_load_b128 v[237:240], v1 offset:1504
	v_add_f64 v[34:35], v[34:35], v[52:53]
	v_add_f64 v[48:49], v[48:49], v[54:55]
	ds_load_b128 v[52:55], v1 offset:1472
	s_waitcnt lgkmcnt(2)
	v_mul_f64 v[60:61], v[6:7], v[28:29]
	v_mul_f64 v[28:29], v[8:9], v[28:29]
	s_waitcnt vmcnt(7) lgkmcnt(0)
	v_mul_f64 v[64:65], v[54:55], v[189:190]
	s_delay_alu instid0(VALU_DEP_3) | instskip(NEXT) | instid1(VALU_DEP_3)
	v_fma_f64 v[58:59], v[8:9], v[26:27], v[60:61]
	v_fma_f64 v[60:61], v[6:7], v[26:27], -v[28:29]
	scratch_load_b128 v[26:29], off, off offset:592
	ds_load_b128 v[6:9], v1 offset:1456
	s_waitcnt vmcnt(7) lgkmcnt(0)
	v_mul_f64 v[62:63], v[6:7], v[20:21]
	v_mul_f64 v[20:21], v[8:9], v[20:21]
	v_add_f64 v[48:49], v[48:49], v[58:59]
	v_add_f64 v[60:61], v[34:35], v[60:61]
	v_mul_f64 v[58:59], v[52:53], v[189:190]
	scratch_load_b128 v[34:37], off, off offset:608
	v_fma_f64 v[62:63], v[8:9], v[18:19], v[62:63]
	v_fma_f64 v[66:67], v[6:7], v[18:19], -v[20:21]
	scratch_load_b128 v[18:21], off, off offset:624
	ds_load_b128 v[6:9], v1 offset:1488
	v_add_f64 v[48:49], v[48:49], v[56:57]
	v_add_f64 v[38:39], v[60:61], v[38:39]
	v_fma_f64 v[58:59], v[54:55], v[187:188], v[58:59]
	v_fma_f64 v[60:61], v[52:53], v[187:188], -v[64:65]
	ds_load_b128 v[187:190], v1 offset:1536
	scratch_load_b128 v[52:55], off, off offset:640
	s_waitcnt vmcnt(9) lgkmcnt(1)
	v_mul_f64 v[56:57], v[6:7], v[12:13]
	v_mul_f64 v[12:13], v[8:9], v[12:13]
	v_add_f64 v[48:49], v[48:49], v[62:63]
	v_add_f64 v[38:39], v[38:39], v[66:67]
	s_waitcnt vmcnt(8)
	v_mul_f64 v[62:63], v[237:238], v[42:43]
	v_mul_f64 v[42:43], v[239:240], v[42:43]
	v_fma_f64 v[56:57], v[8:9], v[10:11], v[56:57]
	v_fma_f64 v[64:65], v[6:7], v[10:11], -v[12:13]
	scratch_load_b128 v[10:13], off, off offset:656
	ds_load_b128 v[6:9], v1 offset:1520
	v_add_f64 v[48:49], v[48:49], v[58:59]
	v_add_f64 v[38:39], v[38:39], v[60:61]
	v_fma_f64 v[60:61], v[239:240], v[40:41], v[62:63]
	v_fma_f64 v[42:43], v[237:238], v[40:41], -v[42:43]
	s_delay_alu instid0(VALU_DEP_4)
	v_add_f64 v[48:49], v[48:49], v[56:57]
	s_waitcnt vmcnt(8) lgkmcnt(1)
	v_mul_f64 v[56:57], v[187:188], v[16:17]
	v_mul_f64 v[16:17], v[189:190], v[16:17]
	v_add_f64 v[62:63], v[38:39], v[64:65]
	scratch_load_b128 v[38:41], off, off offset:672
	v_add_f64 v[60:61], v[48:49], v[60:61]
	v_fma_f64 v[56:57], v[189:190], v[14:15], v[56:57]
	v_fma_f64 v[68:69], v[187:188], v[14:15], -v[16:17]
	ds_load_b128 v[187:190], v1 offset:1600
	s_waitcnt vmcnt(8) lgkmcnt(1)
	v_mul_f64 v[58:59], v[6:7], v[46:47]
	v_mul_f64 v[46:47], v[8:9], v[46:47]
	v_add_f64 v[62:63], v[62:63], v[42:43]
	scratch_load_b128 v[14:17], off, off offset:704
	v_fma_f64 v[58:59], v[8:9], v[44:45], v[58:59]
	v_fma_f64 v[64:65], v[6:7], v[44:45], -v[46:47]
	ds_load_b128 v[6:9], v1 offset:1552
	ds_load_b128 v[46:49], v1 offset:1568
	scratch_load_b128 v[42:45], off, off offset:688
	s_waitcnt vmcnt(9) lgkmcnt(1)
	v_mul_f64 v[66:67], v[6:7], v[32:33]
	v_mul_f64 v[32:33], v[8:9], v[32:33]
	v_add_f64 v[58:59], v[60:61], v[58:59]
	v_add_f64 v[62:63], v[62:63], v[64:65]
	s_waitcnt vmcnt(8) lgkmcnt(0)
	v_mul_f64 v[60:61], v[46:47], v[24:25]
	v_mul_f64 v[24:25], v[48:49], v[24:25]
	v_fma_f64 v[64:65], v[8:9], v[30:31], v[66:67]
	v_fma_f64 v[66:67], v[6:7], v[30:31], -v[32:33]
	ds_load_b128 v[6:9], v1 offset:1584
	scratch_load_b128 v[30:33], off, off offset:720
	v_add_f64 v[56:57], v[58:59], v[56:57]
	v_add_f64 v[62:63], v[62:63], v[68:69]
	v_fma_f64 v[48:49], v[48:49], v[22:23], v[60:61]
	v_fma_f64 v[46:47], v[46:47], v[22:23], -v[24:25]
	scratch_load_b128 v[22:25], off, off offset:736
	v_add_f64 v[56:57], v[56:57], v[64:65]
	v_add_f64 v[60:61], v[62:63], v[66:67]
	s_waitcnt vmcnt(8)
	v_mul_f64 v[62:63], v[187:188], v[36:37]
	v_mul_f64 v[36:37], v[189:190], v[36:37]
	s_delay_alu instid0(VALU_DEP_4) | instskip(NEXT) | instid1(VALU_DEP_4)
	v_add_f64 v[56:57], v[56:57], v[48:49]
	v_add_f64 v[60:61], v[60:61], v[46:47]
	ds_load_b128 v[46:49], v1 offset:1632
	s_waitcnt lgkmcnt(1)
	v_mul_f64 v[58:59], v[6:7], v[28:29]
	v_mul_f64 v[28:29], v[8:9], v[28:29]
	v_fma_f64 v[62:63], v[189:190], v[34:35], v[62:63]
	v_fma_f64 v[68:69], v[187:188], v[34:35], -v[36:37]
	ds_load_b128 v[187:190], v1 offset:1664
	scratch_load_b128 v[34:37], off, off offset:768
	v_fma_f64 v[58:59], v[8:9], v[26:27], v[58:59]
	v_fma_f64 v[64:65], v[6:7], v[26:27], -v[28:29]
	ds_load_b128 v[6:9], v1 offset:1616
	scratch_load_b128 v[26:29], off, off offset:752
	s_waitcnt vmcnt(9) lgkmcnt(0)
	v_mul_f64 v[66:67], v[6:7], v[20:21]
	v_mul_f64 v[20:21], v[8:9], v[20:21]
	v_add_f64 v[56:57], v[56:57], v[58:59]
	v_add_f64 v[60:61], v[60:61], v[64:65]
	s_waitcnt vmcnt(8)
	v_mul_f64 v[58:59], v[46:47], v[54:55]
	v_mul_f64 v[54:55], v[48:49], v[54:55]
	v_fma_f64 v[64:65], v[8:9], v[18:19], v[66:67]
	v_fma_f64 v[66:67], v[6:7], v[18:19], -v[20:21]
	ds_load_b128 v[6:9], v1 offset:1648
	scratch_load_b128 v[18:21], off, off offset:784
	v_add_f64 v[56:57], v[56:57], v[62:63]
	v_add_f64 v[60:61], v[60:61], v[68:69]
	v_fma_f64 v[58:59], v[48:49], v[52:53], v[58:59]
	v_fma_f64 v[52:53], v[46:47], v[52:53], -v[54:55]
	scratch_load_b128 v[46:49], off, off offset:800
	v_add_f64 v[56:57], v[56:57], v[64:65]
	v_add_f64 v[54:55], v[60:61], v[66:67]
	s_waitcnt vmcnt(8)
	v_mul_f64 v[60:61], v[187:188], v[40:41]
	v_mul_f64 v[40:41], v[189:190], v[40:41]
	s_delay_alu instid0(VALU_DEP_4) | instskip(NEXT) | instid1(VALU_DEP_4)
	v_add_f64 v[56:57], v[56:57], v[58:59]
	v_add_f64 v[66:67], v[54:55], v[52:53]
	ds_load_b128 v[52:55], v1 offset:1696
	s_waitcnt lgkmcnt(1)
	v_mul_f64 v[62:63], v[6:7], v[12:13]
	v_mul_f64 v[12:13], v[8:9], v[12:13]
	v_fma_f64 v[60:61], v[189:190], v[38:39], v[60:61]
	v_fma_f64 v[68:69], v[187:188], v[38:39], -v[40:41]
	ds_load_b128 v[187:190], v1 offset:1728
	scratch_load_b128 v[38:41], off, off offset:832
	v_fma_f64 v[62:63], v[8:9], v[10:11], v[62:63]
	v_fma_f64 v[64:65], v[6:7], v[10:11], -v[12:13]
	ds_load_b128 v[6:9], v1 offset:1680
	scratch_load_b128 v[10:13], off, off offset:816
	s_waitcnt vmcnt(8) lgkmcnt(0)
	v_mul_f64 v[58:59], v[6:7], v[44:45]
	v_mul_f64 v[44:45], v[8:9], v[44:45]
	v_add_f64 v[56:57], v[56:57], v[62:63]
	v_add_f64 v[64:65], v[66:67], v[64:65]
	v_mul_f64 v[62:63], v[52:53], v[16:17]
	v_mul_f64 v[16:17], v[54:55], v[16:17]
	v_fma_f64 v[58:59], v[8:9], v[42:43], v[58:59]
	v_fma_f64 v[66:67], v[6:7], v[42:43], -v[44:45]
	ds_load_b128 v[6:9], v1 offset:1712
	scratch_load_b128 v[42:45], off, off offset:848
	v_add_f64 v[56:57], v[56:57], v[60:61]
	v_add_f64 v[64:65], v[64:65], v[68:69]
	v_fma_f64 v[54:55], v[54:55], v[14:15], v[62:63]
	v_fma_f64 v[52:53], v[52:53], v[14:15], -v[16:17]
	scratch_load_b128 v[14:17], off, off offset:864
	v_add_f64 v[56:57], v[56:57], v[58:59]
	v_add_f64 v[62:63], v[64:65], v[66:67]
	s_waitcnt vmcnt(8)
	v_mul_f64 v[58:59], v[187:188], v[24:25]
	v_mul_f64 v[24:25], v[189:190], v[24:25]
	s_delay_alu instid0(VALU_DEP_4) | instskip(NEXT) | instid1(VALU_DEP_4)
	v_add_f64 v[56:57], v[56:57], v[54:55]
	v_add_f64 v[62:63], v[62:63], v[52:53]
	ds_load_b128 v[52:55], v1 offset:1760
	s_waitcnt lgkmcnt(1)
	v_mul_f64 v[60:61], v[6:7], v[32:33]
	v_mul_f64 v[32:33], v[8:9], v[32:33]
	v_fma_f64 v[58:59], v[189:190], v[22:23], v[58:59]
	v_fma_f64 v[68:69], v[187:188], v[22:23], -v[24:25]
	ds_load_b128 v[187:190], v1 offset:1792
	scratch_load_b128 v[22:25], off, off offset:896
	v_fma_f64 v[60:61], v[8:9], v[30:31], v[60:61]
	v_fma_f64 v[64:65], v[6:7], v[30:31], -v[32:33]
	ds_load_b128 v[6:9], v1 offset:1744
	scratch_load_b128 v[30:33], off, off offset:880
	s_waitcnt vmcnt(8) lgkmcnt(0)
	v_mul_f64 v[66:67], v[6:7], v[28:29]
	v_mul_f64 v[28:29], v[8:9], v[28:29]
	v_add_f64 v[56:57], v[56:57], v[60:61]
	v_add_f64 v[62:63], v[62:63], v[64:65]
	;; [unrolled: 36-line block ×3, first 2 shown]
	v_mul_f64 v[58:59], v[52:53], v[40:41]
	v_mul_f64 v[40:41], v[54:55], v[40:41]
	v_fma_f64 v[64:65], v[8:9], v[10:11], v[66:67]
	v_fma_f64 v[66:67], v[6:7], v[10:11], -v[12:13]
	ds_load_b128 v[6:9], v1 offset:1840
	scratch_load_b128 v[10:13], off, off offset:976
	v_add_f64 v[56:57], v[56:57], v[62:63]
	v_add_f64 v[60:61], v[60:61], v[68:69]
	v_fma_f64 v[54:55], v[54:55], v[38:39], v[58:59]
	v_fma_f64 v[38:39], v[52:53], v[38:39], -v[40:41]
	s_waitcnt vmcnt(8) lgkmcnt(0)
	v_mul_f64 v[62:63], v[6:7], v[44:45]
	v_mul_f64 v[44:45], v[8:9], v[44:45]
	v_add_f64 v[52:53], v[56:57], v[64:65]
	v_add_f64 v[40:41], v[60:61], v[66:67]
	s_waitcnt vmcnt(7)
	v_mul_f64 v[56:57], v[187:188], v[16:17]
	v_mul_f64 v[16:17], v[189:190], v[16:17]
	v_fma_f64 v[58:59], v[8:9], v[42:43], v[62:63]
	v_fma_f64 v[42:43], v[6:7], v[42:43], -v[44:45]
	v_add_f64 v[52:53], v[52:53], v[54:55]
	v_add_f64 v[44:45], v[40:41], v[38:39]
	ds_load_b128 v[6:9], v1 offset:1872
	ds_load_b128 v[38:41], v1 offset:1888
	v_fma_f64 v[56:57], v[189:190], v[14:15], v[56:57]
	v_fma_f64 v[14:15], v[187:188], v[14:15], -v[16:17]
	s_waitcnt vmcnt(5) lgkmcnt(1)
	v_mul_f64 v[54:55], v[6:7], v[32:33]
	v_mul_f64 v[32:33], v[8:9], v[32:33]
	v_add_f64 v[16:17], v[44:45], v[42:43]
	v_add_f64 v[42:43], v[52:53], v[58:59]
	s_waitcnt lgkmcnt(0)
	v_mul_f64 v[44:45], v[38:39], v[24:25]
	v_mul_f64 v[24:25], v[40:41], v[24:25]
	v_fma_f64 v[52:53], v[8:9], v[30:31], v[54:55]
	v_fma_f64 v[30:31], v[6:7], v[30:31], -v[32:33]
	v_add_f64 v[32:33], v[16:17], v[14:15]
	v_add_f64 v[42:43], v[42:43], v[56:57]
	ds_load_b128 v[6:9], v1 offset:1904
	ds_load_b128 v[14:17], v1 offset:1920
	v_fma_f64 v[40:41], v[40:41], v[22:23], v[44:45]
	v_fma_f64 v[22:23], v[38:39], v[22:23], -v[24:25]
	s_waitcnt vmcnt(4) lgkmcnt(1)
	v_mul_f64 v[54:55], v[6:7], v[28:29]
	v_mul_f64 v[28:29], v[8:9], v[28:29]
	v_add_f64 v[24:25], v[32:33], v[30:31]
	v_add_f64 v[30:31], v[42:43], v[52:53]
	s_waitcnt vmcnt(3) lgkmcnt(0)
	v_mul_f64 v[32:33], v[14:15], v[36:37]
	v_mul_f64 v[36:37], v[16:17], v[36:37]
	v_fma_f64 v[38:39], v[8:9], v[26:27], v[54:55]
	v_fma_f64 v[26:27], v[6:7], v[26:27], -v[28:29]
	v_add_f64 v[28:29], v[24:25], v[22:23]
	v_add_f64 v[30:31], v[30:31], v[40:41]
	ds_load_b128 v[6:9], v1 offset:1936
	ds_load_b128 v[22:25], v1 offset:1952
	v_fma_f64 v[16:17], v[16:17], v[34:35], v[32:33]
	v_fma_f64 v[14:15], v[14:15], v[34:35], -v[36:37]
	s_waitcnt vmcnt(1) lgkmcnt(1)
	v_mul_f64 v[40:41], v[6:7], v[20:21]
	v_mul_f64 v[20:21], v[8:9], v[20:21]
	s_waitcnt lgkmcnt(0)
	v_mul_f64 v[32:33], v[24:25], v[48:49]
	v_add_f64 v[26:27], v[28:29], v[26:27]
	v_add_f64 v[28:29], v[30:31], v[38:39]
	v_mul_f64 v[30:31], v[22:23], v[48:49]
	v_fma_f64 v[34:35], v[8:9], v[18:19], v[40:41]
	v_fma_f64 v[18:19], v[6:7], v[18:19], -v[20:21]
	ds_load_b128 v[6:9], v1 offset:1968
	v_fma_f64 v[22:23], v[22:23], v[46:47], -v[32:33]
	v_add_f64 v[14:15], v[26:27], v[14:15]
	v_add_f64 v[16:17], v[28:29], v[16:17]
	v_fma_f64 v[24:25], v[24:25], v[46:47], v[30:31]
	s_waitcnt vmcnt(0) lgkmcnt(0)
	v_mul_f64 v[20:21], v[6:7], v[12:13]
	v_mul_f64 v[12:13], v[8:9], v[12:13]
	v_add_f64 v[14:15], v[14:15], v[18:19]
	v_add_f64 v[16:17], v[16:17], v[34:35]
	s_delay_alu instid0(VALU_DEP_4) | instskip(NEXT) | instid1(VALU_DEP_4)
	v_fma_f64 v[8:9], v[8:9], v[10:11], v[20:21]
	v_fma_f64 v[6:7], v[6:7], v[10:11], -v[12:13]
	s_delay_alu instid0(VALU_DEP_4) | instskip(NEXT) | instid1(VALU_DEP_4)
	v_add_f64 v[10:11], v[14:15], v[22:23]
	v_add_f64 v[12:13], v[16:17], v[24:25]
	s_delay_alu instid0(VALU_DEP_2) | instskip(NEXT) | instid1(VALU_DEP_2)
	v_add_f64 v[6:7], v[10:11], v[6:7]
	v_add_f64 v[8:9], v[12:13], v[8:9]
	s_delay_alu instid0(VALU_DEP_2) | instskip(NEXT) | instid1(VALU_DEP_2)
	v_add_f64 v[2:3], v[2:3], -v[6:7]
	v_add_f64 v[4:5], v[4:5], -v[8:9]
	scratch_store_b128 off, v[2:5], off offset:32
	v_cmpx_lt_u32_e32 1, v174
	s_cbranch_execz .LBB61_395
; %bb.394:
	v_add_nc_u32_e64 v2, 0, 16
	v_mov_b32_e32 v3, v1
	v_mov_b32_e32 v4, v1
	scratch_load_b128 v[5:8], v2, off
	v_mov_b32_e32 v2, v1
	scratch_store_b128 off, v[1:4], off offset:16
	s_waitcnt vmcnt(0)
	ds_store_b128 v236, v[5:8]
.LBB61_395:
	s_or_b32 exec_lo, exec_lo, s2
	s_waitcnt lgkmcnt(0)
	s_waitcnt_vscnt null, 0x0
	s_barrier
	buffer_gl0_inv
	s_clause 0x8
	scratch_load_b128 v[34:37], off, off offset:32
	scratch_load_b128 v[38:41], off, off offset:48
	;; [unrolled: 1-line block ×9, first 2 shown]
	ds_load_b128 v[46:49], v1 offset:1024
	ds_load_b128 v[42:45], v1 offset:1040
	s_clause 0x1
	scratch_load_b128 v[2:5], off, off offset:16
	scratch_load_b128 v[52:55], off, off offset:176
	s_mov_b32 s2, exec_lo
	ds_load_b128 v[187:190], v1 offset:1072
	ds_load_b128 v[237:240], v1 offset:1200
	s_waitcnt vmcnt(10) lgkmcnt(3)
	v_mul_f64 v[56:57], v[48:49], v[36:37]
	v_mul_f64 v[36:37], v[46:47], v[36:37]
	s_waitcnt vmcnt(9) lgkmcnt(2)
	v_mul_f64 v[58:59], v[42:43], v[40:41]
	v_mul_f64 v[40:41], v[44:45], v[40:41]
	s_waitcnt vmcnt(7) lgkmcnt(1)
	v_mul_f64 v[64:65], v[189:190], v[28:29]
	v_fma_f64 v[56:57], v[46:47], v[34:35], -v[56:57]
	v_fma_f64 v[60:61], v[48:49], v[34:35], v[36:37]
	ds_load_b128 v[34:37], v1 offset:1056
	scratch_load_b128 v[46:49], off, off offset:192
	v_fma_f64 v[44:45], v[44:45], v[38:39], v[58:59]
	v_fma_f64 v[42:43], v[42:43], v[38:39], -v[40:41]
	scratch_load_b128 v[38:41], off, off offset:208
	v_fma_f64 v[64:65], v[187:188], v[26:27], -v[64:65]
	s_waitcnt lgkmcnt(0)
	v_mul_f64 v[62:63], v[34:35], v[32:33]
	v_mul_f64 v[32:33], v[36:37], v[32:33]
	v_add_f64 v[56:57], v[56:57], 0
	v_add_f64 v[58:59], v[60:61], 0
	v_mul_f64 v[60:61], v[187:188], v[28:29]
	v_fma_f64 v[36:37], v[36:37], v[30:31], v[62:63]
	v_fma_f64 v[62:63], v[34:35], v[30:31], -v[32:33]
	ds_load_b128 v[28:31], v1 offset:1088
	scratch_load_b128 v[32:35], off, off offset:224
	v_add_f64 v[56:57], v[56:57], v[42:43]
	v_add_f64 v[58:59], v[58:59], v[44:45]
	ds_load_b128 v[42:45], v1 offset:1104
	v_fma_f64 v[60:61], v[189:190], v[26:27], v[60:61]
	ds_load_b128 v[187:190], v1 offset:1136
	s_waitcnt vmcnt(9) lgkmcnt(2)
	v_mul_f64 v[66:67], v[28:29], v[24:25]
	v_mul_f64 v[68:69], v[30:31], v[24:25]
	scratch_load_b128 v[24:27], off, off offset:240
	v_add_f64 v[56:57], v[56:57], v[62:63]
	v_add_f64 v[36:37], v[58:59], v[36:37]
	s_waitcnt vmcnt(9) lgkmcnt(1)
	v_mul_f64 v[58:59], v[42:43], v[20:21]
	v_mul_f64 v[62:63], v[44:45], v[20:21]
	v_fma_f64 v[66:67], v[30:31], v[22:23], v[66:67]
	v_fma_f64 v[68:69], v[28:29], v[22:23], -v[68:69]
	ds_load_b128 v[20:23], v1 offset:1120
	scratch_load_b128 v[28:31], off, off offset:256
	v_add_f64 v[56:57], v[56:57], v[64:65]
	v_add_f64 v[36:37], v[36:37], v[60:61]
	s_waitcnt vmcnt(9) lgkmcnt(0)
	v_mul_f64 v[60:61], v[20:21], v[16:17]
	v_mul_f64 v[64:65], v[22:23], v[16:17]
	v_fma_f64 v[44:45], v[44:45], v[18:19], v[58:59]
	v_fma_f64 v[42:43], v[42:43], v[18:19], -v[62:63]
	scratch_load_b128 v[16:19], off, off offset:272
	s_waitcnt vmcnt(9)
	v_mul_f64 v[58:59], v[187:188], v[12:13]
	v_mul_f64 v[62:63], v[189:190], v[12:13]
	v_add_f64 v[56:57], v[56:57], v[68:69]
	v_add_f64 v[36:37], v[36:37], v[66:67]
	v_fma_f64 v[60:61], v[22:23], v[14:15], v[60:61]
	v_fma_f64 v[64:65], v[20:21], v[14:15], -v[64:65]
	ds_load_b128 v[12:15], v1 offset:1152
	scratch_load_b128 v[20:23], off, off offset:288
	v_fma_f64 v[58:59], v[189:190], v[10:11], v[58:59]
	v_fma_f64 v[62:63], v[187:188], v[10:11], -v[62:63]
	scratch_load_b128 v[187:190], off, off offset:320
	v_add_f64 v[56:57], v[56:57], v[42:43]
	v_add_f64 v[36:37], v[36:37], v[44:45]
	ds_load_b128 v[42:45], v1 offset:1168
	s_waitcnt vmcnt(10) lgkmcnt(1)
	v_mul_f64 v[66:67], v[12:13], v[8:9]
	v_mul_f64 v[68:69], v[14:15], v[8:9]
	scratch_load_b128 v[8:11], off, off offset:304
	v_add_f64 v[56:57], v[56:57], v[64:65]
	v_add_f64 v[36:37], v[36:37], v[60:61]
	s_waitcnt vmcnt(9) lgkmcnt(0)
	v_mul_f64 v[60:61], v[42:43], v[54:55]
	v_mul_f64 v[54:55], v[44:45], v[54:55]
	v_fma_f64 v[64:65], v[14:15], v[6:7], v[66:67]
	v_fma_f64 v[6:7], v[12:13], v[6:7], -v[68:69]
	ds_load_b128 v[12:15], v1 offset:1184
	v_add_f64 v[56:57], v[56:57], v[62:63]
	v_add_f64 v[36:37], v[36:37], v[58:59]
	v_fma_f64 v[60:61], v[44:45], v[52:53], v[60:61]
	v_fma_f64 v[52:53], v[42:43], v[52:53], -v[54:55]
	scratch_load_b128 v[42:45], off, off offset:336
	s_waitcnt vmcnt(9) lgkmcnt(0)
	v_mul_f64 v[58:59], v[12:13], v[48:49]
	v_mul_f64 v[48:49], v[14:15], v[48:49]
	v_add_f64 v[6:7], v[56:57], v[6:7]
	v_add_f64 v[36:37], v[36:37], v[64:65]
	s_waitcnt vmcnt(8)
	v_mul_f64 v[56:57], v[237:238], v[40:41]
	v_mul_f64 v[40:41], v[239:240], v[40:41]
	v_fma_f64 v[58:59], v[14:15], v[46:47], v[58:59]
	v_fma_f64 v[62:63], v[12:13], v[46:47], -v[48:49]
	ds_load_b128 v[12:15], v1 offset:1216
	scratch_load_b128 v[46:49], off, off offset:352
	v_add_f64 v[6:7], v[6:7], v[52:53]
	v_add_f64 v[36:37], v[36:37], v[60:61]
	ds_load_b128 v[52:55], v1 offset:1232
	s_waitcnt vmcnt(8) lgkmcnt(1)
	v_mul_f64 v[60:61], v[12:13], v[34:35]
	v_mul_f64 v[64:65], v[14:15], v[34:35]
	v_fma_f64 v[56:57], v[239:240], v[38:39], v[56:57]
	v_fma_f64 v[38:39], v[237:238], v[38:39], -v[40:41]
	ds_load_b128 v[237:240], v1 offset:1264
	v_add_f64 v[6:7], v[6:7], v[62:63]
	v_add_f64 v[40:41], v[36:37], v[58:59]
	scratch_load_b128 v[34:37], off, off offset:368
	s_waitcnt vmcnt(8) lgkmcnt(1)
	v_mul_f64 v[58:59], v[52:53], v[26:27]
	v_mul_f64 v[26:27], v[54:55], v[26:27]
	v_fma_f64 v[60:61], v[14:15], v[32:33], v[60:61]
	v_fma_f64 v[32:33], v[12:13], v[32:33], -v[64:65]
	ds_load_b128 v[12:15], v1 offset:1248
	s_waitcnt vmcnt(7) lgkmcnt(0)
	v_mul_f64 v[62:63], v[12:13], v[30:31]
	v_mul_f64 v[30:31], v[14:15], v[30:31]
	v_add_f64 v[6:7], v[6:7], v[38:39]
	v_add_f64 v[56:57], v[40:41], v[56:57]
	scratch_load_b128 v[38:41], off, off offset:384
	v_fma_f64 v[54:55], v[54:55], v[24:25], v[58:59]
	v_fma_f64 v[52:53], v[52:53], v[24:25], -v[26:27]
	scratch_load_b128 v[24:27], off, off offset:400
	v_fma_f64 v[58:59], v[14:15], v[28:29], v[62:63]
	v_add_f64 v[6:7], v[6:7], v[32:33]
	v_add_f64 v[32:33], v[56:57], v[60:61]
	s_waitcnt vmcnt(8)
	v_mul_f64 v[56:57], v[237:238], v[18:19]
	v_mul_f64 v[18:19], v[239:240], v[18:19]
	v_fma_f64 v[60:61], v[12:13], v[28:29], -v[30:31]
	ds_load_b128 v[12:15], v1 offset:1280
	scratch_load_b128 v[28:31], off, off offset:416
	v_add_f64 v[6:7], v[6:7], v[52:53]
	v_add_f64 v[32:33], v[32:33], v[54:55]
	ds_load_b128 v[52:55], v1 offset:1296
	s_waitcnt vmcnt(8) lgkmcnt(1)
	v_mul_f64 v[62:63], v[12:13], v[22:23]
	v_mul_f64 v[22:23], v[14:15], v[22:23]
	v_fma_f64 v[56:57], v[239:240], v[16:17], v[56:57]
	v_fma_f64 v[64:65], v[237:238], v[16:17], -v[18:19]
	scratch_load_b128 v[16:19], off, off offset:432
	ds_load_b128 v[237:240], v1 offset:1328
	v_add_f64 v[6:7], v[6:7], v[60:61]
	v_add_f64 v[32:33], v[32:33], v[58:59]
	s_waitcnt vmcnt(7) lgkmcnt(1)
	v_mul_f64 v[58:59], v[52:53], v[10:11]
	v_mul_f64 v[60:61], v[54:55], v[10:11]
	v_fma_f64 v[14:15], v[14:15], v[20:21], v[62:63]
	v_fma_f64 v[62:63], v[12:13], v[20:21], -v[22:23]
	ds_load_b128 v[10:13], v1 offset:1312
	scratch_load_b128 v[20:23], off, off offset:448
	v_add_f64 v[6:7], v[6:7], v[64:65]
	v_add_f64 v[32:33], v[32:33], v[56:57]
	s_waitcnt lgkmcnt(0)
	v_mul_f64 v[56:57], v[10:11], v[189:190]
	v_mul_f64 v[64:65], v[12:13], v[189:190]
	v_fma_f64 v[54:55], v[54:55], v[8:9], v[58:59]
	v_fma_f64 v[52:53], v[52:53], v[8:9], -v[60:61]
	v_add_f64 v[58:59], v[6:7], v[62:63]
	scratch_load_b128 v[6:9], off, off offset:464
	v_add_f64 v[14:15], v[32:33], v[14:15]
	s_waitcnt vmcnt(8)
	v_mul_f64 v[32:33], v[237:238], v[44:45]
	v_mul_f64 v[44:45], v[239:240], v[44:45]
	v_fma_f64 v[56:57], v[12:13], v[187:188], v[56:57]
	v_fma_f64 v[60:61], v[10:11], v[187:188], -v[64:65]
	ds_load_b128 v[10:13], v1 offset:1344
	ds_load_b128 v[187:190], v1 offset:1360
	s_waitcnt vmcnt(7) lgkmcnt(1)
	v_mul_f64 v[62:63], v[10:11], v[48:49]
	v_add_f64 v[58:59], v[58:59], v[52:53]
	v_add_f64 v[14:15], v[14:15], v[54:55]
	scratch_load_b128 v[52:55], off, off offset:480
	v_mul_f64 v[48:49], v[12:13], v[48:49]
	v_fma_f64 v[32:33], v[239:240], v[42:43], v[32:33]
	v_fma_f64 v[64:65], v[237:238], v[42:43], -v[44:45]
	scratch_load_b128 v[42:45], off, off offset:496
	ds_load_b128 v[237:240], v1 offset:1392
	v_add_f64 v[58:59], v[58:59], v[60:61]
	v_add_f64 v[14:15], v[14:15], v[56:57]
	v_fma_f64 v[60:61], v[12:13], v[46:47], v[62:63]
	v_fma_f64 v[62:63], v[10:11], v[46:47], -v[48:49]
	ds_load_b128 v[10:13], v1 offset:1376
	scratch_load_b128 v[46:49], off, off offset:512
	s_waitcnt vmcnt(9) lgkmcnt(2)
	v_mul_f64 v[56:57], v[187:188], v[36:37]
	v_mul_f64 v[36:37], v[189:190], v[36:37]
	v_add_f64 v[58:59], v[58:59], v[64:65]
	v_add_f64 v[14:15], v[14:15], v[32:33]
	s_waitcnt vmcnt(8) lgkmcnt(0)
	v_mul_f64 v[64:65], v[10:11], v[40:41]
	v_mul_f64 v[40:41], v[12:13], v[40:41]
	v_fma_f64 v[56:57], v[189:190], v[34:35], v[56:57]
	v_fma_f64 v[36:37], v[187:188], v[34:35], -v[36:37]
	scratch_load_b128 v[32:35], off, off offset:528
	ds_load_b128 v[187:190], v1 offset:1424
	v_add_f64 v[58:59], v[58:59], v[62:63]
	v_add_f64 v[14:15], v[14:15], v[60:61]
	s_waitcnt vmcnt(8)
	v_mul_f64 v[60:61], v[237:238], v[26:27]
	v_mul_f64 v[26:27], v[239:240], v[26:27]
	v_fma_f64 v[62:63], v[12:13], v[38:39], v[64:65]
	v_fma_f64 v[40:41], v[10:11], v[38:39], -v[40:41]
	ds_load_b128 v[10:13], v1 offset:1408
	v_add_f64 v[58:59], v[58:59], v[36:37]
	v_add_f64 v[14:15], v[14:15], v[56:57]
	scratch_load_b128 v[36:39], off, off offset:544
	s_waitcnt vmcnt(8) lgkmcnt(0)
	v_mul_f64 v[56:57], v[10:11], v[30:31]
	v_mul_f64 v[30:31], v[12:13], v[30:31]
	v_fma_f64 v[60:61], v[239:240], v[24:25], v[60:61]
	v_fma_f64 v[64:65], v[237:238], v[24:25], -v[26:27]
	scratch_load_b128 v[24:27], off, off offset:560
	ds_load_b128 v[237:240], v1 offset:1456
	v_add_f64 v[40:41], v[58:59], v[40:41]
	v_add_f64 v[14:15], v[14:15], v[62:63]
	s_waitcnt vmcnt(8)
	v_mul_f64 v[58:59], v[187:188], v[18:19]
	v_mul_f64 v[18:19], v[189:190], v[18:19]
	v_fma_f64 v[56:57], v[12:13], v[28:29], v[56:57]
	v_fma_f64 v[62:63], v[10:11], v[28:29], -v[30:31]
	ds_load_b128 v[10:13], v1 offset:1440
	scratch_load_b128 v[28:31], off, off offset:576
	v_add_f64 v[40:41], v[40:41], v[64:65]
	v_add_f64 v[14:15], v[14:15], v[60:61]
	s_waitcnt vmcnt(8) lgkmcnt(0)
	v_mul_f64 v[60:61], v[10:11], v[22:23]
	v_mul_f64 v[22:23], v[12:13], v[22:23]
	v_fma_f64 v[58:59], v[189:190], v[16:17], v[58:59]
	v_fma_f64 v[18:19], v[187:188], v[16:17], -v[18:19]
	ds_load_b128 v[187:190], v1 offset:1488
	v_add_f64 v[40:41], v[40:41], v[62:63]
	v_add_f64 v[56:57], v[14:15], v[56:57]
	scratch_load_b128 v[14:17], off, off offset:592
	v_fma_f64 v[12:13], v[12:13], v[20:21], v[60:61]
	v_fma_f64 v[22:23], v[10:11], v[20:21], -v[22:23]
	s_waitcnt vmcnt(8)
	v_mul_f64 v[62:63], v[237:238], v[8:9]
	v_mul_f64 v[64:65], v[239:240], v[8:9]
	ds_load_b128 v[8:11], v1 offset:1472
	v_add_f64 v[40:41], v[40:41], v[18:19]
	v_add_f64 v[56:57], v[56:57], v[58:59]
	scratch_load_b128 v[18:21], off, off offset:608
	v_fma_f64 v[60:61], v[239:240], v[6:7], v[62:63]
	v_fma_f64 v[6:7], v[237:238], v[6:7], -v[64:65]
	scratch_load_b128 v[237:240], off, off offset:624
	s_waitcnt vmcnt(9) lgkmcnt(0)
	v_mul_f64 v[58:59], v[8:9], v[54:55]
	v_mul_f64 v[54:55], v[10:11], v[54:55]
	v_add_f64 v[22:23], v[40:41], v[22:23]
	v_add_f64 v[12:13], v[56:57], v[12:13]
	s_waitcnt vmcnt(8)
	v_mul_f64 v[40:41], v[187:188], v[44:45]
	v_mul_f64 v[44:45], v[189:190], v[44:45]
	v_fma_f64 v[56:57], v[10:11], v[52:53], v[58:59]
	v_fma_f64 v[58:59], v[8:9], v[52:53], -v[54:55]
	ds_load_b128 v[52:55], v1 offset:1520
	v_add_f64 v[22:23], v[22:23], v[6:7]
	v_add_f64 v[60:61], v[12:13], v[60:61]
	ds_load_b128 v[6:9], v1 offset:1504
	scratch_load_b128 v[10:13], off, off offset:640
	v_fma_f64 v[64:65], v[189:190], v[42:43], v[40:41]
	v_fma_f64 v[44:45], v[187:188], v[42:43], -v[44:45]
	scratch_load_b128 v[40:43], off, off offset:656
	ds_load_b128 v[187:190], v1 offset:1552
	s_waitcnt vmcnt(9) lgkmcnt(1)
	v_mul_f64 v[62:63], v[6:7], v[48:49]
	v_mul_f64 v[48:49], v[8:9], v[48:49]
	v_add_f64 v[22:23], v[22:23], v[58:59]
	v_add_f64 v[56:57], v[60:61], v[56:57]
	s_waitcnt vmcnt(8)
	v_mul_f64 v[58:59], v[52:53], v[34:35]
	v_mul_f64 v[34:35], v[54:55], v[34:35]
	v_fma_f64 v[60:61], v[8:9], v[46:47], v[62:63]
	v_fma_f64 v[48:49], v[6:7], v[46:47], -v[48:49]
	ds_load_b128 v[6:9], v1 offset:1536
	v_add_f64 v[22:23], v[22:23], v[44:45]
	v_add_f64 v[56:57], v[56:57], v[64:65]
	scratch_load_b128 v[44:47], off, off offset:672
	v_fma_f64 v[54:55], v[54:55], v[32:33], v[58:59]
	v_fma_f64 v[52:53], v[52:53], v[32:33], -v[34:35]
	scratch_load_b128 v[32:35], off, off offset:688
	s_waitcnt vmcnt(9) lgkmcnt(0)
	v_mul_f64 v[62:63], v[6:7], v[38:39]
	v_mul_f64 v[38:39], v[8:9], v[38:39]
	v_add_f64 v[22:23], v[22:23], v[48:49]
	v_add_f64 v[48:49], v[56:57], v[60:61]
	s_waitcnt vmcnt(8)
	v_mul_f64 v[56:57], v[187:188], v[26:27]
	v_mul_f64 v[26:27], v[189:190], v[26:27]
	v_fma_f64 v[58:59], v[8:9], v[36:37], v[62:63]
	v_fma_f64 v[60:61], v[6:7], v[36:37], -v[38:39]
	ds_load_b128 v[6:9], v1 offset:1568
	scratch_load_b128 v[36:39], off, off offset:704
	v_add_f64 v[22:23], v[22:23], v[52:53]
	v_add_f64 v[48:49], v[48:49], v[54:55]
	ds_load_b128 v[52:55], v1 offset:1584
	s_waitcnt vmcnt(8) lgkmcnt(1)
	v_mul_f64 v[62:63], v[6:7], v[30:31]
	v_mul_f64 v[30:31], v[8:9], v[30:31]
	v_fma_f64 v[56:57], v[189:190], v[24:25], v[56:57]
	v_fma_f64 v[26:27], v[187:188], v[24:25], -v[26:27]
	ds_load_b128 v[187:190], v1 offset:1616
	v_add_f64 v[60:61], v[22:23], v[60:61]
	scratch_load_b128 v[22:25], off, off offset:720
	v_add_f64 v[48:49], v[48:49], v[58:59]
	v_fma_f64 v[62:63], v[8:9], v[28:29], v[62:63]
	v_fma_f64 v[30:31], v[6:7], v[28:29], -v[30:31]
	ds_load_b128 v[6:9], v1 offset:1600
	s_waitcnt vmcnt(8) lgkmcnt(2)
	v_mul_f64 v[58:59], v[52:53], v[16:17]
	v_mul_f64 v[16:17], v[54:55], v[16:17]
	v_add_f64 v[60:61], v[60:61], v[26:27]
	scratch_load_b128 v[26:29], off, off offset:736
	v_add_f64 v[48:49], v[48:49], v[56:57]
	s_waitcnt vmcnt(8) lgkmcnt(0)
	v_mul_f64 v[56:57], v[6:7], v[20:21]
	v_mul_f64 v[20:21], v[8:9], v[20:21]
	v_fma_f64 v[54:55], v[54:55], v[14:15], v[58:59]
	v_fma_f64 v[52:53], v[52:53], v[14:15], -v[16:17]
	scratch_load_b128 v[14:17], off, off offset:752
	s_waitcnt vmcnt(8)
	v_mul_f64 v[58:59], v[187:188], v[239:240]
	v_add_f64 v[30:31], v[60:61], v[30:31]
	v_mul_f64 v[60:61], v[189:190], v[239:240]
	v_add_f64 v[48:49], v[48:49], v[62:63]
	v_fma_f64 v[56:57], v[8:9], v[18:19], v[56:57]
	v_fma_f64 v[62:63], v[6:7], v[18:19], -v[20:21]
	ds_load_b128 v[6:9], v1 offset:1632
	scratch_load_b128 v[18:21], off, off offset:768
	v_fma_f64 v[58:59], v[189:190], v[237:238], v[58:59]
	v_add_f64 v[30:31], v[30:31], v[52:53]
	v_fma_f64 v[60:61], v[187:188], v[237:238], -v[60:61]
	scratch_load_b128 v[187:190], off, off offset:784
	v_add_f64 v[48:49], v[48:49], v[54:55]
	ds_load_b128 v[52:55], v1 offset:1648
	ds_load_b128 v[237:240], v1 offset:1680
	s_waitcnt vmcnt(9) lgkmcnt(2)
	v_mul_f64 v[64:65], v[6:7], v[12:13]
	v_mul_f64 v[12:13], v[8:9], v[12:13]
	v_add_f64 v[30:31], v[30:31], v[62:63]
	v_add_f64 v[48:49], v[48:49], v[56:57]
	s_waitcnt vmcnt(8) lgkmcnt(1)
	v_mul_f64 v[56:57], v[52:53], v[42:43]
	v_mul_f64 v[42:43], v[54:55], v[42:43]
	v_fma_f64 v[62:63], v[8:9], v[10:11], v[64:65]
	v_fma_f64 v[64:65], v[6:7], v[10:11], -v[12:13]
	ds_load_b128 v[6:9], v1 offset:1664
	scratch_load_b128 v[10:13], off, off offset:800
	v_add_f64 v[30:31], v[30:31], v[60:61]
	v_add_f64 v[48:49], v[48:49], v[58:59]
	v_fma_f64 v[54:55], v[54:55], v[40:41], v[56:57]
	v_fma_f64 v[52:53], v[52:53], v[40:41], -v[42:43]
	scratch_load_b128 v[40:43], off, off offset:816
	s_waitcnt vmcnt(9) lgkmcnt(0)
	v_mul_f64 v[58:59], v[6:7], v[46:47]
	v_mul_f64 v[46:47], v[8:9], v[46:47]
	s_waitcnt vmcnt(8)
	v_mul_f64 v[56:57], v[237:238], v[34:35]
	v_mul_f64 v[34:35], v[239:240], v[34:35]
	v_add_f64 v[30:31], v[30:31], v[64:65]
	v_add_f64 v[48:49], v[48:49], v[62:63]
	v_fma_f64 v[58:59], v[8:9], v[44:45], v[58:59]
	v_fma_f64 v[60:61], v[6:7], v[44:45], -v[46:47]
	ds_load_b128 v[6:9], v1 offset:1696
	scratch_load_b128 v[44:47], off, off offset:832
	v_fma_f64 v[56:57], v[239:240], v[32:33], v[56:57]
	v_fma_f64 v[34:35], v[237:238], v[32:33], -v[34:35]
	ds_load_b128 v[237:240], v1 offset:1744
	v_add_f64 v[30:31], v[30:31], v[52:53]
	v_add_f64 v[48:49], v[48:49], v[54:55]
	ds_load_b128 v[52:55], v1 offset:1712
	s_waitcnt vmcnt(8) lgkmcnt(2)
	v_mul_f64 v[62:63], v[6:7], v[38:39]
	v_mul_f64 v[38:39], v[8:9], v[38:39]
	v_add_f64 v[60:61], v[30:31], v[60:61]
	scratch_load_b128 v[30:33], off, off offset:848
	v_add_f64 v[48:49], v[48:49], v[58:59]
	v_fma_f64 v[62:63], v[8:9], v[36:37], v[62:63]
	v_fma_f64 v[38:39], v[6:7], v[36:37], -v[38:39]
	ds_load_b128 v[6:9], v1 offset:1728
	s_waitcnt vmcnt(8) lgkmcnt(1)
	v_mul_f64 v[58:59], v[52:53], v[24:25]
	v_mul_f64 v[24:25], v[54:55], v[24:25]
	v_add_f64 v[60:61], v[60:61], v[34:35]
	scratch_load_b128 v[34:37], off, off offset:864
	v_add_f64 v[48:49], v[48:49], v[56:57]
	s_waitcnt vmcnt(8) lgkmcnt(0)
	v_mul_f64 v[56:57], v[6:7], v[28:29]
	v_mul_f64 v[28:29], v[8:9], v[28:29]
	v_fma_f64 v[54:55], v[54:55], v[22:23], v[58:59]
	v_fma_f64 v[52:53], v[52:53], v[22:23], -v[24:25]
	scratch_load_b128 v[22:25], off, off offset:880
	s_waitcnt vmcnt(8)
	v_mul_f64 v[58:59], v[237:238], v[16:17]
	v_add_f64 v[38:39], v[60:61], v[38:39]
	v_mul_f64 v[16:17], v[239:240], v[16:17]
	v_add_f64 v[48:49], v[48:49], v[62:63]
	v_fma_f64 v[56:57], v[8:9], v[26:27], v[56:57]
	v_fma_f64 v[60:61], v[6:7], v[26:27], -v[28:29]
	ds_load_b128 v[6:9], v1 offset:1760
	scratch_load_b128 v[26:29], off, off offset:896
	v_fma_f64 v[58:59], v[239:240], v[14:15], v[58:59]
	v_add_f64 v[38:39], v[38:39], v[52:53]
	v_fma_f64 v[64:65], v[237:238], v[14:15], -v[16:17]
	scratch_load_b128 v[14:17], off, off offset:912
	v_add_f64 v[48:49], v[48:49], v[54:55]
	ds_load_b128 v[52:55], v1 offset:1776
	s_waitcnt vmcnt(9) lgkmcnt(1)
	v_mul_f64 v[62:63], v[6:7], v[20:21]
	v_mul_f64 v[20:21], v[8:9], v[20:21]
	ds_load_b128 v[237:240], v1 offset:1808
	v_add_f64 v[38:39], v[38:39], v[60:61]
	s_waitcnt vmcnt(8) lgkmcnt(1)
	v_mul_f64 v[60:61], v[54:55], v[189:190]
	v_add_f64 v[48:49], v[48:49], v[56:57]
	v_mul_f64 v[56:57], v[52:53], v[189:190]
	v_fma_f64 v[62:63], v[8:9], v[18:19], v[62:63]
	v_fma_f64 v[66:67], v[6:7], v[18:19], -v[20:21]
	ds_load_b128 v[6:9], v1 offset:1792
	scratch_load_b128 v[18:21], off, off offset:928
	v_add_f64 v[38:39], v[38:39], v[64:65]
	v_fma_f64 v[60:61], v[52:53], v[187:188], -v[60:61]
	v_add_f64 v[48:49], v[48:49], v[58:59]
	s_waitcnt vmcnt(8) lgkmcnt(0)
	v_mul_f64 v[58:59], v[6:7], v[12:13]
	v_mul_f64 v[12:13], v[8:9], v[12:13]
	v_fma_f64 v[56:57], v[54:55], v[187:188], v[56:57]
	scratch_load_b128 v[52:55], off, off offset:944
	ds_load_b128 v[187:190], v1 offset:1840
	v_add_f64 v[38:39], v[38:39], v[66:67]
	v_add_f64 v[48:49], v[48:49], v[62:63]
	s_waitcnt vmcnt(8)
	v_mul_f64 v[62:63], v[237:238], v[42:43]
	v_mul_f64 v[42:43], v[239:240], v[42:43]
	v_fma_f64 v[58:59], v[8:9], v[10:11], v[58:59]
	v_fma_f64 v[64:65], v[6:7], v[10:11], -v[12:13]
	ds_load_b128 v[6:9], v1 offset:1824
	scratch_load_b128 v[10:13], off, off offset:960
	v_add_f64 v[38:39], v[38:39], v[60:61]
	v_add_f64 v[48:49], v[48:49], v[56:57]
	s_waitcnt vmcnt(8) lgkmcnt(0)
	v_mul_f64 v[56:57], v[6:7], v[46:47]
	v_mul_f64 v[46:47], v[8:9], v[46:47]
	v_fma_f64 v[60:61], v[239:240], v[40:41], v[62:63]
	v_fma_f64 v[42:43], v[237:238], v[40:41], -v[42:43]
	v_add_f64 v[62:63], v[38:39], v[64:65]
	scratch_load_b128 v[38:41], off, off offset:976
	v_add_f64 v[48:49], v[48:49], v[58:59]
	v_fma_f64 v[56:57], v[8:9], v[44:45], v[56:57]
	v_fma_f64 v[46:47], v[6:7], v[44:45], -v[46:47]
	s_waitcnt vmcnt(8)
	v_mul_f64 v[58:59], v[187:188], v[32:33]
	v_mul_f64 v[32:33], v[189:190], v[32:33]
	v_add_f64 v[62:63], v[62:63], v[42:43]
	ds_load_b128 v[6:9], v1 offset:1856
	ds_load_b128 v[42:45], v1 offset:1872
	v_add_f64 v[48:49], v[48:49], v[60:61]
	v_fma_f64 v[58:59], v[189:190], v[30:31], v[58:59]
	v_fma_f64 v[30:31], v[187:188], v[30:31], -v[32:33]
	s_waitcnt vmcnt(7) lgkmcnt(1)
	v_mul_f64 v[60:61], v[6:7], v[36:37]
	v_mul_f64 v[36:37], v[8:9], v[36:37]
	v_add_f64 v[32:33], v[62:63], v[46:47]
	v_add_f64 v[46:47], v[48:49], v[56:57]
	s_waitcnt vmcnt(6) lgkmcnt(0)
	v_mul_f64 v[48:49], v[42:43], v[24:25]
	v_mul_f64 v[24:25], v[44:45], v[24:25]
	v_fma_f64 v[56:57], v[8:9], v[34:35], v[60:61]
	v_fma_f64 v[34:35], v[6:7], v[34:35], -v[36:37]
	v_add_f64 v[36:37], v[32:33], v[30:31]
	ds_load_b128 v[6:9], v1 offset:1888
	ds_load_b128 v[30:33], v1 offset:1904
	v_add_f64 v[46:47], v[46:47], v[58:59]
	v_fma_f64 v[44:45], v[44:45], v[22:23], v[48:49]
	v_fma_f64 v[22:23], v[42:43], v[22:23], -v[24:25]
	s_waitcnt vmcnt(5) lgkmcnt(1)
	v_mul_f64 v[58:59], v[6:7], v[28:29]
	v_mul_f64 v[28:29], v[8:9], v[28:29]
	v_add_f64 v[24:25], v[36:37], v[34:35]
	s_waitcnt vmcnt(4) lgkmcnt(0)
	v_mul_f64 v[36:37], v[30:31], v[16:17]
	v_mul_f64 v[16:17], v[32:33], v[16:17]
	v_add_f64 v[34:35], v[46:47], v[56:57]
	v_fma_f64 v[42:43], v[8:9], v[26:27], v[58:59]
	v_fma_f64 v[26:27], v[6:7], v[26:27], -v[28:29]
	v_add_f64 v[28:29], v[24:25], v[22:23]
	ds_load_b128 v[6:9], v1 offset:1920
	ds_load_b128 v[22:25], v1 offset:1936
	v_fma_f64 v[32:33], v[32:33], v[14:15], v[36:37]
	v_add_f64 v[34:35], v[34:35], v[44:45]
	v_fma_f64 v[14:15], v[30:31], v[14:15], -v[16:17]
	s_waitcnt vmcnt(3) lgkmcnt(1)
	v_mul_f64 v[44:45], v[6:7], v[20:21]
	v_mul_f64 v[20:21], v[8:9], v[20:21]
	s_waitcnt vmcnt(2) lgkmcnt(0)
	v_mul_f64 v[30:31], v[24:25], v[54:55]
	v_add_f64 v[16:17], v[28:29], v[26:27]
	v_mul_f64 v[28:29], v[22:23], v[54:55]
	v_add_f64 v[26:27], v[34:35], v[42:43]
	v_fma_f64 v[34:35], v[8:9], v[18:19], v[44:45]
	v_fma_f64 v[18:19], v[6:7], v[18:19], -v[20:21]
	v_fma_f64 v[22:23], v[22:23], v[52:53], -v[30:31]
	v_add_f64 v[20:21], v[16:17], v[14:15]
	ds_load_b128 v[6:9], v1 offset:1952
	ds_load_b128 v[14:17], v1 offset:1968
	v_fma_f64 v[24:25], v[24:25], v[52:53], v[28:29]
	v_add_f64 v[26:27], v[26:27], v[32:33]
	s_waitcnt vmcnt(1) lgkmcnt(1)
	v_mul_f64 v[32:33], v[6:7], v[12:13]
	v_mul_f64 v[12:13], v[8:9], v[12:13]
	v_add_f64 v[18:19], v[20:21], v[18:19]
	s_delay_alu instid0(VALU_DEP_4)
	v_add_f64 v[20:21], v[26:27], v[34:35]
	s_waitcnt vmcnt(0) lgkmcnt(0)
	v_mul_f64 v[26:27], v[14:15], v[40:41]
	v_mul_f64 v[28:29], v[16:17], v[40:41]
	v_fma_f64 v[8:9], v[8:9], v[10:11], v[32:33]
	v_fma_f64 v[6:7], v[6:7], v[10:11], -v[12:13]
	v_add_f64 v[10:11], v[18:19], v[22:23]
	v_add_f64 v[12:13], v[20:21], v[24:25]
	v_fma_f64 v[16:17], v[16:17], v[38:39], v[26:27]
	v_fma_f64 v[14:15], v[14:15], v[38:39], -v[28:29]
	s_delay_alu instid0(VALU_DEP_4) | instskip(NEXT) | instid1(VALU_DEP_4)
	v_add_f64 v[6:7], v[10:11], v[6:7]
	v_add_f64 v[8:9], v[12:13], v[8:9]
	s_delay_alu instid0(VALU_DEP_2) | instskip(NEXT) | instid1(VALU_DEP_2)
	v_add_f64 v[6:7], v[6:7], v[14:15]
	v_add_f64 v[8:9], v[8:9], v[16:17]
	s_delay_alu instid0(VALU_DEP_2) | instskip(NEXT) | instid1(VALU_DEP_2)
	v_add_f64 v[1:2], v[2:3], -v[6:7]
	v_add_f64 v[3:4], v[4:5], -v[8:9]
	scratch_store_b128 off, v[1:4], off offset:16
	v_cmpx_ne_u32_e32 0, v174
	s_cbranch_execz .LBB61_397
; %bb.396:
	scratch_load_b128 v[1:4], off, off
	v_mov_b32_e32 v5, 0
	s_delay_alu instid0(VALU_DEP_1)
	v_mov_b32_e32 v6, v5
	v_mov_b32_e32 v7, v5
	v_mov_b32_e32 v8, v5
	scratch_store_b128 off, v[5:8], off
	s_waitcnt vmcnt(0)
	ds_store_b128 v236, v[1:4]
.LBB61_397:
	s_or_b32 exec_lo, exec_lo, s2
	s_waitcnt lgkmcnt(0)
	s_waitcnt_vscnt null, 0x0
	s_barrier
	buffer_gl0_inv
	s_clause 0x7
	scratch_load_b128 v[29:32], off, off offset:16
	scratch_load_b128 v[33:36], off, off offset:32
	;; [unrolled: 1-line block ×8, first 2 shown]
	v_dual_mov_b32 v90, v255 :: v_dual_mov_b32 v49, 0
	s_and_b32 vcc_lo, exec_lo, s20
	ds_load_b128 v[45:48], v49 offset:1008
	s_clause 0x2
	scratch_load_b128 v[13:16], off, off offset:144
	scratch_load_b128 v[1:4], off, off
	scratch_load_b128 v[52:55], off, off offset:160
	ds_load_b128 v[41:44], v49 offset:1024
	ds_load_b128 v[187:190], v49 offset:1056
	;; [unrolled: 1-line block ×3, first 2 shown]
	s_waitcnt vmcnt(10) lgkmcnt(3)
	v_mul_f64 v[56:57], v[47:48], v[31:32]
	v_mul_f64 v[31:32], v[45:46], v[31:32]
	s_delay_alu instid0(VALU_DEP_2) | instskip(NEXT) | instid1(VALU_DEP_2)
	v_fma_f64 v[56:57], v[45:46], v[29:30], -v[56:57]
	v_fma_f64 v[60:61], v[47:48], v[29:30], v[31:32]
	ds_load_b128 v[29:32], v49 offset:1040
	s_waitcnt vmcnt(9) lgkmcnt(3)
	v_mul_f64 v[58:59], v[41:42], v[35:36]
	v_mul_f64 v[35:36], v[43:44], v[35:36]
	scratch_load_b128 v[45:48], off, off offset:176
	s_waitcnt vmcnt(9) lgkmcnt(0)
	v_mul_f64 v[62:63], v[29:30], v[39:40]
	v_mul_f64 v[39:40], v[31:32], v[39:40]
	v_add_f64 v[56:57], v[56:57], 0
	v_fma_f64 v[43:44], v[43:44], v[33:34], v[58:59]
	v_fma_f64 v[41:42], v[41:42], v[33:34], -v[35:36]
	v_add_f64 v[58:59], v[60:61], 0
	scratch_load_b128 v[33:36], off, off offset:192
	v_fma_f64 v[31:32], v[31:32], v[37:38], v[62:63]
	v_fma_f64 v[62:63], v[29:30], v[37:38], -v[39:40]
	scratch_load_b128 v[37:40], off, off offset:208
	v_add_f64 v[56:57], v[56:57], v[41:42]
	v_add_f64 v[58:59], v[58:59], v[43:44]
	ds_load_b128 v[41:44], v49 offset:1088
	s_waitcnt vmcnt(10)
	v_mul_f64 v[60:61], v[187:188], v[27:28]
	v_mul_f64 v[64:65], v[189:190], v[27:28]
	ds_load_b128 v[27:30], v49 offset:1072
	v_add_f64 v[56:57], v[56:57], v[62:63]
	v_add_f64 v[31:32], v[58:59], v[31:32]
	s_waitcnt vmcnt(8) lgkmcnt(1)
	v_mul_f64 v[58:59], v[41:42], v[19:20]
	v_fma_f64 v[60:61], v[189:190], v[25:26], v[60:61]
	v_fma_f64 v[64:65], v[187:188], v[25:26], -v[64:65]
	ds_load_b128 v[187:190], v49 offset:1120
	s_waitcnt lgkmcnt(1)
	v_mul_f64 v[66:67], v[27:28], v[23:24]
	v_mul_f64 v[68:69], v[29:30], v[23:24]
	scratch_load_b128 v[23:26], off, off offset:224
	v_mul_f64 v[62:63], v[43:44], v[19:20]
	v_fma_f64 v[58:59], v[43:44], v[17:18], v[58:59]
	v_add_f64 v[31:32], v[31:32], v[60:61]
	v_add_f64 v[56:57], v[56:57], v[64:65]
	s_waitcnt vmcnt(7) lgkmcnt(0)
	v_mul_f64 v[64:65], v[189:190], v[7:8]
	v_fma_f64 v[66:67], v[29:30], v[21:22], v[66:67]
	v_fma_f64 v[68:69], v[27:28], v[21:22], -v[68:69]
	scratch_load_b128 v[27:30], off, off offset:240
	ds_load_b128 v[19:22], v49 offset:1104
	v_fma_f64 v[17:18], v[41:42], v[17:18], -v[62:63]
	v_mul_f64 v[62:63], v[187:188], v[7:8]
	scratch_load_b128 v[41:44], off, off offset:256
	s_waitcnt lgkmcnt(0)
	v_mul_f64 v[60:61], v[19:20], v[11:12]
	v_mul_f64 v[11:12], v[21:22], v[11:12]
	v_add_f64 v[31:32], v[31:32], v[66:67]
	v_add_f64 v[56:57], v[56:57], v[68:69]
	s_delay_alu instid0(VALU_DEP_4) | instskip(NEXT) | instid1(VALU_DEP_4)
	v_fma_f64 v[21:22], v[21:22], v[9:10], v[60:61]
	v_fma_f64 v[11:12], v[19:20], v[9:10], -v[11:12]
	ds_load_b128 v[7:10], v49 offset:1136
	v_fma_f64 v[60:61], v[189:190], v[5:6], v[62:63]
	v_fma_f64 v[5:6], v[187:188], v[5:6], -v[64:65]
	scratch_load_b128 v[187:190], off, off offset:288
	v_add_f64 v[31:32], v[31:32], v[58:59]
	v_add_f64 v[56:57], v[56:57], v[17:18]
	scratch_load_b128 v[17:20], off, off offset:272
	v_add_f64 v[21:22], v[31:32], v[21:22]
	s_waitcnt vmcnt(8)
	v_mul_f64 v[31:32], v[236:237], v[54:55]
	v_mul_f64 v[54:55], v[238:239], v[54:55]
	v_add_f64 v[11:12], v[56:57], v[11:12]
	s_delay_alu instid0(VALU_DEP_4) | instskip(NEXT) | instid1(VALU_DEP_4)
	v_add_f64 v[21:22], v[21:22], v[60:61]
	v_fma_f64 v[31:32], v[238:239], v[52:53], v[31:32]
	s_delay_alu instid0(VALU_DEP_4)
	v_fma_f64 v[64:65], v[236:237], v[52:53], -v[54:55]
	ds_load_b128 v[236:239], v49 offset:1216
	s_waitcnt lgkmcnt(1)
	v_mul_f64 v[58:59], v[7:8], v[15:16]
	v_mul_f64 v[15:16], v[9:10], v[15:16]
	v_add_f64 v[62:63], v[11:12], v[5:6]
	scratch_load_b128 v[52:55], off, off offset:320
	v_fma_f64 v[56:57], v[9:10], v[13:14], v[58:59]
	v_fma_f64 v[58:59], v[7:8], v[13:14], -v[15:16]
	ds_load_b128 v[5:8], v49 offset:1168
	ds_load_b128 v[13:16], v49 offset:1184
	scratch_load_b128 v[9:12], off, off offset:304
	s_waitcnt vmcnt(9) lgkmcnt(1)
	v_mul_f64 v[60:61], v[5:6], v[47:48]
	v_mul_f64 v[47:48], v[7:8], v[47:48]
	v_add_f64 v[21:22], v[21:22], v[56:57]
	v_add_f64 v[58:59], v[62:63], v[58:59]
	s_waitcnt vmcnt(8) lgkmcnt(0)
	v_mul_f64 v[56:57], v[13:14], v[35:36]
	v_mul_f64 v[35:36], v[15:16], v[35:36]
	v_fma_f64 v[60:61], v[7:8], v[45:46], v[60:61]
	v_fma_f64 v[62:63], v[5:6], v[45:46], -v[47:48]
	ds_load_b128 v[5:8], v49 offset:1200
	scratch_load_b128 v[45:48], off, off offset:336
	v_add_f64 v[21:22], v[21:22], v[31:32]
	v_add_f64 v[58:59], v[58:59], v[64:65]
	v_fma_f64 v[56:57], v[15:16], v[33:34], v[56:57]
	v_fma_f64 v[33:34], v[13:14], v[33:34], -v[35:36]
	scratch_load_b128 v[13:16], off, off offset:352
	v_add_f64 v[21:22], v[21:22], v[60:61]
	v_add_f64 v[35:36], v[58:59], v[62:63]
	s_waitcnt vmcnt(8)
	v_mul_f64 v[58:59], v[236:237], v[25:26]
	v_mul_f64 v[25:26], v[238:239], v[25:26]
	s_delay_alu instid0(VALU_DEP_4) | instskip(NEXT) | instid1(VALU_DEP_4)
	v_add_f64 v[21:22], v[21:22], v[56:57]
	v_add_f64 v[62:63], v[35:36], v[33:34]
	s_delay_alu instid0(VALU_DEP_4) | instskip(NEXT) | instid1(VALU_DEP_4)
	v_fma_f64 v[58:59], v[238:239], v[23:24], v[58:59]
	v_fma_f64 v[25:26], v[236:237], v[23:24], -v[25:26]
	ds_load_b128 v[236:239], v49 offset:1280
	s_waitcnt lgkmcnt(1)
	v_mul_f64 v[31:32], v[5:6], v[39:40]
	v_mul_f64 v[39:40], v[7:8], v[39:40]
	s_delay_alu instid0(VALU_DEP_2)
	v_fma_f64 v[60:61], v[7:8], v[37:38], v[31:32]
	scratch_load_b128 v[31:34], off, off offset:368
	v_fma_f64 v[39:40], v[5:6], v[37:38], -v[39:40]
	ds_load_b128 v[5:8], v49 offset:1232
	ds_load_b128 v[35:38], v49 offset:1248
	s_waitcnt vmcnt(8) lgkmcnt(1)
	v_mul_f64 v[56:57], v[5:6], v[29:30]
	v_mul_f64 v[29:30], v[7:8], v[29:30]
	v_add_f64 v[60:61], v[21:22], v[60:61]
	scratch_load_b128 v[21:24], off, off offset:384
	v_add_f64 v[39:40], v[62:63], v[39:40]
	s_waitcnt vmcnt(8) lgkmcnt(0)
	v_mul_f64 v[62:63], v[35:36], v[43:44]
	v_mul_f64 v[43:44], v[37:38], v[43:44]
	v_fma_f64 v[56:57], v[7:8], v[27:28], v[56:57]
	v_fma_f64 v[29:30], v[5:6], v[27:28], -v[29:30]
	ds_load_b128 v[5:8], v49 offset:1264
	v_add_f64 v[58:59], v[60:61], v[58:59]
	v_add_f64 v[39:40], v[39:40], v[25:26]
	v_fma_f64 v[62:63], v[37:38], v[41:42], v[62:63]
	v_fma_f64 v[41:42], v[35:36], v[41:42], -v[43:44]
	s_waitcnt vmcnt(7)
	v_mul_f64 v[43:44], v[236:237], v[189:190]
	s_clause 0x1
	scratch_load_b128 v[25:28], off, off offset:400
	scratch_load_b128 v[35:38], off, off offset:416
	v_add_f64 v[29:30], v[39:40], v[29:30]
	v_add_f64 v[39:40], v[58:59], v[56:57]
	v_mul_f64 v[56:57], v[238:239], v[189:190]
	v_fma_f64 v[43:44], v[238:239], v[187:188], v[43:44]
	s_delay_alu instid0(VALU_DEP_4) | instskip(NEXT) | instid1(VALU_DEP_4)
	v_add_f64 v[29:30], v[29:30], v[41:42]
	v_add_f64 v[62:63], v[39:40], v[62:63]
	ds_load_b128 v[39:42], v49 offset:1312
	s_waitcnt vmcnt(8) lgkmcnt(1)
	v_mul_f64 v[60:61], v[5:6], v[19:20]
	v_mul_f64 v[19:20], v[7:8], v[19:20]
	v_fma_f64 v[56:57], v[236:237], v[187:188], -v[56:57]
	scratch_load_b128 v[187:190], off, off offset:448
	ds_load_b128 v[236:239], v49 offset:1344
	v_fma_f64 v[58:59], v[7:8], v[17:18], v[60:61]
	v_fma_f64 v[60:61], v[5:6], v[17:18], -v[19:20]
	ds_load_b128 v[5:8], v49 offset:1296
	scratch_load_b128 v[17:20], off, off offset:432
	s_waitcnt vmcnt(8) lgkmcnt(0)
	v_mul_f64 v[64:65], v[5:6], v[11:12]
	v_mul_f64 v[11:12], v[7:8], v[11:12]
	v_add_f64 v[58:59], v[62:63], v[58:59]
	v_add_f64 v[29:30], v[29:30], v[60:61]
	v_mul_f64 v[60:61], v[39:40], v[54:55]
	v_mul_f64 v[54:55], v[41:42], v[54:55]
	v_fma_f64 v[62:63], v[7:8], v[9:10], v[64:65]
	v_fma_f64 v[64:65], v[5:6], v[9:10], -v[11:12]
	ds_load_b128 v[5:8], v49 offset:1328
	scratch_load_b128 v[9:12], off, off offset:464
	v_add_f64 v[43:44], v[58:59], v[43:44]
	v_add_f64 v[29:30], v[29:30], v[56:57]
	v_fma_f64 v[58:59], v[41:42], v[52:53], v[60:61]
	v_fma_f64 v[52:53], v[39:40], v[52:53], -v[54:55]
	s_waitcnt vmcnt(7)
	v_mul_f64 v[60:61], v[236:237], v[15:16]
	v_mul_f64 v[15:16], v[238:239], v[15:16]
	scratch_load_b128 v[39:42], off, off offset:480
	v_add_f64 v[43:44], v[43:44], v[62:63]
	v_add_f64 v[29:30], v[29:30], v[64:65]
	v_fma_f64 v[60:61], v[238:239], v[13:14], v[60:61]
	v_fma_f64 v[64:65], v[236:237], v[13:14], -v[15:16]
	scratch_load_b128 v[13:16], off, off offset:512
	ds_load_b128 v[236:239], v49 offset:1408
	v_add_f64 v[58:59], v[43:44], v[58:59]
	v_add_f64 v[29:30], v[29:30], v[52:53]
	ds_load_b128 v[52:55], v49 offset:1376
	s_waitcnt lgkmcnt(2)
	v_mul_f64 v[56:57], v[5:6], v[47:48]
	v_mul_f64 v[47:48], v[7:8], v[47:48]
	s_delay_alu instid0(VALU_DEP_2) | instskip(NEXT) | instid1(VALU_DEP_2)
	v_fma_f64 v[56:57], v[7:8], v[45:46], v[56:57]
	v_fma_f64 v[47:48], v[5:6], v[45:46], -v[47:48]
	ds_load_b128 v[5:8], v49 offset:1360
	scratch_load_b128 v[43:46], off, off offset:496
	s_waitcnt vmcnt(9) lgkmcnt(0)
	v_mul_f64 v[62:63], v[5:6], v[33:34]
	v_mul_f64 v[33:34], v[7:8], v[33:34]
	v_add_f64 v[29:30], v[29:30], v[47:48]
	v_add_f64 v[47:48], v[58:59], v[56:57]
	s_waitcnt vmcnt(8)
	v_mul_f64 v[56:57], v[52:53], v[23:24]
	v_mul_f64 v[23:24], v[54:55], v[23:24]
	v_fma_f64 v[58:59], v[7:8], v[31:32], v[62:63]
	v_fma_f64 v[33:34], v[5:6], v[31:32], -v[33:34]
	ds_load_b128 v[5:8], v49 offset:1392
	v_add_f64 v[62:63], v[29:30], v[64:65]
	v_add_f64 v[47:48], v[47:48], v[60:61]
	v_fma_f64 v[54:55], v[54:55], v[21:22], v[56:57]
	v_fma_f64 v[52:53], v[52:53], v[21:22], -v[23:24]
	scratch_load_b128 v[29:32], off, off offset:528
	s_waitcnt vmcnt(7)
	v_mul_f64 v[56:57], v[236:237], v[37:38]
	v_mul_f64 v[37:38], v[238:239], v[37:38]
	scratch_load_b128 v[21:24], off, off offset:544
	v_add_f64 v[33:34], v[62:63], v[33:34]
	v_add_f64 v[47:48], v[47:48], v[58:59]
	v_fma_f64 v[56:57], v[238:239], v[35:36], v[56:57]
	v_fma_f64 v[37:38], v[236:237], v[35:36], -v[37:38]
	ds_load_b128 v[236:239], v49 offset:1472
	v_add_f64 v[33:34], v[33:34], v[52:53]
	v_add_f64 v[47:48], v[47:48], v[54:55]
	ds_load_b128 v[52:55], v49 offset:1440
	s_waitcnt lgkmcnt(2)
	v_mul_f64 v[60:61], v[5:6], v[27:28]
	v_mul_f64 v[27:28], v[7:8], v[27:28]
	s_waitcnt vmcnt(7) lgkmcnt(0)
	v_mul_f64 v[64:65], v[54:55], v[189:190]
	s_delay_alu instid0(VALU_DEP_3) | instskip(NEXT) | instid1(VALU_DEP_3)
	v_fma_f64 v[58:59], v[7:8], v[25:26], v[60:61]
	v_fma_f64 v[60:61], v[5:6], v[25:26], -v[27:28]
	scratch_load_b128 v[25:28], off, off offset:560
	ds_load_b128 v[5:8], v49 offset:1424
	s_waitcnt vmcnt(7) lgkmcnt(0)
	v_mul_f64 v[62:63], v[5:6], v[19:20]
	v_mul_f64 v[19:20], v[7:8], v[19:20]
	v_add_f64 v[47:48], v[47:48], v[58:59]
	v_add_f64 v[60:61], v[33:34], v[60:61]
	v_mul_f64 v[58:59], v[52:53], v[189:190]
	scratch_load_b128 v[33:36], off, off offset:576
	v_fma_f64 v[62:63], v[7:8], v[17:18], v[62:63]
	v_fma_f64 v[66:67], v[5:6], v[17:18], -v[19:20]
	scratch_load_b128 v[17:20], off, off offset:592
	ds_load_b128 v[5:8], v49 offset:1456
	v_add_f64 v[47:48], v[47:48], v[56:57]
	v_add_f64 v[37:38], v[60:61], v[37:38]
	v_fma_f64 v[58:59], v[54:55], v[187:188], v[58:59]
	v_fma_f64 v[60:61], v[52:53], v[187:188], -v[64:65]
	ds_load_b128 v[187:190], v49 offset:1504
	scratch_load_b128 v[52:55], off, off offset:608
	s_waitcnt vmcnt(9) lgkmcnt(1)
	v_mul_f64 v[56:57], v[5:6], v[11:12]
	v_mul_f64 v[11:12], v[7:8], v[11:12]
	v_add_f64 v[47:48], v[47:48], v[62:63]
	v_add_f64 v[37:38], v[37:38], v[66:67]
	s_waitcnt vmcnt(8)
	v_mul_f64 v[62:63], v[236:237], v[41:42]
	v_mul_f64 v[41:42], v[238:239], v[41:42]
	v_fma_f64 v[56:57], v[7:8], v[9:10], v[56:57]
	v_fma_f64 v[64:65], v[5:6], v[9:10], -v[11:12]
	scratch_load_b128 v[9:12], off, off offset:624
	ds_load_b128 v[5:8], v49 offset:1488
	v_add_f64 v[47:48], v[47:48], v[58:59]
	v_add_f64 v[37:38], v[37:38], v[60:61]
	v_fma_f64 v[60:61], v[238:239], v[39:40], v[62:63]
	v_fma_f64 v[41:42], v[236:237], v[39:40], -v[41:42]
	s_delay_alu instid0(VALU_DEP_4)
	v_add_f64 v[47:48], v[47:48], v[56:57]
	s_waitcnt vmcnt(8) lgkmcnt(1)
	v_mul_f64 v[56:57], v[187:188], v[15:16]
	v_mul_f64 v[15:16], v[189:190], v[15:16]
	v_add_f64 v[62:63], v[37:38], v[64:65]
	scratch_load_b128 v[37:40], off, off offset:640
	v_add_f64 v[60:61], v[47:48], v[60:61]
	v_fma_f64 v[56:57], v[189:190], v[13:14], v[56:57]
	v_fma_f64 v[68:69], v[187:188], v[13:14], -v[15:16]
	ds_load_b128 v[187:190], v49 offset:1568
	s_waitcnt vmcnt(8) lgkmcnt(1)
	v_mul_f64 v[58:59], v[5:6], v[45:46]
	v_mul_f64 v[45:46], v[7:8], v[45:46]
	v_add_f64 v[62:63], v[62:63], v[41:42]
	scratch_load_b128 v[13:16], off, off offset:672
	v_fma_f64 v[58:59], v[7:8], v[43:44], v[58:59]
	v_fma_f64 v[64:65], v[5:6], v[43:44], -v[45:46]
	ds_load_b128 v[5:8], v49 offset:1520
	ds_load_b128 v[45:48], v49 offset:1536
	scratch_load_b128 v[41:44], off, off offset:656
	s_waitcnt vmcnt(9) lgkmcnt(1)
	v_mul_f64 v[66:67], v[5:6], v[31:32]
	v_mul_f64 v[31:32], v[7:8], v[31:32]
	v_add_f64 v[58:59], v[60:61], v[58:59]
	v_add_f64 v[62:63], v[62:63], v[64:65]
	s_waitcnt vmcnt(8) lgkmcnt(0)
	v_mul_f64 v[60:61], v[45:46], v[23:24]
	v_mul_f64 v[23:24], v[47:48], v[23:24]
	v_fma_f64 v[64:65], v[7:8], v[29:30], v[66:67]
	v_fma_f64 v[66:67], v[5:6], v[29:30], -v[31:32]
	ds_load_b128 v[5:8], v49 offset:1552
	scratch_load_b128 v[29:32], off, off offset:688
	v_add_f64 v[56:57], v[58:59], v[56:57]
	v_add_f64 v[62:63], v[62:63], v[68:69]
	v_fma_f64 v[47:48], v[47:48], v[21:22], v[60:61]
	v_fma_f64 v[45:46], v[45:46], v[21:22], -v[23:24]
	scratch_load_b128 v[21:24], off, off offset:704
	v_add_f64 v[56:57], v[56:57], v[64:65]
	v_add_f64 v[60:61], v[62:63], v[66:67]
	s_waitcnt vmcnt(8)
	v_mul_f64 v[62:63], v[187:188], v[35:36]
	v_mul_f64 v[35:36], v[189:190], v[35:36]
	s_delay_alu instid0(VALU_DEP_4) | instskip(NEXT) | instid1(VALU_DEP_4)
	v_add_f64 v[56:57], v[56:57], v[47:48]
	v_add_f64 v[60:61], v[60:61], v[45:46]
	ds_load_b128 v[45:48], v49 offset:1600
	s_waitcnt lgkmcnt(1)
	v_mul_f64 v[58:59], v[5:6], v[27:28]
	v_mul_f64 v[27:28], v[7:8], v[27:28]
	v_fma_f64 v[62:63], v[189:190], v[33:34], v[62:63]
	v_fma_f64 v[68:69], v[187:188], v[33:34], -v[35:36]
	ds_load_b128 v[187:190], v49 offset:1632
	scratch_load_b128 v[33:36], off, off offset:736
	v_fma_f64 v[58:59], v[7:8], v[25:26], v[58:59]
	v_fma_f64 v[64:65], v[5:6], v[25:26], -v[27:28]
	ds_load_b128 v[5:8], v49 offset:1584
	scratch_load_b128 v[25:28], off, off offset:720
	s_waitcnt vmcnt(9) lgkmcnt(0)
	v_mul_f64 v[66:67], v[5:6], v[19:20]
	v_mul_f64 v[19:20], v[7:8], v[19:20]
	v_add_f64 v[56:57], v[56:57], v[58:59]
	v_add_f64 v[60:61], v[60:61], v[64:65]
	s_waitcnt vmcnt(8)
	v_mul_f64 v[58:59], v[45:46], v[54:55]
	v_mul_f64 v[54:55], v[47:48], v[54:55]
	v_fma_f64 v[64:65], v[7:8], v[17:18], v[66:67]
	v_fma_f64 v[66:67], v[5:6], v[17:18], -v[19:20]
	ds_load_b128 v[5:8], v49 offset:1616
	scratch_load_b128 v[17:20], off, off offset:752
	v_add_f64 v[56:57], v[56:57], v[62:63]
	v_add_f64 v[60:61], v[60:61], v[68:69]
	v_fma_f64 v[58:59], v[47:48], v[52:53], v[58:59]
	v_fma_f64 v[52:53], v[45:46], v[52:53], -v[54:55]
	scratch_load_b128 v[45:48], off, off offset:768
	v_add_f64 v[56:57], v[56:57], v[64:65]
	v_add_f64 v[54:55], v[60:61], v[66:67]
	s_waitcnt vmcnt(8)
	v_mul_f64 v[60:61], v[187:188], v[39:40]
	v_mul_f64 v[39:40], v[189:190], v[39:40]
	s_delay_alu instid0(VALU_DEP_4) | instskip(NEXT) | instid1(VALU_DEP_4)
	v_add_f64 v[56:57], v[56:57], v[58:59]
	v_add_f64 v[66:67], v[54:55], v[52:53]
	ds_load_b128 v[52:55], v49 offset:1664
	s_waitcnt lgkmcnt(1)
	v_mul_f64 v[62:63], v[5:6], v[11:12]
	v_mul_f64 v[11:12], v[7:8], v[11:12]
	v_fma_f64 v[60:61], v[189:190], v[37:38], v[60:61]
	v_fma_f64 v[68:69], v[187:188], v[37:38], -v[39:40]
	ds_load_b128 v[187:190], v49 offset:1696
	scratch_load_b128 v[37:40], off, off offset:800
	v_fma_f64 v[62:63], v[7:8], v[9:10], v[62:63]
	v_fma_f64 v[64:65], v[5:6], v[9:10], -v[11:12]
	ds_load_b128 v[5:8], v49 offset:1648
	scratch_load_b128 v[9:12], off, off offset:784
	s_waitcnt vmcnt(8) lgkmcnt(0)
	v_mul_f64 v[58:59], v[5:6], v[43:44]
	v_mul_f64 v[43:44], v[7:8], v[43:44]
	v_add_f64 v[56:57], v[56:57], v[62:63]
	v_add_f64 v[64:65], v[66:67], v[64:65]
	v_mul_f64 v[62:63], v[52:53], v[15:16]
	v_mul_f64 v[15:16], v[54:55], v[15:16]
	v_fma_f64 v[58:59], v[7:8], v[41:42], v[58:59]
	v_fma_f64 v[66:67], v[5:6], v[41:42], -v[43:44]
	ds_load_b128 v[5:8], v49 offset:1680
	scratch_load_b128 v[41:44], off, off offset:816
	v_add_f64 v[56:57], v[56:57], v[60:61]
	v_add_f64 v[64:65], v[64:65], v[68:69]
	v_fma_f64 v[54:55], v[54:55], v[13:14], v[62:63]
	v_fma_f64 v[52:53], v[52:53], v[13:14], -v[15:16]
	scratch_load_b128 v[13:16], off, off offset:832
	v_add_f64 v[56:57], v[56:57], v[58:59]
	v_add_f64 v[62:63], v[64:65], v[66:67]
	s_waitcnt vmcnt(8)
	v_mul_f64 v[58:59], v[187:188], v[23:24]
	v_mul_f64 v[23:24], v[189:190], v[23:24]
	s_delay_alu instid0(VALU_DEP_4) | instskip(NEXT) | instid1(VALU_DEP_4)
	v_add_f64 v[56:57], v[56:57], v[54:55]
	v_add_f64 v[62:63], v[62:63], v[52:53]
	ds_load_b128 v[52:55], v49 offset:1728
	s_waitcnt lgkmcnt(1)
	v_mul_f64 v[60:61], v[5:6], v[31:32]
	v_mul_f64 v[31:32], v[7:8], v[31:32]
	v_fma_f64 v[58:59], v[189:190], v[21:22], v[58:59]
	v_fma_f64 v[68:69], v[187:188], v[21:22], -v[23:24]
	ds_load_b128 v[187:190], v49 offset:1760
	scratch_load_b128 v[21:24], off, off offset:864
	v_fma_f64 v[60:61], v[7:8], v[29:30], v[60:61]
	v_fma_f64 v[64:65], v[5:6], v[29:30], -v[31:32]
	ds_load_b128 v[5:8], v49 offset:1712
	scratch_load_b128 v[29:32], off, off offset:848
	s_waitcnt vmcnt(8) lgkmcnt(0)
	v_mul_f64 v[66:67], v[5:6], v[27:28]
	v_mul_f64 v[27:28], v[7:8], v[27:28]
	v_add_f64 v[56:57], v[56:57], v[60:61]
	v_add_f64 v[62:63], v[62:63], v[64:65]
	;; [unrolled: 36-line block ×3, first 2 shown]
	v_mul_f64 v[58:59], v[52:53], v[39:40]
	v_mul_f64 v[39:40], v[54:55], v[39:40]
	v_fma_f64 v[64:65], v[7:8], v[9:10], v[66:67]
	v_fma_f64 v[66:67], v[5:6], v[9:10], -v[11:12]
	ds_load_b128 v[5:8], v49 offset:1808
	scratch_load_b128 v[9:12], off, off offset:944
	v_add_f64 v[56:57], v[56:57], v[62:63]
	v_add_f64 v[60:61], v[60:61], v[68:69]
	v_fma_f64 v[54:55], v[54:55], v[37:38], v[58:59]
	v_fma_f64 v[52:53], v[52:53], v[37:38], -v[39:40]
	scratch_load_b128 v[37:40], off, off offset:960
	v_add_f64 v[56:57], v[56:57], v[64:65]
	v_add_f64 v[58:59], v[60:61], v[66:67]
	s_waitcnt vmcnt(8)
	v_mul_f64 v[60:61], v[187:188], v[15:16]
	v_mul_f64 v[15:16], v[189:190], v[15:16]
	s_delay_alu instid0(VALU_DEP_4) | instskip(NEXT) | instid1(VALU_DEP_4)
	v_add_f64 v[56:57], v[56:57], v[54:55]
	v_add_f64 v[58:59], v[58:59], v[52:53]
	ds_load_b128 v[52:55], v49 offset:1856
	s_waitcnt lgkmcnt(1)
	v_mul_f64 v[62:63], v[5:6], v[43:44]
	v_mul_f64 v[43:44], v[7:8], v[43:44]
	v_fma_f64 v[60:61], v[189:190], v[13:14], v[60:61]
	v_fma_f64 v[13:14], v[187:188], v[13:14], -v[15:16]
	s_delay_alu instid0(VALU_DEP_4) | instskip(NEXT) | instid1(VALU_DEP_4)
	v_fma_f64 v[62:63], v[7:8], v[41:42], v[62:63]
	v_fma_f64 v[64:65], v[5:6], v[41:42], -v[43:44]
	scratch_load_b128 v[41:44], off, off offset:976
	ds_load_b128 v[5:8], v49 offset:1840
	s_waitcnt vmcnt(7) lgkmcnt(0)
	v_mul_f64 v[66:67], v[5:6], v[31:32]
	v_mul_f64 v[31:32], v[7:8], v[31:32]
	v_add_f64 v[56:57], v[56:57], v[62:63]
	v_add_f64 v[15:16], v[58:59], v[64:65]
	v_mul_f64 v[58:59], v[52:53], v[23:24]
	v_mul_f64 v[23:24], v[54:55], v[23:24]
	v_fma_f64 v[62:63], v[7:8], v[29:30], v[66:67]
	v_fma_f64 v[29:30], v[5:6], v[29:30], -v[31:32]
	v_add_f64 v[56:57], v[56:57], v[60:61]
	v_add_f64 v[31:32], v[15:16], v[13:14]
	ds_load_b128 v[5:8], v49 offset:1872
	ds_load_b128 v[13:16], v49 offset:1888
	v_fma_f64 v[54:55], v[54:55], v[21:22], v[58:59]
	v_fma_f64 v[21:22], v[52:53], v[21:22], -v[23:24]
	s_waitcnt vmcnt(6) lgkmcnt(1)
	v_mul_f64 v[60:61], v[5:6], v[27:28]
	v_mul_f64 v[27:28], v[7:8], v[27:28]
	v_add_f64 v[23:24], v[31:32], v[29:30]
	v_add_f64 v[29:30], v[56:57], v[62:63]
	s_waitcnt vmcnt(5) lgkmcnt(0)
	v_mul_f64 v[31:32], v[13:14], v[35:36]
	v_mul_f64 v[35:36], v[15:16], v[35:36]
	v_fma_f64 v[52:53], v[7:8], v[25:26], v[60:61]
	v_fma_f64 v[25:26], v[5:6], v[25:26], -v[27:28]
	v_add_f64 v[27:28], v[23:24], v[21:22]
	v_add_f64 v[29:30], v[29:30], v[54:55]
	ds_load_b128 v[5:8], v49 offset:1904
	ds_load_b128 v[21:24], v49 offset:1920
	v_fma_f64 v[15:16], v[15:16], v[33:34], v[31:32]
	v_fma_f64 v[13:14], v[13:14], v[33:34], -v[35:36]
	s_waitcnt vmcnt(3) lgkmcnt(1)
	v_mul_f64 v[54:55], v[5:6], v[19:20]
	v_mul_f64 v[19:20], v[7:8], v[19:20]
	s_waitcnt lgkmcnt(0)
	v_mul_f64 v[31:32], v[23:24], v[47:48]
	v_add_f64 v[25:26], v[27:28], v[25:26]
	v_add_f64 v[27:28], v[29:30], v[52:53]
	v_mul_f64 v[29:30], v[21:22], v[47:48]
	v_fma_f64 v[33:34], v[7:8], v[17:18], v[54:55]
	v_fma_f64 v[17:18], v[5:6], v[17:18], -v[19:20]
	v_fma_f64 v[21:22], v[21:22], v[45:46], -v[31:32]
	v_add_f64 v[19:20], v[25:26], v[13:14]
	v_add_f64 v[25:26], v[27:28], v[15:16]
	ds_load_b128 v[5:8], v49 offset:1936
	ds_load_b128 v[13:16], v49 offset:1952
	v_fma_f64 v[23:24], v[23:24], v[45:46], v[29:30]
	s_waitcnt vmcnt(2) lgkmcnt(1)
	v_mul_f64 v[27:28], v[5:6], v[11:12]
	v_mul_f64 v[11:12], v[7:8], v[11:12]
	s_waitcnt vmcnt(1) lgkmcnt(0)
	v_mul_f64 v[29:30], v[15:16], v[39:40]
	v_add_f64 v[17:18], v[19:20], v[17:18]
	v_add_f64 v[19:20], v[25:26], v[33:34]
	v_mul_f64 v[25:26], v[13:14], v[39:40]
	v_fma_f64 v[27:28], v[7:8], v[9:10], v[27:28]
	v_fma_f64 v[9:10], v[5:6], v[9:10], -v[11:12]
	ds_load_b128 v[5:8], v49 offset:1968
	v_fma_f64 v[13:14], v[13:14], v[37:38], -v[29:30]
	v_add_f64 v[11:12], v[17:18], v[21:22]
	v_add_f64 v[17:18], v[19:20], v[23:24]
	v_fma_f64 v[15:16], v[15:16], v[37:38], v[25:26]
	s_waitcnt vmcnt(0) lgkmcnt(0)
	v_mul_f64 v[19:20], v[5:6], v[43:44]
	v_mul_f64 v[21:22], v[7:8], v[43:44]
	v_add_f64 v[9:10], v[11:12], v[9:10]
	v_add_f64 v[11:12], v[17:18], v[27:28]
	s_delay_alu instid0(VALU_DEP_4) | instskip(NEXT) | instid1(VALU_DEP_4)
	v_fma_f64 v[7:8], v[7:8], v[41:42], v[19:20]
	v_fma_f64 v[5:6], v[5:6], v[41:42], -v[21:22]
	s_delay_alu instid0(VALU_DEP_4) | instskip(NEXT) | instid1(VALU_DEP_4)
	v_add_f64 v[9:10], v[9:10], v[13:14]
	v_add_f64 v[11:12], v[11:12], v[15:16]
	s_delay_alu instid0(VALU_DEP_2) | instskip(NEXT) | instid1(VALU_DEP_2)
	v_add_f64 v[5:6], v[9:10], v[5:6]
	v_add_f64 v[7:8], v[11:12], v[7:8]
	s_delay_alu instid0(VALU_DEP_2) | instskip(NEXT) | instid1(VALU_DEP_2)
	v_add_f64 v[1:2], v[1:2], -v[5:6]
	v_add_f64 v[3:4], v[3:4], -v[7:8]
	scratch_store_b128 off, v[1:4], off
	s_cbranch_vccz .LBB61_521
; %bb.398:
	v_dual_mov_b32 v1, s16 :: v_dual_mov_b32 v2, s17
	s_load_b64 s[0:1], s[0:1], 0x4
	flat_load_b32 v1, v[1:2] offset:240
	v_bfe_u32 v2, v0, 10, 10
	v_bfe_u32 v0, v0, 20, 10
	s_waitcnt lgkmcnt(0)
	s_lshr_b32 s0, s0, 16
	s_delay_alu instid0(VALU_DEP_2) | instskip(SKIP_1) | instid1(SALU_CYCLE_1)
	v_mul_u32_u24_e32 v2, s1, v2
	s_mul_i32 s0, s0, s1
	v_mul_u32_u24_e32 v3, s0, v174
	s_mov_b32 s0, exec_lo
	s_delay_alu instid0(VALU_DEP_1) | instskip(NEXT) | instid1(VALU_DEP_1)
	v_add3_u32 v0, v3, v2, v0
	v_lshl_add_u32 v0, v0, 4, 0x7c8
	s_waitcnt vmcnt(0)
	v_cmpx_ne_u32_e32 61, v1
	s_cbranch_execz .LBB61_400
; %bb.399:
	scratch_load_b32 v10, off, off offset:992 ; 4-byte Folded Reload
	v_lshl_add_u32 v9, v1, 4, 0
	s_waitcnt vmcnt(0)
	s_clause 0x1
	scratch_load_b128 v[1:4], v10, off
	scratch_load_b128 v[5:8], v9, off offset:-16
	s_waitcnt vmcnt(1)
	ds_store_2addr_b64 v0, v[1:2], v[3:4] offset1:1
	s_waitcnt vmcnt(0)
	s_clause 0x1
	scratch_store_b128 v10, v[5:8], off
	scratch_store_b128 v9, v[1:4], off offset:-16
.LBB61_400:
	s_or_b32 exec_lo, exec_lo, s0
	v_dual_mov_b32 v1, s16 :: v_dual_mov_b32 v2, s17
	s_mov_b32 s0, exec_lo
	flat_load_b32 v1, v[1:2] offset:236
	s_waitcnt vmcnt(0) lgkmcnt(0)
	v_cmpx_ne_u32_e32 60, v1
	s_cbranch_execz .LBB61_402
; %bb.401:
	scratch_load_b32 v10, off, off offset:996 ; 4-byte Folded Reload
	v_lshl_add_u32 v9, v1, 4, 0
	s_waitcnt vmcnt(0)
	s_clause 0x1
	scratch_load_b128 v[1:4], v10, off
	scratch_load_b128 v[5:8], v9, off offset:-16
	s_waitcnt vmcnt(1)
	ds_store_2addr_b64 v0, v[1:2], v[3:4] offset1:1
	s_waitcnt vmcnt(0)
	s_clause 0x1
	scratch_store_b128 v10, v[5:8], off
	scratch_store_b128 v9, v[1:4], off offset:-16
.LBB61_402:
	s_or_b32 exec_lo, exec_lo, s0
	v_dual_mov_b32 v1, s16 :: v_dual_mov_b32 v2, s17
	s_mov_b32 s0, exec_lo
	flat_load_b32 v1, v[1:2] offset:232
	s_waitcnt vmcnt(0) lgkmcnt(0)
	;; [unrolled: 21-line block ×36, first 2 shown]
	v_cmpx_ne_u32_e32 25, v1
	s_cbranch_execz .LBB61_472
; %bb.471:
	v_lshl_add_u32 v9, v1, 4, 0
	s_clause 0x1
	scratch_load_b128 v[1:4], v219, off
	scratch_load_b128 v[5:8], v9, off offset:-16
	s_waitcnt vmcnt(1)
	ds_store_2addr_b64 v0, v[1:2], v[3:4] offset1:1
	s_waitcnt vmcnt(0)
	s_clause 0x1
	scratch_store_b128 v219, v[5:8], off
	scratch_store_b128 v9, v[1:4], off offset:-16
.LBB61_472:
	s_or_b32 exec_lo, exec_lo, s0
	v_dual_mov_b32 v1, s16 :: v_dual_mov_b32 v2, s17
	s_mov_b32 s0, exec_lo
	flat_load_b32 v1, v[1:2] offset:92
	s_waitcnt vmcnt(0) lgkmcnt(0)
	v_cmpx_ne_u32_e32 24, v1
	s_cbranch_execz .LBB61_474
; %bb.473:
	v_lshl_add_u32 v9, v1, 4, 0
	s_clause 0x1
	scratch_load_b128 v[1:4], v214, off
	scratch_load_b128 v[5:8], v9, off offset:-16
	s_waitcnt vmcnt(1)
	ds_store_2addr_b64 v0, v[1:2], v[3:4] offset1:1
	s_waitcnt vmcnt(0)
	s_clause 0x1
	scratch_store_b128 v214, v[5:8], off
	scratch_store_b128 v9, v[1:4], off offset:-16
.LBB61_474:
	s_or_b32 exec_lo, exec_lo, s0
	v_dual_mov_b32 v1, s16 :: v_dual_mov_b32 v2, s17
	s_mov_b32 s0, exec_lo
	flat_load_b32 v1, v[1:2] offset:88
	s_waitcnt vmcnt(0) lgkmcnt(0)
	;; [unrolled: 19-line block ×3, first 2 shown]
	v_cmpx_ne_u32_e32 22, v1
	s_cbranch_execz .LBB61_478
; %bb.477:
	scratch_load_b32 v10, off, off offset:1088 ; 4-byte Folded Reload
	v_lshl_add_u32 v9, v1, 4, 0
	s_waitcnt vmcnt(0)
	s_clause 0x1
	scratch_load_b128 v[1:4], v10, off
	scratch_load_b128 v[5:8], v9, off offset:-16
	s_waitcnt vmcnt(1)
	ds_store_2addr_b64 v0, v[1:2], v[3:4] offset1:1
	s_waitcnt vmcnt(0)
	s_clause 0x1
	scratch_store_b128 v10, v[5:8], off
	scratch_store_b128 v9, v[1:4], off offset:-16
.LBB61_478:
	s_or_b32 exec_lo, exec_lo, s0
	v_dual_mov_b32 v1, s16 :: v_dual_mov_b32 v2, s17
	s_mov_b32 s0, exec_lo
	flat_load_b32 v1, v[1:2] offset:80
	s_waitcnt vmcnt(0) lgkmcnt(0)
	v_cmpx_ne_u32_e32 21, v1
	s_cbranch_execz .LBB61_480
; %bb.479:
	scratch_load_b32 v10, off, off offset:1096 ; 4-byte Folded Reload
	v_lshl_add_u32 v9, v1, 4, 0
	s_waitcnt vmcnt(0)
	s_clause 0x1
	scratch_load_b128 v[1:4], v10, off
	scratch_load_b128 v[5:8], v9, off offset:-16
	s_waitcnt vmcnt(1)
	ds_store_2addr_b64 v0, v[1:2], v[3:4] offset1:1
	s_waitcnt vmcnt(0)
	s_clause 0x1
	scratch_store_b128 v10, v[5:8], off
	scratch_store_b128 v9, v[1:4], off offset:-16
.LBB61_480:
	s_or_b32 exec_lo, exec_lo, s0
	v_dual_mov_b32 v1, s16 :: v_dual_mov_b32 v2, s17
	s_mov_b32 s0, exec_lo
	flat_load_b32 v1, v[1:2] offset:76
	s_waitcnt vmcnt(0) lgkmcnt(0)
	;; [unrolled: 21-line block ×17, first 2 shown]
	v_cmpx_ne_u32_e32 5, v1
	s_cbranch_execz .LBB61_512
; %bb.511:
	v_add_nc_u32_e64 v10, 0, 64
	v_lshl_add_u32 v9, v1, 4, 0
	s_clause 0x1
	scratch_load_b128 v[1:4], v10, off
	scratch_load_b128 v[5:8], v9, off offset:-16
	s_waitcnt vmcnt(1)
	ds_store_2addr_b64 v0, v[1:2], v[3:4] offset1:1
	s_waitcnt vmcnt(0)
	s_clause 0x1
	scratch_store_b128 v10, v[5:8], off
	scratch_store_b128 v9, v[1:4], off offset:-16
.LBB61_512:
	s_or_b32 exec_lo, exec_lo, s0
	v_dual_mov_b32 v1, s16 :: v_dual_mov_b32 v2, s17
	s_mov_b32 s0, exec_lo
	flat_load_b32 v1, v[1:2] offset:12
	s_waitcnt vmcnt(0) lgkmcnt(0)
	v_cmpx_ne_u32_e32 4, v1
	s_cbranch_execz .LBB61_514
; %bb.513:
	v_add_nc_u32_e64 v10, 0, 48
	v_lshl_add_u32 v9, v1, 4, 0
	s_clause 0x1
	scratch_load_b128 v[1:4], v10, off
	scratch_load_b128 v[5:8], v9, off offset:-16
	s_waitcnt vmcnt(1)
	ds_store_2addr_b64 v0, v[1:2], v[3:4] offset1:1
	s_waitcnt vmcnt(0)
	s_clause 0x1
	scratch_store_b128 v10, v[5:8], off
	scratch_store_b128 v9, v[1:4], off offset:-16
.LBB61_514:
	s_or_b32 exec_lo, exec_lo, s0
	v_dual_mov_b32 v1, s16 :: v_dual_mov_b32 v2, s17
	s_mov_b32 s0, exec_lo
	flat_load_b32 v1, v[1:2] offset:8
	s_waitcnt vmcnt(0) lgkmcnt(0)
	;; [unrolled: 20-line block ×3, first 2 shown]
	v_cmpx_ne_u32_e32 2, v1
	s_cbranch_execz .LBB61_518
; %bb.517:
	v_add_nc_u32_e64 v10, 0, 16
	v_lshl_add_u32 v9, v1, 4, 0
	s_clause 0x1
	scratch_load_b128 v[1:4], v10, off
	scratch_load_b128 v[5:8], v9, off offset:-16
	s_waitcnt vmcnt(1)
	ds_store_2addr_b64 v0, v[1:2], v[3:4] offset1:1
	s_waitcnt vmcnt(0)
	s_clause 0x1
	scratch_store_b128 v10, v[5:8], off
	scratch_store_b128 v9, v[1:4], off offset:-16
.LBB61_518:
	s_or_b32 exec_lo, exec_lo, s0
	v_dual_mov_b32 v1, s16 :: v_dual_mov_b32 v2, s17
	s_mov_b32 s0, exec_lo
	flat_load_b32 v1, v[1:2]
	s_waitcnt vmcnt(0) lgkmcnt(0)
	v_cmpx_ne_u32_e32 1, v1
	s_cbranch_execz .LBB61_520
; %bb.519:
	v_lshl_add_u32 v9, v1, 4, 0
	scratch_load_b128 v[1:4], off, off
	scratch_load_b128 v[5:8], v9, off offset:-16
	s_waitcnt vmcnt(1)
	ds_store_2addr_b64 v0, v[1:2], v[3:4] offset1:1
	s_waitcnt vmcnt(0)
	scratch_store_b128 off, v[5:8], off
	scratch_store_b128 v9, v[1:4], off offset:-16
.LBB61_520:
	s_or_b32 exec_lo, exec_lo, s0
.LBB61_521:
	v_add_nc_u32_e64 v4, 0, 16
	v_add_nc_u32_e64 v8, 0, 32
	;; [unrolled: 1-line block ×4, first 2 shown]
	scratch_load_b128 v[0:3], off, off
	s_clause 0x3
	scratch_load_b128 v[4:7], v4, off
	scratch_load_b128 v[8:11], v8, off
	;; [unrolled: 1-line block ×4, first 2 shown]
	scratch_load_b32 v20, off, off offset:1184 ; 4-byte Folded Reload
	s_waitcnt vmcnt(0)
	scratch_load_b128 v[20:23], v20, off
	scratch_load_b32 v24, off, off offset:1176 ; 4-byte Folded Reload
	s_waitcnt vmcnt(0)
	scratch_load_b128 v[24:27], v24, off
	;; [unrolled: 3-line block ×16, first 2 shown]
	scratch_load_b32 v48, off, off offset:1088 ; 4-byte Folded Reload
	global_store_b128 v[50:51], v[0:3], off
	s_waitcnt vmcnt(0)
	s_clause 0x2
	scratch_load_b128 v[178:181], v48, off
	scratch_load_b128 v[0:3], v193, off
	;; [unrolled: 1-line block ×3, first 2 shown]
	scratch_load_b64 v[56:57], off, off offset:1204 ; 8-byte Folded Reload
	s_waitcnt vmcnt(0)
	global_store_b128 v[56:57], v[4:7], off
	scratch_load_b128 v[4:7], v219, off
	scratch_load_b32 v56, off, off offset:1200 ; 4-byte Folded Reload
	s_waitcnt vmcnt(0)
	scratch_load_b128 v[232:235], v56, off
	scratch_load_b64 v[56:57], off, off offset:1212 ; 8-byte Folded Reload
	s_waitcnt vmcnt(0)
	global_store_b128 v[56:57], v[8:11], off
	scratch_load_b32 v8, off, off offset:1196 ; 4-byte Folded Reload
	s_waitcnt vmcnt(0)
	scratch_load_b128 v[8:11], v8, off
	scratch_load_b32 v56, off, off offset:1192 ; 4-byte Folded Reload
	s_waitcnt vmcnt(0)
	scratch_load_b128 v[226:229], v56, off
	scratch_load_b64 v[56:57], off, off offset:1220 ; 8-byte Folded Reload
	s_waitcnt vmcnt(0)
	global_store_b128 v[56:57], v[12:15], off
	scratch_load_b32 v12, off, off offset:1188 ; 4-byte Folded Reload
	s_waitcnt vmcnt(0)
	;; [unrolled: 9-line block ×18, first 2 shown]
	s_clause 0x1
	scratch_load_b128 v[252:255], v88, off
	scratch_load_b128 v[88:91], v90, off
	scratch_load_b64 v[92:93], off, off offset:1356 ; 8-byte Folded Reload
	s_waitcnt vmcnt(0)
	global_store_b128 v[92:93], v[174:177], off
	scratch_load_b64 v[92:93], off, off offset:1364 ; 8-byte Folded Reload
	s_waitcnt vmcnt(0)
	global_store_b128 v[92:93], v[178:181], off
	;; [unrolled: 3-line block ×13, first 2 shown]
	scratch_load_b64 v[0:1], off, off offset:1468 ; 8-byte Folded Reload
	s_waitcnt vmcnt(0)
	s_clause 0x1b
	global_store_b128 v[0:1], v[211:214], off
	global_store_b128 v[120:121], v[24:27], off
	global_store_b128 v[122:123], v[60:63], off
	global_store_b128 v[124:125], v[28:31], off
	global_store_b128 v[126:127], v[215:218], off
	global_store_b128 v[128:129], v[32:35], off
	global_store_b128 v[130:131], v[64:67], off
	global_store_b128 v[132:133], v[36:39], off
	global_store_b128 v[134:135], v[195:198], off
	global_store_b128 v[136:137], v[40:43], off
	global_store_b128 v[138:139], v[68:71], off
	global_store_b128 v[140:141], v[44:47], off
	global_store_b128 v[142:143], v[199:202], off
	global_store_b128 v[144:145], v[52:55], off
	global_store_b128 v[146:147], v[72:75], off
	global_store_b128 v[148:149], v[182:185], off
	global_store_b128 v[150:151], v[203:206], off
	global_store_b128 v[152:153], v[76:79], off
	global_store_b128 v[154:155], v[186:189], off
	global_store_b128 v[156:157], v[190:193], off
	global_store_b128 v[158:159], v[207:210], off
	global_store_b128 v[160:161], v[80:83], off
	global_store_b128 v[162:163], v[236:239], off
	global_store_b128 v[164:165], v[240:243], off
	global_store_b128 v[166:167], v[244:247], off
	global_store_b128 v[168:169], v[84:87], off
	global_store_b128 v[170:171], v[248:251], off
	global_store_b128 v[172:173], v[252:255], off
	scratch_load_b64 v[0:1], off, off offset:1412 ; 8-byte Folded Reload
	s_waitcnt vmcnt(0)
	global_store_b128 v[0:1], v[88:91], off
	s_endpgm
	.section	.rodata,"a",@progbits
	.p2align	6, 0x0
	.amdhsa_kernel _ZN9rocsolver6v33100L18getri_kernel_smallILi62E19rocblas_complex_numIdEPS3_EEvT1_iilPiilS6_bb
		.amdhsa_group_segment_fixed_size 3016
		.amdhsa_private_segment_fixed_size 1488
		.amdhsa_kernarg_size 60
		.amdhsa_user_sgpr_count 15
		.amdhsa_user_sgpr_dispatch_ptr 1
		.amdhsa_user_sgpr_queue_ptr 0
		.amdhsa_user_sgpr_kernarg_segment_ptr 1
		.amdhsa_user_sgpr_dispatch_id 0
		.amdhsa_user_sgpr_private_segment_size 0
		.amdhsa_wavefront_size32 1
		.amdhsa_uses_dynamic_stack 0
		.amdhsa_enable_private_segment 1
		.amdhsa_system_sgpr_workgroup_id_x 1
		.amdhsa_system_sgpr_workgroup_id_y 0
		.amdhsa_system_sgpr_workgroup_id_z 0
		.amdhsa_system_sgpr_workgroup_info 0
		.amdhsa_system_vgpr_workitem_id 2
		.amdhsa_next_free_vgpr 256
		.amdhsa_next_free_sgpr 68
		.amdhsa_reserve_vcc 1
		.amdhsa_float_round_mode_32 0
		.amdhsa_float_round_mode_16_64 0
		.amdhsa_float_denorm_mode_32 3
		.amdhsa_float_denorm_mode_16_64 3
		.amdhsa_dx10_clamp 1
		.amdhsa_ieee_mode 1
		.amdhsa_fp16_overflow 0
		.amdhsa_workgroup_processor_mode 1
		.amdhsa_memory_ordered 1
		.amdhsa_forward_progress 0
		.amdhsa_shared_vgpr_count 0
		.amdhsa_exception_fp_ieee_invalid_op 0
		.amdhsa_exception_fp_denorm_src 0
		.amdhsa_exception_fp_ieee_div_zero 0
		.amdhsa_exception_fp_ieee_overflow 0
		.amdhsa_exception_fp_ieee_underflow 0
		.amdhsa_exception_fp_ieee_inexact 0
		.amdhsa_exception_int_div_zero 0
	.end_amdhsa_kernel
	.section	.text._ZN9rocsolver6v33100L18getri_kernel_smallILi62E19rocblas_complex_numIdEPS3_EEvT1_iilPiilS6_bb,"axG",@progbits,_ZN9rocsolver6v33100L18getri_kernel_smallILi62E19rocblas_complex_numIdEPS3_EEvT1_iilPiilS6_bb,comdat
.Lfunc_end61:
	.size	_ZN9rocsolver6v33100L18getri_kernel_smallILi62E19rocblas_complex_numIdEPS3_EEvT1_iilPiilS6_bb, .Lfunc_end61-_ZN9rocsolver6v33100L18getri_kernel_smallILi62E19rocblas_complex_numIdEPS3_EEvT1_iilPiilS6_bb
                                        ; -- End function
	.section	.AMDGPU.csdata,"",@progbits
; Kernel info:
; codeLenInByte = 179700
; NumSgprs: 70
; NumVgprs: 256
; ScratchSize: 1488
; MemoryBound: 0
; FloatMode: 240
; IeeeMode: 1
; LDSByteSize: 3016 bytes/workgroup (compile time only)
; SGPRBlocks: 8
; VGPRBlocks: 31
; NumSGPRsForWavesPerEU: 70
; NumVGPRsForWavesPerEU: 256
; Occupancy: 5
; WaveLimiterHint : 1
; COMPUTE_PGM_RSRC2:SCRATCH_EN: 1
; COMPUTE_PGM_RSRC2:USER_SGPR: 15
; COMPUTE_PGM_RSRC2:TRAP_HANDLER: 0
; COMPUTE_PGM_RSRC2:TGID_X_EN: 1
; COMPUTE_PGM_RSRC2:TGID_Y_EN: 0
; COMPUTE_PGM_RSRC2:TGID_Z_EN: 0
; COMPUTE_PGM_RSRC2:TIDIG_COMP_CNT: 2
	.section	.text._ZN9rocsolver6v33100L18getri_kernel_smallILi63E19rocblas_complex_numIdEPS3_EEvT1_iilPiilS6_bb,"axG",@progbits,_ZN9rocsolver6v33100L18getri_kernel_smallILi63E19rocblas_complex_numIdEPS3_EEvT1_iilPiilS6_bb,comdat
	.globl	_ZN9rocsolver6v33100L18getri_kernel_smallILi63E19rocblas_complex_numIdEPS3_EEvT1_iilPiilS6_bb ; -- Begin function _ZN9rocsolver6v33100L18getri_kernel_smallILi63E19rocblas_complex_numIdEPS3_EEvT1_iilPiilS6_bb
	.p2align	8
	.type	_ZN9rocsolver6v33100L18getri_kernel_smallILi63E19rocblas_complex_numIdEPS3_EEvT1_iilPiilS6_bb,@function
_ZN9rocsolver6v33100L18getri_kernel_smallILi63E19rocblas_complex_numIdEPS3_EEvT1_iilPiilS6_bb: ; @_ZN9rocsolver6v33100L18getri_kernel_smallILi63E19rocblas_complex_numIdEPS3_EEvT1_iilPiilS6_bb
; %bb.0:
	v_and_b32_e32 v176, 0x3ff, v0
	s_mov_b32 s4, exec_lo
	s_delay_alu instid0(VALU_DEP_1)
	v_cmpx_gt_u32_e32 63, v176
	s_cbranch_execz .LBB62_278
; %bb.1:
	s_mov_b32 s18, s15
	s_clause 0x2
	s_load_b32 s21, s[2:3], 0x38
	s_load_b128 s[12:15], s[2:3], 0x10
	s_load_b128 s[4:7], s[2:3], 0x28
                                        ; implicit-def: $sgpr16_sgpr17
	s_waitcnt lgkmcnt(0)
	s_bitcmp1_b32 s21, 8
	s_cselect_b32 s20, -1, 0
	s_bfe_u32 s8, s21, 0x10008
	s_ashr_i32 s19, s18, 31
	s_cmp_eq_u32 s8, 0
	s_cbranch_scc1 .LBB62_3
; %bb.2:
	s_load_b32 s8, s[2:3], 0x20
	s_mul_i32 s5, s18, s5
	s_mul_hi_u32 s9, s18, s4
	s_mul_i32 s10, s19, s4
	s_add_i32 s5, s9, s5
	s_mul_i32 s4, s18, s4
	s_add_i32 s5, s5, s10
	s_delay_alu instid0(SALU_CYCLE_1)
	s_lshl_b64 s[4:5], s[4:5], 2
	s_waitcnt lgkmcnt(0)
	s_ashr_i32 s9, s8, 31
	s_add_u32 s10, s14, s4
	s_addc_u32 s11, s15, s5
	s_lshl_b64 s[4:5], s[8:9], 2
	s_delay_alu instid0(SALU_CYCLE_1)
	s_add_u32 s16, s10, s4
	s_addc_u32 s17, s11, s5
.LBB62_3:
	s_load_b128 s[8:11], s[2:3], 0x0
	s_mul_i32 s2, s18, s13
	s_mul_hi_u32 s3, s18, s12
	s_mul_i32 s4, s19, s12
	s_add_i32 s3, s3, s2
	s_mul_i32 s2, s18, s12
	s_add_i32 s3, s3, s4
	v_lshlrev_b32_e32 v45, 4, v176
	s_lshl_b64 s[2:3], s[2:3], 4
	s_movk_i32 s12, 0xd0
	s_movk_i32 s13, 0xe0
	;; [unrolled: 1-line block ×11, first 2 shown]
	s_waitcnt lgkmcnt(0)
	v_add3_u32 v5, s11, s11, v176
	s_ashr_i32 s5, s10, 31
	s_mov_b32 s4, s10
	s_add_u32 s8, s8, s2
	s_addc_u32 s9, s9, s3
	s_lshl_b64 s[2:3], s[4:5], 4
	v_add_nc_u32_e32 v7, s11, v5
	s_add_u32 s2, s8, s2
	s_addc_u32 s3, s9, s3
	v_add_co_u32 v50, s8, s2, v45
	s_mov_b32 s4, s11
	s_ashr_i32 s5, s11, 31
	v_ashrrev_i32_e32 v6, 31, v5
	v_add_co_ci_u32_e64 v51, null, s3, 0, s8
	v_add_nc_u32_e32 v9, s11, v7
	s_lshl_b64 s[4:5], s[4:5], 4
	v_ashrrev_i32_e32 v8, 31, v7
	v_add_co_u32 v16, vcc_lo, v50, s4
	v_lshlrev_b64 v[11:12], 4, v[5:6]
	v_add_co_ci_u32_e32 v17, vcc_lo, s5, v51, vcc_lo
	v_add_nc_u32_e32 v15, s11, v9
	v_lshlrev_b64 v[13:14], 4, v[7:8]
	v_ashrrev_i32_e32 v10, 31, v9
	scratch_store_b64 off, v[16:17], off offset:1240 ; 8-byte Folded Spill
	global_load_b128 v[5:8], v[16:17], off
	v_add_co_u32 v17, vcc_lo, s2, v11
	v_ashrrev_i32_e32 v16, 31, v15
	v_add_nc_u32_e32 v11, s11, v15
	v_add_co_ci_u32_e32 v18, vcc_lo, s3, v12, vcc_lo
	v_lshlrev_b64 v[9:10], 4, v[9:10]
	v_add_co_u32 v19, vcc_lo, s2, v13
	v_add_co_ci_u32_e32 v20, vcc_lo, s3, v14, vcc_lo
	v_lshlrev_b64 v[13:14], 4, v[15:16]
	v_ashrrev_i32_e32 v12, 31, v11
	v_add_nc_u32_e32 v15, s11, v11
	v_add_co_u32 v21, vcc_lo, s2, v9
	v_add_co_ci_u32_e32 v22, vcc_lo, s3, v10, vcc_lo
	s_delay_alu instid0(VALU_DEP_4) | instskip(NEXT) | instid1(VALU_DEP_4)
	v_lshlrev_b64 v[9:10], 4, v[11:12]
	v_ashrrev_i32_e32 v16, 31, v15
	v_add_nc_u32_e32 v11, s11, v15
	v_add_co_u32 v23, vcc_lo, s2, v13
	v_add_co_ci_u32_e32 v24, vcc_lo, s3, v14, vcc_lo
	s_delay_alu instid0(VALU_DEP_4) | instskip(NEXT) | instid1(VALU_DEP_4)
	;; [unrolled: 6-line block ×10, first 2 shown]
	v_lshlrev_b64 v[13:14], 4, v[15:16]
	v_add_nc_u32_e32 v15, s11, v11
	v_ashrrev_i32_e32 v12, 31, v11
	global_load_b128 v[1:4], v45, s[2:3]
	s_clause 0x3
	scratch_store_b64 off, v[17:18], off offset:1248
	scratch_store_b64 off, v[19:20], off offset:1256
	;; [unrolled: 1-line block ×4, first 2 shown]
	s_clause 0x1
	global_load_b128 v[46:49], v[17:18], off
	global_load_b128 v[138:141], v[19:20], off
	v_add_co_u32 v17, vcc_lo, s2, v9
	v_ashrrev_i32_e32 v16, 31, v15
	v_add_co_ci_u32_e32 v18, vcc_lo, s3, v10, vcc_lo
	v_lshlrev_b64 v[9:10], 4, v[11:12]
	v_add_nc_u32_e32 v11, s11, v15
	v_add_co_u32 v19, vcc_lo, s2, v13
	v_add_co_ci_u32_e32 v20, vcc_lo, s3, v14, vcc_lo
	v_lshlrev_b64 v[13:14], 4, v[15:16]
	s_clause 0x1
	global_load_b128 v[142:145], v[21:22], off
	global_load_b128 v[146:149], v[23:24], off
	v_ashrrev_i32_e32 v12, 31, v11
	v_add_co_u32 v21, vcc_lo, s2, v9
	v_add_nc_u32_e32 v15, s11, v11
	v_add_co_ci_u32_e32 v22, vcc_lo, s3, v10, vcc_lo
	v_add_co_u32 v23, vcc_lo, s2, v13
	v_lshlrev_b64 v[9:10], 4, v[11:12]
	v_add_co_ci_u32_e32 v24, vcc_lo, s3, v14, vcc_lo
	global_load_b128 v[150:153], v[25:26], off
	v_ashrrev_i32_e32 v16, 31, v15
	v_add_nc_u32_e32 v11, s11, v15
	global_load_b128 v[197:200], v[23:24], off
	s_clause 0x3
	scratch_store_b64 off, v[25:26], off offset:1280
	scratch_store_b64 off, v[27:28], off offset:1288
	;; [unrolled: 1-line block ×4, first 2 shown]
	v_add_co_u32 v25, vcc_lo, s2, v9
	v_lshlrev_b64 v[13:14], 4, v[15:16]
	v_add_co_ci_u32_e32 v26, vcc_lo, s3, v10, vcc_lo
	v_ashrrev_i32_e32 v12, 31, v11
	v_add_nc_u32_e32 v15, s11, v11
	s_clause 0x1
	global_load_b128 v[154:157], v[27:28], off
	global_load_b128 v[201:204], v[25:26], off
	v_add_co_u32 v27, vcc_lo, s2, v13
	v_lshlrev_b64 v[9:10], 4, v[11:12]
	v_add_co_ci_u32_e32 v28, vcc_lo, s3, v14, vcc_lo
	v_ashrrev_i32_e32 v16, 31, v15
	v_add_nc_u32_e32 v11, s11, v15
	s_clause 0x1
	global_load_b128 v[158:161], v[29:30], off
	global_load_b128 v[205:208], v[27:28], off
	v_add_co_u32 v29, vcc_lo, s2, v9
	v_lshlrev_b64 v[13:14], 4, v[15:16]
	v_ashrrev_i32_e32 v12, 31, v11
	v_add_nc_u32_e32 v15, s11, v11
	v_add_co_ci_u32_e32 v30, vcc_lo, s3, v10, vcc_lo
	global_load_b128 v[162:165], v[31:32], off
	v_lshlrev_b64 v[9:10], 4, v[11:12]
	v_ashrrev_i32_e32 v16, 31, v15
	global_load_b128 v[209:212], v[29:30], off
	v_add_nc_u32_e32 v11, s11, v15
	v_add_co_u32 v31, vcc_lo, s2, v13
	v_add_co_ci_u32_e32 v32, vcc_lo, s3, v14, vcc_lo
	v_lshlrev_b64 v[13:14], 4, v[15:16]
	s_delay_alu instid0(VALU_DEP_4)
	v_ashrrev_i32_e32 v12, 31, v11
	v_add_nc_u32_e32 v15, s11, v11
	s_clause 0x3
	scratch_store_b64 off, v[33:34], off offset:1312
	scratch_store_b64 off, v[35:36], off offset:1320
	;; [unrolled: 1-line block ×4, first 2 shown]
	s_clause 0x1
	global_load_b128 v[166:169], v[33:34], off
	global_load_b128 v[213:216], v[31:32], off
	v_add_co_u32 v33, vcc_lo, s2, v9
	v_add_co_ci_u32_e32 v34, vcc_lo, s3, v10, vcc_lo
	v_lshlrev_b64 v[9:10], 4, v[11:12]
	v_ashrrev_i32_e32 v16, 31, v15
	v_add_nc_u32_e32 v11, s11, v15
	s_clause 0x3
	scratch_store_b64 off, v[17:18], off offset:1344
	scratch_store_b64 off, v[19:20], off offset:1352
	;; [unrolled: 1-line block ×4, first 2 shown]
	s_clause 0x1
	global_load_b128 v[185:188], v[17:18], off
	global_load_b128 v[189:192], v[19:20], off
	v_add_co_u32 v17, vcc_lo, s2, v13
	v_add_co_ci_u32_e32 v18, vcc_lo, s3, v14, vcc_lo
	v_lshlrev_b64 v[13:14], 4, v[15:16]
	v_add_nc_u32_e32 v15, s11, v11
	v_ashrrev_i32_e32 v12, 31, v11
	v_add_co_u32 v19, vcc_lo, s2, v9
	v_add_co_ci_u32_e32 v20, vcc_lo, s3, v10, vcc_lo
	s_delay_alu instid0(VALU_DEP_4) | instskip(NEXT) | instid1(VALU_DEP_4)
	v_ashrrev_i32_e32 v16, 31, v15
	v_lshlrev_b64 v[9:10], 4, v[11:12]
	v_add_co_u32 v13, vcc_lo, s2, v13
	v_add_co_ci_u32_e32 v14, vcc_lo, s3, v14, vcc_lo
	s_delay_alu instid0(VALU_DEP_4) | instskip(NEXT) | instid1(VALU_DEP_4)
	v_lshlrev_b64 v[11:12], 4, v[15:16]
	v_add_co_u32 v9, vcc_lo, s2, v9
	s_clause 0x3
	global_load_b128 v[170:173], v[35:36], off
	global_load_b128 v[217:220], v[33:34], off
	;; [unrolled: 1-line block ×4, first 2 shown]
	v_add_co_ci_u32_e32 v10, vcc_lo, s3, v10, vcc_lo
	global_load_b128 v[193:196], v[21:22], off
	v_add_co_u32 v11, vcc_lo, s2, v11
	v_add_co_ci_u32_e32 v12, vcc_lo, s3, v12, vcc_lo
	s_clause 0x4
	global_load_b128 v[221:224], v[17:18], off
	global_load_b128 v[225:228], v[19:20], off
	;; [unrolled: 1-line block ×5, first 2 shown]
	s_clause 0x1
	scratch_store_b64 off, v[9:10], off offset:1440
	scratch_store_b64 off, v[11:12], off offset:1448
	v_add_nc_u32_e32 v9, s11, v15
	s_clause 0x3
	scratch_store_b64 off, v[33:34], off offset:1408
	scratch_store_b64 off, v[17:18], off offset:1416
	;; [unrolled: 1-line block ×4, first 2 shown]
	v_ashrrev_i32_e32 v10, 31, v9
	v_add_nc_u32_e32 v11, s11, v9
	s_clause 0x3
	scratch_store_b64 off, v[25:26], off offset:1376
	scratch_store_b64 off, v[27:28], off offset:1384
	;; [unrolled: 1-line block ×4, first 2 shown]
	v_lshlrev_b64 v[9:10], 4, v[9:10]
	v_ashrrev_i32_e32 v12, 31, v11
	s_movk_i32 s4, 0x70
	s_movk_i32 s5, 0x80
	;; [unrolled: 1-line block ×4, first 2 shown]
	v_add_co_u32 v13, vcc_lo, s2, v9
	v_add_co_ci_u32_e32 v14, vcc_lo, s3, v10, vcc_lo
	v_lshlrev_b64 v[9:10], 4, v[11:12]
	v_add_nc_u32_e32 v11, s11, v11
	s_movk_i32 s10, 0xb0
	scratch_store_b64 off, v[13:14], off offset:1456 ; 8-byte Folded Spill
	global_load_b128 v[41:44], v[13:14], off
	s_movk_i32 s29, 0x180
	v_add_co_u32 v13, vcc_lo, s2, v9
	v_add_nc_u32_e32 v9, s11, v11
	v_ashrrev_i32_e32 v12, 31, v11
	v_add_co_ci_u32_e32 v14, vcc_lo, s3, v10, vcc_lo
	s_movk_i32 s30, 0x190
	s_delay_alu instid0(VALU_DEP_3) | instskip(NEXT) | instid1(VALU_DEP_3)
	v_ashrrev_i32_e32 v10, 31, v9
	v_lshlrev_b64 v[11:12], 4, v[11:12]
	scratch_store_b64 off, v[13:14], off offset:1464 ; 8-byte Folded Spill
	global_load_b128 v[37:40], v[13:14], off
	s_movk_i32 s31, 0x1a0
	v_lshlrev_b64 v[13:14], 4, v[9:10]
	v_add_nc_u32_e32 v9, s11, v9
	v_add_co_u32 v10, vcc_lo, s2, v11
	v_add_co_ci_u32_e32 v11, vcc_lo, s3, v12, vcc_lo
	s_delay_alu instid0(VALU_DEP_4)
	v_add_co_u32 v12, vcc_lo, s2, v13
	v_add_co_ci_u32_e32 v13, vcc_lo, s3, v14, vcc_lo
	scratch_store_b64 off, v[10:11], off offset:1472 ; 8-byte Folded Spill
	global_load_b128 v[29:32], v[10:11], off
	s_movk_i32 s33, 0x1b0
	global_load_b128 v[33:36], v[12:13], off
	v_ashrrev_i32_e32 v10, 31, v9
	v_add_nc_u32_e32 v11, s11, v9
	s_movk_i32 s34, 0x1c0
	s_movk_i32 s35, 0x1d0
	;; [unrolled: 1-line block ×3, first 2 shown]
	v_lshlrev_b64 v[9:10], 4, v[9:10]
	s_movk_i32 s37, 0x1f0
	s_movk_i32 s38, 0x200
	;; [unrolled: 1-line block ×5, first 2 shown]
	v_add_co_u32 v9, vcc_lo, s2, v9
	v_add_co_ci_u32_e32 v10, vcc_lo, s3, v10, vcc_lo
	scratch_store_b64 off, v[12:13], off offset:1480 ; 8-byte Folded Spill
	v_ashrrev_i32_e32 v12, 31, v11
	v_add_nc_u32_e32 v13, s11, v11
	s_movk_i32 s42, 0x240
	s_movk_i32 s43, 0x250
	;; [unrolled: 1-line block ×3, first 2 shown]
	v_lshlrev_b64 v[11:12], 4, v[11:12]
	v_add_nc_u32_e32 v15, s11, v13
	v_ashrrev_i32_e32 v14, 31, v13
	s_movk_i32 s45, 0x270
	s_movk_i32 s46, 0x280
	;; [unrolled: 1-line block ×3, first 2 shown]
	v_add_co_u32 v19, vcc_lo, s2, v11
	v_add_co_ci_u32_e32 v20, vcc_lo, s3, v12, vcc_lo
	scratch_store_b64 off, v[9:10], off offset:1488 ; 8-byte Folded Spill
	global_load_b128 v[9:12], v[9:10], off
	v_add_nc_u32_e32 v17, s11, v15
	scratch_store_b64 off, v[19:20], off offset:1496 ; 8-byte Folded Spill
	v_ashrrev_i32_e32 v16, 31, v15
	v_lshlrev_b64 v[13:14], 4, v[13:14]
	s_movk_i32 s48, 0x2a0
	v_add_nc_u32_e32 v21, s11, v17
	v_ashrrev_i32_e32 v18, 31, v17
	v_lshlrev_b64 v[15:16], 4, v[15:16]
	s_movk_i32 s49, 0x2b0
	v_add_co_u32 v118, vcc_lo, s2, v13
	v_add_nc_u32_e32 v25, s11, v21
	v_ashrrev_i32_e32 v22, 31, v21
	v_lshlrev_b64 v[23:24], 4, v[17:18]
	v_add_co_ci_u32_e32 v119, vcc_lo, s3, v14, vcc_lo
	s_delay_alu instid0(VALU_DEP_4) | instskip(SKIP_3) | instid1(VALU_DEP_4)
	v_add_nc_u32_e32 v52, s11, v25
	v_ashrrev_i32_e32 v26, 31, v25
	v_add_co_u32 v120, vcc_lo, s2, v15
	v_lshlrev_b64 v[21:22], 4, v[21:22]
	v_add_nc_u32_e32 v56, s11, v52
	v_add_co_ci_u32_e32 v121, vcc_lo, s3, v16, vcc_lo
	v_add_co_u32 v122, vcc_lo, s2, v23
	v_lshlrev_b64 v[54:55], 4, v[25:26]
	v_ashrrev_i32_e32 v53, 31, v52
	v_add_co_ci_u32_e32 v123, vcc_lo, s3, v24, vcc_lo
	v_add_co_u32 v124, vcc_lo, s2, v21
	v_ashrrev_i32_e32 v57, 31, v56
	v_add_nc_u32_e32 v58, s11, v56
	v_add_co_ci_u32_e32 v125, vcc_lo, s3, v22, vcc_lo
	v_lshlrev_b64 v[52:53], 4, v[52:53]
	v_add_co_u32 v126, vcc_lo, s2, v54
	v_add_co_ci_u32_e32 v127, vcc_lo, s3, v55, vcc_lo
	v_lshlrev_b64 v[54:55], 4, v[56:57]
	v_ashrrev_i32_e32 v59, 31, v58
	v_add_nc_u32_e32 v56, s11, v58
	v_add_co_u32 v128, vcc_lo, s2, v52
	v_add_co_ci_u32_e32 v129, vcc_lo, s3, v53, vcc_lo
	s_delay_alu instid0(VALU_DEP_4) | instskip(NEXT) | instid1(VALU_DEP_4)
	v_lshlrev_b64 v[52:53], 4, v[58:59]
	v_add_nc_u32_e32 v58, s11, v56
	v_ashrrev_i32_e32 v57, 31, v56
	v_add_co_u32 v130, vcc_lo, s2, v54
	v_add_co_ci_u32_e32 v131, vcc_lo, s3, v55, vcc_lo
	s_delay_alu instid0(VALU_DEP_4) | instskip(NEXT) | instid1(VALU_DEP_4)
	v_ashrrev_i32_e32 v59, 31, v58
	v_lshlrev_b64 v[54:55], 4, v[56:57]
	v_add_nc_u32_e32 v56, s11, v58
	v_add_co_u32 v132, vcc_lo, s2, v52
	v_add_co_ci_u32_e32 v133, vcc_lo, s3, v53, vcc_lo
	v_lshlrev_b64 v[52:53], 4, v[58:59]
	s_delay_alu instid0(VALU_DEP_4) | instskip(SKIP_2) | instid1(VALU_DEP_4)
	v_add_nc_u32_e32 v58, s11, v56
	v_add_co_u32 v134, vcc_lo, s2, v54
	v_add_co_ci_u32_e32 v135, vcc_lo, s3, v55, vcc_lo
	v_add_co_u32 v136, vcc_lo, s2, v52
	s_delay_alu instid0(VALU_DEP_4) | instskip(SKIP_3) | instid1(VALU_DEP_4)
	v_add_nc_u32_e32 v52, s11, v58
	v_ashrrev_i32_e32 v57, 31, v56
	v_ashrrev_i32_e32 v59, 31, v58
	v_add_co_ci_u32_e32 v137, vcc_lo, s3, v53, vcc_lo
	v_add_nc_u32_e32 v60, s11, v52
	s_delay_alu instid0(VALU_DEP_4)
	v_lshlrev_b64 v[54:55], 4, v[56:57]
	v_ashrrev_i32_e32 v53, 31, v52
	v_lshlrev_b64 v[56:57], 4, v[58:59]
	s_clause 0x1
	global_load_b128 v[17:20], v[19:20], off
	global_load_b128 v[13:16], v[118:119], off
	v_add_nc_u32_e32 v64, s11, v60
	v_ashrrev_i32_e32 v61, 31, v60
	s_clause 0x3
	global_load_b128 v[21:24], v[120:121], off
	global_load_b128 v[25:28], v[122:123], off
	;; [unrolled: 1-line block ×4, first 2 shown]
	v_lshlrev_b64 v[62:63], 4, v[52:53]
	v_add_nc_u32_e32 v68, s11, v64
	v_ashrrev_i32_e32 v65, 31, v64
	v_lshlrev_b64 v[60:61], 4, v[60:61]
	s_movk_i32 s50, 0x2c0
	s_movk_i32 s51, 0x2d0
	v_add_nc_u32_e32 v90, s11, v68
	v_ashrrev_i32_e32 v69, 31, v68
	v_lshlrev_b64 v[70:71], 4, v[64:65]
	s_movk_i32 s52, 0x2e0
	s_movk_i32 s53, 0x2f0
	;; [unrolled: 5-line block ×3, first 2 shown]
	s_waitcnt vmcnt(37)
	scratch_store_b128 off, v[1:4], off
	s_clause 0x1
	global_load_b128 v[1:4], v[128:129], off
	global_load_b128 v[249:252], v[130:131], off
	scratch_store_b128 off, v[5:8], off offset:16
	s_waitcnt vmcnt(38)
	scratch_store_b128 off, v[46:49], off offset:32
	s_waitcnt vmcnt(37)
	scratch_store_b128 off, v[138:141], off offset:48
	v_add_co_u32 v138, vcc_lo, s2, v54
	v_add_co_ci_u32_e32 v139, vcc_lo, s3, v55, vcc_lo
	v_add_co_u32 v140, vcc_lo, s2, v56
	v_add_co_ci_u32_e32 v141, vcc_lo, s3, v57, vcc_lo
	s_clause 0x1
	global_load_b128 v[5:8], v[132:133], off
	global_load_b128 v[46:49], v[134:135], off
	v_ashrrev_i32_e32 v95, 31, v94
	v_add_nc_u32_e32 v96, s11, v94
	v_lshlrev_b64 v[90:91], 4, v[90:91]
	s_movk_i32 s56, 0x320
	s_waitcnt vmcnt(38)
	scratch_store_b128 off, v[142:145], off offset:64
	v_add_co_u32 v142, vcc_lo, s2, v62
	v_add_co_ci_u32_e32 v143, vcc_lo, s3, v63, vcc_lo
	v_add_co_u32 v144, vcc_lo, s2, v60
	v_add_co_ci_u32_e32 v145, vcc_lo, s3, v61, vcc_lo
	s_waitcnt vmcnt(37)
	scratch_store_b128 off, v[146:149], off offset:80
	s_waitcnt vmcnt(36)
	scratch_store_b128 off, v[150:153], off offset:96
	v_add_co_u32 v146, vcc_lo, s2, v70
	v_add_co_ci_u32_e32 v147, vcc_lo, s3, v71, vcc_lo
	v_add_co_u32 v148, vcc_lo, s2, v68
	v_lshlrev_b64 v[94:95], 4, v[94:95]
	v_add_nc_u32_e32 v98, s11, v96
	v_add_co_ci_u32_e32 v149, vcc_lo, s3, v69, vcc_lo
	v_ashrrev_i32_e32 v97, 31, v96
	v_add_co_u32 v150, vcc_lo, s2, v90
	v_add_co_ci_u32_e32 v151, vcc_lo, s3, v91, vcc_lo
	v_add_co_u32 v152, vcc_lo, s2, v94
	v_add_nc_u32_e32 v94, s11, v98
	v_lshlrev_b64 v[90:91], 4, v[96:97]
	v_ashrrev_i32_e32 v99, 31, v98
	v_add_co_ci_u32_e32 v153, vcc_lo, s3, v95, vcc_lo
	s_delay_alu instid0(VALU_DEP_4)
	v_ashrrev_i32_e32 v95, 31, v94
	s_clause 0x1
	global_load_b128 v[52:55], v[136:137], off
	global_load_b128 v[56:59], v[138:139], off
	v_lshlrev_b64 v[96:97], 4, v[98:99]
	s_waitcnt vmcnt(36)
	scratch_store_b128 off, v[154:157], off offset:112
	v_add_co_u32 v154, vcc_lo, s2, v90
	v_add_co_ci_u32_e32 v155, vcc_lo, s3, v91, vcc_lo
	v_lshlrev_b64 v[90:91], 4, v[94:95]
	v_add_nc_u32_e32 v98, s11, v94
	v_add_co_u32 v156, vcc_lo, s2, v96
	v_add_co_ci_u32_e32 v157, vcc_lo, s3, v97, vcc_lo
	s_waitcnt vmcnt(34)
	scratch_store_b128 off, v[158:161], off offset:128
	s_waitcnt vmcnt(32)
	scratch_store_b128 off, v[162:165], off offset:144
	v_add_co_u32 v158, vcc_lo, s2, v90
	v_add_nc_u32_e32 v90, s11, v98
	v_ashrrev_i32_e32 v99, 31, v98
	v_add_co_ci_u32_e32 v159, vcc_lo, s3, v91, vcc_lo
	s_clause 0x1
	global_load_b128 v[60:63], v[140:141], off
	global_load_b128 v[64:67], v[142:143], off
	v_add_nc_u32_e32 v96, s11, v90
	v_lshlrev_b64 v[94:95], 4, v[98:99]
	v_ashrrev_i32_e32 v91, 31, v90
	s_movk_i32 s57, 0x330
	s_movk_i32 s58, 0x340
	v_ashrrev_i32_e32 v97, 31, v96
	v_add_nc_u32_e32 v98, s11, v96
	v_add_co_u32 v160, vcc_lo, s2, v94
	v_lshlrev_b64 v[90:91], 4, v[90:91]
	v_add_co_ci_u32_e32 v161, vcc_lo, s3, v95, vcc_lo
	v_lshlrev_b64 v[94:95], 4, v[96:97]
	v_add_nc_u32_e32 v96, s11, v98
	v_ashrrev_i32_e32 v99, 31, v98
	v_add_co_u32 v162, vcc_lo, s2, v90
	v_add_co_ci_u32_e32 v163, vcc_lo, s3, v91, vcc_lo
	s_delay_alu instid0(VALU_DEP_4) | instskip(NEXT) | instid1(VALU_DEP_4)
	v_ashrrev_i32_e32 v97, 31, v96
	v_lshlrev_b64 v[90:91], 4, v[98:99]
	v_add_co_u32 v164, vcc_lo, s2, v94
	v_add_co_ci_u32_e32 v165, vcc_lo, s3, v95, vcc_lo
	s_delay_alu instid0(VALU_DEP_4)
	v_lshlrev_b64 v[94:95], 4, v[96:97]
	s_waitcnt vmcnt(32)
	scratch_store_b128 off, v[166:169], off offset:160
	v_add_co_u32 v166, vcc_lo, s2, v90
	s_waitcnt vmcnt(28)
	scratch_store_b128 off, v[170:173], off offset:176
	s_waitcnt vmcnt(26)
	scratch_store_b128 off, v[177:180], off offset:192
	s_clause 0x1
	global_load_b128 v[177:180], v[144:145], off
	global_load_b128 v[68:71], v[146:147], off
	s_waitcnt vmcnt(27)
	s_clause 0x2
	scratch_store_b128 off, v[181:184], off offset:208
	scratch_store_b128 off, v[185:188], off offset:224
	;; [unrolled: 1-line block ×3, first 2 shown]
	v_add_co_ci_u32_e32 v167, vcc_lo, s3, v91, vcc_lo
	s_clause 0x1
	global_load_b128 v[181:184], v[148:149], off
	global_load_b128 v[185:188], v[150:151], off
	s_waitcnt vmcnt(28)
	s_clause 0x2
	scratch_store_b128 off, v[193:196], off offset:256
	scratch_store_b128 off, v[197:200], off offset:272
	;; [unrolled: 1-line block ×3, first 2 shown]
	v_add_co_u32 v168, vcc_lo, s2, v94
	s_clause 0x1
	global_load_b128 v[189:192], v[152:153], off
	global_load_b128 v[193:196], v[154:155], off
	s_clause 0x2
	scratch_store_b128 off, v[205:208], off offset:304
	scratch_store_b128 off, v[209:212], off offset:320
	scratch_store_b128 off, v[213:216], off offset:336
	s_clause 0x1
	global_load_b128 v[197:200], v[156:157], off
	global_load_b128 v[201:204], v[158:159], off
	scratch_store_b128 off, v[217:220], off offset:352
	s_waitcnt vmcnt(31)
	scratch_store_b128 off, v[221:224], off offset:368
	s_waitcnt vmcnt(30)
	;; [unrolled: 2-line block ×4, first 2 shown]
	s_clause 0x1
	scratch_store_b128 off, v[233:236], off offset:416
	scratch_store_b128 off, v[237:240], off offset:432
	v_add_co_ci_u32_e32 v169, vcc_lo, s3, v95, vcc_lo
	s_clause 0x4
	global_load_b128 v[205:208], v[160:161], off
	global_load_b128 v[227:230], v[162:163], off
	;; [unrolled: 1-line block ×5, first 2 shown]
	v_add_nc_u32_e32 v90, s11, v96
	s_movk_i32 s59, 0x350
	s_movk_i32 s60, 0x360
	;; [unrolled: 1-line block ×4, first 2 shown]
	v_ashrrev_i32_e32 v91, 31, v90
	s_movk_i32 s63, 0x390
	s_movk_i32 s64, 0x3a0
	;; [unrolled: 1-line block ×6, first 2 shown]
	s_bitcmp0_b32 s21, 0
	s_waitcnt vmcnt(31)
	scratch_store_b128 off, v[41:44], off offset:448
	v_add_nc_u32_e32 v41, s11, v90
	v_lshlrev_b64 v[90:91], 4, v[90:91]
	s_delay_alu instid0(VALU_DEP_2) | instskip(SKIP_1) | instid1(VALU_DEP_3)
	v_add_nc_u32_e32 v43, s11, v41
	v_ashrrev_i32_e32 v42, 31, v41
	v_add_co_u32 v170, vcc_lo, s2, v90
	s_delay_alu instid0(VALU_DEP_4)
	v_add_co_ci_u32_e32 v171, vcc_lo, s3, v91, vcc_lo
	s_waitcnt vmcnt(30)
	scratch_store_b128 off, v[37:40], off offset:464
	v_ashrrev_i32_e32 v44, 31, v43
	v_lshlrev_b64 v[37:38], 4, v[41:42]
	s_movk_i32 s11, 0xc0
	s_delay_alu instid0(VALU_DEP_2) | instskip(NEXT) | instid1(VALU_DEP_2)
	v_lshlrev_b64 v[39:40], 4, v[43:44]
	v_add_co_u32 v172, vcc_lo, s2, v37
	s_delay_alu instid0(VALU_DEP_3) | instskip(NEXT) | instid1(VALU_DEP_3)
	v_add_co_ci_u32_e32 v173, vcc_lo, s3, v38, vcc_lo
	v_add_co_u32 v174, vcc_lo, s2, v39
	s_delay_alu instid0(VALU_DEP_4)
	v_add_co_ci_u32_e32 v175, vcc_lo, s3, v40, vcc_lo
	s_waitcnt vmcnt(29)
	scratch_store_b128 off, v[29:32], off offset:480
	s_waitcnt vmcnt(28)
	scratch_store_b128 off, v[33:36], off offset:496
	s_clause 0x2
	global_load_b128 v[37:40], v[170:171], off
	global_load_b128 v[29:32], v[172:173], off
	;; [unrolled: 1-line block ×3, first 2 shown]
	s_movk_i32 s2, 0x50
	s_waitcnt vmcnt(30)
	scratch_store_b128 off, v[9:12], off offset:512
	s_waitcnt vmcnt(29)
	scratch_store_b128 off, v[17:20], off offset:528
	v_add_nc_u32_e64 v9, s2, 0
	s_movk_i32 s3, 0x60
	scratch_store_b32 off, v9, off offset:1176 ; 4-byte Folded Spill
	v_add_nc_u32_e64 v9, s3, 0
	s_mov_b32 s3, -1
	scratch_store_b32 off, v9, off offset:1168 ; 4-byte Folded Spill
	v_add_nc_u32_e64 v9, s4, 0
	scratch_store_b32 off, v9, off offset:1160 ; 4-byte Folded Spill
	v_add_nc_u32_e64 v9, s5, 0
	scratch_store_b32 off, v9, off offset:1156 ; 4-byte Folded Spill
	s_waitcnt vmcnt(28)
	scratch_store_b128 off, v[13:16], off offset:544
	v_add_nc_u32_e64 v9, s8, 0
	scratch_store_b32 off, v9, off offset:1152 ; 4-byte Folded Spill
	v_add_nc_u32_e64 v9, s9, 0
	scratch_store_b32 off, v9, off offset:1144 ; 4-byte Folded Spill
	;; [unrolled: 2-line block ×4, first 2 shown]
	s_waitcnt vmcnt(27)
	scratch_store_b128 off, v[21:24], off offset:560
	s_waitcnt vmcnt(26)
	scratch_store_b128 off, v[25:28], off offset:576
	;; [unrolled: 2-line block ×25, first 2 shown]
	v_add_nc_u32_e64 v1, s12, 0
	scratch_store_b32 off, v1, off offset:1232 ; 4-byte Folded Spill
	v_add_nc_u32_e64 v1, s13, 0
	scratch_store_b32 off, v1, off offset:1228 ; 4-byte Folded Spill
	;; [unrolled: 2-line block ×50, first 2 shown]
	s_waitcnt vmcnt(2)
	scratch_store_b128 off, v[37:40], off offset:960
	s_waitcnt vmcnt(1)
	scratch_store_b128 off, v[29:32], off offset:976
	;; [unrolled: 2-line block ×3, first 2 shown]
	s_cbranch_scc1 .LBB62_276
; %bb.4:
	v_cmp_eq_u32_e64 s2, 0, v176
	s_delay_alu instid0(VALU_DEP_1)
	s_and_saveexec_b32 s3, s2
	s_cbranch_execz .LBB62_6
; %bb.5:
	v_mov_b32_e32 v1, 0
	ds_store_b32 v1, v1 offset:2016
.LBB62_6:
	s_or_b32 exec_lo, exec_lo, s3
	s_waitcnt lgkmcnt(0)
	s_waitcnt_vscnt null, 0x0
	s_barrier
	buffer_gl0_inv
	scratch_load_b128 v[1:4], v45, off
	s_waitcnt vmcnt(0)
	v_cmp_eq_f64_e32 vcc_lo, 0, v[1:2]
	v_cmp_eq_f64_e64 s3, 0, v[3:4]
	s_delay_alu instid0(VALU_DEP_1) | instskip(NEXT) | instid1(SALU_CYCLE_1)
	s_and_b32 s3, vcc_lo, s3
	s_and_saveexec_b32 s4, s3
	s_cbranch_execz .LBB62_10
; %bb.7:
	v_mov_b32_e32 v1, 0
	s_mov_b32 s5, 0
	ds_load_b32 v2, v1 offset:2016
	s_waitcnt lgkmcnt(0)
	v_readfirstlane_b32 s3, v2
	v_add_nc_u32_e32 v2, 1, v176
	s_delay_alu instid0(VALU_DEP_2) | instskip(NEXT) | instid1(VALU_DEP_1)
	s_cmp_eq_u32 s3, 0
	v_cmp_gt_i32_e32 vcc_lo, s3, v2
	s_cselect_b32 s8, -1, 0
	s_delay_alu instid0(SALU_CYCLE_1) | instskip(NEXT) | instid1(SALU_CYCLE_1)
	s_or_b32 s8, s8, vcc_lo
	s_and_b32 exec_lo, exec_lo, s8
	s_cbranch_execz .LBB62_10
; %bb.8:
	v_mov_b32_e32 v3, s3
.LBB62_9:                               ; =>This Inner Loop Header: Depth=1
	ds_cmpstore_rtn_b32 v3, v1, v2, v3 offset:2016
	s_waitcnt lgkmcnt(0)
	v_cmp_ne_u32_e32 vcc_lo, 0, v3
	v_cmp_le_i32_e64 s3, v3, v2
	s_delay_alu instid0(VALU_DEP_1) | instskip(NEXT) | instid1(SALU_CYCLE_1)
	s_and_b32 s3, vcc_lo, s3
	s_and_b32 s3, exec_lo, s3
	s_delay_alu instid0(SALU_CYCLE_1) | instskip(NEXT) | instid1(SALU_CYCLE_1)
	s_or_b32 s5, s3, s5
	s_and_not1_b32 exec_lo, exec_lo, s5
	s_cbranch_execnz .LBB62_9
.LBB62_10:
	s_or_b32 exec_lo, exec_lo, s4
	v_mov_b32_e32 v1, 0
	s_barrier
	buffer_gl0_inv
	ds_load_b32 v2, v1 offset:2016
	s_and_saveexec_b32 s3, s2
	s_cbranch_execz .LBB62_12
; %bb.11:
	s_lshl_b64 s[4:5], s[18:19], 2
	s_delay_alu instid0(SALU_CYCLE_1)
	s_add_u32 s4, s6, s4
	s_addc_u32 s5, s7, s5
	s_waitcnt lgkmcnt(0)
	global_store_b32 v1, v2, s[4:5]
.LBB62_12:
	s_or_b32 exec_lo, exec_lo, s3
	s_waitcnt lgkmcnt(0)
	v_cmp_ne_u32_e32 vcc_lo, 0, v2
	s_mov_b32 s3, 0
	s_cbranch_vccnz .LBB62_276
; %bb.13:
	v_add_nc_u32_e32 v13, 0, v45
                                        ; implicit-def: $vgpr9_vgpr10
	scratch_load_b128 v[1:4], v13, off
	s_waitcnt vmcnt(0)
	v_cmp_gt_f64_e32 vcc_lo, 0, v[1:2]
	v_xor_b32_e32 v6, 0x80000000, v2
	v_xor_b32_e32 v7, 0x80000000, v4
	s_delay_alu instid0(VALU_DEP_2) | instskip(SKIP_1) | instid1(VALU_DEP_3)
	v_cndmask_b32_e32 v6, v2, v6, vcc_lo
	v_cmp_gt_f64_e32 vcc_lo, 0, v[3:4]
	v_dual_mov_b32 v5, v1 :: v_dual_cndmask_b32 v8, v4, v7
	v_mov_b32_e32 v7, v3
	s_delay_alu instid0(VALU_DEP_1) | instskip(SKIP_1) | instid1(SALU_CYCLE_1)
	v_cmp_ngt_f64_e32 vcc_lo, v[5:6], v[7:8]
                                        ; implicit-def: $vgpr5_vgpr6
	s_and_saveexec_b32 s3, vcc_lo
	s_xor_b32 s3, exec_lo, s3
	s_cbranch_execz .LBB62_15
; %bb.14:
	v_div_scale_f64 v[5:6], null, v[3:4], v[3:4], v[1:2]
	v_div_scale_f64 v[11:12], vcc_lo, v[1:2], v[3:4], v[1:2]
	s_delay_alu instid0(VALU_DEP_2) | instskip(SKIP_2) | instid1(VALU_DEP_1)
	v_rcp_f64_e32 v[7:8], v[5:6]
	s_waitcnt_depctr 0xfff
	v_fma_f64 v[9:10], -v[5:6], v[7:8], 1.0
	v_fma_f64 v[7:8], v[7:8], v[9:10], v[7:8]
	s_delay_alu instid0(VALU_DEP_1) | instskip(NEXT) | instid1(VALU_DEP_1)
	v_fma_f64 v[9:10], -v[5:6], v[7:8], 1.0
	v_fma_f64 v[7:8], v[7:8], v[9:10], v[7:8]
	s_delay_alu instid0(VALU_DEP_1) | instskip(NEXT) | instid1(VALU_DEP_1)
	v_mul_f64 v[9:10], v[11:12], v[7:8]
	v_fma_f64 v[5:6], -v[5:6], v[9:10], v[11:12]
	s_delay_alu instid0(VALU_DEP_1) | instskip(NEXT) | instid1(VALU_DEP_1)
	v_div_fmas_f64 v[5:6], v[5:6], v[7:8], v[9:10]
	v_div_fixup_f64 v[5:6], v[5:6], v[3:4], v[1:2]
	s_delay_alu instid0(VALU_DEP_1) | instskip(NEXT) | instid1(VALU_DEP_1)
	v_fma_f64 v[1:2], v[1:2], v[5:6], v[3:4]
	v_div_scale_f64 v[3:4], null, v[1:2], v[1:2], 1.0
	v_div_scale_f64 v[11:12], vcc_lo, 1.0, v[1:2], 1.0
	s_delay_alu instid0(VALU_DEP_2) | instskip(SKIP_2) | instid1(VALU_DEP_1)
	v_rcp_f64_e32 v[7:8], v[3:4]
	s_waitcnt_depctr 0xfff
	v_fma_f64 v[9:10], -v[3:4], v[7:8], 1.0
	v_fma_f64 v[7:8], v[7:8], v[9:10], v[7:8]
	s_delay_alu instid0(VALU_DEP_1) | instskip(NEXT) | instid1(VALU_DEP_1)
	v_fma_f64 v[9:10], -v[3:4], v[7:8], 1.0
	v_fma_f64 v[7:8], v[7:8], v[9:10], v[7:8]
	s_delay_alu instid0(VALU_DEP_1) | instskip(NEXT) | instid1(VALU_DEP_1)
	v_mul_f64 v[9:10], v[11:12], v[7:8]
	v_fma_f64 v[3:4], -v[3:4], v[9:10], v[11:12]
	s_delay_alu instid0(VALU_DEP_1) | instskip(NEXT) | instid1(VALU_DEP_1)
	v_div_fmas_f64 v[3:4], v[3:4], v[7:8], v[9:10]
	v_div_fixup_f64 v[7:8], v[3:4], v[1:2], 1.0
                                        ; implicit-def: $vgpr1_vgpr2
	s_delay_alu instid0(VALU_DEP_1) | instskip(SKIP_1) | instid1(VALU_DEP_2)
	v_mul_f64 v[5:6], v[5:6], v[7:8]
	v_xor_b32_e32 v8, 0x80000000, v8
	v_xor_b32_e32 v10, 0x80000000, v6
	s_delay_alu instid0(VALU_DEP_3)
	v_mov_b32_e32 v9, v5
.LBB62_15:
	s_and_not1_saveexec_b32 s3, s3
	s_cbranch_execz .LBB62_17
; %bb.16:
	v_div_scale_f64 v[5:6], null, v[1:2], v[1:2], v[3:4]
	v_div_scale_f64 v[11:12], vcc_lo, v[3:4], v[1:2], v[3:4]
	s_delay_alu instid0(VALU_DEP_2) | instskip(SKIP_2) | instid1(VALU_DEP_1)
	v_rcp_f64_e32 v[7:8], v[5:6]
	s_waitcnt_depctr 0xfff
	v_fma_f64 v[9:10], -v[5:6], v[7:8], 1.0
	v_fma_f64 v[7:8], v[7:8], v[9:10], v[7:8]
	s_delay_alu instid0(VALU_DEP_1) | instskip(NEXT) | instid1(VALU_DEP_1)
	v_fma_f64 v[9:10], -v[5:6], v[7:8], 1.0
	v_fma_f64 v[7:8], v[7:8], v[9:10], v[7:8]
	s_delay_alu instid0(VALU_DEP_1) | instskip(NEXT) | instid1(VALU_DEP_1)
	v_mul_f64 v[9:10], v[11:12], v[7:8]
	v_fma_f64 v[5:6], -v[5:6], v[9:10], v[11:12]
	s_delay_alu instid0(VALU_DEP_1) | instskip(NEXT) | instid1(VALU_DEP_1)
	v_div_fmas_f64 v[5:6], v[5:6], v[7:8], v[9:10]
	v_div_fixup_f64 v[7:8], v[5:6], v[1:2], v[3:4]
	s_delay_alu instid0(VALU_DEP_1) | instskip(NEXT) | instid1(VALU_DEP_1)
	v_fma_f64 v[1:2], v[3:4], v[7:8], v[1:2]
	v_div_scale_f64 v[3:4], null, v[1:2], v[1:2], 1.0
	s_delay_alu instid0(VALU_DEP_1) | instskip(SKIP_2) | instid1(VALU_DEP_1)
	v_rcp_f64_e32 v[5:6], v[3:4]
	s_waitcnt_depctr 0xfff
	v_fma_f64 v[9:10], -v[3:4], v[5:6], 1.0
	v_fma_f64 v[5:6], v[5:6], v[9:10], v[5:6]
	s_delay_alu instid0(VALU_DEP_1) | instskip(NEXT) | instid1(VALU_DEP_1)
	v_fma_f64 v[9:10], -v[3:4], v[5:6], 1.0
	v_fma_f64 v[5:6], v[5:6], v[9:10], v[5:6]
	v_div_scale_f64 v[9:10], vcc_lo, 1.0, v[1:2], 1.0
	s_delay_alu instid0(VALU_DEP_1) | instskip(NEXT) | instid1(VALU_DEP_1)
	v_mul_f64 v[11:12], v[9:10], v[5:6]
	v_fma_f64 v[3:4], -v[3:4], v[11:12], v[9:10]
	s_delay_alu instid0(VALU_DEP_1) | instskip(NEXT) | instid1(VALU_DEP_1)
	v_div_fmas_f64 v[3:4], v[3:4], v[5:6], v[11:12]
	v_div_fixup_f64 v[5:6], v[3:4], v[1:2], 1.0
	s_delay_alu instid0(VALU_DEP_1)
	v_mul_f64 v[7:8], v[7:8], -v[5:6]
	v_xor_b32_e32 v10, 0x80000000, v6
	v_mov_b32_e32 v9, v5
.LBB62_17:
	s_or_b32 exec_lo, exec_lo, s3
	v_add_nc_u32_e64 v1, 0, 16
	scratch_store_b128 v13, v[5:8], off
	v_xor_b32_e32 v12, 0x80000000, v8
	v_mov_b32_e32 v11, v7
	v_add_nc_u32_e32 v5, 0x3f0, v45
	scratch_load_b128 v[1:4], v1, off
	ds_store_b128 v45, v[9:12]
	s_waitcnt vmcnt(0)
	ds_store_b128 v45, v[1:4] offset:1008
	s_waitcnt lgkmcnt(0)
	s_waitcnt_vscnt null, 0x0
	s_barrier
	buffer_gl0_inv
	s_and_saveexec_b32 s3, s2
	s_cbranch_execz .LBB62_19
; %bb.18:
	scratch_load_b128 v[1:4], v13, off
	ds_load_b128 v[6:9], v5
	v_mov_b32_e32 v10, 0
	ds_load_b128 v[14:17], v10 offset:16
	s_waitcnt vmcnt(0) lgkmcnt(1)
	v_mul_f64 v[10:11], v[6:7], v[3:4]
	v_mul_f64 v[3:4], v[8:9], v[3:4]
	s_delay_alu instid0(VALU_DEP_2) | instskip(NEXT) | instid1(VALU_DEP_2)
	v_fma_f64 v[8:9], v[8:9], v[1:2], v[10:11]
	v_fma_f64 v[1:2], v[6:7], v[1:2], -v[3:4]
	s_delay_alu instid0(VALU_DEP_2) | instskip(NEXT) | instid1(VALU_DEP_2)
	v_add_f64 v[3:4], v[8:9], 0
	v_add_f64 v[1:2], v[1:2], 0
	s_waitcnt lgkmcnt(0)
	s_delay_alu instid0(VALU_DEP_2) | instskip(NEXT) | instid1(VALU_DEP_2)
	v_mul_f64 v[6:7], v[3:4], v[16:17]
	v_mul_f64 v[8:9], v[1:2], v[16:17]
	s_delay_alu instid0(VALU_DEP_2) | instskip(NEXT) | instid1(VALU_DEP_2)
	v_fma_f64 v[1:2], v[1:2], v[14:15], -v[6:7]
	v_fma_f64 v[3:4], v[3:4], v[14:15], v[8:9]
	scratch_store_b128 off, v[1:4], off offset:16
.LBB62_19:
	s_or_b32 exec_lo, exec_lo, s3
	v_add_nc_u32_e64 v1, 0, 32
	s_waitcnt_vscnt null, 0x0
	s_barrier
	buffer_gl0_inv
	v_cmp_gt_u32_e32 vcc_lo, 2, v176
	scratch_load_b128 v[1:4], v1, off
	s_waitcnt vmcnt(0)
	ds_store_b128 v5, v[1:4]
	s_waitcnt lgkmcnt(0)
	s_barrier
	buffer_gl0_inv
	s_and_saveexec_b32 s3, vcc_lo
	s_cbranch_execz .LBB62_23
; %bb.20:
	scratch_load_b128 v[1:4], v13, off
	ds_load_b128 v[6:9], v5
	s_waitcnt vmcnt(0) lgkmcnt(0)
	v_mul_f64 v[10:11], v[8:9], v[3:4]
	v_mul_f64 v[3:4], v[6:7], v[3:4]
	s_delay_alu instid0(VALU_DEP_2) | instskip(NEXT) | instid1(VALU_DEP_2)
	v_fma_f64 v[6:7], v[6:7], v[1:2], -v[10:11]
	v_fma_f64 v[3:4], v[8:9], v[1:2], v[3:4]
	s_delay_alu instid0(VALU_DEP_2) | instskip(NEXT) | instid1(VALU_DEP_2)
	v_add_f64 v[1:2], v[6:7], 0
	v_add_f64 v[3:4], v[3:4], 0
	s_and_saveexec_b32 s4, s2
	s_cbranch_execz .LBB62_22
; %bb.21:
	scratch_load_b128 v[6:9], off, off offset:16
	v_mov_b32_e32 v10, 0
	ds_load_b128 v[14:17], v10 offset:1024
	s_waitcnt vmcnt(0) lgkmcnt(0)
	v_mul_f64 v[10:11], v[14:15], v[8:9]
	v_mul_f64 v[8:9], v[16:17], v[8:9]
	s_delay_alu instid0(VALU_DEP_2) | instskip(NEXT) | instid1(VALU_DEP_2)
	v_fma_f64 v[10:11], v[16:17], v[6:7], v[10:11]
	v_fma_f64 v[6:7], v[14:15], v[6:7], -v[8:9]
	s_delay_alu instid0(VALU_DEP_2) | instskip(NEXT) | instid1(VALU_DEP_2)
	v_add_f64 v[3:4], v[3:4], v[10:11]
	v_add_f64 v[1:2], v[1:2], v[6:7]
.LBB62_22:
	s_or_b32 exec_lo, exec_lo, s4
	v_mov_b32_e32 v6, 0
	ds_load_b128 v[6:9], v6 offset:32
	s_waitcnt lgkmcnt(0)
	v_mul_f64 v[10:11], v[3:4], v[8:9]
	v_mul_f64 v[8:9], v[1:2], v[8:9]
	s_delay_alu instid0(VALU_DEP_2) | instskip(NEXT) | instid1(VALU_DEP_2)
	v_fma_f64 v[1:2], v[1:2], v[6:7], -v[10:11]
	v_fma_f64 v[3:4], v[3:4], v[6:7], v[8:9]
	scratch_store_b128 off, v[1:4], off offset:32
.LBB62_23:
	s_or_b32 exec_lo, exec_lo, s3
	v_add_nc_u32_e64 v1, 0, 48
	s_waitcnt_vscnt null, 0x0
	s_barrier
	buffer_gl0_inv
	v_add_nc_u32_e32 v6, -1, v176
	scratch_load_b128 v[1:4], v1, off
	s_mov_b32 s4, exec_lo
	s_waitcnt vmcnt(0)
	ds_store_b128 v5, v[1:4]
	s_waitcnt lgkmcnt(0)
	s_barrier
	buffer_gl0_inv
	v_cmpx_gt_u32_e32 3, v176
	s_cbranch_execz .LBB62_27
; %bb.24:
	v_dual_mov_b32 v1, 0 :: v_dual_add_nc_u32 v8, 0x3f0, v45
	v_dual_mov_b32 v2, 0 :: v_dual_add_nc_u32 v7, -1, v176
	v_or_b32_e32 v9, 8, v13
	s_mov_b32 s5, 0
	s_delay_alu instid0(VALU_DEP_2)
	v_dual_mov_b32 v4, v2 :: v_dual_mov_b32 v3, v1
	.p2align	6
.LBB62_25:                              ; =>This Inner Loop Header: Depth=1
	scratch_load_b128 v[14:17], v9, off offset:-8
	ds_load_b128 v[18:21], v8
	v_add_nc_u32_e32 v7, 1, v7
	v_add_nc_u32_e32 v8, 16, v8
	;; [unrolled: 1-line block ×3, first 2 shown]
	s_delay_alu instid0(VALU_DEP_3) | instskip(NEXT) | instid1(VALU_DEP_1)
	v_cmp_lt_u32_e64 s3, 1, v7
	s_or_b32 s5, s3, s5
	s_waitcnt vmcnt(0) lgkmcnt(0)
	v_mul_f64 v[10:11], v[20:21], v[16:17]
	v_mul_f64 v[16:17], v[18:19], v[16:17]
	s_delay_alu instid0(VALU_DEP_2) | instskip(NEXT) | instid1(VALU_DEP_2)
	v_fma_f64 v[10:11], v[18:19], v[14:15], -v[10:11]
	v_fma_f64 v[14:15], v[20:21], v[14:15], v[16:17]
	s_delay_alu instid0(VALU_DEP_2) | instskip(NEXT) | instid1(VALU_DEP_2)
	v_add_f64 v[3:4], v[3:4], v[10:11]
	v_add_f64 v[1:2], v[1:2], v[14:15]
	s_and_not1_b32 exec_lo, exec_lo, s5
	s_cbranch_execnz .LBB62_25
; %bb.26:
	s_or_b32 exec_lo, exec_lo, s5
	v_mov_b32_e32 v7, 0
	ds_load_b128 v[7:10], v7 offset:48
	s_waitcnt lgkmcnt(0)
	v_mul_f64 v[11:12], v[1:2], v[9:10]
	v_mul_f64 v[14:15], v[3:4], v[9:10]
	s_delay_alu instid0(VALU_DEP_2) | instskip(NEXT) | instid1(VALU_DEP_2)
	v_fma_f64 v[9:10], v[3:4], v[7:8], -v[11:12]
	v_fma_f64 v[11:12], v[1:2], v[7:8], v[14:15]
	scratch_store_b128 off, v[9:12], off offset:48
.LBB62_27:
	s_or_b32 exec_lo, exec_lo, s4
	v_add_nc_u32_e64 v1, 0, 64
	s_waitcnt_vscnt null, 0x0
	s_barrier
	buffer_gl0_inv
	v_cmp_gt_u32_e64 s3, 4, v176
	scratch_load_b128 v[1:4], v1, off
	s_waitcnt vmcnt(0)
	ds_store_b128 v5, v[1:4]
	s_waitcnt lgkmcnt(0)
	s_barrier
	buffer_gl0_inv
	s_and_saveexec_b32 s5, s3
	s_cbranch_execz .LBB62_31
; %bb.28:
	v_dual_mov_b32 v1, 0 :: v_dual_add_nc_u32 v8, 0x3f0, v45
	v_dual_mov_b32 v2, 0 :: v_dual_add_nc_u32 v7, -1, v176
	v_or_b32_e32 v9, 8, v13
	s_mov_b32 s8, 0
	s_delay_alu instid0(VALU_DEP_2)
	v_dual_mov_b32 v4, v2 :: v_dual_mov_b32 v3, v1
	.p2align	6
.LBB62_29:                              ; =>This Inner Loop Header: Depth=1
	scratch_load_b128 v[14:17], v9, off offset:-8
	ds_load_b128 v[18:21], v8
	v_add_nc_u32_e32 v7, 1, v7
	v_add_nc_u32_e32 v8, 16, v8
	;; [unrolled: 1-line block ×3, first 2 shown]
	s_delay_alu instid0(VALU_DEP_3) | instskip(NEXT) | instid1(VALU_DEP_1)
	v_cmp_lt_u32_e64 s4, 2, v7
	s_or_b32 s8, s4, s8
	s_waitcnt vmcnt(0) lgkmcnt(0)
	v_mul_f64 v[10:11], v[20:21], v[16:17]
	v_mul_f64 v[16:17], v[18:19], v[16:17]
	s_delay_alu instid0(VALU_DEP_2) | instskip(NEXT) | instid1(VALU_DEP_2)
	v_fma_f64 v[10:11], v[18:19], v[14:15], -v[10:11]
	v_fma_f64 v[14:15], v[20:21], v[14:15], v[16:17]
	s_delay_alu instid0(VALU_DEP_2) | instskip(NEXT) | instid1(VALU_DEP_2)
	v_add_f64 v[3:4], v[3:4], v[10:11]
	v_add_f64 v[1:2], v[1:2], v[14:15]
	s_and_not1_b32 exec_lo, exec_lo, s8
	s_cbranch_execnz .LBB62_29
; %bb.30:
	s_or_b32 exec_lo, exec_lo, s8
	v_mov_b32_e32 v7, 0
	ds_load_b128 v[7:10], v7 offset:64
	s_waitcnt lgkmcnt(0)
	v_mul_f64 v[11:12], v[1:2], v[9:10]
	v_mul_f64 v[14:15], v[3:4], v[9:10]
	s_delay_alu instid0(VALU_DEP_2) | instskip(NEXT) | instid1(VALU_DEP_2)
	v_fma_f64 v[9:10], v[3:4], v[7:8], -v[11:12]
	v_fma_f64 v[11:12], v[1:2], v[7:8], v[14:15]
	scratch_store_b128 off, v[9:12], off offset:64
.LBB62_31:
	s_or_b32 exec_lo, exec_lo, s5
	s_waitcnt_vscnt null, 0x0
	s_barrier
	buffer_gl0_inv
	scratch_load_b32 v1, off, off offset:1176 ; 4-byte Folded Reload
	s_mov_b32 s5, exec_lo
	s_waitcnt vmcnt(0)
	scratch_load_b128 v[1:4], v1, off
	s_waitcnt vmcnt(0)
	ds_store_b128 v5, v[1:4]
	s_waitcnt lgkmcnt(0)
	s_barrier
	buffer_gl0_inv
	v_cmpx_gt_u32_e32 5, v176
	s_cbranch_execz .LBB62_35
; %bb.32:
	v_dual_mov_b32 v1, 0 :: v_dual_add_nc_u32 v8, 0x3f0, v45
	v_dual_mov_b32 v2, 0 :: v_dual_add_nc_u32 v7, -1, v176
	v_or_b32_e32 v9, 8, v13
	s_mov_b32 s8, 0
	s_delay_alu instid0(VALU_DEP_2)
	v_dual_mov_b32 v4, v2 :: v_dual_mov_b32 v3, v1
	.p2align	6
.LBB62_33:                              ; =>This Inner Loop Header: Depth=1
	scratch_load_b128 v[14:17], v9, off offset:-8
	ds_load_b128 v[18:21], v8
	v_add_nc_u32_e32 v7, 1, v7
	v_add_nc_u32_e32 v8, 16, v8
	;; [unrolled: 1-line block ×3, first 2 shown]
	s_delay_alu instid0(VALU_DEP_3) | instskip(NEXT) | instid1(VALU_DEP_1)
	v_cmp_lt_u32_e64 s4, 3, v7
	s_or_b32 s8, s4, s8
	s_waitcnt vmcnt(0) lgkmcnt(0)
	v_mul_f64 v[10:11], v[20:21], v[16:17]
	v_mul_f64 v[16:17], v[18:19], v[16:17]
	s_delay_alu instid0(VALU_DEP_2) | instskip(NEXT) | instid1(VALU_DEP_2)
	v_fma_f64 v[10:11], v[18:19], v[14:15], -v[10:11]
	v_fma_f64 v[14:15], v[20:21], v[14:15], v[16:17]
	s_delay_alu instid0(VALU_DEP_2) | instskip(NEXT) | instid1(VALU_DEP_2)
	v_add_f64 v[3:4], v[3:4], v[10:11]
	v_add_f64 v[1:2], v[1:2], v[14:15]
	s_and_not1_b32 exec_lo, exec_lo, s8
	s_cbranch_execnz .LBB62_33
; %bb.34:
	s_or_b32 exec_lo, exec_lo, s8
	v_mov_b32_e32 v7, 0
	ds_load_b128 v[7:10], v7 offset:80
	s_waitcnt lgkmcnt(0)
	v_mul_f64 v[11:12], v[1:2], v[9:10]
	v_mul_f64 v[14:15], v[3:4], v[9:10]
	s_delay_alu instid0(VALU_DEP_2) | instskip(NEXT) | instid1(VALU_DEP_2)
	v_fma_f64 v[9:10], v[3:4], v[7:8], -v[11:12]
	v_fma_f64 v[11:12], v[1:2], v[7:8], v[14:15]
	scratch_store_b128 off, v[9:12], off offset:80
.LBB62_35:
	s_or_b32 exec_lo, exec_lo, s5
	s_waitcnt_vscnt null, 0x0
	s_barrier
	buffer_gl0_inv
	scratch_load_b32 v1, off, off offset:1168 ; 4-byte Folded Reload
	v_cmp_gt_u32_e64 s4, 6, v176
	s_waitcnt vmcnt(0)
	scratch_load_b128 v[1:4], v1, off
	s_waitcnt vmcnt(0)
	ds_store_b128 v5, v[1:4]
	s_waitcnt lgkmcnt(0)
	s_barrier
	buffer_gl0_inv
	s_and_saveexec_b32 s8, s4
	s_cbranch_execz .LBB62_39
; %bb.36:
	v_dual_mov_b32 v1, 0 :: v_dual_add_nc_u32 v8, 0x3f0, v45
	v_dual_mov_b32 v2, 0 :: v_dual_add_nc_u32 v7, -1, v176
	v_or_b32_e32 v9, 8, v13
	s_mov_b32 s9, 0
	s_delay_alu instid0(VALU_DEP_2)
	v_dual_mov_b32 v4, v2 :: v_dual_mov_b32 v3, v1
	.p2align	6
.LBB62_37:                              ; =>This Inner Loop Header: Depth=1
	scratch_load_b128 v[14:17], v9, off offset:-8
	ds_load_b128 v[18:21], v8
	v_add_nc_u32_e32 v7, 1, v7
	v_add_nc_u32_e32 v8, 16, v8
	;; [unrolled: 1-line block ×3, first 2 shown]
	s_delay_alu instid0(VALU_DEP_3) | instskip(NEXT) | instid1(VALU_DEP_1)
	v_cmp_lt_u32_e64 s5, 4, v7
	s_or_b32 s9, s5, s9
	s_waitcnt vmcnt(0) lgkmcnt(0)
	v_mul_f64 v[10:11], v[20:21], v[16:17]
	v_mul_f64 v[16:17], v[18:19], v[16:17]
	s_delay_alu instid0(VALU_DEP_2) | instskip(NEXT) | instid1(VALU_DEP_2)
	v_fma_f64 v[10:11], v[18:19], v[14:15], -v[10:11]
	v_fma_f64 v[14:15], v[20:21], v[14:15], v[16:17]
	s_delay_alu instid0(VALU_DEP_2) | instskip(NEXT) | instid1(VALU_DEP_2)
	v_add_f64 v[3:4], v[3:4], v[10:11]
	v_add_f64 v[1:2], v[1:2], v[14:15]
	s_and_not1_b32 exec_lo, exec_lo, s9
	s_cbranch_execnz .LBB62_37
; %bb.38:
	s_or_b32 exec_lo, exec_lo, s9
	v_mov_b32_e32 v7, 0
	ds_load_b128 v[7:10], v7 offset:96
	s_waitcnt lgkmcnt(0)
	v_mul_f64 v[11:12], v[1:2], v[9:10]
	v_mul_f64 v[14:15], v[3:4], v[9:10]
	s_delay_alu instid0(VALU_DEP_2) | instskip(NEXT) | instid1(VALU_DEP_2)
	v_fma_f64 v[9:10], v[3:4], v[7:8], -v[11:12]
	v_fma_f64 v[11:12], v[1:2], v[7:8], v[14:15]
	scratch_store_b128 off, v[9:12], off offset:96
.LBB62_39:
	s_or_b32 exec_lo, exec_lo, s8
	s_waitcnt_vscnt null, 0x0
	s_barrier
	buffer_gl0_inv
	scratch_load_b32 v1, off, off offset:1160 ; 4-byte Folded Reload
	s_mov_b32 s8, exec_lo
	s_waitcnt vmcnt(0)
	scratch_load_b128 v[1:4], v1, off
	s_waitcnt vmcnt(0)
	ds_store_b128 v5, v[1:4]
	s_waitcnt lgkmcnt(0)
	s_barrier
	buffer_gl0_inv
	v_cmpx_gt_u32_e32 7, v176
	s_cbranch_execz .LBB62_43
; %bb.40:
	v_dual_mov_b32 v1, 0 :: v_dual_add_nc_u32 v8, 0x3f0, v45
	v_dual_mov_b32 v2, 0 :: v_dual_add_nc_u32 v7, -1, v176
	v_or_b32_e32 v9, 8, v13
	s_mov_b32 s9, 0
	s_delay_alu instid0(VALU_DEP_2)
	v_dual_mov_b32 v4, v2 :: v_dual_mov_b32 v3, v1
	.p2align	6
.LBB62_41:                              ; =>This Inner Loop Header: Depth=1
	scratch_load_b128 v[14:17], v9, off offset:-8
	ds_load_b128 v[18:21], v8
	v_add_nc_u32_e32 v7, 1, v7
	v_add_nc_u32_e32 v8, 16, v8
	;; [unrolled: 1-line block ×3, first 2 shown]
	s_delay_alu instid0(VALU_DEP_3) | instskip(NEXT) | instid1(VALU_DEP_1)
	v_cmp_lt_u32_e64 s5, 5, v7
	s_or_b32 s9, s5, s9
	s_waitcnt vmcnt(0) lgkmcnt(0)
	v_mul_f64 v[10:11], v[20:21], v[16:17]
	v_mul_f64 v[16:17], v[18:19], v[16:17]
	s_delay_alu instid0(VALU_DEP_2) | instskip(NEXT) | instid1(VALU_DEP_2)
	v_fma_f64 v[10:11], v[18:19], v[14:15], -v[10:11]
	v_fma_f64 v[14:15], v[20:21], v[14:15], v[16:17]
	s_delay_alu instid0(VALU_DEP_2) | instskip(NEXT) | instid1(VALU_DEP_2)
	v_add_f64 v[3:4], v[3:4], v[10:11]
	v_add_f64 v[1:2], v[1:2], v[14:15]
	s_and_not1_b32 exec_lo, exec_lo, s9
	s_cbranch_execnz .LBB62_41
; %bb.42:
	s_or_b32 exec_lo, exec_lo, s9
	v_mov_b32_e32 v7, 0
	ds_load_b128 v[7:10], v7 offset:112
	s_waitcnt lgkmcnt(0)
	v_mul_f64 v[11:12], v[1:2], v[9:10]
	v_mul_f64 v[14:15], v[3:4], v[9:10]
	s_delay_alu instid0(VALU_DEP_2) | instskip(NEXT) | instid1(VALU_DEP_2)
	v_fma_f64 v[9:10], v[3:4], v[7:8], -v[11:12]
	v_fma_f64 v[11:12], v[1:2], v[7:8], v[14:15]
	scratch_store_b128 off, v[9:12], off offset:112
.LBB62_43:
	s_or_b32 exec_lo, exec_lo, s8
	s_waitcnt_vscnt null, 0x0
	s_barrier
	buffer_gl0_inv
	scratch_load_b32 v1, off, off offset:1156 ; 4-byte Folded Reload
	s_mov_b32 s8, exec_lo
	s_waitcnt vmcnt(0)
	scratch_load_b128 v[1:4], v1, off
	s_waitcnt vmcnt(0)
	ds_store_b128 v5, v[1:4]
	s_waitcnt lgkmcnt(0)
	s_barrier
	buffer_gl0_inv
	v_cmpx_gt_u32_e32 8, v176
	s_cbranch_execz .LBB62_59
; %bb.44:
	scratch_load_b128 v[1:4], v13, off
	ds_load_b128 v[7:10], v5
	s_mov_b32 s9, exec_lo
	s_waitcnt vmcnt(0) lgkmcnt(0)
	v_mul_f64 v[11:12], v[9:10], v[3:4]
	v_mul_f64 v[3:4], v[7:8], v[3:4]
	s_delay_alu instid0(VALU_DEP_2) | instskip(NEXT) | instid1(VALU_DEP_2)
	v_fma_f64 v[7:8], v[7:8], v[1:2], -v[11:12]
	v_fma_f64 v[1:2], v[9:10], v[1:2], v[3:4]
	s_delay_alu instid0(VALU_DEP_2) | instskip(NEXT) | instid1(VALU_DEP_2)
	v_add_f64 v[3:4], v[7:8], 0
	v_add_f64 v[1:2], v[1:2], 0
	v_cmpx_ne_u32_e32 7, v176
	s_cbranch_execz .LBB62_58
; %bb.45:
	scratch_load_b128 v[7:10], v13, off offset:16
	ds_load_b128 v[14:17], v5 offset:16
	s_waitcnt vmcnt(0) lgkmcnt(0)
	v_mul_f64 v[11:12], v[16:17], v[9:10]
	v_mul_f64 v[9:10], v[14:15], v[9:10]
	s_delay_alu instid0(VALU_DEP_2) | instskip(NEXT) | instid1(VALU_DEP_2)
	v_fma_f64 v[11:12], v[14:15], v[7:8], -v[11:12]
	v_fma_f64 v[7:8], v[16:17], v[7:8], v[9:10]
	s_delay_alu instid0(VALU_DEP_2) | instskip(NEXT) | instid1(VALU_DEP_2)
	v_add_f64 v[3:4], v[3:4], v[11:12]
	v_add_f64 v[1:2], v[1:2], v[7:8]
	s_and_saveexec_b32 s5, s4
	s_cbranch_execz .LBB62_57
; %bb.46:
	scratch_load_b128 v[7:10], v13, off offset:32
	ds_load_b128 v[14:17], v5 offset:32
	s_mov_b32 s10, exec_lo
	s_waitcnt vmcnt(0) lgkmcnt(0)
	v_mul_f64 v[11:12], v[16:17], v[9:10]
	v_mul_f64 v[9:10], v[14:15], v[9:10]
	s_delay_alu instid0(VALU_DEP_2) | instskip(NEXT) | instid1(VALU_DEP_2)
	v_fma_f64 v[11:12], v[14:15], v[7:8], -v[11:12]
	v_fma_f64 v[7:8], v[16:17], v[7:8], v[9:10]
	s_delay_alu instid0(VALU_DEP_2) | instskip(NEXT) | instid1(VALU_DEP_2)
	v_add_f64 v[3:4], v[3:4], v[11:12]
	v_add_f64 v[1:2], v[1:2], v[7:8]
	v_cmpx_ne_u32_e32 5, v176
	s_cbranch_execz .LBB62_56
; %bb.47:
	scratch_load_b128 v[7:10], v13, off offset:48
	ds_load_b128 v[14:17], v5 offset:48
	s_waitcnt vmcnt(0) lgkmcnt(0)
	v_mul_f64 v[11:12], v[16:17], v[9:10]
	v_mul_f64 v[9:10], v[14:15], v[9:10]
	s_delay_alu instid0(VALU_DEP_2) | instskip(NEXT) | instid1(VALU_DEP_2)
	v_fma_f64 v[11:12], v[14:15], v[7:8], -v[11:12]
	v_fma_f64 v[7:8], v[16:17], v[7:8], v[9:10]
	s_delay_alu instid0(VALU_DEP_2) | instskip(NEXT) | instid1(VALU_DEP_2)
	v_add_f64 v[3:4], v[3:4], v[11:12]
	v_add_f64 v[1:2], v[1:2], v[7:8]
	s_and_saveexec_b32 s4, s3
	s_cbranch_execz .LBB62_55
; %bb.48:
	scratch_load_b128 v[7:10], v13, off offset:64
	ds_load_b128 v[14:17], v5 offset:64
	s_mov_b32 s11, exec_lo
	s_waitcnt vmcnt(0) lgkmcnt(0)
	v_mul_f64 v[11:12], v[16:17], v[9:10]
	v_mul_f64 v[9:10], v[14:15], v[9:10]
	s_delay_alu instid0(VALU_DEP_2) | instskip(NEXT) | instid1(VALU_DEP_2)
	v_fma_f64 v[11:12], v[14:15], v[7:8], -v[11:12]
	v_fma_f64 v[7:8], v[16:17], v[7:8], v[9:10]
	s_delay_alu instid0(VALU_DEP_2) | instskip(NEXT) | instid1(VALU_DEP_2)
	v_add_f64 v[3:4], v[3:4], v[11:12]
	v_add_f64 v[1:2], v[1:2], v[7:8]
	v_cmpx_ne_u32_e32 3, v176
	s_cbranch_execz .LBB62_54
; %bb.49:
	scratch_load_b128 v[7:10], v13, off offset:80
	ds_load_b128 v[14:17], v5 offset:80
	s_waitcnt vmcnt(0) lgkmcnt(0)
	v_mul_f64 v[11:12], v[16:17], v[9:10]
	v_mul_f64 v[9:10], v[14:15], v[9:10]
	s_delay_alu instid0(VALU_DEP_2) | instskip(NEXT) | instid1(VALU_DEP_2)
	v_fma_f64 v[11:12], v[14:15], v[7:8], -v[11:12]
	v_fma_f64 v[7:8], v[16:17], v[7:8], v[9:10]
	s_delay_alu instid0(VALU_DEP_2) | instskip(NEXT) | instid1(VALU_DEP_2)
	v_add_f64 v[3:4], v[3:4], v[11:12]
	v_add_f64 v[1:2], v[1:2], v[7:8]
	s_and_saveexec_b32 s3, vcc_lo
	s_cbranch_execz .LBB62_53
; %bb.50:
	scratch_load_b128 v[7:10], v13, off offset:96
	ds_load_b128 v[14:17], v5 offset:96
	s_waitcnt vmcnt(0) lgkmcnt(0)
	v_mul_f64 v[11:12], v[16:17], v[9:10]
	v_mul_f64 v[9:10], v[14:15], v[9:10]
	s_delay_alu instid0(VALU_DEP_2) | instskip(NEXT) | instid1(VALU_DEP_2)
	v_fma_f64 v[11:12], v[14:15], v[7:8], -v[11:12]
	v_fma_f64 v[7:8], v[16:17], v[7:8], v[9:10]
	s_delay_alu instid0(VALU_DEP_2) | instskip(NEXT) | instid1(VALU_DEP_2)
	v_add_f64 v[3:4], v[3:4], v[11:12]
	v_add_f64 v[1:2], v[1:2], v[7:8]
	s_and_saveexec_b32 s12, s2
	s_cbranch_execz .LBB62_52
; %bb.51:
	scratch_load_b128 v[7:10], v13, off offset:112
	ds_load_b128 v[14:17], v5 offset:112
	s_waitcnt vmcnt(0) lgkmcnt(0)
	v_mul_f64 v[11:12], v[16:17], v[9:10]
	v_mul_f64 v[9:10], v[14:15], v[9:10]
	s_delay_alu instid0(VALU_DEP_2) | instskip(NEXT) | instid1(VALU_DEP_2)
	v_fma_f64 v[11:12], v[14:15], v[7:8], -v[11:12]
	v_fma_f64 v[7:8], v[16:17], v[7:8], v[9:10]
	s_delay_alu instid0(VALU_DEP_2) | instskip(NEXT) | instid1(VALU_DEP_2)
	v_add_f64 v[3:4], v[3:4], v[11:12]
	v_add_f64 v[1:2], v[1:2], v[7:8]
.LBB62_52:
	s_or_b32 exec_lo, exec_lo, s12
.LBB62_53:
	s_delay_alu instid0(SALU_CYCLE_1)
	s_or_b32 exec_lo, exec_lo, s3
.LBB62_54:
	s_delay_alu instid0(SALU_CYCLE_1)
	s_or_b32 exec_lo, exec_lo, s11
.LBB62_55:
	s_delay_alu instid0(SALU_CYCLE_1)
	s_or_b32 exec_lo, exec_lo, s4
.LBB62_56:
	s_delay_alu instid0(SALU_CYCLE_1)
	s_or_b32 exec_lo, exec_lo, s10
.LBB62_57:
	s_delay_alu instid0(SALU_CYCLE_1)
	s_or_b32 exec_lo, exec_lo, s5
.LBB62_58:
	s_delay_alu instid0(SALU_CYCLE_1)
	s_or_b32 exec_lo, exec_lo, s9
	v_mov_b32_e32 v7, 0
	ds_load_b128 v[7:10], v7 offset:128
	s_waitcnt lgkmcnt(0)
	v_mul_f64 v[11:12], v[1:2], v[9:10]
	v_mul_f64 v[14:15], v[3:4], v[9:10]
	s_delay_alu instid0(VALU_DEP_2) | instskip(NEXT) | instid1(VALU_DEP_2)
	v_fma_f64 v[9:10], v[3:4], v[7:8], -v[11:12]
	v_fma_f64 v[11:12], v[1:2], v[7:8], v[14:15]
	scratch_store_b128 off, v[9:12], off offset:128
.LBB62_59:
	s_or_b32 exec_lo, exec_lo, s8
	s_waitcnt_vscnt null, 0x0
	s_barrier
	buffer_gl0_inv
	scratch_load_b32 v1, off, off offset:1152 ; 4-byte Folded Reload
	s_mov_b32 s2, exec_lo
	s_waitcnt vmcnt(0)
	scratch_load_b128 v[1:4], v1, off
	s_waitcnt vmcnt(0)
	ds_store_b128 v5, v[1:4]
	s_waitcnt lgkmcnt(0)
	s_barrier
	buffer_gl0_inv
	v_cmpx_gt_u32_e32 9, v176
	s_cbranch_execz .LBB62_63
; %bb.60:
	v_dual_mov_b32 v1, 0 :: v_dual_add_nc_u32 v8, 0x3f0, v45
	v_dual_mov_b32 v2, 0 :: v_dual_add_nc_u32 v7, -1, v176
	v_or_b32_e32 v9, 8, v13
	s_mov_b32 s3, 0
	s_delay_alu instid0(VALU_DEP_2)
	v_dual_mov_b32 v4, v2 :: v_dual_mov_b32 v3, v1
	.p2align	6
.LBB62_61:                              ; =>This Inner Loop Header: Depth=1
	scratch_load_b128 v[14:17], v9, off offset:-8
	ds_load_b128 v[18:21], v8
	v_add_nc_u32_e32 v7, 1, v7
	v_add_nc_u32_e32 v8, 16, v8
	;; [unrolled: 1-line block ×3, first 2 shown]
	s_delay_alu instid0(VALU_DEP_3) | instskip(SKIP_4) | instid1(VALU_DEP_2)
	v_cmp_lt_u32_e32 vcc_lo, 7, v7
	s_or_b32 s3, vcc_lo, s3
	s_waitcnt vmcnt(0) lgkmcnt(0)
	v_mul_f64 v[10:11], v[20:21], v[16:17]
	v_mul_f64 v[16:17], v[18:19], v[16:17]
	v_fma_f64 v[10:11], v[18:19], v[14:15], -v[10:11]
	s_delay_alu instid0(VALU_DEP_2) | instskip(NEXT) | instid1(VALU_DEP_2)
	v_fma_f64 v[14:15], v[20:21], v[14:15], v[16:17]
	v_add_f64 v[3:4], v[3:4], v[10:11]
	s_delay_alu instid0(VALU_DEP_2)
	v_add_f64 v[1:2], v[1:2], v[14:15]
	s_and_not1_b32 exec_lo, exec_lo, s3
	s_cbranch_execnz .LBB62_61
; %bb.62:
	s_or_b32 exec_lo, exec_lo, s3
	v_mov_b32_e32 v7, 0
	ds_load_b128 v[7:10], v7 offset:144
	s_waitcnt lgkmcnt(0)
	v_mul_f64 v[11:12], v[1:2], v[9:10]
	v_mul_f64 v[14:15], v[3:4], v[9:10]
	s_delay_alu instid0(VALU_DEP_2) | instskip(NEXT) | instid1(VALU_DEP_2)
	v_fma_f64 v[9:10], v[3:4], v[7:8], -v[11:12]
	v_fma_f64 v[11:12], v[1:2], v[7:8], v[14:15]
	scratch_store_b128 off, v[9:12], off offset:144
.LBB62_63:
	s_or_b32 exec_lo, exec_lo, s2
	s_waitcnt_vscnt null, 0x0
	s_barrier
	buffer_gl0_inv
	scratch_load_b32 v1, off, off offset:1144 ; 4-byte Folded Reload
	s_mov_b32 s2, exec_lo
	s_waitcnt vmcnt(0)
	scratch_load_b128 v[1:4], v1, off
	s_waitcnt vmcnt(0)
	ds_store_b128 v5, v[1:4]
	s_waitcnt lgkmcnt(0)
	s_barrier
	buffer_gl0_inv
	v_cmpx_gt_u32_e32 10, v176
	s_cbranch_execz .LBB62_67
; %bb.64:
	v_dual_mov_b32 v1, 0 :: v_dual_add_nc_u32 v8, 0x3f0, v45
	v_dual_mov_b32 v2, 0 :: v_dual_add_nc_u32 v7, -1, v176
	v_or_b32_e32 v9, 8, v13
	s_mov_b32 s3, 0
	s_delay_alu instid0(VALU_DEP_2)
	v_dual_mov_b32 v4, v2 :: v_dual_mov_b32 v3, v1
	.p2align	6
.LBB62_65:                              ; =>This Inner Loop Header: Depth=1
	scratch_load_b128 v[14:17], v9, off offset:-8
	ds_load_b128 v[18:21], v8
	v_add_nc_u32_e32 v7, 1, v7
	v_add_nc_u32_e32 v8, 16, v8
	;; [unrolled: 1-line block ×3, first 2 shown]
	s_delay_alu instid0(VALU_DEP_3) | instskip(SKIP_4) | instid1(VALU_DEP_2)
	v_cmp_lt_u32_e32 vcc_lo, 8, v7
	s_or_b32 s3, vcc_lo, s3
	s_waitcnt vmcnt(0) lgkmcnt(0)
	v_mul_f64 v[10:11], v[20:21], v[16:17]
	v_mul_f64 v[16:17], v[18:19], v[16:17]
	v_fma_f64 v[10:11], v[18:19], v[14:15], -v[10:11]
	s_delay_alu instid0(VALU_DEP_2) | instskip(NEXT) | instid1(VALU_DEP_2)
	v_fma_f64 v[14:15], v[20:21], v[14:15], v[16:17]
	v_add_f64 v[3:4], v[3:4], v[10:11]
	s_delay_alu instid0(VALU_DEP_2)
	v_add_f64 v[1:2], v[1:2], v[14:15]
	s_and_not1_b32 exec_lo, exec_lo, s3
	s_cbranch_execnz .LBB62_65
; %bb.66:
	s_or_b32 exec_lo, exec_lo, s3
	v_mov_b32_e32 v7, 0
	ds_load_b128 v[7:10], v7 offset:160
	s_waitcnt lgkmcnt(0)
	v_mul_f64 v[11:12], v[1:2], v[9:10]
	v_mul_f64 v[14:15], v[3:4], v[9:10]
	s_delay_alu instid0(VALU_DEP_2) | instskip(NEXT) | instid1(VALU_DEP_2)
	v_fma_f64 v[9:10], v[3:4], v[7:8], -v[11:12]
	v_fma_f64 v[11:12], v[1:2], v[7:8], v[14:15]
	scratch_store_b128 off, v[9:12], off offset:160
.LBB62_67:
	s_or_b32 exec_lo, exec_lo, s2
	s_waitcnt_vscnt null, 0x0
	s_barrier
	buffer_gl0_inv
	scratch_load_b32 v1, off, off offset:1136 ; 4-byte Folded Reload
	s_mov_b32 s2, exec_lo
	s_waitcnt vmcnt(0)
	scratch_load_b128 v[1:4], v1, off
	s_waitcnt vmcnt(0)
	ds_store_b128 v5, v[1:4]
	s_waitcnt lgkmcnt(0)
	s_barrier
	buffer_gl0_inv
	v_cmpx_gt_u32_e32 11, v176
	s_cbranch_execz .LBB62_71
; %bb.68:
	v_dual_mov_b32 v1, 0 :: v_dual_add_nc_u32 v8, 0x3f0, v45
	v_dual_mov_b32 v2, 0 :: v_dual_add_nc_u32 v7, -1, v176
	v_or_b32_e32 v9, 8, v13
	s_mov_b32 s3, 0
	s_delay_alu instid0(VALU_DEP_2)
	v_dual_mov_b32 v4, v2 :: v_dual_mov_b32 v3, v1
	.p2align	6
.LBB62_69:                              ; =>This Inner Loop Header: Depth=1
	scratch_load_b128 v[14:17], v9, off offset:-8
	ds_load_b128 v[18:21], v8
	v_add_nc_u32_e32 v7, 1, v7
	v_add_nc_u32_e32 v8, 16, v8
	v_add_nc_u32_e32 v9, 16, v9
	s_delay_alu instid0(VALU_DEP_3) | instskip(SKIP_4) | instid1(VALU_DEP_2)
	v_cmp_lt_u32_e32 vcc_lo, 9, v7
	s_or_b32 s3, vcc_lo, s3
	s_waitcnt vmcnt(0) lgkmcnt(0)
	v_mul_f64 v[10:11], v[20:21], v[16:17]
	v_mul_f64 v[16:17], v[18:19], v[16:17]
	v_fma_f64 v[10:11], v[18:19], v[14:15], -v[10:11]
	s_delay_alu instid0(VALU_DEP_2) | instskip(NEXT) | instid1(VALU_DEP_2)
	v_fma_f64 v[14:15], v[20:21], v[14:15], v[16:17]
	v_add_f64 v[3:4], v[3:4], v[10:11]
	s_delay_alu instid0(VALU_DEP_2)
	v_add_f64 v[1:2], v[1:2], v[14:15]
	s_and_not1_b32 exec_lo, exec_lo, s3
	s_cbranch_execnz .LBB62_69
; %bb.70:
	s_or_b32 exec_lo, exec_lo, s3
	v_mov_b32_e32 v7, 0
	ds_load_b128 v[7:10], v7 offset:176
	s_waitcnt lgkmcnt(0)
	v_mul_f64 v[11:12], v[1:2], v[9:10]
	v_mul_f64 v[14:15], v[3:4], v[9:10]
	s_delay_alu instid0(VALU_DEP_2) | instskip(NEXT) | instid1(VALU_DEP_2)
	v_fma_f64 v[9:10], v[3:4], v[7:8], -v[11:12]
	v_fma_f64 v[11:12], v[1:2], v[7:8], v[14:15]
	scratch_store_b128 off, v[9:12], off offset:176
.LBB62_71:
	s_or_b32 exec_lo, exec_lo, s2
	s_waitcnt_vscnt null, 0x0
	s_barrier
	buffer_gl0_inv
	scratch_load_b32 v1, off, off offset:1132 ; 4-byte Folded Reload
	s_mov_b32 s2, exec_lo
	s_waitcnt vmcnt(0)
	scratch_load_b128 v[1:4], v1, off
	s_waitcnt vmcnt(0)
	ds_store_b128 v5, v[1:4]
	s_waitcnt lgkmcnt(0)
	s_barrier
	buffer_gl0_inv
	v_cmpx_gt_u32_e32 12, v176
	s_cbranch_execz .LBB62_75
; %bb.72:
	v_dual_mov_b32 v1, 0 :: v_dual_add_nc_u32 v8, 0x3f0, v45
	v_dual_mov_b32 v2, 0 :: v_dual_add_nc_u32 v7, -1, v176
	v_or_b32_e32 v9, 8, v13
	s_mov_b32 s3, 0
	s_delay_alu instid0(VALU_DEP_2)
	v_dual_mov_b32 v4, v2 :: v_dual_mov_b32 v3, v1
	.p2align	6
.LBB62_73:                              ; =>This Inner Loop Header: Depth=1
	scratch_load_b128 v[14:17], v9, off offset:-8
	ds_load_b128 v[18:21], v8
	v_add_nc_u32_e32 v7, 1, v7
	v_add_nc_u32_e32 v8, 16, v8
	;; [unrolled: 1-line block ×3, first 2 shown]
	s_delay_alu instid0(VALU_DEP_3) | instskip(SKIP_4) | instid1(VALU_DEP_2)
	v_cmp_lt_u32_e32 vcc_lo, 10, v7
	s_or_b32 s3, vcc_lo, s3
	s_waitcnt vmcnt(0) lgkmcnt(0)
	v_mul_f64 v[10:11], v[20:21], v[16:17]
	v_mul_f64 v[16:17], v[18:19], v[16:17]
	v_fma_f64 v[10:11], v[18:19], v[14:15], -v[10:11]
	s_delay_alu instid0(VALU_DEP_2) | instskip(NEXT) | instid1(VALU_DEP_2)
	v_fma_f64 v[14:15], v[20:21], v[14:15], v[16:17]
	v_add_f64 v[3:4], v[3:4], v[10:11]
	s_delay_alu instid0(VALU_DEP_2)
	v_add_f64 v[1:2], v[1:2], v[14:15]
	s_and_not1_b32 exec_lo, exec_lo, s3
	s_cbranch_execnz .LBB62_73
; %bb.74:
	s_or_b32 exec_lo, exec_lo, s3
	v_mov_b32_e32 v7, 0
	ds_load_b128 v[7:10], v7 offset:192
	s_waitcnt lgkmcnt(0)
	v_mul_f64 v[11:12], v[1:2], v[9:10]
	v_mul_f64 v[14:15], v[3:4], v[9:10]
	s_delay_alu instid0(VALU_DEP_2) | instskip(NEXT) | instid1(VALU_DEP_2)
	v_fma_f64 v[9:10], v[3:4], v[7:8], -v[11:12]
	v_fma_f64 v[11:12], v[1:2], v[7:8], v[14:15]
	scratch_store_b128 off, v[9:12], off offset:192
.LBB62_75:
	s_or_b32 exec_lo, exec_lo, s2
	s_waitcnt_vscnt null, 0x0
	s_barrier
	buffer_gl0_inv
	scratch_load_b32 v1, off, off offset:1232 ; 4-byte Folded Reload
	s_mov_b32 s2, exec_lo
	s_waitcnt vmcnt(0)
	scratch_load_b128 v[1:4], v1, off
	s_waitcnt vmcnt(0)
	ds_store_b128 v5, v[1:4]
	s_waitcnt lgkmcnt(0)
	s_barrier
	buffer_gl0_inv
	v_cmpx_gt_u32_e32 13, v176
	s_cbranch_execz .LBB62_79
; %bb.76:
	v_dual_mov_b32 v1, 0 :: v_dual_add_nc_u32 v8, 0x3f0, v45
	v_dual_mov_b32 v2, 0 :: v_dual_add_nc_u32 v7, -1, v176
	v_or_b32_e32 v9, 8, v13
	s_mov_b32 s3, 0
	s_delay_alu instid0(VALU_DEP_2)
	v_dual_mov_b32 v4, v2 :: v_dual_mov_b32 v3, v1
	.p2align	6
.LBB62_77:                              ; =>This Inner Loop Header: Depth=1
	scratch_load_b128 v[14:17], v9, off offset:-8
	ds_load_b128 v[18:21], v8
	v_add_nc_u32_e32 v7, 1, v7
	v_add_nc_u32_e32 v8, 16, v8
	;; [unrolled: 1-line block ×3, first 2 shown]
	s_delay_alu instid0(VALU_DEP_3) | instskip(SKIP_4) | instid1(VALU_DEP_2)
	v_cmp_lt_u32_e32 vcc_lo, 11, v7
	s_or_b32 s3, vcc_lo, s3
	s_waitcnt vmcnt(0) lgkmcnt(0)
	v_mul_f64 v[10:11], v[20:21], v[16:17]
	v_mul_f64 v[16:17], v[18:19], v[16:17]
	v_fma_f64 v[10:11], v[18:19], v[14:15], -v[10:11]
	s_delay_alu instid0(VALU_DEP_2) | instskip(NEXT) | instid1(VALU_DEP_2)
	v_fma_f64 v[14:15], v[20:21], v[14:15], v[16:17]
	v_add_f64 v[3:4], v[3:4], v[10:11]
	s_delay_alu instid0(VALU_DEP_2)
	v_add_f64 v[1:2], v[1:2], v[14:15]
	s_and_not1_b32 exec_lo, exec_lo, s3
	s_cbranch_execnz .LBB62_77
; %bb.78:
	s_or_b32 exec_lo, exec_lo, s3
	v_mov_b32_e32 v7, 0
	ds_load_b128 v[7:10], v7 offset:208
	s_waitcnt lgkmcnt(0)
	v_mul_f64 v[11:12], v[1:2], v[9:10]
	v_mul_f64 v[14:15], v[3:4], v[9:10]
	s_delay_alu instid0(VALU_DEP_2) | instskip(NEXT) | instid1(VALU_DEP_2)
	v_fma_f64 v[9:10], v[3:4], v[7:8], -v[11:12]
	v_fma_f64 v[11:12], v[1:2], v[7:8], v[14:15]
	scratch_store_b128 off, v[9:12], off offset:208
.LBB62_79:
	s_or_b32 exec_lo, exec_lo, s2
	s_waitcnt_vscnt null, 0x0
	s_barrier
	buffer_gl0_inv
	scratch_load_b32 v1, off, off offset:1228 ; 4-byte Folded Reload
	s_mov_b32 s2, exec_lo
	s_waitcnt vmcnt(0)
	scratch_load_b128 v[1:4], v1, off
	s_waitcnt vmcnt(0)
	ds_store_b128 v5, v[1:4]
	s_waitcnt lgkmcnt(0)
	s_barrier
	buffer_gl0_inv
	v_cmpx_gt_u32_e32 14, v176
	s_cbranch_execz .LBB62_83
; %bb.80:
	v_dual_mov_b32 v1, 0 :: v_dual_add_nc_u32 v8, 0x3f0, v45
	v_dual_mov_b32 v2, 0 :: v_dual_add_nc_u32 v7, -1, v176
	v_or_b32_e32 v9, 8, v13
	s_mov_b32 s3, 0
	s_delay_alu instid0(VALU_DEP_2)
	v_dual_mov_b32 v4, v2 :: v_dual_mov_b32 v3, v1
	.p2align	6
.LBB62_81:                              ; =>This Inner Loop Header: Depth=1
	scratch_load_b128 v[14:17], v9, off offset:-8
	ds_load_b128 v[18:21], v8
	v_add_nc_u32_e32 v7, 1, v7
	v_add_nc_u32_e32 v8, 16, v8
	;; [unrolled: 1-line block ×3, first 2 shown]
	s_delay_alu instid0(VALU_DEP_3) | instskip(SKIP_4) | instid1(VALU_DEP_2)
	v_cmp_lt_u32_e32 vcc_lo, 12, v7
	s_or_b32 s3, vcc_lo, s3
	s_waitcnt vmcnt(0) lgkmcnt(0)
	v_mul_f64 v[10:11], v[20:21], v[16:17]
	v_mul_f64 v[16:17], v[18:19], v[16:17]
	v_fma_f64 v[10:11], v[18:19], v[14:15], -v[10:11]
	s_delay_alu instid0(VALU_DEP_2) | instskip(NEXT) | instid1(VALU_DEP_2)
	v_fma_f64 v[14:15], v[20:21], v[14:15], v[16:17]
	v_add_f64 v[3:4], v[3:4], v[10:11]
	s_delay_alu instid0(VALU_DEP_2)
	v_add_f64 v[1:2], v[1:2], v[14:15]
	s_and_not1_b32 exec_lo, exec_lo, s3
	s_cbranch_execnz .LBB62_81
; %bb.82:
	s_or_b32 exec_lo, exec_lo, s3
	v_mov_b32_e32 v7, 0
	ds_load_b128 v[7:10], v7 offset:224
	s_waitcnt lgkmcnt(0)
	v_mul_f64 v[11:12], v[1:2], v[9:10]
	v_mul_f64 v[14:15], v[3:4], v[9:10]
	s_delay_alu instid0(VALU_DEP_2) | instskip(NEXT) | instid1(VALU_DEP_2)
	v_fma_f64 v[9:10], v[3:4], v[7:8], -v[11:12]
	v_fma_f64 v[11:12], v[1:2], v[7:8], v[14:15]
	scratch_store_b128 off, v[9:12], off offset:224
.LBB62_83:
	s_or_b32 exec_lo, exec_lo, s2
	s_waitcnt_vscnt null, 0x0
	s_barrier
	buffer_gl0_inv
	scratch_load_b32 v1, off, off offset:1224 ; 4-byte Folded Reload
	s_mov_b32 s2, exec_lo
	s_waitcnt vmcnt(0)
	scratch_load_b128 v[1:4], v1, off
	s_waitcnt vmcnt(0)
	ds_store_b128 v5, v[1:4]
	s_waitcnt lgkmcnt(0)
	s_barrier
	buffer_gl0_inv
	v_cmpx_gt_u32_e32 15, v176
	s_cbranch_execz .LBB62_87
; %bb.84:
	v_dual_mov_b32 v1, 0 :: v_dual_add_nc_u32 v8, 0x3f0, v45
	v_dual_mov_b32 v2, 0 :: v_dual_add_nc_u32 v7, -1, v176
	v_or_b32_e32 v9, 8, v13
	s_mov_b32 s3, 0
	s_delay_alu instid0(VALU_DEP_2)
	v_dual_mov_b32 v4, v2 :: v_dual_mov_b32 v3, v1
	.p2align	6
.LBB62_85:                              ; =>This Inner Loop Header: Depth=1
	scratch_load_b128 v[14:17], v9, off offset:-8
	ds_load_b128 v[18:21], v8
	v_add_nc_u32_e32 v7, 1, v7
	v_add_nc_u32_e32 v8, 16, v8
	;; [unrolled: 1-line block ×3, first 2 shown]
	s_delay_alu instid0(VALU_DEP_3) | instskip(SKIP_4) | instid1(VALU_DEP_2)
	v_cmp_lt_u32_e32 vcc_lo, 13, v7
	s_or_b32 s3, vcc_lo, s3
	s_waitcnt vmcnt(0) lgkmcnt(0)
	v_mul_f64 v[10:11], v[20:21], v[16:17]
	v_mul_f64 v[16:17], v[18:19], v[16:17]
	v_fma_f64 v[10:11], v[18:19], v[14:15], -v[10:11]
	s_delay_alu instid0(VALU_DEP_2) | instskip(NEXT) | instid1(VALU_DEP_2)
	v_fma_f64 v[14:15], v[20:21], v[14:15], v[16:17]
	v_add_f64 v[3:4], v[3:4], v[10:11]
	s_delay_alu instid0(VALU_DEP_2)
	v_add_f64 v[1:2], v[1:2], v[14:15]
	s_and_not1_b32 exec_lo, exec_lo, s3
	s_cbranch_execnz .LBB62_85
; %bb.86:
	s_or_b32 exec_lo, exec_lo, s3
	v_mov_b32_e32 v7, 0
	ds_load_b128 v[7:10], v7 offset:240
	s_waitcnt lgkmcnt(0)
	v_mul_f64 v[11:12], v[1:2], v[9:10]
	v_mul_f64 v[14:15], v[3:4], v[9:10]
	s_delay_alu instid0(VALU_DEP_2) | instskip(NEXT) | instid1(VALU_DEP_2)
	v_fma_f64 v[9:10], v[3:4], v[7:8], -v[11:12]
	v_fma_f64 v[11:12], v[1:2], v[7:8], v[14:15]
	scratch_store_b128 off, v[9:12], off offset:240
.LBB62_87:
	s_or_b32 exec_lo, exec_lo, s2
	s_waitcnt_vscnt null, 0x0
	s_barrier
	buffer_gl0_inv
	scratch_load_b32 v1, off, off offset:1220 ; 4-byte Folded Reload
	s_mov_b32 s2, exec_lo
	s_waitcnt vmcnt(0)
	scratch_load_b128 v[1:4], v1, off
	s_waitcnt vmcnt(0)
	ds_store_b128 v5, v[1:4]
	s_waitcnt lgkmcnt(0)
	s_barrier
	buffer_gl0_inv
	v_cmpx_gt_u32_e32 16, v176
	s_cbranch_execz .LBB62_91
; %bb.88:
	v_dual_mov_b32 v1, 0 :: v_dual_add_nc_u32 v8, 0x3f0, v45
	v_dual_mov_b32 v2, 0 :: v_dual_add_nc_u32 v7, -1, v176
	v_or_b32_e32 v9, 8, v13
	s_mov_b32 s3, 0
	s_delay_alu instid0(VALU_DEP_2)
	v_dual_mov_b32 v4, v2 :: v_dual_mov_b32 v3, v1
	.p2align	6
.LBB62_89:                              ; =>This Inner Loop Header: Depth=1
	scratch_load_b128 v[14:17], v9, off offset:-8
	ds_load_b128 v[18:21], v8
	v_add_nc_u32_e32 v7, 1, v7
	v_add_nc_u32_e32 v8, 16, v8
	;; [unrolled: 1-line block ×3, first 2 shown]
	s_delay_alu instid0(VALU_DEP_3) | instskip(SKIP_4) | instid1(VALU_DEP_2)
	v_cmp_lt_u32_e32 vcc_lo, 14, v7
	s_or_b32 s3, vcc_lo, s3
	s_waitcnt vmcnt(0) lgkmcnt(0)
	v_mul_f64 v[10:11], v[20:21], v[16:17]
	v_mul_f64 v[16:17], v[18:19], v[16:17]
	v_fma_f64 v[10:11], v[18:19], v[14:15], -v[10:11]
	s_delay_alu instid0(VALU_DEP_2) | instskip(NEXT) | instid1(VALU_DEP_2)
	v_fma_f64 v[14:15], v[20:21], v[14:15], v[16:17]
	v_add_f64 v[3:4], v[3:4], v[10:11]
	s_delay_alu instid0(VALU_DEP_2)
	v_add_f64 v[1:2], v[1:2], v[14:15]
	s_and_not1_b32 exec_lo, exec_lo, s3
	s_cbranch_execnz .LBB62_89
; %bb.90:
	s_or_b32 exec_lo, exec_lo, s3
	v_mov_b32_e32 v7, 0
	ds_load_b128 v[7:10], v7 offset:256
	s_waitcnt lgkmcnt(0)
	v_mul_f64 v[11:12], v[1:2], v[9:10]
	v_mul_f64 v[14:15], v[3:4], v[9:10]
	s_delay_alu instid0(VALU_DEP_2) | instskip(NEXT) | instid1(VALU_DEP_2)
	v_fma_f64 v[9:10], v[3:4], v[7:8], -v[11:12]
	v_fma_f64 v[11:12], v[1:2], v[7:8], v[14:15]
	scratch_store_b128 off, v[9:12], off offset:256
.LBB62_91:
	s_or_b32 exec_lo, exec_lo, s2
	s_waitcnt_vscnt null, 0x0
	s_barrier
	buffer_gl0_inv
	scratch_load_b32 v1, off, off offset:1216 ; 4-byte Folded Reload
	s_mov_b32 s2, exec_lo
	s_waitcnt vmcnt(0)
	scratch_load_b128 v[1:4], v1, off
	s_waitcnt vmcnt(0)
	ds_store_b128 v5, v[1:4]
	s_waitcnt lgkmcnt(0)
	s_barrier
	buffer_gl0_inv
	v_cmpx_gt_u32_e32 17, v176
	s_cbranch_execz .LBB62_95
; %bb.92:
	v_dual_mov_b32 v1, 0 :: v_dual_add_nc_u32 v8, 0x3f0, v45
	v_dual_mov_b32 v2, 0 :: v_dual_add_nc_u32 v7, -1, v176
	v_or_b32_e32 v9, 8, v13
	s_mov_b32 s3, 0
	s_delay_alu instid0(VALU_DEP_2)
	v_dual_mov_b32 v4, v2 :: v_dual_mov_b32 v3, v1
	.p2align	6
.LBB62_93:                              ; =>This Inner Loop Header: Depth=1
	scratch_load_b128 v[14:17], v9, off offset:-8
	ds_load_b128 v[18:21], v8
	v_add_nc_u32_e32 v7, 1, v7
	v_add_nc_u32_e32 v8, 16, v8
	;; [unrolled: 1-line block ×3, first 2 shown]
	s_delay_alu instid0(VALU_DEP_3) | instskip(SKIP_4) | instid1(VALU_DEP_2)
	v_cmp_lt_u32_e32 vcc_lo, 15, v7
	s_or_b32 s3, vcc_lo, s3
	s_waitcnt vmcnt(0) lgkmcnt(0)
	v_mul_f64 v[10:11], v[20:21], v[16:17]
	v_mul_f64 v[16:17], v[18:19], v[16:17]
	v_fma_f64 v[10:11], v[18:19], v[14:15], -v[10:11]
	s_delay_alu instid0(VALU_DEP_2) | instskip(NEXT) | instid1(VALU_DEP_2)
	v_fma_f64 v[14:15], v[20:21], v[14:15], v[16:17]
	v_add_f64 v[3:4], v[3:4], v[10:11]
	s_delay_alu instid0(VALU_DEP_2)
	v_add_f64 v[1:2], v[1:2], v[14:15]
	s_and_not1_b32 exec_lo, exec_lo, s3
	s_cbranch_execnz .LBB62_93
; %bb.94:
	s_or_b32 exec_lo, exec_lo, s3
	v_mov_b32_e32 v7, 0
	ds_load_b128 v[7:10], v7 offset:272
	s_waitcnt lgkmcnt(0)
	v_mul_f64 v[11:12], v[1:2], v[9:10]
	v_mul_f64 v[14:15], v[3:4], v[9:10]
	s_delay_alu instid0(VALU_DEP_2) | instskip(NEXT) | instid1(VALU_DEP_2)
	v_fma_f64 v[9:10], v[3:4], v[7:8], -v[11:12]
	v_fma_f64 v[11:12], v[1:2], v[7:8], v[14:15]
	scratch_store_b128 off, v[9:12], off offset:272
.LBB62_95:
	s_or_b32 exec_lo, exec_lo, s2
	s_waitcnt_vscnt null, 0x0
	s_barrier
	buffer_gl0_inv
	scratch_load_b32 v1, off, off offset:1212 ; 4-byte Folded Reload
	s_mov_b32 s2, exec_lo
	s_waitcnt vmcnt(0)
	scratch_load_b128 v[1:4], v1, off
	s_waitcnt vmcnt(0)
	ds_store_b128 v5, v[1:4]
	s_waitcnt lgkmcnt(0)
	s_barrier
	buffer_gl0_inv
	v_cmpx_gt_u32_e32 18, v176
	s_cbranch_execz .LBB62_99
; %bb.96:
	v_dual_mov_b32 v1, 0 :: v_dual_add_nc_u32 v8, 0x3f0, v45
	v_dual_mov_b32 v2, 0 :: v_dual_add_nc_u32 v7, -1, v176
	v_or_b32_e32 v9, 8, v13
	s_mov_b32 s3, 0
	s_delay_alu instid0(VALU_DEP_2)
	v_dual_mov_b32 v4, v2 :: v_dual_mov_b32 v3, v1
	.p2align	6
.LBB62_97:                              ; =>This Inner Loop Header: Depth=1
	scratch_load_b128 v[14:17], v9, off offset:-8
	ds_load_b128 v[18:21], v8
	v_add_nc_u32_e32 v7, 1, v7
	v_add_nc_u32_e32 v8, 16, v8
	;; [unrolled: 1-line block ×3, first 2 shown]
	s_delay_alu instid0(VALU_DEP_3) | instskip(SKIP_4) | instid1(VALU_DEP_2)
	v_cmp_lt_u32_e32 vcc_lo, 16, v7
	s_or_b32 s3, vcc_lo, s3
	s_waitcnt vmcnt(0) lgkmcnt(0)
	v_mul_f64 v[10:11], v[20:21], v[16:17]
	v_mul_f64 v[16:17], v[18:19], v[16:17]
	v_fma_f64 v[10:11], v[18:19], v[14:15], -v[10:11]
	s_delay_alu instid0(VALU_DEP_2) | instskip(NEXT) | instid1(VALU_DEP_2)
	v_fma_f64 v[14:15], v[20:21], v[14:15], v[16:17]
	v_add_f64 v[3:4], v[3:4], v[10:11]
	s_delay_alu instid0(VALU_DEP_2)
	v_add_f64 v[1:2], v[1:2], v[14:15]
	s_and_not1_b32 exec_lo, exec_lo, s3
	s_cbranch_execnz .LBB62_97
; %bb.98:
	s_or_b32 exec_lo, exec_lo, s3
	v_mov_b32_e32 v7, 0
	ds_load_b128 v[7:10], v7 offset:288
	s_waitcnt lgkmcnt(0)
	v_mul_f64 v[11:12], v[1:2], v[9:10]
	v_mul_f64 v[14:15], v[3:4], v[9:10]
	s_delay_alu instid0(VALU_DEP_2) | instskip(NEXT) | instid1(VALU_DEP_2)
	v_fma_f64 v[9:10], v[3:4], v[7:8], -v[11:12]
	v_fma_f64 v[11:12], v[1:2], v[7:8], v[14:15]
	scratch_store_b128 off, v[9:12], off offset:288
.LBB62_99:
	s_or_b32 exec_lo, exec_lo, s2
	s_waitcnt_vscnt null, 0x0
	s_barrier
	buffer_gl0_inv
	scratch_load_b32 v1, off, off offset:1208 ; 4-byte Folded Reload
	s_mov_b32 s2, exec_lo
	s_waitcnt vmcnt(0)
	scratch_load_b128 v[1:4], v1, off
	s_waitcnt vmcnt(0)
	ds_store_b128 v5, v[1:4]
	s_waitcnt lgkmcnt(0)
	s_barrier
	buffer_gl0_inv
	v_cmpx_gt_u32_e32 19, v176
	s_cbranch_execz .LBB62_103
; %bb.100:
	v_dual_mov_b32 v1, 0 :: v_dual_add_nc_u32 v8, 0x3f0, v45
	v_dual_mov_b32 v2, 0 :: v_dual_add_nc_u32 v7, -1, v176
	v_or_b32_e32 v9, 8, v13
	s_mov_b32 s3, 0
	s_delay_alu instid0(VALU_DEP_2)
	v_dual_mov_b32 v4, v2 :: v_dual_mov_b32 v3, v1
	.p2align	6
.LBB62_101:                             ; =>This Inner Loop Header: Depth=1
	scratch_load_b128 v[14:17], v9, off offset:-8
	ds_load_b128 v[18:21], v8
	v_add_nc_u32_e32 v7, 1, v7
	v_add_nc_u32_e32 v8, 16, v8
	;; [unrolled: 1-line block ×3, first 2 shown]
	s_delay_alu instid0(VALU_DEP_3) | instskip(SKIP_4) | instid1(VALU_DEP_2)
	v_cmp_lt_u32_e32 vcc_lo, 17, v7
	s_or_b32 s3, vcc_lo, s3
	s_waitcnt vmcnt(0) lgkmcnt(0)
	v_mul_f64 v[10:11], v[20:21], v[16:17]
	v_mul_f64 v[16:17], v[18:19], v[16:17]
	v_fma_f64 v[10:11], v[18:19], v[14:15], -v[10:11]
	s_delay_alu instid0(VALU_DEP_2) | instskip(NEXT) | instid1(VALU_DEP_2)
	v_fma_f64 v[14:15], v[20:21], v[14:15], v[16:17]
	v_add_f64 v[3:4], v[3:4], v[10:11]
	s_delay_alu instid0(VALU_DEP_2)
	v_add_f64 v[1:2], v[1:2], v[14:15]
	s_and_not1_b32 exec_lo, exec_lo, s3
	s_cbranch_execnz .LBB62_101
; %bb.102:
	s_or_b32 exec_lo, exec_lo, s3
	v_mov_b32_e32 v7, 0
	ds_load_b128 v[7:10], v7 offset:304
	s_waitcnt lgkmcnt(0)
	v_mul_f64 v[11:12], v[1:2], v[9:10]
	v_mul_f64 v[14:15], v[3:4], v[9:10]
	s_delay_alu instid0(VALU_DEP_2) | instskip(NEXT) | instid1(VALU_DEP_2)
	v_fma_f64 v[9:10], v[3:4], v[7:8], -v[11:12]
	v_fma_f64 v[11:12], v[1:2], v[7:8], v[14:15]
	scratch_store_b128 off, v[9:12], off offset:304
.LBB62_103:
	s_or_b32 exec_lo, exec_lo, s2
	s_waitcnt_vscnt null, 0x0
	s_barrier
	buffer_gl0_inv
	scratch_load_b32 v1, off, off offset:1204 ; 4-byte Folded Reload
	s_mov_b32 s2, exec_lo
	s_waitcnt vmcnt(0)
	scratch_load_b128 v[1:4], v1, off
	s_waitcnt vmcnt(0)
	ds_store_b128 v5, v[1:4]
	s_waitcnt lgkmcnt(0)
	s_barrier
	buffer_gl0_inv
	v_cmpx_gt_u32_e32 20, v176
	s_cbranch_execz .LBB62_107
; %bb.104:
	v_dual_mov_b32 v1, 0 :: v_dual_add_nc_u32 v8, 0x3f0, v45
	v_dual_mov_b32 v2, 0 :: v_dual_add_nc_u32 v7, -1, v176
	v_or_b32_e32 v9, 8, v13
	s_mov_b32 s3, 0
	s_delay_alu instid0(VALU_DEP_2)
	v_dual_mov_b32 v4, v2 :: v_dual_mov_b32 v3, v1
	.p2align	6
.LBB62_105:                             ; =>This Inner Loop Header: Depth=1
	scratch_load_b128 v[14:17], v9, off offset:-8
	ds_load_b128 v[18:21], v8
	v_add_nc_u32_e32 v7, 1, v7
	v_add_nc_u32_e32 v8, 16, v8
	;; [unrolled: 1-line block ×3, first 2 shown]
	s_delay_alu instid0(VALU_DEP_3) | instskip(SKIP_4) | instid1(VALU_DEP_2)
	v_cmp_lt_u32_e32 vcc_lo, 18, v7
	s_or_b32 s3, vcc_lo, s3
	s_waitcnt vmcnt(0) lgkmcnt(0)
	v_mul_f64 v[10:11], v[20:21], v[16:17]
	v_mul_f64 v[16:17], v[18:19], v[16:17]
	v_fma_f64 v[10:11], v[18:19], v[14:15], -v[10:11]
	s_delay_alu instid0(VALU_DEP_2) | instskip(NEXT) | instid1(VALU_DEP_2)
	v_fma_f64 v[14:15], v[20:21], v[14:15], v[16:17]
	v_add_f64 v[3:4], v[3:4], v[10:11]
	s_delay_alu instid0(VALU_DEP_2)
	v_add_f64 v[1:2], v[1:2], v[14:15]
	s_and_not1_b32 exec_lo, exec_lo, s3
	s_cbranch_execnz .LBB62_105
; %bb.106:
	s_or_b32 exec_lo, exec_lo, s3
	v_mov_b32_e32 v7, 0
	ds_load_b128 v[7:10], v7 offset:320
	s_waitcnt lgkmcnt(0)
	v_mul_f64 v[11:12], v[1:2], v[9:10]
	v_mul_f64 v[14:15], v[3:4], v[9:10]
	s_delay_alu instid0(VALU_DEP_2) | instskip(NEXT) | instid1(VALU_DEP_2)
	v_fma_f64 v[9:10], v[3:4], v[7:8], -v[11:12]
	v_fma_f64 v[11:12], v[1:2], v[7:8], v[14:15]
	scratch_store_b128 off, v[9:12], off offset:320
.LBB62_107:
	s_or_b32 exec_lo, exec_lo, s2
	s_waitcnt_vscnt null, 0x0
	s_barrier
	buffer_gl0_inv
	scratch_load_b32 v1, off, off offset:1200 ; 4-byte Folded Reload
	s_mov_b32 s2, exec_lo
	s_waitcnt vmcnt(0)
	scratch_load_b128 v[1:4], v1, off
	s_waitcnt vmcnt(0)
	ds_store_b128 v5, v[1:4]
	s_waitcnt lgkmcnt(0)
	s_barrier
	buffer_gl0_inv
	v_cmpx_gt_u32_e32 21, v176
	s_cbranch_execz .LBB62_111
; %bb.108:
	v_dual_mov_b32 v1, 0 :: v_dual_add_nc_u32 v8, 0x3f0, v45
	v_dual_mov_b32 v2, 0 :: v_dual_add_nc_u32 v7, -1, v176
	v_or_b32_e32 v9, 8, v13
	s_mov_b32 s3, 0
	s_delay_alu instid0(VALU_DEP_2)
	v_dual_mov_b32 v4, v2 :: v_dual_mov_b32 v3, v1
	.p2align	6
.LBB62_109:                             ; =>This Inner Loop Header: Depth=1
	scratch_load_b128 v[14:17], v9, off offset:-8
	ds_load_b128 v[18:21], v8
	v_add_nc_u32_e32 v7, 1, v7
	v_add_nc_u32_e32 v8, 16, v8
	v_add_nc_u32_e32 v9, 16, v9
	s_delay_alu instid0(VALU_DEP_3) | instskip(SKIP_4) | instid1(VALU_DEP_2)
	v_cmp_lt_u32_e32 vcc_lo, 19, v7
	s_or_b32 s3, vcc_lo, s3
	s_waitcnt vmcnt(0) lgkmcnt(0)
	v_mul_f64 v[10:11], v[20:21], v[16:17]
	v_mul_f64 v[16:17], v[18:19], v[16:17]
	v_fma_f64 v[10:11], v[18:19], v[14:15], -v[10:11]
	s_delay_alu instid0(VALU_DEP_2) | instskip(NEXT) | instid1(VALU_DEP_2)
	v_fma_f64 v[14:15], v[20:21], v[14:15], v[16:17]
	v_add_f64 v[3:4], v[3:4], v[10:11]
	s_delay_alu instid0(VALU_DEP_2)
	v_add_f64 v[1:2], v[1:2], v[14:15]
	s_and_not1_b32 exec_lo, exec_lo, s3
	s_cbranch_execnz .LBB62_109
; %bb.110:
	s_or_b32 exec_lo, exec_lo, s3
	v_mov_b32_e32 v7, 0
	ds_load_b128 v[7:10], v7 offset:336
	s_waitcnt lgkmcnt(0)
	v_mul_f64 v[11:12], v[1:2], v[9:10]
	v_mul_f64 v[14:15], v[3:4], v[9:10]
	s_delay_alu instid0(VALU_DEP_2) | instskip(NEXT) | instid1(VALU_DEP_2)
	v_fma_f64 v[9:10], v[3:4], v[7:8], -v[11:12]
	v_fma_f64 v[11:12], v[1:2], v[7:8], v[14:15]
	scratch_store_b128 off, v[9:12], off offset:336
.LBB62_111:
	s_or_b32 exec_lo, exec_lo, s2
	s_waitcnt_vscnt null, 0x0
	s_barrier
	buffer_gl0_inv
	scratch_load_b32 v1, off, off offset:1196 ; 4-byte Folded Reload
	s_mov_b32 s2, exec_lo
	s_waitcnt vmcnt(0)
	scratch_load_b128 v[1:4], v1, off
	s_waitcnt vmcnt(0)
	ds_store_b128 v5, v[1:4]
	s_waitcnt lgkmcnt(0)
	s_barrier
	buffer_gl0_inv
	v_cmpx_gt_u32_e32 22, v176
	s_cbranch_execz .LBB62_115
; %bb.112:
	v_dual_mov_b32 v1, 0 :: v_dual_add_nc_u32 v8, 0x3f0, v45
	v_dual_mov_b32 v2, 0 :: v_dual_add_nc_u32 v7, -1, v176
	v_or_b32_e32 v9, 8, v13
	s_mov_b32 s3, 0
	s_delay_alu instid0(VALU_DEP_2)
	v_dual_mov_b32 v4, v2 :: v_dual_mov_b32 v3, v1
	.p2align	6
.LBB62_113:                             ; =>This Inner Loop Header: Depth=1
	scratch_load_b128 v[14:17], v9, off offset:-8
	ds_load_b128 v[18:21], v8
	v_add_nc_u32_e32 v7, 1, v7
	v_add_nc_u32_e32 v8, 16, v8
	;; [unrolled: 1-line block ×3, first 2 shown]
	s_delay_alu instid0(VALU_DEP_3) | instskip(SKIP_4) | instid1(VALU_DEP_2)
	v_cmp_lt_u32_e32 vcc_lo, 20, v7
	s_or_b32 s3, vcc_lo, s3
	s_waitcnt vmcnt(0) lgkmcnt(0)
	v_mul_f64 v[10:11], v[20:21], v[16:17]
	v_mul_f64 v[16:17], v[18:19], v[16:17]
	v_fma_f64 v[10:11], v[18:19], v[14:15], -v[10:11]
	s_delay_alu instid0(VALU_DEP_2) | instskip(NEXT) | instid1(VALU_DEP_2)
	v_fma_f64 v[14:15], v[20:21], v[14:15], v[16:17]
	v_add_f64 v[3:4], v[3:4], v[10:11]
	s_delay_alu instid0(VALU_DEP_2)
	v_add_f64 v[1:2], v[1:2], v[14:15]
	s_and_not1_b32 exec_lo, exec_lo, s3
	s_cbranch_execnz .LBB62_113
; %bb.114:
	s_or_b32 exec_lo, exec_lo, s3
	v_mov_b32_e32 v7, 0
	ds_load_b128 v[7:10], v7 offset:352
	s_waitcnt lgkmcnt(0)
	v_mul_f64 v[11:12], v[1:2], v[9:10]
	v_mul_f64 v[14:15], v[3:4], v[9:10]
	s_delay_alu instid0(VALU_DEP_2) | instskip(NEXT) | instid1(VALU_DEP_2)
	v_fma_f64 v[9:10], v[3:4], v[7:8], -v[11:12]
	v_fma_f64 v[11:12], v[1:2], v[7:8], v[14:15]
	scratch_store_b128 off, v[9:12], off offset:352
.LBB62_115:
	s_or_b32 exec_lo, exec_lo, s2
	s_waitcnt_vscnt null, 0x0
	s_barrier
	buffer_gl0_inv
	scratch_load_b32 v1, off, off offset:1192 ; 4-byte Folded Reload
	s_mov_b32 s2, exec_lo
	s_waitcnt vmcnt(0)
	scratch_load_b128 v[1:4], v1, off
	s_waitcnt vmcnt(0)
	ds_store_b128 v5, v[1:4]
	s_waitcnt lgkmcnt(0)
	s_barrier
	buffer_gl0_inv
	v_cmpx_gt_u32_e32 23, v176
	s_cbranch_execz .LBB62_119
; %bb.116:
	v_dual_mov_b32 v1, 0 :: v_dual_add_nc_u32 v8, 0x3f0, v45
	v_dual_mov_b32 v2, 0 :: v_dual_add_nc_u32 v7, -1, v176
	v_or_b32_e32 v9, 8, v13
	s_mov_b32 s3, 0
	s_delay_alu instid0(VALU_DEP_2)
	v_dual_mov_b32 v4, v2 :: v_dual_mov_b32 v3, v1
	.p2align	6
.LBB62_117:                             ; =>This Inner Loop Header: Depth=1
	scratch_load_b128 v[14:17], v9, off offset:-8
	ds_load_b128 v[18:21], v8
	v_add_nc_u32_e32 v7, 1, v7
	v_add_nc_u32_e32 v8, 16, v8
	;; [unrolled: 1-line block ×3, first 2 shown]
	s_delay_alu instid0(VALU_DEP_3) | instskip(SKIP_4) | instid1(VALU_DEP_2)
	v_cmp_lt_u32_e32 vcc_lo, 21, v7
	s_or_b32 s3, vcc_lo, s3
	s_waitcnt vmcnt(0) lgkmcnt(0)
	v_mul_f64 v[10:11], v[20:21], v[16:17]
	v_mul_f64 v[16:17], v[18:19], v[16:17]
	v_fma_f64 v[10:11], v[18:19], v[14:15], -v[10:11]
	s_delay_alu instid0(VALU_DEP_2) | instskip(NEXT) | instid1(VALU_DEP_2)
	v_fma_f64 v[14:15], v[20:21], v[14:15], v[16:17]
	v_add_f64 v[3:4], v[3:4], v[10:11]
	s_delay_alu instid0(VALU_DEP_2)
	v_add_f64 v[1:2], v[1:2], v[14:15]
	s_and_not1_b32 exec_lo, exec_lo, s3
	s_cbranch_execnz .LBB62_117
; %bb.118:
	s_or_b32 exec_lo, exec_lo, s3
	v_mov_b32_e32 v7, 0
	ds_load_b128 v[7:10], v7 offset:368
	s_waitcnt lgkmcnt(0)
	v_mul_f64 v[11:12], v[1:2], v[9:10]
	v_mul_f64 v[14:15], v[3:4], v[9:10]
	s_delay_alu instid0(VALU_DEP_2) | instskip(NEXT) | instid1(VALU_DEP_2)
	v_fma_f64 v[9:10], v[3:4], v[7:8], -v[11:12]
	v_fma_f64 v[11:12], v[1:2], v[7:8], v[14:15]
	scratch_store_b128 off, v[9:12], off offset:368
.LBB62_119:
	s_or_b32 exec_lo, exec_lo, s2
	s_waitcnt_vscnt null, 0x0
	s_barrier
	buffer_gl0_inv
	scratch_load_b32 v1, off, off offset:1188 ; 4-byte Folded Reload
	s_mov_b32 s2, exec_lo
	s_waitcnt vmcnt(0)
	scratch_load_b128 v[1:4], v1, off
	s_waitcnt vmcnt(0)
	ds_store_b128 v5, v[1:4]
	s_waitcnt lgkmcnt(0)
	s_barrier
	buffer_gl0_inv
	v_cmpx_gt_u32_e32 24, v176
	s_cbranch_execz .LBB62_123
; %bb.120:
	v_dual_mov_b32 v1, 0 :: v_dual_add_nc_u32 v8, 0x3f0, v45
	v_dual_mov_b32 v2, 0 :: v_dual_add_nc_u32 v7, -1, v176
	v_or_b32_e32 v9, 8, v13
	s_mov_b32 s3, 0
	s_delay_alu instid0(VALU_DEP_2)
	v_dual_mov_b32 v4, v2 :: v_dual_mov_b32 v3, v1
	.p2align	6
.LBB62_121:                             ; =>This Inner Loop Header: Depth=1
	scratch_load_b128 v[14:17], v9, off offset:-8
	ds_load_b128 v[18:21], v8
	v_add_nc_u32_e32 v7, 1, v7
	v_add_nc_u32_e32 v8, 16, v8
	v_add_nc_u32_e32 v9, 16, v9
	s_delay_alu instid0(VALU_DEP_3) | instskip(SKIP_4) | instid1(VALU_DEP_2)
	v_cmp_lt_u32_e32 vcc_lo, 22, v7
	s_or_b32 s3, vcc_lo, s3
	s_waitcnt vmcnt(0) lgkmcnt(0)
	v_mul_f64 v[10:11], v[20:21], v[16:17]
	v_mul_f64 v[16:17], v[18:19], v[16:17]
	v_fma_f64 v[10:11], v[18:19], v[14:15], -v[10:11]
	s_delay_alu instid0(VALU_DEP_2) | instskip(NEXT) | instid1(VALU_DEP_2)
	v_fma_f64 v[14:15], v[20:21], v[14:15], v[16:17]
	v_add_f64 v[3:4], v[3:4], v[10:11]
	s_delay_alu instid0(VALU_DEP_2)
	v_add_f64 v[1:2], v[1:2], v[14:15]
	s_and_not1_b32 exec_lo, exec_lo, s3
	s_cbranch_execnz .LBB62_121
; %bb.122:
	s_or_b32 exec_lo, exec_lo, s3
	v_mov_b32_e32 v7, 0
	ds_load_b128 v[7:10], v7 offset:384
	s_waitcnt lgkmcnt(0)
	v_mul_f64 v[11:12], v[1:2], v[9:10]
	v_mul_f64 v[14:15], v[3:4], v[9:10]
	s_delay_alu instid0(VALU_DEP_2) | instskip(NEXT) | instid1(VALU_DEP_2)
	v_fma_f64 v[9:10], v[3:4], v[7:8], -v[11:12]
	v_fma_f64 v[11:12], v[1:2], v[7:8], v[14:15]
	scratch_store_b128 off, v[9:12], off offset:384
.LBB62_123:
	s_or_b32 exec_lo, exec_lo, s2
	s_waitcnt_vscnt null, 0x0
	s_barrier
	buffer_gl0_inv
	scratch_load_b32 v1, off, off offset:1184 ; 4-byte Folded Reload
	s_mov_b32 s2, exec_lo
	s_waitcnt vmcnt(0)
	scratch_load_b128 v[1:4], v1, off
	s_waitcnt vmcnt(0)
	ds_store_b128 v5, v[1:4]
	s_waitcnt lgkmcnt(0)
	s_barrier
	buffer_gl0_inv
	v_cmpx_gt_u32_e32 25, v176
	s_cbranch_execz .LBB62_127
; %bb.124:
	v_dual_mov_b32 v1, 0 :: v_dual_add_nc_u32 v8, 0x3f0, v45
	v_dual_mov_b32 v2, 0 :: v_dual_add_nc_u32 v7, -1, v176
	v_or_b32_e32 v9, 8, v13
	s_mov_b32 s3, 0
	s_delay_alu instid0(VALU_DEP_2)
	v_dual_mov_b32 v4, v2 :: v_dual_mov_b32 v3, v1
	.p2align	6
.LBB62_125:                             ; =>This Inner Loop Header: Depth=1
	scratch_load_b128 v[14:17], v9, off offset:-8
	ds_load_b128 v[18:21], v8
	v_add_nc_u32_e32 v7, 1, v7
	v_add_nc_u32_e32 v8, 16, v8
	;; [unrolled: 1-line block ×3, first 2 shown]
	s_delay_alu instid0(VALU_DEP_3) | instskip(SKIP_4) | instid1(VALU_DEP_2)
	v_cmp_lt_u32_e32 vcc_lo, 23, v7
	s_or_b32 s3, vcc_lo, s3
	s_waitcnt vmcnt(0) lgkmcnt(0)
	v_mul_f64 v[10:11], v[20:21], v[16:17]
	v_mul_f64 v[16:17], v[18:19], v[16:17]
	v_fma_f64 v[10:11], v[18:19], v[14:15], -v[10:11]
	s_delay_alu instid0(VALU_DEP_2) | instskip(NEXT) | instid1(VALU_DEP_2)
	v_fma_f64 v[14:15], v[20:21], v[14:15], v[16:17]
	v_add_f64 v[3:4], v[3:4], v[10:11]
	s_delay_alu instid0(VALU_DEP_2)
	v_add_f64 v[1:2], v[1:2], v[14:15]
	s_and_not1_b32 exec_lo, exec_lo, s3
	s_cbranch_execnz .LBB62_125
; %bb.126:
	s_or_b32 exec_lo, exec_lo, s3
	v_mov_b32_e32 v7, 0
	ds_load_b128 v[7:10], v7 offset:400
	s_waitcnt lgkmcnt(0)
	v_mul_f64 v[11:12], v[1:2], v[9:10]
	v_mul_f64 v[14:15], v[3:4], v[9:10]
	s_delay_alu instid0(VALU_DEP_2) | instskip(NEXT) | instid1(VALU_DEP_2)
	v_fma_f64 v[9:10], v[3:4], v[7:8], -v[11:12]
	v_fma_f64 v[11:12], v[1:2], v[7:8], v[14:15]
	scratch_store_b128 off, v[9:12], off offset:400
.LBB62_127:
	s_or_b32 exec_lo, exec_lo, s2
	s_waitcnt_vscnt null, 0x0
	s_barrier
	buffer_gl0_inv
	scratch_load_b32 v1, off, off offset:1180 ; 4-byte Folded Reload
	s_mov_b32 s2, exec_lo
	s_waitcnt vmcnt(0)
	scratch_load_b128 v[1:4], v1, off
	s_waitcnt vmcnt(0)
	ds_store_b128 v5, v[1:4]
	s_waitcnt lgkmcnt(0)
	s_barrier
	buffer_gl0_inv
	v_cmpx_gt_u32_e32 26, v176
	s_cbranch_execz .LBB62_131
; %bb.128:
	v_dual_mov_b32 v1, 0 :: v_dual_add_nc_u32 v8, 0x3f0, v45
	v_dual_mov_b32 v2, 0 :: v_dual_add_nc_u32 v7, -1, v176
	v_or_b32_e32 v9, 8, v13
	s_mov_b32 s3, 0
	s_delay_alu instid0(VALU_DEP_2)
	v_dual_mov_b32 v4, v2 :: v_dual_mov_b32 v3, v1
	.p2align	6
.LBB62_129:                             ; =>This Inner Loop Header: Depth=1
	scratch_load_b128 v[14:17], v9, off offset:-8
	ds_load_b128 v[18:21], v8
	v_add_nc_u32_e32 v7, 1, v7
	v_add_nc_u32_e32 v8, 16, v8
	;; [unrolled: 1-line block ×3, first 2 shown]
	s_delay_alu instid0(VALU_DEP_3) | instskip(SKIP_4) | instid1(VALU_DEP_2)
	v_cmp_lt_u32_e32 vcc_lo, 24, v7
	s_or_b32 s3, vcc_lo, s3
	s_waitcnt vmcnt(0) lgkmcnt(0)
	v_mul_f64 v[10:11], v[20:21], v[16:17]
	v_mul_f64 v[16:17], v[18:19], v[16:17]
	v_fma_f64 v[10:11], v[18:19], v[14:15], -v[10:11]
	s_delay_alu instid0(VALU_DEP_2) | instskip(NEXT) | instid1(VALU_DEP_2)
	v_fma_f64 v[14:15], v[20:21], v[14:15], v[16:17]
	v_add_f64 v[3:4], v[3:4], v[10:11]
	s_delay_alu instid0(VALU_DEP_2)
	v_add_f64 v[1:2], v[1:2], v[14:15]
	s_and_not1_b32 exec_lo, exec_lo, s3
	s_cbranch_execnz .LBB62_129
; %bb.130:
	s_or_b32 exec_lo, exec_lo, s3
	v_mov_b32_e32 v7, 0
	ds_load_b128 v[7:10], v7 offset:416
	s_waitcnt lgkmcnt(0)
	v_mul_f64 v[11:12], v[1:2], v[9:10]
	v_mul_f64 v[14:15], v[3:4], v[9:10]
	s_delay_alu instid0(VALU_DEP_2) | instskip(NEXT) | instid1(VALU_DEP_2)
	v_fma_f64 v[9:10], v[3:4], v[7:8], -v[11:12]
	v_fma_f64 v[11:12], v[1:2], v[7:8], v[14:15]
	scratch_store_b128 off, v[9:12], off offset:416
.LBB62_131:
	s_or_b32 exec_lo, exec_lo, s2
	s_waitcnt_vscnt null, 0x0
	s_barrier
	buffer_gl0_inv
	scratch_load_b32 v1, off, off offset:1172 ; 4-byte Folded Reload
	s_mov_b32 s2, exec_lo
	s_waitcnt vmcnt(0)
	scratch_load_b128 v[1:4], v1, off
	s_waitcnt vmcnt(0)
	ds_store_b128 v5, v[1:4]
	s_waitcnt lgkmcnt(0)
	s_barrier
	buffer_gl0_inv
	v_cmpx_gt_u32_e32 27, v176
	s_cbranch_execz .LBB62_135
; %bb.132:
	v_dual_mov_b32 v1, 0 :: v_dual_add_nc_u32 v8, 0x3f0, v45
	v_dual_mov_b32 v2, 0 :: v_dual_add_nc_u32 v7, -1, v176
	v_or_b32_e32 v9, 8, v13
	s_mov_b32 s3, 0
	s_delay_alu instid0(VALU_DEP_2)
	v_dual_mov_b32 v4, v2 :: v_dual_mov_b32 v3, v1
	.p2align	6
.LBB62_133:                             ; =>This Inner Loop Header: Depth=1
	scratch_load_b128 v[14:17], v9, off offset:-8
	ds_load_b128 v[18:21], v8
	v_add_nc_u32_e32 v7, 1, v7
	v_add_nc_u32_e32 v8, 16, v8
	;; [unrolled: 1-line block ×3, first 2 shown]
	s_delay_alu instid0(VALU_DEP_3) | instskip(SKIP_4) | instid1(VALU_DEP_2)
	v_cmp_lt_u32_e32 vcc_lo, 25, v7
	s_or_b32 s3, vcc_lo, s3
	s_waitcnt vmcnt(0) lgkmcnt(0)
	v_mul_f64 v[10:11], v[20:21], v[16:17]
	v_mul_f64 v[16:17], v[18:19], v[16:17]
	v_fma_f64 v[10:11], v[18:19], v[14:15], -v[10:11]
	s_delay_alu instid0(VALU_DEP_2) | instskip(NEXT) | instid1(VALU_DEP_2)
	v_fma_f64 v[14:15], v[20:21], v[14:15], v[16:17]
	v_add_f64 v[3:4], v[3:4], v[10:11]
	s_delay_alu instid0(VALU_DEP_2)
	v_add_f64 v[1:2], v[1:2], v[14:15]
	s_and_not1_b32 exec_lo, exec_lo, s3
	s_cbranch_execnz .LBB62_133
; %bb.134:
	s_or_b32 exec_lo, exec_lo, s3
	v_mov_b32_e32 v7, 0
	ds_load_b128 v[7:10], v7 offset:432
	s_waitcnt lgkmcnt(0)
	v_mul_f64 v[11:12], v[1:2], v[9:10]
	v_mul_f64 v[14:15], v[3:4], v[9:10]
	s_delay_alu instid0(VALU_DEP_2) | instskip(NEXT) | instid1(VALU_DEP_2)
	v_fma_f64 v[9:10], v[3:4], v[7:8], -v[11:12]
	v_fma_f64 v[11:12], v[1:2], v[7:8], v[14:15]
	scratch_store_b128 off, v[9:12], off offset:432
.LBB62_135:
	s_or_b32 exec_lo, exec_lo, s2
	s_waitcnt_vscnt null, 0x0
	s_barrier
	buffer_gl0_inv
	scratch_load_b32 v1, off, off offset:1164 ; 4-byte Folded Reload
	s_mov_b32 s2, exec_lo
	s_waitcnt vmcnt(0)
	scratch_load_b128 v[1:4], v1, off
	s_waitcnt vmcnt(0)
	ds_store_b128 v5, v[1:4]
	s_waitcnt lgkmcnt(0)
	s_barrier
	buffer_gl0_inv
	v_cmpx_gt_u32_e32 28, v176
	s_cbranch_execz .LBB62_139
; %bb.136:
	v_dual_mov_b32 v1, 0 :: v_dual_add_nc_u32 v8, 0x3f0, v45
	v_dual_mov_b32 v2, 0 :: v_dual_add_nc_u32 v7, -1, v176
	v_or_b32_e32 v9, 8, v13
	s_mov_b32 s3, 0
	s_delay_alu instid0(VALU_DEP_2)
	v_dual_mov_b32 v4, v2 :: v_dual_mov_b32 v3, v1
	.p2align	6
.LBB62_137:                             ; =>This Inner Loop Header: Depth=1
	scratch_load_b128 v[14:17], v9, off offset:-8
	ds_load_b128 v[18:21], v8
	v_add_nc_u32_e32 v7, 1, v7
	v_add_nc_u32_e32 v8, 16, v8
	;; [unrolled: 1-line block ×3, first 2 shown]
	s_delay_alu instid0(VALU_DEP_3) | instskip(SKIP_4) | instid1(VALU_DEP_2)
	v_cmp_lt_u32_e32 vcc_lo, 26, v7
	s_or_b32 s3, vcc_lo, s3
	s_waitcnt vmcnt(0) lgkmcnt(0)
	v_mul_f64 v[10:11], v[20:21], v[16:17]
	v_mul_f64 v[16:17], v[18:19], v[16:17]
	v_fma_f64 v[10:11], v[18:19], v[14:15], -v[10:11]
	s_delay_alu instid0(VALU_DEP_2) | instskip(NEXT) | instid1(VALU_DEP_2)
	v_fma_f64 v[14:15], v[20:21], v[14:15], v[16:17]
	v_add_f64 v[3:4], v[3:4], v[10:11]
	s_delay_alu instid0(VALU_DEP_2)
	v_add_f64 v[1:2], v[1:2], v[14:15]
	s_and_not1_b32 exec_lo, exec_lo, s3
	s_cbranch_execnz .LBB62_137
; %bb.138:
	s_or_b32 exec_lo, exec_lo, s3
	v_mov_b32_e32 v7, 0
	ds_load_b128 v[7:10], v7 offset:448
	s_waitcnt lgkmcnt(0)
	v_mul_f64 v[11:12], v[1:2], v[9:10]
	v_mul_f64 v[14:15], v[3:4], v[9:10]
	s_delay_alu instid0(VALU_DEP_2) | instskip(NEXT) | instid1(VALU_DEP_2)
	v_fma_f64 v[9:10], v[3:4], v[7:8], -v[11:12]
	v_fma_f64 v[11:12], v[1:2], v[7:8], v[14:15]
	scratch_store_b128 off, v[9:12], off offset:448
.LBB62_139:
	s_or_b32 exec_lo, exec_lo, s2
	s_waitcnt_vscnt null, 0x0
	s_barrier
	buffer_gl0_inv
	scratch_load_b32 v1, off, off offset:1148 ; 4-byte Folded Reload
	s_mov_b32 s2, exec_lo
	s_waitcnt vmcnt(0)
	scratch_load_b128 v[1:4], v1, off
	s_waitcnt vmcnt(0)
	ds_store_b128 v5, v[1:4]
	s_waitcnt lgkmcnt(0)
	s_barrier
	buffer_gl0_inv
	v_cmpx_gt_u32_e32 29, v176
	s_cbranch_execz .LBB62_143
; %bb.140:
	v_dual_mov_b32 v1, 0 :: v_dual_add_nc_u32 v8, 0x3f0, v45
	v_dual_mov_b32 v2, 0 :: v_dual_add_nc_u32 v7, -1, v176
	v_or_b32_e32 v9, 8, v13
	s_mov_b32 s3, 0
	s_delay_alu instid0(VALU_DEP_2)
	v_dual_mov_b32 v4, v2 :: v_dual_mov_b32 v3, v1
	.p2align	6
.LBB62_141:                             ; =>This Inner Loop Header: Depth=1
	scratch_load_b128 v[14:17], v9, off offset:-8
	ds_load_b128 v[18:21], v8
	v_add_nc_u32_e32 v7, 1, v7
	v_add_nc_u32_e32 v8, 16, v8
	v_add_nc_u32_e32 v9, 16, v9
	s_delay_alu instid0(VALU_DEP_3) | instskip(SKIP_4) | instid1(VALU_DEP_2)
	v_cmp_lt_u32_e32 vcc_lo, 27, v7
	s_or_b32 s3, vcc_lo, s3
	s_waitcnt vmcnt(0) lgkmcnt(0)
	v_mul_f64 v[10:11], v[20:21], v[16:17]
	v_mul_f64 v[16:17], v[18:19], v[16:17]
	v_fma_f64 v[10:11], v[18:19], v[14:15], -v[10:11]
	s_delay_alu instid0(VALU_DEP_2) | instskip(NEXT) | instid1(VALU_DEP_2)
	v_fma_f64 v[14:15], v[20:21], v[14:15], v[16:17]
	v_add_f64 v[3:4], v[3:4], v[10:11]
	s_delay_alu instid0(VALU_DEP_2)
	v_add_f64 v[1:2], v[1:2], v[14:15]
	s_and_not1_b32 exec_lo, exec_lo, s3
	s_cbranch_execnz .LBB62_141
; %bb.142:
	s_or_b32 exec_lo, exec_lo, s3
	v_mov_b32_e32 v7, 0
	ds_load_b128 v[7:10], v7 offset:464
	s_waitcnt lgkmcnt(0)
	v_mul_f64 v[11:12], v[1:2], v[9:10]
	v_mul_f64 v[14:15], v[3:4], v[9:10]
	s_delay_alu instid0(VALU_DEP_2) | instskip(NEXT) | instid1(VALU_DEP_2)
	v_fma_f64 v[9:10], v[3:4], v[7:8], -v[11:12]
	v_fma_f64 v[11:12], v[1:2], v[7:8], v[14:15]
	scratch_store_b128 off, v[9:12], off offset:464
.LBB62_143:
	s_or_b32 exec_lo, exec_lo, s2
	s_waitcnt_vscnt null, 0x0
	s_barrier
	buffer_gl0_inv
	scratch_load_b32 v1, off, off offset:1140 ; 4-byte Folded Reload
	s_mov_b32 s2, exec_lo
	s_waitcnt vmcnt(0)
	scratch_load_b128 v[1:4], v1, off
	s_waitcnt vmcnt(0)
	ds_store_b128 v5, v[1:4]
	s_waitcnt lgkmcnt(0)
	s_barrier
	buffer_gl0_inv
	v_cmpx_gt_u32_e32 30, v176
	s_cbranch_execz .LBB62_147
; %bb.144:
	v_dual_mov_b32 v1, 0 :: v_dual_add_nc_u32 v8, 0x3f0, v45
	v_dual_mov_b32 v2, 0 :: v_dual_add_nc_u32 v7, -1, v176
	v_or_b32_e32 v9, 8, v13
	s_mov_b32 s3, 0
	s_delay_alu instid0(VALU_DEP_2)
	v_dual_mov_b32 v4, v2 :: v_dual_mov_b32 v3, v1
	.p2align	6
.LBB62_145:                             ; =>This Inner Loop Header: Depth=1
	scratch_load_b128 v[14:17], v9, off offset:-8
	ds_load_b128 v[18:21], v8
	v_add_nc_u32_e32 v7, 1, v7
	v_add_nc_u32_e32 v8, 16, v8
	v_add_nc_u32_e32 v9, 16, v9
	s_delay_alu instid0(VALU_DEP_3) | instskip(SKIP_4) | instid1(VALU_DEP_2)
	v_cmp_lt_u32_e32 vcc_lo, 28, v7
	s_or_b32 s3, vcc_lo, s3
	s_waitcnt vmcnt(0) lgkmcnt(0)
	v_mul_f64 v[10:11], v[20:21], v[16:17]
	v_mul_f64 v[16:17], v[18:19], v[16:17]
	v_fma_f64 v[10:11], v[18:19], v[14:15], -v[10:11]
	s_delay_alu instid0(VALU_DEP_2) | instskip(NEXT) | instid1(VALU_DEP_2)
	v_fma_f64 v[14:15], v[20:21], v[14:15], v[16:17]
	v_add_f64 v[3:4], v[3:4], v[10:11]
	s_delay_alu instid0(VALU_DEP_2)
	v_add_f64 v[1:2], v[1:2], v[14:15]
	s_and_not1_b32 exec_lo, exec_lo, s3
	s_cbranch_execnz .LBB62_145
; %bb.146:
	s_or_b32 exec_lo, exec_lo, s3
	v_mov_b32_e32 v7, 0
	ds_load_b128 v[7:10], v7 offset:480
	s_waitcnt lgkmcnt(0)
	v_mul_f64 v[11:12], v[1:2], v[9:10]
	v_mul_f64 v[14:15], v[3:4], v[9:10]
	s_delay_alu instid0(VALU_DEP_2) | instskip(NEXT) | instid1(VALU_DEP_2)
	v_fma_f64 v[9:10], v[3:4], v[7:8], -v[11:12]
	v_fma_f64 v[11:12], v[1:2], v[7:8], v[14:15]
	scratch_store_b128 off, v[9:12], off offset:480
.LBB62_147:
	s_or_b32 exec_lo, exec_lo, s2
	s_waitcnt_vscnt null, 0x0
	s_barrier
	buffer_gl0_inv
	scratch_load_b32 v1, off, off offset:1128 ; 4-byte Folded Reload
	s_mov_b32 s2, exec_lo
	s_waitcnt vmcnt(0)
	scratch_load_b128 v[1:4], v1, off
	s_waitcnt vmcnt(0)
	ds_store_b128 v5, v[1:4]
	s_waitcnt lgkmcnt(0)
	s_barrier
	buffer_gl0_inv
	v_cmpx_gt_u32_e32 31, v176
	s_cbranch_execz .LBB62_151
; %bb.148:
	v_dual_mov_b32 v1, 0 :: v_dual_add_nc_u32 v8, 0x3f0, v45
	v_dual_mov_b32 v2, 0 :: v_dual_add_nc_u32 v7, -1, v176
	v_or_b32_e32 v9, 8, v13
	s_mov_b32 s3, 0
	s_delay_alu instid0(VALU_DEP_2)
	v_dual_mov_b32 v4, v2 :: v_dual_mov_b32 v3, v1
	.p2align	6
.LBB62_149:                             ; =>This Inner Loop Header: Depth=1
	scratch_load_b128 v[14:17], v9, off offset:-8
	ds_load_b128 v[18:21], v8
	v_add_nc_u32_e32 v7, 1, v7
	v_add_nc_u32_e32 v8, 16, v8
	;; [unrolled: 1-line block ×3, first 2 shown]
	s_delay_alu instid0(VALU_DEP_3) | instskip(SKIP_4) | instid1(VALU_DEP_2)
	v_cmp_lt_u32_e32 vcc_lo, 29, v7
	s_or_b32 s3, vcc_lo, s3
	s_waitcnt vmcnt(0) lgkmcnt(0)
	v_mul_f64 v[10:11], v[20:21], v[16:17]
	v_mul_f64 v[16:17], v[18:19], v[16:17]
	v_fma_f64 v[10:11], v[18:19], v[14:15], -v[10:11]
	s_delay_alu instid0(VALU_DEP_2) | instskip(NEXT) | instid1(VALU_DEP_2)
	v_fma_f64 v[14:15], v[20:21], v[14:15], v[16:17]
	v_add_f64 v[3:4], v[3:4], v[10:11]
	s_delay_alu instid0(VALU_DEP_2)
	v_add_f64 v[1:2], v[1:2], v[14:15]
	s_and_not1_b32 exec_lo, exec_lo, s3
	s_cbranch_execnz .LBB62_149
; %bb.150:
	s_or_b32 exec_lo, exec_lo, s3
	v_mov_b32_e32 v7, 0
	ds_load_b128 v[7:10], v7 offset:496
	s_waitcnt lgkmcnt(0)
	v_mul_f64 v[11:12], v[1:2], v[9:10]
	v_mul_f64 v[14:15], v[3:4], v[9:10]
	s_delay_alu instid0(VALU_DEP_2) | instskip(NEXT) | instid1(VALU_DEP_2)
	v_fma_f64 v[9:10], v[3:4], v[7:8], -v[11:12]
	v_fma_f64 v[11:12], v[1:2], v[7:8], v[14:15]
	scratch_store_b128 off, v[9:12], off offset:496
.LBB62_151:
	s_or_b32 exec_lo, exec_lo, s2
	s_waitcnt_vscnt null, 0x0
	s_barrier
	buffer_gl0_inv
	scratch_load_b32 v1, off, off offset:1124 ; 4-byte Folded Reload
	s_mov_b32 s2, exec_lo
	s_waitcnt vmcnt(0)
	scratch_load_b128 v[1:4], v1, off
	s_waitcnt vmcnt(0)
	ds_store_b128 v5, v[1:4]
	s_waitcnt lgkmcnt(0)
	s_barrier
	buffer_gl0_inv
	v_cmpx_gt_u32_e32 32, v176
	s_cbranch_execz .LBB62_155
; %bb.152:
	v_dual_mov_b32 v1, 0 :: v_dual_add_nc_u32 v8, 0x3f0, v45
	v_dual_mov_b32 v2, 0 :: v_dual_add_nc_u32 v7, -1, v176
	v_or_b32_e32 v9, 8, v13
	s_mov_b32 s3, 0
	s_delay_alu instid0(VALU_DEP_2)
	v_dual_mov_b32 v4, v2 :: v_dual_mov_b32 v3, v1
	.p2align	6
.LBB62_153:                             ; =>This Inner Loop Header: Depth=1
	scratch_load_b128 v[14:17], v9, off offset:-8
	ds_load_b128 v[18:21], v8
	v_add_nc_u32_e32 v7, 1, v7
	v_add_nc_u32_e32 v8, 16, v8
	;; [unrolled: 1-line block ×3, first 2 shown]
	s_delay_alu instid0(VALU_DEP_3) | instskip(SKIP_4) | instid1(VALU_DEP_2)
	v_cmp_lt_u32_e32 vcc_lo, 30, v7
	s_or_b32 s3, vcc_lo, s3
	s_waitcnt vmcnt(0) lgkmcnt(0)
	v_mul_f64 v[10:11], v[20:21], v[16:17]
	v_mul_f64 v[16:17], v[18:19], v[16:17]
	v_fma_f64 v[10:11], v[18:19], v[14:15], -v[10:11]
	s_delay_alu instid0(VALU_DEP_2) | instskip(NEXT) | instid1(VALU_DEP_2)
	v_fma_f64 v[14:15], v[20:21], v[14:15], v[16:17]
	v_add_f64 v[3:4], v[3:4], v[10:11]
	s_delay_alu instid0(VALU_DEP_2)
	v_add_f64 v[1:2], v[1:2], v[14:15]
	s_and_not1_b32 exec_lo, exec_lo, s3
	s_cbranch_execnz .LBB62_153
; %bb.154:
	s_or_b32 exec_lo, exec_lo, s3
	v_mov_b32_e32 v7, 0
	ds_load_b128 v[7:10], v7 offset:512
	s_waitcnt lgkmcnt(0)
	v_mul_f64 v[11:12], v[1:2], v[9:10]
	v_mul_f64 v[14:15], v[3:4], v[9:10]
	s_delay_alu instid0(VALU_DEP_2) | instskip(NEXT) | instid1(VALU_DEP_2)
	v_fma_f64 v[9:10], v[3:4], v[7:8], -v[11:12]
	v_fma_f64 v[11:12], v[1:2], v[7:8], v[14:15]
	scratch_store_b128 off, v[9:12], off offset:512
.LBB62_155:
	s_or_b32 exec_lo, exec_lo, s2
	s_waitcnt_vscnt null, 0x0
	s_barrier
	buffer_gl0_inv
	scratch_load_b32 v1, off, off offset:1120 ; 4-byte Folded Reload
	s_mov_b32 s2, exec_lo
	s_waitcnt vmcnt(0)
	scratch_load_b128 v[1:4], v1, off
	s_waitcnt vmcnt(0)
	ds_store_b128 v5, v[1:4]
	s_waitcnt lgkmcnt(0)
	s_barrier
	buffer_gl0_inv
	v_cmpx_gt_u32_e32 33, v176
	s_cbranch_execz .LBB62_159
; %bb.156:
	v_dual_mov_b32 v1, 0 :: v_dual_add_nc_u32 v8, 0x3f0, v45
	v_dual_mov_b32 v2, 0 :: v_dual_add_nc_u32 v7, -1, v176
	v_or_b32_e32 v9, 8, v13
	s_mov_b32 s3, 0
	s_delay_alu instid0(VALU_DEP_2)
	v_dual_mov_b32 v4, v2 :: v_dual_mov_b32 v3, v1
	.p2align	6
.LBB62_157:                             ; =>This Inner Loop Header: Depth=1
	scratch_load_b128 v[14:17], v9, off offset:-8
	ds_load_b128 v[18:21], v8
	v_add_nc_u32_e32 v7, 1, v7
	v_add_nc_u32_e32 v8, 16, v8
	;; [unrolled: 1-line block ×3, first 2 shown]
	s_delay_alu instid0(VALU_DEP_3) | instskip(SKIP_4) | instid1(VALU_DEP_2)
	v_cmp_lt_u32_e32 vcc_lo, 31, v7
	s_or_b32 s3, vcc_lo, s3
	s_waitcnt vmcnt(0) lgkmcnt(0)
	v_mul_f64 v[10:11], v[20:21], v[16:17]
	v_mul_f64 v[16:17], v[18:19], v[16:17]
	v_fma_f64 v[10:11], v[18:19], v[14:15], -v[10:11]
	s_delay_alu instid0(VALU_DEP_2) | instskip(NEXT) | instid1(VALU_DEP_2)
	v_fma_f64 v[14:15], v[20:21], v[14:15], v[16:17]
	v_add_f64 v[3:4], v[3:4], v[10:11]
	s_delay_alu instid0(VALU_DEP_2)
	v_add_f64 v[1:2], v[1:2], v[14:15]
	s_and_not1_b32 exec_lo, exec_lo, s3
	s_cbranch_execnz .LBB62_157
; %bb.158:
	s_or_b32 exec_lo, exec_lo, s3
	v_mov_b32_e32 v7, 0
	ds_load_b128 v[7:10], v7 offset:528
	s_waitcnt lgkmcnt(0)
	v_mul_f64 v[11:12], v[1:2], v[9:10]
	v_mul_f64 v[14:15], v[3:4], v[9:10]
	s_delay_alu instid0(VALU_DEP_2) | instskip(NEXT) | instid1(VALU_DEP_2)
	v_fma_f64 v[9:10], v[3:4], v[7:8], -v[11:12]
	v_fma_f64 v[11:12], v[1:2], v[7:8], v[14:15]
	scratch_store_b128 off, v[9:12], off offset:528
.LBB62_159:
	s_or_b32 exec_lo, exec_lo, s2
	s_waitcnt_vscnt null, 0x0
	s_barrier
	buffer_gl0_inv
	scratch_load_b32 v1, off, off offset:1116 ; 4-byte Folded Reload
	s_mov_b32 s2, exec_lo
	s_waitcnt vmcnt(0)
	scratch_load_b128 v[1:4], v1, off
	s_waitcnt vmcnt(0)
	ds_store_b128 v5, v[1:4]
	s_waitcnt lgkmcnt(0)
	s_barrier
	buffer_gl0_inv
	v_cmpx_gt_u32_e32 34, v176
	s_cbranch_execz .LBB62_163
; %bb.160:
	v_dual_mov_b32 v1, 0 :: v_dual_add_nc_u32 v8, 0x3f0, v45
	v_dual_mov_b32 v2, 0 :: v_dual_add_nc_u32 v7, -1, v176
	v_or_b32_e32 v9, 8, v13
	s_mov_b32 s3, 0
	s_delay_alu instid0(VALU_DEP_2)
	v_dual_mov_b32 v4, v2 :: v_dual_mov_b32 v3, v1
	.p2align	6
.LBB62_161:                             ; =>This Inner Loop Header: Depth=1
	scratch_load_b128 v[14:17], v9, off offset:-8
	ds_load_b128 v[18:21], v8
	v_add_nc_u32_e32 v7, 1, v7
	v_add_nc_u32_e32 v8, 16, v8
	;; [unrolled: 1-line block ×3, first 2 shown]
	s_delay_alu instid0(VALU_DEP_3) | instskip(SKIP_4) | instid1(VALU_DEP_2)
	v_cmp_lt_u32_e32 vcc_lo, 32, v7
	s_or_b32 s3, vcc_lo, s3
	s_waitcnt vmcnt(0) lgkmcnt(0)
	v_mul_f64 v[10:11], v[20:21], v[16:17]
	v_mul_f64 v[16:17], v[18:19], v[16:17]
	v_fma_f64 v[10:11], v[18:19], v[14:15], -v[10:11]
	s_delay_alu instid0(VALU_DEP_2) | instskip(NEXT) | instid1(VALU_DEP_2)
	v_fma_f64 v[14:15], v[20:21], v[14:15], v[16:17]
	v_add_f64 v[3:4], v[3:4], v[10:11]
	s_delay_alu instid0(VALU_DEP_2)
	v_add_f64 v[1:2], v[1:2], v[14:15]
	s_and_not1_b32 exec_lo, exec_lo, s3
	s_cbranch_execnz .LBB62_161
; %bb.162:
	s_or_b32 exec_lo, exec_lo, s3
	v_mov_b32_e32 v7, 0
	ds_load_b128 v[7:10], v7 offset:544
	s_waitcnt lgkmcnt(0)
	v_mul_f64 v[11:12], v[1:2], v[9:10]
	v_mul_f64 v[14:15], v[3:4], v[9:10]
	s_delay_alu instid0(VALU_DEP_2) | instskip(NEXT) | instid1(VALU_DEP_2)
	v_fma_f64 v[9:10], v[3:4], v[7:8], -v[11:12]
	v_fma_f64 v[11:12], v[1:2], v[7:8], v[14:15]
	scratch_store_b128 off, v[9:12], off offset:544
.LBB62_163:
	s_or_b32 exec_lo, exec_lo, s2
	s_waitcnt_vscnt null, 0x0
	s_barrier
	buffer_gl0_inv
	scratch_load_b32 v1, off, off offset:1112 ; 4-byte Folded Reload
	s_mov_b32 s2, exec_lo
	s_waitcnt vmcnt(0)
	scratch_load_b128 v[1:4], v1, off
	s_waitcnt vmcnt(0)
	ds_store_b128 v5, v[1:4]
	s_waitcnt lgkmcnt(0)
	s_barrier
	buffer_gl0_inv
	v_cmpx_gt_u32_e32 35, v176
	s_cbranch_execz .LBB62_167
; %bb.164:
	v_dual_mov_b32 v1, 0 :: v_dual_add_nc_u32 v8, 0x3f0, v45
	v_dual_mov_b32 v2, 0 :: v_dual_add_nc_u32 v7, -1, v176
	v_or_b32_e32 v9, 8, v13
	s_mov_b32 s3, 0
	s_delay_alu instid0(VALU_DEP_2)
	v_dual_mov_b32 v4, v2 :: v_dual_mov_b32 v3, v1
	.p2align	6
.LBB62_165:                             ; =>This Inner Loop Header: Depth=1
	scratch_load_b128 v[14:17], v9, off offset:-8
	ds_load_b128 v[18:21], v8
	v_add_nc_u32_e32 v7, 1, v7
	v_add_nc_u32_e32 v8, 16, v8
	;; [unrolled: 1-line block ×3, first 2 shown]
	s_delay_alu instid0(VALU_DEP_3) | instskip(SKIP_4) | instid1(VALU_DEP_2)
	v_cmp_lt_u32_e32 vcc_lo, 33, v7
	s_or_b32 s3, vcc_lo, s3
	s_waitcnt vmcnt(0) lgkmcnt(0)
	v_mul_f64 v[10:11], v[20:21], v[16:17]
	v_mul_f64 v[16:17], v[18:19], v[16:17]
	v_fma_f64 v[10:11], v[18:19], v[14:15], -v[10:11]
	s_delay_alu instid0(VALU_DEP_2) | instskip(NEXT) | instid1(VALU_DEP_2)
	v_fma_f64 v[14:15], v[20:21], v[14:15], v[16:17]
	v_add_f64 v[3:4], v[3:4], v[10:11]
	s_delay_alu instid0(VALU_DEP_2)
	v_add_f64 v[1:2], v[1:2], v[14:15]
	s_and_not1_b32 exec_lo, exec_lo, s3
	s_cbranch_execnz .LBB62_165
; %bb.166:
	s_or_b32 exec_lo, exec_lo, s3
	v_mov_b32_e32 v7, 0
	ds_load_b128 v[7:10], v7 offset:560
	s_waitcnt lgkmcnt(0)
	v_mul_f64 v[11:12], v[1:2], v[9:10]
	v_mul_f64 v[14:15], v[3:4], v[9:10]
	s_delay_alu instid0(VALU_DEP_2) | instskip(NEXT) | instid1(VALU_DEP_2)
	v_fma_f64 v[9:10], v[3:4], v[7:8], -v[11:12]
	v_fma_f64 v[11:12], v[1:2], v[7:8], v[14:15]
	scratch_store_b128 off, v[9:12], off offset:560
.LBB62_167:
	s_or_b32 exec_lo, exec_lo, s2
	s_waitcnt_vscnt null, 0x0
	s_barrier
	buffer_gl0_inv
	scratch_load_b32 v1, off, off offset:1108 ; 4-byte Folded Reload
	s_mov_b32 s2, exec_lo
	s_waitcnt vmcnt(0)
	scratch_load_b128 v[1:4], v1, off
	s_waitcnt vmcnt(0)
	ds_store_b128 v5, v[1:4]
	s_waitcnt lgkmcnt(0)
	s_barrier
	buffer_gl0_inv
	v_cmpx_gt_u32_e32 36, v176
	s_cbranch_execz .LBB62_171
; %bb.168:
	v_dual_mov_b32 v1, 0 :: v_dual_add_nc_u32 v8, 0x3f0, v45
	v_dual_mov_b32 v2, 0 :: v_dual_add_nc_u32 v7, -1, v176
	v_or_b32_e32 v9, 8, v13
	s_mov_b32 s3, 0
	s_delay_alu instid0(VALU_DEP_2)
	v_dual_mov_b32 v4, v2 :: v_dual_mov_b32 v3, v1
	.p2align	6
.LBB62_169:                             ; =>This Inner Loop Header: Depth=1
	scratch_load_b128 v[14:17], v9, off offset:-8
	ds_load_b128 v[18:21], v8
	v_add_nc_u32_e32 v7, 1, v7
	v_add_nc_u32_e32 v8, 16, v8
	;; [unrolled: 1-line block ×3, first 2 shown]
	s_delay_alu instid0(VALU_DEP_3) | instskip(SKIP_4) | instid1(VALU_DEP_2)
	v_cmp_lt_u32_e32 vcc_lo, 34, v7
	s_or_b32 s3, vcc_lo, s3
	s_waitcnt vmcnt(0) lgkmcnt(0)
	v_mul_f64 v[10:11], v[20:21], v[16:17]
	v_mul_f64 v[16:17], v[18:19], v[16:17]
	v_fma_f64 v[10:11], v[18:19], v[14:15], -v[10:11]
	s_delay_alu instid0(VALU_DEP_2) | instskip(NEXT) | instid1(VALU_DEP_2)
	v_fma_f64 v[14:15], v[20:21], v[14:15], v[16:17]
	v_add_f64 v[3:4], v[3:4], v[10:11]
	s_delay_alu instid0(VALU_DEP_2)
	v_add_f64 v[1:2], v[1:2], v[14:15]
	s_and_not1_b32 exec_lo, exec_lo, s3
	s_cbranch_execnz .LBB62_169
; %bb.170:
	s_or_b32 exec_lo, exec_lo, s3
	v_mov_b32_e32 v7, 0
	ds_load_b128 v[7:10], v7 offset:576
	s_waitcnt lgkmcnt(0)
	v_mul_f64 v[11:12], v[1:2], v[9:10]
	v_mul_f64 v[14:15], v[3:4], v[9:10]
	s_delay_alu instid0(VALU_DEP_2) | instskip(NEXT) | instid1(VALU_DEP_2)
	v_fma_f64 v[9:10], v[3:4], v[7:8], -v[11:12]
	v_fma_f64 v[11:12], v[1:2], v[7:8], v[14:15]
	scratch_store_b128 off, v[9:12], off offset:576
.LBB62_171:
	s_or_b32 exec_lo, exec_lo, s2
	s_waitcnt_vscnt null, 0x0
	s_barrier
	buffer_gl0_inv
	scratch_load_b32 v1, off, off offset:1104 ; 4-byte Folded Reload
	s_mov_b32 s2, exec_lo
	s_waitcnt vmcnt(0)
	scratch_load_b128 v[1:4], v1, off
	s_waitcnt vmcnt(0)
	ds_store_b128 v5, v[1:4]
	s_waitcnt lgkmcnt(0)
	s_barrier
	buffer_gl0_inv
	v_cmpx_gt_u32_e32 37, v176
	s_cbranch_execz .LBB62_175
; %bb.172:
	v_dual_mov_b32 v1, 0 :: v_dual_add_nc_u32 v8, 0x3f0, v45
	v_dual_mov_b32 v2, 0 :: v_dual_add_nc_u32 v7, -1, v176
	v_or_b32_e32 v9, 8, v13
	s_mov_b32 s3, 0
	s_delay_alu instid0(VALU_DEP_2)
	v_dual_mov_b32 v4, v2 :: v_dual_mov_b32 v3, v1
	.p2align	6
.LBB62_173:                             ; =>This Inner Loop Header: Depth=1
	scratch_load_b128 v[14:17], v9, off offset:-8
	ds_load_b128 v[18:21], v8
	v_add_nc_u32_e32 v7, 1, v7
	v_add_nc_u32_e32 v8, 16, v8
	;; [unrolled: 1-line block ×3, first 2 shown]
	s_delay_alu instid0(VALU_DEP_3) | instskip(SKIP_4) | instid1(VALU_DEP_2)
	v_cmp_lt_u32_e32 vcc_lo, 35, v7
	s_or_b32 s3, vcc_lo, s3
	s_waitcnt vmcnt(0) lgkmcnt(0)
	v_mul_f64 v[10:11], v[20:21], v[16:17]
	v_mul_f64 v[16:17], v[18:19], v[16:17]
	v_fma_f64 v[10:11], v[18:19], v[14:15], -v[10:11]
	s_delay_alu instid0(VALU_DEP_2) | instskip(NEXT) | instid1(VALU_DEP_2)
	v_fma_f64 v[14:15], v[20:21], v[14:15], v[16:17]
	v_add_f64 v[3:4], v[3:4], v[10:11]
	s_delay_alu instid0(VALU_DEP_2)
	v_add_f64 v[1:2], v[1:2], v[14:15]
	s_and_not1_b32 exec_lo, exec_lo, s3
	s_cbranch_execnz .LBB62_173
; %bb.174:
	s_or_b32 exec_lo, exec_lo, s3
	v_mov_b32_e32 v7, 0
	ds_load_b128 v[7:10], v7 offset:592
	s_waitcnt lgkmcnt(0)
	v_mul_f64 v[11:12], v[1:2], v[9:10]
	v_mul_f64 v[14:15], v[3:4], v[9:10]
	s_delay_alu instid0(VALU_DEP_2) | instskip(NEXT) | instid1(VALU_DEP_2)
	v_fma_f64 v[9:10], v[3:4], v[7:8], -v[11:12]
	v_fma_f64 v[11:12], v[1:2], v[7:8], v[14:15]
	scratch_store_b128 off, v[9:12], off offset:592
.LBB62_175:
	s_or_b32 exec_lo, exec_lo, s2
	s_waitcnt_vscnt null, 0x0
	s_barrier
	buffer_gl0_inv
	scratch_load_b32 v1, off, off offset:1100 ; 4-byte Folded Reload
	s_mov_b32 s2, exec_lo
	s_waitcnt vmcnt(0)
	scratch_load_b128 v[1:4], v1, off
	s_waitcnt vmcnt(0)
	ds_store_b128 v5, v[1:4]
	s_waitcnt lgkmcnt(0)
	s_barrier
	buffer_gl0_inv
	v_cmpx_gt_u32_e32 38, v176
	s_cbranch_execz .LBB62_179
; %bb.176:
	v_dual_mov_b32 v1, 0 :: v_dual_add_nc_u32 v8, 0x3f0, v45
	v_dual_mov_b32 v2, 0 :: v_dual_add_nc_u32 v7, -1, v176
	v_or_b32_e32 v9, 8, v13
	s_mov_b32 s3, 0
	s_delay_alu instid0(VALU_DEP_2)
	v_dual_mov_b32 v4, v2 :: v_dual_mov_b32 v3, v1
	.p2align	6
.LBB62_177:                             ; =>This Inner Loop Header: Depth=1
	scratch_load_b128 v[14:17], v9, off offset:-8
	ds_load_b128 v[18:21], v8
	v_add_nc_u32_e32 v7, 1, v7
	v_add_nc_u32_e32 v8, 16, v8
	;; [unrolled: 1-line block ×3, first 2 shown]
	s_delay_alu instid0(VALU_DEP_3) | instskip(SKIP_4) | instid1(VALU_DEP_2)
	v_cmp_lt_u32_e32 vcc_lo, 36, v7
	s_or_b32 s3, vcc_lo, s3
	s_waitcnt vmcnt(0) lgkmcnt(0)
	v_mul_f64 v[10:11], v[20:21], v[16:17]
	v_mul_f64 v[16:17], v[18:19], v[16:17]
	v_fma_f64 v[10:11], v[18:19], v[14:15], -v[10:11]
	s_delay_alu instid0(VALU_DEP_2) | instskip(NEXT) | instid1(VALU_DEP_2)
	v_fma_f64 v[14:15], v[20:21], v[14:15], v[16:17]
	v_add_f64 v[3:4], v[3:4], v[10:11]
	s_delay_alu instid0(VALU_DEP_2)
	v_add_f64 v[1:2], v[1:2], v[14:15]
	s_and_not1_b32 exec_lo, exec_lo, s3
	s_cbranch_execnz .LBB62_177
; %bb.178:
	s_or_b32 exec_lo, exec_lo, s3
	v_mov_b32_e32 v7, 0
	ds_load_b128 v[7:10], v7 offset:608
	s_waitcnt lgkmcnt(0)
	v_mul_f64 v[11:12], v[1:2], v[9:10]
	v_mul_f64 v[14:15], v[3:4], v[9:10]
	s_delay_alu instid0(VALU_DEP_2) | instskip(NEXT) | instid1(VALU_DEP_2)
	v_fma_f64 v[9:10], v[3:4], v[7:8], -v[11:12]
	v_fma_f64 v[11:12], v[1:2], v[7:8], v[14:15]
	scratch_store_b128 off, v[9:12], off offset:608
.LBB62_179:
	s_or_b32 exec_lo, exec_lo, s2
	s_waitcnt_vscnt null, 0x0
	s_barrier
	buffer_gl0_inv
	scratch_load_b32 v1, off, off offset:1096 ; 4-byte Folded Reload
	s_mov_b32 s2, exec_lo
	s_waitcnt vmcnt(0)
	scratch_load_b128 v[1:4], v1, off
	s_waitcnt vmcnt(0)
	ds_store_b128 v5, v[1:4]
	s_waitcnt lgkmcnt(0)
	s_barrier
	buffer_gl0_inv
	v_cmpx_gt_u32_e32 39, v176
	s_cbranch_execz .LBB62_183
; %bb.180:
	v_dual_mov_b32 v1, 0 :: v_dual_add_nc_u32 v8, 0x3f0, v45
	v_dual_mov_b32 v2, 0 :: v_dual_add_nc_u32 v7, -1, v176
	v_or_b32_e32 v9, 8, v13
	s_mov_b32 s3, 0
	s_delay_alu instid0(VALU_DEP_2)
	v_dual_mov_b32 v4, v2 :: v_dual_mov_b32 v3, v1
	.p2align	6
.LBB62_181:                             ; =>This Inner Loop Header: Depth=1
	scratch_load_b128 v[14:17], v9, off offset:-8
	ds_load_b128 v[18:21], v8
	v_add_nc_u32_e32 v7, 1, v7
	v_add_nc_u32_e32 v8, 16, v8
	;; [unrolled: 1-line block ×3, first 2 shown]
	s_delay_alu instid0(VALU_DEP_3) | instskip(SKIP_4) | instid1(VALU_DEP_2)
	v_cmp_lt_u32_e32 vcc_lo, 37, v7
	s_or_b32 s3, vcc_lo, s3
	s_waitcnt vmcnt(0) lgkmcnt(0)
	v_mul_f64 v[10:11], v[20:21], v[16:17]
	v_mul_f64 v[16:17], v[18:19], v[16:17]
	v_fma_f64 v[10:11], v[18:19], v[14:15], -v[10:11]
	s_delay_alu instid0(VALU_DEP_2) | instskip(NEXT) | instid1(VALU_DEP_2)
	v_fma_f64 v[14:15], v[20:21], v[14:15], v[16:17]
	v_add_f64 v[3:4], v[3:4], v[10:11]
	s_delay_alu instid0(VALU_DEP_2)
	v_add_f64 v[1:2], v[1:2], v[14:15]
	s_and_not1_b32 exec_lo, exec_lo, s3
	s_cbranch_execnz .LBB62_181
; %bb.182:
	s_or_b32 exec_lo, exec_lo, s3
	v_mov_b32_e32 v7, 0
	ds_load_b128 v[7:10], v7 offset:624
	s_waitcnt lgkmcnt(0)
	v_mul_f64 v[11:12], v[1:2], v[9:10]
	v_mul_f64 v[14:15], v[3:4], v[9:10]
	s_delay_alu instid0(VALU_DEP_2) | instskip(NEXT) | instid1(VALU_DEP_2)
	v_fma_f64 v[9:10], v[3:4], v[7:8], -v[11:12]
	v_fma_f64 v[11:12], v[1:2], v[7:8], v[14:15]
	scratch_store_b128 off, v[9:12], off offset:624
.LBB62_183:
	s_or_b32 exec_lo, exec_lo, s2
	s_waitcnt_vscnt null, 0x0
	s_barrier
	buffer_gl0_inv
	scratch_load_b32 v1, off, off offset:1092 ; 4-byte Folded Reload
	s_mov_b32 s2, exec_lo
	s_waitcnt vmcnt(0)
	scratch_load_b128 v[1:4], v1, off
	s_waitcnt vmcnt(0)
	ds_store_b128 v5, v[1:4]
	s_waitcnt lgkmcnt(0)
	s_barrier
	buffer_gl0_inv
	v_cmpx_gt_u32_e32 40, v176
	s_cbranch_execz .LBB62_187
; %bb.184:
	v_dual_mov_b32 v1, 0 :: v_dual_add_nc_u32 v8, 0x3f0, v45
	v_dual_mov_b32 v2, 0 :: v_dual_add_nc_u32 v7, -1, v176
	v_or_b32_e32 v9, 8, v13
	s_mov_b32 s3, 0
	s_delay_alu instid0(VALU_DEP_2)
	v_dual_mov_b32 v4, v2 :: v_dual_mov_b32 v3, v1
	.p2align	6
.LBB62_185:                             ; =>This Inner Loop Header: Depth=1
	scratch_load_b128 v[14:17], v9, off offset:-8
	ds_load_b128 v[18:21], v8
	v_add_nc_u32_e32 v7, 1, v7
	v_add_nc_u32_e32 v8, 16, v8
	;; [unrolled: 1-line block ×3, first 2 shown]
	s_delay_alu instid0(VALU_DEP_3) | instskip(SKIP_4) | instid1(VALU_DEP_2)
	v_cmp_lt_u32_e32 vcc_lo, 38, v7
	s_or_b32 s3, vcc_lo, s3
	s_waitcnt vmcnt(0) lgkmcnt(0)
	v_mul_f64 v[10:11], v[20:21], v[16:17]
	v_mul_f64 v[16:17], v[18:19], v[16:17]
	v_fma_f64 v[10:11], v[18:19], v[14:15], -v[10:11]
	s_delay_alu instid0(VALU_DEP_2) | instskip(NEXT) | instid1(VALU_DEP_2)
	v_fma_f64 v[14:15], v[20:21], v[14:15], v[16:17]
	v_add_f64 v[3:4], v[3:4], v[10:11]
	s_delay_alu instid0(VALU_DEP_2)
	v_add_f64 v[1:2], v[1:2], v[14:15]
	s_and_not1_b32 exec_lo, exec_lo, s3
	s_cbranch_execnz .LBB62_185
; %bb.186:
	s_or_b32 exec_lo, exec_lo, s3
	v_mov_b32_e32 v7, 0
	ds_load_b128 v[7:10], v7 offset:640
	s_waitcnt lgkmcnt(0)
	v_mul_f64 v[11:12], v[1:2], v[9:10]
	v_mul_f64 v[14:15], v[3:4], v[9:10]
	s_delay_alu instid0(VALU_DEP_2) | instskip(NEXT) | instid1(VALU_DEP_2)
	v_fma_f64 v[9:10], v[3:4], v[7:8], -v[11:12]
	v_fma_f64 v[11:12], v[1:2], v[7:8], v[14:15]
	scratch_store_b128 off, v[9:12], off offset:640
.LBB62_187:
	s_or_b32 exec_lo, exec_lo, s2
	s_waitcnt_vscnt null, 0x0
	s_barrier
	buffer_gl0_inv
	scratch_load_b32 v1, off, off offset:1088 ; 4-byte Folded Reload
	s_mov_b32 s2, exec_lo
	s_waitcnt vmcnt(0)
	scratch_load_b128 v[1:4], v1, off
	s_waitcnt vmcnt(0)
	ds_store_b128 v5, v[1:4]
	s_waitcnt lgkmcnt(0)
	s_barrier
	buffer_gl0_inv
	v_cmpx_gt_u32_e32 41, v176
	s_cbranch_execz .LBB62_191
; %bb.188:
	v_dual_mov_b32 v1, 0 :: v_dual_add_nc_u32 v8, 0x3f0, v45
	v_dual_mov_b32 v2, 0 :: v_dual_add_nc_u32 v7, -1, v176
	v_or_b32_e32 v9, 8, v13
	s_mov_b32 s3, 0
	s_delay_alu instid0(VALU_DEP_2)
	v_dual_mov_b32 v4, v2 :: v_dual_mov_b32 v3, v1
	.p2align	6
.LBB62_189:                             ; =>This Inner Loop Header: Depth=1
	scratch_load_b128 v[14:17], v9, off offset:-8
	ds_load_b128 v[18:21], v8
	v_add_nc_u32_e32 v7, 1, v7
	v_add_nc_u32_e32 v8, 16, v8
	;; [unrolled: 1-line block ×3, first 2 shown]
	s_delay_alu instid0(VALU_DEP_3) | instskip(SKIP_4) | instid1(VALU_DEP_2)
	v_cmp_lt_u32_e32 vcc_lo, 39, v7
	s_or_b32 s3, vcc_lo, s3
	s_waitcnt vmcnt(0) lgkmcnt(0)
	v_mul_f64 v[10:11], v[20:21], v[16:17]
	v_mul_f64 v[16:17], v[18:19], v[16:17]
	v_fma_f64 v[10:11], v[18:19], v[14:15], -v[10:11]
	s_delay_alu instid0(VALU_DEP_2) | instskip(NEXT) | instid1(VALU_DEP_2)
	v_fma_f64 v[14:15], v[20:21], v[14:15], v[16:17]
	v_add_f64 v[3:4], v[3:4], v[10:11]
	s_delay_alu instid0(VALU_DEP_2)
	v_add_f64 v[1:2], v[1:2], v[14:15]
	s_and_not1_b32 exec_lo, exec_lo, s3
	s_cbranch_execnz .LBB62_189
; %bb.190:
	s_or_b32 exec_lo, exec_lo, s3
	v_mov_b32_e32 v7, 0
	ds_load_b128 v[7:10], v7 offset:656
	s_waitcnt lgkmcnt(0)
	v_mul_f64 v[11:12], v[1:2], v[9:10]
	v_mul_f64 v[14:15], v[3:4], v[9:10]
	s_delay_alu instid0(VALU_DEP_2) | instskip(NEXT) | instid1(VALU_DEP_2)
	v_fma_f64 v[9:10], v[3:4], v[7:8], -v[11:12]
	v_fma_f64 v[11:12], v[1:2], v[7:8], v[14:15]
	scratch_store_b128 off, v[9:12], off offset:656
.LBB62_191:
	s_or_b32 exec_lo, exec_lo, s2
	s_waitcnt_vscnt null, 0x0
	s_barrier
	buffer_gl0_inv
	scratch_load_b32 v1, off, off offset:1084 ; 4-byte Folded Reload
	s_mov_b32 s2, exec_lo
	s_waitcnt vmcnt(0)
	scratch_load_b128 v[1:4], v1, off
	s_waitcnt vmcnt(0)
	ds_store_b128 v5, v[1:4]
	s_waitcnt lgkmcnt(0)
	s_barrier
	buffer_gl0_inv
	v_cmpx_gt_u32_e32 42, v176
	s_cbranch_execz .LBB62_195
; %bb.192:
	v_dual_mov_b32 v1, 0 :: v_dual_add_nc_u32 v8, 0x3f0, v45
	v_dual_mov_b32 v2, 0 :: v_dual_add_nc_u32 v7, -1, v176
	v_or_b32_e32 v9, 8, v13
	s_mov_b32 s3, 0
	s_delay_alu instid0(VALU_DEP_2)
	v_dual_mov_b32 v4, v2 :: v_dual_mov_b32 v3, v1
	.p2align	6
.LBB62_193:                             ; =>This Inner Loop Header: Depth=1
	scratch_load_b128 v[14:17], v9, off offset:-8
	ds_load_b128 v[18:21], v8
	v_add_nc_u32_e32 v7, 1, v7
	v_add_nc_u32_e32 v8, 16, v8
	;; [unrolled: 1-line block ×3, first 2 shown]
	s_delay_alu instid0(VALU_DEP_3) | instskip(SKIP_4) | instid1(VALU_DEP_2)
	v_cmp_lt_u32_e32 vcc_lo, 40, v7
	s_or_b32 s3, vcc_lo, s3
	s_waitcnt vmcnt(0) lgkmcnt(0)
	v_mul_f64 v[10:11], v[20:21], v[16:17]
	v_mul_f64 v[16:17], v[18:19], v[16:17]
	v_fma_f64 v[10:11], v[18:19], v[14:15], -v[10:11]
	s_delay_alu instid0(VALU_DEP_2) | instskip(NEXT) | instid1(VALU_DEP_2)
	v_fma_f64 v[14:15], v[20:21], v[14:15], v[16:17]
	v_add_f64 v[3:4], v[3:4], v[10:11]
	s_delay_alu instid0(VALU_DEP_2)
	v_add_f64 v[1:2], v[1:2], v[14:15]
	s_and_not1_b32 exec_lo, exec_lo, s3
	s_cbranch_execnz .LBB62_193
; %bb.194:
	s_or_b32 exec_lo, exec_lo, s3
	v_mov_b32_e32 v7, 0
	ds_load_b128 v[7:10], v7 offset:672
	s_waitcnt lgkmcnt(0)
	v_mul_f64 v[11:12], v[1:2], v[9:10]
	v_mul_f64 v[14:15], v[3:4], v[9:10]
	s_delay_alu instid0(VALU_DEP_2) | instskip(NEXT) | instid1(VALU_DEP_2)
	v_fma_f64 v[9:10], v[3:4], v[7:8], -v[11:12]
	v_fma_f64 v[11:12], v[1:2], v[7:8], v[14:15]
	scratch_store_b128 off, v[9:12], off offset:672
.LBB62_195:
	s_or_b32 exec_lo, exec_lo, s2
	s_waitcnt_vscnt null, 0x0
	s_barrier
	buffer_gl0_inv
	scratch_load_b32 v1, off, off offset:1080 ; 4-byte Folded Reload
	s_mov_b32 s2, exec_lo
	s_waitcnt vmcnt(0)
	scratch_load_b128 v[1:4], v1, off
	s_waitcnt vmcnt(0)
	ds_store_b128 v5, v[1:4]
	s_waitcnt lgkmcnt(0)
	s_barrier
	buffer_gl0_inv
	v_cmpx_gt_u32_e32 43, v176
	s_cbranch_execz .LBB62_199
; %bb.196:
	v_dual_mov_b32 v1, 0 :: v_dual_add_nc_u32 v8, 0x3f0, v45
	v_dual_mov_b32 v2, 0 :: v_dual_add_nc_u32 v7, -1, v176
	v_or_b32_e32 v9, 8, v13
	s_mov_b32 s3, 0
	s_delay_alu instid0(VALU_DEP_2)
	v_dual_mov_b32 v4, v2 :: v_dual_mov_b32 v3, v1
	.p2align	6
.LBB62_197:                             ; =>This Inner Loop Header: Depth=1
	scratch_load_b128 v[14:17], v9, off offset:-8
	ds_load_b128 v[18:21], v8
	v_add_nc_u32_e32 v7, 1, v7
	v_add_nc_u32_e32 v8, 16, v8
	;; [unrolled: 1-line block ×3, first 2 shown]
	s_delay_alu instid0(VALU_DEP_3) | instskip(SKIP_4) | instid1(VALU_DEP_2)
	v_cmp_lt_u32_e32 vcc_lo, 41, v7
	s_or_b32 s3, vcc_lo, s3
	s_waitcnt vmcnt(0) lgkmcnt(0)
	v_mul_f64 v[10:11], v[20:21], v[16:17]
	v_mul_f64 v[16:17], v[18:19], v[16:17]
	v_fma_f64 v[10:11], v[18:19], v[14:15], -v[10:11]
	s_delay_alu instid0(VALU_DEP_2) | instskip(NEXT) | instid1(VALU_DEP_2)
	v_fma_f64 v[14:15], v[20:21], v[14:15], v[16:17]
	v_add_f64 v[3:4], v[3:4], v[10:11]
	s_delay_alu instid0(VALU_DEP_2)
	v_add_f64 v[1:2], v[1:2], v[14:15]
	s_and_not1_b32 exec_lo, exec_lo, s3
	s_cbranch_execnz .LBB62_197
; %bb.198:
	s_or_b32 exec_lo, exec_lo, s3
	v_mov_b32_e32 v7, 0
	ds_load_b128 v[7:10], v7 offset:688
	s_waitcnt lgkmcnt(0)
	v_mul_f64 v[11:12], v[1:2], v[9:10]
	v_mul_f64 v[14:15], v[3:4], v[9:10]
	s_delay_alu instid0(VALU_DEP_2) | instskip(NEXT) | instid1(VALU_DEP_2)
	v_fma_f64 v[9:10], v[3:4], v[7:8], -v[11:12]
	v_fma_f64 v[11:12], v[1:2], v[7:8], v[14:15]
	scratch_store_b128 off, v[9:12], off offset:688
.LBB62_199:
	s_or_b32 exec_lo, exec_lo, s2
	s_waitcnt_vscnt null, 0x0
	s_barrier
	buffer_gl0_inv
	scratch_load_b32 v1, off, off offset:1076 ; 4-byte Folded Reload
	s_mov_b32 s2, exec_lo
	s_waitcnt vmcnt(0)
	scratch_load_b128 v[1:4], v1, off
	s_waitcnt vmcnt(0)
	ds_store_b128 v5, v[1:4]
	s_waitcnt lgkmcnt(0)
	s_barrier
	buffer_gl0_inv
	v_cmpx_gt_u32_e32 44, v176
	s_cbranch_execz .LBB62_203
; %bb.200:
	v_dual_mov_b32 v1, 0 :: v_dual_add_nc_u32 v8, 0x3f0, v45
	v_dual_mov_b32 v2, 0 :: v_dual_add_nc_u32 v7, -1, v176
	v_or_b32_e32 v9, 8, v13
	s_mov_b32 s3, 0
	s_delay_alu instid0(VALU_DEP_2)
	v_dual_mov_b32 v4, v2 :: v_dual_mov_b32 v3, v1
	.p2align	6
.LBB62_201:                             ; =>This Inner Loop Header: Depth=1
	scratch_load_b128 v[14:17], v9, off offset:-8
	ds_load_b128 v[18:21], v8
	v_add_nc_u32_e32 v7, 1, v7
	v_add_nc_u32_e32 v8, 16, v8
	;; [unrolled: 1-line block ×3, first 2 shown]
	s_delay_alu instid0(VALU_DEP_3) | instskip(SKIP_4) | instid1(VALU_DEP_2)
	v_cmp_lt_u32_e32 vcc_lo, 42, v7
	s_or_b32 s3, vcc_lo, s3
	s_waitcnt vmcnt(0) lgkmcnt(0)
	v_mul_f64 v[10:11], v[20:21], v[16:17]
	v_mul_f64 v[16:17], v[18:19], v[16:17]
	v_fma_f64 v[10:11], v[18:19], v[14:15], -v[10:11]
	s_delay_alu instid0(VALU_DEP_2) | instskip(NEXT) | instid1(VALU_DEP_2)
	v_fma_f64 v[14:15], v[20:21], v[14:15], v[16:17]
	v_add_f64 v[3:4], v[3:4], v[10:11]
	s_delay_alu instid0(VALU_DEP_2)
	v_add_f64 v[1:2], v[1:2], v[14:15]
	s_and_not1_b32 exec_lo, exec_lo, s3
	s_cbranch_execnz .LBB62_201
; %bb.202:
	s_or_b32 exec_lo, exec_lo, s3
	v_mov_b32_e32 v7, 0
	ds_load_b128 v[7:10], v7 offset:704
	s_waitcnt lgkmcnt(0)
	v_mul_f64 v[11:12], v[1:2], v[9:10]
	v_mul_f64 v[14:15], v[3:4], v[9:10]
	s_delay_alu instid0(VALU_DEP_2) | instskip(NEXT) | instid1(VALU_DEP_2)
	v_fma_f64 v[9:10], v[3:4], v[7:8], -v[11:12]
	v_fma_f64 v[11:12], v[1:2], v[7:8], v[14:15]
	scratch_store_b128 off, v[9:12], off offset:704
.LBB62_203:
	s_or_b32 exec_lo, exec_lo, s2
	s_waitcnt_vscnt null, 0x0
	s_barrier
	buffer_gl0_inv
	scratch_load_b32 v1, off, off offset:1072 ; 4-byte Folded Reload
	s_mov_b32 s2, exec_lo
	s_waitcnt vmcnt(0)
	scratch_load_b128 v[1:4], v1, off
	s_waitcnt vmcnt(0)
	ds_store_b128 v5, v[1:4]
	s_waitcnt lgkmcnt(0)
	s_barrier
	buffer_gl0_inv
	v_cmpx_gt_u32_e32 45, v176
	s_cbranch_execz .LBB62_207
; %bb.204:
	v_dual_mov_b32 v1, 0 :: v_dual_add_nc_u32 v8, 0x3f0, v45
	v_dual_mov_b32 v2, 0 :: v_dual_add_nc_u32 v7, -1, v176
	v_or_b32_e32 v9, 8, v13
	s_mov_b32 s3, 0
	s_delay_alu instid0(VALU_DEP_2)
	v_dual_mov_b32 v4, v2 :: v_dual_mov_b32 v3, v1
	.p2align	6
.LBB62_205:                             ; =>This Inner Loop Header: Depth=1
	scratch_load_b128 v[14:17], v9, off offset:-8
	ds_load_b128 v[18:21], v8
	v_add_nc_u32_e32 v7, 1, v7
	v_add_nc_u32_e32 v8, 16, v8
	v_add_nc_u32_e32 v9, 16, v9
	s_delay_alu instid0(VALU_DEP_3) | instskip(SKIP_4) | instid1(VALU_DEP_2)
	v_cmp_lt_u32_e32 vcc_lo, 43, v7
	s_or_b32 s3, vcc_lo, s3
	s_waitcnt vmcnt(0) lgkmcnt(0)
	v_mul_f64 v[10:11], v[20:21], v[16:17]
	v_mul_f64 v[16:17], v[18:19], v[16:17]
	v_fma_f64 v[10:11], v[18:19], v[14:15], -v[10:11]
	s_delay_alu instid0(VALU_DEP_2) | instskip(NEXT) | instid1(VALU_DEP_2)
	v_fma_f64 v[14:15], v[20:21], v[14:15], v[16:17]
	v_add_f64 v[3:4], v[3:4], v[10:11]
	s_delay_alu instid0(VALU_DEP_2)
	v_add_f64 v[1:2], v[1:2], v[14:15]
	s_and_not1_b32 exec_lo, exec_lo, s3
	s_cbranch_execnz .LBB62_205
; %bb.206:
	s_or_b32 exec_lo, exec_lo, s3
	v_mov_b32_e32 v7, 0
	ds_load_b128 v[7:10], v7 offset:720
	s_waitcnt lgkmcnt(0)
	v_mul_f64 v[11:12], v[1:2], v[9:10]
	v_mul_f64 v[14:15], v[3:4], v[9:10]
	s_delay_alu instid0(VALU_DEP_2) | instskip(NEXT) | instid1(VALU_DEP_2)
	v_fma_f64 v[9:10], v[3:4], v[7:8], -v[11:12]
	v_fma_f64 v[11:12], v[1:2], v[7:8], v[14:15]
	scratch_store_b128 off, v[9:12], off offset:720
.LBB62_207:
	s_or_b32 exec_lo, exec_lo, s2
	s_waitcnt_vscnt null, 0x0
	s_barrier
	buffer_gl0_inv
	scratch_load_b32 v1, off, off offset:1068 ; 4-byte Folded Reload
	s_mov_b32 s2, exec_lo
	s_waitcnt vmcnt(0)
	scratch_load_b128 v[1:4], v1, off
	s_waitcnt vmcnt(0)
	ds_store_b128 v5, v[1:4]
	s_waitcnt lgkmcnt(0)
	s_barrier
	buffer_gl0_inv
	v_cmpx_gt_u32_e32 46, v176
	s_cbranch_execz .LBB62_211
; %bb.208:
	v_dual_mov_b32 v1, 0 :: v_dual_add_nc_u32 v8, 0x3f0, v45
	v_dual_mov_b32 v2, 0 :: v_dual_add_nc_u32 v7, -1, v176
	v_or_b32_e32 v9, 8, v13
	s_mov_b32 s3, 0
	s_delay_alu instid0(VALU_DEP_2)
	v_dual_mov_b32 v4, v2 :: v_dual_mov_b32 v3, v1
	.p2align	6
.LBB62_209:                             ; =>This Inner Loop Header: Depth=1
	scratch_load_b128 v[14:17], v9, off offset:-8
	ds_load_b128 v[18:21], v8
	v_add_nc_u32_e32 v7, 1, v7
	v_add_nc_u32_e32 v8, 16, v8
	;; [unrolled: 1-line block ×3, first 2 shown]
	s_delay_alu instid0(VALU_DEP_3) | instskip(SKIP_4) | instid1(VALU_DEP_2)
	v_cmp_lt_u32_e32 vcc_lo, 44, v7
	s_or_b32 s3, vcc_lo, s3
	s_waitcnt vmcnt(0) lgkmcnt(0)
	v_mul_f64 v[10:11], v[20:21], v[16:17]
	v_mul_f64 v[16:17], v[18:19], v[16:17]
	v_fma_f64 v[10:11], v[18:19], v[14:15], -v[10:11]
	s_delay_alu instid0(VALU_DEP_2) | instskip(NEXT) | instid1(VALU_DEP_2)
	v_fma_f64 v[14:15], v[20:21], v[14:15], v[16:17]
	v_add_f64 v[3:4], v[3:4], v[10:11]
	s_delay_alu instid0(VALU_DEP_2)
	v_add_f64 v[1:2], v[1:2], v[14:15]
	s_and_not1_b32 exec_lo, exec_lo, s3
	s_cbranch_execnz .LBB62_209
; %bb.210:
	s_or_b32 exec_lo, exec_lo, s3
	v_mov_b32_e32 v7, 0
	ds_load_b128 v[7:10], v7 offset:736
	s_waitcnt lgkmcnt(0)
	v_mul_f64 v[11:12], v[1:2], v[9:10]
	v_mul_f64 v[14:15], v[3:4], v[9:10]
	s_delay_alu instid0(VALU_DEP_2) | instskip(NEXT) | instid1(VALU_DEP_2)
	v_fma_f64 v[9:10], v[3:4], v[7:8], -v[11:12]
	v_fma_f64 v[11:12], v[1:2], v[7:8], v[14:15]
	scratch_store_b128 off, v[9:12], off offset:736
.LBB62_211:
	s_or_b32 exec_lo, exec_lo, s2
	s_waitcnt_vscnt null, 0x0
	s_barrier
	buffer_gl0_inv
	scratch_load_b32 v1, off, off offset:1064 ; 4-byte Folded Reload
	s_mov_b32 s2, exec_lo
	s_waitcnt vmcnt(0)
	scratch_load_b128 v[1:4], v1, off
	s_waitcnt vmcnt(0)
	ds_store_b128 v5, v[1:4]
	s_waitcnt lgkmcnt(0)
	s_barrier
	buffer_gl0_inv
	v_cmpx_gt_u32_e32 47, v176
	s_cbranch_execz .LBB62_215
; %bb.212:
	v_dual_mov_b32 v1, 0 :: v_dual_add_nc_u32 v8, 0x3f0, v45
	v_dual_mov_b32 v2, 0 :: v_dual_add_nc_u32 v7, -1, v176
	v_or_b32_e32 v9, 8, v13
	s_mov_b32 s3, 0
	s_delay_alu instid0(VALU_DEP_2)
	v_dual_mov_b32 v4, v2 :: v_dual_mov_b32 v3, v1
	.p2align	6
.LBB62_213:                             ; =>This Inner Loop Header: Depth=1
	scratch_load_b128 v[14:17], v9, off offset:-8
	ds_load_b128 v[18:21], v8
	v_add_nc_u32_e32 v7, 1, v7
	v_add_nc_u32_e32 v8, 16, v8
	;; [unrolled: 1-line block ×3, first 2 shown]
	s_delay_alu instid0(VALU_DEP_3) | instskip(SKIP_4) | instid1(VALU_DEP_2)
	v_cmp_lt_u32_e32 vcc_lo, 45, v7
	s_or_b32 s3, vcc_lo, s3
	s_waitcnt vmcnt(0) lgkmcnt(0)
	v_mul_f64 v[10:11], v[20:21], v[16:17]
	v_mul_f64 v[16:17], v[18:19], v[16:17]
	v_fma_f64 v[10:11], v[18:19], v[14:15], -v[10:11]
	s_delay_alu instid0(VALU_DEP_2) | instskip(NEXT) | instid1(VALU_DEP_2)
	v_fma_f64 v[14:15], v[20:21], v[14:15], v[16:17]
	v_add_f64 v[3:4], v[3:4], v[10:11]
	s_delay_alu instid0(VALU_DEP_2)
	v_add_f64 v[1:2], v[1:2], v[14:15]
	s_and_not1_b32 exec_lo, exec_lo, s3
	s_cbranch_execnz .LBB62_213
; %bb.214:
	s_or_b32 exec_lo, exec_lo, s3
	v_mov_b32_e32 v7, 0
	ds_load_b128 v[7:10], v7 offset:752
	s_waitcnt lgkmcnt(0)
	v_mul_f64 v[11:12], v[1:2], v[9:10]
	v_mul_f64 v[14:15], v[3:4], v[9:10]
	s_delay_alu instid0(VALU_DEP_2) | instskip(NEXT) | instid1(VALU_DEP_2)
	v_fma_f64 v[9:10], v[3:4], v[7:8], -v[11:12]
	v_fma_f64 v[11:12], v[1:2], v[7:8], v[14:15]
	scratch_store_b128 off, v[9:12], off offset:752
.LBB62_215:
	s_or_b32 exec_lo, exec_lo, s2
	s_waitcnt_vscnt null, 0x0
	s_barrier
	buffer_gl0_inv
	scratch_load_b32 v1, off, off offset:1060 ; 4-byte Folded Reload
	s_mov_b32 s2, exec_lo
	s_waitcnt vmcnt(0)
	scratch_load_b128 v[1:4], v1, off
	s_waitcnt vmcnt(0)
	ds_store_b128 v5, v[1:4]
	s_waitcnt lgkmcnt(0)
	s_barrier
	buffer_gl0_inv
	v_cmpx_gt_u32_e32 48, v176
	s_cbranch_execz .LBB62_219
; %bb.216:
	v_dual_mov_b32 v1, 0 :: v_dual_add_nc_u32 v8, 0x3f0, v45
	v_dual_mov_b32 v2, 0 :: v_dual_add_nc_u32 v7, -1, v176
	v_or_b32_e32 v9, 8, v13
	s_mov_b32 s3, 0
	s_delay_alu instid0(VALU_DEP_2)
	v_dual_mov_b32 v4, v2 :: v_dual_mov_b32 v3, v1
	.p2align	6
.LBB62_217:                             ; =>This Inner Loop Header: Depth=1
	scratch_load_b128 v[14:17], v9, off offset:-8
	ds_load_b128 v[18:21], v8
	v_add_nc_u32_e32 v7, 1, v7
	v_add_nc_u32_e32 v8, 16, v8
	;; [unrolled: 1-line block ×3, first 2 shown]
	s_delay_alu instid0(VALU_DEP_3) | instskip(SKIP_4) | instid1(VALU_DEP_2)
	v_cmp_lt_u32_e32 vcc_lo, 46, v7
	s_or_b32 s3, vcc_lo, s3
	s_waitcnt vmcnt(0) lgkmcnt(0)
	v_mul_f64 v[10:11], v[20:21], v[16:17]
	v_mul_f64 v[16:17], v[18:19], v[16:17]
	v_fma_f64 v[10:11], v[18:19], v[14:15], -v[10:11]
	s_delay_alu instid0(VALU_DEP_2) | instskip(NEXT) | instid1(VALU_DEP_2)
	v_fma_f64 v[14:15], v[20:21], v[14:15], v[16:17]
	v_add_f64 v[3:4], v[3:4], v[10:11]
	s_delay_alu instid0(VALU_DEP_2)
	v_add_f64 v[1:2], v[1:2], v[14:15]
	s_and_not1_b32 exec_lo, exec_lo, s3
	s_cbranch_execnz .LBB62_217
; %bb.218:
	s_or_b32 exec_lo, exec_lo, s3
	v_mov_b32_e32 v7, 0
	ds_load_b128 v[7:10], v7 offset:768
	s_waitcnt lgkmcnt(0)
	v_mul_f64 v[11:12], v[1:2], v[9:10]
	v_mul_f64 v[14:15], v[3:4], v[9:10]
	s_delay_alu instid0(VALU_DEP_2) | instskip(NEXT) | instid1(VALU_DEP_2)
	v_fma_f64 v[9:10], v[3:4], v[7:8], -v[11:12]
	v_fma_f64 v[11:12], v[1:2], v[7:8], v[14:15]
	scratch_store_b128 off, v[9:12], off offset:768
.LBB62_219:
	s_or_b32 exec_lo, exec_lo, s2
	s_waitcnt_vscnt null, 0x0
	s_barrier
	buffer_gl0_inv
	scratch_load_b32 v1, off, off offset:1056 ; 4-byte Folded Reload
	s_mov_b32 s2, exec_lo
	s_waitcnt vmcnt(0)
	scratch_load_b128 v[1:4], v1, off
	s_waitcnt vmcnt(0)
	ds_store_b128 v5, v[1:4]
	s_waitcnt lgkmcnt(0)
	s_barrier
	buffer_gl0_inv
	v_cmpx_gt_u32_e32 49, v176
	s_cbranch_execz .LBB62_223
; %bb.220:
	v_dual_mov_b32 v1, 0 :: v_dual_add_nc_u32 v8, 0x3f0, v45
	v_dual_mov_b32 v2, 0 :: v_dual_add_nc_u32 v7, -1, v176
	v_or_b32_e32 v9, 8, v13
	s_mov_b32 s3, 0
	s_delay_alu instid0(VALU_DEP_2)
	v_dual_mov_b32 v4, v2 :: v_dual_mov_b32 v3, v1
	.p2align	6
.LBB62_221:                             ; =>This Inner Loop Header: Depth=1
	scratch_load_b128 v[14:17], v9, off offset:-8
	ds_load_b128 v[18:21], v8
	v_add_nc_u32_e32 v7, 1, v7
	v_add_nc_u32_e32 v8, 16, v8
	;; [unrolled: 1-line block ×3, first 2 shown]
	s_delay_alu instid0(VALU_DEP_3) | instskip(SKIP_4) | instid1(VALU_DEP_2)
	v_cmp_lt_u32_e32 vcc_lo, 47, v7
	s_or_b32 s3, vcc_lo, s3
	s_waitcnt vmcnt(0) lgkmcnt(0)
	v_mul_f64 v[10:11], v[20:21], v[16:17]
	v_mul_f64 v[16:17], v[18:19], v[16:17]
	v_fma_f64 v[10:11], v[18:19], v[14:15], -v[10:11]
	s_delay_alu instid0(VALU_DEP_2) | instskip(NEXT) | instid1(VALU_DEP_2)
	v_fma_f64 v[14:15], v[20:21], v[14:15], v[16:17]
	v_add_f64 v[3:4], v[3:4], v[10:11]
	s_delay_alu instid0(VALU_DEP_2)
	v_add_f64 v[1:2], v[1:2], v[14:15]
	s_and_not1_b32 exec_lo, exec_lo, s3
	s_cbranch_execnz .LBB62_221
; %bb.222:
	s_or_b32 exec_lo, exec_lo, s3
	v_mov_b32_e32 v7, 0
	ds_load_b128 v[7:10], v7 offset:784
	s_waitcnt lgkmcnt(0)
	v_mul_f64 v[11:12], v[1:2], v[9:10]
	v_mul_f64 v[14:15], v[3:4], v[9:10]
	s_delay_alu instid0(VALU_DEP_2) | instskip(NEXT) | instid1(VALU_DEP_2)
	v_fma_f64 v[9:10], v[3:4], v[7:8], -v[11:12]
	v_fma_f64 v[11:12], v[1:2], v[7:8], v[14:15]
	scratch_store_b128 off, v[9:12], off offset:784
.LBB62_223:
	s_or_b32 exec_lo, exec_lo, s2
	s_waitcnt_vscnt null, 0x0
	s_barrier
	buffer_gl0_inv
	scratch_load_b32 v1, off, off offset:1052 ; 4-byte Folded Reload
	s_mov_b32 s2, exec_lo
	s_waitcnt vmcnt(0)
	scratch_load_b128 v[1:4], v1, off
	s_waitcnt vmcnt(0)
	ds_store_b128 v5, v[1:4]
	s_waitcnt lgkmcnt(0)
	s_barrier
	buffer_gl0_inv
	v_cmpx_gt_u32_e32 50, v176
	s_cbranch_execz .LBB62_227
; %bb.224:
	v_dual_mov_b32 v1, 0 :: v_dual_add_nc_u32 v8, 0x3f0, v45
	v_dual_mov_b32 v2, 0 :: v_dual_add_nc_u32 v7, -1, v176
	v_or_b32_e32 v9, 8, v13
	s_mov_b32 s3, 0
	s_delay_alu instid0(VALU_DEP_2)
	v_dual_mov_b32 v4, v2 :: v_dual_mov_b32 v3, v1
	.p2align	6
.LBB62_225:                             ; =>This Inner Loop Header: Depth=1
	scratch_load_b128 v[14:17], v9, off offset:-8
	ds_load_b128 v[18:21], v8
	v_add_nc_u32_e32 v7, 1, v7
	v_add_nc_u32_e32 v8, 16, v8
	v_add_nc_u32_e32 v9, 16, v9
	s_delay_alu instid0(VALU_DEP_3) | instskip(SKIP_4) | instid1(VALU_DEP_2)
	v_cmp_lt_u32_e32 vcc_lo, 48, v7
	s_or_b32 s3, vcc_lo, s3
	s_waitcnt vmcnt(0) lgkmcnt(0)
	v_mul_f64 v[10:11], v[20:21], v[16:17]
	v_mul_f64 v[16:17], v[18:19], v[16:17]
	v_fma_f64 v[10:11], v[18:19], v[14:15], -v[10:11]
	s_delay_alu instid0(VALU_DEP_2) | instskip(NEXT) | instid1(VALU_DEP_2)
	v_fma_f64 v[14:15], v[20:21], v[14:15], v[16:17]
	v_add_f64 v[3:4], v[3:4], v[10:11]
	s_delay_alu instid0(VALU_DEP_2)
	v_add_f64 v[1:2], v[1:2], v[14:15]
	s_and_not1_b32 exec_lo, exec_lo, s3
	s_cbranch_execnz .LBB62_225
; %bb.226:
	s_or_b32 exec_lo, exec_lo, s3
	v_mov_b32_e32 v7, 0
	ds_load_b128 v[7:10], v7 offset:800
	s_waitcnt lgkmcnt(0)
	v_mul_f64 v[11:12], v[1:2], v[9:10]
	v_mul_f64 v[14:15], v[3:4], v[9:10]
	s_delay_alu instid0(VALU_DEP_2) | instskip(NEXT) | instid1(VALU_DEP_2)
	v_fma_f64 v[9:10], v[3:4], v[7:8], -v[11:12]
	v_fma_f64 v[11:12], v[1:2], v[7:8], v[14:15]
	scratch_store_b128 off, v[9:12], off offset:800
.LBB62_227:
	s_or_b32 exec_lo, exec_lo, s2
	s_waitcnt_vscnt null, 0x0
	s_barrier
	buffer_gl0_inv
	scratch_load_b32 v1, off, off offset:1048 ; 4-byte Folded Reload
	s_mov_b32 s2, exec_lo
	s_waitcnt vmcnt(0)
	scratch_load_b128 v[1:4], v1, off
	s_waitcnt vmcnt(0)
	ds_store_b128 v5, v[1:4]
	s_waitcnt lgkmcnt(0)
	s_barrier
	buffer_gl0_inv
	v_cmpx_gt_u32_e32 51, v176
	s_cbranch_execz .LBB62_231
; %bb.228:
	v_dual_mov_b32 v1, 0 :: v_dual_add_nc_u32 v8, 0x3f0, v45
	v_dual_mov_b32 v2, 0 :: v_dual_add_nc_u32 v7, -1, v176
	v_or_b32_e32 v9, 8, v13
	s_mov_b32 s3, 0
	s_delay_alu instid0(VALU_DEP_2)
	v_dual_mov_b32 v4, v2 :: v_dual_mov_b32 v3, v1
	.p2align	6
.LBB62_229:                             ; =>This Inner Loop Header: Depth=1
	scratch_load_b128 v[14:17], v9, off offset:-8
	ds_load_b128 v[18:21], v8
	v_add_nc_u32_e32 v7, 1, v7
	v_add_nc_u32_e32 v8, 16, v8
	;; [unrolled: 1-line block ×3, first 2 shown]
	s_delay_alu instid0(VALU_DEP_3) | instskip(SKIP_4) | instid1(VALU_DEP_2)
	v_cmp_lt_u32_e32 vcc_lo, 49, v7
	s_or_b32 s3, vcc_lo, s3
	s_waitcnt vmcnt(0) lgkmcnt(0)
	v_mul_f64 v[10:11], v[20:21], v[16:17]
	v_mul_f64 v[16:17], v[18:19], v[16:17]
	v_fma_f64 v[10:11], v[18:19], v[14:15], -v[10:11]
	s_delay_alu instid0(VALU_DEP_2) | instskip(NEXT) | instid1(VALU_DEP_2)
	v_fma_f64 v[14:15], v[20:21], v[14:15], v[16:17]
	v_add_f64 v[3:4], v[3:4], v[10:11]
	s_delay_alu instid0(VALU_DEP_2)
	v_add_f64 v[1:2], v[1:2], v[14:15]
	s_and_not1_b32 exec_lo, exec_lo, s3
	s_cbranch_execnz .LBB62_229
; %bb.230:
	s_or_b32 exec_lo, exec_lo, s3
	v_mov_b32_e32 v7, 0
	ds_load_b128 v[7:10], v7 offset:816
	s_waitcnt lgkmcnt(0)
	v_mul_f64 v[11:12], v[1:2], v[9:10]
	v_mul_f64 v[14:15], v[3:4], v[9:10]
	s_delay_alu instid0(VALU_DEP_2) | instskip(NEXT) | instid1(VALU_DEP_2)
	v_fma_f64 v[9:10], v[3:4], v[7:8], -v[11:12]
	v_fma_f64 v[11:12], v[1:2], v[7:8], v[14:15]
	scratch_store_b128 off, v[9:12], off offset:816
.LBB62_231:
	s_or_b32 exec_lo, exec_lo, s2
	s_waitcnt_vscnt null, 0x0
	s_barrier
	buffer_gl0_inv
	scratch_load_b32 v1, off, off offset:1044 ; 4-byte Folded Reload
	s_mov_b32 s2, exec_lo
	s_waitcnt vmcnt(0)
	scratch_load_b128 v[1:4], v1, off
	s_waitcnt vmcnt(0)
	ds_store_b128 v5, v[1:4]
	s_waitcnt lgkmcnt(0)
	s_barrier
	buffer_gl0_inv
	v_cmpx_gt_u32_e32 52, v176
	s_cbranch_execz .LBB62_235
; %bb.232:
	v_dual_mov_b32 v1, 0 :: v_dual_add_nc_u32 v8, 0x3f0, v45
	v_dual_mov_b32 v2, 0 :: v_dual_add_nc_u32 v7, -1, v176
	v_or_b32_e32 v9, 8, v13
	s_mov_b32 s3, 0
	s_delay_alu instid0(VALU_DEP_2)
	v_dual_mov_b32 v4, v2 :: v_dual_mov_b32 v3, v1
	.p2align	6
.LBB62_233:                             ; =>This Inner Loop Header: Depth=1
	scratch_load_b128 v[14:17], v9, off offset:-8
	ds_load_b128 v[18:21], v8
	v_add_nc_u32_e32 v7, 1, v7
	v_add_nc_u32_e32 v8, 16, v8
	;; [unrolled: 1-line block ×3, first 2 shown]
	s_delay_alu instid0(VALU_DEP_3) | instskip(SKIP_4) | instid1(VALU_DEP_2)
	v_cmp_lt_u32_e32 vcc_lo, 50, v7
	s_or_b32 s3, vcc_lo, s3
	s_waitcnt vmcnt(0) lgkmcnt(0)
	v_mul_f64 v[10:11], v[20:21], v[16:17]
	v_mul_f64 v[16:17], v[18:19], v[16:17]
	v_fma_f64 v[10:11], v[18:19], v[14:15], -v[10:11]
	s_delay_alu instid0(VALU_DEP_2) | instskip(NEXT) | instid1(VALU_DEP_2)
	v_fma_f64 v[14:15], v[20:21], v[14:15], v[16:17]
	v_add_f64 v[3:4], v[3:4], v[10:11]
	s_delay_alu instid0(VALU_DEP_2)
	v_add_f64 v[1:2], v[1:2], v[14:15]
	s_and_not1_b32 exec_lo, exec_lo, s3
	s_cbranch_execnz .LBB62_233
; %bb.234:
	s_or_b32 exec_lo, exec_lo, s3
	v_mov_b32_e32 v7, 0
	ds_load_b128 v[7:10], v7 offset:832
	s_waitcnt lgkmcnt(0)
	v_mul_f64 v[11:12], v[1:2], v[9:10]
	v_mul_f64 v[14:15], v[3:4], v[9:10]
	s_delay_alu instid0(VALU_DEP_2) | instskip(NEXT) | instid1(VALU_DEP_2)
	v_fma_f64 v[9:10], v[3:4], v[7:8], -v[11:12]
	v_fma_f64 v[11:12], v[1:2], v[7:8], v[14:15]
	scratch_store_b128 off, v[9:12], off offset:832
.LBB62_235:
	s_or_b32 exec_lo, exec_lo, s2
	s_waitcnt_vscnt null, 0x0
	s_barrier
	buffer_gl0_inv
	scratch_load_b32 v1, off, off offset:1040 ; 4-byte Folded Reload
	s_mov_b32 s2, exec_lo
	s_waitcnt vmcnt(0)
	scratch_load_b128 v[1:4], v1, off
	s_waitcnt vmcnt(0)
	ds_store_b128 v5, v[1:4]
	s_waitcnt lgkmcnt(0)
	s_barrier
	buffer_gl0_inv
	v_cmpx_gt_u32_e32 53, v176
	s_cbranch_execz .LBB62_239
; %bb.236:
	v_dual_mov_b32 v1, 0 :: v_dual_add_nc_u32 v8, 0x3f0, v45
	v_dual_mov_b32 v2, 0 :: v_dual_add_nc_u32 v7, -1, v176
	v_or_b32_e32 v9, 8, v13
	s_mov_b32 s3, 0
	s_delay_alu instid0(VALU_DEP_2)
	v_dual_mov_b32 v4, v2 :: v_dual_mov_b32 v3, v1
	.p2align	6
.LBB62_237:                             ; =>This Inner Loop Header: Depth=1
	scratch_load_b128 v[14:17], v9, off offset:-8
	ds_load_b128 v[18:21], v8
	v_add_nc_u32_e32 v7, 1, v7
	v_add_nc_u32_e32 v8, 16, v8
	;; [unrolled: 1-line block ×3, first 2 shown]
	s_delay_alu instid0(VALU_DEP_3) | instskip(SKIP_4) | instid1(VALU_DEP_2)
	v_cmp_lt_u32_e32 vcc_lo, 51, v7
	s_or_b32 s3, vcc_lo, s3
	s_waitcnt vmcnt(0) lgkmcnt(0)
	v_mul_f64 v[10:11], v[20:21], v[16:17]
	v_mul_f64 v[16:17], v[18:19], v[16:17]
	v_fma_f64 v[10:11], v[18:19], v[14:15], -v[10:11]
	s_delay_alu instid0(VALU_DEP_2) | instskip(NEXT) | instid1(VALU_DEP_2)
	v_fma_f64 v[14:15], v[20:21], v[14:15], v[16:17]
	v_add_f64 v[3:4], v[3:4], v[10:11]
	s_delay_alu instid0(VALU_DEP_2)
	v_add_f64 v[1:2], v[1:2], v[14:15]
	s_and_not1_b32 exec_lo, exec_lo, s3
	s_cbranch_execnz .LBB62_237
; %bb.238:
	s_or_b32 exec_lo, exec_lo, s3
	v_mov_b32_e32 v7, 0
	ds_load_b128 v[7:10], v7 offset:848
	s_waitcnt lgkmcnt(0)
	v_mul_f64 v[11:12], v[1:2], v[9:10]
	v_mul_f64 v[14:15], v[3:4], v[9:10]
	s_delay_alu instid0(VALU_DEP_2) | instskip(NEXT) | instid1(VALU_DEP_2)
	v_fma_f64 v[9:10], v[3:4], v[7:8], -v[11:12]
	v_fma_f64 v[11:12], v[1:2], v[7:8], v[14:15]
	scratch_store_b128 off, v[9:12], off offset:848
.LBB62_239:
	s_or_b32 exec_lo, exec_lo, s2
	s_waitcnt_vscnt null, 0x0
	s_barrier
	buffer_gl0_inv
	scratch_load_b32 v1, off, off offset:1036 ; 4-byte Folded Reload
	s_mov_b32 s2, exec_lo
	s_waitcnt vmcnt(0)
	scratch_load_b128 v[1:4], v1, off
	s_waitcnt vmcnt(0)
	ds_store_b128 v5, v[1:4]
	s_waitcnt lgkmcnt(0)
	s_barrier
	buffer_gl0_inv
	v_cmpx_gt_u32_e32 54, v176
	s_cbranch_execz .LBB62_243
; %bb.240:
	v_dual_mov_b32 v1, 0 :: v_dual_add_nc_u32 v8, 0x3f0, v45
	v_dual_mov_b32 v2, 0 :: v_dual_add_nc_u32 v7, -1, v176
	v_or_b32_e32 v9, 8, v13
	s_mov_b32 s3, 0
	s_delay_alu instid0(VALU_DEP_2)
	v_dual_mov_b32 v4, v2 :: v_dual_mov_b32 v3, v1
	.p2align	6
.LBB62_241:                             ; =>This Inner Loop Header: Depth=1
	scratch_load_b128 v[14:17], v9, off offset:-8
	ds_load_b128 v[18:21], v8
	v_add_nc_u32_e32 v7, 1, v7
	v_add_nc_u32_e32 v8, 16, v8
	;; [unrolled: 1-line block ×3, first 2 shown]
	s_delay_alu instid0(VALU_DEP_3) | instskip(SKIP_4) | instid1(VALU_DEP_2)
	v_cmp_lt_u32_e32 vcc_lo, 52, v7
	s_or_b32 s3, vcc_lo, s3
	s_waitcnt vmcnt(0) lgkmcnt(0)
	v_mul_f64 v[10:11], v[20:21], v[16:17]
	v_mul_f64 v[16:17], v[18:19], v[16:17]
	v_fma_f64 v[10:11], v[18:19], v[14:15], -v[10:11]
	s_delay_alu instid0(VALU_DEP_2) | instskip(NEXT) | instid1(VALU_DEP_2)
	v_fma_f64 v[14:15], v[20:21], v[14:15], v[16:17]
	v_add_f64 v[3:4], v[3:4], v[10:11]
	s_delay_alu instid0(VALU_DEP_2)
	v_add_f64 v[1:2], v[1:2], v[14:15]
	s_and_not1_b32 exec_lo, exec_lo, s3
	s_cbranch_execnz .LBB62_241
; %bb.242:
	s_or_b32 exec_lo, exec_lo, s3
	v_mov_b32_e32 v7, 0
	ds_load_b128 v[7:10], v7 offset:864
	s_waitcnt lgkmcnt(0)
	v_mul_f64 v[11:12], v[1:2], v[9:10]
	v_mul_f64 v[14:15], v[3:4], v[9:10]
	s_delay_alu instid0(VALU_DEP_2) | instskip(NEXT) | instid1(VALU_DEP_2)
	v_fma_f64 v[9:10], v[3:4], v[7:8], -v[11:12]
	v_fma_f64 v[11:12], v[1:2], v[7:8], v[14:15]
	scratch_store_b128 off, v[9:12], off offset:864
.LBB62_243:
	s_or_b32 exec_lo, exec_lo, s2
	s_waitcnt_vscnt null, 0x0
	s_barrier
	buffer_gl0_inv
	scratch_load_b32 v1, off, off offset:1032 ; 4-byte Folded Reload
	s_mov_b32 s2, exec_lo
	s_waitcnt vmcnt(0)
	scratch_load_b128 v[1:4], v1, off
	s_waitcnt vmcnt(0)
	ds_store_b128 v5, v[1:4]
	s_waitcnt lgkmcnt(0)
	s_barrier
	buffer_gl0_inv
	v_cmpx_gt_u32_e32 55, v176
	s_cbranch_execz .LBB62_247
; %bb.244:
	v_dual_mov_b32 v1, 0 :: v_dual_add_nc_u32 v8, 0x3f0, v45
	v_dual_mov_b32 v2, 0 :: v_dual_add_nc_u32 v7, -1, v176
	v_or_b32_e32 v9, 8, v13
	s_mov_b32 s3, 0
	s_delay_alu instid0(VALU_DEP_2)
	v_dual_mov_b32 v4, v2 :: v_dual_mov_b32 v3, v1
	.p2align	6
.LBB62_245:                             ; =>This Inner Loop Header: Depth=1
	scratch_load_b128 v[14:17], v9, off offset:-8
	ds_load_b128 v[18:21], v8
	v_add_nc_u32_e32 v7, 1, v7
	v_add_nc_u32_e32 v8, 16, v8
	;; [unrolled: 1-line block ×3, first 2 shown]
	s_delay_alu instid0(VALU_DEP_3) | instskip(SKIP_4) | instid1(VALU_DEP_2)
	v_cmp_lt_u32_e32 vcc_lo, 53, v7
	s_or_b32 s3, vcc_lo, s3
	s_waitcnt vmcnt(0) lgkmcnt(0)
	v_mul_f64 v[10:11], v[20:21], v[16:17]
	v_mul_f64 v[16:17], v[18:19], v[16:17]
	v_fma_f64 v[10:11], v[18:19], v[14:15], -v[10:11]
	s_delay_alu instid0(VALU_DEP_2) | instskip(NEXT) | instid1(VALU_DEP_2)
	v_fma_f64 v[14:15], v[20:21], v[14:15], v[16:17]
	v_add_f64 v[3:4], v[3:4], v[10:11]
	s_delay_alu instid0(VALU_DEP_2)
	v_add_f64 v[1:2], v[1:2], v[14:15]
	s_and_not1_b32 exec_lo, exec_lo, s3
	s_cbranch_execnz .LBB62_245
; %bb.246:
	s_or_b32 exec_lo, exec_lo, s3
	v_mov_b32_e32 v7, 0
	ds_load_b128 v[7:10], v7 offset:880
	s_waitcnt lgkmcnt(0)
	v_mul_f64 v[11:12], v[1:2], v[9:10]
	v_mul_f64 v[14:15], v[3:4], v[9:10]
	s_delay_alu instid0(VALU_DEP_2) | instskip(NEXT) | instid1(VALU_DEP_2)
	v_fma_f64 v[9:10], v[3:4], v[7:8], -v[11:12]
	v_fma_f64 v[11:12], v[1:2], v[7:8], v[14:15]
	scratch_store_b128 off, v[9:12], off offset:880
.LBB62_247:
	s_or_b32 exec_lo, exec_lo, s2
	s_waitcnt_vscnt null, 0x0
	s_barrier
	buffer_gl0_inv
	scratch_load_b32 v1, off, off offset:1028 ; 4-byte Folded Reload
	s_mov_b32 s2, exec_lo
	s_waitcnt vmcnt(0)
	scratch_load_b128 v[1:4], v1, off
	s_waitcnt vmcnt(0)
	ds_store_b128 v5, v[1:4]
	s_waitcnt lgkmcnt(0)
	s_barrier
	buffer_gl0_inv
	v_cmpx_gt_u32_e32 56, v176
	s_cbranch_execz .LBB62_251
; %bb.248:
	v_dual_mov_b32 v1, 0 :: v_dual_add_nc_u32 v8, 0x3f0, v45
	v_dual_mov_b32 v2, 0 :: v_dual_add_nc_u32 v7, -1, v176
	v_or_b32_e32 v9, 8, v13
	s_mov_b32 s3, 0
	s_delay_alu instid0(VALU_DEP_2)
	v_dual_mov_b32 v4, v2 :: v_dual_mov_b32 v3, v1
	.p2align	6
.LBB62_249:                             ; =>This Inner Loop Header: Depth=1
	scratch_load_b128 v[14:17], v9, off offset:-8
	ds_load_b128 v[18:21], v8
	v_add_nc_u32_e32 v7, 1, v7
	v_add_nc_u32_e32 v8, 16, v8
	;; [unrolled: 1-line block ×3, first 2 shown]
	s_delay_alu instid0(VALU_DEP_3) | instskip(SKIP_4) | instid1(VALU_DEP_2)
	v_cmp_lt_u32_e32 vcc_lo, 54, v7
	s_or_b32 s3, vcc_lo, s3
	s_waitcnt vmcnt(0) lgkmcnt(0)
	v_mul_f64 v[10:11], v[20:21], v[16:17]
	v_mul_f64 v[16:17], v[18:19], v[16:17]
	v_fma_f64 v[10:11], v[18:19], v[14:15], -v[10:11]
	s_delay_alu instid0(VALU_DEP_2) | instskip(NEXT) | instid1(VALU_DEP_2)
	v_fma_f64 v[14:15], v[20:21], v[14:15], v[16:17]
	v_add_f64 v[3:4], v[3:4], v[10:11]
	s_delay_alu instid0(VALU_DEP_2)
	v_add_f64 v[1:2], v[1:2], v[14:15]
	s_and_not1_b32 exec_lo, exec_lo, s3
	s_cbranch_execnz .LBB62_249
; %bb.250:
	s_or_b32 exec_lo, exec_lo, s3
	v_mov_b32_e32 v7, 0
	ds_load_b128 v[7:10], v7 offset:896
	s_waitcnt lgkmcnt(0)
	v_mul_f64 v[11:12], v[1:2], v[9:10]
	v_mul_f64 v[14:15], v[3:4], v[9:10]
	s_delay_alu instid0(VALU_DEP_2) | instskip(NEXT) | instid1(VALU_DEP_2)
	v_fma_f64 v[9:10], v[3:4], v[7:8], -v[11:12]
	v_fma_f64 v[11:12], v[1:2], v[7:8], v[14:15]
	scratch_store_b128 off, v[9:12], off offset:896
.LBB62_251:
	s_or_b32 exec_lo, exec_lo, s2
	s_waitcnt_vscnt null, 0x0
	s_barrier
	buffer_gl0_inv
	scratch_load_b32 v1, off, off offset:1024 ; 4-byte Folded Reload
	s_mov_b32 s2, exec_lo
	s_waitcnt vmcnt(0)
	scratch_load_b128 v[1:4], v1, off
	s_waitcnt vmcnt(0)
	ds_store_b128 v5, v[1:4]
	s_waitcnt lgkmcnt(0)
	s_barrier
	buffer_gl0_inv
	v_cmpx_gt_u32_e32 57, v176
	s_cbranch_execz .LBB62_255
; %bb.252:
	v_dual_mov_b32 v1, 0 :: v_dual_add_nc_u32 v8, 0x3f0, v45
	v_dual_mov_b32 v2, 0 :: v_dual_add_nc_u32 v7, -1, v176
	v_or_b32_e32 v9, 8, v13
	s_mov_b32 s3, 0
	s_delay_alu instid0(VALU_DEP_2)
	v_dual_mov_b32 v4, v2 :: v_dual_mov_b32 v3, v1
	.p2align	6
.LBB62_253:                             ; =>This Inner Loop Header: Depth=1
	scratch_load_b128 v[14:17], v9, off offset:-8
	ds_load_b128 v[18:21], v8
	v_add_nc_u32_e32 v7, 1, v7
	v_add_nc_u32_e32 v8, 16, v8
	v_add_nc_u32_e32 v9, 16, v9
	s_delay_alu instid0(VALU_DEP_3) | instskip(SKIP_4) | instid1(VALU_DEP_2)
	v_cmp_lt_u32_e32 vcc_lo, 55, v7
	s_or_b32 s3, vcc_lo, s3
	s_waitcnt vmcnt(0) lgkmcnt(0)
	v_mul_f64 v[10:11], v[20:21], v[16:17]
	v_mul_f64 v[16:17], v[18:19], v[16:17]
	v_fma_f64 v[10:11], v[18:19], v[14:15], -v[10:11]
	s_delay_alu instid0(VALU_DEP_2) | instskip(NEXT) | instid1(VALU_DEP_2)
	v_fma_f64 v[14:15], v[20:21], v[14:15], v[16:17]
	v_add_f64 v[3:4], v[3:4], v[10:11]
	s_delay_alu instid0(VALU_DEP_2)
	v_add_f64 v[1:2], v[1:2], v[14:15]
	s_and_not1_b32 exec_lo, exec_lo, s3
	s_cbranch_execnz .LBB62_253
; %bb.254:
	s_or_b32 exec_lo, exec_lo, s3
	v_mov_b32_e32 v7, 0
	ds_load_b128 v[7:10], v7 offset:912
	s_waitcnt lgkmcnt(0)
	v_mul_f64 v[11:12], v[1:2], v[9:10]
	v_mul_f64 v[14:15], v[3:4], v[9:10]
	s_delay_alu instid0(VALU_DEP_2) | instskip(NEXT) | instid1(VALU_DEP_2)
	v_fma_f64 v[9:10], v[3:4], v[7:8], -v[11:12]
	v_fma_f64 v[11:12], v[1:2], v[7:8], v[14:15]
	scratch_store_b128 off, v[9:12], off offset:912
.LBB62_255:
	s_or_b32 exec_lo, exec_lo, s2
	s_waitcnt_vscnt null, 0x0
	s_barrier
	buffer_gl0_inv
	scratch_load_b32 v1, off, off offset:1020 ; 4-byte Folded Reload
	s_mov_b32 s2, exec_lo
	s_waitcnt vmcnt(0)
	scratch_load_b128 v[1:4], v1, off
	s_waitcnt vmcnt(0)
	ds_store_b128 v5, v[1:4]
	s_waitcnt lgkmcnt(0)
	s_barrier
	buffer_gl0_inv
	v_cmpx_gt_u32_e32 58, v176
	s_cbranch_execz .LBB62_259
; %bb.256:
	v_dual_mov_b32 v1, 0 :: v_dual_add_nc_u32 v8, 0x3f0, v45
	v_dual_mov_b32 v2, 0 :: v_dual_add_nc_u32 v7, -1, v176
	v_or_b32_e32 v9, 8, v13
	s_mov_b32 s3, 0
	s_delay_alu instid0(VALU_DEP_2)
	v_dual_mov_b32 v4, v2 :: v_dual_mov_b32 v3, v1
	.p2align	6
.LBB62_257:                             ; =>This Inner Loop Header: Depth=1
	scratch_load_b128 v[14:17], v9, off offset:-8
	ds_load_b128 v[18:21], v8
	v_add_nc_u32_e32 v7, 1, v7
	v_add_nc_u32_e32 v8, 16, v8
	;; [unrolled: 1-line block ×3, first 2 shown]
	s_delay_alu instid0(VALU_DEP_3) | instskip(SKIP_4) | instid1(VALU_DEP_2)
	v_cmp_lt_u32_e32 vcc_lo, 56, v7
	s_or_b32 s3, vcc_lo, s3
	s_waitcnt vmcnt(0) lgkmcnt(0)
	v_mul_f64 v[10:11], v[20:21], v[16:17]
	v_mul_f64 v[16:17], v[18:19], v[16:17]
	v_fma_f64 v[10:11], v[18:19], v[14:15], -v[10:11]
	s_delay_alu instid0(VALU_DEP_2) | instskip(NEXT) | instid1(VALU_DEP_2)
	v_fma_f64 v[14:15], v[20:21], v[14:15], v[16:17]
	v_add_f64 v[3:4], v[3:4], v[10:11]
	s_delay_alu instid0(VALU_DEP_2)
	v_add_f64 v[1:2], v[1:2], v[14:15]
	s_and_not1_b32 exec_lo, exec_lo, s3
	s_cbranch_execnz .LBB62_257
; %bb.258:
	s_or_b32 exec_lo, exec_lo, s3
	v_mov_b32_e32 v7, 0
	ds_load_b128 v[7:10], v7 offset:928
	s_waitcnt lgkmcnt(0)
	v_mul_f64 v[11:12], v[1:2], v[9:10]
	v_mul_f64 v[14:15], v[3:4], v[9:10]
	s_delay_alu instid0(VALU_DEP_2) | instskip(NEXT) | instid1(VALU_DEP_2)
	v_fma_f64 v[9:10], v[3:4], v[7:8], -v[11:12]
	v_fma_f64 v[11:12], v[1:2], v[7:8], v[14:15]
	scratch_store_b128 off, v[9:12], off offset:928
.LBB62_259:
	s_or_b32 exec_lo, exec_lo, s2
	s_waitcnt_vscnt null, 0x0
	s_barrier
	buffer_gl0_inv
	scratch_load_b32 v1, off, off offset:1016 ; 4-byte Folded Reload
	s_mov_b32 s2, exec_lo
	s_waitcnt vmcnt(0)
	scratch_load_b128 v[1:4], v1, off
	s_waitcnt vmcnt(0)
	ds_store_b128 v5, v[1:4]
	s_waitcnt lgkmcnt(0)
	s_barrier
	buffer_gl0_inv
	v_cmpx_gt_u32_e32 59, v176
	s_cbranch_execz .LBB62_263
; %bb.260:
	v_dual_mov_b32 v1, 0 :: v_dual_add_nc_u32 v8, 0x3f0, v45
	v_dual_mov_b32 v2, 0 :: v_dual_add_nc_u32 v7, -1, v176
	v_or_b32_e32 v9, 8, v13
	s_mov_b32 s3, 0
	s_delay_alu instid0(VALU_DEP_2)
	v_dual_mov_b32 v4, v2 :: v_dual_mov_b32 v3, v1
	.p2align	6
.LBB62_261:                             ; =>This Inner Loop Header: Depth=1
	scratch_load_b128 v[14:17], v9, off offset:-8
	ds_load_b128 v[18:21], v8
	v_add_nc_u32_e32 v7, 1, v7
	v_add_nc_u32_e32 v8, 16, v8
	;; [unrolled: 1-line block ×3, first 2 shown]
	s_delay_alu instid0(VALU_DEP_3) | instskip(SKIP_4) | instid1(VALU_DEP_2)
	v_cmp_lt_u32_e32 vcc_lo, 57, v7
	s_or_b32 s3, vcc_lo, s3
	s_waitcnt vmcnt(0) lgkmcnt(0)
	v_mul_f64 v[10:11], v[20:21], v[16:17]
	v_mul_f64 v[16:17], v[18:19], v[16:17]
	v_fma_f64 v[10:11], v[18:19], v[14:15], -v[10:11]
	s_delay_alu instid0(VALU_DEP_2) | instskip(NEXT) | instid1(VALU_DEP_2)
	v_fma_f64 v[14:15], v[20:21], v[14:15], v[16:17]
	v_add_f64 v[3:4], v[3:4], v[10:11]
	s_delay_alu instid0(VALU_DEP_2)
	v_add_f64 v[1:2], v[1:2], v[14:15]
	s_and_not1_b32 exec_lo, exec_lo, s3
	s_cbranch_execnz .LBB62_261
; %bb.262:
	s_or_b32 exec_lo, exec_lo, s3
	v_mov_b32_e32 v7, 0
	ds_load_b128 v[7:10], v7 offset:944
	s_waitcnt lgkmcnt(0)
	v_mul_f64 v[11:12], v[1:2], v[9:10]
	v_mul_f64 v[14:15], v[3:4], v[9:10]
	s_delay_alu instid0(VALU_DEP_2) | instskip(NEXT) | instid1(VALU_DEP_2)
	v_fma_f64 v[9:10], v[3:4], v[7:8], -v[11:12]
	v_fma_f64 v[11:12], v[1:2], v[7:8], v[14:15]
	scratch_store_b128 off, v[9:12], off offset:944
.LBB62_263:
	s_or_b32 exec_lo, exec_lo, s2
	s_waitcnt_vscnt null, 0x0
	s_barrier
	buffer_gl0_inv
	scratch_load_b32 v1, off, off offset:1012 ; 4-byte Folded Reload
	s_mov_b32 s2, exec_lo
	s_waitcnt vmcnt(0)
	scratch_load_b128 v[1:4], v1, off
	s_waitcnt vmcnt(0)
	ds_store_b128 v5, v[1:4]
	s_waitcnt lgkmcnt(0)
	s_barrier
	buffer_gl0_inv
	v_cmpx_gt_u32_e32 60, v176
	s_cbranch_execz .LBB62_267
; %bb.264:
	v_dual_mov_b32 v1, 0 :: v_dual_add_nc_u32 v8, 0x3f0, v45
	v_dual_mov_b32 v2, 0 :: v_dual_add_nc_u32 v7, -1, v176
	v_or_b32_e32 v9, 8, v13
	s_mov_b32 s3, 0
	s_delay_alu instid0(VALU_DEP_2)
	v_dual_mov_b32 v4, v2 :: v_dual_mov_b32 v3, v1
	.p2align	6
.LBB62_265:                             ; =>This Inner Loop Header: Depth=1
	scratch_load_b128 v[14:17], v9, off offset:-8
	ds_load_b128 v[18:21], v8
	v_add_nc_u32_e32 v7, 1, v7
	v_add_nc_u32_e32 v8, 16, v8
	;; [unrolled: 1-line block ×3, first 2 shown]
	s_delay_alu instid0(VALU_DEP_3) | instskip(SKIP_4) | instid1(VALU_DEP_2)
	v_cmp_lt_u32_e32 vcc_lo, 58, v7
	s_or_b32 s3, vcc_lo, s3
	s_waitcnt vmcnt(0) lgkmcnt(0)
	v_mul_f64 v[10:11], v[20:21], v[16:17]
	v_mul_f64 v[16:17], v[18:19], v[16:17]
	v_fma_f64 v[10:11], v[18:19], v[14:15], -v[10:11]
	s_delay_alu instid0(VALU_DEP_2) | instskip(NEXT) | instid1(VALU_DEP_2)
	v_fma_f64 v[14:15], v[20:21], v[14:15], v[16:17]
	v_add_f64 v[3:4], v[3:4], v[10:11]
	s_delay_alu instid0(VALU_DEP_2)
	v_add_f64 v[1:2], v[1:2], v[14:15]
	s_and_not1_b32 exec_lo, exec_lo, s3
	s_cbranch_execnz .LBB62_265
; %bb.266:
	s_or_b32 exec_lo, exec_lo, s3
	v_mov_b32_e32 v7, 0
	ds_load_b128 v[7:10], v7 offset:960
	s_waitcnt lgkmcnt(0)
	v_mul_f64 v[11:12], v[1:2], v[9:10]
	v_mul_f64 v[14:15], v[3:4], v[9:10]
	s_delay_alu instid0(VALU_DEP_2) | instskip(NEXT) | instid1(VALU_DEP_2)
	v_fma_f64 v[9:10], v[3:4], v[7:8], -v[11:12]
	v_fma_f64 v[11:12], v[1:2], v[7:8], v[14:15]
	scratch_store_b128 off, v[9:12], off offset:960
.LBB62_267:
	s_or_b32 exec_lo, exec_lo, s2
	s_waitcnt_vscnt null, 0x0
	s_barrier
	buffer_gl0_inv
	scratch_load_b32 v1, off, off offset:1008 ; 4-byte Folded Reload
	s_mov_b32 s2, exec_lo
	s_waitcnt vmcnt(0)
	scratch_load_b128 v[1:4], v1, off
	s_waitcnt vmcnt(0)
	ds_store_b128 v5, v[1:4]
	s_waitcnt lgkmcnt(0)
	s_barrier
	buffer_gl0_inv
	v_cmpx_gt_u32_e32 61, v176
	s_cbranch_execz .LBB62_271
; %bb.268:
	v_dual_mov_b32 v1, 0 :: v_dual_add_nc_u32 v8, 0x3f0, v45
	v_dual_mov_b32 v2, 0 :: v_dual_add_nc_u32 v7, -1, v176
	v_or_b32_e32 v9, 8, v13
	s_mov_b32 s3, 0
	s_delay_alu instid0(VALU_DEP_2)
	v_dual_mov_b32 v4, v2 :: v_dual_mov_b32 v3, v1
	.p2align	6
.LBB62_269:                             ; =>This Inner Loop Header: Depth=1
	scratch_load_b128 v[14:17], v9, off offset:-8
	ds_load_b128 v[18:21], v8
	v_add_nc_u32_e32 v7, 1, v7
	v_add_nc_u32_e32 v8, 16, v8
	;; [unrolled: 1-line block ×3, first 2 shown]
	s_delay_alu instid0(VALU_DEP_3) | instskip(SKIP_4) | instid1(VALU_DEP_2)
	v_cmp_lt_u32_e32 vcc_lo, 59, v7
	s_or_b32 s3, vcc_lo, s3
	s_waitcnt vmcnt(0) lgkmcnt(0)
	v_mul_f64 v[10:11], v[20:21], v[16:17]
	v_mul_f64 v[16:17], v[18:19], v[16:17]
	v_fma_f64 v[10:11], v[18:19], v[14:15], -v[10:11]
	s_delay_alu instid0(VALU_DEP_2) | instskip(NEXT) | instid1(VALU_DEP_2)
	v_fma_f64 v[14:15], v[20:21], v[14:15], v[16:17]
	v_add_f64 v[3:4], v[3:4], v[10:11]
	s_delay_alu instid0(VALU_DEP_2)
	v_add_f64 v[1:2], v[1:2], v[14:15]
	s_and_not1_b32 exec_lo, exec_lo, s3
	s_cbranch_execnz .LBB62_269
; %bb.270:
	s_or_b32 exec_lo, exec_lo, s3
	v_mov_b32_e32 v7, 0
	ds_load_b128 v[7:10], v7 offset:976
	s_waitcnt lgkmcnt(0)
	v_mul_f64 v[11:12], v[1:2], v[9:10]
	v_mul_f64 v[14:15], v[3:4], v[9:10]
	s_delay_alu instid0(VALU_DEP_2) | instskip(NEXT) | instid1(VALU_DEP_2)
	v_fma_f64 v[9:10], v[3:4], v[7:8], -v[11:12]
	v_fma_f64 v[11:12], v[1:2], v[7:8], v[14:15]
	scratch_store_b128 off, v[9:12], off offset:976
.LBB62_271:
	s_or_b32 exec_lo, exec_lo, s2
	s_waitcnt_vscnt null, 0x0
	s_barrier
	buffer_gl0_inv
	scratch_load_b32 v1, off, off offset:1236 ; 4-byte Folded Reload
	s_mov_b32 s2, exec_lo
	s_waitcnt vmcnt(0)
	scratch_load_b128 v[1:4], v1, off
	s_waitcnt vmcnt(0)
	ds_store_b128 v5, v[1:4]
	s_waitcnt lgkmcnt(0)
	s_barrier
	buffer_gl0_inv
	v_cmpx_ne_u32_e32 62, v176
	s_cbranch_execz .LBB62_275
; %bb.272:
	v_mov_b32_e32 v1, 0
	v_mov_b32_e32 v2, 0
	v_or_b32_e32 v7, 8, v13
	s_mov_b32 s3, 0
	s_delay_alu instid0(VALU_DEP_2)
	v_dual_mov_b32 v4, v2 :: v_dual_mov_b32 v3, v1
	.p2align	6
.LBB62_273:                             ; =>This Inner Loop Header: Depth=1
	scratch_load_b128 v[8:11], v7, off offset:-8
	ds_load_b128 v[12:15], v5
	v_add_nc_u32_e32 v6, 1, v6
	v_add_nc_u32_e32 v5, 16, v5
	v_add_nc_u32_e32 v7, 16, v7
	s_delay_alu instid0(VALU_DEP_3) | instskip(SKIP_4) | instid1(VALU_DEP_2)
	v_cmp_lt_u32_e32 vcc_lo, 60, v6
	s_or_b32 s3, vcc_lo, s3
	s_waitcnt vmcnt(0) lgkmcnt(0)
	v_mul_f64 v[16:17], v[14:15], v[10:11]
	v_mul_f64 v[10:11], v[12:13], v[10:11]
	v_fma_f64 v[12:13], v[12:13], v[8:9], -v[16:17]
	s_delay_alu instid0(VALU_DEP_2) | instskip(NEXT) | instid1(VALU_DEP_2)
	v_fma_f64 v[8:9], v[14:15], v[8:9], v[10:11]
	v_add_f64 v[3:4], v[3:4], v[12:13]
	s_delay_alu instid0(VALU_DEP_2)
	v_add_f64 v[1:2], v[1:2], v[8:9]
	s_and_not1_b32 exec_lo, exec_lo, s3
	s_cbranch_execnz .LBB62_273
; %bb.274:
	s_or_b32 exec_lo, exec_lo, s3
	v_mov_b32_e32 v5, 0
	ds_load_b128 v[5:8], v5 offset:992
	s_waitcnt lgkmcnt(0)
	v_mul_f64 v[9:10], v[1:2], v[7:8]
	v_mul_f64 v[7:8], v[3:4], v[7:8]
	s_delay_alu instid0(VALU_DEP_2) | instskip(NEXT) | instid1(VALU_DEP_2)
	v_fma_f64 v[3:4], v[3:4], v[5:6], -v[9:10]
	v_fma_f64 v[5:6], v[1:2], v[5:6], v[7:8]
	scratch_store_b128 off, v[3:6], off offset:992
.LBB62_275:
	s_or_b32 exec_lo, exec_lo, s2
	s_mov_b32 s3, -1
	s_waitcnt_vscnt null, 0x0
	s_barrier
	buffer_gl0_inv
.LBB62_276:
	s_and_b32 vcc_lo, exec_lo, s3
	s_cbranch_vccz .LBB62_278
; %bb.277:
	s_lshl_b64 s[2:3], s[18:19], 2
	v_mov_b32_e32 v1, 0
	s_add_u32 s2, s6, s2
	s_addc_u32 s3, s7, s3
	global_load_b32 v1, v1, s[2:3]
	s_waitcnt vmcnt(0)
	v_cmp_ne_u32_e32 vcc_lo, 0, v1
	s_cbranch_vccz .LBB62_279
.LBB62_278:
	s_endpgm
.LBB62_279:
	v_lshl_add_u32 v255, v176, 4, 0x3f0
	s_mov_b32 s2, exec_lo
	v_cmpx_eq_u32_e32 62, v176
	s_cbranch_execz .LBB62_281
; %bb.280:
	scratch_load_b32 v1, off, off offset:1008 ; 4-byte Folded Reload
	v_mov_b32_e32 v5, 0
	s_delay_alu instid0(VALU_DEP_1)
	v_mov_b32_e32 v6, v5
	v_mov_b32_e32 v7, v5
	;; [unrolled: 1-line block ×3, first 2 shown]
	s_waitcnt vmcnt(0)
	scratch_load_b128 v[1:4], v1, off
	scratch_store_b128 off, v[5:8], off offset:976
	s_waitcnt vmcnt(0)
	ds_store_b128 v255, v[1:4]
.LBB62_281:
	s_or_b32 exec_lo, exec_lo, s2
	s_waitcnt lgkmcnt(0)
	s_waitcnt_vscnt null, 0x0
	s_barrier
	buffer_gl0_inv
	s_clause 0x1
	scratch_load_b128 v[2:5], off, off offset:992
	scratch_load_b128 v[6:9], off, off offset:976
	v_mov_b32_e32 v1, 0
	s_mov_b32 s2, exec_lo
	ds_load_b128 v[10:13], v1 offset:2000
	s_waitcnt vmcnt(1) lgkmcnt(0)
	v_mul_f64 v[14:15], v[12:13], v[4:5]
	v_mul_f64 v[4:5], v[10:11], v[4:5]
	s_delay_alu instid0(VALU_DEP_2) | instskip(NEXT) | instid1(VALU_DEP_2)
	v_fma_f64 v[10:11], v[10:11], v[2:3], -v[14:15]
	v_fma_f64 v[2:3], v[12:13], v[2:3], v[4:5]
	s_delay_alu instid0(VALU_DEP_2) | instskip(NEXT) | instid1(VALU_DEP_2)
	v_add_f64 v[4:5], v[10:11], 0
	v_add_f64 v[10:11], v[2:3], 0
	s_waitcnt vmcnt(0)
	s_delay_alu instid0(VALU_DEP_2) | instskip(NEXT) | instid1(VALU_DEP_2)
	v_add_f64 v[2:3], v[6:7], -v[4:5]
	v_add_f64 v[4:5], v[8:9], -v[10:11]
	scratch_store_b128 off, v[2:5], off offset:976
	v_cmpx_lt_u32_e32 60, v176
	s_cbranch_execz .LBB62_283
; %bb.282:
	scratch_load_b32 v2, off, off offset:1012 ; 4-byte Folded Reload
	v_mov_b32_e32 v3, v1
	v_mov_b32_e32 v4, v1
	s_waitcnt vmcnt(0)
	scratch_load_b128 v[5:8], v2, off
	v_mov_b32_e32 v2, v1
	scratch_store_b128 off, v[1:4], off offset:960
	s_waitcnt vmcnt(0)
	ds_store_b128 v255, v[5:8]
.LBB62_283:
	s_or_b32 exec_lo, exec_lo, s2
	s_waitcnt lgkmcnt(0)
	s_waitcnt_vscnt null, 0x0
	s_barrier
	buffer_gl0_inv
	s_clause 0x2
	scratch_load_b128 v[2:5], off, off offset:976
	scratch_load_b128 v[6:9], off, off offset:992
	scratch_load_b128 v[10:13], off, off offset:960
	ds_load_b128 v[14:17], v1 offset:1984
	ds_load_b128 v[18:21], v1 offset:2000
	s_mov_b32 s2, exec_lo
	s_waitcnt vmcnt(2) lgkmcnt(1)
	v_mul_f64 v[22:23], v[16:17], v[4:5]
	v_mul_f64 v[4:5], v[14:15], v[4:5]
	s_waitcnt vmcnt(1) lgkmcnt(0)
	v_mul_f64 v[24:25], v[18:19], v[8:9]
	v_mul_f64 v[8:9], v[20:21], v[8:9]
	s_delay_alu instid0(VALU_DEP_4) | instskip(NEXT) | instid1(VALU_DEP_4)
	v_fma_f64 v[14:15], v[14:15], v[2:3], -v[22:23]
	v_fma_f64 v[1:2], v[16:17], v[2:3], v[4:5]
	s_delay_alu instid0(VALU_DEP_4) | instskip(NEXT) | instid1(VALU_DEP_4)
	v_fma_f64 v[3:4], v[20:21], v[6:7], v[24:25]
	v_fma_f64 v[5:6], v[18:19], v[6:7], -v[8:9]
	s_delay_alu instid0(VALU_DEP_4) | instskip(NEXT) | instid1(VALU_DEP_4)
	v_add_f64 v[7:8], v[14:15], 0
	v_add_f64 v[1:2], v[1:2], 0
	s_delay_alu instid0(VALU_DEP_2) | instskip(NEXT) | instid1(VALU_DEP_2)
	v_add_f64 v[5:6], v[7:8], v[5:6]
	v_add_f64 v[3:4], v[1:2], v[3:4]
	s_waitcnt vmcnt(0)
	s_delay_alu instid0(VALU_DEP_2) | instskip(NEXT) | instid1(VALU_DEP_2)
	v_add_f64 v[1:2], v[10:11], -v[5:6]
	v_add_f64 v[3:4], v[12:13], -v[3:4]
	scratch_store_b128 off, v[1:4], off offset:960
	v_cmpx_lt_u32_e32 59, v176
	s_cbranch_execz .LBB62_285
; %bb.284:
	scratch_load_b32 v1, off, off offset:1016 ; 4-byte Folded Reload
	v_mov_b32_e32 v5, 0
	s_delay_alu instid0(VALU_DEP_1)
	v_mov_b32_e32 v6, v5
	v_mov_b32_e32 v7, v5
	;; [unrolled: 1-line block ×3, first 2 shown]
	s_waitcnt vmcnt(0)
	scratch_load_b128 v[1:4], v1, off
	scratch_store_b128 off, v[5:8], off offset:944
	s_waitcnt vmcnt(0)
	ds_store_b128 v255, v[1:4]
.LBB62_285:
	s_or_b32 exec_lo, exec_lo, s2
	s_waitcnt lgkmcnt(0)
	s_waitcnt_vscnt null, 0x0
	s_barrier
	buffer_gl0_inv
	s_clause 0x3
	scratch_load_b128 v[2:5], off, off offset:960
	scratch_load_b128 v[6:9], off, off offset:976
	;; [unrolled: 1-line block ×4, first 2 shown]
	v_mov_b32_e32 v1, 0
	ds_load_b128 v[18:21], v1 offset:1968
	ds_load_b128 v[22:25], v1 offset:1984
	s_mov_b32 s2, exec_lo
	s_waitcnt vmcnt(3) lgkmcnt(1)
	v_mul_f64 v[26:27], v[20:21], v[4:5]
	v_mul_f64 v[4:5], v[18:19], v[4:5]
	s_waitcnt vmcnt(2) lgkmcnt(0)
	v_mul_f64 v[28:29], v[22:23], v[8:9]
	v_mul_f64 v[8:9], v[24:25], v[8:9]
	s_delay_alu instid0(VALU_DEP_4) | instskip(NEXT) | instid1(VALU_DEP_4)
	v_fma_f64 v[18:19], v[18:19], v[2:3], -v[26:27]
	v_fma_f64 v[20:21], v[20:21], v[2:3], v[4:5]
	ds_load_b128 v[2:5], v1 offset:2000
	v_fma_f64 v[24:25], v[24:25], v[6:7], v[28:29]
	v_fma_f64 v[6:7], v[22:23], v[6:7], -v[8:9]
	s_waitcnt vmcnt(1) lgkmcnt(0)
	v_mul_f64 v[26:27], v[2:3], v[12:13]
	v_mul_f64 v[12:13], v[4:5], v[12:13]
	v_add_f64 v[8:9], v[18:19], 0
	v_add_f64 v[18:19], v[20:21], 0
	s_delay_alu instid0(VALU_DEP_4) | instskip(NEXT) | instid1(VALU_DEP_4)
	v_fma_f64 v[4:5], v[4:5], v[10:11], v[26:27]
	v_fma_f64 v[2:3], v[2:3], v[10:11], -v[12:13]
	s_delay_alu instid0(VALU_DEP_4) | instskip(NEXT) | instid1(VALU_DEP_4)
	v_add_f64 v[6:7], v[8:9], v[6:7]
	v_add_f64 v[8:9], v[18:19], v[24:25]
	s_delay_alu instid0(VALU_DEP_2) | instskip(NEXT) | instid1(VALU_DEP_2)
	v_add_f64 v[2:3], v[6:7], v[2:3]
	v_add_f64 v[4:5], v[8:9], v[4:5]
	s_waitcnt vmcnt(0)
	s_delay_alu instid0(VALU_DEP_2) | instskip(NEXT) | instid1(VALU_DEP_2)
	v_add_f64 v[2:3], v[14:15], -v[2:3]
	v_add_f64 v[4:5], v[16:17], -v[4:5]
	scratch_store_b128 off, v[2:5], off offset:944
	v_cmpx_lt_u32_e32 58, v176
	s_cbranch_execz .LBB62_287
; %bb.286:
	scratch_load_b32 v2, off, off offset:1020 ; 4-byte Folded Reload
	v_mov_b32_e32 v3, v1
	v_mov_b32_e32 v4, v1
	s_waitcnt vmcnt(0)
	scratch_load_b128 v[5:8], v2, off
	v_mov_b32_e32 v2, v1
	scratch_store_b128 off, v[1:4], off offset:928
	s_waitcnt vmcnt(0)
	ds_store_b128 v255, v[5:8]
.LBB62_287:
	s_or_b32 exec_lo, exec_lo, s2
	s_waitcnt lgkmcnt(0)
	s_waitcnt_vscnt null, 0x0
	s_barrier
	buffer_gl0_inv
	s_clause 0x4
	scratch_load_b128 v[2:5], off, off offset:944
	scratch_load_b128 v[6:9], off, off offset:960
	;; [unrolled: 1-line block ×5, first 2 shown]
	ds_load_b128 v[22:25], v1 offset:1952
	ds_load_b128 v[26:29], v1 offset:1968
	s_mov_b32 s2, exec_lo
	s_waitcnt vmcnt(4) lgkmcnt(1)
	v_mul_f64 v[30:31], v[24:25], v[4:5]
	v_mul_f64 v[4:5], v[22:23], v[4:5]
	s_waitcnt vmcnt(3) lgkmcnt(0)
	v_mul_f64 v[32:33], v[26:27], v[8:9]
	v_mul_f64 v[8:9], v[28:29], v[8:9]
	s_delay_alu instid0(VALU_DEP_4) | instskip(NEXT) | instid1(VALU_DEP_4)
	v_fma_f64 v[30:31], v[22:23], v[2:3], -v[30:31]
	v_fma_f64 v[34:35], v[24:25], v[2:3], v[4:5]
	ds_load_b128 v[2:5], v1 offset:1984
	ds_load_b128 v[22:25], v1 offset:2000
	v_fma_f64 v[28:29], v[28:29], v[6:7], v[32:33]
	v_fma_f64 v[6:7], v[26:27], v[6:7], -v[8:9]
	s_waitcnt vmcnt(2) lgkmcnt(1)
	v_mul_f64 v[36:37], v[2:3], v[12:13]
	v_mul_f64 v[12:13], v[4:5], v[12:13]
	v_add_f64 v[8:9], v[30:31], 0
	v_add_f64 v[26:27], v[34:35], 0
	s_waitcnt vmcnt(1) lgkmcnt(0)
	v_mul_f64 v[30:31], v[22:23], v[16:17]
	v_mul_f64 v[16:17], v[24:25], v[16:17]
	v_fma_f64 v[4:5], v[4:5], v[10:11], v[36:37]
	v_fma_f64 v[1:2], v[2:3], v[10:11], -v[12:13]
	v_add_f64 v[6:7], v[8:9], v[6:7]
	v_add_f64 v[8:9], v[26:27], v[28:29]
	v_fma_f64 v[10:11], v[24:25], v[14:15], v[30:31]
	v_fma_f64 v[12:13], v[22:23], v[14:15], -v[16:17]
	s_delay_alu instid0(VALU_DEP_4) | instskip(NEXT) | instid1(VALU_DEP_4)
	v_add_f64 v[1:2], v[6:7], v[1:2]
	v_add_f64 v[3:4], v[8:9], v[4:5]
	s_delay_alu instid0(VALU_DEP_2) | instskip(NEXT) | instid1(VALU_DEP_2)
	v_add_f64 v[1:2], v[1:2], v[12:13]
	v_add_f64 v[3:4], v[3:4], v[10:11]
	s_waitcnt vmcnt(0)
	s_delay_alu instid0(VALU_DEP_2) | instskip(NEXT) | instid1(VALU_DEP_2)
	v_add_f64 v[1:2], v[18:19], -v[1:2]
	v_add_f64 v[3:4], v[20:21], -v[3:4]
	scratch_store_b128 off, v[1:4], off offset:928
	v_cmpx_lt_u32_e32 57, v176
	s_cbranch_execz .LBB62_289
; %bb.288:
	scratch_load_b32 v1, off, off offset:1024 ; 4-byte Folded Reload
	v_mov_b32_e32 v5, 0
	s_delay_alu instid0(VALU_DEP_1)
	v_mov_b32_e32 v6, v5
	v_mov_b32_e32 v7, v5
	;; [unrolled: 1-line block ×3, first 2 shown]
	s_waitcnt vmcnt(0)
	scratch_load_b128 v[1:4], v1, off
	scratch_store_b128 off, v[5:8], off offset:912
	s_waitcnt vmcnt(0)
	ds_store_b128 v255, v[1:4]
.LBB62_289:
	s_or_b32 exec_lo, exec_lo, s2
	s_waitcnt lgkmcnt(0)
	s_waitcnt_vscnt null, 0x0
	s_barrier
	buffer_gl0_inv
	s_clause 0x5
	scratch_load_b128 v[2:5], off, off offset:928
	scratch_load_b128 v[6:9], off, off offset:944
	;; [unrolled: 1-line block ×6, first 2 shown]
	v_mov_b32_e32 v1, 0
	ds_load_b128 v[26:29], v1 offset:1936
	ds_load_b128 v[30:33], v1 offset:1952
	s_mov_b32 s2, exec_lo
	s_waitcnt vmcnt(5) lgkmcnt(1)
	v_mul_f64 v[34:35], v[28:29], v[4:5]
	v_mul_f64 v[4:5], v[26:27], v[4:5]
	s_waitcnt vmcnt(4) lgkmcnt(0)
	v_mul_f64 v[36:37], v[30:31], v[8:9]
	v_mul_f64 v[8:9], v[32:33], v[8:9]
	s_delay_alu instid0(VALU_DEP_4) | instskip(NEXT) | instid1(VALU_DEP_4)
	v_fma_f64 v[34:35], v[26:27], v[2:3], -v[34:35]
	v_fma_f64 v[38:39], v[28:29], v[2:3], v[4:5]
	ds_load_b128 v[2:5], v1 offset:1968
	ds_load_b128 v[26:29], v1 offset:1984
	v_fma_f64 v[32:33], v[32:33], v[6:7], v[36:37]
	v_fma_f64 v[6:7], v[30:31], v[6:7], -v[8:9]
	s_waitcnt vmcnt(3) lgkmcnt(1)
	v_mul_f64 v[40:41], v[2:3], v[12:13]
	v_mul_f64 v[12:13], v[4:5], v[12:13]
	v_add_f64 v[8:9], v[34:35], 0
	v_add_f64 v[30:31], v[38:39], 0
	s_waitcnt vmcnt(2) lgkmcnt(0)
	v_mul_f64 v[34:35], v[26:27], v[16:17]
	v_mul_f64 v[16:17], v[28:29], v[16:17]
	v_fma_f64 v[36:37], v[4:5], v[10:11], v[40:41]
	v_fma_f64 v[10:11], v[2:3], v[10:11], -v[12:13]
	ds_load_b128 v[2:5], v1 offset:2000
	v_add_f64 v[6:7], v[8:9], v[6:7]
	v_add_f64 v[8:9], v[30:31], v[32:33]
	v_fma_f64 v[28:29], v[28:29], v[14:15], v[34:35]
	v_fma_f64 v[14:15], v[26:27], v[14:15], -v[16:17]
	s_waitcnt vmcnt(1) lgkmcnt(0)
	v_mul_f64 v[12:13], v[2:3], v[20:21]
	v_mul_f64 v[20:21], v[4:5], v[20:21]
	v_add_f64 v[6:7], v[6:7], v[10:11]
	v_add_f64 v[8:9], v[8:9], v[36:37]
	s_delay_alu instid0(VALU_DEP_4) | instskip(NEXT) | instid1(VALU_DEP_4)
	v_fma_f64 v[4:5], v[4:5], v[18:19], v[12:13]
	v_fma_f64 v[2:3], v[2:3], v[18:19], -v[20:21]
	s_delay_alu instid0(VALU_DEP_4) | instskip(NEXT) | instid1(VALU_DEP_4)
	v_add_f64 v[6:7], v[6:7], v[14:15]
	v_add_f64 v[8:9], v[8:9], v[28:29]
	s_delay_alu instid0(VALU_DEP_2) | instskip(NEXT) | instid1(VALU_DEP_2)
	v_add_f64 v[2:3], v[6:7], v[2:3]
	v_add_f64 v[4:5], v[8:9], v[4:5]
	s_waitcnt vmcnt(0)
	s_delay_alu instid0(VALU_DEP_2) | instskip(NEXT) | instid1(VALU_DEP_2)
	v_add_f64 v[2:3], v[22:23], -v[2:3]
	v_add_f64 v[4:5], v[24:25], -v[4:5]
	scratch_store_b128 off, v[2:5], off offset:912
	v_cmpx_lt_u32_e32 56, v176
	s_cbranch_execz .LBB62_291
; %bb.290:
	scratch_load_b32 v2, off, off offset:1028 ; 4-byte Folded Reload
	v_mov_b32_e32 v3, v1
	v_mov_b32_e32 v4, v1
	s_waitcnt vmcnt(0)
	scratch_load_b128 v[5:8], v2, off
	v_mov_b32_e32 v2, v1
	scratch_store_b128 off, v[1:4], off offset:896
	s_waitcnt vmcnt(0)
	ds_store_b128 v255, v[5:8]
.LBB62_291:
	s_or_b32 exec_lo, exec_lo, s2
	s_waitcnt lgkmcnt(0)
	s_waitcnt_vscnt null, 0x0
	s_barrier
	buffer_gl0_inv
	s_clause 0x5
	scratch_load_b128 v[2:5], off, off offset:912
	scratch_load_b128 v[6:9], off, off offset:928
	;; [unrolled: 1-line block ×6, first 2 shown]
	ds_load_b128 v[26:29], v1 offset:1920
	ds_load_b128 v[34:37], v1 offset:1936
	scratch_load_b128 v[30:33], off, off offset:896
	s_mov_b32 s2, exec_lo
	s_waitcnt vmcnt(6) lgkmcnt(1)
	v_mul_f64 v[38:39], v[28:29], v[4:5]
	v_mul_f64 v[4:5], v[26:27], v[4:5]
	s_waitcnt vmcnt(5) lgkmcnt(0)
	v_mul_f64 v[40:41], v[34:35], v[8:9]
	v_mul_f64 v[8:9], v[36:37], v[8:9]
	s_delay_alu instid0(VALU_DEP_4) | instskip(NEXT) | instid1(VALU_DEP_4)
	v_fma_f64 v[38:39], v[26:27], v[2:3], -v[38:39]
	v_fma_f64 v[42:43], v[28:29], v[2:3], v[4:5]
	ds_load_b128 v[2:5], v1 offset:1952
	ds_load_b128 v[26:29], v1 offset:1968
	v_fma_f64 v[36:37], v[36:37], v[6:7], v[40:41]
	v_fma_f64 v[6:7], v[34:35], v[6:7], -v[8:9]
	s_waitcnt vmcnt(4) lgkmcnt(1)
	v_mul_f64 v[44:45], v[2:3], v[12:13]
	v_mul_f64 v[12:13], v[4:5], v[12:13]
	v_add_f64 v[8:9], v[38:39], 0
	v_add_f64 v[34:35], v[42:43], 0
	s_waitcnt vmcnt(3) lgkmcnt(0)
	v_mul_f64 v[38:39], v[26:27], v[16:17]
	v_mul_f64 v[16:17], v[28:29], v[16:17]
	v_fma_f64 v[40:41], v[4:5], v[10:11], v[44:45]
	v_fma_f64 v[10:11], v[2:3], v[10:11], -v[12:13]
	v_add_f64 v[12:13], v[8:9], v[6:7]
	v_add_f64 v[34:35], v[34:35], v[36:37]
	ds_load_b128 v[2:5], v1 offset:1984
	ds_load_b128 v[6:9], v1 offset:2000
	v_fma_f64 v[28:29], v[28:29], v[14:15], v[38:39]
	v_fma_f64 v[14:15], v[26:27], v[14:15], -v[16:17]
	s_waitcnt vmcnt(2) lgkmcnt(1)
	v_mul_f64 v[36:37], v[2:3], v[20:21]
	v_mul_f64 v[20:21], v[4:5], v[20:21]
	s_waitcnt vmcnt(1) lgkmcnt(0)
	v_mul_f64 v[16:17], v[6:7], v[24:25]
	v_mul_f64 v[24:25], v[8:9], v[24:25]
	v_add_f64 v[10:11], v[12:13], v[10:11]
	v_add_f64 v[12:13], v[34:35], v[40:41]
	v_fma_f64 v[4:5], v[4:5], v[18:19], v[36:37]
	v_fma_f64 v[1:2], v[2:3], v[18:19], -v[20:21]
	v_fma_f64 v[8:9], v[8:9], v[22:23], v[16:17]
	v_fma_f64 v[6:7], v[6:7], v[22:23], -v[24:25]
	v_add_f64 v[10:11], v[10:11], v[14:15]
	v_add_f64 v[12:13], v[12:13], v[28:29]
	s_delay_alu instid0(VALU_DEP_2) | instskip(NEXT) | instid1(VALU_DEP_2)
	v_add_f64 v[1:2], v[10:11], v[1:2]
	v_add_f64 v[3:4], v[12:13], v[4:5]
	s_delay_alu instid0(VALU_DEP_2) | instskip(NEXT) | instid1(VALU_DEP_2)
	v_add_f64 v[1:2], v[1:2], v[6:7]
	v_add_f64 v[3:4], v[3:4], v[8:9]
	s_waitcnt vmcnt(0)
	s_delay_alu instid0(VALU_DEP_2) | instskip(NEXT) | instid1(VALU_DEP_2)
	v_add_f64 v[1:2], v[30:31], -v[1:2]
	v_add_f64 v[3:4], v[32:33], -v[3:4]
	scratch_store_b128 off, v[1:4], off offset:896
	v_cmpx_lt_u32_e32 55, v176
	s_cbranch_execz .LBB62_293
; %bb.292:
	scratch_load_b32 v1, off, off offset:1032 ; 4-byte Folded Reload
	v_mov_b32_e32 v5, 0
	s_delay_alu instid0(VALU_DEP_1)
	v_mov_b32_e32 v6, v5
	v_mov_b32_e32 v7, v5
	;; [unrolled: 1-line block ×3, first 2 shown]
	s_waitcnt vmcnt(0)
	scratch_load_b128 v[1:4], v1, off
	scratch_store_b128 off, v[5:8], off offset:880
	s_waitcnt vmcnt(0)
	ds_store_b128 v255, v[1:4]
.LBB62_293:
	s_or_b32 exec_lo, exec_lo, s2
	s_waitcnt lgkmcnt(0)
	s_waitcnt_vscnt null, 0x0
	s_barrier
	buffer_gl0_inv
	s_clause 0x6
	scratch_load_b128 v[2:5], off, off offset:896
	scratch_load_b128 v[6:9], off, off offset:912
	;; [unrolled: 1-line block ×7, first 2 shown]
	v_mov_b32_e32 v1, 0
	scratch_load_b128 v[38:41], off, off offset:880
	s_mov_b32 s2, exec_lo
	ds_load_b128 v[30:33], v1 offset:1904
	ds_load_b128 v[34:37], v1 offset:1920
	s_waitcnt vmcnt(7) lgkmcnt(1)
	v_mul_f64 v[42:43], v[32:33], v[4:5]
	v_mul_f64 v[4:5], v[30:31], v[4:5]
	s_waitcnt vmcnt(6) lgkmcnt(0)
	v_mul_f64 v[44:45], v[34:35], v[8:9]
	v_mul_f64 v[8:9], v[36:37], v[8:9]
	s_delay_alu instid0(VALU_DEP_4) | instskip(NEXT) | instid1(VALU_DEP_4)
	v_fma_f64 v[30:31], v[30:31], v[2:3], -v[42:43]
	v_fma_f64 v[32:33], v[32:33], v[2:3], v[4:5]
	ds_load_b128 v[2:5], v1 offset:1936
	v_fma_f64 v[36:37], v[36:37], v[6:7], v[44:45]
	v_fma_f64 v[34:35], v[34:35], v[6:7], -v[8:9]
	ds_load_b128 v[6:9], v1 offset:1952
	s_waitcnt vmcnt(5) lgkmcnt(1)
	v_mul_f64 v[42:43], v[2:3], v[12:13]
	v_mul_f64 v[12:13], v[4:5], v[12:13]
	s_waitcnt vmcnt(4) lgkmcnt(0)
	v_mul_f64 v[44:45], v[6:7], v[16:17]
	v_mul_f64 v[16:17], v[8:9], v[16:17]
	v_add_f64 v[30:31], v[30:31], 0
	v_add_f64 v[32:33], v[32:33], 0
	v_fma_f64 v[42:43], v[4:5], v[10:11], v[42:43]
	v_fma_f64 v[10:11], v[2:3], v[10:11], -v[12:13]
	ds_load_b128 v[2:5], v1 offset:1968
	v_add_f64 v[12:13], v[30:31], v[34:35]
	v_add_f64 v[30:31], v[32:33], v[36:37]
	v_fma_f64 v[34:35], v[8:9], v[14:15], v[44:45]
	v_fma_f64 v[14:15], v[6:7], v[14:15], -v[16:17]
	ds_load_b128 v[6:9], v1 offset:1984
	s_waitcnt vmcnt(3) lgkmcnt(1)
	v_mul_f64 v[32:33], v[2:3], v[20:21]
	v_mul_f64 v[20:21], v[4:5], v[20:21]
	s_waitcnt vmcnt(2) lgkmcnt(0)
	v_mul_f64 v[16:17], v[6:7], v[24:25]
	v_mul_f64 v[24:25], v[8:9], v[24:25]
	v_add_f64 v[10:11], v[12:13], v[10:11]
	v_add_f64 v[12:13], v[30:31], v[42:43]
	v_fma_f64 v[30:31], v[4:5], v[18:19], v[32:33]
	v_fma_f64 v[18:19], v[2:3], v[18:19], -v[20:21]
	ds_load_b128 v[2:5], v1 offset:2000
	v_fma_f64 v[8:9], v[8:9], v[22:23], v[16:17]
	v_fma_f64 v[6:7], v[6:7], v[22:23], -v[24:25]
	s_waitcnt vmcnt(1) lgkmcnt(0)
	v_mul_f64 v[20:21], v[4:5], v[28:29]
	v_add_f64 v[10:11], v[10:11], v[14:15]
	v_add_f64 v[12:13], v[12:13], v[34:35]
	v_mul_f64 v[14:15], v[2:3], v[28:29]
	s_delay_alu instid0(VALU_DEP_4) | instskip(NEXT) | instid1(VALU_DEP_4)
	v_fma_f64 v[2:3], v[2:3], v[26:27], -v[20:21]
	v_add_f64 v[10:11], v[10:11], v[18:19]
	s_delay_alu instid0(VALU_DEP_4) | instskip(NEXT) | instid1(VALU_DEP_4)
	v_add_f64 v[12:13], v[12:13], v[30:31]
	v_fma_f64 v[4:5], v[4:5], v[26:27], v[14:15]
	s_delay_alu instid0(VALU_DEP_3) | instskip(NEXT) | instid1(VALU_DEP_3)
	v_add_f64 v[6:7], v[10:11], v[6:7]
	v_add_f64 v[8:9], v[12:13], v[8:9]
	s_delay_alu instid0(VALU_DEP_2) | instskip(NEXT) | instid1(VALU_DEP_2)
	v_add_f64 v[2:3], v[6:7], v[2:3]
	v_add_f64 v[4:5], v[8:9], v[4:5]
	s_waitcnt vmcnt(0)
	s_delay_alu instid0(VALU_DEP_2) | instskip(NEXT) | instid1(VALU_DEP_2)
	v_add_f64 v[2:3], v[38:39], -v[2:3]
	v_add_f64 v[4:5], v[40:41], -v[4:5]
	scratch_store_b128 off, v[2:5], off offset:880
	v_cmpx_lt_u32_e32 54, v176
	s_cbranch_execz .LBB62_295
; %bb.294:
	scratch_load_b32 v2, off, off offset:1036 ; 4-byte Folded Reload
	v_mov_b32_e32 v3, v1
	v_mov_b32_e32 v4, v1
	s_waitcnt vmcnt(0)
	scratch_load_b128 v[5:8], v2, off
	v_mov_b32_e32 v2, v1
	scratch_store_b128 off, v[1:4], off offset:864
	s_waitcnt vmcnt(0)
	ds_store_b128 v255, v[5:8]
.LBB62_295:
	s_or_b32 exec_lo, exec_lo, s2
	s_waitcnt lgkmcnt(0)
	s_waitcnt_vscnt null, 0x0
	s_barrier
	buffer_gl0_inv
	s_clause 0x7
	scratch_load_b128 v[2:5], off, off offset:880
	scratch_load_b128 v[6:9], off, off offset:896
	scratch_load_b128 v[10:13], off, off offset:912
	scratch_load_b128 v[14:17], off, off offset:928
	scratch_load_b128 v[18:21], off, off offset:944
	scratch_load_b128 v[22:25], off, off offset:960
	scratch_load_b128 v[26:29], off, off offset:976
	scratch_load_b128 v[30:33], off, off offset:992
	ds_load_b128 v[34:37], v1 offset:1888
	ds_load_b128 v[38:41], v1 offset:1904
	s_mov_b32 s2, exec_lo
	s_waitcnt vmcnt(7) lgkmcnt(1)
	v_mul_f64 v[42:43], v[36:37], v[4:5]
	v_mul_f64 v[4:5], v[34:35], v[4:5]
	s_waitcnt vmcnt(6) lgkmcnt(0)
	v_mul_f64 v[44:45], v[38:39], v[8:9]
	v_mul_f64 v[8:9], v[40:41], v[8:9]
	s_delay_alu instid0(VALU_DEP_4) | instskip(NEXT) | instid1(VALU_DEP_4)
	v_fma_f64 v[42:43], v[34:35], v[2:3], -v[42:43]
	v_fma_f64 v[46:47], v[36:37], v[2:3], v[4:5]
	ds_load_b128 v[2:5], v1 offset:1920
	scratch_load_b128 v[34:37], off, off offset:864
	v_fma_f64 v[40:41], v[40:41], v[6:7], v[44:45]
	v_fma_f64 v[38:39], v[38:39], v[6:7], -v[8:9]
	ds_load_b128 v[6:9], v1 offset:1936
	s_waitcnt vmcnt(6) lgkmcnt(1)
	v_mul_f64 v[48:49], v[2:3], v[12:13]
	v_mul_f64 v[12:13], v[4:5], v[12:13]
	v_add_f64 v[42:43], v[42:43], 0
	v_add_f64 v[44:45], v[46:47], 0
	s_waitcnt vmcnt(5) lgkmcnt(0)
	v_mul_f64 v[46:47], v[6:7], v[16:17]
	v_mul_f64 v[16:17], v[8:9], v[16:17]
	v_fma_f64 v[48:49], v[4:5], v[10:11], v[48:49]
	v_fma_f64 v[10:11], v[2:3], v[10:11], -v[12:13]
	ds_load_b128 v[2:5], v1 offset:1952
	v_add_f64 v[12:13], v[42:43], v[38:39]
	v_add_f64 v[38:39], v[44:45], v[40:41]
	v_fma_f64 v[42:43], v[8:9], v[14:15], v[46:47]
	v_fma_f64 v[14:15], v[6:7], v[14:15], -v[16:17]
	ds_load_b128 v[6:9], v1 offset:1968
	s_waitcnt vmcnt(4) lgkmcnt(1)
	v_mul_f64 v[40:41], v[2:3], v[20:21]
	v_mul_f64 v[20:21], v[4:5], v[20:21]
	s_waitcnt vmcnt(3) lgkmcnt(0)
	v_mul_f64 v[16:17], v[6:7], v[24:25]
	v_mul_f64 v[24:25], v[8:9], v[24:25]
	v_add_f64 v[10:11], v[12:13], v[10:11]
	v_add_f64 v[12:13], v[38:39], v[48:49]
	v_fma_f64 v[38:39], v[4:5], v[18:19], v[40:41]
	v_fma_f64 v[18:19], v[2:3], v[18:19], -v[20:21]
	ds_load_b128 v[2:5], v1 offset:1984
	v_fma_f64 v[16:17], v[8:9], v[22:23], v[16:17]
	v_fma_f64 v[22:23], v[6:7], v[22:23], -v[24:25]
	ds_load_b128 v[6:9], v1 offset:2000
	s_waitcnt vmcnt(2) lgkmcnt(1)
	v_mul_f64 v[20:21], v[4:5], v[28:29]
	v_add_f64 v[10:11], v[10:11], v[14:15]
	v_add_f64 v[12:13], v[12:13], v[42:43]
	v_mul_f64 v[14:15], v[2:3], v[28:29]
	s_waitcnt vmcnt(1) lgkmcnt(0)
	v_mul_f64 v[24:25], v[8:9], v[32:33]
	v_fma_f64 v[1:2], v[2:3], v[26:27], -v[20:21]
	v_add_f64 v[10:11], v[10:11], v[18:19]
	v_add_f64 v[12:13], v[12:13], v[38:39]
	v_mul_f64 v[18:19], v[6:7], v[32:33]
	v_fma_f64 v[4:5], v[4:5], v[26:27], v[14:15]
	v_fma_f64 v[6:7], v[6:7], v[30:31], -v[24:25]
	v_add_f64 v[10:11], v[10:11], v[22:23]
	v_add_f64 v[12:13], v[12:13], v[16:17]
	v_fma_f64 v[8:9], v[8:9], v[30:31], v[18:19]
	s_delay_alu instid0(VALU_DEP_3) | instskip(NEXT) | instid1(VALU_DEP_3)
	v_add_f64 v[1:2], v[10:11], v[1:2]
	v_add_f64 v[3:4], v[12:13], v[4:5]
	s_delay_alu instid0(VALU_DEP_2) | instskip(NEXT) | instid1(VALU_DEP_2)
	v_add_f64 v[1:2], v[1:2], v[6:7]
	v_add_f64 v[3:4], v[3:4], v[8:9]
	s_waitcnt vmcnt(0)
	s_delay_alu instid0(VALU_DEP_2) | instskip(NEXT) | instid1(VALU_DEP_2)
	v_add_f64 v[1:2], v[34:35], -v[1:2]
	v_add_f64 v[3:4], v[36:37], -v[3:4]
	scratch_store_b128 off, v[1:4], off offset:864
	v_cmpx_lt_u32_e32 53, v176
	s_cbranch_execz .LBB62_297
; %bb.296:
	scratch_load_b32 v1, off, off offset:1040 ; 4-byte Folded Reload
	v_mov_b32_e32 v5, 0
	s_delay_alu instid0(VALU_DEP_1)
	v_mov_b32_e32 v6, v5
	v_mov_b32_e32 v7, v5
	;; [unrolled: 1-line block ×3, first 2 shown]
	s_waitcnt vmcnt(0)
	scratch_load_b128 v[1:4], v1, off
	scratch_store_b128 off, v[5:8], off offset:848
	s_waitcnt vmcnt(0)
	ds_store_b128 v255, v[1:4]
.LBB62_297:
	s_or_b32 exec_lo, exec_lo, s2
	s_waitcnt lgkmcnt(0)
	s_waitcnt_vscnt null, 0x0
	s_barrier
	buffer_gl0_inv
	s_clause 0x7
	scratch_load_b128 v[2:5], off, off offset:864
	scratch_load_b128 v[6:9], off, off offset:880
	scratch_load_b128 v[10:13], off, off offset:896
	scratch_load_b128 v[14:17], off, off offset:912
	scratch_load_b128 v[18:21], off, off offset:928
	scratch_load_b128 v[22:25], off, off offset:944
	scratch_load_b128 v[26:29], off, off offset:960
	scratch_load_b128 v[30:33], off, off offset:976
	v_mov_b32_e32 v1, 0
	s_mov_b32 s2, exec_lo
	ds_load_b128 v[34:37], v1 offset:1872
	s_clause 0x1
	scratch_load_b128 v[38:41], off, off offset:992
	scratch_load_b128 v[42:45], off, off offset:848
	ds_load_b128 v[46:49], v1 offset:1888
	s_waitcnt vmcnt(9) lgkmcnt(1)
	v_mul_f64 v[52:53], v[36:37], v[4:5]
	v_mul_f64 v[4:5], v[34:35], v[4:5]
	s_waitcnt vmcnt(8) lgkmcnt(0)
	v_mul_f64 v[54:55], v[46:47], v[8:9]
	v_mul_f64 v[8:9], v[48:49], v[8:9]
	s_delay_alu instid0(VALU_DEP_4) | instskip(NEXT) | instid1(VALU_DEP_4)
	v_fma_f64 v[52:53], v[34:35], v[2:3], -v[52:53]
	v_fma_f64 v[56:57], v[36:37], v[2:3], v[4:5]
	ds_load_b128 v[2:5], v1 offset:1904
	ds_load_b128 v[34:37], v1 offset:1920
	v_fma_f64 v[48:49], v[48:49], v[6:7], v[54:55]
	v_fma_f64 v[6:7], v[46:47], v[6:7], -v[8:9]
	s_waitcnt vmcnt(7) lgkmcnt(1)
	v_mul_f64 v[58:59], v[2:3], v[12:13]
	v_mul_f64 v[12:13], v[4:5], v[12:13]
	v_add_f64 v[8:9], v[52:53], 0
	v_add_f64 v[46:47], v[56:57], 0
	s_waitcnt vmcnt(6) lgkmcnt(0)
	v_mul_f64 v[52:53], v[34:35], v[16:17]
	v_mul_f64 v[16:17], v[36:37], v[16:17]
	v_fma_f64 v[54:55], v[4:5], v[10:11], v[58:59]
	v_fma_f64 v[10:11], v[2:3], v[10:11], -v[12:13]
	v_add_f64 v[12:13], v[8:9], v[6:7]
	v_add_f64 v[46:47], v[46:47], v[48:49]
	ds_load_b128 v[2:5], v1 offset:1936
	ds_load_b128 v[6:9], v1 offset:1952
	v_fma_f64 v[36:37], v[36:37], v[14:15], v[52:53]
	v_fma_f64 v[14:15], v[34:35], v[14:15], -v[16:17]
	s_waitcnt vmcnt(5) lgkmcnt(1)
	v_mul_f64 v[48:49], v[2:3], v[20:21]
	v_mul_f64 v[20:21], v[4:5], v[20:21]
	s_waitcnt vmcnt(4) lgkmcnt(0)
	v_mul_f64 v[16:17], v[6:7], v[24:25]
	v_mul_f64 v[24:25], v[8:9], v[24:25]
	v_add_f64 v[10:11], v[12:13], v[10:11]
	v_add_f64 v[12:13], v[46:47], v[54:55]
	v_fma_f64 v[34:35], v[4:5], v[18:19], v[48:49]
	v_fma_f64 v[18:19], v[2:3], v[18:19], -v[20:21]
	v_fma_f64 v[8:9], v[8:9], v[22:23], v[16:17]
	v_fma_f64 v[6:7], v[6:7], v[22:23], -v[24:25]
	v_add_f64 v[14:15], v[10:11], v[14:15]
	v_add_f64 v[20:21], v[12:13], v[36:37]
	ds_load_b128 v[2:5], v1 offset:1968
	ds_load_b128 v[10:13], v1 offset:1984
	s_waitcnt vmcnt(3) lgkmcnt(1)
	v_mul_f64 v[36:37], v[2:3], v[28:29]
	v_mul_f64 v[28:29], v[4:5], v[28:29]
	v_add_f64 v[14:15], v[14:15], v[18:19]
	v_add_f64 v[16:17], v[20:21], v[34:35]
	s_waitcnt vmcnt(2) lgkmcnt(0)
	v_mul_f64 v[18:19], v[10:11], v[32:33]
	v_mul_f64 v[20:21], v[12:13], v[32:33]
	v_fma_f64 v[22:23], v[4:5], v[26:27], v[36:37]
	v_fma_f64 v[24:25], v[2:3], v[26:27], -v[28:29]
	ds_load_b128 v[2:5], v1 offset:2000
	v_add_f64 v[6:7], v[14:15], v[6:7]
	v_add_f64 v[8:9], v[16:17], v[8:9]
	v_fma_f64 v[12:13], v[12:13], v[30:31], v[18:19]
	v_fma_f64 v[10:11], v[10:11], v[30:31], -v[20:21]
	s_waitcnt vmcnt(1) lgkmcnt(0)
	v_mul_f64 v[14:15], v[2:3], v[40:41]
	v_mul_f64 v[16:17], v[4:5], v[40:41]
	v_add_f64 v[6:7], v[6:7], v[24:25]
	v_add_f64 v[8:9], v[8:9], v[22:23]
	s_delay_alu instid0(VALU_DEP_4) | instskip(NEXT) | instid1(VALU_DEP_4)
	v_fma_f64 v[4:5], v[4:5], v[38:39], v[14:15]
	v_fma_f64 v[2:3], v[2:3], v[38:39], -v[16:17]
	s_delay_alu instid0(VALU_DEP_4) | instskip(NEXT) | instid1(VALU_DEP_4)
	v_add_f64 v[6:7], v[6:7], v[10:11]
	v_add_f64 v[8:9], v[8:9], v[12:13]
	s_delay_alu instid0(VALU_DEP_2) | instskip(NEXT) | instid1(VALU_DEP_2)
	v_add_f64 v[2:3], v[6:7], v[2:3]
	v_add_f64 v[4:5], v[8:9], v[4:5]
	s_waitcnt vmcnt(0)
	s_delay_alu instid0(VALU_DEP_2) | instskip(NEXT) | instid1(VALU_DEP_2)
	v_add_f64 v[2:3], v[42:43], -v[2:3]
	v_add_f64 v[4:5], v[44:45], -v[4:5]
	scratch_store_b128 off, v[2:5], off offset:848
	v_cmpx_lt_u32_e32 52, v176
	s_cbranch_execz .LBB62_299
; %bb.298:
	scratch_load_b32 v2, off, off offset:1044 ; 4-byte Folded Reload
	v_mov_b32_e32 v3, v1
	v_mov_b32_e32 v4, v1
	s_waitcnt vmcnt(0)
	scratch_load_b128 v[5:8], v2, off
	v_mov_b32_e32 v2, v1
	scratch_store_b128 off, v[1:4], off offset:832
	s_waitcnt vmcnt(0)
	ds_store_b128 v255, v[5:8]
.LBB62_299:
	s_or_b32 exec_lo, exec_lo, s2
	s_waitcnt lgkmcnt(0)
	s_waitcnt_vscnt null, 0x0
	s_barrier
	buffer_gl0_inv
	s_clause 0x8
	scratch_load_b128 v[2:5], off, off offset:848
	scratch_load_b128 v[6:9], off, off offset:864
	;; [unrolled: 1-line block ×9, first 2 shown]
	ds_load_b128 v[38:41], v1 offset:1856
	ds_load_b128 v[42:45], v1 offset:1872
	s_clause 0x1
	scratch_load_b128 v[46:49], off, off offset:832
	scratch_load_b128 v[52:55], off, off offset:992
	s_mov_b32 s2, exec_lo
	s_waitcnt vmcnt(10) lgkmcnt(1)
	v_mul_f64 v[56:57], v[40:41], v[4:5]
	v_mul_f64 v[4:5], v[38:39], v[4:5]
	s_waitcnt vmcnt(9) lgkmcnt(0)
	v_mul_f64 v[58:59], v[42:43], v[8:9]
	v_mul_f64 v[8:9], v[44:45], v[8:9]
	s_delay_alu instid0(VALU_DEP_4) | instskip(NEXT) | instid1(VALU_DEP_4)
	v_fma_f64 v[56:57], v[38:39], v[2:3], -v[56:57]
	v_fma_f64 v[60:61], v[40:41], v[2:3], v[4:5]
	ds_load_b128 v[2:5], v1 offset:1888
	ds_load_b128 v[38:41], v1 offset:1904
	v_fma_f64 v[44:45], v[44:45], v[6:7], v[58:59]
	v_fma_f64 v[6:7], v[42:43], v[6:7], -v[8:9]
	s_waitcnt vmcnt(8) lgkmcnt(1)
	v_mul_f64 v[62:63], v[2:3], v[12:13]
	v_mul_f64 v[12:13], v[4:5], v[12:13]
	v_add_f64 v[8:9], v[56:57], 0
	v_add_f64 v[42:43], v[60:61], 0
	s_waitcnt vmcnt(7) lgkmcnt(0)
	v_mul_f64 v[56:57], v[38:39], v[16:17]
	v_mul_f64 v[16:17], v[40:41], v[16:17]
	v_fma_f64 v[58:59], v[4:5], v[10:11], v[62:63]
	v_fma_f64 v[10:11], v[2:3], v[10:11], -v[12:13]
	v_add_f64 v[12:13], v[8:9], v[6:7]
	v_add_f64 v[42:43], v[42:43], v[44:45]
	ds_load_b128 v[2:5], v1 offset:1920
	ds_load_b128 v[6:9], v1 offset:1936
	v_fma_f64 v[40:41], v[40:41], v[14:15], v[56:57]
	v_fma_f64 v[14:15], v[38:39], v[14:15], -v[16:17]
	s_waitcnt vmcnt(6) lgkmcnt(1)
	v_mul_f64 v[44:45], v[2:3], v[20:21]
	v_mul_f64 v[20:21], v[4:5], v[20:21]
	s_waitcnt vmcnt(5) lgkmcnt(0)
	v_mul_f64 v[16:17], v[6:7], v[24:25]
	v_mul_f64 v[24:25], v[8:9], v[24:25]
	v_add_f64 v[10:11], v[12:13], v[10:11]
	v_add_f64 v[12:13], v[42:43], v[58:59]
	v_fma_f64 v[38:39], v[4:5], v[18:19], v[44:45]
	v_fma_f64 v[18:19], v[2:3], v[18:19], -v[20:21]
	v_fma_f64 v[8:9], v[8:9], v[22:23], v[16:17]
	v_fma_f64 v[6:7], v[6:7], v[22:23], -v[24:25]
	v_add_f64 v[14:15], v[10:11], v[14:15]
	v_add_f64 v[20:21], v[12:13], v[40:41]
	ds_load_b128 v[2:5], v1 offset:1952
	ds_load_b128 v[10:13], v1 offset:1968
	s_waitcnt vmcnt(4) lgkmcnt(1)
	v_mul_f64 v[40:41], v[2:3], v[28:29]
	v_mul_f64 v[28:29], v[4:5], v[28:29]
	v_add_f64 v[14:15], v[14:15], v[18:19]
	v_add_f64 v[16:17], v[20:21], v[38:39]
	s_waitcnt vmcnt(3) lgkmcnt(0)
	v_mul_f64 v[18:19], v[10:11], v[32:33]
	v_mul_f64 v[20:21], v[12:13], v[32:33]
	v_fma_f64 v[22:23], v[4:5], v[26:27], v[40:41]
	v_fma_f64 v[24:25], v[2:3], v[26:27], -v[28:29]
	v_add_f64 v[14:15], v[14:15], v[6:7]
	v_add_f64 v[16:17], v[16:17], v[8:9]
	ds_load_b128 v[2:5], v1 offset:1984
	ds_load_b128 v[6:9], v1 offset:2000
	v_fma_f64 v[12:13], v[12:13], v[30:31], v[18:19]
	v_fma_f64 v[10:11], v[10:11], v[30:31], -v[20:21]
	s_waitcnt vmcnt(2) lgkmcnt(1)
	v_mul_f64 v[26:27], v[2:3], v[36:37]
	v_mul_f64 v[28:29], v[4:5], v[36:37]
	s_waitcnt vmcnt(0) lgkmcnt(0)
	v_mul_f64 v[18:19], v[6:7], v[54:55]
	v_mul_f64 v[20:21], v[8:9], v[54:55]
	v_add_f64 v[14:15], v[14:15], v[24:25]
	v_add_f64 v[16:17], v[16:17], v[22:23]
	v_fma_f64 v[4:5], v[4:5], v[34:35], v[26:27]
	v_fma_f64 v[1:2], v[2:3], v[34:35], -v[28:29]
	v_fma_f64 v[8:9], v[8:9], v[52:53], v[18:19]
	v_fma_f64 v[6:7], v[6:7], v[52:53], -v[20:21]
	v_add_f64 v[10:11], v[14:15], v[10:11]
	v_add_f64 v[12:13], v[16:17], v[12:13]
	s_delay_alu instid0(VALU_DEP_2) | instskip(NEXT) | instid1(VALU_DEP_2)
	v_add_f64 v[1:2], v[10:11], v[1:2]
	v_add_f64 v[3:4], v[12:13], v[4:5]
	s_delay_alu instid0(VALU_DEP_2) | instskip(NEXT) | instid1(VALU_DEP_2)
	;; [unrolled: 3-line block ×3, first 2 shown]
	v_add_f64 v[1:2], v[46:47], -v[1:2]
	v_add_f64 v[3:4], v[48:49], -v[3:4]
	scratch_store_b128 off, v[1:4], off offset:832
	v_cmpx_lt_u32_e32 51, v176
	s_cbranch_execz .LBB62_301
; %bb.300:
	scratch_load_b32 v1, off, off offset:1048 ; 4-byte Folded Reload
	v_mov_b32_e32 v5, 0
	s_delay_alu instid0(VALU_DEP_1)
	v_mov_b32_e32 v6, v5
	v_mov_b32_e32 v7, v5
	;; [unrolled: 1-line block ×3, first 2 shown]
	s_waitcnt vmcnt(0)
	scratch_load_b128 v[1:4], v1, off
	scratch_store_b128 off, v[5:8], off offset:816
	s_waitcnt vmcnt(0)
	ds_store_b128 v255, v[1:4]
.LBB62_301:
	s_or_b32 exec_lo, exec_lo, s2
	s_waitcnt lgkmcnt(0)
	s_waitcnt_vscnt null, 0x0
	s_barrier
	buffer_gl0_inv
	s_clause 0x4
	scratch_load_b128 v[2:5], off, off offset:832
	scratch_load_b128 v[6:9], off, off offset:848
	;; [unrolled: 1-line block ×5, first 2 shown]
	v_mov_b32_e32 v1, 0
	scratch_load_b128 v[26:29], off, off offset:816
	s_mov_b32 s2, exec_lo
	ds_load_b128 v[22:25], v1 offset:1840
	ds_load_b128 v[30:33], v1 offset:1856
	s_waitcnt vmcnt(5) lgkmcnt(1)
	v_mul_f64 v[34:35], v[24:25], v[4:5]
	v_mul_f64 v[4:5], v[22:23], v[4:5]
	s_waitcnt vmcnt(4) lgkmcnt(0)
	v_mul_f64 v[36:37], v[30:31], v[8:9]
	v_mul_f64 v[8:9], v[32:33], v[8:9]
	s_delay_alu instid0(VALU_DEP_4) | instskip(NEXT) | instid1(VALU_DEP_4)
	v_fma_f64 v[22:23], v[22:23], v[2:3], -v[34:35]
	v_fma_f64 v[24:25], v[24:25], v[2:3], v[4:5]
	ds_load_b128 v[2:5], v1 offset:1872
	v_fma_f64 v[32:33], v[32:33], v[6:7], v[36:37]
	v_fma_f64 v[30:31], v[30:31], v[6:7], -v[8:9]
	ds_load_b128 v[6:9], v1 offset:1888
	s_waitcnt vmcnt(3) lgkmcnt(1)
	v_mul_f64 v[34:35], v[2:3], v[12:13]
	v_mul_f64 v[12:13], v[4:5], v[12:13]
	s_waitcnt vmcnt(2) lgkmcnt(0)
	v_mul_f64 v[36:37], v[6:7], v[16:17]
	s_delay_alu instid0(VALU_DEP_3) | instskip(NEXT) | instid1(VALU_DEP_3)
	v_fma_f64 v[34:35], v[4:5], v[10:11], v[34:35]
	v_fma_f64 v[38:39], v[2:3], v[10:11], -v[12:13]
	v_mul_f64 v[10:11], v[8:9], v[16:17]
	ds_load_b128 v[2:5], v1 offset:1904
	v_fma_f64 v[36:37], v[8:9], v[14:15], v[36:37]
	v_fma_f64 v[14:15], v[6:7], v[14:15], -v[10:11]
	ds_load_b128 v[6:9], v1 offset:1920
	s_waitcnt vmcnt(1) lgkmcnt(1)
	v_mul_f64 v[10:11], v[2:3], v[20:21]
	v_mul_f64 v[12:13], v[4:5], v[20:21]
	s_delay_alu instid0(VALU_DEP_2) | instskip(NEXT) | instid1(VALU_DEP_2)
	v_fma_f64 v[40:41], v[4:5], v[18:19], v[10:11]
	v_fma_f64 v[18:19], v[2:3], v[18:19], -v[12:13]
	s_clause 0x1
	scratch_load_b128 v[2:5], off, off offset:912
	scratch_load_b128 v[10:13], off, off offset:928
	s_waitcnt vmcnt(1) lgkmcnt(0)
	v_mul_f64 v[16:17], v[6:7], v[4:5]
	v_mul_f64 v[4:5], v[8:9], v[4:5]
	s_delay_alu instid0(VALU_DEP_2) | instskip(NEXT) | instid1(VALU_DEP_2)
	v_fma_f64 v[42:43], v[8:9], v[2:3], v[16:17]
	v_fma_f64 v[44:45], v[6:7], v[2:3], -v[4:5]
	ds_load_b128 v[2:5], v1 offset:1936
	ds_load_b128 v[6:9], v1 offset:1952
	s_waitcnt vmcnt(0) lgkmcnt(1)
	v_mul_f64 v[16:17], v[2:3], v[12:13]
	s_delay_alu instid0(VALU_DEP_1) | instskip(SKIP_2) | instid1(VALU_DEP_2)
	v_fma_f64 v[46:47], v[4:5], v[10:11], v[16:17]
	v_mul_f64 v[4:5], v[4:5], v[12:13]
	v_add_f64 v[12:13], v[24:25], 0
	v_fma_f64 v[48:49], v[2:3], v[10:11], -v[4:5]
	v_add_f64 v[2:3], v[22:23], 0
	s_delay_alu instid0(VALU_DEP_3) | instskip(NEXT) | instid1(VALU_DEP_2)
	v_add_f64 v[16:17], v[12:13], v[32:33]
	v_add_f64 v[10:11], v[2:3], v[30:31]
	scratch_load_b128 v[2:5], off, off offset:944
	v_add_f64 v[22:23], v[16:17], v[34:35]
	v_add_f64 v[20:21], v[10:11], v[38:39]
	scratch_load_b128 v[10:13], off, off offset:960
	;; [unrolled: 3-line block ×4, first 2 shown]
	v_add_f64 v[22:23], v[22:23], v[42:43]
	v_add_f64 v[24:25], v[24:25], v[44:45]
	s_delay_alu instid0(VALU_DEP_2) | instskip(NEXT) | instid1(VALU_DEP_2)
	v_add_f64 v[22:23], v[22:23], v[46:47]
	v_add_f64 v[24:25], v[24:25], v[48:49]
	s_waitcnt vmcnt(3) lgkmcnt(0)
	v_mul_f64 v[30:31], v[6:7], v[4:5]
	v_mul_f64 v[4:5], v[8:9], v[4:5]
	s_delay_alu instid0(VALU_DEP_2) | instskip(NEXT) | instid1(VALU_DEP_2)
	v_fma_f64 v[30:31], v[8:9], v[2:3], v[30:31]
	v_fma_f64 v[32:33], v[6:7], v[2:3], -v[4:5]
	ds_load_b128 v[2:5], v1 offset:1968
	ds_load_b128 v[6:9], v1 offset:1984
	s_waitcnt vmcnt(2) lgkmcnt(1)
	v_mul_f64 v[34:35], v[2:3], v[12:13]
	v_mul_f64 v[12:13], v[4:5], v[12:13]
	s_waitcnt vmcnt(1) lgkmcnt(0)
	v_mul_f64 v[36:37], v[6:7], v[16:17]
	v_add_f64 v[22:23], v[22:23], v[30:31]
	s_delay_alu instid0(VALU_DEP_4) | instskip(NEXT) | instid1(VALU_DEP_4)
	v_fma_f64 v[34:35], v[4:5], v[10:11], v[34:35]
	v_fma_f64 v[10:11], v[2:3], v[10:11], -v[12:13]
	v_mul_f64 v[12:13], v[8:9], v[16:17]
	v_add_f64 v[16:17], v[24:25], v[32:33]
	ds_load_b128 v[2:5], v1 offset:2000
	v_fma_f64 v[8:9], v[8:9], v[14:15], v[36:37]
	s_waitcnt vmcnt(0) lgkmcnt(0)
	v_mul_f64 v[24:25], v[2:3], v[20:21]
	v_mul_f64 v[20:21], v[4:5], v[20:21]
	v_fma_f64 v[6:7], v[6:7], v[14:15], -v[12:13]
	v_add_f64 v[10:11], v[16:17], v[10:11]
	v_add_f64 v[12:13], v[22:23], v[34:35]
	v_fma_f64 v[4:5], v[4:5], v[18:19], v[24:25]
	v_fma_f64 v[2:3], v[2:3], v[18:19], -v[20:21]
	s_delay_alu instid0(VALU_DEP_4) | instskip(NEXT) | instid1(VALU_DEP_4)
	v_add_f64 v[6:7], v[10:11], v[6:7]
	v_add_f64 v[8:9], v[12:13], v[8:9]
	s_delay_alu instid0(VALU_DEP_2) | instskip(NEXT) | instid1(VALU_DEP_2)
	v_add_f64 v[2:3], v[6:7], v[2:3]
	v_add_f64 v[4:5], v[8:9], v[4:5]
	s_delay_alu instid0(VALU_DEP_2) | instskip(NEXT) | instid1(VALU_DEP_2)
	v_add_f64 v[2:3], v[26:27], -v[2:3]
	v_add_f64 v[4:5], v[28:29], -v[4:5]
	scratch_store_b128 off, v[2:5], off offset:816
	v_cmpx_lt_u32_e32 50, v176
	s_cbranch_execz .LBB62_303
; %bb.302:
	scratch_load_b32 v2, off, off offset:1052 ; 4-byte Folded Reload
	v_mov_b32_e32 v3, v1
	v_mov_b32_e32 v4, v1
	s_waitcnt vmcnt(0)
	scratch_load_b128 v[5:8], v2, off
	v_mov_b32_e32 v2, v1
	scratch_store_b128 off, v[1:4], off offset:800
	s_waitcnt vmcnt(0)
	ds_store_b128 v255, v[5:8]
.LBB62_303:
	s_or_b32 exec_lo, exec_lo, s2
	s_waitcnt lgkmcnt(0)
	s_waitcnt_vscnt null, 0x0
	s_barrier
	buffer_gl0_inv
	s_clause 0x4
	scratch_load_b128 v[2:5], off, off offset:816
	scratch_load_b128 v[6:9], off, off offset:832
	;; [unrolled: 1-line block ×5, first 2 shown]
	ds_load_b128 v[22:25], v1 offset:1824
	ds_load_b128 v[26:29], v1 offset:1840
	scratch_load_b128 v[30:33], off, off offset:800
	s_mov_b32 s2, exec_lo
	s_waitcnt vmcnt(5) lgkmcnt(1)
	v_mul_f64 v[34:35], v[24:25], v[4:5]
	v_mul_f64 v[4:5], v[22:23], v[4:5]
	s_waitcnt vmcnt(4) lgkmcnt(0)
	v_mul_f64 v[36:37], v[26:27], v[8:9]
	v_mul_f64 v[8:9], v[28:29], v[8:9]
	s_delay_alu instid0(VALU_DEP_4) | instskip(NEXT) | instid1(VALU_DEP_4)
	v_fma_f64 v[22:23], v[22:23], v[2:3], -v[34:35]
	v_fma_f64 v[24:25], v[24:25], v[2:3], v[4:5]
	ds_load_b128 v[2:5], v1 offset:1856
	v_fma_f64 v[28:29], v[28:29], v[6:7], v[36:37]
	v_fma_f64 v[26:27], v[26:27], v[6:7], -v[8:9]
	ds_load_b128 v[6:9], v1 offset:1872
	s_waitcnt vmcnt(3) lgkmcnt(1)
	v_mul_f64 v[34:35], v[2:3], v[12:13]
	v_mul_f64 v[12:13], v[4:5], v[12:13]
	s_waitcnt vmcnt(2) lgkmcnt(0)
	v_mul_f64 v[36:37], v[6:7], v[16:17]
	s_delay_alu instid0(VALU_DEP_3) | instskip(NEXT) | instid1(VALU_DEP_3)
	v_fma_f64 v[34:35], v[4:5], v[10:11], v[34:35]
	v_fma_f64 v[38:39], v[2:3], v[10:11], -v[12:13]
	v_mul_f64 v[10:11], v[8:9], v[16:17]
	ds_load_b128 v[2:5], v1 offset:1888
	v_fma_f64 v[16:17], v[8:9], v[14:15], v[36:37]
	v_fma_f64 v[14:15], v[6:7], v[14:15], -v[10:11]
	ds_load_b128 v[6:9], v1 offset:1904
	s_waitcnt vmcnt(1) lgkmcnt(1)
	v_mul_f64 v[10:11], v[2:3], v[20:21]
	v_mul_f64 v[12:13], v[4:5], v[20:21]
	s_delay_alu instid0(VALU_DEP_2) | instskip(NEXT) | instid1(VALU_DEP_2)
	v_fma_f64 v[20:21], v[4:5], v[18:19], v[10:11]
	v_fma_f64 v[18:19], v[2:3], v[18:19], -v[12:13]
	s_clause 0x1
	scratch_load_b128 v[2:5], off, off offset:896
	scratch_load_b128 v[10:13], off, off offset:912
	s_waitcnt vmcnt(1) lgkmcnt(0)
	v_mul_f64 v[36:37], v[6:7], v[4:5]
	v_mul_f64 v[4:5], v[8:9], v[4:5]
	s_delay_alu instid0(VALU_DEP_2) | instskip(NEXT) | instid1(VALU_DEP_2)
	v_fma_f64 v[36:37], v[8:9], v[2:3], v[36:37]
	v_fma_f64 v[40:41], v[6:7], v[2:3], -v[4:5]
	ds_load_b128 v[2:5], v1 offset:1920
	ds_load_b128 v[6:9], v1 offset:1936
	s_waitcnt vmcnt(0) lgkmcnt(1)
	v_mul_f64 v[42:43], v[2:3], v[12:13]
	s_delay_alu instid0(VALU_DEP_1) | instskip(SKIP_1) | instid1(VALU_DEP_1)
	v_fma_f64 v[42:43], v[4:5], v[10:11], v[42:43]
	v_mul_f64 v[4:5], v[4:5], v[12:13]
	v_fma_f64 v[44:45], v[2:3], v[10:11], -v[4:5]
	s_clause 0x1
	scratch_load_b128 v[2:5], off, off offset:928
	scratch_load_b128 v[10:13], off, off offset:944
	s_waitcnt vmcnt(1) lgkmcnt(0)
	v_mul_f64 v[46:47], v[6:7], v[4:5]
	v_mul_f64 v[4:5], v[8:9], v[4:5]
	s_delay_alu instid0(VALU_DEP_2) | instskip(NEXT) | instid1(VALU_DEP_2)
	v_fma_f64 v[46:47], v[8:9], v[2:3], v[46:47]
	v_fma_f64 v[48:49], v[6:7], v[2:3], -v[4:5]
	ds_load_b128 v[2:5], v1 offset:1952
	ds_load_b128 v[6:9], v1 offset:1968
	s_waitcnt vmcnt(0) lgkmcnt(1)
	v_mul_f64 v[52:53], v[2:3], v[12:13]
	s_delay_alu instid0(VALU_DEP_1) | instskip(SKIP_1) | instid1(VALU_DEP_1)
	v_fma_f64 v[52:53], v[4:5], v[10:11], v[52:53]
	v_mul_f64 v[4:5], v[4:5], v[12:13]
	v_fma_f64 v[54:55], v[2:3], v[10:11], -v[4:5]
	v_add_f64 v[2:3], v[22:23], 0
	v_add_f64 v[4:5], v[24:25], 0
	s_delay_alu instid0(VALU_DEP_2) | instskip(NEXT) | instid1(VALU_DEP_2)
	v_add_f64 v[2:3], v[2:3], v[26:27]
	v_add_f64 v[4:5], v[4:5], v[28:29]
	s_delay_alu instid0(VALU_DEP_2) | instskip(NEXT) | instid1(VALU_DEP_2)
	v_add_f64 v[2:3], v[2:3], v[38:39]
	v_add_f64 v[10:11], v[4:5], v[34:35]
	s_delay_alu instid0(VALU_DEP_2)
	v_add_f64 v[12:13], v[2:3], v[14:15]
	scratch_load_b128 v[2:5], off, off offset:960
	v_add_f64 v[14:15], v[10:11], v[16:17]
	v_add_f64 v[16:17], v[12:13], v[18:19]
	scratch_load_b128 v[10:13], off, off offset:976
	v_add_f64 v[18:19], v[14:15], v[20:21]
	;; [unrolled: 3-line block ×3, first 2 shown]
	v_add_f64 v[20:21], v[20:21], v[44:45]
	s_delay_alu instid0(VALU_DEP_2) | instskip(NEXT) | instid1(VALU_DEP_2)
	v_add_f64 v[18:19], v[18:19], v[42:43]
	v_add_f64 v[28:29], v[20:21], v[48:49]
	s_delay_alu instid0(VALU_DEP_2)
	v_add_f64 v[34:35], v[18:19], v[46:47]
	ds_load_b128 v[18:21], v1 offset:1984
	ds_load_b128 v[22:25], v1 offset:2000
	s_waitcnt vmcnt(2) lgkmcnt(2)
	v_mul_f64 v[26:27], v[6:7], v[4:5]
	v_mul_f64 v[4:5], v[8:9], v[4:5]
	s_waitcnt vmcnt(1) lgkmcnt(1)
	v_mul_f64 v[36:37], v[18:19], v[12:13]
	s_delay_alu instid0(VALU_DEP_3) | instskip(NEXT) | instid1(VALU_DEP_3)
	v_fma_f64 v[8:9], v[8:9], v[2:3], v[26:27]
	v_fma_f64 v[1:2], v[6:7], v[2:3], -v[4:5]
	v_mul_f64 v[3:4], v[20:21], v[12:13]
	v_add_f64 v[5:6], v[28:29], v[54:55]
	v_add_f64 v[12:13], v[34:35], v[52:53]
	s_waitcnt vmcnt(0) lgkmcnt(0)
	v_mul_f64 v[26:27], v[22:23], v[16:17]
	v_mul_f64 v[16:17], v[24:25], v[16:17]
	v_fma_f64 v[20:21], v[20:21], v[10:11], v[36:37]
	v_fma_f64 v[3:4], v[18:19], v[10:11], -v[3:4]
	v_add_f64 v[1:2], v[5:6], v[1:2]
	v_add_f64 v[5:6], v[12:13], v[8:9]
	v_fma_f64 v[7:8], v[24:25], v[14:15], v[26:27]
	v_fma_f64 v[9:10], v[22:23], v[14:15], -v[16:17]
	s_delay_alu instid0(VALU_DEP_4) | instskip(NEXT) | instid1(VALU_DEP_4)
	v_add_f64 v[1:2], v[1:2], v[3:4]
	v_add_f64 v[3:4], v[5:6], v[20:21]
	s_delay_alu instid0(VALU_DEP_2) | instskip(NEXT) | instid1(VALU_DEP_2)
	v_add_f64 v[1:2], v[1:2], v[9:10]
	v_add_f64 v[3:4], v[3:4], v[7:8]
	s_delay_alu instid0(VALU_DEP_2) | instskip(NEXT) | instid1(VALU_DEP_2)
	v_add_f64 v[1:2], v[30:31], -v[1:2]
	v_add_f64 v[3:4], v[32:33], -v[3:4]
	scratch_store_b128 off, v[1:4], off offset:800
	v_cmpx_lt_u32_e32 49, v176
	s_cbranch_execz .LBB62_305
; %bb.304:
	scratch_load_b32 v1, off, off offset:1056 ; 4-byte Folded Reload
	v_mov_b32_e32 v5, 0
	s_delay_alu instid0(VALU_DEP_1)
	v_mov_b32_e32 v6, v5
	v_mov_b32_e32 v7, v5
	;; [unrolled: 1-line block ×3, first 2 shown]
	s_waitcnt vmcnt(0)
	scratch_load_b128 v[1:4], v1, off
	scratch_store_b128 off, v[5:8], off offset:784
	s_waitcnt vmcnt(0)
	ds_store_b128 v255, v[1:4]
.LBB62_305:
	s_or_b32 exec_lo, exec_lo, s2
	s_waitcnt lgkmcnt(0)
	s_waitcnt_vscnt null, 0x0
	s_barrier
	buffer_gl0_inv
	s_clause 0x4
	scratch_load_b128 v[2:5], off, off offset:800
	scratch_load_b128 v[6:9], off, off offset:816
	;; [unrolled: 1-line block ×5, first 2 shown]
	v_mov_b32_e32 v1, 0
	scratch_load_b128 v[26:29], off, off offset:784
	s_mov_b32 s2, exec_lo
	ds_load_b128 v[22:25], v1 offset:1808
	ds_load_b128 v[30:33], v1 offset:1824
	s_waitcnt vmcnt(5) lgkmcnt(1)
	v_mul_f64 v[34:35], v[24:25], v[4:5]
	v_mul_f64 v[4:5], v[22:23], v[4:5]
	s_waitcnt vmcnt(4) lgkmcnt(0)
	v_mul_f64 v[36:37], v[30:31], v[8:9]
	v_mul_f64 v[8:9], v[32:33], v[8:9]
	s_delay_alu instid0(VALU_DEP_4) | instskip(NEXT) | instid1(VALU_DEP_4)
	v_fma_f64 v[22:23], v[22:23], v[2:3], -v[34:35]
	v_fma_f64 v[24:25], v[24:25], v[2:3], v[4:5]
	ds_load_b128 v[2:5], v1 offset:1840
	v_fma_f64 v[32:33], v[32:33], v[6:7], v[36:37]
	v_fma_f64 v[30:31], v[30:31], v[6:7], -v[8:9]
	ds_load_b128 v[6:9], v1 offset:1856
	s_waitcnt vmcnt(3) lgkmcnt(1)
	v_mul_f64 v[34:35], v[2:3], v[12:13]
	v_mul_f64 v[12:13], v[4:5], v[12:13]
	s_waitcnt vmcnt(2) lgkmcnt(0)
	v_mul_f64 v[36:37], v[6:7], v[16:17]
	s_delay_alu instid0(VALU_DEP_3) | instskip(NEXT) | instid1(VALU_DEP_3)
	v_fma_f64 v[34:35], v[4:5], v[10:11], v[34:35]
	v_fma_f64 v[38:39], v[2:3], v[10:11], -v[12:13]
	v_mul_f64 v[10:11], v[8:9], v[16:17]
	ds_load_b128 v[2:5], v1 offset:1872
	v_fma_f64 v[16:17], v[8:9], v[14:15], v[36:37]
	v_fma_f64 v[14:15], v[6:7], v[14:15], -v[10:11]
	ds_load_b128 v[6:9], v1 offset:1888
	s_waitcnt vmcnt(1) lgkmcnt(1)
	v_mul_f64 v[10:11], v[2:3], v[20:21]
	v_mul_f64 v[12:13], v[4:5], v[20:21]
	s_delay_alu instid0(VALU_DEP_2) | instskip(NEXT) | instid1(VALU_DEP_2)
	v_fma_f64 v[20:21], v[4:5], v[18:19], v[10:11]
	v_fma_f64 v[18:19], v[2:3], v[18:19], -v[12:13]
	s_clause 0x1
	scratch_load_b128 v[2:5], off, off offset:880
	scratch_load_b128 v[10:13], off, off offset:896
	s_waitcnt vmcnt(1) lgkmcnt(0)
	v_mul_f64 v[36:37], v[6:7], v[4:5]
	v_mul_f64 v[4:5], v[8:9], v[4:5]
	s_delay_alu instid0(VALU_DEP_2) | instskip(NEXT) | instid1(VALU_DEP_2)
	v_fma_f64 v[36:37], v[8:9], v[2:3], v[36:37]
	v_fma_f64 v[40:41], v[6:7], v[2:3], -v[4:5]
	ds_load_b128 v[2:5], v1 offset:1904
	ds_load_b128 v[6:9], v1 offset:1920
	s_waitcnt vmcnt(0) lgkmcnt(1)
	v_mul_f64 v[42:43], v[2:3], v[12:13]
	s_delay_alu instid0(VALU_DEP_1) | instskip(SKIP_1) | instid1(VALU_DEP_1)
	v_fma_f64 v[42:43], v[4:5], v[10:11], v[42:43]
	v_mul_f64 v[4:5], v[4:5], v[12:13]
	v_fma_f64 v[44:45], v[2:3], v[10:11], -v[4:5]
	s_clause 0x1
	scratch_load_b128 v[2:5], off, off offset:912
	scratch_load_b128 v[10:13], off, off offset:928
	s_waitcnt vmcnt(1) lgkmcnt(0)
	v_mul_f64 v[46:47], v[6:7], v[4:5]
	v_mul_f64 v[4:5], v[8:9], v[4:5]
	s_delay_alu instid0(VALU_DEP_2) | instskip(NEXT) | instid1(VALU_DEP_2)
	v_fma_f64 v[46:47], v[8:9], v[2:3], v[46:47]
	v_fma_f64 v[48:49], v[6:7], v[2:3], -v[4:5]
	ds_load_b128 v[2:5], v1 offset:1936
	ds_load_b128 v[6:9], v1 offset:1952
	s_waitcnt vmcnt(0) lgkmcnt(1)
	v_mul_f64 v[52:53], v[2:3], v[12:13]
	s_delay_alu instid0(VALU_DEP_1) | instskip(SKIP_1) | instid1(VALU_DEP_1)
	v_fma_f64 v[52:53], v[4:5], v[10:11], v[52:53]
	v_mul_f64 v[4:5], v[4:5], v[12:13]
	v_fma_f64 v[54:55], v[2:3], v[10:11], -v[4:5]
	v_add_f64 v[2:3], v[22:23], 0
	v_add_f64 v[4:5], v[24:25], 0
	s_delay_alu instid0(VALU_DEP_2) | instskip(NEXT) | instid1(VALU_DEP_2)
	v_add_f64 v[2:3], v[2:3], v[30:31]
	v_add_f64 v[4:5], v[4:5], v[32:33]
	s_delay_alu instid0(VALU_DEP_2) | instskip(NEXT) | instid1(VALU_DEP_2)
	v_add_f64 v[2:3], v[2:3], v[38:39]
	v_add_f64 v[10:11], v[4:5], v[34:35]
	s_delay_alu instid0(VALU_DEP_2)
	v_add_f64 v[12:13], v[2:3], v[14:15]
	scratch_load_b128 v[2:5], off, off offset:944
	v_add_f64 v[14:15], v[10:11], v[16:17]
	v_add_f64 v[16:17], v[12:13], v[18:19]
	scratch_load_b128 v[10:13], off, off offset:960
	v_add_f64 v[18:19], v[14:15], v[20:21]
	;; [unrolled: 3-line block ×4, first 2 shown]
	v_add_f64 v[24:25], v[24:25], v[48:49]
	s_delay_alu instid0(VALU_DEP_2) | instskip(NEXT) | instid1(VALU_DEP_2)
	v_add_f64 v[22:23], v[22:23], v[46:47]
	v_add_f64 v[24:25], v[24:25], v[54:55]
	s_delay_alu instid0(VALU_DEP_2) | instskip(SKIP_3) | instid1(VALU_DEP_2)
	v_add_f64 v[22:23], v[22:23], v[52:53]
	s_waitcnt vmcnt(3) lgkmcnt(0)
	v_mul_f64 v[30:31], v[6:7], v[4:5]
	v_mul_f64 v[4:5], v[8:9], v[4:5]
	v_fma_f64 v[30:31], v[8:9], v[2:3], v[30:31]
	s_delay_alu instid0(VALU_DEP_2)
	v_fma_f64 v[32:33], v[6:7], v[2:3], -v[4:5]
	ds_load_b128 v[2:5], v1 offset:1968
	ds_load_b128 v[6:9], v1 offset:1984
	s_waitcnt vmcnt(2) lgkmcnt(1)
	v_mul_f64 v[34:35], v[2:3], v[12:13]
	v_mul_f64 v[12:13], v[4:5], v[12:13]
	s_waitcnt vmcnt(1) lgkmcnt(0)
	v_mul_f64 v[36:37], v[6:7], v[16:17]
	v_add_f64 v[22:23], v[22:23], v[30:31]
	s_delay_alu instid0(VALU_DEP_4) | instskip(NEXT) | instid1(VALU_DEP_4)
	v_fma_f64 v[34:35], v[4:5], v[10:11], v[34:35]
	v_fma_f64 v[10:11], v[2:3], v[10:11], -v[12:13]
	v_mul_f64 v[12:13], v[8:9], v[16:17]
	v_add_f64 v[16:17], v[24:25], v[32:33]
	ds_load_b128 v[2:5], v1 offset:2000
	v_fma_f64 v[8:9], v[8:9], v[14:15], v[36:37]
	s_waitcnt vmcnt(0) lgkmcnt(0)
	v_mul_f64 v[24:25], v[2:3], v[20:21]
	v_mul_f64 v[20:21], v[4:5], v[20:21]
	v_fma_f64 v[6:7], v[6:7], v[14:15], -v[12:13]
	v_add_f64 v[10:11], v[16:17], v[10:11]
	v_add_f64 v[12:13], v[22:23], v[34:35]
	v_fma_f64 v[4:5], v[4:5], v[18:19], v[24:25]
	v_fma_f64 v[2:3], v[2:3], v[18:19], -v[20:21]
	s_delay_alu instid0(VALU_DEP_4) | instskip(NEXT) | instid1(VALU_DEP_4)
	v_add_f64 v[6:7], v[10:11], v[6:7]
	v_add_f64 v[8:9], v[12:13], v[8:9]
	s_delay_alu instid0(VALU_DEP_2) | instskip(NEXT) | instid1(VALU_DEP_2)
	v_add_f64 v[2:3], v[6:7], v[2:3]
	v_add_f64 v[4:5], v[8:9], v[4:5]
	s_delay_alu instid0(VALU_DEP_2) | instskip(NEXT) | instid1(VALU_DEP_2)
	v_add_f64 v[2:3], v[26:27], -v[2:3]
	v_add_f64 v[4:5], v[28:29], -v[4:5]
	scratch_store_b128 off, v[2:5], off offset:784
	v_cmpx_lt_u32_e32 48, v176
	s_cbranch_execz .LBB62_307
; %bb.306:
	scratch_load_b32 v2, off, off offset:1060 ; 4-byte Folded Reload
	v_mov_b32_e32 v3, v1
	v_mov_b32_e32 v4, v1
	s_waitcnt vmcnt(0)
	scratch_load_b128 v[5:8], v2, off
	v_mov_b32_e32 v2, v1
	scratch_store_b128 off, v[1:4], off offset:768
	s_waitcnt vmcnt(0)
	ds_store_b128 v255, v[5:8]
.LBB62_307:
	s_or_b32 exec_lo, exec_lo, s2
	s_waitcnt lgkmcnt(0)
	s_waitcnt_vscnt null, 0x0
	s_barrier
	buffer_gl0_inv
	s_clause 0x4
	scratch_load_b128 v[2:5], off, off offset:784
	scratch_load_b128 v[6:9], off, off offset:800
	;; [unrolled: 1-line block ×5, first 2 shown]
	ds_load_b128 v[22:25], v1 offset:1792
	ds_load_b128 v[26:29], v1 offset:1808
	scratch_load_b128 v[30:33], off, off offset:768
	s_mov_b32 s2, exec_lo
	s_waitcnt vmcnt(5) lgkmcnt(1)
	v_mul_f64 v[34:35], v[24:25], v[4:5]
	v_mul_f64 v[4:5], v[22:23], v[4:5]
	s_waitcnt vmcnt(4) lgkmcnt(0)
	v_mul_f64 v[36:37], v[26:27], v[8:9]
	v_mul_f64 v[8:9], v[28:29], v[8:9]
	s_delay_alu instid0(VALU_DEP_4) | instskip(NEXT) | instid1(VALU_DEP_4)
	v_fma_f64 v[22:23], v[22:23], v[2:3], -v[34:35]
	v_fma_f64 v[24:25], v[24:25], v[2:3], v[4:5]
	ds_load_b128 v[2:5], v1 offset:1824
	v_fma_f64 v[28:29], v[28:29], v[6:7], v[36:37]
	v_fma_f64 v[26:27], v[26:27], v[6:7], -v[8:9]
	ds_load_b128 v[6:9], v1 offset:1840
	s_waitcnt vmcnt(3) lgkmcnt(1)
	v_mul_f64 v[34:35], v[2:3], v[12:13]
	v_mul_f64 v[12:13], v[4:5], v[12:13]
	s_waitcnt vmcnt(2) lgkmcnt(0)
	v_mul_f64 v[36:37], v[6:7], v[16:17]
	s_delay_alu instid0(VALU_DEP_3) | instskip(NEXT) | instid1(VALU_DEP_3)
	v_fma_f64 v[34:35], v[4:5], v[10:11], v[34:35]
	v_fma_f64 v[38:39], v[2:3], v[10:11], -v[12:13]
	v_mul_f64 v[10:11], v[8:9], v[16:17]
	ds_load_b128 v[2:5], v1 offset:1856
	v_fma_f64 v[16:17], v[8:9], v[14:15], v[36:37]
	v_fma_f64 v[14:15], v[6:7], v[14:15], -v[10:11]
	ds_load_b128 v[6:9], v1 offset:1872
	s_waitcnt vmcnt(1) lgkmcnt(1)
	v_mul_f64 v[10:11], v[2:3], v[20:21]
	v_mul_f64 v[12:13], v[4:5], v[20:21]
	s_delay_alu instid0(VALU_DEP_2) | instskip(NEXT) | instid1(VALU_DEP_2)
	v_fma_f64 v[20:21], v[4:5], v[18:19], v[10:11]
	v_fma_f64 v[18:19], v[2:3], v[18:19], -v[12:13]
	s_clause 0x1
	scratch_load_b128 v[2:5], off, off offset:864
	scratch_load_b128 v[10:13], off, off offset:880
	s_waitcnt vmcnt(1) lgkmcnt(0)
	v_mul_f64 v[36:37], v[6:7], v[4:5]
	v_mul_f64 v[4:5], v[8:9], v[4:5]
	s_delay_alu instid0(VALU_DEP_2) | instskip(NEXT) | instid1(VALU_DEP_2)
	v_fma_f64 v[36:37], v[8:9], v[2:3], v[36:37]
	v_fma_f64 v[40:41], v[6:7], v[2:3], -v[4:5]
	ds_load_b128 v[2:5], v1 offset:1888
	ds_load_b128 v[6:9], v1 offset:1904
	s_waitcnt vmcnt(0) lgkmcnt(1)
	v_mul_f64 v[42:43], v[2:3], v[12:13]
	s_delay_alu instid0(VALU_DEP_1) | instskip(SKIP_1) | instid1(VALU_DEP_1)
	v_fma_f64 v[42:43], v[4:5], v[10:11], v[42:43]
	v_mul_f64 v[4:5], v[4:5], v[12:13]
	v_fma_f64 v[44:45], v[2:3], v[10:11], -v[4:5]
	s_clause 0x1
	scratch_load_b128 v[2:5], off, off offset:896
	scratch_load_b128 v[10:13], off, off offset:912
	s_waitcnt vmcnt(1) lgkmcnt(0)
	v_mul_f64 v[46:47], v[6:7], v[4:5]
	v_mul_f64 v[4:5], v[8:9], v[4:5]
	s_delay_alu instid0(VALU_DEP_2) | instskip(NEXT) | instid1(VALU_DEP_2)
	v_fma_f64 v[46:47], v[8:9], v[2:3], v[46:47]
	v_fma_f64 v[48:49], v[6:7], v[2:3], -v[4:5]
	ds_load_b128 v[2:5], v1 offset:1920
	ds_load_b128 v[6:9], v1 offset:1936
	s_waitcnt vmcnt(0) lgkmcnt(1)
	v_mul_f64 v[52:53], v[2:3], v[12:13]
	s_delay_alu instid0(VALU_DEP_1) | instskip(SKIP_1) | instid1(VALU_DEP_1)
	v_fma_f64 v[52:53], v[4:5], v[10:11], v[52:53]
	v_mul_f64 v[4:5], v[4:5], v[12:13]
	;; [unrolled: 17-line block ×3, first 2 shown]
	v_fma_f64 v[62:63], v[2:3], v[10:11], -v[4:5]
	v_add_f64 v[2:3], v[22:23], 0
	v_add_f64 v[4:5], v[24:25], 0
	s_delay_alu instid0(VALU_DEP_2) | instskip(NEXT) | instid1(VALU_DEP_2)
	v_add_f64 v[2:3], v[2:3], v[26:27]
	v_add_f64 v[4:5], v[4:5], v[28:29]
	s_delay_alu instid0(VALU_DEP_2) | instskip(NEXT) | instid1(VALU_DEP_2)
	;; [unrolled: 3-line block ×4, first 2 shown]
	v_add_f64 v[2:3], v[2:3], v[18:19]
	v_add_f64 v[10:11], v[4:5], v[20:21]
	s_delay_alu instid0(VALU_DEP_2)
	v_add_f64 v[12:13], v[2:3], v[40:41]
	scratch_load_b128 v[2:5], off, off offset:960
	v_add_f64 v[14:15], v[10:11], v[36:37]
	v_add_f64 v[16:17], v[12:13], v[44:45]
	scratch_load_b128 v[10:13], off, off offset:976
	v_add_f64 v[18:19], v[14:15], v[42:43]
	;; [unrolled: 3-line block ×3, first 2 shown]
	v_add_f64 v[20:21], v[20:21], v[54:55]
	s_delay_alu instid0(VALU_DEP_2) | instskip(NEXT) | instid1(VALU_DEP_2)
	v_add_f64 v[18:19], v[18:19], v[52:53]
	v_add_f64 v[28:29], v[20:21], v[58:59]
	s_delay_alu instid0(VALU_DEP_2)
	v_add_f64 v[34:35], v[18:19], v[56:57]
	ds_load_b128 v[18:21], v1 offset:1984
	ds_load_b128 v[22:25], v1 offset:2000
	s_waitcnt vmcnt(2) lgkmcnt(2)
	v_mul_f64 v[26:27], v[6:7], v[4:5]
	v_mul_f64 v[4:5], v[8:9], v[4:5]
	s_waitcnt vmcnt(1) lgkmcnt(1)
	v_mul_f64 v[36:37], v[18:19], v[12:13]
	s_delay_alu instid0(VALU_DEP_3) | instskip(NEXT) | instid1(VALU_DEP_3)
	v_fma_f64 v[8:9], v[8:9], v[2:3], v[26:27]
	v_fma_f64 v[1:2], v[6:7], v[2:3], -v[4:5]
	v_mul_f64 v[3:4], v[20:21], v[12:13]
	v_add_f64 v[5:6], v[28:29], v[62:63]
	v_add_f64 v[12:13], v[34:35], v[60:61]
	s_waitcnt vmcnt(0) lgkmcnt(0)
	v_mul_f64 v[26:27], v[22:23], v[16:17]
	v_mul_f64 v[16:17], v[24:25], v[16:17]
	v_fma_f64 v[20:21], v[20:21], v[10:11], v[36:37]
	v_fma_f64 v[3:4], v[18:19], v[10:11], -v[3:4]
	v_add_f64 v[1:2], v[5:6], v[1:2]
	v_add_f64 v[5:6], v[12:13], v[8:9]
	v_fma_f64 v[7:8], v[24:25], v[14:15], v[26:27]
	v_fma_f64 v[9:10], v[22:23], v[14:15], -v[16:17]
	s_delay_alu instid0(VALU_DEP_4) | instskip(NEXT) | instid1(VALU_DEP_4)
	v_add_f64 v[1:2], v[1:2], v[3:4]
	v_add_f64 v[3:4], v[5:6], v[20:21]
	s_delay_alu instid0(VALU_DEP_2) | instskip(NEXT) | instid1(VALU_DEP_2)
	v_add_f64 v[1:2], v[1:2], v[9:10]
	v_add_f64 v[3:4], v[3:4], v[7:8]
	s_delay_alu instid0(VALU_DEP_2) | instskip(NEXT) | instid1(VALU_DEP_2)
	v_add_f64 v[1:2], v[30:31], -v[1:2]
	v_add_f64 v[3:4], v[32:33], -v[3:4]
	scratch_store_b128 off, v[1:4], off offset:768
	v_cmpx_lt_u32_e32 47, v176
	s_cbranch_execz .LBB62_309
; %bb.308:
	scratch_load_b32 v1, off, off offset:1064 ; 4-byte Folded Reload
	v_mov_b32_e32 v5, 0
	s_delay_alu instid0(VALU_DEP_1)
	v_mov_b32_e32 v6, v5
	v_mov_b32_e32 v7, v5
	;; [unrolled: 1-line block ×3, first 2 shown]
	s_waitcnt vmcnt(0)
	scratch_load_b128 v[1:4], v1, off
	scratch_store_b128 off, v[5:8], off offset:752
	s_waitcnt vmcnt(0)
	ds_store_b128 v255, v[1:4]
.LBB62_309:
	s_or_b32 exec_lo, exec_lo, s2
	s_waitcnt lgkmcnt(0)
	s_waitcnt_vscnt null, 0x0
	s_barrier
	buffer_gl0_inv
	s_clause 0x4
	scratch_load_b128 v[2:5], off, off offset:768
	scratch_load_b128 v[6:9], off, off offset:784
	;; [unrolled: 1-line block ×5, first 2 shown]
	v_mov_b32_e32 v1, 0
	scratch_load_b128 v[26:29], off, off offset:752
	s_mov_b32 s2, exec_lo
	ds_load_b128 v[22:25], v1 offset:1776
	ds_load_b128 v[30:33], v1 offset:1792
	s_waitcnt vmcnt(5) lgkmcnt(1)
	v_mul_f64 v[34:35], v[24:25], v[4:5]
	v_mul_f64 v[4:5], v[22:23], v[4:5]
	s_waitcnt vmcnt(4) lgkmcnt(0)
	v_mul_f64 v[36:37], v[30:31], v[8:9]
	v_mul_f64 v[8:9], v[32:33], v[8:9]
	s_delay_alu instid0(VALU_DEP_4) | instskip(NEXT) | instid1(VALU_DEP_4)
	v_fma_f64 v[22:23], v[22:23], v[2:3], -v[34:35]
	v_fma_f64 v[24:25], v[24:25], v[2:3], v[4:5]
	ds_load_b128 v[2:5], v1 offset:1808
	v_fma_f64 v[32:33], v[32:33], v[6:7], v[36:37]
	v_fma_f64 v[30:31], v[30:31], v[6:7], -v[8:9]
	ds_load_b128 v[6:9], v1 offset:1824
	s_waitcnt vmcnt(3) lgkmcnt(1)
	v_mul_f64 v[34:35], v[2:3], v[12:13]
	v_mul_f64 v[12:13], v[4:5], v[12:13]
	s_waitcnt vmcnt(2) lgkmcnt(0)
	v_mul_f64 v[36:37], v[6:7], v[16:17]
	s_delay_alu instid0(VALU_DEP_3) | instskip(NEXT) | instid1(VALU_DEP_3)
	v_fma_f64 v[34:35], v[4:5], v[10:11], v[34:35]
	v_fma_f64 v[38:39], v[2:3], v[10:11], -v[12:13]
	v_mul_f64 v[10:11], v[8:9], v[16:17]
	ds_load_b128 v[2:5], v1 offset:1840
	v_fma_f64 v[16:17], v[8:9], v[14:15], v[36:37]
	v_fma_f64 v[14:15], v[6:7], v[14:15], -v[10:11]
	ds_load_b128 v[6:9], v1 offset:1856
	s_waitcnt vmcnt(1) lgkmcnt(1)
	v_mul_f64 v[10:11], v[2:3], v[20:21]
	v_mul_f64 v[12:13], v[4:5], v[20:21]
	s_delay_alu instid0(VALU_DEP_2) | instskip(NEXT) | instid1(VALU_DEP_2)
	v_fma_f64 v[20:21], v[4:5], v[18:19], v[10:11]
	v_fma_f64 v[18:19], v[2:3], v[18:19], -v[12:13]
	s_clause 0x1
	scratch_load_b128 v[2:5], off, off offset:848
	scratch_load_b128 v[10:13], off, off offset:864
	s_waitcnt vmcnt(1) lgkmcnt(0)
	v_mul_f64 v[36:37], v[6:7], v[4:5]
	v_mul_f64 v[4:5], v[8:9], v[4:5]
	s_delay_alu instid0(VALU_DEP_2) | instskip(NEXT) | instid1(VALU_DEP_2)
	v_fma_f64 v[36:37], v[8:9], v[2:3], v[36:37]
	v_fma_f64 v[40:41], v[6:7], v[2:3], -v[4:5]
	ds_load_b128 v[2:5], v1 offset:1872
	ds_load_b128 v[6:9], v1 offset:1888
	s_waitcnt vmcnt(0) lgkmcnt(1)
	v_mul_f64 v[42:43], v[2:3], v[12:13]
	s_delay_alu instid0(VALU_DEP_1) | instskip(SKIP_1) | instid1(VALU_DEP_1)
	v_fma_f64 v[42:43], v[4:5], v[10:11], v[42:43]
	v_mul_f64 v[4:5], v[4:5], v[12:13]
	v_fma_f64 v[44:45], v[2:3], v[10:11], -v[4:5]
	s_clause 0x1
	scratch_load_b128 v[2:5], off, off offset:880
	scratch_load_b128 v[10:13], off, off offset:896
	s_waitcnt vmcnt(1) lgkmcnt(0)
	v_mul_f64 v[46:47], v[6:7], v[4:5]
	v_mul_f64 v[4:5], v[8:9], v[4:5]
	s_delay_alu instid0(VALU_DEP_2) | instskip(NEXT) | instid1(VALU_DEP_2)
	v_fma_f64 v[46:47], v[8:9], v[2:3], v[46:47]
	v_fma_f64 v[48:49], v[6:7], v[2:3], -v[4:5]
	ds_load_b128 v[2:5], v1 offset:1904
	ds_load_b128 v[6:9], v1 offset:1920
	s_waitcnt vmcnt(0) lgkmcnt(1)
	v_mul_f64 v[52:53], v[2:3], v[12:13]
	s_delay_alu instid0(VALU_DEP_1) | instskip(SKIP_1) | instid1(VALU_DEP_1)
	v_fma_f64 v[52:53], v[4:5], v[10:11], v[52:53]
	v_mul_f64 v[4:5], v[4:5], v[12:13]
	;; [unrolled: 17-line block ×3, first 2 shown]
	v_fma_f64 v[62:63], v[2:3], v[10:11], -v[4:5]
	v_add_f64 v[2:3], v[22:23], 0
	v_add_f64 v[4:5], v[24:25], 0
	s_delay_alu instid0(VALU_DEP_2) | instskip(NEXT) | instid1(VALU_DEP_2)
	v_add_f64 v[2:3], v[2:3], v[30:31]
	v_add_f64 v[4:5], v[4:5], v[32:33]
	s_delay_alu instid0(VALU_DEP_2) | instskip(NEXT) | instid1(VALU_DEP_2)
	;; [unrolled: 3-line block ×4, first 2 shown]
	v_add_f64 v[2:3], v[2:3], v[18:19]
	v_add_f64 v[10:11], v[4:5], v[20:21]
	s_delay_alu instid0(VALU_DEP_2)
	v_add_f64 v[12:13], v[2:3], v[40:41]
	scratch_load_b128 v[2:5], off, off offset:944
	v_add_f64 v[14:15], v[10:11], v[36:37]
	v_add_f64 v[16:17], v[12:13], v[44:45]
	scratch_load_b128 v[10:13], off, off offset:960
	v_add_f64 v[18:19], v[14:15], v[42:43]
	;; [unrolled: 3-line block ×4, first 2 shown]
	v_add_f64 v[24:25], v[24:25], v[58:59]
	s_delay_alu instid0(VALU_DEP_2) | instskip(NEXT) | instid1(VALU_DEP_2)
	v_add_f64 v[22:23], v[22:23], v[56:57]
	v_add_f64 v[24:25], v[24:25], v[62:63]
	s_delay_alu instid0(VALU_DEP_2) | instskip(SKIP_3) | instid1(VALU_DEP_2)
	v_add_f64 v[22:23], v[22:23], v[60:61]
	s_waitcnt vmcnt(3) lgkmcnt(0)
	v_mul_f64 v[30:31], v[6:7], v[4:5]
	v_mul_f64 v[4:5], v[8:9], v[4:5]
	v_fma_f64 v[30:31], v[8:9], v[2:3], v[30:31]
	s_delay_alu instid0(VALU_DEP_2)
	v_fma_f64 v[32:33], v[6:7], v[2:3], -v[4:5]
	ds_load_b128 v[2:5], v1 offset:1968
	ds_load_b128 v[6:9], v1 offset:1984
	s_waitcnt vmcnt(2) lgkmcnt(1)
	v_mul_f64 v[34:35], v[2:3], v[12:13]
	v_mul_f64 v[12:13], v[4:5], v[12:13]
	s_waitcnt vmcnt(1) lgkmcnt(0)
	v_mul_f64 v[36:37], v[6:7], v[16:17]
	v_add_f64 v[22:23], v[22:23], v[30:31]
	s_delay_alu instid0(VALU_DEP_4) | instskip(NEXT) | instid1(VALU_DEP_4)
	v_fma_f64 v[34:35], v[4:5], v[10:11], v[34:35]
	v_fma_f64 v[10:11], v[2:3], v[10:11], -v[12:13]
	v_mul_f64 v[12:13], v[8:9], v[16:17]
	v_add_f64 v[16:17], v[24:25], v[32:33]
	ds_load_b128 v[2:5], v1 offset:2000
	v_fma_f64 v[8:9], v[8:9], v[14:15], v[36:37]
	s_waitcnt vmcnt(0) lgkmcnt(0)
	v_mul_f64 v[24:25], v[2:3], v[20:21]
	v_mul_f64 v[20:21], v[4:5], v[20:21]
	v_fma_f64 v[6:7], v[6:7], v[14:15], -v[12:13]
	v_add_f64 v[10:11], v[16:17], v[10:11]
	v_add_f64 v[12:13], v[22:23], v[34:35]
	v_fma_f64 v[4:5], v[4:5], v[18:19], v[24:25]
	v_fma_f64 v[2:3], v[2:3], v[18:19], -v[20:21]
	s_delay_alu instid0(VALU_DEP_4) | instskip(NEXT) | instid1(VALU_DEP_4)
	v_add_f64 v[6:7], v[10:11], v[6:7]
	v_add_f64 v[8:9], v[12:13], v[8:9]
	s_delay_alu instid0(VALU_DEP_2) | instskip(NEXT) | instid1(VALU_DEP_2)
	v_add_f64 v[2:3], v[6:7], v[2:3]
	v_add_f64 v[4:5], v[8:9], v[4:5]
	s_delay_alu instid0(VALU_DEP_2) | instskip(NEXT) | instid1(VALU_DEP_2)
	v_add_f64 v[2:3], v[26:27], -v[2:3]
	v_add_f64 v[4:5], v[28:29], -v[4:5]
	scratch_store_b128 off, v[2:5], off offset:752
	v_cmpx_lt_u32_e32 46, v176
	s_cbranch_execz .LBB62_311
; %bb.310:
	scratch_load_b32 v2, off, off offset:1068 ; 4-byte Folded Reload
	v_mov_b32_e32 v3, v1
	v_mov_b32_e32 v4, v1
	s_waitcnt vmcnt(0)
	scratch_load_b128 v[5:8], v2, off
	v_mov_b32_e32 v2, v1
	scratch_store_b128 off, v[1:4], off offset:736
	s_waitcnt vmcnt(0)
	ds_store_b128 v255, v[5:8]
.LBB62_311:
	s_or_b32 exec_lo, exec_lo, s2
	s_waitcnt lgkmcnt(0)
	s_waitcnt_vscnt null, 0x0
	s_barrier
	buffer_gl0_inv
	s_clause 0x4
	scratch_load_b128 v[2:5], off, off offset:752
	scratch_load_b128 v[6:9], off, off offset:768
	;; [unrolled: 1-line block ×5, first 2 shown]
	ds_load_b128 v[22:25], v1 offset:1760
	ds_load_b128 v[26:29], v1 offset:1776
	scratch_load_b128 v[30:33], off, off offset:736
	s_mov_b32 s2, exec_lo
	s_waitcnt vmcnt(5) lgkmcnt(1)
	v_mul_f64 v[34:35], v[24:25], v[4:5]
	v_mul_f64 v[4:5], v[22:23], v[4:5]
	s_waitcnt vmcnt(4) lgkmcnt(0)
	v_mul_f64 v[36:37], v[26:27], v[8:9]
	v_mul_f64 v[8:9], v[28:29], v[8:9]
	s_delay_alu instid0(VALU_DEP_4) | instskip(NEXT) | instid1(VALU_DEP_4)
	v_fma_f64 v[22:23], v[22:23], v[2:3], -v[34:35]
	v_fma_f64 v[24:25], v[24:25], v[2:3], v[4:5]
	ds_load_b128 v[2:5], v1 offset:1792
	v_fma_f64 v[28:29], v[28:29], v[6:7], v[36:37]
	v_fma_f64 v[26:27], v[26:27], v[6:7], -v[8:9]
	ds_load_b128 v[6:9], v1 offset:1808
	s_waitcnt vmcnt(3) lgkmcnt(1)
	v_mul_f64 v[34:35], v[2:3], v[12:13]
	v_mul_f64 v[12:13], v[4:5], v[12:13]
	s_waitcnt vmcnt(2) lgkmcnt(0)
	v_mul_f64 v[36:37], v[6:7], v[16:17]
	s_delay_alu instid0(VALU_DEP_3) | instskip(NEXT) | instid1(VALU_DEP_3)
	v_fma_f64 v[34:35], v[4:5], v[10:11], v[34:35]
	v_fma_f64 v[38:39], v[2:3], v[10:11], -v[12:13]
	v_mul_f64 v[10:11], v[8:9], v[16:17]
	ds_load_b128 v[2:5], v1 offset:1824
	v_fma_f64 v[16:17], v[8:9], v[14:15], v[36:37]
	v_fma_f64 v[14:15], v[6:7], v[14:15], -v[10:11]
	ds_load_b128 v[6:9], v1 offset:1840
	s_waitcnt vmcnt(1) lgkmcnt(1)
	v_mul_f64 v[10:11], v[2:3], v[20:21]
	v_mul_f64 v[12:13], v[4:5], v[20:21]
	s_delay_alu instid0(VALU_DEP_2) | instskip(NEXT) | instid1(VALU_DEP_2)
	v_fma_f64 v[20:21], v[4:5], v[18:19], v[10:11]
	v_fma_f64 v[18:19], v[2:3], v[18:19], -v[12:13]
	s_clause 0x1
	scratch_load_b128 v[2:5], off, off offset:832
	scratch_load_b128 v[10:13], off, off offset:848
	s_waitcnt vmcnt(1) lgkmcnt(0)
	v_mul_f64 v[36:37], v[6:7], v[4:5]
	v_mul_f64 v[4:5], v[8:9], v[4:5]
	s_delay_alu instid0(VALU_DEP_2) | instskip(NEXT) | instid1(VALU_DEP_2)
	v_fma_f64 v[36:37], v[8:9], v[2:3], v[36:37]
	v_fma_f64 v[40:41], v[6:7], v[2:3], -v[4:5]
	ds_load_b128 v[2:5], v1 offset:1856
	ds_load_b128 v[6:9], v1 offset:1872
	s_waitcnt vmcnt(0) lgkmcnt(1)
	v_mul_f64 v[42:43], v[2:3], v[12:13]
	s_delay_alu instid0(VALU_DEP_1) | instskip(SKIP_1) | instid1(VALU_DEP_1)
	v_fma_f64 v[42:43], v[4:5], v[10:11], v[42:43]
	v_mul_f64 v[4:5], v[4:5], v[12:13]
	v_fma_f64 v[44:45], v[2:3], v[10:11], -v[4:5]
	s_clause 0x1
	scratch_load_b128 v[2:5], off, off offset:864
	scratch_load_b128 v[10:13], off, off offset:880
	s_waitcnt vmcnt(1) lgkmcnt(0)
	v_mul_f64 v[46:47], v[6:7], v[4:5]
	v_mul_f64 v[4:5], v[8:9], v[4:5]
	s_delay_alu instid0(VALU_DEP_2) | instskip(NEXT) | instid1(VALU_DEP_2)
	v_fma_f64 v[46:47], v[8:9], v[2:3], v[46:47]
	v_fma_f64 v[48:49], v[6:7], v[2:3], -v[4:5]
	ds_load_b128 v[2:5], v1 offset:1888
	ds_load_b128 v[6:9], v1 offset:1904
	s_waitcnt vmcnt(0) lgkmcnt(1)
	v_mul_f64 v[52:53], v[2:3], v[12:13]
	s_delay_alu instid0(VALU_DEP_1) | instskip(SKIP_1) | instid1(VALU_DEP_1)
	v_fma_f64 v[52:53], v[4:5], v[10:11], v[52:53]
	v_mul_f64 v[4:5], v[4:5], v[12:13]
	;; [unrolled: 17-line block ×4, first 2 shown]
	v_fma_f64 v[70:71], v[2:3], v[10:11], -v[4:5]
	v_add_f64 v[2:3], v[22:23], 0
	v_add_f64 v[4:5], v[24:25], 0
	s_delay_alu instid0(VALU_DEP_2) | instskip(NEXT) | instid1(VALU_DEP_2)
	v_add_f64 v[2:3], v[2:3], v[26:27]
	v_add_f64 v[4:5], v[4:5], v[28:29]
	s_delay_alu instid0(VALU_DEP_2) | instskip(NEXT) | instid1(VALU_DEP_2)
	;; [unrolled: 3-line block ×6, first 2 shown]
	v_add_f64 v[2:3], v[2:3], v[44:45]
	v_add_f64 v[10:11], v[4:5], v[42:43]
	s_delay_alu instid0(VALU_DEP_2)
	v_add_f64 v[12:13], v[2:3], v[48:49]
	scratch_load_b128 v[2:5], off, off offset:960
	v_add_f64 v[14:15], v[10:11], v[46:47]
	v_add_f64 v[16:17], v[12:13], v[54:55]
	scratch_load_b128 v[10:13], off, off offset:976
	v_add_f64 v[18:19], v[14:15], v[52:53]
	;; [unrolled: 3-line block ×3, first 2 shown]
	v_add_f64 v[20:21], v[20:21], v[62:63]
	s_delay_alu instid0(VALU_DEP_2) | instskip(NEXT) | instid1(VALU_DEP_2)
	v_add_f64 v[18:19], v[18:19], v[60:61]
	v_add_f64 v[28:29], v[20:21], v[66:67]
	s_delay_alu instid0(VALU_DEP_2)
	v_add_f64 v[34:35], v[18:19], v[64:65]
	ds_load_b128 v[18:21], v1 offset:1984
	ds_load_b128 v[22:25], v1 offset:2000
	s_waitcnt vmcnt(2) lgkmcnt(2)
	v_mul_f64 v[26:27], v[6:7], v[4:5]
	v_mul_f64 v[4:5], v[8:9], v[4:5]
	s_waitcnt vmcnt(1) lgkmcnt(1)
	v_mul_f64 v[36:37], v[18:19], v[12:13]
	s_delay_alu instid0(VALU_DEP_3) | instskip(NEXT) | instid1(VALU_DEP_3)
	v_fma_f64 v[8:9], v[8:9], v[2:3], v[26:27]
	v_fma_f64 v[1:2], v[6:7], v[2:3], -v[4:5]
	v_mul_f64 v[3:4], v[20:21], v[12:13]
	v_add_f64 v[5:6], v[28:29], v[70:71]
	v_add_f64 v[12:13], v[34:35], v[68:69]
	s_waitcnt vmcnt(0) lgkmcnt(0)
	v_mul_f64 v[26:27], v[22:23], v[16:17]
	v_mul_f64 v[16:17], v[24:25], v[16:17]
	v_fma_f64 v[20:21], v[20:21], v[10:11], v[36:37]
	v_fma_f64 v[3:4], v[18:19], v[10:11], -v[3:4]
	v_add_f64 v[1:2], v[5:6], v[1:2]
	v_add_f64 v[5:6], v[12:13], v[8:9]
	v_fma_f64 v[7:8], v[24:25], v[14:15], v[26:27]
	v_fma_f64 v[9:10], v[22:23], v[14:15], -v[16:17]
	s_delay_alu instid0(VALU_DEP_4) | instskip(NEXT) | instid1(VALU_DEP_4)
	v_add_f64 v[1:2], v[1:2], v[3:4]
	v_add_f64 v[3:4], v[5:6], v[20:21]
	s_delay_alu instid0(VALU_DEP_2) | instskip(NEXT) | instid1(VALU_DEP_2)
	v_add_f64 v[1:2], v[1:2], v[9:10]
	v_add_f64 v[3:4], v[3:4], v[7:8]
	s_delay_alu instid0(VALU_DEP_2) | instskip(NEXT) | instid1(VALU_DEP_2)
	v_add_f64 v[1:2], v[30:31], -v[1:2]
	v_add_f64 v[3:4], v[32:33], -v[3:4]
	scratch_store_b128 off, v[1:4], off offset:736
	v_cmpx_lt_u32_e32 45, v176
	s_cbranch_execz .LBB62_313
; %bb.312:
	scratch_load_b32 v1, off, off offset:1072 ; 4-byte Folded Reload
	v_mov_b32_e32 v5, 0
	s_delay_alu instid0(VALU_DEP_1)
	v_mov_b32_e32 v6, v5
	v_mov_b32_e32 v7, v5
	;; [unrolled: 1-line block ×3, first 2 shown]
	s_waitcnt vmcnt(0)
	scratch_load_b128 v[1:4], v1, off
	scratch_store_b128 off, v[5:8], off offset:720
	s_waitcnt vmcnt(0)
	ds_store_b128 v255, v[1:4]
.LBB62_313:
	s_or_b32 exec_lo, exec_lo, s2
	s_waitcnt lgkmcnt(0)
	s_waitcnt_vscnt null, 0x0
	s_barrier
	buffer_gl0_inv
	s_clause 0x4
	scratch_load_b128 v[2:5], off, off offset:736
	scratch_load_b128 v[6:9], off, off offset:752
	;; [unrolled: 1-line block ×5, first 2 shown]
	v_mov_b32_e32 v1, 0
	scratch_load_b128 v[26:29], off, off offset:720
	s_mov_b32 s2, exec_lo
	ds_load_b128 v[22:25], v1 offset:1744
	ds_load_b128 v[30:33], v1 offset:1760
	s_waitcnt vmcnt(5) lgkmcnt(1)
	v_mul_f64 v[34:35], v[24:25], v[4:5]
	v_mul_f64 v[4:5], v[22:23], v[4:5]
	s_waitcnt vmcnt(4) lgkmcnt(0)
	v_mul_f64 v[36:37], v[30:31], v[8:9]
	v_mul_f64 v[8:9], v[32:33], v[8:9]
	s_delay_alu instid0(VALU_DEP_4) | instskip(NEXT) | instid1(VALU_DEP_4)
	v_fma_f64 v[22:23], v[22:23], v[2:3], -v[34:35]
	v_fma_f64 v[24:25], v[24:25], v[2:3], v[4:5]
	ds_load_b128 v[2:5], v1 offset:1776
	v_fma_f64 v[32:33], v[32:33], v[6:7], v[36:37]
	v_fma_f64 v[30:31], v[30:31], v[6:7], -v[8:9]
	ds_load_b128 v[6:9], v1 offset:1792
	s_waitcnt vmcnt(3) lgkmcnt(1)
	v_mul_f64 v[34:35], v[2:3], v[12:13]
	v_mul_f64 v[12:13], v[4:5], v[12:13]
	s_waitcnt vmcnt(2) lgkmcnt(0)
	v_mul_f64 v[36:37], v[6:7], v[16:17]
	s_delay_alu instid0(VALU_DEP_3) | instskip(NEXT) | instid1(VALU_DEP_3)
	v_fma_f64 v[34:35], v[4:5], v[10:11], v[34:35]
	v_fma_f64 v[38:39], v[2:3], v[10:11], -v[12:13]
	v_mul_f64 v[10:11], v[8:9], v[16:17]
	ds_load_b128 v[2:5], v1 offset:1808
	v_fma_f64 v[16:17], v[8:9], v[14:15], v[36:37]
	v_fma_f64 v[14:15], v[6:7], v[14:15], -v[10:11]
	ds_load_b128 v[6:9], v1 offset:1824
	s_waitcnt vmcnt(1) lgkmcnt(1)
	v_mul_f64 v[10:11], v[2:3], v[20:21]
	v_mul_f64 v[12:13], v[4:5], v[20:21]
	s_delay_alu instid0(VALU_DEP_2) | instskip(NEXT) | instid1(VALU_DEP_2)
	v_fma_f64 v[20:21], v[4:5], v[18:19], v[10:11]
	v_fma_f64 v[18:19], v[2:3], v[18:19], -v[12:13]
	s_clause 0x1
	scratch_load_b128 v[2:5], off, off offset:816
	scratch_load_b128 v[10:13], off, off offset:832
	s_waitcnt vmcnt(1) lgkmcnt(0)
	v_mul_f64 v[36:37], v[6:7], v[4:5]
	v_mul_f64 v[4:5], v[8:9], v[4:5]
	s_delay_alu instid0(VALU_DEP_2) | instskip(NEXT) | instid1(VALU_DEP_2)
	v_fma_f64 v[36:37], v[8:9], v[2:3], v[36:37]
	v_fma_f64 v[40:41], v[6:7], v[2:3], -v[4:5]
	ds_load_b128 v[2:5], v1 offset:1840
	ds_load_b128 v[6:9], v1 offset:1856
	s_waitcnt vmcnt(0) lgkmcnt(1)
	v_mul_f64 v[42:43], v[2:3], v[12:13]
	s_delay_alu instid0(VALU_DEP_1) | instskip(SKIP_1) | instid1(VALU_DEP_1)
	v_fma_f64 v[42:43], v[4:5], v[10:11], v[42:43]
	v_mul_f64 v[4:5], v[4:5], v[12:13]
	v_fma_f64 v[44:45], v[2:3], v[10:11], -v[4:5]
	s_clause 0x1
	scratch_load_b128 v[2:5], off, off offset:848
	scratch_load_b128 v[10:13], off, off offset:864
	s_waitcnt vmcnt(1) lgkmcnt(0)
	v_mul_f64 v[46:47], v[6:7], v[4:5]
	v_mul_f64 v[4:5], v[8:9], v[4:5]
	s_delay_alu instid0(VALU_DEP_2) | instskip(NEXT) | instid1(VALU_DEP_2)
	v_fma_f64 v[46:47], v[8:9], v[2:3], v[46:47]
	v_fma_f64 v[48:49], v[6:7], v[2:3], -v[4:5]
	ds_load_b128 v[2:5], v1 offset:1872
	ds_load_b128 v[6:9], v1 offset:1888
	s_waitcnt vmcnt(0) lgkmcnt(1)
	v_mul_f64 v[52:53], v[2:3], v[12:13]
	s_delay_alu instid0(VALU_DEP_1) | instskip(SKIP_1) | instid1(VALU_DEP_1)
	v_fma_f64 v[52:53], v[4:5], v[10:11], v[52:53]
	v_mul_f64 v[4:5], v[4:5], v[12:13]
	;; [unrolled: 17-line block ×4, first 2 shown]
	v_fma_f64 v[70:71], v[2:3], v[10:11], -v[4:5]
	v_add_f64 v[2:3], v[22:23], 0
	v_add_f64 v[4:5], v[24:25], 0
	s_delay_alu instid0(VALU_DEP_2) | instskip(NEXT) | instid1(VALU_DEP_2)
	v_add_f64 v[2:3], v[2:3], v[30:31]
	v_add_f64 v[4:5], v[4:5], v[32:33]
	s_delay_alu instid0(VALU_DEP_2) | instskip(NEXT) | instid1(VALU_DEP_2)
	;; [unrolled: 3-line block ×6, first 2 shown]
	v_add_f64 v[2:3], v[2:3], v[44:45]
	v_add_f64 v[10:11], v[4:5], v[42:43]
	s_delay_alu instid0(VALU_DEP_2)
	v_add_f64 v[12:13], v[2:3], v[48:49]
	scratch_load_b128 v[2:5], off, off offset:944
	v_add_f64 v[14:15], v[10:11], v[46:47]
	v_add_f64 v[16:17], v[12:13], v[54:55]
	scratch_load_b128 v[10:13], off, off offset:960
	v_add_f64 v[18:19], v[14:15], v[52:53]
	;; [unrolled: 3-line block ×4, first 2 shown]
	v_add_f64 v[24:25], v[24:25], v[66:67]
	s_delay_alu instid0(VALU_DEP_2) | instskip(NEXT) | instid1(VALU_DEP_2)
	v_add_f64 v[22:23], v[22:23], v[64:65]
	v_add_f64 v[24:25], v[24:25], v[70:71]
	s_delay_alu instid0(VALU_DEP_2) | instskip(SKIP_3) | instid1(VALU_DEP_2)
	v_add_f64 v[22:23], v[22:23], v[68:69]
	s_waitcnt vmcnt(3) lgkmcnt(0)
	v_mul_f64 v[30:31], v[6:7], v[4:5]
	v_mul_f64 v[4:5], v[8:9], v[4:5]
	v_fma_f64 v[30:31], v[8:9], v[2:3], v[30:31]
	s_delay_alu instid0(VALU_DEP_2)
	v_fma_f64 v[32:33], v[6:7], v[2:3], -v[4:5]
	ds_load_b128 v[2:5], v1 offset:1968
	ds_load_b128 v[6:9], v1 offset:1984
	s_waitcnt vmcnt(2) lgkmcnt(1)
	v_mul_f64 v[34:35], v[2:3], v[12:13]
	v_mul_f64 v[12:13], v[4:5], v[12:13]
	s_waitcnt vmcnt(1) lgkmcnt(0)
	v_mul_f64 v[36:37], v[6:7], v[16:17]
	v_add_f64 v[22:23], v[22:23], v[30:31]
	s_delay_alu instid0(VALU_DEP_4) | instskip(NEXT) | instid1(VALU_DEP_4)
	v_fma_f64 v[34:35], v[4:5], v[10:11], v[34:35]
	v_fma_f64 v[10:11], v[2:3], v[10:11], -v[12:13]
	v_mul_f64 v[12:13], v[8:9], v[16:17]
	v_add_f64 v[16:17], v[24:25], v[32:33]
	ds_load_b128 v[2:5], v1 offset:2000
	v_fma_f64 v[8:9], v[8:9], v[14:15], v[36:37]
	s_waitcnt vmcnt(0) lgkmcnt(0)
	v_mul_f64 v[24:25], v[2:3], v[20:21]
	v_mul_f64 v[20:21], v[4:5], v[20:21]
	v_fma_f64 v[6:7], v[6:7], v[14:15], -v[12:13]
	v_add_f64 v[10:11], v[16:17], v[10:11]
	v_add_f64 v[12:13], v[22:23], v[34:35]
	v_fma_f64 v[4:5], v[4:5], v[18:19], v[24:25]
	v_fma_f64 v[2:3], v[2:3], v[18:19], -v[20:21]
	s_delay_alu instid0(VALU_DEP_4) | instskip(NEXT) | instid1(VALU_DEP_4)
	v_add_f64 v[6:7], v[10:11], v[6:7]
	v_add_f64 v[8:9], v[12:13], v[8:9]
	s_delay_alu instid0(VALU_DEP_2) | instskip(NEXT) | instid1(VALU_DEP_2)
	v_add_f64 v[2:3], v[6:7], v[2:3]
	v_add_f64 v[4:5], v[8:9], v[4:5]
	s_delay_alu instid0(VALU_DEP_2) | instskip(NEXT) | instid1(VALU_DEP_2)
	v_add_f64 v[2:3], v[26:27], -v[2:3]
	v_add_f64 v[4:5], v[28:29], -v[4:5]
	scratch_store_b128 off, v[2:5], off offset:720
	v_cmpx_lt_u32_e32 44, v176
	s_cbranch_execz .LBB62_315
; %bb.314:
	scratch_load_b32 v2, off, off offset:1076 ; 4-byte Folded Reload
	v_mov_b32_e32 v3, v1
	v_mov_b32_e32 v4, v1
	s_waitcnt vmcnt(0)
	scratch_load_b128 v[5:8], v2, off
	v_mov_b32_e32 v2, v1
	scratch_store_b128 off, v[1:4], off offset:704
	s_waitcnt vmcnt(0)
	ds_store_b128 v255, v[5:8]
.LBB62_315:
	s_or_b32 exec_lo, exec_lo, s2
	s_waitcnt lgkmcnt(0)
	s_waitcnt_vscnt null, 0x0
	s_barrier
	buffer_gl0_inv
	s_clause 0x4
	scratch_load_b128 v[2:5], off, off offset:720
	scratch_load_b128 v[6:9], off, off offset:736
	scratch_load_b128 v[10:13], off, off offset:752
	scratch_load_b128 v[14:17], off, off offset:768
	scratch_load_b128 v[18:21], off, off offset:784
	ds_load_b128 v[22:25], v1 offset:1728
	ds_load_b128 v[26:29], v1 offset:1744
	scratch_load_b128 v[30:33], off, off offset:704
	s_mov_b32 s2, exec_lo
	s_waitcnt vmcnt(5) lgkmcnt(1)
	v_mul_f64 v[34:35], v[24:25], v[4:5]
	v_mul_f64 v[4:5], v[22:23], v[4:5]
	s_waitcnt vmcnt(4) lgkmcnt(0)
	v_mul_f64 v[36:37], v[26:27], v[8:9]
	v_mul_f64 v[8:9], v[28:29], v[8:9]
	s_delay_alu instid0(VALU_DEP_4) | instskip(NEXT) | instid1(VALU_DEP_4)
	v_fma_f64 v[22:23], v[22:23], v[2:3], -v[34:35]
	v_fma_f64 v[24:25], v[24:25], v[2:3], v[4:5]
	ds_load_b128 v[2:5], v1 offset:1760
	v_fma_f64 v[28:29], v[28:29], v[6:7], v[36:37]
	v_fma_f64 v[26:27], v[26:27], v[6:7], -v[8:9]
	ds_load_b128 v[6:9], v1 offset:1776
	s_waitcnt vmcnt(3) lgkmcnt(1)
	v_mul_f64 v[34:35], v[2:3], v[12:13]
	v_mul_f64 v[12:13], v[4:5], v[12:13]
	s_waitcnt vmcnt(2) lgkmcnt(0)
	v_mul_f64 v[36:37], v[6:7], v[16:17]
	s_delay_alu instid0(VALU_DEP_3) | instskip(NEXT) | instid1(VALU_DEP_3)
	v_fma_f64 v[34:35], v[4:5], v[10:11], v[34:35]
	v_fma_f64 v[38:39], v[2:3], v[10:11], -v[12:13]
	v_mul_f64 v[10:11], v[8:9], v[16:17]
	ds_load_b128 v[2:5], v1 offset:1792
	v_fma_f64 v[16:17], v[8:9], v[14:15], v[36:37]
	v_fma_f64 v[14:15], v[6:7], v[14:15], -v[10:11]
	ds_load_b128 v[6:9], v1 offset:1808
	s_waitcnt vmcnt(1) lgkmcnt(1)
	v_mul_f64 v[10:11], v[2:3], v[20:21]
	v_mul_f64 v[12:13], v[4:5], v[20:21]
	s_delay_alu instid0(VALU_DEP_2) | instskip(NEXT) | instid1(VALU_DEP_2)
	v_fma_f64 v[20:21], v[4:5], v[18:19], v[10:11]
	v_fma_f64 v[18:19], v[2:3], v[18:19], -v[12:13]
	s_clause 0x1
	scratch_load_b128 v[2:5], off, off offset:800
	scratch_load_b128 v[10:13], off, off offset:816
	s_waitcnt vmcnt(1) lgkmcnt(0)
	v_mul_f64 v[36:37], v[6:7], v[4:5]
	v_mul_f64 v[4:5], v[8:9], v[4:5]
	s_delay_alu instid0(VALU_DEP_2) | instskip(NEXT) | instid1(VALU_DEP_2)
	v_fma_f64 v[36:37], v[8:9], v[2:3], v[36:37]
	v_fma_f64 v[40:41], v[6:7], v[2:3], -v[4:5]
	ds_load_b128 v[2:5], v1 offset:1824
	ds_load_b128 v[6:9], v1 offset:1840
	s_waitcnt vmcnt(0) lgkmcnt(1)
	v_mul_f64 v[42:43], v[2:3], v[12:13]
	s_delay_alu instid0(VALU_DEP_1) | instskip(SKIP_1) | instid1(VALU_DEP_1)
	v_fma_f64 v[42:43], v[4:5], v[10:11], v[42:43]
	v_mul_f64 v[4:5], v[4:5], v[12:13]
	v_fma_f64 v[44:45], v[2:3], v[10:11], -v[4:5]
	s_clause 0x1
	scratch_load_b128 v[2:5], off, off offset:832
	scratch_load_b128 v[10:13], off, off offset:848
	s_waitcnt vmcnt(1) lgkmcnt(0)
	v_mul_f64 v[46:47], v[6:7], v[4:5]
	v_mul_f64 v[4:5], v[8:9], v[4:5]
	s_delay_alu instid0(VALU_DEP_2) | instskip(NEXT) | instid1(VALU_DEP_2)
	v_fma_f64 v[46:47], v[8:9], v[2:3], v[46:47]
	v_fma_f64 v[48:49], v[6:7], v[2:3], -v[4:5]
	ds_load_b128 v[2:5], v1 offset:1856
	ds_load_b128 v[6:9], v1 offset:1872
	s_waitcnt vmcnt(0) lgkmcnt(1)
	v_mul_f64 v[52:53], v[2:3], v[12:13]
	s_delay_alu instid0(VALU_DEP_1) | instskip(SKIP_1) | instid1(VALU_DEP_1)
	v_fma_f64 v[52:53], v[4:5], v[10:11], v[52:53]
	v_mul_f64 v[4:5], v[4:5], v[12:13]
	;; [unrolled: 17-line block ×5, first 2 shown]
	v_fma_f64 v[98:99], v[2:3], v[10:11], -v[4:5]
	v_add_f64 v[2:3], v[22:23], 0
	v_add_f64 v[4:5], v[24:25], 0
	s_delay_alu instid0(VALU_DEP_2) | instskip(NEXT) | instid1(VALU_DEP_2)
	v_add_f64 v[2:3], v[2:3], v[26:27]
	v_add_f64 v[4:5], v[4:5], v[28:29]
	s_delay_alu instid0(VALU_DEP_2) | instskip(NEXT) | instid1(VALU_DEP_2)
	v_add_f64 v[2:3], v[2:3], v[38:39]
	v_add_f64 v[4:5], v[4:5], v[34:35]
	s_delay_alu instid0(VALU_DEP_2) | instskip(NEXT) | instid1(VALU_DEP_2)
	v_add_f64 v[2:3], v[2:3], v[14:15]
	v_add_f64 v[4:5], v[4:5], v[16:17]
	s_delay_alu instid0(VALU_DEP_2) | instskip(NEXT) | instid1(VALU_DEP_2)
	v_add_f64 v[2:3], v[2:3], v[18:19]
	v_add_f64 v[4:5], v[4:5], v[20:21]
	s_delay_alu instid0(VALU_DEP_2) | instskip(NEXT) | instid1(VALU_DEP_2)
	v_add_f64 v[2:3], v[2:3], v[40:41]
	v_add_f64 v[4:5], v[4:5], v[36:37]
	s_delay_alu instid0(VALU_DEP_2) | instskip(NEXT) | instid1(VALU_DEP_2)
	v_add_f64 v[2:3], v[2:3], v[44:45]
	v_add_f64 v[4:5], v[4:5], v[42:43]
	s_delay_alu instid0(VALU_DEP_2) | instskip(NEXT) | instid1(VALU_DEP_2)
	v_add_f64 v[2:3], v[2:3], v[48:49]
	v_add_f64 v[4:5], v[4:5], v[46:47]
	s_delay_alu instid0(VALU_DEP_2) | instskip(NEXT) | instid1(VALU_DEP_2)
	v_add_f64 v[2:3], v[2:3], v[54:55]
	v_add_f64 v[10:11], v[4:5], v[52:53]
	s_delay_alu instid0(VALU_DEP_2)
	v_add_f64 v[12:13], v[2:3], v[58:59]
	scratch_load_b128 v[2:5], off, off offset:960
	v_add_f64 v[14:15], v[10:11], v[56:57]
	v_add_f64 v[16:17], v[12:13], v[62:63]
	scratch_load_b128 v[10:13], off, off offset:976
	v_add_f64 v[18:19], v[14:15], v[60:61]
	;; [unrolled: 3-line block ×3, first 2 shown]
	v_add_f64 v[20:21], v[20:21], v[70:71]
	s_delay_alu instid0(VALU_DEP_2) | instskip(NEXT) | instid1(VALU_DEP_2)
	v_add_f64 v[18:19], v[18:19], v[68:69]
	v_add_f64 v[28:29], v[20:21], v[94:95]
	s_delay_alu instid0(VALU_DEP_2)
	v_add_f64 v[34:35], v[18:19], v[90:91]
	ds_load_b128 v[18:21], v1 offset:1984
	ds_load_b128 v[22:25], v1 offset:2000
	s_waitcnt vmcnt(2) lgkmcnt(2)
	v_mul_f64 v[26:27], v[6:7], v[4:5]
	v_mul_f64 v[4:5], v[8:9], v[4:5]
	s_waitcnt vmcnt(1) lgkmcnt(1)
	v_mul_f64 v[36:37], v[18:19], v[12:13]
	s_delay_alu instid0(VALU_DEP_3) | instskip(NEXT) | instid1(VALU_DEP_3)
	v_fma_f64 v[8:9], v[8:9], v[2:3], v[26:27]
	v_fma_f64 v[1:2], v[6:7], v[2:3], -v[4:5]
	v_mul_f64 v[3:4], v[20:21], v[12:13]
	v_add_f64 v[5:6], v[28:29], v[98:99]
	v_add_f64 v[12:13], v[34:35], v[96:97]
	s_waitcnt vmcnt(0) lgkmcnt(0)
	v_mul_f64 v[26:27], v[22:23], v[16:17]
	v_mul_f64 v[16:17], v[24:25], v[16:17]
	v_fma_f64 v[20:21], v[20:21], v[10:11], v[36:37]
	v_fma_f64 v[3:4], v[18:19], v[10:11], -v[3:4]
	v_add_f64 v[1:2], v[5:6], v[1:2]
	v_add_f64 v[5:6], v[12:13], v[8:9]
	v_fma_f64 v[7:8], v[24:25], v[14:15], v[26:27]
	v_fma_f64 v[9:10], v[22:23], v[14:15], -v[16:17]
	s_delay_alu instid0(VALU_DEP_4) | instskip(NEXT) | instid1(VALU_DEP_4)
	v_add_f64 v[1:2], v[1:2], v[3:4]
	v_add_f64 v[3:4], v[5:6], v[20:21]
	s_delay_alu instid0(VALU_DEP_2) | instskip(NEXT) | instid1(VALU_DEP_2)
	v_add_f64 v[1:2], v[1:2], v[9:10]
	v_add_f64 v[3:4], v[3:4], v[7:8]
	s_delay_alu instid0(VALU_DEP_2) | instskip(NEXT) | instid1(VALU_DEP_2)
	v_add_f64 v[1:2], v[30:31], -v[1:2]
	v_add_f64 v[3:4], v[32:33], -v[3:4]
	scratch_store_b128 off, v[1:4], off offset:704
	v_cmpx_lt_u32_e32 43, v176
	s_cbranch_execz .LBB62_317
; %bb.316:
	scratch_load_b32 v1, off, off offset:1080 ; 4-byte Folded Reload
	v_mov_b32_e32 v5, 0
	s_delay_alu instid0(VALU_DEP_1)
	v_mov_b32_e32 v6, v5
	v_mov_b32_e32 v7, v5
	;; [unrolled: 1-line block ×3, first 2 shown]
	s_waitcnt vmcnt(0)
	scratch_load_b128 v[1:4], v1, off
	scratch_store_b128 off, v[5:8], off offset:688
	s_waitcnt vmcnt(0)
	ds_store_b128 v255, v[1:4]
.LBB62_317:
	s_or_b32 exec_lo, exec_lo, s2
	s_waitcnt lgkmcnt(0)
	s_waitcnt_vscnt null, 0x0
	s_barrier
	buffer_gl0_inv
	s_clause 0x4
	scratch_load_b128 v[2:5], off, off offset:704
	scratch_load_b128 v[6:9], off, off offset:720
	;; [unrolled: 1-line block ×5, first 2 shown]
	v_mov_b32_e32 v1, 0
	scratch_load_b128 v[26:29], off, off offset:688
	s_mov_b32 s2, exec_lo
	ds_load_b128 v[22:25], v1 offset:1712
	ds_load_b128 v[30:33], v1 offset:1728
	s_waitcnt vmcnt(5) lgkmcnt(1)
	v_mul_f64 v[34:35], v[24:25], v[4:5]
	v_mul_f64 v[4:5], v[22:23], v[4:5]
	s_waitcnt vmcnt(4) lgkmcnt(0)
	v_mul_f64 v[36:37], v[30:31], v[8:9]
	v_mul_f64 v[8:9], v[32:33], v[8:9]
	s_delay_alu instid0(VALU_DEP_4) | instskip(NEXT) | instid1(VALU_DEP_4)
	v_fma_f64 v[22:23], v[22:23], v[2:3], -v[34:35]
	v_fma_f64 v[24:25], v[24:25], v[2:3], v[4:5]
	ds_load_b128 v[2:5], v1 offset:1744
	v_fma_f64 v[32:33], v[32:33], v[6:7], v[36:37]
	v_fma_f64 v[30:31], v[30:31], v[6:7], -v[8:9]
	ds_load_b128 v[6:9], v1 offset:1760
	s_waitcnt vmcnt(3) lgkmcnt(1)
	v_mul_f64 v[34:35], v[2:3], v[12:13]
	v_mul_f64 v[12:13], v[4:5], v[12:13]
	s_waitcnt vmcnt(2) lgkmcnt(0)
	v_mul_f64 v[36:37], v[6:7], v[16:17]
	s_delay_alu instid0(VALU_DEP_3) | instskip(NEXT) | instid1(VALU_DEP_3)
	v_fma_f64 v[34:35], v[4:5], v[10:11], v[34:35]
	v_fma_f64 v[38:39], v[2:3], v[10:11], -v[12:13]
	v_mul_f64 v[10:11], v[8:9], v[16:17]
	ds_load_b128 v[2:5], v1 offset:1776
	v_fma_f64 v[16:17], v[8:9], v[14:15], v[36:37]
	v_fma_f64 v[14:15], v[6:7], v[14:15], -v[10:11]
	ds_load_b128 v[6:9], v1 offset:1792
	s_waitcnt vmcnt(1) lgkmcnt(1)
	v_mul_f64 v[10:11], v[2:3], v[20:21]
	v_mul_f64 v[12:13], v[4:5], v[20:21]
	s_delay_alu instid0(VALU_DEP_2) | instskip(NEXT) | instid1(VALU_DEP_2)
	v_fma_f64 v[20:21], v[4:5], v[18:19], v[10:11]
	v_fma_f64 v[18:19], v[2:3], v[18:19], -v[12:13]
	s_clause 0x1
	scratch_load_b128 v[2:5], off, off offset:784
	scratch_load_b128 v[10:13], off, off offset:800
	s_waitcnt vmcnt(1) lgkmcnt(0)
	v_mul_f64 v[36:37], v[6:7], v[4:5]
	v_mul_f64 v[4:5], v[8:9], v[4:5]
	s_delay_alu instid0(VALU_DEP_2) | instskip(NEXT) | instid1(VALU_DEP_2)
	v_fma_f64 v[36:37], v[8:9], v[2:3], v[36:37]
	v_fma_f64 v[40:41], v[6:7], v[2:3], -v[4:5]
	ds_load_b128 v[2:5], v1 offset:1808
	ds_load_b128 v[6:9], v1 offset:1824
	s_waitcnt vmcnt(0) lgkmcnt(1)
	v_mul_f64 v[42:43], v[2:3], v[12:13]
	s_delay_alu instid0(VALU_DEP_1) | instskip(SKIP_1) | instid1(VALU_DEP_1)
	v_fma_f64 v[42:43], v[4:5], v[10:11], v[42:43]
	v_mul_f64 v[4:5], v[4:5], v[12:13]
	v_fma_f64 v[44:45], v[2:3], v[10:11], -v[4:5]
	s_clause 0x1
	scratch_load_b128 v[2:5], off, off offset:816
	scratch_load_b128 v[10:13], off, off offset:832
	s_waitcnt vmcnt(1) lgkmcnt(0)
	v_mul_f64 v[46:47], v[6:7], v[4:5]
	v_mul_f64 v[4:5], v[8:9], v[4:5]
	s_delay_alu instid0(VALU_DEP_2) | instskip(NEXT) | instid1(VALU_DEP_2)
	v_fma_f64 v[46:47], v[8:9], v[2:3], v[46:47]
	v_fma_f64 v[48:49], v[6:7], v[2:3], -v[4:5]
	ds_load_b128 v[2:5], v1 offset:1840
	ds_load_b128 v[6:9], v1 offset:1856
	s_waitcnt vmcnt(0) lgkmcnt(1)
	v_mul_f64 v[52:53], v[2:3], v[12:13]
	s_delay_alu instid0(VALU_DEP_1) | instskip(SKIP_1) | instid1(VALU_DEP_1)
	v_fma_f64 v[52:53], v[4:5], v[10:11], v[52:53]
	v_mul_f64 v[4:5], v[4:5], v[12:13]
	;; [unrolled: 17-line block ×5, first 2 shown]
	v_fma_f64 v[98:99], v[2:3], v[10:11], -v[4:5]
	v_add_f64 v[2:3], v[22:23], 0
	v_add_f64 v[4:5], v[24:25], 0
	s_delay_alu instid0(VALU_DEP_2) | instskip(NEXT) | instid1(VALU_DEP_2)
	v_add_f64 v[2:3], v[2:3], v[30:31]
	v_add_f64 v[4:5], v[4:5], v[32:33]
	s_delay_alu instid0(VALU_DEP_2) | instskip(NEXT) | instid1(VALU_DEP_2)
	;; [unrolled: 3-line block ×8, first 2 shown]
	v_add_f64 v[2:3], v[2:3], v[54:55]
	v_add_f64 v[10:11], v[4:5], v[52:53]
	s_delay_alu instid0(VALU_DEP_2)
	v_add_f64 v[12:13], v[2:3], v[58:59]
	scratch_load_b128 v[2:5], off, off offset:944
	v_add_f64 v[14:15], v[10:11], v[56:57]
	v_add_f64 v[16:17], v[12:13], v[62:63]
	scratch_load_b128 v[10:13], off, off offset:960
	v_add_f64 v[18:19], v[14:15], v[60:61]
	;; [unrolled: 3-line block ×4, first 2 shown]
	v_add_f64 v[24:25], v[24:25], v[94:95]
	s_delay_alu instid0(VALU_DEP_2) | instskip(NEXT) | instid1(VALU_DEP_2)
	v_add_f64 v[22:23], v[22:23], v[90:91]
	v_add_f64 v[24:25], v[24:25], v[98:99]
	s_delay_alu instid0(VALU_DEP_2) | instskip(SKIP_3) | instid1(VALU_DEP_2)
	v_add_f64 v[22:23], v[22:23], v[96:97]
	s_waitcnt vmcnt(3) lgkmcnt(0)
	v_mul_f64 v[30:31], v[6:7], v[4:5]
	v_mul_f64 v[4:5], v[8:9], v[4:5]
	v_fma_f64 v[30:31], v[8:9], v[2:3], v[30:31]
	s_delay_alu instid0(VALU_DEP_2)
	v_fma_f64 v[32:33], v[6:7], v[2:3], -v[4:5]
	ds_load_b128 v[2:5], v1 offset:1968
	ds_load_b128 v[6:9], v1 offset:1984
	s_waitcnt vmcnt(2) lgkmcnt(1)
	v_mul_f64 v[34:35], v[2:3], v[12:13]
	v_mul_f64 v[12:13], v[4:5], v[12:13]
	s_waitcnt vmcnt(1) lgkmcnt(0)
	v_mul_f64 v[36:37], v[6:7], v[16:17]
	v_add_f64 v[22:23], v[22:23], v[30:31]
	s_delay_alu instid0(VALU_DEP_4) | instskip(NEXT) | instid1(VALU_DEP_4)
	v_fma_f64 v[34:35], v[4:5], v[10:11], v[34:35]
	v_fma_f64 v[10:11], v[2:3], v[10:11], -v[12:13]
	v_mul_f64 v[12:13], v[8:9], v[16:17]
	v_add_f64 v[16:17], v[24:25], v[32:33]
	ds_load_b128 v[2:5], v1 offset:2000
	v_fma_f64 v[8:9], v[8:9], v[14:15], v[36:37]
	s_waitcnt vmcnt(0) lgkmcnt(0)
	v_mul_f64 v[24:25], v[2:3], v[20:21]
	v_mul_f64 v[20:21], v[4:5], v[20:21]
	v_fma_f64 v[6:7], v[6:7], v[14:15], -v[12:13]
	v_add_f64 v[10:11], v[16:17], v[10:11]
	v_add_f64 v[12:13], v[22:23], v[34:35]
	v_fma_f64 v[4:5], v[4:5], v[18:19], v[24:25]
	v_fma_f64 v[2:3], v[2:3], v[18:19], -v[20:21]
	s_delay_alu instid0(VALU_DEP_4) | instskip(NEXT) | instid1(VALU_DEP_4)
	v_add_f64 v[6:7], v[10:11], v[6:7]
	v_add_f64 v[8:9], v[12:13], v[8:9]
	s_delay_alu instid0(VALU_DEP_2) | instskip(NEXT) | instid1(VALU_DEP_2)
	v_add_f64 v[2:3], v[6:7], v[2:3]
	v_add_f64 v[4:5], v[8:9], v[4:5]
	s_delay_alu instid0(VALU_DEP_2) | instskip(NEXT) | instid1(VALU_DEP_2)
	v_add_f64 v[2:3], v[26:27], -v[2:3]
	v_add_f64 v[4:5], v[28:29], -v[4:5]
	scratch_store_b128 off, v[2:5], off offset:688
	v_cmpx_lt_u32_e32 42, v176
	s_cbranch_execz .LBB62_319
; %bb.318:
	scratch_load_b32 v2, off, off offset:1084 ; 4-byte Folded Reload
	v_mov_b32_e32 v3, v1
	v_mov_b32_e32 v4, v1
	s_waitcnt vmcnt(0)
	scratch_load_b128 v[5:8], v2, off
	v_mov_b32_e32 v2, v1
	scratch_store_b128 off, v[1:4], off offset:672
	s_waitcnt vmcnt(0)
	ds_store_b128 v255, v[5:8]
.LBB62_319:
	s_or_b32 exec_lo, exec_lo, s2
	s_waitcnt lgkmcnt(0)
	s_waitcnt_vscnt null, 0x0
	s_barrier
	buffer_gl0_inv
	s_clause 0x4
	scratch_load_b128 v[2:5], off, off offset:688
	scratch_load_b128 v[6:9], off, off offset:704
	;; [unrolled: 1-line block ×5, first 2 shown]
	ds_load_b128 v[22:25], v1 offset:1696
	ds_load_b128 v[26:29], v1 offset:1712
	scratch_load_b128 v[30:33], off, off offset:672
	s_mov_b32 s2, exec_lo
	s_waitcnt vmcnt(5) lgkmcnt(1)
	v_mul_f64 v[34:35], v[24:25], v[4:5]
	v_mul_f64 v[4:5], v[22:23], v[4:5]
	s_waitcnt vmcnt(4) lgkmcnt(0)
	v_mul_f64 v[36:37], v[26:27], v[8:9]
	v_mul_f64 v[8:9], v[28:29], v[8:9]
	s_delay_alu instid0(VALU_DEP_4) | instskip(NEXT) | instid1(VALU_DEP_4)
	v_fma_f64 v[22:23], v[22:23], v[2:3], -v[34:35]
	v_fma_f64 v[24:25], v[24:25], v[2:3], v[4:5]
	ds_load_b128 v[2:5], v1 offset:1728
	v_fma_f64 v[28:29], v[28:29], v[6:7], v[36:37]
	v_fma_f64 v[26:27], v[26:27], v[6:7], -v[8:9]
	ds_load_b128 v[6:9], v1 offset:1744
	s_waitcnt vmcnt(3) lgkmcnt(1)
	v_mul_f64 v[34:35], v[2:3], v[12:13]
	v_mul_f64 v[12:13], v[4:5], v[12:13]
	s_waitcnt vmcnt(2) lgkmcnt(0)
	v_mul_f64 v[36:37], v[6:7], v[16:17]
	s_delay_alu instid0(VALU_DEP_3) | instskip(NEXT) | instid1(VALU_DEP_3)
	v_fma_f64 v[34:35], v[4:5], v[10:11], v[34:35]
	v_fma_f64 v[38:39], v[2:3], v[10:11], -v[12:13]
	v_mul_f64 v[10:11], v[8:9], v[16:17]
	ds_load_b128 v[2:5], v1 offset:1760
	v_fma_f64 v[16:17], v[8:9], v[14:15], v[36:37]
	v_fma_f64 v[14:15], v[6:7], v[14:15], -v[10:11]
	ds_load_b128 v[6:9], v1 offset:1776
	s_waitcnt vmcnt(1) lgkmcnt(1)
	v_mul_f64 v[10:11], v[2:3], v[20:21]
	v_mul_f64 v[12:13], v[4:5], v[20:21]
	s_delay_alu instid0(VALU_DEP_2) | instskip(NEXT) | instid1(VALU_DEP_2)
	v_fma_f64 v[20:21], v[4:5], v[18:19], v[10:11]
	v_fma_f64 v[18:19], v[2:3], v[18:19], -v[12:13]
	s_clause 0x1
	scratch_load_b128 v[2:5], off, off offset:768
	scratch_load_b128 v[10:13], off, off offset:784
	s_waitcnt vmcnt(1) lgkmcnt(0)
	v_mul_f64 v[36:37], v[6:7], v[4:5]
	v_mul_f64 v[4:5], v[8:9], v[4:5]
	s_delay_alu instid0(VALU_DEP_2) | instskip(NEXT) | instid1(VALU_DEP_2)
	v_fma_f64 v[36:37], v[8:9], v[2:3], v[36:37]
	v_fma_f64 v[40:41], v[6:7], v[2:3], -v[4:5]
	ds_load_b128 v[2:5], v1 offset:1792
	ds_load_b128 v[6:9], v1 offset:1808
	s_waitcnt vmcnt(0) lgkmcnt(1)
	v_mul_f64 v[42:43], v[2:3], v[12:13]
	s_delay_alu instid0(VALU_DEP_1) | instskip(SKIP_1) | instid1(VALU_DEP_1)
	v_fma_f64 v[42:43], v[4:5], v[10:11], v[42:43]
	v_mul_f64 v[4:5], v[4:5], v[12:13]
	v_fma_f64 v[44:45], v[2:3], v[10:11], -v[4:5]
	s_clause 0x1
	scratch_load_b128 v[2:5], off, off offset:800
	scratch_load_b128 v[10:13], off, off offset:816
	s_waitcnt vmcnt(1) lgkmcnt(0)
	v_mul_f64 v[46:47], v[6:7], v[4:5]
	v_mul_f64 v[4:5], v[8:9], v[4:5]
	s_delay_alu instid0(VALU_DEP_2) | instskip(NEXT) | instid1(VALU_DEP_2)
	v_fma_f64 v[46:47], v[8:9], v[2:3], v[46:47]
	v_fma_f64 v[48:49], v[6:7], v[2:3], -v[4:5]
	ds_load_b128 v[2:5], v1 offset:1824
	ds_load_b128 v[6:9], v1 offset:1840
	s_waitcnt vmcnt(0) lgkmcnt(1)
	v_mul_f64 v[52:53], v[2:3], v[12:13]
	s_delay_alu instid0(VALU_DEP_1) | instskip(SKIP_1) | instid1(VALU_DEP_1)
	v_fma_f64 v[52:53], v[4:5], v[10:11], v[52:53]
	v_mul_f64 v[4:5], v[4:5], v[12:13]
	;; [unrolled: 17-line block ×6, first 2 shown]
	v_fma_f64 v[209:210], v[2:3], v[10:11], -v[4:5]
	v_add_f64 v[2:3], v[22:23], 0
	v_add_f64 v[4:5], v[24:25], 0
	s_delay_alu instid0(VALU_DEP_2) | instskip(NEXT) | instid1(VALU_DEP_2)
	v_add_f64 v[2:3], v[2:3], v[26:27]
	v_add_f64 v[4:5], v[4:5], v[28:29]
	s_delay_alu instid0(VALU_DEP_2) | instskip(NEXT) | instid1(VALU_DEP_2)
	;; [unrolled: 3-line block ×10, first 2 shown]
	v_add_f64 v[2:3], v[2:3], v[62:63]
	v_add_f64 v[10:11], v[4:5], v[60:61]
	s_delay_alu instid0(VALU_DEP_2)
	v_add_f64 v[12:13], v[2:3], v[66:67]
	scratch_load_b128 v[2:5], off, off offset:960
	v_add_f64 v[14:15], v[10:11], v[64:65]
	v_add_f64 v[16:17], v[12:13], v[70:71]
	scratch_load_b128 v[10:13], off, off offset:976
	v_add_f64 v[18:19], v[14:15], v[68:69]
	;; [unrolled: 3-line block ×3, first 2 shown]
	v_add_f64 v[20:21], v[20:21], v[98:99]
	s_delay_alu instid0(VALU_DEP_2) | instskip(NEXT) | instid1(VALU_DEP_2)
	v_add_f64 v[18:19], v[18:19], v[96:97]
	v_add_f64 v[28:29], v[20:21], v[179:180]
	s_delay_alu instid0(VALU_DEP_2)
	v_add_f64 v[34:35], v[18:19], v[177:178]
	ds_load_b128 v[18:21], v1 offset:1984
	ds_load_b128 v[22:25], v1 offset:2000
	s_waitcnt vmcnt(2) lgkmcnt(2)
	v_mul_f64 v[26:27], v[6:7], v[4:5]
	v_mul_f64 v[4:5], v[8:9], v[4:5]
	s_waitcnt vmcnt(1) lgkmcnt(1)
	v_mul_f64 v[36:37], v[18:19], v[12:13]
	s_delay_alu instid0(VALU_DEP_3) | instskip(NEXT) | instid1(VALU_DEP_3)
	v_fma_f64 v[8:9], v[8:9], v[2:3], v[26:27]
	v_fma_f64 v[1:2], v[6:7], v[2:3], -v[4:5]
	v_mul_f64 v[3:4], v[20:21], v[12:13]
	v_add_f64 v[5:6], v[28:29], v[209:210]
	v_add_f64 v[12:13], v[34:35], v[181:182]
	s_waitcnt vmcnt(0) lgkmcnt(0)
	v_mul_f64 v[26:27], v[22:23], v[16:17]
	v_mul_f64 v[16:17], v[24:25], v[16:17]
	v_fma_f64 v[20:21], v[20:21], v[10:11], v[36:37]
	v_fma_f64 v[3:4], v[18:19], v[10:11], -v[3:4]
	v_add_f64 v[1:2], v[5:6], v[1:2]
	v_add_f64 v[5:6], v[12:13], v[8:9]
	v_fma_f64 v[7:8], v[24:25], v[14:15], v[26:27]
	v_fma_f64 v[9:10], v[22:23], v[14:15], -v[16:17]
	s_delay_alu instid0(VALU_DEP_4) | instskip(NEXT) | instid1(VALU_DEP_4)
	v_add_f64 v[1:2], v[1:2], v[3:4]
	v_add_f64 v[3:4], v[5:6], v[20:21]
	s_delay_alu instid0(VALU_DEP_2) | instskip(NEXT) | instid1(VALU_DEP_2)
	v_add_f64 v[1:2], v[1:2], v[9:10]
	v_add_f64 v[3:4], v[3:4], v[7:8]
	s_delay_alu instid0(VALU_DEP_2) | instskip(NEXT) | instid1(VALU_DEP_2)
	v_add_f64 v[1:2], v[30:31], -v[1:2]
	v_add_f64 v[3:4], v[32:33], -v[3:4]
	scratch_store_b128 off, v[1:4], off offset:672
	v_cmpx_lt_u32_e32 41, v176
	s_cbranch_execz .LBB62_321
; %bb.320:
	scratch_load_b32 v1, off, off offset:1088 ; 4-byte Folded Reload
	v_mov_b32_e32 v5, 0
	s_delay_alu instid0(VALU_DEP_1)
	v_mov_b32_e32 v6, v5
	v_mov_b32_e32 v7, v5
	;; [unrolled: 1-line block ×3, first 2 shown]
	s_waitcnt vmcnt(0)
	scratch_load_b128 v[1:4], v1, off
	scratch_store_b128 off, v[5:8], off offset:656
	s_waitcnt vmcnt(0)
	ds_store_b128 v255, v[1:4]
.LBB62_321:
	s_or_b32 exec_lo, exec_lo, s2
	s_waitcnt lgkmcnt(0)
	s_waitcnt_vscnt null, 0x0
	s_barrier
	buffer_gl0_inv
	s_clause 0x4
	scratch_load_b128 v[2:5], off, off offset:672
	scratch_load_b128 v[6:9], off, off offset:688
	;; [unrolled: 1-line block ×5, first 2 shown]
	v_mov_b32_e32 v1, 0
	scratch_load_b128 v[26:29], off, off offset:656
	s_mov_b32 s2, exec_lo
	ds_load_b128 v[22:25], v1 offset:1680
	ds_load_b128 v[30:33], v1 offset:1696
	s_waitcnt vmcnt(5) lgkmcnt(1)
	v_mul_f64 v[34:35], v[24:25], v[4:5]
	v_mul_f64 v[4:5], v[22:23], v[4:5]
	s_waitcnt vmcnt(4) lgkmcnt(0)
	v_mul_f64 v[36:37], v[30:31], v[8:9]
	v_mul_f64 v[8:9], v[32:33], v[8:9]
	s_delay_alu instid0(VALU_DEP_4) | instskip(NEXT) | instid1(VALU_DEP_4)
	v_fma_f64 v[22:23], v[22:23], v[2:3], -v[34:35]
	v_fma_f64 v[24:25], v[24:25], v[2:3], v[4:5]
	ds_load_b128 v[2:5], v1 offset:1712
	v_fma_f64 v[32:33], v[32:33], v[6:7], v[36:37]
	v_fma_f64 v[30:31], v[30:31], v[6:7], -v[8:9]
	ds_load_b128 v[6:9], v1 offset:1728
	s_waitcnt vmcnt(3) lgkmcnt(1)
	v_mul_f64 v[34:35], v[2:3], v[12:13]
	v_mul_f64 v[12:13], v[4:5], v[12:13]
	s_waitcnt vmcnt(2) lgkmcnt(0)
	v_mul_f64 v[36:37], v[6:7], v[16:17]
	s_delay_alu instid0(VALU_DEP_3) | instskip(NEXT) | instid1(VALU_DEP_3)
	v_fma_f64 v[34:35], v[4:5], v[10:11], v[34:35]
	v_fma_f64 v[38:39], v[2:3], v[10:11], -v[12:13]
	v_mul_f64 v[10:11], v[8:9], v[16:17]
	ds_load_b128 v[2:5], v1 offset:1744
	v_fma_f64 v[16:17], v[8:9], v[14:15], v[36:37]
	v_fma_f64 v[14:15], v[6:7], v[14:15], -v[10:11]
	ds_load_b128 v[6:9], v1 offset:1760
	s_waitcnt vmcnt(1) lgkmcnt(1)
	v_mul_f64 v[10:11], v[2:3], v[20:21]
	v_mul_f64 v[12:13], v[4:5], v[20:21]
	s_delay_alu instid0(VALU_DEP_2) | instskip(NEXT) | instid1(VALU_DEP_2)
	v_fma_f64 v[20:21], v[4:5], v[18:19], v[10:11]
	v_fma_f64 v[18:19], v[2:3], v[18:19], -v[12:13]
	s_clause 0x1
	scratch_load_b128 v[2:5], off, off offset:752
	scratch_load_b128 v[10:13], off, off offset:768
	s_waitcnt vmcnt(1) lgkmcnt(0)
	v_mul_f64 v[36:37], v[6:7], v[4:5]
	v_mul_f64 v[4:5], v[8:9], v[4:5]
	s_delay_alu instid0(VALU_DEP_2) | instskip(NEXT) | instid1(VALU_DEP_2)
	v_fma_f64 v[36:37], v[8:9], v[2:3], v[36:37]
	v_fma_f64 v[40:41], v[6:7], v[2:3], -v[4:5]
	ds_load_b128 v[2:5], v1 offset:1776
	ds_load_b128 v[6:9], v1 offset:1792
	s_waitcnt vmcnt(0) lgkmcnt(1)
	v_mul_f64 v[42:43], v[2:3], v[12:13]
	s_delay_alu instid0(VALU_DEP_1) | instskip(SKIP_1) | instid1(VALU_DEP_1)
	v_fma_f64 v[42:43], v[4:5], v[10:11], v[42:43]
	v_mul_f64 v[4:5], v[4:5], v[12:13]
	v_fma_f64 v[44:45], v[2:3], v[10:11], -v[4:5]
	s_clause 0x1
	scratch_load_b128 v[2:5], off, off offset:784
	scratch_load_b128 v[10:13], off, off offset:800
	s_waitcnt vmcnt(1) lgkmcnt(0)
	v_mul_f64 v[46:47], v[6:7], v[4:5]
	v_mul_f64 v[4:5], v[8:9], v[4:5]
	s_delay_alu instid0(VALU_DEP_2) | instskip(NEXT) | instid1(VALU_DEP_2)
	v_fma_f64 v[46:47], v[8:9], v[2:3], v[46:47]
	v_fma_f64 v[48:49], v[6:7], v[2:3], -v[4:5]
	ds_load_b128 v[2:5], v1 offset:1808
	ds_load_b128 v[6:9], v1 offset:1824
	s_waitcnt vmcnt(0) lgkmcnt(1)
	v_mul_f64 v[52:53], v[2:3], v[12:13]
	s_delay_alu instid0(VALU_DEP_1) | instskip(SKIP_1) | instid1(VALU_DEP_1)
	v_fma_f64 v[52:53], v[4:5], v[10:11], v[52:53]
	v_mul_f64 v[4:5], v[4:5], v[12:13]
	;; [unrolled: 17-line block ×6, first 2 shown]
	v_fma_f64 v[209:210], v[2:3], v[10:11], -v[4:5]
	v_add_f64 v[2:3], v[22:23], 0
	v_add_f64 v[4:5], v[24:25], 0
	s_delay_alu instid0(VALU_DEP_2) | instskip(NEXT) | instid1(VALU_DEP_2)
	v_add_f64 v[2:3], v[2:3], v[30:31]
	v_add_f64 v[4:5], v[4:5], v[32:33]
	s_delay_alu instid0(VALU_DEP_2) | instskip(NEXT) | instid1(VALU_DEP_2)
	;; [unrolled: 3-line block ×10, first 2 shown]
	v_add_f64 v[2:3], v[2:3], v[62:63]
	v_add_f64 v[10:11], v[4:5], v[60:61]
	s_delay_alu instid0(VALU_DEP_2)
	v_add_f64 v[12:13], v[2:3], v[66:67]
	scratch_load_b128 v[2:5], off, off offset:944
	v_add_f64 v[14:15], v[10:11], v[64:65]
	v_add_f64 v[16:17], v[12:13], v[70:71]
	scratch_load_b128 v[10:13], off, off offset:960
	v_add_f64 v[18:19], v[14:15], v[68:69]
	;; [unrolled: 3-line block ×4, first 2 shown]
	v_add_f64 v[24:25], v[24:25], v[179:180]
	s_delay_alu instid0(VALU_DEP_2) | instskip(NEXT) | instid1(VALU_DEP_2)
	v_add_f64 v[22:23], v[22:23], v[177:178]
	v_add_f64 v[24:25], v[24:25], v[209:210]
	s_delay_alu instid0(VALU_DEP_2) | instskip(SKIP_3) | instid1(VALU_DEP_2)
	v_add_f64 v[22:23], v[22:23], v[181:182]
	s_waitcnt vmcnt(3) lgkmcnt(0)
	v_mul_f64 v[30:31], v[6:7], v[4:5]
	v_mul_f64 v[4:5], v[8:9], v[4:5]
	v_fma_f64 v[30:31], v[8:9], v[2:3], v[30:31]
	s_delay_alu instid0(VALU_DEP_2)
	v_fma_f64 v[32:33], v[6:7], v[2:3], -v[4:5]
	ds_load_b128 v[2:5], v1 offset:1968
	ds_load_b128 v[6:9], v1 offset:1984
	s_waitcnt vmcnt(2) lgkmcnt(1)
	v_mul_f64 v[34:35], v[2:3], v[12:13]
	v_mul_f64 v[12:13], v[4:5], v[12:13]
	s_waitcnt vmcnt(1) lgkmcnt(0)
	v_mul_f64 v[36:37], v[6:7], v[16:17]
	v_add_f64 v[22:23], v[22:23], v[30:31]
	s_delay_alu instid0(VALU_DEP_4) | instskip(NEXT) | instid1(VALU_DEP_4)
	v_fma_f64 v[34:35], v[4:5], v[10:11], v[34:35]
	v_fma_f64 v[10:11], v[2:3], v[10:11], -v[12:13]
	v_mul_f64 v[12:13], v[8:9], v[16:17]
	v_add_f64 v[16:17], v[24:25], v[32:33]
	ds_load_b128 v[2:5], v1 offset:2000
	v_fma_f64 v[8:9], v[8:9], v[14:15], v[36:37]
	s_waitcnt vmcnt(0) lgkmcnt(0)
	v_mul_f64 v[24:25], v[2:3], v[20:21]
	v_mul_f64 v[20:21], v[4:5], v[20:21]
	v_fma_f64 v[6:7], v[6:7], v[14:15], -v[12:13]
	v_add_f64 v[10:11], v[16:17], v[10:11]
	v_add_f64 v[12:13], v[22:23], v[34:35]
	v_fma_f64 v[4:5], v[4:5], v[18:19], v[24:25]
	v_fma_f64 v[2:3], v[2:3], v[18:19], -v[20:21]
	s_delay_alu instid0(VALU_DEP_4) | instskip(NEXT) | instid1(VALU_DEP_4)
	v_add_f64 v[6:7], v[10:11], v[6:7]
	v_add_f64 v[8:9], v[12:13], v[8:9]
	s_delay_alu instid0(VALU_DEP_2) | instskip(NEXT) | instid1(VALU_DEP_2)
	v_add_f64 v[2:3], v[6:7], v[2:3]
	v_add_f64 v[4:5], v[8:9], v[4:5]
	s_delay_alu instid0(VALU_DEP_2) | instskip(NEXT) | instid1(VALU_DEP_2)
	v_add_f64 v[2:3], v[26:27], -v[2:3]
	v_add_f64 v[4:5], v[28:29], -v[4:5]
	scratch_store_b128 off, v[2:5], off offset:656
	v_cmpx_lt_u32_e32 40, v176
	s_cbranch_execz .LBB62_323
; %bb.322:
	scratch_load_b32 v2, off, off offset:1092 ; 4-byte Folded Reload
	v_mov_b32_e32 v3, v1
	v_mov_b32_e32 v4, v1
	s_waitcnt vmcnt(0)
	scratch_load_b128 v[5:8], v2, off
	v_mov_b32_e32 v2, v1
	scratch_store_b128 off, v[1:4], off offset:640
	s_waitcnt vmcnt(0)
	ds_store_b128 v255, v[5:8]
.LBB62_323:
	s_or_b32 exec_lo, exec_lo, s2
	s_waitcnt lgkmcnt(0)
	s_waitcnt_vscnt null, 0x0
	s_barrier
	buffer_gl0_inv
	s_clause 0x4
	scratch_load_b128 v[2:5], off, off offset:656
	scratch_load_b128 v[6:9], off, off offset:672
	;; [unrolled: 1-line block ×5, first 2 shown]
	ds_load_b128 v[22:25], v1 offset:1664
	ds_load_b128 v[26:29], v1 offset:1680
	scratch_load_b128 v[30:33], off, off offset:640
	s_mov_b32 s2, exec_lo
	s_waitcnt vmcnt(5) lgkmcnt(1)
	v_mul_f64 v[34:35], v[24:25], v[4:5]
	v_mul_f64 v[4:5], v[22:23], v[4:5]
	s_waitcnt vmcnt(4) lgkmcnt(0)
	v_mul_f64 v[36:37], v[26:27], v[8:9]
	v_mul_f64 v[8:9], v[28:29], v[8:9]
	s_delay_alu instid0(VALU_DEP_4) | instskip(NEXT) | instid1(VALU_DEP_4)
	v_fma_f64 v[22:23], v[22:23], v[2:3], -v[34:35]
	v_fma_f64 v[24:25], v[24:25], v[2:3], v[4:5]
	ds_load_b128 v[2:5], v1 offset:1696
	v_fma_f64 v[28:29], v[28:29], v[6:7], v[36:37]
	v_fma_f64 v[26:27], v[26:27], v[6:7], -v[8:9]
	ds_load_b128 v[6:9], v1 offset:1712
	s_waitcnt vmcnt(3) lgkmcnt(1)
	v_mul_f64 v[34:35], v[2:3], v[12:13]
	v_mul_f64 v[12:13], v[4:5], v[12:13]
	s_waitcnt vmcnt(2) lgkmcnt(0)
	v_mul_f64 v[36:37], v[6:7], v[16:17]
	s_delay_alu instid0(VALU_DEP_3) | instskip(NEXT) | instid1(VALU_DEP_3)
	v_fma_f64 v[34:35], v[4:5], v[10:11], v[34:35]
	v_fma_f64 v[38:39], v[2:3], v[10:11], -v[12:13]
	v_mul_f64 v[10:11], v[8:9], v[16:17]
	ds_load_b128 v[2:5], v1 offset:1728
	v_fma_f64 v[16:17], v[8:9], v[14:15], v[36:37]
	v_fma_f64 v[14:15], v[6:7], v[14:15], -v[10:11]
	ds_load_b128 v[6:9], v1 offset:1744
	s_waitcnt vmcnt(1) lgkmcnt(1)
	v_mul_f64 v[10:11], v[2:3], v[20:21]
	v_mul_f64 v[12:13], v[4:5], v[20:21]
	s_delay_alu instid0(VALU_DEP_2) | instskip(NEXT) | instid1(VALU_DEP_2)
	v_fma_f64 v[20:21], v[4:5], v[18:19], v[10:11]
	v_fma_f64 v[18:19], v[2:3], v[18:19], -v[12:13]
	s_clause 0x1
	scratch_load_b128 v[2:5], off, off offset:736
	scratch_load_b128 v[10:13], off, off offset:752
	s_waitcnt vmcnt(1) lgkmcnt(0)
	v_mul_f64 v[36:37], v[6:7], v[4:5]
	v_mul_f64 v[4:5], v[8:9], v[4:5]
	s_delay_alu instid0(VALU_DEP_2) | instskip(NEXT) | instid1(VALU_DEP_2)
	v_fma_f64 v[36:37], v[8:9], v[2:3], v[36:37]
	v_fma_f64 v[40:41], v[6:7], v[2:3], -v[4:5]
	ds_load_b128 v[2:5], v1 offset:1760
	ds_load_b128 v[6:9], v1 offset:1776
	s_waitcnt vmcnt(0) lgkmcnt(1)
	v_mul_f64 v[42:43], v[2:3], v[12:13]
	s_delay_alu instid0(VALU_DEP_1) | instskip(SKIP_1) | instid1(VALU_DEP_1)
	v_fma_f64 v[42:43], v[4:5], v[10:11], v[42:43]
	v_mul_f64 v[4:5], v[4:5], v[12:13]
	v_fma_f64 v[44:45], v[2:3], v[10:11], -v[4:5]
	s_clause 0x1
	scratch_load_b128 v[2:5], off, off offset:768
	scratch_load_b128 v[10:13], off, off offset:784
	s_waitcnt vmcnt(1) lgkmcnt(0)
	v_mul_f64 v[46:47], v[6:7], v[4:5]
	v_mul_f64 v[4:5], v[8:9], v[4:5]
	s_delay_alu instid0(VALU_DEP_2) | instskip(NEXT) | instid1(VALU_DEP_2)
	v_fma_f64 v[46:47], v[8:9], v[2:3], v[46:47]
	v_fma_f64 v[48:49], v[6:7], v[2:3], -v[4:5]
	ds_load_b128 v[2:5], v1 offset:1792
	ds_load_b128 v[6:9], v1 offset:1808
	s_waitcnt vmcnt(0) lgkmcnt(1)
	v_mul_f64 v[52:53], v[2:3], v[12:13]
	s_delay_alu instid0(VALU_DEP_1) | instskip(SKIP_1) | instid1(VALU_DEP_1)
	v_fma_f64 v[52:53], v[4:5], v[10:11], v[52:53]
	v_mul_f64 v[4:5], v[4:5], v[12:13]
	;; [unrolled: 17-line block ×7, first 2 shown]
	v_fma_f64 v[247:248], v[2:3], v[10:11], -v[4:5]
	v_add_f64 v[2:3], v[22:23], 0
	v_add_f64 v[4:5], v[24:25], 0
	s_delay_alu instid0(VALU_DEP_2) | instskip(NEXT) | instid1(VALU_DEP_2)
	v_add_f64 v[2:3], v[2:3], v[26:27]
	v_add_f64 v[4:5], v[4:5], v[28:29]
	s_delay_alu instid0(VALU_DEP_2) | instskip(NEXT) | instid1(VALU_DEP_2)
	;; [unrolled: 3-line block ×12, first 2 shown]
	v_add_f64 v[2:3], v[2:3], v[70:71]
	v_add_f64 v[10:11], v[4:5], v[68:69]
	s_delay_alu instid0(VALU_DEP_2)
	v_add_f64 v[12:13], v[2:3], v[94:95]
	scratch_load_b128 v[2:5], off, off offset:960
	v_add_f64 v[14:15], v[10:11], v[90:91]
	v_add_f64 v[16:17], v[12:13], v[98:99]
	scratch_load_b128 v[10:13], off, off offset:976
	v_add_f64 v[18:19], v[14:15], v[96:97]
	v_add_f64 v[20:21], v[16:17], v[179:180]
	scratch_load_b128 v[14:17], off, off offset:992
	v_add_f64 v[18:19], v[18:19], v[177:178]
	v_add_f64 v[20:21], v[20:21], v[209:210]
	s_delay_alu instid0(VALU_DEP_2) | instskip(NEXT) | instid1(VALU_DEP_2)
	v_add_f64 v[18:19], v[18:19], v[181:182]
	v_add_f64 v[28:29], v[20:21], v[243:244]
	s_delay_alu instid0(VALU_DEP_2)
	v_add_f64 v[34:35], v[18:19], v[241:242]
	ds_load_b128 v[18:21], v1 offset:1984
	ds_load_b128 v[22:25], v1 offset:2000
	s_waitcnt vmcnt(2) lgkmcnt(2)
	v_mul_f64 v[26:27], v[6:7], v[4:5]
	v_mul_f64 v[4:5], v[8:9], v[4:5]
	s_waitcnt vmcnt(1) lgkmcnt(1)
	v_mul_f64 v[36:37], v[18:19], v[12:13]
	s_delay_alu instid0(VALU_DEP_3) | instskip(NEXT) | instid1(VALU_DEP_3)
	v_fma_f64 v[8:9], v[8:9], v[2:3], v[26:27]
	v_fma_f64 v[1:2], v[6:7], v[2:3], -v[4:5]
	v_mul_f64 v[3:4], v[20:21], v[12:13]
	v_add_f64 v[5:6], v[28:29], v[247:248]
	v_add_f64 v[12:13], v[34:35], v[245:246]
	s_waitcnt vmcnt(0) lgkmcnt(0)
	v_mul_f64 v[26:27], v[22:23], v[16:17]
	v_mul_f64 v[16:17], v[24:25], v[16:17]
	v_fma_f64 v[20:21], v[20:21], v[10:11], v[36:37]
	v_fma_f64 v[3:4], v[18:19], v[10:11], -v[3:4]
	v_add_f64 v[1:2], v[5:6], v[1:2]
	v_add_f64 v[5:6], v[12:13], v[8:9]
	v_fma_f64 v[7:8], v[24:25], v[14:15], v[26:27]
	v_fma_f64 v[9:10], v[22:23], v[14:15], -v[16:17]
	s_delay_alu instid0(VALU_DEP_4) | instskip(NEXT) | instid1(VALU_DEP_4)
	v_add_f64 v[1:2], v[1:2], v[3:4]
	v_add_f64 v[3:4], v[5:6], v[20:21]
	s_delay_alu instid0(VALU_DEP_2) | instskip(NEXT) | instid1(VALU_DEP_2)
	v_add_f64 v[1:2], v[1:2], v[9:10]
	v_add_f64 v[3:4], v[3:4], v[7:8]
	s_delay_alu instid0(VALU_DEP_2) | instskip(NEXT) | instid1(VALU_DEP_2)
	v_add_f64 v[1:2], v[30:31], -v[1:2]
	v_add_f64 v[3:4], v[32:33], -v[3:4]
	scratch_store_b128 off, v[1:4], off offset:640
	v_cmpx_lt_u32_e32 39, v176
	s_cbranch_execz .LBB62_325
; %bb.324:
	scratch_load_b32 v1, off, off offset:1096 ; 4-byte Folded Reload
	v_mov_b32_e32 v5, 0
	s_delay_alu instid0(VALU_DEP_1)
	v_mov_b32_e32 v6, v5
	v_mov_b32_e32 v7, v5
	;; [unrolled: 1-line block ×3, first 2 shown]
	s_waitcnt vmcnt(0)
	scratch_load_b128 v[1:4], v1, off
	scratch_store_b128 off, v[5:8], off offset:624
	s_waitcnt vmcnt(0)
	ds_store_b128 v255, v[1:4]
.LBB62_325:
	s_or_b32 exec_lo, exec_lo, s2
	s_waitcnt lgkmcnt(0)
	s_waitcnt_vscnt null, 0x0
	s_barrier
	buffer_gl0_inv
	s_clause 0x4
	scratch_load_b128 v[2:5], off, off offset:640
	scratch_load_b128 v[6:9], off, off offset:656
	;; [unrolled: 1-line block ×5, first 2 shown]
	v_mov_b32_e32 v1, 0
	scratch_load_b128 v[26:29], off, off offset:624
	s_mov_b32 s2, exec_lo
	ds_load_b128 v[22:25], v1 offset:1648
	ds_load_b128 v[30:33], v1 offset:1664
	s_waitcnt vmcnt(5) lgkmcnt(1)
	v_mul_f64 v[34:35], v[24:25], v[4:5]
	v_mul_f64 v[4:5], v[22:23], v[4:5]
	s_waitcnt vmcnt(4) lgkmcnt(0)
	v_mul_f64 v[36:37], v[30:31], v[8:9]
	v_mul_f64 v[8:9], v[32:33], v[8:9]
	s_delay_alu instid0(VALU_DEP_4) | instskip(NEXT) | instid1(VALU_DEP_4)
	v_fma_f64 v[22:23], v[22:23], v[2:3], -v[34:35]
	v_fma_f64 v[24:25], v[24:25], v[2:3], v[4:5]
	ds_load_b128 v[2:5], v1 offset:1680
	v_fma_f64 v[32:33], v[32:33], v[6:7], v[36:37]
	v_fma_f64 v[30:31], v[30:31], v[6:7], -v[8:9]
	ds_load_b128 v[6:9], v1 offset:1696
	s_waitcnt vmcnt(3) lgkmcnt(1)
	v_mul_f64 v[34:35], v[2:3], v[12:13]
	v_mul_f64 v[12:13], v[4:5], v[12:13]
	s_waitcnt vmcnt(2) lgkmcnt(0)
	v_mul_f64 v[36:37], v[6:7], v[16:17]
	s_delay_alu instid0(VALU_DEP_3) | instskip(NEXT) | instid1(VALU_DEP_3)
	v_fma_f64 v[34:35], v[4:5], v[10:11], v[34:35]
	v_fma_f64 v[38:39], v[2:3], v[10:11], -v[12:13]
	v_mul_f64 v[10:11], v[8:9], v[16:17]
	ds_load_b128 v[2:5], v1 offset:1712
	v_fma_f64 v[16:17], v[8:9], v[14:15], v[36:37]
	v_fma_f64 v[14:15], v[6:7], v[14:15], -v[10:11]
	ds_load_b128 v[6:9], v1 offset:1728
	s_waitcnt vmcnt(1) lgkmcnt(1)
	v_mul_f64 v[10:11], v[2:3], v[20:21]
	v_mul_f64 v[12:13], v[4:5], v[20:21]
	s_delay_alu instid0(VALU_DEP_2) | instskip(NEXT) | instid1(VALU_DEP_2)
	v_fma_f64 v[20:21], v[4:5], v[18:19], v[10:11]
	v_fma_f64 v[18:19], v[2:3], v[18:19], -v[12:13]
	s_clause 0x1
	scratch_load_b128 v[2:5], off, off offset:720
	scratch_load_b128 v[10:13], off, off offset:736
	s_waitcnt vmcnt(1) lgkmcnt(0)
	v_mul_f64 v[36:37], v[6:7], v[4:5]
	v_mul_f64 v[4:5], v[8:9], v[4:5]
	s_delay_alu instid0(VALU_DEP_2) | instskip(NEXT) | instid1(VALU_DEP_2)
	v_fma_f64 v[36:37], v[8:9], v[2:3], v[36:37]
	v_fma_f64 v[40:41], v[6:7], v[2:3], -v[4:5]
	ds_load_b128 v[2:5], v1 offset:1744
	ds_load_b128 v[6:9], v1 offset:1760
	s_waitcnt vmcnt(0) lgkmcnt(1)
	v_mul_f64 v[42:43], v[2:3], v[12:13]
	s_delay_alu instid0(VALU_DEP_1) | instskip(SKIP_1) | instid1(VALU_DEP_1)
	v_fma_f64 v[42:43], v[4:5], v[10:11], v[42:43]
	v_mul_f64 v[4:5], v[4:5], v[12:13]
	v_fma_f64 v[44:45], v[2:3], v[10:11], -v[4:5]
	s_clause 0x1
	scratch_load_b128 v[2:5], off, off offset:752
	scratch_load_b128 v[10:13], off, off offset:768
	s_waitcnt vmcnt(1) lgkmcnt(0)
	v_mul_f64 v[46:47], v[6:7], v[4:5]
	v_mul_f64 v[4:5], v[8:9], v[4:5]
	s_delay_alu instid0(VALU_DEP_2) | instskip(NEXT) | instid1(VALU_DEP_2)
	v_fma_f64 v[46:47], v[8:9], v[2:3], v[46:47]
	v_fma_f64 v[48:49], v[6:7], v[2:3], -v[4:5]
	ds_load_b128 v[2:5], v1 offset:1776
	ds_load_b128 v[6:9], v1 offset:1792
	s_waitcnt vmcnt(0) lgkmcnt(1)
	v_mul_f64 v[52:53], v[2:3], v[12:13]
	s_delay_alu instid0(VALU_DEP_1) | instskip(SKIP_1) | instid1(VALU_DEP_1)
	v_fma_f64 v[52:53], v[4:5], v[10:11], v[52:53]
	v_mul_f64 v[4:5], v[4:5], v[12:13]
	;; [unrolled: 17-line block ×7, first 2 shown]
	v_fma_f64 v[247:248], v[2:3], v[10:11], -v[4:5]
	v_add_f64 v[2:3], v[22:23], 0
	v_add_f64 v[4:5], v[24:25], 0
	s_delay_alu instid0(VALU_DEP_2) | instskip(NEXT) | instid1(VALU_DEP_2)
	v_add_f64 v[2:3], v[2:3], v[30:31]
	v_add_f64 v[4:5], v[4:5], v[32:33]
	s_delay_alu instid0(VALU_DEP_2) | instskip(NEXT) | instid1(VALU_DEP_2)
	;; [unrolled: 3-line block ×12, first 2 shown]
	v_add_f64 v[2:3], v[2:3], v[70:71]
	v_add_f64 v[10:11], v[4:5], v[68:69]
	s_delay_alu instid0(VALU_DEP_2)
	v_add_f64 v[12:13], v[2:3], v[94:95]
	scratch_load_b128 v[2:5], off, off offset:944
	v_add_f64 v[14:15], v[10:11], v[90:91]
	v_add_f64 v[16:17], v[12:13], v[98:99]
	scratch_load_b128 v[10:13], off, off offset:960
	v_add_f64 v[18:19], v[14:15], v[96:97]
	;; [unrolled: 3-line block ×4, first 2 shown]
	v_add_f64 v[24:25], v[24:25], v[243:244]
	s_delay_alu instid0(VALU_DEP_2) | instskip(NEXT) | instid1(VALU_DEP_2)
	v_add_f64 v[22:23], v[22:23], v[241:242]
	v_add_f64 v[24:25], v[24:25], v[247:248]
	s_delay_alu instid0(VALU_DEP_2) | instskip(SKIP_3) | instid1(VALU_DEP_2)
	v_add_f64 v[22:23], v[22:23], v[245:246]
	s_waitcnt vmcnt(3) lgkmcnt(0)
	v_mul_f64 v[30:31], v[6:7], v[4:5]
	v_mul_f64 v[4:5], v[8:9], v[4:5]
	v_fma_f64 v[30:31], v[8:9], v[2:3], v[30:31]
	s_delay_alu instid0(VALU_DEP_2)
	v_fma_f64 v[32:33], v[6:7], v[2:3], -v[4:5]
	ds_load_b128 v[2:5], v1 offset:1968
	ds_load_b128 v[6:9], v1 offset:1984
	s_waitcnt vmcnt(2) lgkmcnt(1)
	v_mul_f64 v[34:35], v[2:3], v[12:13]
	v_mul_f64 v[12:13], v[4:5], v[12:13]
	s_waitcnt vmcnt(1) lgkmcnt(0)
	v_mul_f64 v[36:37], v[6:7], v[16:17]
	v_add_f64 v[22:23], v[22:23], v[30:31]
	s_delay_alu instid0(VALU_DEP_4) | instskip(NEXT) | instid1(VALU_DEP_4)
	v_fma_f64 v[34:35], v[4:5], v[10:11], v[34:35]
	v_fma_f64 v[10:11], v[2:3], v[10:11], -v[12:13]
	v_mul_f64 v[12:13], v[8:9], v[16:17]
	v_add_f64 v[16:17], v[24:25], v[32:33]
	ds_load_b128 v[2:5], v1 offset:2000
	v_fma_f64 v[8:9], v[8:9], v[14:15], v[36:37]
	s_waitcnt vmcnt(0) lgkmcnt(0)
	v_mul_f64 v[24:25], v[2:3], v[20:21]
	v_mul_f64 v[20:21], v[4:5], v[20:21]
	v_fma_f64 v[6:7], v[6:7], v[14:15], -v[12:13]
	v_add_f64 v[10:11], v[16:17], v[10:11]
	v_add_f64 v[12:13], v[22:23], v[34:35]
	v_fma_f64 v[4:5], v[4:5], v[18:19], v[24:25]
	v_fma_f64 v[2:3], v[2:3], v[18:19], -v[20:21]
	s_delay_alu instid0(VALU_DEP_4) | instskip(NEXT) | instid1(VALU_DEP_4)
	v_add_f64 v[6:7], v[10:11], v[6:7]
	v_add_f64 v[8:9], v[12:13], v[8:9]
	s_delay_alu instid0(VALU_DEP_2) | instskip(NEXT) | instid1(VALU_DEP_2)
	v_add_f64 v[2:3], v[6:7], v[2:3]
	v_add_f64 v[4:5], v[8:9], v[4:5]
	s_delay_alu instid0(VALU_DEP_2) | instskip(NEXT) | instid1(VALU_DEP_2)
	v_add_f64 v[2:3], v[26:27], -v[2:3]
	v_add_f64 v[4:5], v[28:29], -v[4:5]
	scratch_store_b128 off, v[2:5], off offset:624
	v_cmpx_lt_u32_e32 38, v176
	s_cbranch_execz .LBB62_327
; %bb.326:
	scratch_load_b32 v2, off, off offset:1100 ; 4-byte Folded Reload
	v_mov_b32_e32 v3, v1
	v_mov_b32_e32 v4, v1
	s_waitcnt vmcnt(0)
	scratch_load_b128 v[5:8], v2, off
	v_mov_b32_e32 v2, v1
	scratch_store_b128 off, v[1:4], off offset:608
	s_waitcnt vmcnt(0)
	ds_store_b128 v255, v[5:8]
.LBB62_327:
	s_or_b32 exec_lo, exec_lo, s2
	s_waitcnt lgkmcnt(0)
	s_waitcnt_vscnt null, 0x0
	s_barrier
	buffer_gl0_inv
	s_clause 0x4
	scratch_load_b128 v[2:5], off, off offset:624
	scratch_load_b128 v[6:9], off, off offset:640
	;; [unrolled: 1-line block ×5, first 2 shown]
	ds_load_b128 v[22:25], v1 offset:1632
	ds_load_b128 v[26:29], v1 offset:1648
	scratch_load_b128 v[30:33], off, off offset:608
	s_mov_b32 s2, exec_lo
	s_waitcnt vmcnt(5) lgkmcnt(1)
	v_mul_f64 v[34:35], v[24:25], v[4:5]
	v_mul_f64 v[4:5], v[22:23], v[4:5]
	s_waitcnt vmcnt(4) lgkmcnt(0)
	v_mul_f64 v[36:37], v[26:27], v[8:9]
	v_mul_f64 v[8:9], v[28:29], v[8:9]
	s_delay_alu instid0(VALU_DEP_4) | instskip(NEXT) | instid1(VALU_DEP_4)
	v_fma_f64 v[22:23], v[22:23], v[2:3], -v[34:35]
	v_fma_f64 v[24:25], v[24:25], v[2:3], v[4:5]
	ds_load_b128 v[2:5], v1 offset:1664
	v_fma_f64 v[28:29], v[28:29], v[6:7], v[36:37]
	v_fma_f64 v[26:27], v[26:27], v[6:7], -v[8:9]
	ds_load_b128 v[6:9], v1 offset:1680
	s_waitcnt vmcnt(3) lgkmcnt(1)
	v_mul_f64 v[34:35], v[2:3], v[12:13]
	v_mul_f64 v[12:13], v[4:5], v[12:13]
	s_waitcnt vmcnt(2) lgkmcnt(0)
	v_mul_f64 v[36:37], v[6:7], v[16:17]
	s_delay_alu instid0(VALU_DEP_3) | instskip(NEXT) | instid1(VALU_DEP_3)
	v_fma_f64 v[34:35], v[4:5], v[10:11], v[34:35]
	v_fma_f64 v[38:39], v[2:3], v[10:11], -v[12:13]
	v_mul_f64 v[10:11], v[8:9], v[16:17]
	ds_load_b128 v[2:5], v1 offset:1696
	v_fma_f64 v[16:17], v[8:9], v[14:15], v[36:37]
	v_fma_f64 v[14:15], v[6:7], v[14:15], -v[10:11]
	ds_load_b128 v[6:9], v1 offset:1712
	s_waitcnt vmcnt(1) lgkmcnt(1)
	v_mul_f64 v[10:11], v[2:3], v[20:21]
	v_mul_f64 v[12:13], v[4:5], v[20:21]
	s_delay_alu instid0(VALU_DEP_2) | instskip(NEXT) | instid1(VALU_DEP_2)
	v_fma_f64 v[20:21], v[4:5], v[18:19], v[10:11]
	v_fma_f64 v[18:19], v[2:3], v[18:19], -v[12:13]
	s_clause 0x1
	scratch_load_b128 v[2:5], off, off offset:704
	scratch_load_b128 v[10:13], off, off offset:720
	s_waitcnt vmcnt(1) lgkmcnt(0)
	v_mul_f64 v[36:37], v[6:7], v[4:5]
	v_mul_f64 v[4:5], v[8:9], v[4:5]
	s_delay_alu instid0(VALU_DEP_2) | instskip(NEXT) | instid1(VALU_DEP_2)
	v_fma_f64 v[36:37], v[8:9], v[2:3], v[36:37]
	v_fma_f64 v[40:41], v[6:7], v[2:3], -v[4:5]
	ds_load_b128 v[2:5], v1 offset:1728
	ds_load_b128 v[6:9], v1 offset:1744
	s_waitcnt vmcnt(0) lgkmcnt(1)
	v_mul_f64 v[42:43], v[2:3], v[12:13]
	s_delay_alu instid0(VALU_DEP_1) | instskip(SKIP_1) | instid1(VALU_DEP_1)
	v_fma_f64 v[42:43], v[4:5], v[10:11], v[42:43]
	v_mul_f64 v[4:5], v[4:5], v[12:13]
	v_fma_f64 v[44:45], v[2:3], v[10:11], -v[4:5]
	s_clause 0x1
	scratch_load_b128 v[2:5], off, off offset:736
	scratch_load_b128 v[10:13], off, off offset:752
	s_waitcnt vmcnt(1) lgkmcnt(0)
	v_mul_f64 v[46:47], v[6:7], v[4:5]
	v_mul_f64 v[4:5], v[8:9], v[4:5]
	s_delay_alu instid0(VALU_DEP_2) | instskip(NEXT) | instid1(VALU_DEP_2)
	v_fma_f64 v[46:47], v[8:9], v[2:3], v[46:47]
	v_fma_f64 v[48:49], v[6:7], v[2:3], -v[4:5]
	ds_load_b128 v[2:5], v1 offset:1760
	ds_load_b128 v[6:9], v1 offset:1776
	s_waitcnt vmcnt(0) lgkmcnt(1)
	v_mul_f64 v[52:53], v[2:3], v[12:13]
	s_delay_alu instid0(VALU_DEP_1) | instskip(SKIP_1) | instid1(VALU_DEP_1)
	v_fma_f64 v[52:53], v[4:5], v[10:11], v[52:53]
	v_mul_f64 v[4:5], v[4:5], v[12:13]
	;; [unrolled: 17-line block ×8, first 2 shown]
	v_fma_f64 v[185:186], v[2:3], v[10:11], -v[4:5]
	v_add_f64 v[2:3], v[22:23], 0
	v_add_f64 v[4:5], v[24:25], 0
	s_delay_alu instid0(VALU_DEP_2) | instskip(NEXT) | instid1(VALU_DEP_2)
	v_add_f64 v[2:3], v[2:3], v[26:27]
	v_add_f64 v[4:5], v[4:5], v[28:29]
	s_delay_alu instid0(VALU_DEP_2) | instskip(NEXT) | instid1(VALU_DEP_2)
	;; [unrolled: 3-line block ×14, first 2 shown]
	v_add_f64 v[2:3], v[2:3], v[98:99]
	v_add_f64 v[10:11], v[4:5], v[96:97]
	s_delay_alu instid0(VALU_DEP_2)
	v_add_f64 v[12:13], v[2:3], v[179:180]
	scratch_load_b128 v[2:5], off, off offset:960
	v_add_f64 v[14:15], v[10:11], v[177:178]
	v_add_f64 v[16:17], v[12:13], v[209:210]
	scratch_load_b128 v[10:13], off, off offset:976
	v_add_f64 v[18:19], v[14:15], v[181:182]
	;; [unrolled: 3-line block ×3, first 2 shown]
	v_add_f64 v[20:21], v[20:21], v[247:248]
	s_delay_alu instid0(VALU_DEP_2) | instskip(NEXT) | instid1(VALU_DEP_2)
	v_add_f64 v[18:19], v[18:19], v[245:246]
	v_add_f64 v[28:29], v[20:21], v[251:252]
	s_delay_alu instid0(VALU_DEP_2)
	v_add_f64 v[34:35], v[18:19], v[249:250]
	ds_load_b128 v[18:21], v1 offset:1984
	ds_load_b128 v[22:25], v1 offset:2000
	s_waitcnt vmcnt(2) lgkmcnt(2)
	v_mul_f64 v[26:27], v[6:7], v[4:5]
	v_mul_f64 v[4:5], v[8:9], v[4:5]
	s_waitcnt vmcnt(1) lgkmcnt(1)
	v_mul_f64 v[36:37], v[18:19], v[12:13]
	s_delay_alu instid0(VALU_DEP_3) | instskip(NEXT) | instid1(VALU_DEP_3)
	v_fma_f64 v[8:9], v[8:9], v[2:3], v[26:27]
	v_fma_f64 v[1:2], v[6:7], v[2:3], -v[4:5]
	v_mul_f64 v[3:4], v[20:21], v[12:13]
	v_add_f64 v[5:6], v[28:29], v[185:186]
	v_add_f64 v[12:13], v[34:35], v[183:184]
	s_waitcnt vmcnt(0) lgkmcnt(0)
	v_mul_f64 v[26:27], v[22:23], v[16:17]
	v_mul_f64 v[16:17], v[24:25], v[16:17]
	v_fma_f64 v[20:21], v[20:21], v[10:11], v[36:37]
	v_fma_f64 v[3:4], v[18:19], v[10:11], -v[3:4]
	v_add_f64 v[1:2], v[5:6], v[1:2]
	v_add_f64 v[5:6], v[12:13], v[8:9]
	v_fma_f64 v[7:8], v[24:25], v[14:15], v[26:27]
	v_fma_f64 v[9:10], v[22:23], v[14:15], -v[16:17]
	s_delay_alu instid0(VALU_DEP_4) | instskip(NEXT) | instid1(VALU_DEP_4)
	v_add_f64 v[1:2], v[1:2], v[3:4]
	v_add_f64 v[3:4], v[5:6], v[20:21]
	s_delay_alu instid0(VALU_DEP_2) | instskip(NEXT) | instid1(VALU_DEP_2)
	v_add_f64 v[1:2], v[1:2], v[9:10]
	v_add_f64 v[3:4], v[3:4], v[7:8]
	s_delay_alu instid0(VALU_DEP_2) | instskip(NEXT) | instid1(VALU_DEP_2)
	v_add_f64 v[1:2], v[30:31], -v[1:2]
	v_add_f64 v[3:4], v[32:33], -v[3:4]
	scratch_store_b128 off, v[1:4], off offset:608
	v_cmpx_lt_u32_e32 37, v176
	s_cbranch_execz .LBB62_329
; %bb.328:
	scratch_load_b32 v1, off, off offset:1104 ; 4-byte Folded Reload
	v_mov_b32_e32 v5, 0
	s_delay_alu instid0(VALU_DEP_1)
	v_mov_b32_e32 v6, v5
	v_mov_b32_e32 v7, v5
	;; [unrolled: 1-line block ×3, first 2 shown]
	s_waitcnt vmcnt(0)
	scratch_load_b128 v[1:4], v1, off
	scratch_store_b128 off, v[5:8], off offset:592
	s_waitcnt vmcnt(0)
	ds_store_b128 v255, v[1:4]
.LBB62_329:
	s_or_b32 exec_lo, exec_lo, s2
	s_waitcnt lgkmcnt(0)
	s_waitcnt_vscnt null, 0x0
	s_barrier
	buffer_gl0_inv
	s_clause 0x4
	scratch_load_b128 v[2:5], off, off offset:608
	scratch_load_b128 v[6:9], off, off offset:624
	;; [unrolled: 1-line block ×5, first 2 shown]
	v_mov_b32_e32 v1, 0
	scratch_load_b128 v[26:29], off, off offset:592
	s_mov_b32 s2, exec_lo
	ds_load_b128 v[22:25], v1 offset:1616
	ds_load_b128 v[30:33], v1 offset:1632
	s_waitcnt vmcnt(5) lgkmcnt(1)
	v_mul_f64 v[34:35], v[24:25], v[4:5]
	v_mul_f64 v[4:5], v[22:23], v[4:5]
	s_waitcnt vmcnt(4) lgkmcnt(0)
	v_mul_f64 v[36:37], v[30:31], v[8:9]
	v_mul_f64 v[8:9], v[32:33], v[8:9]
	s_delay_alu instid0(VALU_DEP_4) | instskip(NEXT) | instid1(VALU_DEP_4)
	v_fma_f64 v[22:23], v[22:23], v[2:3], -v[34:35]
	v_fma_f64 v[24:25], v[24:25], v[2:3], v[4:5]
	ds_load_b128 v[2:5], v1 offset:1648
	v_fma_f64 v[32:33], v[32:33], v[6:7], v[36:37]
	v_fma_f64 v[30:31], v[30:31], v[6:7], -v[8:9]
	ds_load_b128 v[6:9], v1 offset:1664
	s_waitcnt vmcnt(3) lgkmcnt(1)
	v_mul_f64 v[34:35], v[2:3], v[12:13]
	v_mul_f64 v[12:13], v[4:5], v[12:13]
	s_waitcnt vmcnt(2) lgkmcnt(0)
	v_mul_f64 v[36:37], v[6:7], v[16:17]
	s_delay_alu instid0(VALU_DEP_3) | instskip(NEXT) | instid1(VALU_DEP_3)
	v_fma_f64 v[34:35], v[4:5], v[10:11], v[34:35]
	v_fma_f64 v[38:39], v[2:3], v[10:11], -v[12:13]
	v_mul_f64 v[10:11], v[8:9], v[16:17]
	ds_load_b128 v[2:5], v1 offset:1680
	v_fma_f64 v[16:17], v[8:9], v[14:15], v[36:37]
	v_fma_f64 v[14:15], v[6:7], v[14:15], -v[10:11]
	ds_load_b128 v[6:9], v1 offset:1696
	s_waitcnt vmcnt(1) lgkmcnt(1)
	v_mul_f64 v[10:11], v[2:3], v[20:21]
	v_mul_f64 v[12:13], v[4:5], v[20:21]
	s_delay_alu instid0(VALU_DEP_2) | instskip(NEXT) | instid1(VALU_DEP_2)
	v_fma_f64 v[20:21], v[4:5], v[18:19], v[10:11]
	v_fma_f64 v[18:19], v[2:3], v[18:19], -v[12:13]
	s_clause 0x1
	scratch_load_b128 v[2:5], off, off offset:688
	scratch_load_b128 v[10:13], off, off offset:704
	s_waitcnt vmcnt(1) lgkmcnt(0)
	v_mul_f64 v[36:37], v[6:7], v[4:5]
	v_mul_f64 v[4:5], v[8:9], v[4:5]
	s_delay_alu instid0(VALU_DEP_2) | instskip(NEXT) | instid1(VALU_DEP_2)
	v_fma_f64 v[36:37], v[8:9], v[2:3], v[36:37]
	v_fma_f64 v[40:41], v[6:7], v[2:3], -v[4:5]
	ds_load_b128 v[2:5], v1 offset:1712
	ds_load_b128 v[6:9], v1 offset:1728
	s_waitcnt vmcnt(0) lgkmcnt(1)
	v_mul_f64 v[42:43], v[2:3], v[12:13]
	s_delay_alu instid0(VALU_DEP_1) | instskip(SKIP_1) | instid1(VALU_DEP_1)
	v_fma_f64 v[42:43], v[4:5], v[10:11], v[42:43]
	v_mul_f64 v[4:5], v[4:5], v[12:13]
	v_fma_f64 v[44:45], v[2:3], v[10:11], -v[4:5]
	s_clause 0x1
	scratch_load_b128 v[2:5], off, off offset:720
	scratch_load_b128 v[10:13], off, off offset:736
	s_waitcnt vmcnt(1) lgkmcnt(0)
	v_mul_f64 v[46:47], v[6:7], v[4:5]
	v_mul_f64 v[4:5], v[8:9], v[4:5]
	s_delay_alu instid0(VALU_DEP_2) | instskip(NEXT) | instid1(VALU_DEP_2)
	v_fma_f64 v[46:47], v[8:9], v[2:3], v[46:47]
	v_fma_f64 v[48:49], v[6:7], v[2:3], -v[4:5]
	ds_load_b128 v[2:5], v1 offset:1744
	ds_load_b128 v[6:9], v1 offset:1760
	s_waitcnt vmcnt(0) lgkmcnt(1)
	v_mul_f64 v[52:53], v[2:3], v[12:13]
	s_delay_alu instid0(VALU_DEP_1) | instskip(SKIP_1) | instid1(VALU_DEP_1)
	v_fma_f64 v[52:53], v[4:5], v[10:11], v[52:53]
	v_mul_f64 v[4:5], v[4:5], v[12:13]
	;; [unrolled: 17-line block ×8, first 2 shown]
	v_fma_f64 v[251:252], v[2:3], v[10:11], -v[4:5]
	v_add_f64 v[2:3], v[22:23], 0
	v_add_f64 v[4:5], v[24:25], 0
	s_delay_alu instid0(VALU_DEP_2) | instskip(NEXT) | instid1(VALU_DEP_2)
	v_add_f64 v[2:3], v[2:3], v[30:31]
	v_add_f64 v[4:5], v[4:5], v[32:33]
	s_delay_alu instid0(VALU_DEP_2) | instskip(NEXT) | instid1(VALU_DEP_2)
	;; [unrolled: 3-line block ×14, first 2 shown]
	v_add_f64 v[2:3], v[2:3], v[98:99]
	v_add_f64 v[10:11], v[4:5], v[96:97]
	s_delay_alu instid0(VALU_DEP_2)
	v_add_f64 v[12:13], v[2:3], v[179:180]
	scratch_load_b128 v[2:5], off, off offset:944
	v_add_f64 v[14:15], v[10:11], v[177:178]
	v_add_f64 v[16:17], v[12:13], v[183:184]
	scratch_load_b128 v[10:13], off, off offset:960
	v_add_f64 v[18:19], v[14:15], v[181:182]
	;; [unrolled: 3-line block ×4, first 2 shown]
	v_add_f64 v[24:25], v[24:25], v[247:248]
	s_delay_alu instid0(VALU_DEP_2) | instskip(NEXT) | instid1(VALU_DEP_2)
	v_add_f64 v[22:23], v[22:23], v[245:246]
	v_add_f64 v[24:25], v[24:25], v[251:252]
	s_delay_alu instid0(VALU_DEP_2) | instskip(SKIP_3) | instid1(VALU_DEP_2)
	v_add_f64 v[22:23], v[22:23], v[249:250]
	s_waitcnt vmcnt(3) lgkmcnt(0)
	v_mul_f64 v[30:31], v[6:7], v[4:5]
	v_mul_f64 v[4:5], v[8:9], v[4:5]
	v_fma_f64 v[30:31], v[8:9], v[2:3], v[30:31]
	s_delay_alu instid0(VALU_DEP_2)
	v_fma_f64 v[32:33], v[6:7], v[2:3], -v[4:5]
	ds_load_b128 v[2:5], v1 offset:1968
	ds_load_b128 v[6:9], v1 offset:1984
	s_waitcnt vmcnt(2) lgkmcnt(1)
	v_mul_f64 v[34:35], v[2:3], v[12:13]
	v_mul_f64 v[12:13], v[4:5], v[12:13]
	s_waitcnt vmcnt(1) lgkmcnt(0)
	v_mul_f64 v[36:37], v[6:7], v[16:17]
	v_add_f64 v[22:23], v[22:23], v[30:31]
	s_delay_alu instid0(VALU_DEP_4) | instskip(NEXT) | instid1(VALU_DEP_4)
	v_fma_f64 v[34:35], v[4:5], v[10:11], v[34:35]
	v_fma_f64 v[10:11], v[2:3], v[10:11], -v[12:13]
	v_mul_f64 v[12:13], v[8:9], v[16:17]
	v_add_f64 v[16:17], v[24:25], v[32:33]
	ds_load_b128 v[2:5], v1 offset:2000
	v_fma_f64 v[8:9], v[8:9], v[14:15], v[36:37]
	s_waitcnt vmcnt(0) lgkmcnt(0)
	v_mul_f64 v[24:25], v[2:3], v[20:21]
	v_mul_f64 v[20:21], v[4:5], v[20:21]
	v_fma_f64 v[6:7], v[6:7], v[14:15], -v[12:13]
	v_add_f64 v[10:11], v[16:17], v[10:11]
	v_add_f64 v[12:13], v[22:23], v[34:35]
	v_fma_f64 v[4:5], v[4:5], v[18:19], v[24:25]
	v_fma_f64 v[2:3], v[2:3], v[18:19], -v[20:21]
	s_delay_alu instid0(VALU_DEP_4) | instskip(NEXT) | instid1(VALU_DEP_4)
	v_add_f64 v[6:7], v[10:11], v[6:7]
	v_add_f64 v[8:9], v[12:13], v[8:9]
	s_delay_alu instid0(VALU_DEP_2) | instskip(NEXT) | instid1(VALU_DEP_2)
	v_add_f64 v[2:3], v[6:7], v[2:3]
	v_add_f64 v[4:5], v[8:9], v[4:5]
	s_delay_alu instid0(VALU_DEP_2) | instskip(NEXT) | instid1(VALU_DEP_2)
	v_add_f64 v[2:3], v[26:27], -v[2:3]
	v_add_f64 v[4:5], v[28:29], -v[4:5]
	scratch_store_b128 off, v[2:5], off offset:592
	v_cmpx_lt_u32_e32 36, v176
	s_cbranch_execz .LBB62_331
; %bb.330:
	scratch_load_b32 v2, off, off offset:1108 ; 4-byte Folded Reload
	v_mov_b32_e32 v3, v1
	v_mov_b32_e32 v4, v1
	s_waitcnt vmcnt(0)
	scratch_load_b128 v[5:8], v2, off
	v_mov_b32_e32 v2, v1
	scratch_store_b128 off, v[1:4], off offset:576
	s_waitcnt vmcnt(0)
	ds_store_b128 v255, v[5:8]
.LBB62_331:
	s_or_b32 exec_lo, exec_lo, s2
	s_waitcnt lgkmcnt(0)
	s_waitcnt_vscnt null, 0x0
	s_barrier
	buffer_gl0_inv
	s_clause 0x4
	scratch_load_b128 v[2:5], off, off offset:592
	scratch_load_b128 v[6:9], off, off offset:608
	;; [unrolled: 1-line block ×5, first 2 shown]
	ds_load_b128 v[22:25], v1 offset:1600
	ds_load_b128 v[26:29], v1 offset:1616
	scratch_load_b128 v[30:33], off, off offset:576
	s_mov_b32 s2, exec_lo
	s_waitcnt vmcnt(5) lgkmcnt(1)
	v_mul_f64 v[34:35], v[24:25], v[4:5]
	v_mul_f64 v[4:5], v[22:23], v[4:5]
	s_waitcnt vmcnt(4) lgkmcnt(0)
	v_mul_f64 v[36:37], v[26:27], v[8:9]
	v_mul_f64 v[8:9], v[28:29], v[8:9]
	s_delay_alu instid0(VALU_DEP_4) | instskip(NEXT) | instid1(VALU_DEP_4)
	v_fma_f64 v[22:23], v[22:23], v[2:3], -v[34:35]
	v_fma_f64 v[24:25], v[24:25], v[2:3], v[4:5]
	ds_load_b128 v[2:5], v1 offset:1632
	v_fma_f64 v[28:29], v[28:29], v[6:7], v[36:37]
	v_fma_f64 v[26:27], v[26:27], v[6:7], -v[8:9]
	ds_load_b128 v[6:9], v1 offset:1648
	s_waitcnt vmcnt(3) lgkmcnt(1)
	v_mul_f64 v[34:35], v[2:3], v[12:13]
	v_mul_f64 v[12:13], v[4:5], v[12:13]
	s_waitcnt vmcnt(2) lgkmcnt(0)
	v_mul_f64 v[36:37], v[6:7], v[16:17]
	s_delay_alu instid0(VALU_DEP_3) | instskip(NEXT) | instid1(VALU_DEP_3)
	v_fma_f64 v[34:35], v[4:5], v[10:11], v[34:35]
	v_fma_f64 v[38:39], v[2:3], v[10:11], -v[12:13]
	v_mul_f64 v[10:11], v[8:9], v[16:17]
	ds_load_b128 v[2:5], v1 offset:1664
	v_fma_f64 v[16:17], v[8:9], v[14:15], v[36:37]
	v_fma_f64 v[14:15], v[6:7], v[14:15], -v[10:11]
	ds_load_b128 v[6:9], v1 offset:1680
	s_waitcnt vmcnt(1) lgkmcnt(1)
	v_mul_f64 v[10:11], v[2:3], v[20:21]
	v_mul_f64 v[12:13], v[4:5], v[20:21]
	s_delay_alu instid0(VALU_DEP_2) | instskip(NEXT) | instid1(VALU_DEP_2)
	v_fma_f64 v[20:21], v[4:5], v[18:19], v[10:11]
	v_fma_f64 v[18:19], v[2:3], v[18:19], -v[12:13]
	s_clause 0x1
	scratch_load_b128 v[2:5], off, off offset:672
	scratch_load_b128 v[10:13], off, off offset:688
	s_waitcnt vmcnt(1) lgkmcnt(0)
	v_mul_f64 v[36:37], v[6:7], v[4:5]
	v_mul_f64 v[4:5], v[8:9], v[4:5]
	s_delay_alu instid0(VALU_DEP_2) | instskip(NEXT) | instid1(VALU_DEP_2)
	v_fma_f64 v[36:37], v[8:9], v[2:3], v[36:37]
	v_fma_f64 v[40:41], v[6:7], v[2:3], -v[4:5]
	ds_load_b128 v[2:5], v1 offset:1696
	ds_load_b128 v[6:9], v1 offset:1712
	s_waitcnt vmcnt(0) lgkmcnt(1)
	v_mul_f64 v[42:43], v[2:3], v[12:13]
	s_delay_alu instid0(VALU_DEP_1) | instskip(SKIP_1) | instid1(VALU_DEP_1)
	v_fma_f64 v[42:43], v[4:5], v[10:11], v[42:43]
	v_mul_f64 v[4:5], v[4:5], v[12:13]
	v_fma_f64 v[44:45], v[2:3], v[10:11], -v[4:5]
	s_clause 0x1
	scratch_load_b128 v[2:5], off, off offset:704
	scratch_load_b128 v[10:13], off, off offset:720
	s_waitcnt vmcnt(1) lgkmcnt(0)
	v_mul_f64 v[46:47], v[6:7], v[4:5]
	v_mul_f64 v[4:5], v[8:9], v[4:5]
	s_delay_alu instid0(VALU_DEP_2) | instskip(NEXT) | instid1(VALU_DEP_2)
	v_fma_f64 v[46:47], v[8:9], v[2:3], v[46:47]
	v_fma_f64 v[48:49], v[6:7], v[2:3], -v[4:5]
	ds_load_b128 v[2:5], v1 offset:1728
	ds_load_b128 v[6:9], v1 offset:1744
	s_waitcnt vmcnt(0) lgkmcnt(1)
	v_mul_f64 v[52:53], v[2:3], v[12:13]
	s_delay_alu instid0(VALU_DEP_1) | instskip(SKIP_1) | instid1(VALU_DEP_1)
	v_fma_f64 v[52:53], v[4:5], v[10:11], v[52:53]
	v_mul_f64 v[4:5], v[4:5], v[12:13]
	;; [unrolled: 17-line block ×9, first 2 shown]
	v_fma_f64 v[193:194], v[2:3], v[10:11], -v[4:5]
	v_add_f64 v[2:3], v[22:23], 0
	v_add_f64 v[4:5], v[24:25], 0
	s_delay_alu instid0(VALU_DEP_2) | instskip(NEXT) | instid1(VALU_DEP_2)
	v_add_f64 v[2:3], v[2:3], v[26:27]
	v_add_f64 v[4:5], v[4:5], v[28:29]
	s_delay_alu instid0(VALU_DEP_2) | instskip(NEXT) | instid1(VALU_DEP_2)
	;; [unrolled: 3-line block ×16, first 2 shown]
	v_add_f64 v[2:3], v[2:3], v[183:184]
	v_add_f64 v[10:11], v[4:5], v[181:182]
	s_delay_alu instid0(VALU_DEP_2)
	v_add_f64 v[12:13], v[2:3], v[209:210]
	scratch_load_b128 v[2:5], off, off offset:960
	v_add_f64 v[14:15], v[10:11], v[185:186]
	v_add_f64 v[16:17], v[12:13], v[243:244]
	scratch_load_b128 v[10:13], off, off offset:976
	v_add_f64 v[18:19], v[14:15], v[241:242]
	;; [unrolled: 3-line block ×3, first 2 shown]
	v_add_f64 v[20:21], v[20:21], v[251:252]
	s_delay_alu instid0(VALU_DEP_2) | instskip(NEXT) | instid1(VALU_DEP_2)
	v_add_f64 v[18:19], v[18:19], v[249:250]
	v_add_f64 v[28:29], v[20:21], v[189:190]
	s_delay_alu instid0(VALU_DEP_2)
	v_add_f64 v[34:35], v[18:19], v[187:188]
	ds_load_b128 v[18:21], v1 offset:1984
	ds_load_b128 v[22:25], v1 offset:2000
	s_waitcnt vmcnt(2) lgkmcnt(2)
	v_mul_f64 v[26:27], v[6:7], v[4:5]
	v_mul_f64 v[4:5], v[8:9], v[4:5]
	s_waitcnt vmcnt(1) lgkmcnt(1)
	v_mul_f64 v[36:37], v[18:19], v[12:13]
	s_delay_alu instid0(VALU_DEP_3) | instskip(NEXT) | instid1(VALU_DEP_3)
	v_fma_f64 v[8:9], v[8:9], v[2:3], v[26:27]
	v_fma_f64 v[1:2], v[6:7], v[2:3], -v[4:5]
	v_mul_f64 v[3:4], v[20:21], v[12:13]
	v_add_f64 v[5:6], v[28:29], v[193:194]
	v_add_f64 v[12:13], v[34:35], v[191:192]
	s_waitcnt vmcnt(0) lgkmcnt(0)
	v_mul_f64 v[26:27], v[22:23], v[16:17]
	v_mul_f64 v[16:17], v[24:25], v[16:17]
	v_fma_f64 v[20:21], v[20:21], v[10:11], v[36:37]
	v_fma_f64 v[3:4], v[18:19], v[10:11], -v[3:4]
	v_add_f64 v[1:2], v[5:6], v[1:2]
	v_add_f64 v[5:6], v[12:13], v[8:9]
	v_fma_f64 v[7:8], v[24:25], v[14:15], v[26:27]
	v_fma_f64 v[9:10], v[22:23], v[14:15], -v[16:17]
	s_delay_alu instid0(VALU_DEP_4) | instskip(NEXT) | instid1(VALU_DEP_4)
	v_add_f64 v[1:2], v[1:2], v[3:4]
	v_add_f64 v[3:4], v[5:6], v[20:21]
	s_delay_alu instid0(VALU_DEP_2) | instskip(NEXT) | instid1(VALU_DEP_2)
	v_add_f64 v[1:2], v[1:2], v[9:10]
	v_add_f64 v[3:4], v[3:4], v[7:8]
	s_delay_alu instid0(VALU_DEP_2) | instskip(NEXT) | instid1(VALU_DEP_2)
	v_add_f64 v[1:2], v[30:31], -v[1:2]
	v_add_f64 v[3:4], v[32:33], -v[3:4]
	scratch_store_b128 off, v[1:4], off offset:576
	v_cmpx_lt_u32_e32 35, v176
	s_cbranch_execz .LBB62_333
; %bb.332:
	scratch_load_b32 v1, off, off offset:1112 ; 4-byte Folded Reload
	v_mov_b32_e32 v5, 0
	s_delay_alu instid0(VALU_DEP_1)
	v_mov_b32_e32 v6, v5
	v_mov_b32_e32 v7, v5
	;; [unrolled: 1-line block ×3, first 2 shown]
	s_waitcnt vmcnt(0)
	scratch_load_b128 v[1:4], v1, off
	scratch_store_b128 off, v[5:8], off offset:560
	s_waitcnt vmcnt(0)
	ds_store_b128 v255, v[1:4]
.LBB62_333:
	s_or_b32 exec_lo, exec_lo, s2
	s_waitcnt lgkmcnt(0)
	s_waitcnt_vscnt null, 0x0
	s_barrier
	buffer_gl0_inv
	s_clause 0x4
	scratch_load_b128 v[2:5], off, off offset:576
	scratch_load_b128 v[6:9], off, off offset:592
	;; [unrolled: 1-line block ×5, first 2 shown]
	v_mov_b32_e32 v1, 0
	scratch_load_b128 v[26:29], off, off offset:560
	s_mov_b32 s2, exec_lo
	ds_load_b128 v[22:25], v1 offset:1584
	ds_load_b128 v[30:33], v1 offset:1600
	s_waitcnt vmcnt(5) lgkmcnt(1)
	v_mul_f64 v[34:35], v[24:25], v[4:5]
	v_mul_f64 v[4:5], v[22:23], v[4:5]
	s_waitcnt vmcnt(4) lgkmcnt(0)
	v_mul_f64 v[36:37], v[30:31], v[8:9]
	v_mul_f64 v[8:9], v[32:33], v[8:9]
	s_delay_alu instid0(VALU_DEP_4) | instskip(NEXT) | instid1(VALU_DEP_4)
	v_fma_f64 v[22:23], v[22:23], v[2:3], -v[34:35]
	v_fma_f64 v[24:25], v[24:25], v[2:3], v[4:5]
	ds_load_b128 v[2:5], v1 offset:1616
	v_fma_f64 v[32:33], v[32:33], v[6:7], v[36:37]
	v_fma_f64 v[30:31], v[30:31], v[6:7], -v[8:9]
	ds_load_b128 v[6:9], v1 offset:1632
	s_waitcnt vmcnt(3) lgkmcnt(1)
	v_mul_f64 v[34:35], v[2:3], v[12:13]
	v_mul_f64 v[12:13], v[4:5], v[12:13]
	s_waitcnt vmcnt(2) lgkmcnt(0)
	v_mul_f64 v[36:37], v[6:7], v[16:17]
	s_delay_alu instid0(VALU_DEP_3) | instskip(NEXT) | instid1(VALU_DEP_3)
	v_fma_f64 v[34:35], v[4:5], v[10:11], v[34:35]
	v_fma_f64 v[38:39], v[2:3], v[10:11], -v[12:13]
	v_mul_f64 v[10:11], v[8:9], v[16:17]
	ds_load_b128 v[2:5], v1 offset:1648
	v_fma_f64 v[16:17], v[8:9], v[14:15], v[36:37]
	v_fma_f64 v[14:15], v[6:7], v[14:15], -v[10:11]
	ds_load_b128 v[6:9], v1 offset:1664
	s_waitcnt vmcnt(1) lgkmcnt(1)
	v_mul_f64 v[10:11], v[2:3], v[20:21]
	v_mul_f64 v[12:13], v[4:5], v[20:21]
	s_delay_alu instid0(VALU_DEP_2) | instskip(NEXT) | instid1(VALU_DEP_2)
	v_fma_f64 v[20:21], v[4:5], v[18:19], v[10:11]
	v_fma_f64 v[18:19], v[2:3], v[18:19], -v[12:13]
	s_clause 0x1
	scratch_load_b128 v[2:5], off, off offset:656
	scratch_load_b128 v[10:13], off, off offset:672
	s_waitcnt vmcnt(1) lgkmcnt(0)
	v_mul_f64 v[36:37], v[6:7], v[4:5]
	v_mul_f64 v[4:5], v[8:9], v[4:5]
	s_delay_alu instid0(VALU_DEP_2) | instskip(NEXT) | instid1(VALU_DEP_2)
	v_fma_f64 v[36:37], v[8:9], v[2:3], v[36:37]
	v_fma_f64 v[40:41], v[6:7], v[2:3], -v[4:5]
	ds_load_b128 v[2:5], v1 offset:1680
	ds_load_b128 v[6:9], v1 offset:1696
	s_waitcnt vmcnt(0) lgkmcnt(1)
	v_mul_f64 v[42:43], v[2:3], v[12:13]
	s_delay_alu instid0(VALU_DEP_1) | instskip(SKIP_1) | instid1(VALU_DEP_1)
	v_fma_f64 v[42:43], v[4:5], v[10:11], v[42:43]
	v_mul_f64 v[4:5], v[4:5], v[12:13]
	v_fma_f64 v[44:45], v[2:3], v[10:11], -v[4:5]
	s_clause 0x1
	scratch_load_b128 v[2:5], off, off offset:688
	scratch_load_b128 v[10:13], off, off offset:704
	s_waitcnt vmcnt(1) lgkmcnt(0)
	v_mul_f64 v[46:47], v[6:7], v[4:5]
	v_mul_f64 v[4:5], v[8:9], v[4:5]
	s_delay_alu instid0(VALU_DEP_2) | instskip(NEXT) | instid1(VALU_DEP_2)
	v_fma_f64 v[46:47], v[8:9], v[2:3], v[46:47]
	v_fma_f64 v[48:49], v[6:7], v[2:3], -v[4:5]
	ds_load_b128 v[2:5], v1 offset:1712
	ds_load_b128 v[6:9], v1 offset:1728
	s_waitcnt vmcnt(0) lgkmcnt(1)
	v_mul_f64 v[52:53], v[2:3], v[12:13]
	s_delay_alu instid0(VALU_DEP_1) | instskip(SKIP_1) | instid1(VALU_DEP_1)
	v_fma_f64 v[52:53], v[4:5], v[10:11], v[52:53]
	v_mul_f64 v[4:5], v[4:5], v[12:13]
	;; [unrolled: 17-line block ×9, first 2 shown]
	v_fma_f64 v[251:252], v[2:3], v[10:11], -v[4:5]
	v_add_f64 v[2:3], v[22:23], 0
	v_add_f64 v[4:5], v[24:25], 0
	s_delay_alu instid0(VALU_DEP_2) | instskip(NEXT) | instid1(VALU_DEP_2)
	v_add_f64 v[2:3], v[2:3], v[30:31]
	v_add_f64 v[4:5], v[4:5], v[32:33]
	s_delay_alu instid0(VALU_DEP_2) | instskip(NEXT) | instid1(VALU_DEP_2)
	;; [unrolled: 3-line block ×16, first 2 shown]
	v_add_f64 v[2:3], v[2:3], v[183:184]
	v_add_f64 v[10:11], v[4:5], v[181:182]
	s_delay_alu instid0(VALU_DEP_2)
	v_add_f64 v[12:13], v[2:3], v[187:188]
	scratch_load_b128 v[2:5], off, off offset:944
	v_add_f64 v[14:15], v[10:11], v[185:186]
	v_add_f64 v[16:17], v[12:13], v[191:192]
	scratch_load_b128 v[10:13], off, off offset:960
	v_add_f64 v[18:19], v[14:15], v[189:190]
	;; [unrolled: 3-line block ×4, first 2 shown]
	v_add_f64 v[24:25], v[24:25], v[247:248]
	s_delay_alu instid0(VALU_DEP_2) | instskip(NEXT) | instid1(VALU_DEP_2)
	v_add_f64 v[22:23], v[22:23], v[245:246]
	v_add_f64 v[24:25], v[24:25], v[251:252]
	s_delay_alu instid0(VALU_DEP_2) | instskip(SKIP_3) | instid1(VALU_DEP_2)
	v_add_f64 v[22:23], v[22:23], v[249:250]
	s_waitcnt vmcnt(3) lgkmcnt(0)
	v_mul_f64 v[30:31], v[6:7], v[4:5]
	v_mul_f64 v[4:5], v[8:9], v[4:5]
	v_fma_f64 v[30:31], v[8:9], v[2:3], v[30:31]
	s_delay_alu instid0(VALU_DEP_2)
	v_fma_f64 v[32:33], v[6:7], v[2:3], -v[4:5]
	ds_load_b128 v[2:5], v1 offset:1968
	ds_load_b128 v[6:9], v1 offset:1984
	s_waitcnt vmcnt(2) lgkmcnt(1)
	v_mul_f64 v[34:35], v[2:3], v[12:13]
	v_mul_f64 v[12:13], v[4:5], v[12:13]
	s_waitcnt vmcnt(1) lgkmcnt(0)
	v_mul_f64 v[36:37], v[6:7], v[16:17]
	v_add_f64 v[22:23], v[22:23], v[30:31]
	s_delay_alu instid0(VALU_DEP_4) | instskip(NEXT) | instid1(VALU_DEP_4)
	v_fma_f64 v[34:35], v[4:5], v[10:11], v[34:35]
	v_fma_f64 v[10:11], v[2:3], v[10:11], -v[12:13]
	v_mul_f64 v[12:13], v[8:9], v[16:17]
	v_add_f64 v[16:17], v[24:25], v[32:33]
	ds_load_b128 v[2:5], v1 offset:2000
	v_fma_f64 v[8:9], v[8:9], v[14:15], v[36:37]
	s_waitcnt vmcnt(0) lgkmcnt(0)
	v_mul_f64 v[24:25], v[2:3], v[20:21]
	v_mul_f64 v[20:21], v[4:5], v[20:21]
	v_fma_f64 v[6:7], v[6:7], v[14:15], -v[12:13]
	v_add_f64 v[10:11], v[16:17], v[10:11]
	v_add_f64 v[12:13], v[22:23], v[34:35]
	v_fma_f64 v[4:5], v[4:5], v[18:19], v[24:25]
	v_fma_f64 v[2:3], v[2:3], v[18:19], -v[20:21]
	s_delay_alu instid0(VALU_DEP_4) | instskip(NEXT) | instid1(VALU_DEP_4)
	v_add_f64 v[6:7], v[10:11], v[6:7]
	v_add_f64 v[8:9], v[12:13], v[8:9]
	s_delay_alu instid0(VALU_DEP_2) | instskip(NEXT) | instid1(VALU_DEP_2)
	v_add_f64 v[2:3], v[6:7], v[2:3]
	v_add_f64 v[4:5], v[8:9], v[4:5]
	s_delay_alu instid0(VALU_DEP_2) | instskip(NEXT) | instid1(VALU_DEP_2)
	v_add_f64 v[2:3], v[26:27], -v[2:3]
	v_add_f64 v[4:5], v[28:29], -v[4:5]
	scratch_store_b128 off, v[2:5], off offset:560
	v_cmpx_lt_u32_e32 34, v176
	s_cbranch_execz .LBB62_335
; %bb.334:
	scratch_load_b32 v2, off, off offset:1116 ; 4-byte Folded Reload
	v_mov_b32_e32 v3, v1
	v_mov_b32_e32 v4, v1
	s_waitcnt vmcnt(0)
	scratch_load_b128 v[5:8], v2, off
	v_mov_b32_e32 v2, v1
	scratch_store_b128 off, v[1:4], off offset:544
	s_waitcnt vmcnt(0)
	ds_store_b128 v255, v[5:8]
.LBB62_335:
	s_or_b32 exec_lo, exec_lo, s2
	s_waitcnt lgkmcnt(0)
	s_waitcnt_vscnt null, 0x0
	s_barrier
	buffer_gl0_inv
	s_clause 0x4
	scratch_load_b128 v[2:5], off, off offset:560
	scratch_load_b128 v[6:9], off, off offset:576
	;; [unrolled: 1-line block ×5, first 2 shown]
	ds_load_b128 v[22:25], v1 offset:1568
	ds_load_b128 v[26:29], v1 offset:1584
	scratch_load_b128 v[30:33], off, off offset:544
	s_mov_b32 s2, exec_lo
	s_waitcnt vmcnt(5) lgkmcnt(1)
	v_mul_f64 v[34:35], v[24:25], v[4:5]
	v_mul_f64 v[4:5], v[22:23], v[4:5]
	s_waitcnt vmcnt(4) lgkmcnt(0)
	v_mul_f64 v[36:37], v[26:27], v[8:9]
	v_mul_f64 v[8:9], v[28:29], v[8:9]
	s_delay_alu instid0(VALU_DEP_4) | instskip(NEXT) | instid1(VALU_DEP_4)
	v_fma_f64 v[22:23], v[22:23], v[2:3], -v[34:35]
	v_fma_f64 v[24:25], v[24:25], v[2:3], v[4:5]
	ds_load_b128 v[2:5], v1 offset:1600
	v_fma_f64 v[28:29], v[28:29], v[6:7], v[36:37]
	v_fma_f64 v[26:27], v[26:27], v[6:7], -v[8:9]
	ds_load_b128 v[6:9], v1 offset:1616
	s_waitcnt vmcnt(3) lgkmcnt(1)
	v_mul_f64 v[34:35], v[2:3], v[12:13]
	v_mul_f64 v[12:13], v[4:5], v[12:13]
	s_waitcnt vmcnt(2) lgkmcnt(0)
	v_mul_f64 v[36:37], v[6:7], v[16:17]
	s_delay_alu instid0(VALU_DEP_3) | instskip(NEXT) | instid1(VALU_DEP_3)
	v_fma_f64 v[34:35], v[4:5], v[10:11], v[34:35]
	v_fma_f64 v[38:39], v[2:3], v[10:11], -v[12:13]
	v_mul_f64 v[10:11], v[8:9], v[16:17]
	ds_load_b128 v[2:5], v1 offset:1632
	v_fma_f64 v[16:17], v[8:9], v[14:15], v[36:37]
	v_fma_f64 v[14:15], v[6:7], v[14:15], -v[10:11]
	ds_load_b128 v[6:9], v1 offset:1648
	s_waitcnt vmcnt(1) lgkmcnt(1)
	v_mul_f64 v[10:11], v[2:3], v[20:21]
	v_mul_f64 v[12:13], v[4:5], v[20:21]
	s_delay_alu instid0(VALU_DEP_2) | instskip(NEXT) | instid1(VALU_DEP_2)
	v_fma_f64 v[20:21], v[4:5], v[18:19], v[10:11]
	v_fma_f64 v[18:19], v[2:3], v[18:19], -v[12:13]
	s_clause 0x1
	scratch_load_b128 v[2:5], off, off offset:640
	scratch_load_b128 v[10:13], off, off offset:656
	s_waitcnt vmcnt(1) lgkmcnt(0)
	v_mul_f64 v[36:37], v[6:7], v[4:5]
	v_mul_f64 v[4:5], v[8:9], v[4:5]
	s_delay_alu instid0(VALU_DEP_2) | instskip(NEXT) | instid1(VALU_DEP_2)
	v_fma_f64 v[36:37], v[8:9], v[2:3], v[36:37]
	v_fma_f64 v[40:41], v[6:7], v[2:3], -v[4:5]
	ds_load_b128 v[2:5], v1 offset:1664
	ds_load_b128 v[6:9], v1 offset:1680
	s_waitcnt vmcnt(0) lgkmcnt(1)
	v_mul_f64 v[42:43], v[2:3], v[12:13]
	s_delay_alu instid0(VALU_DEP_1) | instskip(SKIP_1) | instid1(VALU_DEP_1)
	v_fma_f64 v[42:43], v[4:5], v[10:11], v[42:43]
	v_mul_f64 v[4:5], v[4:5], v[12:13]
	v_fma_f64 v[44:45], v[2:3], v[10:11], -v[4:5]
	s_clause 0x1
	scratch_load_b128 v[2:5], off, off offset:672
	scratch_load_b128 v[10:13], off, off offset:688
	s_waitcnt vmcnt(1) lgkmcnt(0)
	v_mul_f64 v[46:47], v[6:7], v[4:5]
	v_mul_f64 v[4:5], v[8:9], v[4:5]
	s_delay_alu instid0(VALU_DEP_2) | instskip(NEXT) | instid1(VALU_DEP_2)
	v_fma_f64 v[46:47], v[8:9], v[2:3], v[46:47]
	v_fma_f64 v[48:49], v[6:7], v[2:3], -v[4:5]
	ds_load_b128 v[2:5], v1 offset:1696
	ds_load_b128 v[6:9], v1 offset:1712
	s_waitcnt vmcnt(0) lgkmcnt(1)
	v_mul_f64 v[52:53], v[2:3], v[12:13]
	s_delay_alu instid0(VALU_DEP_1) | instskip(SKIP_1) | instid1(VALU_DEP_1)
	v_fma_f64 v[52:53], v[4:5], v[10:11], v[52:53]
	v_mul_f64 v[4:5], v[4:5], v[12:13]
	v_fma_f64 v[54:55], v[2:3], v[10:11], -v[4:5]
	s_clause 0x1
	scratch_load_b128 v[2:5], off, off offset:704
	scratch_load_b128 v[10:13], off, off offset:720
	s_waitcnt vmcnt(1) lgkmcnt(0)
	v_mul_f64 v[56:57], v[6:7], v[4:5]
	v_mul_f64 v[4:5], v[8:9], v[4:5]
	s_delay_alu instid0(VALU_DEP_2) | instskip(NEXT) | instid1(VALU_DEP_2)
	v_fma_f64 v[56:57], v[8:9], v[2:3], v[56:57]
	v_fma_f64 v[58:59], v[6:7], v[2:3], -v[4:5]
	ds_load_b128 v[2:5], v1 offset:1728
	ds_load_b128 v[6:9], v1 offset:1744
	s_waitcnt vmcnt(0) lgkmcnt(1)
	v_mul_f64 v[60:61], v[2:3], v[12:13]
	s_delay_alu instid0(VALU_DEP_1) | instskip(SKIP_1) | instid1(VALU_DEP_1)
	v_fma_f64 v[60:61], v[4:5], v[10:11], v[60:61]
	v_mul_f64 v[4:5], v[4:5], v[12:13]
	v_fma_f64 v[62:63], v[2:3], v[10:11], -v[4:5]
	s_clause 0x1
	scratch_load_b128 v[2:5], off, off offset:736
	scratch_load_b128 v[10:13], off, off offset:752
	s_waitcnt vmcnt(1) lgkmcnt(0)
	v_mul_f64 v[64:65], v[6:7], v[4:5]
	v_mul_f64 v[4:5], v[8:9], v[4:5]
	s_delay_alu instid0(VALU_DEP_2) | instskip(NEXT) | instid1(VALU_DEP_2)
	v_fma_f64 v[64:65], v[8:9], v[2:3], v[64:65]
	v_fma_f64 v[66:67], v[6:7], v[2:3], -v[4:5]
	ds_load_b128 v[2:5], v1 offset:1760
	ds_load_b128 v[6:9], v1 offset:1776
	s_waitcnt vmcnt(0) lgkmcnt(1)
	v_mul_f64 v[68:69], v[2:3], v[12:13]
	s_delay_alu instid0(VALU_DEP_1) | instskip(SKIP_1) | instid1(VALU_DEP_1)
	v_fma_f64 v[68:69], v[4:5], v[10:11], v[68:69]
	v_mul_f64 v[4:5], v[4:5], v[12:13]
	v_fma_f64 v[70:71], v[2:3], v[10:11], -v[4:5]
	s_clause 0x1
	scratch_load_b128 v[2:5], off, off offset:768
	scratch_load_b128 v[10:13], off, off offset:784
	s_waitcnt vmcnt(1) lgkmcnt(0)
	v_mul_f64 v[90:91], v[6:7], v[4:5]
	v_mul_f64 v[4:5], v[8:9], v[4:5]
	s_delay_alu instid0(VALU_DEP_2) | instskip(NEXT) | instid1(VALU_DEP_2)
	v_fma_f64 v[90:91], v[8:9], v[2:3], v[90:91]
	v_fma_f64 v[94:95], v[6:7], v[2:3], -v[4:5]
	ds_load_b128 v[2:5], v1 offset:1792
	ds_load_b128 v[6:9], v1 offset:1808
	s_waitcnt vmcnt(0) lgkmcnt(1)
	v_mul_f64 v[96:97], v[2:3], v[12:13]
	s_delay_alu instid0(VALU_DEP_1) | instskip(SKIP_1) | instid1(VALU_DEP_1)
	v_fma_f64 v[96:97], v[4:5], v[10:11], v[96:97]
	v_mul_f64 v[4:5], v[4:5], v[12:13]
	v_fma_f64 v[98:99], v[2:3], v[10:11], -v[4:5]
	s_clause 0x1
	scratch_load_b128 v[2:5], off, off offset:800
	scratch_load_b128 v[10:13], off, off offset:816
	s_waitcnt vmcnt(1) lgkmcnt(0)
	v_mul_f64 v[177:178], v[6:7], v[4:5]
	v_mul_f64 v[4:5], v[8:9], v[4:5]
	s_delay_alu instid0(VALU_DEP_2) | instskip(NEXT) | instid1(VALU_DEP_2)
	v_fma_f64 v[177:178], v[8:9], v[2:3], v[177:178]
	v_fma_f64 v[179:180], v[6:7], v[2:3], -v[4:5]
	ds_load_b128 v[2:5], v1 offset:1824
	ds_load_b128 v[6:9], v1 offset:1840
	s_waitcnt vmcnt(0) lgkmcnt(1)
	v_mul_f64 v[181:182], v[2:3], v[12:13]
	s_delay_alu instid0(VALU_DEP_1) | instskip(SKIP_1) | instid1(VALU_DEP_1)
	v_fma_f64 v[181:182], v[4:5], v[10:11], v[181:182]
	v_mul_f64 v[4:5], v[4:5], v[12:13]
	v_fma_f64 v[183:184], v[2:3], v[10:11], -v[4:5]
	s_clause 0x1
	scratch_load_b128 v[2:5], off, off offset:832
	scratch_load_b128 v[10:13], off, off offset:848
	s_waitcnt vmcnt(1) lgkmcnt(0)
	v_mul_f64 v[185:186], v[6:7], v[4:5]
	v_mul_f64 v[4:5], v[8:9], v[4:5]
	s_delay_alu instid0(VALU_DEP_2) | instskip(NEXT) | instid1(VALU_DEP_2)
	v_fma_f64 v[185:186], v[8:9], v[2:3], v[185:186]
	v_fma_f64 v[187:188], v[6:7], v[2:3], -v[4:5]
	ds_load_b128 v[2:5], v1 offset:1856
	ds_load_b128 v[6:9], v1 offset:1872
	s_waitcnt vmcnt(0) lgkmcnt(1)
	v_mul_f64 v[189:190], v[2:3], v[12:13]
	s_delay_alu instid0(VALU_DEP_1) | instskip(SKIP_1) | instid1(VALU_DEP_1)
	v_fma_f64 v[189:190], v[4:5], v[10:11], v[189:190]
	v_mul_f64 v[4:5], v[4:5], v[12:13]
	v_fma_f64 v[191:192], v[2:3], v[10:11], -v[4:5]
	s_clause 0x1
	scratch_load_b128 v[2:5], off, off offset:864
	scratch_load_b128 v[10:13], off, off offset:880
	s_waitcnt vmcnt(1) lgkmcnt(0)
	v_mul_f64 v[193:194], v[6:7], v[4:5]
	v_mul_f64 v[4:5], v[8:9], v[4:5]
	s_delay_alu instid0(VALU_DEP_2) | instskip(NEXT) | instid1(VALU_DEP_2)
	v_fma_f64 v[193:194], v[8:9], v[2:3], v[193:194]
	v_fma_f64 v[209:210], v[6:7], v[2:3], -v[4:5]
	ds_load_b128 v[2:5], v1 offset:1888
	ds_load_b128 v[6:9], v1 offset:1904
	s_waitcnt vmcnt(0) lgkmcnt(1)
	v_mul_f64 v[241:242], v[2:3], v[12:13]
	s_delay_alu instid0(VALU_DEP_1) | instskip(SKIP_1) | instid1(VALU_DEP_1)
	v_fma_f64 v[241:242], v[4:5], v[10:11], v[241:242]
	v_mul_f64 v[4:5], v[4:5], v[12:13]
	v_fma_f64 v[243:244], v[2:3], v[10:11], -v[4:5]
	s_clause 0x1
	scratch_load_b128 v[2:5], off, off offset:896
	scratch_load_b128 v[10:13], off, off offset:912
	s_waitcnt vmcnt(1) lgkmcnt(0)
	v_mul_f64 v[245:246], v[6:7], v[4:5]
	v_mul_f64 v[4:5], v[8:9], v[4:5]
	s_delay_alu instid0(VALU_DEP_2) | instskip(NEXT) | instid1(VALU_DEP_2)
	v_fma_f64 v[245:246], v[8:9], v[2:3], v[245:246]
	v_fma_f64 v[247:248], v[6:7], v[2:3], -v[4:5]
	ds_load_b128 v[2:5], v1 offset:1920
	ds_load_b128 v[6:9], v1 offset:1936
	s_waitcnt vmcnt(0) lgkmcnt(1)
	v_mul_f64 v[249:250], v[2:3], v[12:13]
	s_delay_alu instid0(VALU_DEP_1) | instskip(SKIP_1) | instid1(VALU_DEP_1)
	v_fma_f64 v[249:250], v[4:5], v[10:11], v[249:250]
	v_mul_f64 v[4:5], v[4:5], v[12:13]
	v_fma_f64 v[251:252], v[2:3], v[10:11], -v[4:5]
	s_clause 0x1
	scratch_load_b128 v[2:5], off, off offset:928
	scratch_load_b128 v[10:13], off, off offset:944
	s_waitcnt vmcnt(1) lgkmcnt(0)
	v_mul_f64 v[195:196], v[6:7], v[4:5]
	v_mul_f64 v[4:5], v[8:9], v[4:5]
	s_delay_alu instid0(VALU_DEP_2) | instskip(NEXT) | instid1(VALU_DEP_2)
	v_fma_f64 v[195:196], v[8:9], v[2:3], v[195:196]
	v_fma_f64 v[197:198], v[6:7], v[2:3], -v[4:5]
	ds_load_b128 v[2:5], v1 offset:1952
	ds_load_b128 v[6:9], v1 offset:1968
	s_waitcnt vmcnt(0) lgkmcnt(1)
	v_mul_f64 v[199:200], v[2:3], v[12:13]
	s_delay_alu instid0(VALU_DEP_1) | instskip(SKIP_1) | instid1(VALU_DEP_1)
	v_fma_f64 v[199:200], v[4:5], v[10:11], v[199:200]
	v_mul_f64 v[4:5], v[4:5], v[12:13]
	v_fma_f64 v[201:202], v[2:3], v[10:11], -v[4:5]
	v_add_f64 v[2:3], v[22:23], 0
	v_add_f64 v[4:5], v[24:25], 0
	s_delay_alu instid0(VALU_DEP_2) | instskip(NEXT) | instid1(VALU_DEP_2)
	v_add_f64 v[2:3], v[2:3], v[26:27]
	v_add_f64 v[4:5], v[4:5], v[28:29]
	s_delay_alu instid0(VALU_DEP_2) | instskip(NEXT) | instid1(VALU_DEP_2)
	;; [unrolled: 3-line block ×18, first 2 shown]
	v_add_f64 v[2:3], v[2:3], v[191:192]
	v_add_f64 v[10:11], v[4:5], v[189:190]
	s_delay_alu instid0(VALU_DEP_2)
	v_add_f64 v[12:13], v[2:3], v[209:210]
	scratch_load_b128 v[2:5], off, off offset:960
	v_add_f64 v[14:15], v[10:11], v[193:194]
	v_add_f64 v[16:17], v[12:13], v[243:244]
	scratch_load_b128 v[10:13], off, off offset:976
	v_add_f64 v[18:19], v[14:15], v[241:242]
	;; [unrolled: 3-line block ×3, first 2 shown]
	v_add_f64 v[20:21], v[20:21], v[251:252]
	s_delay_alu instid0(VALU_DEP_2) | instskip(NEXT) | instid1(VALU_DEP_2)
	v_add_f64 v[18:19], v[18:19], v[249:250]
	v_add_f64 v[28:29], v[20:21], v[197:198]
	s_delay_alu instid0(VALU_DEP_2)
	v_add_f64 v[34:35], v[18:19], v[195:196]
	ds_load_b128 v[18:21], v1 offset:1984
	ds_load_b128 v[22:25], v1 offset:2000
	s_waitcnt vmcnt(2) lgkmcnt(2)
	v_mul_f64 v[26:27], v[6:7], v[4:5]
	v_mul_f64 v[4:5], v[8:9], v[4:5]
	s_waitcnt vmcnt(1) lgkmcnt(1)
	v_mul_f64 v[36:37], v[18:19], v[12:13]
	s_delay_alu instid0(VALU_DEP_3) | instskip(NEXT) | instid1(VALU_DEP_3)
	v_fma_f64 v[8:9], v[8:9], v[2:3], v[26:27]
	v_fma_f64 v[1:2], v[6:7], v[2:3], -v[4:5]
	v_mul_f64 v[3:4], v[20:21], v[12:13]
	v_add_f64 v[5:6], v[28:29], v[201:202]
	v_add_f64 v[12:13], v[34:35], v[199:200]
	s_waitcnt vmcnt(0) lgkmcnt(0)
	v_mul_f64 v[26:27], v[22:23], v[16:17]
	v_mul_f64 v[16:17], v[24:25], v[16:17]
	v_fma_f64 v[20:21], v[20:21], v[10:11], v[36:37]
	v_fma_f64 v[3:4], v[18:19], v[10:11], -v[3:4]
	v_add_f64 v[1:2], v[5:6], v[1:2]
	v_add_f64 v[5:6], v[12:13], v[8:9]
	v_fma_f64 v[7:8], v[24:25], v[14:15], v[26:27]
	v_fma_f64 v[9:10], v[22:23], v[14:15], -v[16:17]
	s_delay_alu instid0(VALU_DEP_4) | instskip(NEXT) | instid1(VALU_DEP_4)
	v_add_f64 v[1:2], v[1:2], v[3:4]
	v_add_f64 v[3:4], v[5:6], v[20:21]
	s_delay_alu instid0(VALU_DEP_2) | instskip(NEXT) | instid1(VALU_DEP_2)
	v_add_f64 v[1:2], v[1:2], v[9:10]
	v_add_f64 v[3:4], v[3:4], v[7:8]
	s_delay_alu instid0(VALU_DEP_2) | instskip(NEXT) | instid1(VALU_DEP_2)
	v_add_f64 v[1:2], v[30:31], -v[1:2]
	v_add_f64 v[3:4], v[32:33], -v[3:4]
	scratch_store_b128 off, v[1:4], off offset:544
	v_cmpx_lt_u32_e32 33, v176
	s_cbranch_execz .LBB62_337
; %bb.336:
	scratch_load_b32 v1, off, off offset:1120 ; 4-byte Folded Reload
	v_mov_b32_e32 v5, 0
	s_delay_alu instid0(VALU_DEP_1)
	v_mov_b32_e32 v6, v5
	v_mov_b32_e32 v7, v5
	;; [unrolled: 1-line block ×3, first 2 shown]
	s_waitcnt vmcnt(0)
	scratch_load_b128 v[1:4], v1, off
	scratch_store_b128 off, v[5:8], off offset:528
	s_waitcnt vmcnt(0)
	ds_store_b128 v255, v[1:4]
.LBB62_337:
	s_or_b32 exec_lo, exec_lo, s2
	s_waitcnt lgkmcnt(0)
	s_waitcnt_vscnt null, 0x0
	s_barrier
	buffer_gl0_inv
	s_clause 0x4
	scratch_load_b128 v[2:5], off, off offset:544
	scratch_load_b128 v[6:9], off, off offset:560
	;; [unrolled: 1-line block ×5, first 2 shown]
	v_mov_b32_e32 v1, 0
	scratch_load_b128 v[26:29], off, off offset:528
	s_mov_b32 s2, exec_lo
	ds_load_b128 v[22:25], v1 offset:1552
	ds_load_b128 v[30:33], v1 offset:1568
	s_waitcnt vmcnt(5) lgkmcnt(1)
	v_mul_f64 v[34:35], v[24:25], v[4:5]
	v_mul_f64 v[4:5], v[22:23], v[4:5]
	s_waitcnt vmcnt(4) lgkmcnt(0)
	v_mul_f64 v[36:37], v[30:31], v[8:9]
	v_mul_f64 v[8:9], v[32:33], v[8:9]
	s_delay_alu instid0(VALU_DEP_4) | instskip(NEXT) | instid1(VALU_DEP_4)
	v_fma_f64 v[22:23], v[22:23], v[2:3], -v[34:35]
	v_fma_f64 v[24:25], v[24:25], v[2:3], v[4:5]
	ds_load_b128 v[2:5], v1 offset:1584
	v_fma_f64 v[32:33], v[32:33], v[6:7], v[36:37]
	v_fma_f64 v[30:31], v[30:31], v[6:7], -v[8:9]
	ds_load_b128 v[6:9], v1 offset:1600
	s_waitcnt vmcnt(3) lgkmcnt(1)
	v_mul_f64 v[34:35], v[2:3], v[12:13]
	v_mul_f64 v[12:13], v[4:5], v[12:13]
	s_waitcnt vmcnt(2) lgkmcnt(0)
	v_mul_f64 v[36:37], v[6:7], v[16:17]
	s_delay_alu instid0(VALU_DEP_3) | instskip(NEXT) | instid1(VALU_DEP_3)
	v_fma_f64 v[34:35], v[4:5], v[10:11], v[34:35]
	v_fma_f64 v[38:39], v[2:3], v[10:11], -v[12:13]
	v_mul_f64 v[10:11], v[8:9], v[16:17]
	ds_load_b128 v[2:5], v1 offset:1616
	v_fma_f64 v[16:17], v[8:9], v[14:15], v[36:37]
	v_fma_f64 v[14:15], v[6:7], v[14:15], -v[10:11]
	ds_load_b128 v[6:9], v1 offset:1632
	s_waitcnt vmcnt(1) lgkmcnt(1)
	v_mul_f64 v[10:11], v[2:3], v[20:21]
	v_mul_f64 v[12:13], v[4:5], v[20:21]
	s_delay_alu instid0(VALU_DEP_2) | instskip(NEXT) | instid1(VALU_DEP_2)
	v_fma_f64 v[20:21], v[4:5], v[18:19], v[10:11]
	v_fma_f64 v[18:19], v[2:3], v[18:19], -v[12:13]
	s_clause 0x1
	scratch_load_b128 v[2:5], off, off offset:624
	scratch_load_b128 v[10:13], off, off offset:640
	s_waitcnt vmcnt(1) lgkmcnt(0)
	v_mul_f64 v[36:37], v[6:7], v[4:5]
	v_mul_f64 v[4:5], v[8:9], v[4:5]
	s_delay_alu instid0(VALU_DEP_2) | instskip(NEXT) | instid1(VALU_DEP_2)
	v_fma_f64 v[36:37], v[8:9], v[2:3], v[36:37]
	v_fma_f64 v[40:41], v[6:7], v[2:3], -v[4:5]
	ds_load_b128 v[2:5], v1 offset:1648
	ds_load_b128 v[6:9], v1 offset:1664
	s_waitcnt vmcnt(0) lgkmcnt(1)
	v_mul_f64 v[42:43], v[2:3], v[12:13]
	s_delay_alu instid0(VALU_DEP_1) | instskip(SKIP_1) | instid1(VALU_DEP_1)
	v_fma_f64 v[42:43], v[4:5], v[10:11], v[42:43]
	v_mul_f64 v[4:5], v[4:5], v[12:13]
	v_fma_f64 v[44:45], v[2:3], v[10:11], -v[4:5]
	s_clause 0x1
	scratch_load_b128 v[2:5], off, off offset:656
	scratch_load_b128 v[10:13], off, off offset:672
	s_waitcnt vmcnt(1) lgkmcnt(0)
	v_mul_f64 v[46:47], v[6:7], v[4:5]
	v_mul_f64 v[4:5], v[8:9], v[4:5]
	s_delay_alu instid0(VALU_DEP_2) | instskip(NEXT) | instid1(VALU_DEP_2)
	v_fma_f64 v[46:47], v[8:9], v[2:3], v[46:47]
	v_fma_f64 v[48:49], v[6:7], v[2:3], -v[4:5]
	ds_load_b128 v[2:5], v1 offset:1680
	ds_load_b128 v[6:9], v1 offset:1696
	s_waitcnt vmcnt(0) lgkmcnt(1)
	v_mul_f64 v[52:53], v[2:3], v[12:13]
	s_delay_alu instid0(VALU_DEP_1) | instskip(SKIP_1) | instid1(VALU_DEP_1)
	v_fma_f64 v[52:53], v[4:5], v[10:11], v[52:53]
	v_mul_f64 v[4:5], v[4:5], v[12:13]
	;; [unrolled: 17-line block ×10, first 2 shown]
	v_fma_f64 v[251:252], v[2:3], v[10:11], -v[4:5]
	v_add_f64 v[2:3], v[22:23], 0
	v_add_f64 v[4:5], v[24:25], 0
	s_delay_alu instid0(VALU_DEP_2) | instskip(NEXT) | instid1(VALU_DEP_2)
	v_add_f64 v[2:3], v[2:3], v[30:31]
	v_add_f64 v[4:5], v[4:5], v[32:33]
	s_delay_alu instid0(VALU_DEP_2) | instskip(NEXT) | instid1(VALU_DEP_2)
	;; [unrolled: 3-line block ×18, first 2 shown]
	v_add_f64 v[2:3], v[2:3], v[191:192]
	v_add_f64 v[10:11], v[4:5], v[189:190]
	s_delay_alu instid0(VALU_DEP_2)
	v_add_f64 v[12:13], v[2:3], v[195:196]
	scratch_load_b128 v[2:5], off, off offset:944
	v_add_f64 v[14:15], v[10:11], v[193:194]
	v_add_f64 v[16:17], v[12:13], v[199:200]
	scratch_load_b128 v[10:13], off, off offset:960
	v_add_f64 v[18:19], v[14:15], v[197:198]
	;; [unrolled: 3-line block ×4, first 2 shown]
	v_add_f64 v[24:25], v[24:25], v[247:248]
	s_delay_alu instid0(VALU_DEP_2) | instskip(NEXT) | instid1(VALU_DEP_2)
	v_add_f64 v[22:23], v[22:23], v[245:246]
	v_add_f64 v[24:25], v[24:25], v[251:252]
	s_delay_alu instid0(VALU_DEP_2) | instskip(SKIP_3) | instid1(VALU_DEP_2)
	v_add_f64 v[22:23], v[22:23], v[249:250]
	s_waitcnt vmcnt(3) lgkmcnt(0)
	v_mul_f64 v[30:31], v[6:7], v[4:5]
	v_mul_f64 v[4:5], v[8:9], v[4:5]
	v_fma_f64 v[30:31], v[8:9], v[2:3], v[30:31]
	s_delay_alu instid0(VALU_DEP_2)
	v_fma_f64 v[32:33], v[6:7], v[2:3], -v[4:5]
	ds_load_b128 v[2:5], v1 offset:1968
	ds_load_b128 v[6:9], v1 offset:1984
	s_waitcnt vmcnt(2) lgkmcnt(1)
	v_mul_f64 v[34:35], v[2:3], v[12:13]
	v_mul_f64 v[12:13], v[4:5], v[12:13]
	s_waitcnt vmcnt(1) lgkmcnt(0)
	v_mul_f64 v[36:37], v[6:7], v[16:17]
	v_add_f64 v[22:23], v[22:23], v[30:31]
	s_delay_alu instid0(VALU_DEP_4) | instskip(NEXT) | instid1(VALU_DEP_4)
	v_fma_f64 v[34:35], v[4:5], v[10:11], v[34:35]
	v_fma_f64 v[10:11], v[2:3], v[10:11], -v[12:13]
	v_mul_f64 v[12:13], v[8:9], v[16:17]
	v_add_f64 v[16:17], v[24:25], v[32:33]
	ds_load_b128 v[2:5], v1 offset:2000
	v_fma_f64 v[8:9], v[8:9], v[14:15], v[36:37]
	s_waitcnt vmcnt(0) lgkmcnt(0)
	v_mul_f64 v[24:25], v[2:3], v[20:21]
	v_mul_f64 v[20:21], v[4:5], v[20:21]
	v_fma_f64 v[6:7], v[6:7], v[14:15], -v[12:13]
	v_add_f64 v[10:11], v[16:17], v[10:11]
	v_add_f64 v[12:13], v[22:23], v[34:35]
	v_fma_f64 v[4:5], v[4:5], v[18:19], v[24:25]
	v_fma_f64 v[2:3], v[2:3], v[18:19], -v[20:21]
	s_delay_alu instid0(VALU_DEP_4) | instskip(NEXT) | instid1(VALU_DEP_4)
	v_add_f64 v[6:7], v[10:11], v[6:7]
	v_add_f64 v[8:9], v[12:13], v[8:9]
	s_delay_alu instid0(VALU_DEP_2) | instskip(NEXT) | instid1(VALU_DEP_2)
	v_add_f64 v[2:3], v[6:7], v[2:3]
	v_add_f64 v[4:5], v[8:9], v[4:5]
	s_delay_alu instid0(VALU_DEP_2) | instskip(NEXT) | instid1(VALU_DEP_2)
	v_add_f64 v[2:3], v[26:27], -v[2:3]
	v_add_f64 v[4:5], v[28:29], -v[4:5]
	scratch_store_b128 off, v[2:5], off offset:528
	v_cmpx_lt_u32_e32 32, v176
	s_cbranch_execz .LBB62_339
; %bb.338:
	scratch_load_b32 v2, off, off offset:1124 ; 4-byte Folded Reload
	v_mov_b32_e32 v3, v1
	v_mov_b32_e32 v4, v1
	s_waitcnt vmcnt(0)
	scratch_load_b128 v[5:8], v2, off
	v_mov_b32_e32 v2, v1
	scratch_store_b128 off, v[1:4], off offset:512
	s_waitcnt vmcnt(0)
	ds_store_b128 v255, v[5:8]
.LBB62_339:
	s_or_b32 exec_lo, exec_lo, s2
	s_waitcnt lgkmcnt(0)
	s_waitcnt_vscnt null, 0x0
	s_barrier
	buffer_gl0_inv
	s_clause 0x4
	scratch_load_b128 v[2:5], off, off offset:528
	scratch_load_b128 v[6:9], off, off offset:544
	;; [unrolled: 1-line block ×5, first 2 shown]
	ds_load_b128 v[22:25], v1 offset:1536
	ds_load_b128 v[26:29], v1 offset:1552
	scratch_load_b128 v[30:33], off, off offset:512
	s_mov_b32 s2, exec_lo
	s_waitcnt vmcnt(5) lgkmcnt(1)
	v_mul_f64 v[34:35], v[24:25], v[4:5]
	v_mul_f64 v[4:5], v[22:23], v[4:5]
	s_waitcnt vmcnt(4) lgkmcnt(0)
	v_mul_f64 v[36:37], v[26:27], v[8:9]
	v_mul_f64 v[8:9], v[28:29], v[8:9]
	s_delay_alu instid0(VALU_DEP_4) | instskip(NEXT) | instid1(VALU_DEP_4)
	v_fma_f64 v[22:23], v[22:23], v[2:3], -v[34:35]
	v_fma_f64 v[24:25], v[24:25], v[2:3], v[4:5]
	ds_load_b128 v[2:5], v1 offset:1568
	v_fma_f64 v[28:29], v[28:29], v[6:7], v[36:37]
	v_fma_f64 v[26:27], v[26:27], v[6:7], -v[8:9]
	ds_load_b128 v[6:9], v1 offset:1584
	s_waitcnt vmcnt(3) lgkmcnt(1)
	v_mul_f64 v[34:35], v[2:3], v[12:13]
	v_mul_f64 v[12:13], v[4:5], v[12:13]
	s_waitcnt vmcnt(2) lgkmcnt(0)
	v_mul_f64 v[36:37], v[6:7], v[16:17]
	s_delay_alu instid0(VALU_DEP_3) | instskip(NEXT) | instid1(VALU_DEP_3)
	v_fma_f64 v[34:35], v[4:5], v[10:11], v[34:35]
	v_fma_f64 v[38:39], v[2:3], v[10:11], -v[12:13]
	v_mul_f64 v[10:11], v[8:9], v[16:17]
	ds_load_b128 v[2:5], v1 offset:1600
	v_fma_f64 v[16:17], v[8:9], v[14:15], v[36:37]
	v_fma_f64 v[14:15], v[6:7], v[14:15], -v[10:11]
	ds_load_b128 v[6:9], v1 offset:1616
	s_waitcnt vmcnt(1) lgkmcnt(1)
	v_mul_f64 v[10:11], v[2:3], v[20:21]
	v_mul_f64 v[12:13], v[4:5], v[20:21]
	s_delay_alu instid0(VALU_DEP_2) | instskip(NEXT) | instid1(VALU_DEP_2)
	v_fma_f64 v[20:21], v[4:5], v[18:19], v[10:11]
	v_fma_f64 v[18:19], v[2:3], v[18:19], -v[12:13]
	s_clause 0x1
	scratch_load_b128 v[2:5], off, off offset:608
	scratch_load_b128 v[10:13], off, off offset:624
	s_waitcnt vmcnt(1) lgkmcnt(0)
	v_mul_f64 v[36:37], v[6:7], v[4:5]
	v_mul_f64 v[4:5], v[8:9], v[4:5]
	s_delay_alu instid0(VALU_DEP_2) | instskip(NEXT) | instid1(VALU_DEP_2)
	v_fma_f64 v[36:37], v[8:9], v[2:3], v[36:37]
	v_fma_f64 v[40:41], v[6:7], v[2:3], -v[4:5]
	ds_load_b128 v[2:5], v1 offset:1632
	ds_load_b128 v[6:9], v1 offset:1648
	s_waitcnt vmcnt(0) lgkmcnt(1)
	v_mul_f64 v[42:43], v[2:3], v[12:13]
	s_delay_alu instid0(VALU_DEP_1) | instskip(SKIP_1) | instid1(VALU_DEP_1)
	v_fma_f64 v[42:43], v[4:5], v[10:11], v[42:43]
	v_mul_f64 v[4:5], v[4:5], v[12:13]
	v_fma_f64 v[44:45], v[2:3], v[10:11], -v[4:5]
	s_clause 0x1
	scratch_load_b128 v[2:5], off, off offset:640
	scratch_load_b128 v[10:13], off, off offset:656
	s_waitcnt vmcnt(1) lgkmcnt(0)
	v_mul_f64 v[46:47], v[6:7], v[4:5]
	v_mul_f64 v[4:5], v[8:9], v[4:5]
	s_delay_alu instid0(VALU_DEP_2) | instskip(NEXT) | instid1(VALU_DEP_2)
	v_fma_f64 v[46:47], v[8:9], v[2:3], v[46:47]
	v_fma_f64 v[48:49], v[6:7], v[2:3], -v[4:5]
	ds_load_b128 v[2:5], v1 offset:1664
	ds_load_b128 v[6:9], v1 offset:1680
	s_waitcnt vmcnt(0) lgkmcnt(1)
	v_mul_f64 v[52:53], v[2:3], v[12:13]
	s_delay_alu instid0(VALU_DEP_1) | instskip(SKIP_1) | instid1(VALU_DEP_1)
	v_fma_f64 v[52:53], v[4:5], v[10:11], v[52:53]
	v_mul_f64 v[4:5], v[4:5], v[12:13]
	;; [unrolled: 17-line block ×11, first 2 shown]
	v_fma_f64 v[211:212], v[2:3], v[10:11], -v[4:5]
	v_add_f64 v[2:3], v[22:23], 0
	v_add_f64 v[4:5], v[24:25], 0
	s_delay_alu instid0(VALU_DEP_2) | instskip(NEXT) | instid1(VALU_DEP_2)
	v_add_f64 v[2:3], v[2:3], v[26:27]
	v_add_f64 v[4:5], v[4:5], v[28:29]
	s_delay_alu instid0(VALU_DEP_2) | instskip(NEXT) | instid1(VALU_DEP_2)
	;; [unrolled: 3-line block ×20, first 2 shown]
	v_add_f64 v[2:3], v[2:3], v[199:200]
	v_add_f64 v[10:11], v[4:5], v[197:198]
	s_delay_alu instid0(VALU_DEP_2)
	v_add_f64 v[12:13], v[2:3], v[209:210]
	scratch_load_b128 v[2:5], off, off offset:960
	v_add_f64 v[14:15], v[10:11], v[201:202]
	v_add_f64 v[16:17], v[12:13], v[243:244]
	scratch_load_b128 v[10:13], off, off offset:976
	v_add_f64 v[18:19], v[14:15], v[241:242]
	;; [unrolled: 3-line block ×3, first 2 shown]
	v_add_f64 v[20:21], v[20:21], v[251:252]
	s_delay_alu instid0(VALU_DEP_2) | instskip(NEXT) | instid1(VALU_DEP_2)
	v_add_f64 v[18:19], v[18:19], v[249:250]
	v_add_f64 v[28:29], v[20:21], v[205:206]
	s_delay_alu instid0(VALU_DEP_2)
	v_add_f64 v[34:35], v[18:19], v[203:204]
	ds_load_b128 v[18:21], v1 offset:1984
	ds_load_b128 v[22:25], v1 offset:2000
	s_waitcnt vmcnt(2) lgkmcnt(2)
	v_mul_f64 v[26:27], v[6:7], v[4:5]
	v_mul_f64 v[4:5], v[8:9], v[4:5]
	s_waitcnt vmcnt(1) lgkmcnt(1)
	v_mul_f64 v[36:37], v[18:19], v[12:13]
	s_delay_alu instid0(VALU_DEP_3) | instskip(NEXT) | instid1(VALU_DEP_3)
	v_fma_f64 v[8:9], v[8:9], v[2:3], v[26:27]
	v_fma_f64 v[1:2], v[6:7], v[2:3], -v[4:5]
	v_mul_f64 v[3:4], v[20:21], v[12:13]
	v_add_f64 v[5:6], v[28:29], v[211:212]
	v_add_f64 v[12:13], v[34:35], v[207:208]
	s_waitcnt vmcnt(0) lgkmcnt(0)
	v_mul_f64 v[26:27], v[22:23], v[16:17]
	v_mul_f64 v[16:17], v[24:25], v[16:17]
	v_fma_f64 v[20:21], v[20:21], v[10:11], v[36:37]
	v_fma_f64 v[3:4], v[18:19], v[10:11], -v[3:4]
	v_add_f64 v[1:2], v[5:6], v[1:2]
	v_add_f64 v[5:6], v[12:13], v[8:9]
	v_fma_f64 v[7:8], v[24:25], v[14:15], v[26:27]
	v_fma_f64 v[9:10], v[22:23], v[14:15], -v[16:17]
	s_delay_alu instid0(VALU_DEP_4) | instskip(NEXT) | instid1(VALU_DEP_4)
	v_add_f64 v[1:2], v[1:2], v[3:4]
	v_add_f64 v[3:4], v[5:6], v[20:21]
	s_delay_alu instid0(VALU_DEP_2) | instskip(NEXT) | instid1(VALU_DEP_2)
	v_add_f64 v[1:2], v[1:2], v[9:10]
	v_add_f64 v[3:4], v[3:4], v[7:8]
	s_delay_alu instid0(VALU_DEP_2) | instskip(NEXT) | instid1(VALU_DEP_2)
	v_add_f64 v[1:2], v[30:31], -v[1:2]
	v_add_f64 v[3:4], v[32:33], -v[3:4]
	scratch_store_b128 off, v[1:4], off offset:512
	v_cmpx_lt_u32_e32 31, v176
	s_cbranch_execz .LBB62_341
; %bb.340:
	scratch_load_b32 v1, off, off offset:1128 ; 4-byte Folded Reload
	v_mov_b32_e32 v5, 0
	s_delay_alu instid0(VALU_DEP_1)
	v_mov_b32_e32 v6, v5
	v_mov_b32_e32 v7, v5
	;; [unrolled: 1-line block ×3, first 2 shown]
	s_waitcnt vmcnt(0)
	scratch_load_b128 v[1:4], v1, off
	scratch_store_b128 off, v[5:8], off offset:496
	s_waitcnt vmcnt(0)
	ds_store_b128 v255, v[1:4]
.LBB62_341:
	s_or_b32 exec_lo, exec_lo, s2
	s_waitcnt lgkmcnt(0)
	s_waitcnt_vscnt null, 0x0
	s_barrier
	buffer_gl0_inv
	s_clause 0x4
	scratch_load_b128 v[2:5], off, off offset:512
	scratch_load_b128 v[6:9], off, off offset:528
	;; [unrolled: 1-line block ×5, first 2 shown]
	v_mov_b32_e32 v1, 0
	scratch_load_b128 v[26:29], off, off offset:496
	s_mov_b32 s2, exec_lo
	ds_load_b128 v[22:25], v1 offset:1520
	ds_load_b128 v[30:33], v1 offset:1536
	s_waitcnt vmcnt(5) lgkmcnt(1)
	v_mul_f64 v[34:35], v[24:25], v[4:5]
	v_mul_f64 v[4:5], v[22:23], v[4:5]
	s_waitcnt vmcnt(4) lgkmcnt(0)
	v_mul_f64 v[36:37], v[30:31], v[8:9]
	v_mul_f64 v[8:9], v[32:33], v[8:9]
	s_delay_alu instid0(VALU_DEP_4) | instskip(NEXT) | instid1(VALU_DEP_4)
	v_fma_f64 v[22:23], v[22:23], v[2:3], -v[34:35]
	v_fma_f64 v[24:25], v[24:25], v[2:3], v[4:5]
	ds_load_b128 v[2:5], v1 offset:1552
	v_fma_f64 v[32:33], v[32:33], v[6:7], v[36:37]
	v_fma_f64 v[30:31], v[30:31], v[6:7], -v[8:9]
	ds_load_b128 v[6:9], v1 offset:1568
	s_waitcnt vmcnt(3) lgkmcnt(1)
	v_mul_f64 v[34:35], v[2:3], v[12:13]
	v_mul_f64 v[12:13], v[4:5], v[12:13]
	s_waitcnt vmcnt(2) lgkmcnt(0)
	v_mul_f64 v[36:37], v[6:7], v[16:17]
	s_delay_alu instid0(VALU_DEP_3) | instskip(NEXT) | instid1(VALU_DEP_3)
	v_fma_f64 v[34:35], v[4:5], v[10:11], v[34:35]
	v_fma_f64 v[38:39], v[2:3], v[10:11], -v[12:13]
	v_mul_f64 v[10:11], v[8:9], v[16:17]
	ds_load_b128 v[2:5], v1 offset:1584
	v_fma_f64 v[16:17], v[8:9], v[14:15], v[36:37]
	v_fma_f64 v[14:15], v[6:7], v[14:15], -v[10:11]
	ds_load_b128 v[6:9], v1 offset:1600
	s_waitcnt vmcnt(1) lgkmcnt(1)
	v_mul_f64 v[10:11], v[2:3], v[20:21]
	v_mul_f64 v[12:13], v[4:5], v[20:21]
	s_delay_alu instid0(VALU_DEP_2) | instskip(NEXT) | instid1(VALU_DEP_2)
	v_fma_f64 v[20:21], v[4:5], v[18:19], v[10:11]
	v_fma_f64 v[18:19], v[2:3], v[18:19], -v[12:13]
	s_clause 0x1
	scratch_load_b128 v[2:5], off, off offset:592
	scratch_load_b128 v[10:13], off, off offset:608
	s_waitcnt vmcnt(1) lgkmcnt(0)
	v_mul_f64 v[36:37], v[6:7], v[4:5]
	v_mul_f64 v[4:5], v[8:9], v[4:5]
	s_delay_alu instid0(VALU_DEP_2) | instskip(NEXT) | instid1(VALU_DEP_2)
	v_fma_f64 v[36:37], v[8:9], v[2:3], v[36:37]
	v_fma_f64 v[40:41], v[6:7], v[2:3], -v[4:5]
	ds_load_b128 v[2:5], v1 offset:1616
	ds_load_b128 v[6:9], v1 offset:1632
	s_waitcnt vmcnt(0) lgkmcnt(1)
	v_mul_f64 v[42:43], v[2:3], v[12:13]
	s_delay_alu instid0(VALU_DEP_1) | instskip(SKIP_1) | instid1(VALU_DEP_1)
	v_fma_f64 v[42:43], v[4:5], v[10:11], v[42:43]
	v_mul_f64 v[4:5], v[4:5], v[12:13]
	v_fma_f64 v[44:45], v[2:3], v[10:11], -v[4:5]
	s_clause 0x1
	scratch_load_b128 v[2:5], off, off offset:624
	scratch_load_b128 v[10:13], off, off offset:640
	s_waitcnt vmcnt(1) lgkmcnt(0)
	v_mul_f64 v[46:47], v[6:7], v[4:5]
	v_mul_f64 v[4:5], v[8:9], v[4:5]
	s_delay_alu instid0(VALU_DEP_2) | instskip(NEXT) | instid1(VALU_DEP_2)
	v_fma_f64 v[46:47], v[8:9], v[2:3], v[46:47]
	v_fma_f64 v[48:49], v[6:7], v[2:3], -v[4:5]
	ds_load_b128 v[2:5], v1 offset:1648
	ds_load_b128 v[6:9], v1 offset:1664
	s_waitcnt vmcnt(0) lgkmcnt(1)
	v_mul_f64 v[52:53], v[2:3], v[12:13]
	s_delay_alu instid0(VALU_DEP_1) | instskip(SKIP_1) | instid1(VALU_DEP_1)
	v_fma_f64 v[52:53], v[4:5], v[10:11], v[52:53]
	v_mul_f64 v[4:5], v[4:5], v[12:13]
	;; [unrolled: 17-line block ×11, first 2 shown]
	v_fma_f64 v[251:252], v[2:3], v[10:11], -v[4:5]
	v_add_f64 v[2:3], v[22:23], 0
	v_add_f64 v[4:5], v[24:25], 0
	s_delay_alu instid0(VALU_DEP_2) | instskip(NEXT) | instid1(VALU_DEP_2)
	v_add_f64 v[2:3], v[2:3], v[30:31]
	v_add_f64 v[4:5], v[4:5], v[32:33]
	s_delay_alu instid0(VALU_DEP_2) | instskip(NEXT) | instid1(VALU_DEP_2)
	;; [unrolled: 3-line block ×20, first 2 shown]
	v_add_f64 v[2:3], v[2:3], v[199:200]
	v_add_f64 v[10:11], v[4:5], v[197:198]
	s_delay_alu instid0(VALU_DEP_2)
	v_add_f64 v[12:13], v[2:3], v[203:204]
	scratch_load_b128 v[2:5], off, off offset:944
	v_add_f64 v[14:15], v[10:11], v[201:202]
	v_add_f64 v[16:17], v[12:13], v[207:208]
	scratch_load_b128 v[10:13], off, off offset:960
	v_add_f64 v[18:19], v[14:15], v[205:206]
	;; [unrolled: 3-line block ×4, first 2 shown]
	v_add_f64 v[24:25], v[24:25], v[247:248]
	s_delay_alu instid0(VALU_DEP_2) | instskip(NEXT) | instid1(VALU_DEP_2)
	v_add_f64 v[22:23], v[22:23], v[245:246]
	v_add_f64 v[24:25], v[24:25], v[251:252]
	s_delay_alu instid0(VALU_DEP_2) | instskip(SKIP_3) | instid1(VALU_DEP_2)
	v_add_f64 v[22:23], v[22:23], v[249:250]
	s_waitcnt vmcnt(3) lgkmcnt(0)
	v_mul_f64 v[30:31], v[6:7], v[4:5]
	v_mul_f64 v[4:5], v[8:9], v[4:5]
	v_fma_f64 v[30:31], v[8:9], v[2:3], v[30:31]
	s_delay_alu instid0(VALU_DEP_2)
	v_fma_f64 v[32:33], v[6:7], v[2:3], -v[4:5]
	ds_load_b128 v[2:5], v1 offset:1968
	ds_load_b128 v[6:9], v1 offset:1984
	s_waitcnt vmcnt(2) lgkmcnt(1)
	v_mul_f64 v[34:35], v[2:3], v[12:13]
	v_mul_f64 v[12:13], v[4:5], v[12:13]
	s_waitcnt vmcnt(1) lgkmcnt(0)
	v_mul_f64 v[36:37], v[6:7], v[16:17]
	v_add_f64 v[22:23], v[22:23], v[30:31]
	s_delay_alu instid0(VALU_DEP_4) | instskip(NEXT) | instid1(VALU_DEP_4)
	v_fma_f64 v[34:35], v[4:5], v[10:11], v[34:35]
	v_fma_f64 v[10:11], v[2:3], v[10:11], -v[12:13]
	v_mul_f64 v[12:13], v[8:9], v[16:17]
	v_add_f64 v[16:17], v[24:25], v[32:33]
	ds_load_b128 v[2:5], v1 offset:2000
	v_fma_f64 v[8:9], v[8:9], v[14:15], v[36:37]
	s_waitcnt vmcnt(0) lgkmcnt(0)
	v_mul_f64 v[24:25], v[2:3], v[20:21]
	v_mul_f64 v[20:21], v[4:5], v[20:21]
	v_fma_f64 v[6:7], v[6:7], v[14:15], -v[12:13]
	v_add_f64 v[10:11], v[16:17], v[10:11]
	v_add_f64 v[12:13], v[22:23], v[34:35]
	v_fma_f64 v[4:5], v[4:5], v[18:19], v[24:25]
	v_fma_f64 v[2:3], v[2:3], v[18:19], -v[20:21]
	s_delay_alu instid0(VALU_DEP_4) | instskip(NEXT) | instid1(VALU_DEP_4)
	v_add_f64 v[6:7], v[10:11], v[6:7]
	v_add_f64 v[8:9], v[12:13], v[8:9]
	s_delay_alu instid0(VALU_DEP_2) | instskip(NEXT) | instid1(VALU_DEP_2)
	v_add_f64 v[2:3], v[6:7], v[2:3]
	v_add_f64 v[4:5], v[8:9], v[4:5]
	s_delay_alu instid0(VALU_DEP_2) | instskip(NEXT) | instid1(VALU_DEP_2)
	v_add_f64 v[2:3], v[26:27], -v[2:3]
	v_add_f64 v[4:5], v[28:29], -v[4:5]
	scratch_store_b128 off, v[2:5], off offset:496
	v_cmpx_lt_u32_e32 30, v176
	s_cbranch_execz .LBB62_343
; %bb.342:
	scratch_load_b32 v2, off, off offset:1140 ; 4-byte Folded Reload
	v_mov_b32_e32 v3, v1
	v_mov_b32_e32 v4, v1
	s_waitcnt vmcnt(0)
	scratch_load_b128 v[5:8], v2, off
	v_mov_b32_e32 v2, v1
	scratch_store_b128 off, v[1:4], off offset:480
	s_waitcnt vmcnt(0)
	ds_store_b128 v255, v[5:8]
.LBB62_343:
	s_or_b32 exec_lo, exec_lo, s2
	s_waitcnt lgkmcnt(0)
	s_waitcnt_vscnt null, 0x0
	s_barrier
	buffer_gl0_inv
	s_clause 0x4
	scratch_load_b128 v[2:5], off, off offset:496
	scratch_load_b128 v[6:9], off, off offset:512
	;; [unrolled: 1-line block ×5, first 2 shown]
	ds_load_b128 v[22:25], v1 offset:1504
	ds_load_b128 v[26:29], v1 offset:1520
	scratch_load_b128 v[30:33], off, off offset:480
	s_mov_b32 s2, exec_lo
	s_waitcnt vmcnt(5) lgkmcnt(1)
	v_mul_f64 v[34:35], v[24:25], v[4:5]
	v_mul_f64 v[4:5], v[22:23], v[4:5]
	s_waitcnt vmcnt(4) lgkmcnt(0)
	v_mul_f64 v[36:37], v[26:27], v[8:9]
	v_mul_f64 v[8:9], v[28:29], v[8:9]
	s_delay_alu instid0(VALU_DEP_4) | instskip(NEXT) | instid1(VALU_DEP_4)
	v_fma_f64 v[22:23], v[22:23], v[2:3], -v[34:35]
	v_fma_f64 v[24:25], v[24:25], v[2:3], v[4:5]
	ds_load_b128 v[2:5], v1 offset:1536
	v_fma_f64 v[28:29], v[28:29], v[6:7], v[36:37]
	v_fma_f64 v[26:27], v[26:27], v[6:7], -v[8:9]
	ds_load_b128 v[6:9], v1 offset:1552
	s_waitcnt vmcnt(3) lgkmcnt(1)
	v_mul_f64 v[34:35], v[2:3], v[12:13]
	v_mul_f64 v[12:13], v[4:5], v[12:13]
	s_waitcnt vmcnt(2) lgkmcnt(0)
	v_mul_f64 v[36:37], v[6:7], v[16:17]
	s_delay_alu instid0(VALU_DEP_3) | instskip(NEXT) | instid1(VALU_DEP_3)
	v_fma_f64 v[34:35], v[4:5], v[10:11], v[34:35]
	v_fma_f64 v[38:39], v[2:3], v[10:11], -v[12:13]
	v_mul_f64 v[10:11], v[8:9], v[16:17]
	ds_load_b128 v[2:5], v1 offset:1568
	v_fma_f64 v[16:17], v[8:9], v[14:15], v[36:37]
	v_fma_f64 v[14:15], v[6:7], v[14:15], -v[10:11]
	ds_load_b128 v[6:9], v1 offset:1584
	s_waitcnt vmcnt(1) lgkmcnt(1)
	v_mul_f64 v[10:11], v[2:3], v[20:21]
	v_mul_f64 v[12:13], v[4:5], v[20:21]
	s_delay_alu instid0(VALU_DEP_2) | instskip(NEXT) | instid1(VALU_DEP_2)
	v_fma_f64 v[20:21], v[4:5], v[18:19], v[10:11]
	v_fma_f64 v[18:19], v[2:3], v[18:19], -v[12:13]
	s_clause 0x1
	scratch_load_b128 v[2:5], off, off offset:576
	scratch_load_b128 v[10:13], off, off offset:592
	s_waitcnt vmcnt(1) lgkmcnt(0)
	v_mul_f64 v[36:37], v[6:7], v[4:5]
	v_mul_f64 v[4:5], v[8:9], v[4:5]
	s_delay_alu instid0(VALU_DEP_2) | instskip(NEXT) | instid1(VALU_DEP_2)
	v_fma_f64 v[36:37], v[8:9], v[2:3], v[36:37]
	v_fma_f64 v[40:41], v[6:7], v[2:3], -v[4:5]
	ds_load_b128 v[2:5], v1 offset:1600
	ds_load_b128 v[6:9], v1 offset:1616
	s_waitcnt vmcnt(0) lgkmcnt(1)
	v_mul_f64 v[42:43], v[2:3], v[12:13]
	s_delay_alu instid0(VALU_DEP_1) | instskip(SKIP_1) | instid1(VALU_DEP_1)
	v_fma_f64 v[42:43], v[4:5], v[10:11], v[42:43]
	v_mul_f64 v[4:5], v[4:5], v[12:13]
	v_fma_f64 v[44:45], v[2:3], v[10:11], -v[4:5]
	s_clause 0x1
	scratch_load_b128 v[2:5], off, off offset:608
	scratch_load_b128 v[10:13], off, off offset:624
	s_waitcnt vmcnt(1) lgkmcnt(0)
	v_mul_f64 v[46:47], v[6:7], v[4:5]
	v_mul_f64 v[4:5], v[8:9], v[4:5]
	s_delay_alu instid0(VALU_DEP_2) | instskip(NEXT) | instid1(VALU_DEP_2)
	v_fma_f64 v[46:47], v[8:9], v[2:3], v[46:47]
	v_fma_f64 v[48:49], v[6:7], v[2:3], -v[4:5]
	ds_load_b128 v[2:5], v1 offset:1632
	ds_load_b128 v[6:9], v1 offset:1648
	s_waitcnt vmcnt(0) lgkmcnt(1)
	v_mul_f64 v[52:53], v[2:3], v[12:13]
	s_delay_alu instid0(VALU_DEP_1) | instskip(SKIP_1) | instid1(VALU_DEP_1)
	v_fma_f64 v[52:53], v[4:5], v[10:11], v[52:53]
	v_mul_f64 v[4:5], v[4:5], v[12:13]
	;; [unrolled: 17-line block ×12, first 2 shown]
	v_fma_f64 v[219:220], v[2:3], v[10:11], -v[4:5]
	v_add_f64 v[2:3], v[22:23], 0
	v_add_f64 v[4:5], v[24:25], 0
	s_delay_alu instid0(VALU_DEP_2) | instskip(NEXT) | instid1(VALU_DEP_2)
	v_add_f64 v[2:3], v[2:3], v[26:27]
	v_add_f64 v[4:5], v[4:5], v[28:29]
	s_delay_alu instid0(VALU_DEP_2) | instskip(NEXT) | instid1(VALU_DEP_2)
	;; [unrolled: 3-line block ×22, first 2 shown]
	v_add_f64 v[2:3], v[2:3], v[207:208]
	v_add_f64 v[10:11], v[4:5], v[205:206]
	s_delay_alu instid0(VALU_DEP_2)
	v_add_f64 v[12:13], v[2:3], v[211:212]
	scratch_load_b128 v[2:5], off, off offset:960
	v_add_f64 v[14:15], v[10:11], v[209:210]
	v_add_f64 v[16:17], v[12:13], v[243:244]
	scratch_load_b128 v[10:13], off, off offset:976
	v_add_f64 v[18:19], v[14:15], v[241:242]
	;; [unrolled: 3-line block ×3, first 2 shown]
	v_add_f64 v[20:21], v[20:21], v[251:252]
	s_delay_alu instid0(VALU_DEP_2) | instskip(NEXT) | instid1(VALU_DEP_2)
	v_add_f64 v[18:19], v[18:19], v[249:250]
	v_add_f64 v[28:29], v[20:21], v[215:216]
	s_delay_alu instid0(VALU_DEP_2)
	v_add_f64 v[34:35], v[18:19], v[213:214]
	ds_load_b128 v[18:21], v1 offset:1984
	ds_load_b128 v[22:25], v1 offset:2000
	s_waitcnt vmcnt(2) lgkmcnt(2)
	v_mul_f64 v[26:27], v[6:7], v[4:5]
	v_mul_f64 v[4:5], v[8:9], v[4:5]
	s_waitcnt vmcnt(1) lgkmcnt(1)
	v_mul_f64 v[36:37], v[18:19], v[12:13]
	s_delay_alu instid0(VALU_DEP_3) | instskip(NEXT) | instid1(VALU_DEP_3)
	v_fma_f64 v[8:9], v[8:9], v[2:3], v[26:27]
	v_fma_f64 v[1:2], v[6:7], v[2:3], -v[4:5]
	v_mul_f64 v[3:4], v[20:21], v[12:13]
	v_add_f64 v[5:6], v[28:29], v[219:220]
	v_add_f64 v[12:13], v[34:35], v[217:218]
	s_waitcnt vmcnt(0) lgkmcnt(0)
	v_mul_f64 v[26:27], v[22:23], v[16:17]
	v_mul_f64 v[16:17], v[24:25], v[16:17]
	v_fma_f64 v[20:21], v[20:21], v[10:11], v[36:37]
	v_fma_f64 v[3:4], v[18:19], v[10:11], -v[3:4]
	v_add_f64 v[1:2], v[5:6], v[1:2]
	v_add_f64 v[5:6], v[12:13], v[8:9]
	v_fma_f64 v[7:8], v[24:25], v[14:15], v[26:27]
	v_fma_f64 v[9:10], v[22:23], v[14:15], -v[16:17]
	s_delay_alu instid0(VALU_DEP_4) | instskip(NEXT) | instid1(VALU_DEP_4)
	v_add_f64 v[1:2], v[1:2], v[3:4]
	v_add_f64 v[3:4], v[5:6], v[20:21]
	s_delay_alu instid0(VALU_DEP_2) | instskip(NEXT) | instid1(VALU_DEP_2)
	v_add_f64 v[1:2], v[1:2], v[9:10]
	v_add_f64 v[3:4], v[3:4], v[7:8]
	s_delay_alu instid0(VALU_DEP_2) | instskip(NEXT) | instid1(VALU_DEP_2)
	v_add_f64 v[1:2], v[30:31], -v[1:2]
	v_add_f64 v[3:4], v[32:33], -v[3:4]
	scratch_store_b128 off, v[1:4], off offset:480
	v_cmpx_lt_u32_e32 29, v176
	s_cbranch_execz .LBB62_345
; %bb.344:
	scratch_load_b32 v1, off, off offset:1148 ; 4-byte Folded Reload
	v_mov_b32_e32 v5, 0
	s_delay_alu instid0(VALU_DEP_1)
	v_mov_b32_e32 v6, v5
	v_mov_b32_e32 v7, v5
	;; [unrolled: 1-line block ×3, first 2 shown]
	s_waitcnt vmcnt(0)
	scratch_load_b128 v[1:4], v1, off
	scratch_store_b128 off, v[5:8], off offset:464
	s_waitcnt vmcnt(0)
	ds_store_b128 v255, v[1:4]
.LBB62_345:
	s_or_b32 exec_lo, exec_lo, s2
	s_waitcnt lgkmcnt(0)
	s_waitcnt_vscnt null, 0x0
	s_barrier
	buffer_gl0_inv
	s_clause 0x4
	scratch_load_b128 v[2:5], off, off offset:480
	scratch_load_b128 v[6:9], off, off offset:496
	;; [unrolled: 1-line block ×5, first 2 shown]
	v_mov_b32_e32 v1, 0
	scratch_load_b128 v[26:29], off, off offset:464
	s_mov_b32 s2, exec_lo
	ds_load_b128 v[22:25], v1 offset:1488
	ds_load_b128 v[30:33], v1 offset:1504
	s_waitcnt vmcnt(5) lgkmcnt(1)
	v_mul_f64 v[34:35], v[24:25], v[4:5]
	v_mul_f64 v[4:5], v[22:23], v[4:5]
	s_waitcnt vmcnt(4) lgkmcnt(0)
	v_mul_f64 v[36:37], v[30:31], v[8:9]
	v_mul_f64 v[8:9], v[32:33], v[8:9]
	s_delay_alu instid0(VALU_DEP_4) | instskip(NEXT) | instid1(VALU_DEP_4)
	v_fma_f64 v[22:23], v[22:23], v[2:3], -v[34:35]
	v_fma_f64 v[24:25], v[24:25], v[2:3], v[4:5]
	ds_load_b128 v[2:5], v1 offset:1520
	v_fma_f64 v[32:33], v[32:33], v[6:7], v[36:37]
	v_fma_f64 v[30:31], v[30:31], v[6:7], -v[8:9]
	ds_load_b128 v[6:9], v1 offset:1536
	s_waitcnt vmcnt(3) lgkmcnt(1)
	v_mul_f64 v[34:35], v[2:3], v[12:13]
	v_mul_f64 v[12:13], v[4:5], v[12:13]
	s_waitcnt vmcnt(2) lgkmcnt(0)
	v_mul_f64 v[36:37], v[6:7], v[16:17]
	s_delay_alu instid0(VALU_DEP_3) | instskip(NEXT) | instid1(VALU_DEP_3)
	v_fma_f64 v[34:35], v[4:5], v[10:11], v[34:35]
	v_fma_f64 v[38:39], v[2:3], v[10:11], -v[12:13]
	v_mul_f64 v[10:11], v[8:9], v[16:17]
	ds_load_b128 v[2:5], v1 offset:1552
	v_fma_f64 v[16:17], v[8:9], v[14:15], v[36:37]
	v_fma_f64 v[14:15], v[6:7], v[14:15], -v[10:11]
	ds_load_b128 v[6:9], v1 offset:1568
	s_waitcnt vmcnt(1) lgkmcnt(1)
	v_mul_f64 v[10:11], v[2:3], v[20:21]
	v_mul_f64 v[12:13], v[4:5], v[20:21]
	s_delay_alu instid0(VALU_DEP_2) | instskip(NEXT) | instid1(VALU_DEP_2)
	v_fma_f64 v[20:21], v[4:5], v[18:19], v[10:11]
	v_fma_f64 v[18:19], v[2:3], v[18:19], -v[12:13]
	s_clause 0x1
	scratch_load_b128 v[2:5], off, off offset:560
	scratch_load_b128 v[10:13], off, off offset:576
	s_waitcnt vmcnt(1) lgkmcnt(0)
	v_mul_f64 v[36:37], v[6:7], v[4:5]
	v_mul_f64 v[4:5], v[8:9], v[4:5]
	s_delay_alu instid0(VALU_DEP_2) | instskip(NEXT) | instid1(VALU_DEP_2)
	v_fma_f64 v[36:37], v[8:9], v[2:3], v[36:37]
	v_fma_f64 v[40:41], v[6:7], v[2:3], -v[4:5]
	ds_load_b128 v[2:5], v1 offset:1584
	ds_load_b128 v[6:9], v1 offset:1600
	s_waitcnt vmcnt(0) lgkmcnt(1)
	v_mul_f64 v[42:43], v[2:3], v[12:13]
	s_delay_alu instid0(VALU_DEP_1) | instskip(SKIP_1) | instid1(VALU_DEP_1)
	v_fma_f64 v[42:43], v[4:5], v[10:11], v[42:43]
	v_mul_f64 v[4:5], v[4:5], v[12:13]
	v_fma_f64 v[44:45], v[2:3], v[10:11], -v[4:5]
	s_clause 0x1
	scratch_load_b128 v[2:5], off, off offset:592
	scratch_load_b128 v[10:13], off, off offset:608
	s_waitcnt vmcnt(1) lgkmcnt(0)
	v_mul_f64 v[46:47], v[6:7], v[4:5]
	v_mul_f64 v[4:5], v[8:9], v[4:5]
	s_delay_alu instid0(VALU_DEP_2) | instskip(NEXT) | instid1(VALU_DEP_2)
	v_fma_f64 v[46:47], v[8:9], v[2:3], v[46:47]
	v_fma_f64 v[48:49], v[6:7], v[2:3], -v[4:5]
	ds_load_b128 v[2:5], v1 offset:1616
	ds_load_b128 v[6:9], v1 offset:1632
	s_waitcnt vmcnt(0) lgkmcnt(1)
	v_mul_f64 v[52:53], v[2:3], v[12:13]
	s_delay_alu instid0(VALU_DEP_1) | instskip(SKIP_1) | instid1(VALU_DEP_1)
	v_fma_f64 v[52:53], v[4:5], v[10:11], v[52:53]
	v_mul_f64 v[4:5], v[4:5], v[12:13]
	v_fma_f64 v[54:55], v[2:3], v[10:11], -v[4:5]
	s_clause 0x1
	scratch_load_b128 v[2:5], off, off offset:624
	scratch_load_b128 v[10:13], off, off offset:640
	s_waitcnt vmcnt(1) lgkmcnt(0)
	v_mul_f64 v[56:57], v[6:7], v[4:5]
	v_mul_f64 v[4:5], v[8:9], v[4:5]
	s_delay_alu instid0(VALU_DEP_2) | instskip(NEXT) | instid1(VALU_DEP_2)
	v_fma_f64 v[56:57], v[8:9], v[2:3], v[56:57]
	v_fma_f64 v[58:59], v[6:7], v[2:3], -v[4:5]
	ds_load_b128 v[2:5], v1 offset:1648
	ds_load_b128 v[6:9], v1 offset:1664
	s_waitcnt vmcnt(0) lgkmcnt(1)
	v_mul_f64 v[60:61], v[2:3], v[12:13]
	s_delay_alu instid0(VALU_DEP_1) | instskip(SKIP_1) | instid1(VALU_DEP_1)
	v_fma_f64 v[60:61], v[4:5], v[10:11], v[60:61]
	v_mul_f64 v[4:5], v[4:5], v[12:13]
	v_fma_f64 v[62:63], v[2:3], v[10:11], -v[4:5]
	s_clause 0x1
	scratch_load_b128 v[2:5], off, off offset:656
	scratch_load_b128 v[10:13], off, off offset:672
	s_waitcnt vmcnt(1) lgkmcnt(0)
	v_mul_f64 v[64:65], v[6:7], v[4:5]
	v_mul_f64 v[4:5], v[8:9], v[4:5]
	s_delay_alu instid0(VALU_DEP_2) | instskip(NEXT) | instid1(VALU_DEP_2)
	v_fma_f64 v[64:65], v[8:9], v[2:3], v[64:65]
	v_fma_f64 v[66:67], v[6:7], v[2:3], -v[4:5]
	ds_load_b128 v[2:5], v1 offset:1680
	ds_load_b128 v[6:9], v1 offset:1696
	s_waitcnt vmcnt(0) lgkmcnt(1)
	v_mul_f64 v[68:69], v[2:3], v[12:13]
	s_delay_alu instid0(VALU_DEP_1) | instskip(SKIP_1) | instid1(VALU_DEP_1)
	v_fma_f64 v[68:69], v[4:5], v[10:11], v[68:69]
	v_mul_f64 v[4:5], v[4:5], v[12:13]
	v_fma_f64 v[70:71], v[2:3], v[10:11], -v[4:5]
	s_clause 0x1
	scratch_load_b128 v[2:5], off, off offset:688
	scratch_load_b128 v[10:13], off, off offset:704
	s_waitcnt vmcnt(1) lgkmcnt(0)
	v_mul_f64 v[90:91], v[6:7], v[4:5]
	v_mul_f64 v[4:5], v[8:9], v[4:5]
	s_delay_alu instid0(VALU_DEP_2) | instskip(NEXT) | instid1(VALU_DEP_2)
	v_fma_f64 v[90:91], v[8:9], v[2:3], v[90:91]
	v_fma_f64 v[94:95], v[6:7], v[2:3], -v[4:5]
	ds_load_b128 v[2:5], v1 offset:1712
	ds_load_b128 v[6:9], v1 offset:1728
	s_waitcnt vmcnt(0) lgkmcnt(1)
	v_mul_f64 v[96:97], v[2:3], v[12:13]
	s_delay_alu instid0(VALU_DEP_1) | instskip(SKIP_1) | instid1(VALU_DEP_1)
	v_fma_f64 v[96:97], v[4:5], v[10:11], v[96:97]
	v_mul_f64 v[4:5], v[4:5], v[12:13]
	v_fma_f64 v[98:99], v[2:3], v[10:11], -v[4:5]
	s_clause 0x1
	scratch_load_b128 v[2:5], off, off offset:720
	scratch_load_b128 v[10:13], off, off offset:736
	s_waitcnt vmcnt(1) lgkmcnt(0)
	v_mul_f64 v[177:178], v[6:7], v[4:5]
	v_mul_f64 v[4:5], v[8:9], v[4:5]
	s_delay_alu instid0(VALU_DEP_2) | instskip(NEXT) | instid1(VALU_DEP_2)
	v_fma_f64 v[177:178], v[8:9], v[2:3], v[177:178]
	v_fma_f64 v[179:180], v[6:7], v[2:3], -v[4:5]
	ds_load_b128 v[2:5], v1 offset:1744
	ds_load_b128 v[6:9], v1 offset:1760
	s_waitcnt vmcnt(0) lgkmcnt(1)
	v_mul_f64 v[181:182], v[2:3], v[12:13]
	s_delay_alu instid0(VALU_DEP_1) | instskip(SKIP_1) | instid1(VALU_DEP_1)
	v_fma_f64 v[181:182], v[4:5], v[10:11], v[181:182]
	v_mul_f64 v[4:5], v[4:5], v[12:13]
	v_fma_f64 v[183:184], v[2:3], v[10:11], -v[4:5]
	s_clause 0x1
	scratch_load_b128 v[2:5], off, off offset:752
	scratch_load_b128 v[10:13], off, off offset:768
	s_waitcnt vmcnt(1) lgkmcnt(0)
	v_mul_f64 v[185:186], v[6:7], v[4:5]
	v_mul_f64 v[4:5], v[8:9], v[4:5]
	s_delay_alu instid0(VALU_DEP_2) | instskip(NEXT) | instid1(VALU_DEP_2)
	v_fma_f64 v[185:186], v[8:9], v[2:3], v[185:186]
	v_fma_f64 v[187:188], v[6:7], v[2:3], -v[4:5]
	ds_load_b128 v[2:5], v1 offset:1776
	ds_load_b128 v[6:9], v1 offset:1792
	s_waitcnt vmcnt(0) lgkmcnt(1)
	v_mul_f64 v[189:190], v[2:3], v[12:13]
	s_delay_alu instid0(VALU_DEP_1) | instskip(SKIP_1) | instid1(VALU_DEP_1)
	v_fma_f64 v[189:190], v[4:5], v[10:11], v[189:190]
	v_mul_f64 v[4:5], v[4:5], v[12:13]
	v_fma_f64 v[191:192], v[2:3], v[10:11], -v[4:5]
	s_clause 0x1
	scratch_load_b128 v[2:5], off, off offset:784
	scratch_load_b128 v[10:13], off, off offset:800
	s_waitcnt vmcnt(1) lgkmcnt(0)
	v_mul_f64 v[193:194], v[6:7], v[4:5]
	v_mul_f64 v[4:5], v[8:9], v[4:5]
	s_delay_alu instid0(VALU_DEP_2) | instskip(NEXT) | instid1(VALU_DEP_2)
	v_fma_f64 v[193:194], v[8:9], v[2:3], v[193:194]
	v_fma_f64 v[195:196], v[6:7], v[2:3], -v[4:5]
	ds_load_b128 v[2:5], v1 offset:1808
	ds_load_b128 v[6:9], v1 offset:1824
	s_waitcnt vmcnt(0) lgkmcnt(1)
	v_mul_f64 v[197:198], v[2:3], v[12:13]
	s_delay_alu instid0(VALU_DEP_1) | instskip(SKIP_1) | instid1(VALU_DEP_1)
	v_fma_f64 v[197:198], v[4:5], v[10:11], v[197:198]
	v_mul_f64 v[4:5], v[4:5], v[12:13]
	v_fma_f64 v[199:200], v[2:3], v[10:11], -v[4:5]
	s_clause 0x1
	scratch_load_b128 v[2:5], off, off offset:816
	scratch_load_b128 v[10:13], off, off offset:832
	s_waitcnt vmcnt(1) lgkmcnt(0)
	v_mul_f64 v[201:202], v[6:7], v[4:5]
	v_mul_f64 v[4:5], v[8:9], v[4:5]
	s_delay_alu instid0(VALU_DEP_2) | instskip(NEXT) | instid1(VALU_DEP_2)
	v_fma_f64 v[201:202], v[8:9], v[2:3], v[201:202]
	v_fma_f64 v[203:204], v[6:7], v[2:3], -v[4:5]
	ds_load_b128 v[2:5], v1 offset:1840
	ds_load_b128 v[6:9], v1 offset:1856
	s_waitcnt vmcnt(0) lgkmcnt(1)
	v_mul_f64 v[205:206], v[2:3], v[12:13]
	s_delay_alu instid0(VALU_DEP_1) | instskip(SKIP_1) | instid1(VALU_DEP_1)
	v_fma_f64 v[205:206], v[4:5], v[10:11], v[205:206]
	v_mul_f64 v[4:5], v[4:5], v[12:13]
	v_fma_f64 v[207:208], v[2:3], v[10:11], -v[4:5]
	s_clause 0x1
	scratch_load_b128 v[2:5], off, off offset:848
	scratch_load_b128 v[10:13], off, off offset:864
	s_waitcnt vmcnt(1) lgkmcnt(0)
	v_mul_f64 v[209:210], v[6:7], v[4:5]
	v_mul_f64 v[4:5], v[8:9], v[4:5]
	s_delay_alu instid0(VALU_DEP_2) | instskip(NEXT) | instid1(VALU_DEP_2)
	v_fma_f64 v[209:210], v[8:9], v[2:3], v[209:210]
	v_fma_f64 v[211:212], v[6:7], v[2:3], -v[4:5]
	ds_load_b128 v[2:5], v1 offset:1872
	ds_load_b128 v[6:9], v1 offset:1888
	s_waitcnt vmcnt(0) lgkmcnt(1)
	v_mul_f64 v[213:214], v[2:3], v[12:13]
	s_delay_alu instid0(VALU_DEP_1) | instskip(SKIP_1) | instid1(VALU_DEP_1)
	v_fma_f64 v[213:214], v[4:5], v[10:11], v[213:214]
	v_mul_f64 v[4:5], v[4:5], v[12:13]
	v_fma_f64 v[215:216], v[2:3], v[10:11], -v[4:5]
	s_clause 0x1
	scratch_load_b128 v[2:5], off, off offset:880
	scratch_load_b128 v[10:13], off, off offset:896
	s_waitcnt vmcnt(1) lgkmcnt(0)
	v_mul_f64 v[217:218], v[6:7], v[4:5]
	v_mul_f64 v[4:5], v[8:9], v[4:5]
	s_delay_alu instid0(VALU_DEP_2) | instskip(NEXT) | instid1(VALU_DEP_2)
	v_fma_f64 v[217:218], v[8:9], v[2:3], v[217:218]
	v_fma_f64 v[219:220], v[6:7], v[2:3], -v[4:5]
	ds_load_b128 v[2:5], v1 offset:1904
	ds_load_b128 v[6:9], v1 offset:1920
	s_waitcnt vmcnt(0) lgkmcnt(1)
	v_mul_f64 v[241:242], v[2:3], v[12:13]
	s_delay_alu instid0(VALU_DEP_1) | instskip(SKIP_1) | instid1(VALU_DEP_1)
	v_fma_f64 v[241:242], v[4:5], v[10:11], v[241:242]
	v_mul_f64 v[4:5], v[4:5], v[12:13]
	v_fma_f64 v[243:244], v[2:3], v[10:11], -v[4:5]
	s_clause 0x1
	scratch_load_b128 v[2:5], off, off offset:912
	scratch_load_b128 v[10:13], off, off offset:928
	s_waitcnt vmcnt(1) lgkmcnt(0)
	v_mul_f64 v[245:246], v[6:7], v[4:5]
	v_mul_f64 v[4:5], v[8:9], v[4:5]
	s_delay_alu instid0(VALU_DEP_2) | instskip(NEXT) | instid1(VALU_DEP_2)
	v_fma_f64 v[245:246], v[8:9], v[2:3], v[245:246]
	v_fma_f64 v[247:248], v[6:7], v[2:3], -v[4:5]
	ds_load_b128 v[2:5], v1 offset:1936
	ds_load_b128 v[6:9], v1 offset:1952
	s_waitcnt vmcnt(0) lgkmcnt(1)
	v_mul_f64 v[249:250], v[2:3], v[12:13]
	s_delay_alu instid0(VALU_DEP_1) | instskip(SKIP_1) | instid1(VALU_DEP_1)
	v_fma_f64 v[249:250], v[4:5], v[10:11], v[249:250]
	v_mul_f64 v[4:5], v[4:5], v[12:13]
	v_fma_f64 v[251:252], v[2:3], v[10:11], -v[4:5]
	v_add_f64 v[2:3], v[22:23], 0
	v_add_f64 v[4:5], v[24:25], 0
	s_delay_alu instid0(VALU_DEP_2) | instskip(NEXT) | instid1(VALU_DEP_2)
	v_add_f64 v[2:3], v[2:3], v[30:31]
	v_add_f64 v[4:5], v[4:5], v[32:33]
	s_delay_alu instid0(VALU_DEP_2) | instskip(NEXT) | instid1(VALU_DEP_2)
	v_add_f64 v[2:3], v[2:3], v[38:39]
	v_add_f64 v[4:5], v[4:5], v[34:35]
	s_delay_alu instid0(VALU_DEP_2) | instskip(NEXT) | instid1(VALU_DEP_2)
	v_add_f64 v[2:3], v[2:3], v[14:15]
	v_add_f64 v[4:5], v[4:5], v[16:17]
	s_delay_alu instid0(VALU_DEP_2) | instskip(NEXT) | instid1(VALU_DEP_2)
	v_add_f64 v[2:3], v[2:3], v[18:19]
	v_add_f64 v[4:5], v[4:5], v[20:21]
	s_delay_alu instid0(VALU_DEP_2) | instskip(NEXT) | instid1(VALU_DEP_2)
	v_add_f64 v[2:3], v[2:3], v[40:41]
	v_add_f64 v[4:5], v[4:5], v[36:37]
	s_delay_alu instid0(VALU_DEP_2) | instskip(NEXT) | instid1(VALU_DEP_2)
	v_add_f64 v[2:3], v[2:3], v[44:45]
	v_add_f64 v[4:5], v[4:5], v[42:43]
	s_delay_alu instid0(VALU_DEP_2) | instskip(NEXT) | instid1(VALU_DEP_2)
	v_add_f64 v[2:3], v[2:3], v[48:49]
	v_add_f64 v[4:5], v[4:5], v[46:47]
	s_delay_alu instid0(VALU_DEP_2) | instskip(NEXT) | instid1(VALU_DEP_2)
	v_add_f64 v[2:3], v[2:3], v[54:55]
	v_add_f64 v[4:5], v[4:5], v[52:53]
	s_delay_alu instid0(VALU_DEP_2) | instskip(NEXT) | instid1(VALU_DEP_2)
	v_add_f64 v[2:3], v[2:3], v[58:59]
	v_add_f64 v[4:5], v[4:5], v[56:57]
	s_delay_alu instid0(VALU_DEP_2) | instskip(NEXT) | instid1(VALU_DEP_2)
	v_add_f64 v[2:3], v[2:3], v[62:63]
	v_add_f64 v[4:5], v[4:5], v[60:61]
	s_delay_alu instid0(VALU_DEP_2) | instskip(NEXT) | instid1(VALU_DEP_2)
	v_add_f64 v[2:3], v[2:3], v[66:67]
	v_add_f64 v[4:5], v[4:5], v[64:65]
	s_delay_alu instid0(VALU_DEP_2) | instskip(NEXT) | instid1(VALU_DEP_2)
	v_add_f64 v[2:3], v[2:3], v[70:71]
	v_add_f64 v[4:5], v[4:5], v[68:69]
	s_delay_alu instid0(VALU_DEP_2) | instskip(NEXT) | instid1(VALU_DEP_2)
	v_add_f64 v[2:3], v[2:3], v[94:95]
	v_add_f64 v[4:5], v[4:5], v[90:91]
	s_delay_alu instid0(VALU_DEP_2) | instskip(NEXT) | instid1(VALU_DEP_2)
	v_add_f64 v[2:3], v[2:3], v[98:99]
	v_add_f64 v[4:5], v[4:5], v[96:97]
	s_delay_alu instid0(VALU_DEP_2) | instskip(NEXT) | instid1(VALU_DEP_2)
	v_add_f64 v[2:3], v[2:3], v[179:180]
	v_add_f64 v[4:5], v[4:5], v[177:178]
	s_delay_alu instid0(VALU_DEP_2) | instskip(NEXT) | instid1(VALU_DEP_2)
	v_add_f64 v[2:3], v[2:3], v[183:184]
	v_add_f64 v[4:5], v[4:5], v[181:182]
	s_delay_alu instid0(VALU_DEP_2) | instskip(NEXT) | instid1(VALU_DEP_2)
	v_add_f64 v[2:3], v[2:3], v[187:188]
	v_add_f64 v[4:5], v[4:5], v[185:186]
	s_delay_alu instid0(VALU_DEP_2) | instskip(NEXT) | instid1(VALU_DEP_2)
	v_add_f64 v[2:3], v[2:3], v[191:192]
	v_add_f64 v[4:5], v[4:5], v[189:190]
	s_delay_alu instid0(VALU_DEP_2) | instskip(NEXT) | instid1(VALU_DEP_2)
	v_add_f64 v[2:3], v[2:3], v[195:196]
	v_add_f64 v[4:5], v[4:5], v[193:194]
	s_delay_alu instid0(VALU_DEP_2) | instskip(NEXT) | instid1(VALU_DEP_2)
	v_add_f64 v[2:3], v[2:3], v[199:200]
	v_add_f64 v[4:5], v[4:5], v[197:198]
	s_delay_alu instid0(VALU_DEP_2) | instskip(NEXT) | instid1(VALU_DEP_2)
	v_add_f64 v[2:3], v[2:3], v[203:204]
	v_add_f64 v[4:5], v[4:5], v[201:202]
	s_delay_alu instid0(VALU_DEP_2) | instskip(NEXT) | instid1(VALU_DEP_2)
	v_add_f64 v[2:3], v[2:3], v[207:208]
	v_add_f64 v[10:11], v[4:5], v[205:206]
	s_delay_alu instid0(VALU_DEP_2)
	v_add_f64 v[12:13], v[2:3], v[211:212]
	scratch_load_b128 v[2:5], off, off offset:944
	v_add_f64 v[14:15], v[10:11], v[209:210]
	v_add_f64 v[16:17], v[12:13], v[215:216]
	scratch_load_b128 v[10:13], off, off offset:960
	v_add_f64 v[18:19], v[14:15], v[213:214]
	;; [unrolled: 3-line block ×4, first 2 shown]
	v_add_f64 v[24:25], v[24:25], v[247:248]
	s_delay_alu instid0(VALU_DEP_2) | instskip(NEXT) | instid1(VALU_DEP_2)
	v_add_f64 v[22:23], v[22:23], v[245:246]
	v_add_f64 v[24:25], v[24:25], v[251:252]
	s_delay_alu instid0(VALU_DEP_2) | instskip(SKIP_3) | instid1(VALU_DEP_2)
	v_add_f64 v[22:23], v[22:23], v[249:250]
	s_waitcnt vmcnt(3) lgkmcnt(0)
	v_mul_f64 v[30:31], v[6:7], v[4:5]
	v_mul_f64 v[4:5], v[8:9], v[4:5]
	v_fma_f64 v[30:31], v[8:9], v[2:3], v[30:31]
	s_delay_alu instid0(VALU_DEP_2)
	v_fma_f64 v[32:33], v[6:7], v[2:3], -v[4:5]
	ds_load_b128 v[2:5], v1 offset:1968
	ds_load_b128 v[6:9], v1 offset:1984
	s_waitcnt vmcnt(2) lgkmcnt(1)
	v_mul_f64 v[34:35], v[2:3], v[12:13]
	v_mul_f64 v[12:13], v[4:5], v[12:13]
	s_waitcnt vmcnt(1) lgkmcnt(0)
	v_mul_f64 v[36:37], v[6:7], v[16:17]
	v_add_f64 v[22:23], v[22:23], v[30:31]
	s_delay_alu instid0(VALU_DEP_4) | instskip(NEXT) | instid1(VALU_DEP_4)
	v_fma_f64 v[34:35], v[4:5], v[10:11], v[34:35]
	v_fma_f64 v[10:11], v[2:3], v[10:11], -v[12:13]
	v_mul_f64 v[12:13], v[8:9], v[16:17]
	v_add_f64 v[16:17], v[24:25], v[32:33]
	ds_load_b128 v[2:5], v1 offset:2000
	v_fma_f64 v[8:9], v[8:9], v[14:15], v[36:37]
	s_waitcnt vmcnt(0) lgkmcnt(0)
	v_mul_f64 v[24:25], v[2:3], v[20:21]
	v_mul_f64 v[20:21], v[4:5], v[20:21]
	v_fma_f64 v[6:7], v[6:7], v[14:15], -v[12:13]
	v_add_f64 v[10:11], v[16:17], v[10:11]
	v_add_f64 v[12:13], v[22:23], v[34:35]
	v_fma_f64 v[4:5], v[4:5], v[18:19], v[24:25]
	v_fma_f64 v[2:3], v[2:3], v[18:19], -v[20:21]
	s_delay_alu instid0(VALU_DEP_4) | instskip(NEXT) | instid1(VALU_DEP_4)
	v_add_f64 v[6:7], v[10:11], v[6:7]
	v_add_f64 v[8:9], v[12:13], v[8:9]
	s_delay_alu instid0(VALU_DEP_2) | instskip(NEXT) | instid1(VALU_DEP_2)
	v_add_f64 v[2:3], v[6:7], v[2:3]
	v_add_f64 v[4:5], v[8:9], v[4:5]
	s_delay_alu instid0(VALU_DEP_2) | instskip(NEXT) | instid1(VALU_DEP_2)
	v_add_f64 v[2:3], v[26:27], -v[2:3]
	v_add_f64 v[4:5], v[28:29], -v[4:5]
	scratch_store_b128 off, v[2:5], off offset:464
	v_cmpx_lt_u32_e32 28, v176
	s_cbranch_execz .LBB62_347
; %bb.346:
	scratch_load_b32 v2, off, off offset:1164 ; 4-byte Folded Reload
	v_mov_b32_e32 v3, v1
	v_mov_b32_e32 v4, v1
	s_waitcnt vmcnt(0)
	scratch_load_b128 v[5:8], v2, off
	v_mov_b32_e32 v2, v1
	scratch_store_b128 off, v[1:4], off offset:448
	s_waitcnt vmcnt(0)
	ds_store_b128 v255, v[5:8]
.LBB62_347:
	s_or_b32 exec_lo, exec_lo, s2
	s_waitcnt lgkmcnt(0)
	s_waitcnt_vscnt null, 0x0
	s_barrier
	buffer_gl0_inv
	s_clause 0x4
	scratch_load_b128 v[2:5], off, off offset:464
	scratch_load_b128 v[6:9], off, off offset:480
	;; [unrolled: 1-line block ×5, first 2 shown]
	ds_load_b128 v[22:25], v1 offset:1472
	ds_load_b128 v[26:29], v1 offset:1488
	scratch_load_b128 v[30:33], off, off offset:448
	s_mov_b32 s2, exec_lo
	s_waitcnt vmcnt(5) lgkmcnt(1)
	v_mul_f64 v[34:35], v[24:25], v[4:5]
	v_mul_f64 v[4:5], v[22:23], v[4:5]
	s_waitcnt vmcnt(4) lgkmcnt(0)
	v_mul_f64 v[36:37], v[26:27], v[8:9]
	v_mul_f64 v[8:9], v[28:29], v[8:9]
	s_delay_alu instid0(VALU_DEP_4) | instskip(NEXT) | instid1(VALU_DEP_4)
	v_fma_f64 v[22:23], v[22:23], v[2:3], -v[34:35]
	v_fma_f64 v[24:25], v[24:25], v[2:3], v[4:5]
	ds_load_b128 v[2:5], v1 offset:1504
	v_fma_f64 v[28:29], v[28:29], v[6:7], v[36:37]
	v_fma_f64 v[26:27], v[26:27], v[6:7], -v[8:9]
	ds_load_b128 v[6:9], v1 offset:1520
	s_waitcnt vmcnt(3) lgkmcnt(1)
	v_mul_f64 v[34:35], v[2:3], v[12:13]
	v_mul_f64 v[12:13], v[4:5], v[12:13]
	s_waitcnt vmcnt(2) lgkmcnt(0)
	v_mul_f64 v[36:37], v[6:7], v[16:17]
	s_delay_alu instid0(VALU_DEP_3) | instskip(NEXT) | instid1(VALU_DEP_3)
	v_fma_f64 v[34:35], v[4:5], v[10:11], v[34:35]
	v_fma_f64 v[38:39], v[2:3], v[10:11], -v[12:13]
	v_mul_f64 v[10:11], v[8:9], v[16:17]
	ds_load_b128 v[2:5], v1 offset:1536
	v_fma_f64 v[16:17], v[8:9], v[14:15], v[36:37]
	v_fma_f64 v[14:15], v[6:7], v[14:15], -v[10:11]
	ds_load_b128 v[6:9], v1 offset:1552
	s_waitcnt vmcnt(1) lgkmcnt(1)
	v_mul_f64 v[10:11], v[2:3], v[20:21]
	v_mul_f64 v[12:13], v[4:5], v[20:21]
	s_delay_alu instid0(VALU_DEP_2) | instskip(NEXT) | instid1(VALU_DEP_2)
	v_fma_f64 v[20:21], v[4:5], v[18:19], v[10:11]
	v_fma_f64 v[18:19], v[2:3], v[18:19], -v[12:13]
	s_clause 0x1
	scratch_load_b128 v[2:5], off, off offset:544
	scratch_load_b128 v[10:13], off, off offset:560
	s_waitcnt vmcnt(1) lgkmcnt(0)
	v_mul_f64 v[36:37], v[6:7], v[4:5]
	v_mul_f64 v[4:5], v[8:9], v[4:5]
	s_delay_alu instid0(VALU_DEP_2) | instskip(NEXT) | instid1(VALU_DEP_2)
	v_fma_f64 v[36:37], v[8:9], v[2:3], v[36:37]
	v_fma_f64 v[40:41], v[6:7], v[2:3], -v[4:5]
	ds_load_b128 v[2:5], v1 offset:1568
	ds_load_b128 v[6:9], v1 offset:1584
	s_waitcnt vmcnt(0) lgkmcnt(1)
	v_mul_f64 v[42:43], v[2:3], v[12:13]
	s_delay_alu instid0(VALU_DEP_1) | instskip(SKIP_1) | instid1(VALU_DEP_1)
	v_fma_f64 v[42:43], v[4:5], v[10:11], v[42:43]
	v_mul_f64 v[4:5], v[4:5], v[12:13]
	v_fma_f64 v[44:45], v[2:3], v[10:11], -v[4:5]
	s_clause 0x1
	scratch_load_b128 v[2:5], off, off offset:576
	scratch_load_b128 v[10:13], off, off offset:592
	s_waitcnt vmcnt(1) lgkmcnt(0)
	v_mul_f64 v[46:47], v[6:7], v[4:5]
	v_mul_f64 v[4:5], v[8:9], v[4:5]
	s_delay_alu instid0(VALU_DEP_2) | instskip(NEXT) | instid1(VALU_DEP_2)
	v_fma_f64 v[46:47], v[8:9], v[2:3], v[46:47]
	v_fma_f64 v[48:49], v[6:7], v[2:3], -v[4:5]
	ds_load_b128 v[2:5], v1 offset:1600
	ds_load_b128 v[6:9], v1 offset:1616
	s_waitcnt vmcnt(0) lgkmcnt(1)
	v_mul_f64 v[52:53], v[2:3], v[12:13]
	s_delay_alu instid0(VALU_DEP_1) | instskip(SKIP_1) | instid1(VALU_DEP_1)
	v_fma_f64 v[52:53], v[4:5], v[10:11], v[52:53]
	v_mul_f64 v[4:5], v[4:5], v[12:13]
	v_fma_f64 v[54:55], v[2:3], v[10:11], -v[4:5]
	s_clause 0x1
	scratch_load_b128 v[2:5], off, off offset:608
	scratch_load_b128 v[10:13], off, off offset:624
	s_waitcnt vmcnt(1) lgkmcnt(0)
	v_mul_f64 v[56:57], v[6:7], v[4:5]
	v_mul_f64 v[4:5], v[8:9], v[4:5]
	s_delay_alu instid0(VALU_DEP_2) | instskip(NEXT) | instid1(VALU_DEP_2)
	v_fma_f64 v[56:57], v[8:9], v[2:3], v[56:57]
	v_fma_f64 v[58:59], v[6:7], v[2:3], -v[4:5]
	ds_load_b128 v[2:5], v1 offset:1632
	ds_load_b128 v[6:9], v1 offset:1648
	s_waitcnt vmcnt(0) lgkmcnt(1)
	v_mul_f64 v[60:61], v[2:3], v[12:13]
	s_delay_alu instid0(VALU_DEP_1) | instskip(SKIP_1) | instid1(VALU_DEP_1)
	v_fma_f64 v[60:61], v[4:5], v[10:11], v[60:61]
	v_mul_f64 v[4:5], v[4:5], v[12:13]
	v_fma_f64 v[62:63], v[2:3], v[10:11], -v[4:5]
	s_clause 0x1
	scratch_load_b128 v[2:5], off, off offset:640
	scratch_load_b128 v[10:13], off, off offset:656
	s_waitcnt vmcnt(1) lgkmcnt(0)
	v_mul_f64 v[64:65], v[6:7], v[4:5]
	v_mul_f64 v[4:5], v[8:9], v[4:5]
	s_delay_alu instid0(VALU_DEP_2) | instskip(NEXT) | instid1(VALU_DEP_2)
	v_fma_f64 v[64:65], v[8:9], v[2:3], v[64:65]
	v_fma_f64 v[66:67], v[6:7], v[2:3], -v[4:5]
	ds_load_b128 v[2:5], v1 offset:1664
	ds_load_b128 v[6:9], v1 offset:1680
	s_waitcnt vmcnt(0) lgkmcnt(1)
	v_mul_f64 v[68:69], v[2:3], v[12:13]
	s_delay_alu instid0(VALU_DEP_1) | instskip(SKIP_1) | instid1(VALU_DEP_1)
	v_fma_f64 v[68:69], v[4:5], v[10:11], v[68:69]
	v_mul_f64 v[4:5], v[4:5], v[12:13]
	v_fma_f64 v[70:71], v[2:3], v[10:11], -v[4:5]
	s_clause 0x1
	scratch_load_b128 v[2:5], off, off offset:672
	scratch_load_b128 v[10:13], off, off offset:688
	s_waitcnt vmcnt(1) lgkmcnt(0)
	v_mul_f64 v[90:91], v[6:7], v[4:5]
	v_mul_f64 v[4:5], v[8:9], v[4:5]
	s_delay_alu instid0(VALU_DEP_2) | instskip(NEXT) | instid1(VALU_DEP_2)
	v_fma_f64 v[90:91], v[8:9], v[2:3], v[90:91]
	v_fma_f64 v[94:95], v[6:7], v[2:3], -v[4:5]
	ds_load_b128 v[2:5], v1 offset:1696
	ds_load_b128 v[6:9], v1 offset:1712
	s_waitcnt vmcnt(0) lgkmcnt(1)
	v_mul_f64 v[96:97], v[2:3], v[12:13]
	s_delay_alu instid0(VALU_DEP_1) | instskip(SKIP_1) | instid1(VALU_DEP_1)
	v_fma_f64 v[96:97], v[4:5], v[10:11], v[96:97]
	v_mul_f64 v[4:5], v[4:5], v[12:13]
	v_fma_f64 v[98:99], v[2:3], v[10:11], -v[4:5]
	s_clause 0x1
	scratch_load_b128 v[2:5], off, off offset:704
	scratch_load_b128 v[10:13], off, off offset:720
	s_waitcnt vmcnt(1) lgkmcnt(0)
	v_mul_f64 v[177:178], v[6:7], v[4:5]
	v_mul_f64 v[4:5], v[8:9], v[4:5]
	s_delay_alu instid0(VALU_DEP_2) | instskip(NEXT) | instid1(VALU_DEP_2)
	v_fma_f64 v[177:178], v[8:9], v[2:3], v[177:178]
	v_fma_f64 v[179:180], v[6:7], v[2:3], -v[4:5]
	ds_load_b128 v[2:5], v1 offset:1728
	ds_load_b128 v[6:9], v1 offset:1744
	s_waitcnt vmcnt(0) lgkmcnt(1)
	v_mul_f64 v[181:182], v[2:3], v[12:13]
	s_delay_alu instid0(VALU_DEP_1) | instskip(SKIP_1) | instid1(VALU_DEP_1)
	v_fma_f64 v[181:182], v[4:5], v[10:11], v[181:182]
	v_mul_f64 v[4:5], v[4:5], v[12:13]
	v_fma_f64 v[183:184], v[2:3], v[10:11], -v[4:5]
	s_clause 0x1
	scratch_load_b128 v[2:5], off, off offset:736
	scratch_load_b128 v[10:13], off, off offset:752
	s_waitcnt vmcnt(1) lgkmcnt(0)
	v_mul_f64 v[185:186], v[6:7], v[4:5]
	v_mul_f64 v[4:5], v[8:9], v[4:5]
	s_delay_alu instid0(VALU_DEP_2) | instskip(NEXT) | instid1(VALU_DEP_2)
	v_fma_f64 v[185:186], v[8:9], v[2:3], v[185:186]
	v_fma_f64 v[187:188], v[6:7], v[2:3], -v[4:5]
	ds_load_b128 v[2:5], v1 offset:1760
	ds_load_b128 v[6:9], v1 offset:1776
	s_waitcnt vmcnt(0) lgkmcnt(1)
	v_mul_f64 v[189:190], v[2:3], v[12:13]
	s_delay_alu instid0(VALU_DEP_1) | instskip(SKIP_1) | instid1(VALU_DEP_1)
	v_fma_f64 v[189:190], v[4:5], v[10:11], v[189:190]
	v_mul_f64 v[4:5], v[4:5], v[12:13]
	v_fma_f64 v[191:192], v[2:3], v[10:11], -v[4:5]
	s_clause 0x1
	scratch_load_b128 v[2:5], off, off offset:768
	scratch_load_b128 v[10:13], off, off offset:784
	s_waitcnt vmcnt(1) lgkmcnt(0)
	v_mul_f64 v[193:194], v[6:7], v[4:5]
	v_mul_f64 v[4:5], v[8:9], v[4:5]
	s_delay_alu instid0(VALU_DEP_2) | instskip(NEXT) | instid1(VALU_DEP_2)
	v_fma_f64 v[193:194], v[8:9], v[2:3], v[193:194]
	v_fma_f64 v[195:196], v[6:7], v[2:3], -v[4:5]
	ds_load_b128 v[2:5], v1 offset:1792
	ds_load_b128 v[6:9], v1 offset:1808
	s_waitcnt vmcnt(0) lgkmcnt(1)
	v_mul_f64 v[197:198], v[2:3], v[12:13]
	s_delay_alu instid0(VALU_DEP_1) | instskip(SKIP_1) | instid1(VALU_DEP_1)
	v_fma_f64 v[197:198], v[4:5], v[10:11], v[197:198]
	v_mul_f64 v[4:5], v[4:5], v[12:13]
	v_fma_f64 v[199:200], v[2:3], v[10:11], -v[4:5]
	s_clause 0x1
	scratch_load_b128 v[2:5], off, off offset:800
	scratch_load_b128 v[10:13], off, off offset:816
	s_waitcnt vmcnt(1) lgkmcnt(0)
	v_mul_f64 v[201:202], v[6:7], v[4:5]
	v_mul_f64 v[4:5], v[8:9], v[4:5]
	s_delay_alu instid0(VALU_DEP_2) | instskip(NEXT) | instid1(VALU_DEP_2)
	v_fma_f64 v[201:202], v[8:9], v[2:3], v[201:202]
	v_fma_f64 v[203:204], v[6:7], v[2:3], -v[4:5]
	ds_load_b128 v[2:5], v1 offset:1824
	ds_load_b128 v[6:9], v1 offset:1840
	s_waitcnt vmcnt(0) lgkmcnt(1)
	v_mul_f64 v[205:206], v[2:3], v[12:13]
	s_delay_alu instid0(VALU_DEP_1) | instskip(SKIP_1) | instid1(VALU_DEP_1)
	v_fma_f64 v[205:206], v[4:5], v[10:11], v[205:206]
	v_mul_f64 v[4:5], v[4:5], v[12:13]
	v_fma_f64 v[207:208], v[2:3], v[10:11], -v[4:5]
	s_clause 0x1
	scratch_load_b128 v[2:5], off, off offset:832
	scratch_load_b128 v[10:13], off, off offset:848
	s_waitcnt vmcnt(1) lgkmcnt(0)
	v_mul_f64 v[209:210], v[6:7], v[4:5]
	v_mul_f64 v[4:5], v[8:9], v[4:5]
	s_delay_alu instid0(VALU_DEP_2) | instskip(NEXT) | instid1(VALU_DEP_2)
	v_fma_f64 v[209:210], v[8:9], v[2:3], v[209:210]
	v_fma_f64 v[211:212], v[6:7], v[2:3], -v[4:5]
	ds_load_b128 v[2:5], v1 offset:1856
	ds_load_b128 v[6:9], v1 offset:1872
	s_waitcnt vmcnt(0) lgkmcnt(1)
	v_mul_f64 v[213:214], v[2:3], v[12:13]
	s_delay_alu instid0(VALU_DEP_1) | instskip(SKIP_1) | instid1(VALU_DEP_1)
	v_fma_f64 v[213:214], v[4:5], v[10:11], v[213:214]
	v_mul_f64 v[4:5], v[4:5], v[12:13]
	v_fma_f64 v[215:216], v[2:3], v[10:11], -v[4:5]
	s_clause 0x1
	scratch_load_b128 v[2:5], off, off offset:864
	scratch_load_b128 v[10:13], off, off offset:880
	s_waitcnt vmcnt(1) lgkmcnt(0)
	v_mul_f64 v[217:218], v[6:7], v[4:5]
	v_mul_f64 v[4:5], v[8:9], v[4:5]
	s_delay_alu instid0(VALU_DEP_2) | instskip(NEXT) | instid1(VALU_DEP_2)
	v_fma_f64 v[217:218], v[8:9], v[2:3], v[217:218]
	v_fma_f64 v[219:220], v[6:7], v[2:3], -v[4:5]
	ds_load_b128 v[2:5], v1 offset:1888
	ds_load_b128 v[6:9], v1 offset:1904
	s_waitcnt vmcnt(0) lgkmcnt(1)
	v_mul_f64 v[241:242], v[2:3], v[12:13]
	s_delay_alu instid0(VALU_DEP_1) | instskip(SKIP_1) | instid1(VALU_DEP_1)
	v_fma_f64 v[241:242], v[4:5], v[10:11], v[241:242]
	v_mul_f64 v[4:5], v[4:5], v[12:13]
	v_fma_f64 v[243:244], v[2:3], v[10:11], -v[4:5]
	s_clause 0x1
	scratch_load_b128 v[2:5], off, off offset:896
	scratch_load_b128 v[10:13], off, off offset:912
	s_waitcnt vmcnt(1) lgkmcnt(0)
	v_mul_f64 v[245:246], v[6:7], v[4:5]
	v_mul_f64 v[4:5], v[8:9], v[4:5]
	s_delay_alu instid0(VALU_DEP_2) | instskip(NEXT) | instid1(VALU_DEP_2)
	v_fma_f64 v[245:246], v[8:9], v[2:3], v[245:246]
	v_fma_f64 v[247:248], v[6:7], v[2:3], -v[4:5]
	ds_load_b128 v[2:5], v1 offset:1920
	ds_load_b128 v[6:9], v1 offset:1936
	s_waitcnt vmcnt(0) lgkmcnt(1)
	v_mul_f64 v[249:250], v[2:3], v[12:13]
	s_delay_alu instid0(VALU_DEP_1) | instskip(SKIP_1) | instid1(VALU_DEP_1)
	v_fma_f64 v[249:250], v[4:5], v[10:11], v[249:250]
	v_mul_f64 v[4:5], v[4:5], v[12:13]
	v_fma_f64 v[251:252], v[2:3], v[10:11], -v[4:5]
	s_clause 0x1
	scratch_load_b128 v[2:5], off, off offset:928
	scratch_load_b128 v[10:13], off, off offset:944
	s_waitcnt vmcnt(1) lgkmcnt(0)
	v_mul_f64 v[221:222], v[6:7], v[4:5]
	v_mul_f64 v[4:5], v[8:9], v[4:5]
	s_delay_alu instid0(VALU_DEP_2) | instskip(NEXT) | instid1(VALU_DEP_2)
	v_fma_f64 v[221:222], v[8:9], v[2:3], v[221:222]
	v_fma_f64 v[223:224], v[6:7], v[2:3], -v[4:5]
	ds_load_b128 v[2:5], v1 offset:1952
	ds_load_b128 v[6:9], v1 offset:1968
	s_waitcnt vmcnt(0) lgkmcnt(1)
	v_mul_f64 v[225:226], v[2:3], v[12:13]
	s_delay_alu instid0(VALU_DEP_1) | instskip(SKIP_1) | instid1(VALU_DEP_1)
	v_fma_f64 v[225:226], v[4:5], v[10:11], v[225:226]
	v_mul_f64 v[4:5], v[4:5], v[12:13]
	v_fma_f64 v[227:228], v[2:3], v[10:11], -v[4:5]
	v_add_f64 v[2:3], v[22:23], 0
	v_add_f64 v[4:5], v[24:25], 0
	s_delay_alu instid0(VALU_DEP_2) | instskip(NEXT) | instid1(VALU_DEP_2)
	v_add_f64 v[2:3], v[2:3], v[26:27]
	v_add_f64 v[4:5], v[4:5], v[28:29]
	s_delay_alu instid0(VALU_DEP_2) | instskip(NEXT) | instid1(VALU_DEP_2)
	;; [unrolled: 3-line block ×24, first 2 shown]
	v_add_f64 v[2:3], v[2:3], v[215:216]
	v_add_f64 v[10:11], v[4:5], v[213:214]
	s_delay_alu instid0(VALU_DEP_2)
	v_add_f64 v[12:13], v[2:3], v[219:220]
	scratch_load_b128 v[2:5], off, off offset:960
	v_add_f64 v[14:15], v[10:11], v[217:218]
	v_add_f64 v[16:17], v[12:13], v[243:244]
	scratch_load_b128 v[10:13], off, off offset:976
	v_add_f64 v[18:19], v[14:15], v[241:242]
	;; [unrolled: 3-line block ×3, first 2 shown]
	v_add_f64 v[20:21], v[20:21], v[251:252]
	s_delay_alu instid0(VALU_DEP_2) | instskip(NEXT) | instid1(VALU_DEP_2)
	v_add_f64 v[18:19], v[18:19], v[249:250]
	v_add_f64 v[28:29], v[20:21], v[223:224]
	s_delay_alu instid0(VALU_DEP_2)
	v_add_f64 v[34:35], v[18:19], v[221:222]
	ds_load_b128 v[18:21], v1 offset:1984
	ds_load_b128 v[22:25], v1 offset:2000
	s_waitcnt vmcnt(2) lgkmcnt(2)
	v_mul_f64 v[26:27], v[6:7], v[4:5]
	v_mul_f64 v[4:5], v[8:9], v[4:5]
	s_waitcnt vmcnt(1) lgkmcnt(1)
	v_mul_f64 v[36:37], v[18:19], v[12:13]
	s_delay_alu instid0(VALU_DEP_3) | instskip(NEXT) | instid1(VALU_DEP_3)
	v_fma_f64 v[8:9], v[8:9], v[2:3], v[26:27]
	v_fma_f64 v[1:2], v[6:7], v[2:3], -v[4:5]
	v_mul_f64 v[3:4], v[20:21], v[12:13]
	v_add_f64 v[5:6], v[28:29], v[227:228]
	v_add_f64 v[12:13], v[34:35], v[225:226]
	s_waitcnt vmcnt(0) lgkmcnt(0)
	v_mul_f64 v[26:27], v[22:23], v[16:17]
	v_mul_f64 v[16:17], v[24:25], v[16:17]
	v_fma_f64 v[20:21], v[20:21], v[10:11], v[36:37]
	v_fma_f64 v[3:4], v[18:19], v[10:11], -v[3:4]
	v_add_f64 v[1:2], v[5:6], v[1:2]
	v_add_f64 v[5:6], v[12:13], v[8:9]
	v_fma_f64 v[7:8], v[24:25], v[14:15], v[26:27]
	v_fma_f64 v[9:10], v[22:23], v[14:15], -v[16:17]
	s_delay_alu instid0(VALU_DEP_4) | instskip(NEXT) | instid1(VALU_DEP_4)
	v_add_f64 v[1:2], v[1:2], v[3:4]
	v_add_f64 v[3:4], v[5:6], v[20:21]
	s_delay_alu instid0(VALU_DEP_2) | instskip(NEXT) | instid1(VALU_DEP_2)
	v_add_f64 v[1:2], v[1:2], v[9:10]
	v_add_f64 v[3:4], v[3:4], v[7:8]
	s_delay_alu instid0(VALU_DEP_2) | instskip(NEXT) | instid1(VALU_DEP_2)
	v_add_f64 v[1:2], v[30:31], -v[1:2]
	v_add_f64 v[3:4], v[32:33], -v[3:4]
	scratch_store_b128 off, v[1:4], off offset:448
	v_cmpx_lt_u32_e32 27, v176
	s_cbranch_execz .LBB62_349
; %bb.348:
	scratch_load_b32 v1, off, off offset:1172 ; 4-byte Folded Reload
	v_mov_b32_e32 v5, 0
	s_delay_alu instid0(VALU_DEP_1)
	v_mov_b32_e32 v6, v5
	v_mov_b32_e32 v7, v5
	;; [unrolled: 1-line block ×3, first 2 shown]
	s_waitcnt vmcnt(0)
	scratch_load_b128 v[1:4], v1, off
	scratch_store_b128 off, v[5:8], off offset:432
	s_waitcnt vmcnt(0)
	ds_store_b128 v255, v[1:4]
.LBB62_349:
	s_or_b32 exec_lo, exec_lo, s2
	s_waitcnt lgkmcnt(0)
	s_waitcnt_vscnt null, 0x0
	s_barrier
	buffer_gl0_inv
	s_clause 0x4
	scratch_load_b128 v[2:5], off, off offset:448
	scratch_load_b128 v[6:9], off, off offset:464
	;; [unrolled: 1-line block ×5, first 2 shown]
	v_mov_b32_e32 v1, 0
	scratch_load_b128 v[26:29], off, off offset:432
	s_mov_b32 s2, exec_lo
	ds_load_b128 v[22:25], v1 offset:1456
	ds_load_b128 v[30:33], v1 offset:1472
	s_waitcnt vmcnt(5) lgkmcnt(1)
	v_mul_f64 v[34:35], v[24:25], v[4:5]
	v_mul_f64 v[4:5], v[22:23], v[4:5]
	s_waitcnt vmcnt(4) lgkmcnt(0)
	v_mul_f64 v[36:37], v[30:31], v[8:9]
	v_mul_f64 v[8:9], v[32:33], v[8:9]
	s_delay_alu instid0(VALU_DEP_4) | instskip(NEXT) | instid1(VALU_DEP_4)
	v_fma_f64 v[22:23], v[22:23], v[2:3], -v[34:35]
	v_fma_f64 v[24:25], v[24:25], v[2:3], v[4:5]
	ds_load_b128 v[2:5], v1 offset:1488
	v_fma_f64 v[32:33], v[32:33], v[6:7], v[36:37]
	v_fma_f64 v[30:31], v[30:31], v[6:7], -v[8:9]
	ds_load_b128 v[6:9], v1 offset:1504
	s_waitcnt vmcnt(3) lgkmcnt(1)
	v_mul_f64 v[34:35], v[2:3], v[12:13]
	v_mul_f64 v[12:13], v[4:5], v[12:13]
	s_waitcnt vmcnt(2) lgkmcnt(0)
	v_mul_f64 v[36:37], v[6:7], v[16:17]
	s_delay_alu instid0(VALU_DEP_3) | instskip(NEXT) | instid1(VALU_DEP_3)
	v_fma_f64 v[34:35], v[4:5], v[10:11], v[34:35]
	v_fma_f64 v[38:39], v[2:3], v[10:11], -v[12:13]
	v_mul_f64 v[10:11], v[8:9], v[16:17]
	ds_load_b128 v[2:5], v1 offset:1520
	v_fma_f64 v[16:17], v[8:9], v[14:15], v[36:37]
	v_fma_f64 v[14:15], v[6:7], v[14:15], -v[10:11]
	ds_load_b128 v[6:9], v1 offset:1536
	s_waitcnt vmcnt(1) lgkmcnt(1)
	v_mul_f64 v[10:11], v[2:3], v[20:21]
	v_mul_f64 v[12:13], v[4:5], v[20:21]
	s_delay_alu instid0(VALU_DEP_2) | instskip(NEXT) | instid1(VALU_DEP_2)
	v_fma_f64 v[20:21], v[4:5], v[18:19], v[10:11]
	v_fma_f64 v[18:19], v[2:3], v[18:19], -v[12:13]
	s_clause 0x1
	scratch_load_b128 v[2:5], off, off offset:528
	scratch_load_b128 v[10:13], off, off offset:544
	s_waitcnt vmcnt(1) lgkmcnt(0)
	v_mul_f64 v[36:37], v[6:7], v[4:5]
	v_mul_f64 v[4:5], v[8:9], v[4:5]
	s_delay_alu instid0(VALU_DEP_2) | instskip(NEXT) | instid1(VALU_DEP_2)
	v_fma_f64 v[36:37], v[8:9], v[2:3], v[36:37]
	v_fma_f64 v[40:41], v[6:7], v[2:3], -v[4:5]
	ds_load_b128 v[2:5], v1 offset:1552
	ds_load_b128 v[6:9], v1 offset:1568
	s_waitcnt vmcnt(0) lgkmcnt(1)
	v_mul_f64 v[42:43], v[2:3], v[12:13]
	s_delay_alu instid0(VALU_DEP_1) | instskip(SKIP_1) | instid1(VALU_DEP_1)
	v_fma_f64 v[42:43], v[4:5], v[10:11], v[42:43]
	v_mul_f64 v[4:5], v[4:5], v[12:13]
	v_fma_f64 v[44:45], v[2:3], v[10:11], -v[4:5]
	s_clause 0x1
	scratch_load_b128 v[2:5], off, off offset:560
	scratch_load_b128 v[10:13], off, off offset:576
	s_waitcnt vmcnt(1) lgkmcnt(0)
	v_mul_f64 v[46:47], v[6:7], v[4:5]
	v_mul_f64 v[4:5], v[8:9], v[4:5]
	s_delay_alu instid0(VALU_DEP_2) | instskip(NEXT) | instid1(VALU_DEP_2)
	v_fma_f64 v[46:47], v[8:9], v[2:3], v[46:47]
	v_fma_f64 v[48:49], v[6:7], v[2:3], -v[4:5]
	ds_load_b128 v[2:5], v1 offset:1584
	ds_load_b128 v[6:9], v1 offset:1600
	s_waitcnt vmcnt(0) lgkmcnt(1)
	v_mul_f64 v[52:53], v[2:3], v[12:13]
	s_delay_alu instid0(VALU_DEP_1) | instskip(SKIP_1) | instid1(VALU_DEP_1)
	v_fma_f64 v[52:53], v[4:5], v[10:11], v[52:53]
	v_mul_f64 v[4:5], v[4:5], v[12:13]
	;; [unrolled: 17-line block ×13, first 2 shown]
	v_fma_f64 v[251:252], v[2:3], v[10:11], -v[4:5]
	v_add_f64 v[2:3], v[22:23], 0
	v_add_f64 v[4:5], v[24:25], 0
	s_delay_alu instid0(VALU_DEP_2) | instskip(NEXT) | instid1(VALU_DEP_2)
	v_add_f64 v[2:3], v[2:3], v[30:31]
	v_add_f64 v[4:5], v[4:5], v[32:33]
	s_delay_alu instid0(VALU_DEP_2) | instskip(NEXT) | instid1(VALU_DEP_2)
	;; [unrolled: 3-line block ×24, first 2 shown]
	v_add_f64 v[2:3], v[2:3], v[215:216]
	v_add_f64 v[10:11], v[4:5], v[213:214]
	s_delay_alu instid0(VALU_DEP_2)
	v_add_f64 v[12:13], v[2:3], v[219:220]
	scratch_load_b128 v[2:5], off, off offset:944
	v_add_f64 v[14:15], v[10:11], v[217:218]
	v_add_f64 v[16:17], v[12:13], v[223:224]
	scratch_load_b128 v[10:13], off, off offset:960
	v_add_f64 v[18:19], v[14:15], v[221:222]
	v_add_f64 v[20:21], v[16:17], v[227:228]
	scratch_load_b128 v[14:17], off, off offset:976
	v_add_f64 v[22:23], v[18:19], v[225:226]
	v_add_f64 v[24:25], v[20:21], v[243:244]
	scratch_load_b128 v[18:21], off, off offset:992
	v_add_f64 v[22:23], v[22:23], v[241:242]
	v_add_f64 v[24:25], v[24:25], v[247:248]
	s_delay_alu instid0(VALU_DEP_2) | instskip(NEXT) | instid1(VALU_DEP_2)
	v_add_f64 v[22:23], v[22:23], v[245:246]
	v_add_f64 v[24:25], v[24:25], v[251:252]
	s_delay_alu instid0(VALU_DEP_2) | instskip(SKIP_3) | instid1(VALU_DEP_2)
	v_add_f64 v[22:23], v[22:23], v[249:250]
	s_waitcnt vmcnt(3) lgkmcnt(0)
	v_mul_f64 v[30:31], v[6:7], v[4:5]
	v_mul_f64 v[4:5], v[8:9], v[4:5]
	v_fma_f64 v[30:31], v[8:9], v[2:3], v[30:31]
	s_delay_alu instid0(VALU_DEP_2)
	v_fma_f64 v[32:33], v[6:7], v[2:3], -v[4:5]
	ds_load_b128 v[2:5], v1 offset:1968
	ds_load_b128 v[6:9], v1 offset:1984
	s_waitcnt vmcnt(2) lgkmcnt(1)
	v_mul_f64 v[34:35], v[2:3], v[12:13]
	v_mul_f64 v[12:13], v[4:5], v[12:13]
	s_waitcnt vmcnt(1) lgkmcnt(0)
	v_mul_f64 v[36:37], v[6:7], v[16:17]
	v_add_f64 v[22:23], v[22:23], v[30:31]
	s_delay_alu instid0(VALU_DEP_4) | instskip(NEXT) | instid1(VALU_DEP_4)
	v_fma_f64 v[34:35], v[4:5], v[10:11], v[34:35]
	v_fma_f64 v[10:11], v[2:3], v[10:11], -v[12:13]
	v_mul_f64 v[12:13], v[8:9], v[16:17]
	v_add_f64 v[16:17], v[24:25], v[32:33]
	ds_load_b128 v[2:5], v1 offset:2000
	v_fma_f64 v[8:9], v[8:9], v[14:15], v[36:37]
	s_waitcnt vmcnt(0) lgkmcnt(0)
	v_mul_f64 v[24:25], v[2:3], v[20:21]
	v_mul_f64 v[20:21], v[4:5], v[20:21]
	v_fma_f64 v[6:7], v[6:7], v[14:15], -v[12:13]
	v_add_f64 v[10:11], v[16:17], v[10:11]
	v_add_f64 v[12:13], v[22:23], v[34:35]
	v_fma_f64 v[4:5], v[4:5], v[18:19], v[24:25]
	v_fma_f64 v[2:3], v[2:3], v[18:19], -v[20:21]
	s_delay_alu instid0(VALU_DEP_4) | instskip(NEXT) | instid1(VALU_DEP_4)
	v_add_f64 v[6:7], v[10:11], v[6:7]
	v_add_f64 v[8:9], v[12:13], v[8:9]
	s_delay_alu instid0(VALU_DEP_2) | instskip(NEXT) | instid1(VALU_DEP_2)
	v_add_f64 v[2:3], v[6:7], v[2:3]
	v_add_f64 v[4:5], v[8:9], v[4:5]
	s_delay_alu instid0(VALU_DEP_2) | instskip(NEXT) | instid1(VALU_DEP_2)
	v_add_f64 v[2:3], v[26:27], -v[2:3]
	v_add_f64 v[4:5], v[28:29], -v[4:5]
	scratch_store_b128 off, v[2:5], off offset:432
	v_cmpx_lt_u32_e32 26, v176
	s_cbranch_execz .LBB62_351
; %bb.350:
	scratch_load_b32 v2, off, off offset:1180 ; 4-byte Folded Reload
	v_mov_b32_e32 v3, v1
	v_mov_b32_e32 v4, v1
	s_waitcnt vmcnt(0)
	scratch_load_b128 v[5:8], v2, off
	v_mov_b32_e32 v2, v1
	scratch_store_b128 off, v[1:4], off offset:416
	s_waitcnt vmcnt(0)
	ds_store_b128 v255, v[5:8]
.LBB62_351:
	s_or_b32 exec_lo, exec_lo, s2
	s_waitcnt lgkmcnt(0)
	s_waitcnt_vscnt null, 0x0
	s_barrier
	buffer_gl0_inv
	s_clause 0x4
	scratch_load_b128 v[2:5], off, off offset:432
	scratch_load_b128 v[6:9], off, off offset:448
	;; [unrolled: 1-line block ×5, first 2 shown]
	ds_load_b128 v[22:25], v1 offset:1440
	ds_load_b128 v[26:29], v1 offset:1456
	scratch_load_b128 v[30:33], off, off offset:416
	s_mov_b32 s2, exec_lo
	s_waitcnt vmcnt(5) lgkmcnt(1)
	v_mul_f64 v[34:35], v[24:25], v[4:5]
	v_mul_f64 v[4:5], v[22:23], v[4:5]
	s_waitcnt vmcnt(4) lgkmcnt(0)
	v_mul_f64 v[36:37], v[26:27], v[8:9]
	v_mul_f64 v[8:9], v[28:29], v[8:9]
	s_delay_alu instid0(VALU_DEP_4) | instskip(NEXT) | instid1(VALU_DEP_4)
	v_fma_f64 v[22:23], v[22:23], v[2:3], -v[34:35]
	v_fma_f64 v[24:25], v[24:25], v[2:3], v[4:5]
	ds_load_b128 v[2:5], v1 offset:1472
	v_fma_f64 v[28:29], v[28:29], v[6:7], v[36:37]
	v_fma_f64 v[26:27], v[26:27], v[6:7], -v[8:9]
	ds_load_b128 v[6:9], v1 offset:1488
	s_waitcnt vmcnt(3) lgkmcnt(1)
	v_mul_f64 v[34:35], v[2:3], v[12:13]
	v_mul_f64 v[12:13], v[4:5], v[12:13]
	s_waitcnt vmcnt(2) lgkmcnt(0)
	v_mul_f64 v[36:37], v[6:7], v[16:17]
	s_delay_alu instid0(VALU_DEP_3) | instskip(NEXT) | instid1(VALU_DEP_3)
	v_fma_f64 v[34:35], v[4:5], v[10:11], v[34:35]
	v_fma_f64 v[38:39], v[2:3], v[10:11], -v[12:13]
	v_mul_f64 v[10:11], v[8:9], v[16:17]
	ds_load_b128 v[2:5], v1 offset:1504
	v_fma_f64 v[16:17], v[8:9], v[14:15], v[36:37]
	v_fma_f64 v[14:15], v[6:7], v[14:15], -v[10:11]
	ds_load_b128 v[6:9], v1 offset:1520
	s_waitcnt vmcnt(1) lgkmcnt(1)
	v_mul_f64 v[10:11], v[2:3], v[20:21]
	v_mul_f64 v[12:13], v[4:5], v[20:21]
	s_delay_alu instid0(VALU_DEP_2) | instskip(NEXT) | instid1(VALU_DEP_2)
	v_fma_f64 v[20:21], v[4:5], v[18:19], v[10:11]
	v_fma_f64 v[18:19], v[2:3], v[18:19], -v[12:13]
	s_clause 0x1
	scratch_load_b128 v[2:5], off, off offset:512
	scratch_load_b128 v[10:13], off, off offset:528
	s_waitcnt vmcnt(1) lgkmcnt(0)
	v_mul_f64 v[36:37], v[6:7], v[4:5]
	v_mul_f64 v[4:5], v[8:9], v[4:5]
	s_delay_alu instid0(VALU_DEP_2) | instskip(NEXT) | instid1(VALU_DEP_2)
	v_fma_f64 v[36:37], v[8:9], v[2:3], v[36:37]
	v_fma_f64 v[40:41], v[6:7], v[2:3], -v[4:5]
	ds_load_b128 v[2:5], v1 offset:1536
	ds_load_b128 v[6:9], v1 offset:1552
	s_waitcnt vmcnt(0) lgkmcnt(1)
	v_mul_f64 v[42:43], v[2:3], v[12:13]
	s_delay_alu instid0(VALU_DEP_1) | instskip(SKIP_1) | instid1(VALU_DEP_1)
	v_fma_f64 v[42:43], v[4:5], v[10:11], v[42:43]
	v_mul_f64 v[4:5], v[4:5], v[12:13]
	v_fma_f64 v[44:45], v[2:3], v[10:11], -v[4:5]
	s_clause 0x1
	scratch_load_b128 v[2:5], off, off offset:544
	scratch_load_b128 v[10:13], off, off offset:560
	s_waitcnt vmcnt(1) lgkmcnt(0)
	v_mul_f64 v[46:47], v[6:7], v[4:5]
	v_mul_f64 v[4:5], v[8:9], v[4:5]
	s_delay_alu instid0(VALU_DEP_2) | instskip(NEXT) | instid1(VALU_DEP_2)
	v_fma_f64 v[46:47], v[8:9], v[2:3], v[46:47]
	v_fma_f64 v[48:49], v[6:7], v[2:3], -v[4:5]
	ds_load_b128 v[2:5], v1 offset:1568
	ds_load_b128 v[6:9], v1 offset:1584
	s_waitcnt vmcnt(0) lgkmcnt(1)
	v_mul_f64 v[52:53], v[2:3], v[12:13]
	s_delay_alu instid0(VALU_DEP_1) | instskip(SKIP_1) | instid1(VALU_DEP_1)
	v_fma_f64 v[52:53], v[4:5], v[10:11], v[52:53]
	v_mul_f64 v[4:5], v[4:5], v[12:13]
	v_fma_f64 v[54:55], v[2:3], v[10:11], -v[4:5]
	s_clause 0x1
	scratch_load_b128 v[2:5], off, off offset:576
	scratch_load_b128 v[10:13], off, off offset:592
	s_waitcnt vmcnt(1) lgkmcnt(0)
	v_mul_f64 v[56:57], v[6:7], v[4:5]
	v_mul_f64 v[4:5], v[8:9], v[4:5]
	s_delay_alu instid0(VALU_DEP_2) | instskip(NEXT) | instid1(VALU_DEP_2)
	v_fma_f64 v[56:57], v[8:9], v[2:3], v[56:57]
	v_fma_f64 v[58:59], v[6:7], v[2:3], -v[4:5]
	ds_load_b128 v[2:5], v1 offset:1600
	ds_load_b128 v[6:9], v1 offset:1616
	s_waitcnt vmcnt(0) lgkmcnt(1)
	v_mul_f64 v[60:61], v[2:3], v[12:13]
	s_delay_alu instid0(VALU_DEP_1) | instskip(SKIP_1) | instid1(VALU_DEP_1)
	v_fma_f64 v[60:61], v[4:5], v[10:11], v[60:61]
	v_mul_f64 v[4:5], v[4:5], v[12:13]
	v_fma_f64 v[62:63], v[2:3], v[10:11], -v[4:5]
	s_clause 0x1
	scratch_load_b128 v[2:5], off, off offset:608
	scratch_load_b128 v[10:13], off, off offset:624
	s_waitcnt vmcnt(1) lgkmcnt(0)
	v_mul_f64 v[64:65], v[6:7], v[4:5]
	v_mul_f64 v[4:5], v[8:9], v[4:5]
	s_delay_alu instid0(VALU_DEP_2) | instskip(NEXT) | instid1(VALU_DEP_2)
	v_fma_f64 v[64:65], v[8:9], v[2:3], v[64:65]
	v_fma_f64 v[66:67], v[6:7], v[2:3], -v[4:5]
	ds_load_b128 v[2:5], v1 offset:1632
	ds_load_b128 v[6:9], v1 offset:1648
	s_waitcnt vmcnt(0) lgkmcnt(1)
	v_mul_f64 v[68:69], v[2:3], v[12:13]
	s_delay_alu instid0(VALU_DEP_1) | instskip(SKIP_1) | instid1(VALU_DEP_1)
	v_fma_f64 v[68:69], v[4:5], v[10:11], v[68:69]
	v_mul_f64 v[4:5], v[4:5], v[12:13]
	v_fma_f64 v[70:71], v[2:3], v[10:11], -v[4:5]
	s_clause 0x1
	scratch_load_b128 v[2:5], off, off offset:640
	scratch_load_b128 v[10:13], off, off offset:656
	s_waitcnt vmcnt(1) lgkmcnt(0)
	v_mul_f64 v[90:91], v[6:7], v[4:5]
	v_mul_f64 v[4:5], v[8:9], v[4:5]
	s_delay_alu instid0(VALU_DEP_2) | instskip(NEXT) | instid1(VALU_DEP_2)
	v_fma_f64 v[90:91], v[8:9], v[2:3], v[90:91]
	v_fma_f64 v[94:95], v[6:7], v[2:3], -v[4:5]
	ds_load_b128 v[2:5], v1 offset:1664
	ds_load_b128 v[6:9], v1 offset:1680
	s_waitcnt vmcnt(0) lgkmcnt(1)
	v_mul_f64 v[96:97], v[2:3], v[12:13]
	s_delay_alu instid0(VALU_DEP_1) | instskip(SKIP_1) | instid1(VALU_DEP_1)
	v_fma_f64 v[96:97], v[4:5], v[10:11], v[96:97]
	v_mul_f64 v[4:5], v[4:5], v[12:13]
	v_fma_f64 v[98:99], v[2:3], v[10:11], -v[4:5]
	s_clause 0x1
	scratch_load_b128 v[2:5], off, off offset:672
	scratch_load_b128 v[10:13], off, off offset:688
	s_waitcnt vmcnt(1) lgkmcnt(0)
	v_mul_f64 v[177:178], v[6:7], v[4:5]
	v_mul_f64 v[4:5], v[8:9], v[4:5]
	s_delay_alu instid0(VALU_DEP_2) | instskip(NEXT) | instid1(VALU_DEP_2)
	v_fma_f64 v[177:178], v[8:9], v[2:3], v[177:178]
	v_fma_f64 v[179:180], v[6:7], v[2:3], -v[4:5]
	ds_load_b128 v[2:5], v1 offset:1696
	ds_load_b128 v[6:9], v1 offset:1712
	s_waitcnt vmcnt(0) lgkmcnt(1)
	v_mul_f64 v[181:182], v[2:3], v[12:13]
	s_delay_alu instid0(VALU_DEP_1) | instskip(SKIP_1) | instid1(VALU_DEP_1)
	v_fma_f64 v[181:182], v[4:5], v[10:11], v[181:182]
	v_mul_f64 v[4:5], v[4:5], v[12:13]
	v_fma_f64 v[183:184], v[2:3], v[10:11], -v[4:5]
	s_clause 0x1
	scratch_load_b128 v[2:5], off, off offset:704
	scratch_load_b128 v[10:13], off, off offset:720
	s_waitcnt vmcnt(1) lgkmcnt(0)
	v_mul_f64 v[185:186], v[6:7], v[4:5]
	v_mul_f64 v[4:5], v[8:9], v[4:5]
	s_delay_alu instid0(VALU_DEP_2) | instskip(NEXT) | instid1(VALU_DEP_2)
	v_fma_f64 v[185:186], v[8:9], v[2:3], v[185:186]
	v_fma_f64 v[187:188], v[6:7], v[2:3], -v[4:5]
	ds_load_b128 v[2:5], v1 offset:1728
	ds_load_b128 v[6:9], v1 offset:1744
	s_waitcnt vmcnt(0) lgkmcnt(1)
	v_mul_f64 v[189:190], v[2:3], v[12:13]
	s_delay_alu instid0(VALU_DEP_1) | instskip(SKIP_1) | instid1(VALU_DEP_1)
	v_fma_f64 v[189:190], v[4:5], v[10:11], v[189:190]
	v_mul_f64 v[4:5], v[4:5], v[12:13]
	v_fma_f64 v[191:192], v[2:3], v[10:11], -v[4:5]
	s_clause 0x1
	scratch_load_b128 v[2:5], off, off offset:736
	scratch_load_b128 v[10:13], off, off offset:752
	s_waitcnt vmcnt(1) lgkmcnt(0)
	v_mul_f64 v[193:194], v[6:7], v[4:5]
	v_mul_f64 v[4:5], v[8:9], v[4:5]
	s_delay_alu instid0(VALU_DEP_2) | instskip(NEXT) | instid1(VALU_DEP_2)
	v_fma_f64 v[193:194], v[8:9], v[2:3], v[193:194]
	v_fma_f64 v[195:196], v[6:7], v[2:3], -v[4:5]
	ds_load_b128 v[2:5], v1 offset:1760
	ds_load_b128 v[6:9], v1 offset:1776
	s_waitcnt vmcnt(0) lgkmcnt(1)
	v_mul_f64 v[197:198], v[2:3], v[12:13]
	s_delay_alu instid0(VALU_DEP_1) | instskip(SKIP_1) | instid1(VALU_DEP_1)
	v_fma_f64 v[197:198], v[4:5], v[10:11], v[197:198]
	v_mul_f64 v[4:5], v[4:5], v[12:13]
	v_fma_f64 v[199:200], v[2:3], v[10:11], -v[4:5]
	s_clause 0x1
	scratch_load_b128 v[2:5], off, off offset:768
	scratch_load_b128 v[10:13], off, off offset:784
	s_waitcnt vmcnt(1) lgkmcnt(0)
	v_mul_f64 v[201:202], v[6:7], v[4:5]
	v_mul_f64 v[4:5], v[8:9], v[4:5]
	s_delay_alu instid0(VALU_DEP_2) | instskip(NEXT) | instid1(VALU_DEP_2)
	v_fma_f64 v[201:202], v[8:9], v[2:3], v[201:202]
	v_fma_f64 v[203:204], v[6:7], v[2:3], -v[4:5]
	ds_load_b128 v[2:5], v1 offset:1792
	ds_load_b128 v[6:9], v1 offset:1808
	s_waitcnt vmcnt(0) lgkmcnt(1)
	v_mul_f64 v[205:206], v[2:3], v[12:13]
	s_delay_alu instid0(VALU_DEP_1) | instskip(SKIP_1) | instid1(VALU_DEP_1)
	v_fma_f64 v[205:206], v[4:5], v[10:11], v[205:206]
	v_mul_f64 v[4:5], v[4:5], v[12:13]
	v_fma_f64 v[207:208], v[2:3], v[10:11], -v[4:5]
	s_clause 0x1
	scratch_load_b128 v[2:5], off, off offset:800
	scratch_load_b128 v[10:13], off, off offset:816
	s_waitcnt vmcnt(1) lgkmcnt(0)
	v_mul_f64 v[209:210], v[6:7], v[4:5]
	v_mul_f64 v[4:5], v[8:9], v[4:5]
	s_delay_alu instid0(VALU_DEP_2) | instskip(NEXT) | instid1(VALU_DEP_2)
	v_fma_f64 v[209:210], v[8:9], v[2:3], v[209:210]
	v_fma_f64 v[211:212], v[6:7], v[2:3], -v[4:5]
	ds_load_b128 v[2:5], v1 offset:1824
	ds_load_b128 v[6:9], v1 offset:1840
	s_waitcnt vmcnt(0) lgkmcnt(1)
	v_mul_f64 v[213:214], v[2:3], v[12:13]
	s_delay_alu instid0(VALU_DEP_1) | instskip(SKIP_1) | instid1(VALU_DEP_1)
	v_fma_f64 v[213:214], v[4:5], v[10:11], v[213:214]
	v_mul_f64 v[4:5], v[4:5], v[12:13]
	v_fma_f64 v[215:216], v[2:3], v[10:11], -v[4:5]
	s_clause 0x1
	scratch_load_b128 v[2:5], off, off offset:832
	scratch_load_b128 v[10:13], off, off offset:848
	s_waitcnt vmcnt(1) lgkmcnt(0)
	v_mul_f64 v[217:218], v[6:7], v[4:5]
	v_mul_f64 v[4:5], v[8:9], v[4:5]
	s_delay_alu instid0(VALU_DEP_2) | instskip(NEXT) | instid1(VALU_DEP_2)
	v_fma_f64 v[217:218], v[8:9], v[2:3], v[217:218]
	v_fma_f64 v[219:220], v[6:7], v[2:3], -v[4:5]
	ds_load_b128 v[2:5], v1 offset:1856
	ds_load_b128 v[6:9], v1 offset:1872
	s_waitcnt vmcnt(0) lgkmcnt(1)
	v_mul_f64 v[221:222], v[2:3], v[12:13]
	s_delay_alu instid0(VALU_DEP_1) | instskip(SKIP_1) | instid1(VALU_DEP_1)
	v_fma_f64 v[221:222], v[4:5], v[10:11], v[221:222]
	v_mul_f64 v[4:5], v[4:5], v[12:13]
	v_fma_f64 v[223:224], v[2:3], v[10:11], -v[4:5]
	s_clause 0x1
	scratch_load_b128 v[2:5], off, off offset:864
	scratch_load_b128 v[10:13], off, off offset:880
	s_waitcnt vmcnt(1) lgkmcnt(0)
	v_mul_f64 v[225:226], v[6:7], v[4:5]
	v_mul_f64 v[4:5], v[8:9], v[4:5]
	s_delay_alu instid0(VALU_DEP_2) | instskip(NEXT) | instid1(VALU_DEP_2)
	v_fma_f64 v[225:226], v[8:9], v[2:3], v[225:226]
	v_fma_f64 v[227:228], v[6:7], v[2:3], -v[4:5]
	ds_load_b128 v[2:5], v1 offset:1888
	ds_load_b128 v[6:9], v1 offset:1904
	s_waitcnt vmcnt(0) lgkmcnt(1)
	v_mul_f64 v[241:242], v[2:3], v[12:13]
	s_delay_alu instid0(VALU_DEP_1) | instskip(SKIP_1) | instid1(VALU_DEP_1)
	v_fma_f64 v[241:242], v[4:5], v[10:11], v[241:242]
	v_mul_f64 v[4:5], v[4:5], v[12:13]
	v_fma_f64 v[243:244], v[2:3], v[10:11], -v[4:5]
	s_clause 0x1
	scratch_load_b128 v[2:5], off, off offset:896
	scratch_load_b128 v[10:13], off, off offset:912
	s_waitcnt vmcnt(1) lgkmcnt(0)
	v_mul_f64 v[245:246], v[6:7], v[4:5]
	v_mul_f64 v[4:5], v[8:9], v[4:5]
	s_delay_alu instid0(VALU_DEP_2) | instskip(NEXT) | instid1(VALU_DEP_2)
	v_fma_f64 v[245:246], v[8:9], v[2:3], v[245:246]
	v_fma_f64 v[247:248], v[6:7], v[2:3], -v[4:5]
	ds_load_b128 v[2:5], v1 offset:1920
	ds_load_b128 v[6:9], v1 offset:1936
	s_waitcnt vmcnt(0) lgkmcnt(1)
	v_mul_f64 v[249:250], v[2:3], v[12:13]
	s_delay_alu instid0(VALU_DEP_1) | instskip(SKIP_1) | instid1(VALU_DEP_1)
	v_fma_f64 v[249:250], v[4:5], v[10:11], v[249:250]
	v_mul_f64 v[4:5], v[4:5], v[12:13]
	v_fma_f64 v[251:252], v[2:3], v[10:11], -v[4:5]
	s_clause 0x1
	scratch_load_b128 v[2:5], off, off offset:928
	scratch_load_b128 v[10:13], off, off offset:944
	s_waitcnt vmcnt(1) lgkmcnt(0)
	v_mul_f64 v[229:230], v[6:7], v[4:5]
	v_mul_f64 v[4:5], v[8:9], v[4:5]
	s_delay_alu instid0(VALU_DEP_2) | instskip(NEXT) | instid1(VALU_DEP_2)
	v_fma_f64 v[229:230], v[8:9], v[2:3], v[229:230]
	v_fma_f64 v[231:232], v[6:7], v[2:3], -v[4:5]
	ds_load_b128 v[2:5], v1 offset:1952
	ds_load_b128 v[6:9], v1 offset:1968
	s_waitcnt vmcnt(0) lgkmcnt(1)
	v_mul_f64 v[233:234], v[2:3], v[12:13]
	s_delay_alu instid0(VALU_DEP_1) | instskip(SKIP_1) | instid1(VALU_DEP_1)
	v_fma_f64 v[233:234], v[4:5], v[10:11], v[233:234]
	v_mul_f64 v[4:5], v[4:5], v[12:13]
	v_fma_f64 v[235:236], v[2:3], v[10:11], -v[4:5]
	v_add_f64 v[2:3], v[22:23], 0
	v_add_f64 v[4:5], v[24:25], 0
	s_delay_alu instid0(VALU_DEP_2) | instskip(NEXT) | instid1(VALU_DEP_2)
	v_add_f64 v[2:3], v[2:3], v[26:27]
	v_add_f64 v[4:5], v[4:5], v[28:29]
	s_delay_alu instid0(VALU_DEP_2) | instskip(NEXT) | instid1(VALU_DEP_2)
	;; [unrolled: 3-line block ×26, first 2 shown]
	v_add_f64 v[2:3], v[2:3], v[223:224]
	v_add_f64 v[10:11], v[4:5], v[221:222]
	s_delay_alu instid0(VALU_DEP_2)
	v_add_f64 v[12:13], v[2:3], v[227:228]
	scratch_load_b128 v[2:5], off, off offset:960
	v_add_f64 v[14:15], v[10:11], v[225:226]
	v_add_f64 v[16:17], v[12:13], v[243:244]
	scratch_load_b128 v[10:13], off, off offset:976
	v_add_f64 v[18:19], v[14:15], v[241:242]
	;; [unrolled: 3-line block ×3, first 2 shown]
	v_add_f64 v[20:21], v[20:21], v[251:252]
	s_delay_alu instid0(VALU_DEP_2) | instskip(NEXT) | instid1(VALU_DEP_2)
	v_add_f64 v[18:19], v[18:19], v[249:250]
	v_add_f64 v[28:29], v[20:21], v[231:232]
	s_delay_alu instid0(VALU_DEP_2)
	v_add_f64 v[34:35], v[18:19], v[229:230]
	ds_load_b128 v[18:21], v1 offset:1984
	ds_load_b128 v[22:25], v1 offset:2000
	s_waitcnt vmcnt(2) lgkmcnt(2)
	v_mul_f64 v[26:27], v[6:7], v[4:5]
	v_mul_f64 v[4:5], v[8:9], v[4:5]
	s_waitcnt vmcnt(1) lgkmcnt(1)
	v_mul_f64 v[36:37], v[18:19], v[12:13]
	s_delay_alu instid0(VALU_DEP_3) | instskip(NEXT) | instid1(VALU_DEP_3)
	v_fma_f64 v[8:9], v[8:9], v[2:3], v[26:27]
	v_fma_f64 v[1:2], v[6:7], v[2:3], -v[4:5]
	v_mul_f64 v[3:4], v[20:21], v[12:13]
	v_add_f64 v[5:6], v[28:29], v[235:236]
	v_add_f64 v[12:13], v[34:35], v[233:234]
	s_waitcnt vmcnt(0) lgkmcnt(0)
	v_mul_f64 v[26:27], v[22:23], v[16:17]
	v_mul_f64 v[16:17], v[24:25], v[16:17]
	v_fma_f64 v[20:21], v[20:21], v[10:11], v[36:37]
	v_fma_f64 v[3:4], v[18:19], v[10:11], -v[3:4]
	v_add_f64 v[1:2], v[5:6], v[1:2]
	v_add_f64 v[5:6], v[12:13], v[8:9]
	v_fma_f64 v[7:8], v[24:25], v[14:15], v[26:27]
	v_fma_f64 v[9:10], v[22:23], v[14:15], -v[16:17]
	s_delay_alu instid0(VALU_DEP_4) | instskip(NEXT) | instid1(VALU_DEP_4)
	v_add_f64 v[1:2], v[1:2], v[3:4]
	v_add_f64 v[3:4], v[5:6], v[20:21]
	s_delay_alu instid0(VALU_DEP_2) | instskip(NEXT) | instid1(VALU_DEP_2)
	v_add_f64 v[1:2], v[1:2], v[9:10]
	v_add_f64 v[3:4], v[3:4], v[7:8]
	s_delay_alu instid0(VALU_DEP_2) | instskip(NEXT) | instid1(VALU_DEP_2)
	v_add_f64 v[1:2], v[30:31], -v[1:2]
	v_add_f64 v[3:4], v[32:33], -v[3:4]
	scratch_store_b128 off, v[1:4], off offset:416
	v_cmpx_lt_u32_e32 25, v176
	s_cbranch_execz .LBB62_353
; %bb.352:
	scratch_load_b32 v1, off, off offset:1184 ; 4-byte Folded Reload
	v_mov_b32_e32 v5, 0
	s_delay_alu instid0(VALU_DEP_1)
	v_mov_b32_e32 v6, v5
	v_mov_b32_e32 v7, v5
	;; [unrolled: 1-line block ×3, first 2 shown]
	s_waitcnt vmcnt(0)
	scratch_load_b128 v[1:4], v1, off
	scratch_store_b128 off, v[5:8], off offset:400
	s_waitcnt vmcnt(0)
	ds_store_b128 v255, v[1:4]
.LBB62_353:
	s_or_b32 exec_lo, exec_lo, s2
	s_waitcnt lgkmcnt(0)
	s_waitcnt_vscnt null, 0x0
	s_barrier
	buffer_gl0_inv
	s_clause 0x4
	scratch_load_b128 v[2:5], off, off offset:416
	scratch_load_b128 v[6:9], off, off offset:432
	;; [unrolled: 1-line block ×5, first 2 shown]
	v_mov_b32_e32 v1, 0
	scratch_load_b128 v[26:29], off, off offset:400
	s_mov_b32 s2, exec_lo
	ds_load_b128 v[22:25], v1 offset:1424
	ds_load_b128 v[30:33], v1 offset:1440
	s_waitcnt vmcnt(5) lgkmcnt(1)
	v_mul_f64 v[34:35], v[24:25], v[4:5]
	v_mul_f64 v[4:5], v[22:23], v[4:5]
	s_waitcnt vmcnt(4) lgkmcnt(0)
	v_mul_f64 v[36:37], v[30:31], v[8:9]
	v_mul_f64 v[8:9], v[32:33], v[8:9]
	s_delay_alu instid0(VALU_DEP_4) | instskip(NEXT) | instid1(VALU_DEP_4)
	v_fma_f64 v[22:23], v[22:23], v[2:3], -v[34:35]
	v_fma_f64 v[24:25], v[24:25], v[2:3], v[4:5]
	ds_load_b128 v[2:5], v1 offset:1456
	v_fma_f64 v[32:33], v[32:33], v[6:7], v[36:37]
	v_fma_f64 v[30:31], v[30:31], v[6:7], -v[8:9]
	ds_load_b128 v[6:9], v1 offset:1472
	s_waitcnt vmcnt(3) lgkmcnt(1)
	v_mul_f64 v[34:35], v[2:3], v[12:13]
	v_mul_f64 v[12:13], v[4:5], v[12:13]
	s_waitcnt vmcnt(2) lgkmcnt(0)
	v_mul_f64 v[36:37], v[6:7], v[16:17]
	s_delay_alu instid0(VALU_DEP_3) | instskip(NEXT) | instid1(VALU_DEP_3)
	v_fma_f64 v[34:35], v[4:5], v[10:11], v[34:35]
	v_fma_f64 v[38:39], v[2:3], v[10:11], -v[12:13]
	v_mul_f64 v[10:11], v[8:9], v[16:17]
	ds_load_b128 v[2:5], v1 offset:1488
	v_fma_f64 v[16:17], v[8:9], v[14:15], v[36:37]
	v_fma_f64 v[14:15], v[6:7], v[14:15], -v[10:11]
	ds_load_b128 v[6:9], v1 offset:1504
	s_waitcnt vmcnt(1) lgkmcnt(1)
	v_mul_f64 v[10:11], v[2:3], v[20:21]
	v_mul_f64 v[12:13], v[4:5], v[20:21]
	s_delay_alu instid0(VALU_DEP_2) | instskip(NEXT) | instid1(VALU_DEP_2)
	v_fma_f64 v[20:21], v[4:5], v[18:19], v[10:11]
	v_fma_f64 v[18:19], v[2:3], v[18:19], -v[12:13]
	s_clause 0x1
	scratch_load_b128 v[2:5], off, off offset:496
	scratch_load_b128 v[10:13], off, off offset:512
	s_waitcnt vmcnt(1) lgkmcnt(0)
	v_mul_f64 v[36:37], v[6:7], v[4:5]
	v_mul_f64 v[4:5], v[8:9], v[4:5]
	s_delay_alu instid0(VALU_DEP_2) | instskip(NEXT) | instid1(VALU_DEP_2)
	v_fma_f64 v[36:37], v[8:9], v[2:3], v[36:37]
	v_fma_f64 v[40:41], v[6:7], v[2:3], -v[4:5]
	ds_load_b128 v[2:5], v1 offset:1520
	ds_load_b128 v[6:9], v1 offset:1536
	s_waitcnt vmcnt(0) lgkmcnt(1)
	v_mul_f64 v[42:43], v[2:3], v[12:13]
	s_delay_alu instid0(VALU_DEP_1) | instskip(SKIP_1) | instid1(VALU_DEP_1)
	v_fma_f64 v[42:43], v[4:5], v[10:11], v[42:43]
	v_mul_f64 v[4:5], v[4:5], v[12:13]
	v_fma_f64 v[44:45], v[2:3], v[10:11], -v[4:5]
	s_clause 0x1
	scratch_load_b128 v[2:5], off, off offset:528
	scratch_load_b128 v[10:13], off, off offset:544
	s_waitcnt vmcnt(1) lgkmcnt(0)
	v_mul_f64 v[46:47], v[6:7], v[4:5]
	v_mul_f64 v[4:5], v[8:9], v[4:5]
	s_delay_alu instid0(VALU_DEP_2) | instskip(NEXT) | instid1(VALU_DEP_2)
	v_fma_f64 v[46:47], v[8:9], v[2:3], v[46:47]
	v_fma_f64 v[48:49], v[6:7], v[2:3], -v[4:5]
	ds_load_b128 v[2:5], v1 offset:1552
	ds_load_b128 v[6:9], v1 offset:1568
	s_waitcnt vmcnt(0) lgkmcnt(1)
	v_mul_f64 v[52:53], v[2:3], v[12:13]
	s_delay_alu instid0(VALU_DEP_1) | instskip(SKIP_1) | instid1(VALU_DEP_1)
	v_fma_f64 v[52:53], v[4:5], v[10:11], v[52:53]
	v_mul_f64 v[4:5], v[4:5], v[12:13]
	;; [unrolled: 17-line block ×14, first 2 shown]
	v_fma_f64 v[251:252], v[2:3], v[10:11], -v[4:5]
	v_add_f64 v[2:3], v[22:23], 0
	v_add_f64 v[4:5], v[24:25], 0
	s_delay_alu instid0(VALU_DEP_2) | instskip(NEXT) | instid1(VALU_DEP_2)
	v_add_f64 v[2:3], v[2:3], v[30:31]
	v_add_f64 v[4:5], v[4:5], v[32:33]
	s_delay_alu instid0(VALU_DEP_2) | instskip(NEXT) | instid1(VALU_DEP_2)
	;; [unrolled: 3-line block ×26, first 2 shown]
	v_add_f64 v[2:3], v[2:3], v[223:224]
	v_add_f64 v[10:11], v[4:5], v[221:222]
	s_delay_alu instid0(VALU_DEP_2)
	v_add_f64 v[12:13], v[2:3], v[227:228]
	scratch_load_b128 v[2:5], off, off offset:944
	v_add_f64 v[14:15], v[10:11], v[225:226]
	v_add_f64 v[16:17], v[12:13], v[231:232]
	scratch_load_b128 v[10:13], off, off offset:960
	v_add_f64 v[18:19], v[14:15], v[229:230]
	;; [unrolled: 3-line block ×4, first 2 shown]
	v_add_f64 v[24:25], v[24:25], v[247:248]
	s_delay_alu instid0(VALU_DEP_2) | instskip(NEXT) | instid1(VALU_DEP_2)
	v_add_f64 v[22:23], v[22:23], v[245:246]
	v_add_f64 v[24:25], v[24:25], v[251:252]
	s_delay_alu instid0(VALU_DEP_2) | instskip(SKIP_3) | instid1(VALU_DEP_2)
	v_add_f64 v[22:23], v[22:23], v[249:250]
	s_waitcnt vmcnt(3) lgkmcnt(0)
	v_mul_f64 v[30:31], v[6:7], v[4:5]
	v_mul_f64 v[4:5], v[8:9], v[4:5]
	v_fma_f64 v[30:31], v[8:9], v[2:3], v[30:31]
	s_delay_alu instid0(VALU_DEP_2)
	v_fma_f64 v[32:33], v[6:7], v[2:3], -v[4:5]
	ds_load_b128 v[2:5], v1 offset:1968
	ds_load_b128 v[6:9], v1 offset:1984
	s_waitcnt vmcnt(2) lgkmcnt(1)
	v_mul_f64 v[34:35], v[2:3], v[12:13]
	v_mul_f64 v[12:13], v[4:5], v[12:13]
	s_waitcnt vmcnt(1) lgkmcnt(0)
	v_mul_f64 v[36:37], v[6:7], v[16:17]
	v_add_f64 v[22:23], v[22:23], v[30:31]
	s_delay_alu instid0(VALU_DEP_4) | instskip(NEXT) | instid1(VALU_DEP_4)
	v_fma_f64 v[34:35], v[4:5], v[10:11], v[34:35]
	v_fma_f64 v[10:11], v[2:3], v[10:11], -v[12:13]
	v_mul_f64 v[12:13], v[8:9], v[16:17]
	v_add_f64 v[16:17], v[24:25], v[32:33]
	ds_load_b128 v[2:5], v1 offset:2000
	v_fma_f64 v[8:9], v[8:9], v[14:15], v[36:37]
	s_waitcnt vmcnt(0) lgkmcnt(0)
	v_mul_f64 v[24:25], v[2:3], v[20:21]
	v_mul_f64 v[20:21], v[4:5], v[20:21]
	v_fma_f64 v[6:7], v[6:7], v[14:15], -v[12:13]
	v_add_f64 v[10:11], v[16:17], v[10:11]
	v_add_f64 v[12:13], v[22:23], v[34:35]
	v_fma_f64 v[4:5], v[4:5], v[18:19], v[24:25]
	v_fma_f64 v[2:3], v[2:3], v[18:19], -v[20:21]
	s_delay_alu instid0(VALU_DEP_4) | instskip(NEXT) | instid1(VALU_DEP_4)
	v_add_f64 v[6:7], v[10:11], v[6:7]
	v_add_f64 v[8:9], v[12:13], v[8:9]
	s_delay_alu instid0(VALU_DEP_2) | instskip(NEXT) | instid1(VALU_DEP_2)
	v_add_f64 v[2:3], v[6:7], v[2:3]
	v_add_f64 v[4:5], v[8:9], v[4:5]
	s_delay_alu instid0(VALU_DEP_2) | instskip(NEXT) | instid1(VALU_DEP_2)
	v_add_f64 v[2:3], v[26:27], -v[2:3]
	v_add_f64 v[4:5], v[28:29], -v[4:5]
	scratch_store_b128 off, v[2:5], off offset:400
	v_cmpx_lt_u32_e32 24, v176
	s_cbranch_execz .LBB62_355
; %bb.354:
	scratch_load_b32 v2, off, off offset:1188 ; 4-byte Folded Reload
	v_mov_b32_e32 v3, v1
	v_mov_b32_e32 v4, v1
	s_waitcnt vmcnt(0)
	scratch_load_b128 v[5:8], v2, off
	v_mov_b32_e32 v2, v1
	scratch_store_b128 off, v[1:4], off offset:384
	s_waitcnt vmcnt(0)
	ds_store_b128 v255, v[5:8]
.LBB62_355:
	s_or_b32 exec_lo, exec_lo, s2
	s_waitcnt lgkmcnt(0)
	s_waitcnt_vscnt null, 0x0
	s_barrier
	buffer_gl0_inv
	s_clause 0x4
	scratch_load_b128 v[2:5], off, off offset:400
	scratch_load_b128 v[6:9], off, off offset:416
	;; [unrolled: 1-line block ×5, first 2 shown]
	ds_load_b128 v[22:25], v1 offset:1408
	ds_load_b128 v[26:29], v1 offset:1424
	scratch_load_b128 v[30:33], off, off offset:384
	s_mov_b32 s2, exec_lo
	s_waitcnt vmcnt(5) lgkmcnt(1)
	v_mul_f64 v[34:35], v[24:25], v[4:5]
	v_mul_f64 v[4:5], v[22:23], v[4:5]
	s_waitcnt vmcnt(4) lgkmcnt(0)
	v_mul_f64 v[36:37], v[26:27], v[8:9]
	v_mul_f64 v[8:9], v[28:29], v[8:9]
	s_delay_alu instid0(VALU_DEP_4) | instskip(NEXT) | instid1(VALU_DEP_4)
	v_fma_f64 v[22:23], v[22:23], v[2:3], -v[34:35]
	v_fma_f64 v[24:25], v[24:25], v[2:3], v[4:5]
	ds_load_b128 v[2:5], v1 offset:1440
	v_fma_f64 v[28:29], v[28:29], v[6:7], v[36:37]
	v_fma_f64 v[26:27], v[26:27], v[6:7], -v[8:9]
	ds_load_b128 v[6:9], v1 offset:1456
	s_waitcnt vmcnt(3) lgkmcnt(1)
	v_mul_f64 v[34:35], v[2:3], v[12:13]
	v_mul_f64 v[12:13], v[4:5], v[12:13]
	s_waitcnt vmcnt(2) lgkmcnt(0)
	v_mul_f64 v[36:37], v[6:7], v[16:17]
	s_delay_alu instid0(VALU_DEP_3) | instskip(NEXT) | instid1(VALU_DEP_3)
	v_fma_f64 v[34:35], v[4:5], v[10:11], v[34:35]
	v_fma_f64 v[38:39], v[2:3], v[10:11], -v[12:13]
	v_mul_f64 v[10:11], v[8:9], v[16:17]
	ds_load_b128 v[2:5], v1 offset:1472
	v_fma_f64 v[16:17], v[8:9], v[14:15], v[36:37]
	v_fma_f64 v[14:15], v[6:7], v[14:15], -v[10:11]
	ds_load_b128 v[6:9], v1 offset:1488
	s_waitcnt vmcnt(1) lgkmcnt(1)
	v_mul_f64 v[10:11], v[2:3], v[20:21]
	v_mul_f64 v[12:13], v[4:5], v[20:21]
	s_delay_alu instid0(VALU_DEP_2) | instskip(NEXT) | instid1(VALU_DEP_2)
	v_fma_f64 v[20:21], v[4:5], v[18:19], v[10:11]
	v_fma_f64 v[18:19], v[2:3], v[18:19], -v[12:13]
	s_clause 0x1
	scratch_load_b128 v[2:5], off, off offset:480
	scratch_load_b128 v[10:13], off, off offset:496
	s_waitcnt vmcnt(1) lgkmcnt(0)
	v_mul_f64 v[36:37], v[6:7], v[4:5]
	v_mul_f64 v[4:5], v[8:9], v[4:5]
	s_delay_alu instid0(VALU_DEP_2) | instskip(NEXT) | instid1(VALU_DEP_2)
	v_fma_f64 v[36:37], v[8:9], v[2:3], v[36:37]
	v_fma_f64 v[40:41], v[6:7], v[2:3], -v[4:5]
	ds_load_b128 v[2:5], v1 offset:1504
	ds_load_b128 v[6:9], v1 offset:1520
	s_waitcnt vmcnt(0) lgkmcnt(1)
	v_mul_f64 v[42:43], v[2:3], v[12:13]
	s_delay_alu instid0(VALU_DEP_1) | instskip(SKIP_1) | instid1(VALU_DEP_1)
	v_fma_f64 v[42:43], v[4:5], v[10:11], v[42:43]
	v_mul_f64 v[4:5], v[4:5], v[12:13]
	v_fma_f64 v[44:45], v[2:3], v[10:11], -v[4:5]
	s_clause 0x1
	scratch_load_b128 v[2:5], off, off offset:512
	scratch_load_b128 v[10:13], off, off offset:528
	s_waitcnt vmcnt(1) lgkmcnt(0)
	v_mul_f64 v[46:47], v[6:7], v[4:5]
	v_mul_f64 v[4:5], v[8:9], v[4:5]
	s_delay_alu instid0(VALU_DEP_2) | instskip(NEXT) | instid1(VALU_DEP_2)
	v_fma_f64 v[46:47], v[8:9], v[2:3], v[46:47]
	v_fma_f64 v[48:49], v[6:7], v[2:3], -v[4:5]
	ds_load_b128 v[2:5], v1 offset:1536
	ds_load_b128 v[6:9], v1 offset:1552
	s_waitcnt vmcnt(0) lgkmcnt(1)
	v_mul_f64 v[52:53], v[2:3], v[12:13]
	s_delay_alu instid0(VALU_DEP_1) | instskip(SKIP_1) | instid1(VALU_DEP_1)
	v_fma_f64 v[52:53], v[4:5], v[10:11], v[52:53]
	v_mul_f64 v[4:5], v[4:5], v[12:13]
	;; [unrolled: 17-line block ×15, first 2 shown]
	v_fma_f64 v[72:73], v[2:3], v[10:11], -v[4:5]
	v_add_f64 v[2:3], v[22:23], 0
	v_add_f64 v[4:5], v[24:25], 0
	s_delay_alu instid0(VALU_DEP_2) | instskip(NEXT) | instid1(VALU_DEP_2)
	v_add_f64 v[2:3], v[2:3], v[26:27]
	v_add_f64 v[4:5], v[4:5], v[28:29]
	s_delay_alu instid0(VALU_DEP_2) | instskip(NEXT) | instid1(VALU_DEP_2)
	;; [unrolled: 3-line block ×28, first 2 shown]
	v_add_f64 v[2:3], v[2:3], v[231:232]
	v_add_f64 v[10:11], v[4:5], v[229:230]
	s_delay_alu instid0(VALU_DEP_2)
	v_add_f64 v[12:13], v[2:3], v[235:236]
	scratch_load_b128 v[2:5], off, off offset:960
	v_add_f64 v[14:15], v[10:11], v[233:234]
	v_add_f64 v[16:17], v[12:13], v[243:244]
	scratch_load_b128 v[10:13], off, off offset:976
	v_add_f64 v[18:19], v[14:15], v[241:242]
	;; [unrolled: 3-line block ×3, first 2 shown]
	v_add_f64 v[20:21], v[20:21], v[251:252]
	s_delay_alu instid0(VALU_DEP_2) | instskip(NEXT) | instid1(VALU_DEP_2)
	v_add_f64 v[18:19], v[18:19], v[249:250]
	v_add_f64 v[28:29], v[20:21], v[239:240]
	s_delay_alu instid0(VALU_DEP_2)
	v_add_f64 v[34:35], v[18:19], v[237:238]
	ds_load_b128 v[18:21], v1 offset:1984
	ds_load_b128 v[22:25], v1 offset:2000
	s_waitcnt vmcnt(2) lgkmcnt(2)
	v_mul_f64 v[26:27], v[6:7], v[4:5]
	v_mul_f64 v[4:5], v[8:9], v[4:5]
	s_waitcnt vmcnt(1) lgkmcnt(1)
	v_mul_f64 v[36:37], v[18:19], v[12:13]
	s_delay_alu instid0(VALU_DEP_3) | instskip(NEXT) | instid1(VALU_DEP_3)
	v_fma_f64 v[8:9], v[8:9], v[2:3], v[26:27]
	v_fma_f64 v[1:2], v[6:7], v[2:3], -v[4:5]
	v_mul_f64 v[3:4], v[20:21], v[12:13]
	v_add_f64 v[5:6], v[28:29], v[72:73]
	v_add_f64 v[12:13], v[34:35], v[86:87]
	s_waitcnt vmcnt(0) lgkmcnt(0)
	v_mul_f64 v[26:27], v[22:23], v[16:17]
	v_mul_f64 v[16:17], v[24:25], v[16:17]
	v_fma_f64 v[20:21], v[20:21], v[10:11], v[36:37]
	v_fma_f64 v[3:4], v[18:19], v[10:11], -v[3:4]
	v_add_f64 v[1:2], v[5:6], v[1:2]
	v_add_f64 v[5:6], v[12:13], v[8:9]
	v_fma_f64 v[7:8], v[24:25], v[14:15], v[26:27]
	v_fma_f64 v[9:10], v[22:23], v[14:15], -v[16:17]
	s_delay_alu instid0(VALU_DEP_4) | instskip(NEXT) | instid1(VALU_DEP_4)
	v_add_f64 v[1:2], v[1:2], v[3:4]
	v_add_f64 v[3:4], v[5:6], v[20:21]
	s_delay_alu instid0(VALU_DEP_2) | instskip(NEXT) | instid1(VALU_DEP_2)
	v_add_f64 v[1:2], v[1:2], v[9:10]
	v_add_f64 v[3:4], v[3:4], v[7:8]
	s_delay_alu instid0(VALU_DEP_2) | instskip(NEXT) | instid1(VALU_DEP_2)
	v_add_f64 v[1:2], v[30:31], -v[1:2]
	v_add_f64 v[3:4], v[32:33], -v[3:4]
	scratch_store_b128 off, v[1:4], off offset:384
	v_cmpx_lt_u32_e32 23, v176
	s_cbranch_execz .LBB62_357
; %bb.356:
	scratch_load_b32 v1, off, off offset:1192 ; 4-byte Folded Reload
	v_mov_b32_e32 v5, 0
	s_delay_alu instid0(VALU_DEP_1)
	v_mov_b32_e32 v6, v5
	v_mov_b32_e32 v7, v5
	;; [unrolled: 1-line block ×3, first 2 shown]
	s_waitcnt vmcnt(0)
	scratch_load_b128 v[1:4], v1, off
	scratch_store_b128 off, v[5:8], off offset:368
	s_waitcnt vmcnt(0)
	ds_store_b128 v255, v[1:4]
.LBB62_357:
	s_or_b32 exec_lo, exec_lo, s2
	s_waitcnt lgkmcnt(0)
	s_waitcnt_vscnt null, 0x0
	s_barrier
	buffer_gl0_inv
	s_clause 0x4
	scratch_load_b128 v[2:5], off, off offset:384
	scratch_load_b128 v[6:9], off, off offset:400
	;; [unrolled: 1-line block ×5, first 2 shown]
	v_mov_b32_e32 v1, 0
	scratch_load_b128 v[26:29], off, off offset:368
	s_mov_b32 s2, exec_lo
	ds_load_b128 v[22:25], v1 offset:1392
	ds_load_b128 v[30:33], v1 offset:1408
	s_waitcnt vmcnt(5) lgkmcnt(1)
	v_mul_f64 v[34:35], v[24:25], v[4:5]
	v_mul_f64 v[4:5], v[22:23], v[4:5]
	s_waitcnt vmcnt(4) lgkmcnt(0)
	v_mul_f64 v[36:37], v[30:31], v[8:9]
	v_mul_f64 v[8:9], v[32:33], v[8:9]
	s_delay_alu instid0(VALU_DEP_4) | instskip(NEXT) | instid1(VALU_DEP_4)
	v_fma_f64 v[22:23], v[22:23], v[2:3], -v[34:35]
	v_fma_f64 v[24:25], v[24:25], v[2:3], v[4:5]
	ds_load_b128 v[2:5], v1 offset:1424
	v_fma_f64 v[32:33], v[32:33], v[6:7], v[36:37]
	v_fma_f64 v[30:31], v[30:31], v[6:7], -v[8:9]
	ds_load_b128 v[6:9], v1 offset:1440
	s_waitcnt vmcnt(3) lgkmcnt(1)
	v_mul_f64 v[34:35], v[2:3], v[12:13]
	v_mul_f64 v[12:13], v[4:5], v[12:13]
	s_waitcnt vmcnt(2) lgkmcnt(0)
	v_mul_f64 v[36:37], v[6:7], v[16:17]
	s_delay_alu instid0(VALU_DEP_3) | instskip(NEXT) | instid1(VALU_DEP_3)
	v_fma_f64 v[34:35], v[4:5], v[10:11], v[34:35]
	v_fma_f64 v[38:39], v[2:3], v[10:11], -v[12:13]
	v_mul_f64 v[10:11], v[8:9], v[16:17]
	ds_load_b128 v[2:5], v1 offset:1456
	v_fma_f64 v[16:17], v[8:9], v[14:15], v[36:37]
	v_fma_f64 v[14:15], v[6:7], v[14:15], -v[10:11]
	ds_load_b128 v[6:9], v1 offset:1472
	s_waitcnt vmcnt(1) lgkmcnt(1)
	v_mul_f64 v[10:11], v[2:3], v[20:21]
	v_mul_f64 v[12:13], v[4:5], v[20:21]
	s_delay_alu instid0(VALU_DEP_2) | instskip(NEXT) | instid1(VALU_DEP_2)
	v_fma_f64 v[20:21], v[4:5], v[18:19], v[10:11]
	v_fma_f64 v[18:19], v[2:3], v[18:19], -v[12:13]
	s_clause 0x1
	scratch_load_b128 v[2:5], off, off offset:464
	scratch_load_b128 v[10:13], off, off offset:480
	s_waitcnt vmcnt(1) lgkmcnt(0)
	v_mul_f64 v[36:37], v[6:7], v[4:5]
	v_mul_f64 v[4:5], v[8:9], v[4:5]
	s_delay_alu instid0(VALU_DEP_2) | instskip(NEXT) | instid1(VALU_DEP_2)
	v_fma_f64 v[36:37], v[8:9], v[2:3], v[36:37]
	v_fma_f64 v[40:41], v[6:7], v[2:3], -v[4:5]
	ds_load_b128 v[2:5], v1 offset:1488
	ds_load_b128 v[6:9], v1 offset:1504
	s_waitcnt vmcnt(0) lgkmcnt(1)
	v_mul_f64 v[42:43], v[2:3], v[12:13]
	s_delay_alu instid0(VALU_DEP_1) | instskip(SKIP_1) | instid1(VALU_DEP_1)
	v_fma_f64 v[42:43], v[4:5], v[10:11], v[42:43]
	v_mul_f64 v[4:5], v[4:5], v[12:13]
	v_fma_f64 v[44:45], v[2:3], v[10:11], -v[4:5]
	s_clause 0x1
	scratch_load_b128 v[2:5], off, off offset:496
	scratch_load_b128 v[10:13], off, off offset:512
	s_waitcnt vmcnt(1) lgkmcnt(0)
	v_mul_f64 v[46:47], v[6:7], v[4:5]
	v_mul_f64 v[4:5], v[8:9], v[4:5]
	s_delay_alu instid0(VALU_DEP_2) | instskip(NEXT) | instid1(VALU_DEP_2)
	v_fma_f64 v[46:47], v[8:9], v[2:3], v[46:47]
	v_fma_f64 v[48:49], v[6:7], v[2:3], -v[4:5]
	ds_load_b128 v[2:5], v1 offset:1520
	ds_load_b128 v[6:9], v1 offset:1536
	s_waitcnt vmcnt(0) lgkmcnt(1)
	v_mul_f64 v[52:53], v[2:3], v[12:13]
	s_delay_alu instid0(VALU_DEP_1) | instskip(SKIP_1) | instid1(VALU_DEP_1)
	v_fma_f64 v[52:53], v[4:5], v[10:11], v[52:53]
	v_mul_f64 v[4:5], v[4:5], v[12:13]
	v_fma_f64 v[54:55], v[2:3], v[10:11], -v[4:5]
	s_clause 0x1
	scratch_load_b128 v[2:5], off, off offset:528
	scratch_load_b128 v[10:13], off, off offset:544
	s_waitcnt vmcnt(1) lgkmcnt(0)
	v_mul_f64 v[56:57], v[6:7], v[4:5]
	v_mul_f64 v[4:5], v[8:9], v[4:5]
	s_delay_alu instid0(VALU_DEP_2) | instskip(NEXT) | instid1(VALU_DEP_2)
	v_fma_f64 v[56:57], v[8:9], v[2:3], v[56:57]
	v_fma_f64 v[58:59], v[6:7], v[2:3], -v[4:5]
	ds_load_b128 v[2:5], v1 offset:1552
	ds_load_b128 v[6:9], v1 offset:1568
	s_waitcnt vmcnt(0) lgkmcnt(1)
	v_mul_f64 v[60:61], v[2:3], v[12:13]
	s_delay_alu instid0(VALU_DEP_1) | instskip(SKIP_1) | instid1(VALU_DEP_1)
	v_fma_f64 v[60:61], v[4:5], v[10:11], v[60:61]
	v_mul_f64 v[4:5], v[4:5], v[12:13]
	v_fma_f64 v[62:63], v[2:3], v[10:11], -v[4:5]
	s_clause 0x1
	scratch_load_b128 v[2:5], off, off offset:560
	scratch_load_b128 v[10:13], off, off offset:576
	s_waitcnt vmcnt(1) lgkmcnt(0)
	v_mul_f64 v[64:65], v[6:7], v[4:5]
	v_mul_f64 v[4:5], v[8:9], v[4:5]
	s_delay_alu instid0(VALU_DEP_2) | instskip(NEXT) | instid1(VALU_DEP_2)
	v_fma_f64 v[64:65], v[8:9], v[2:3], v[64:65]
	v_fma_f64 v[66:67], v[6:7], v[2:3], -v[4:5]
	ds_load_b128 v[2:5], v1 offset:1584
	ds_load_b128 v[6:9], v1 offset:1600
	s_waitcnt vmcnt(0) lgkmcnt(1)
	v_mul_f64 v[68:69], v[2:3], v[12:13]
	s_delay_alu instid0(VALU_DEP_1) | instskip(SKIP_1) | instid1(VALU_DEP_1)
	v_fma_f64 v[68:69], v[4:5], v[10:11], v[68:69]
	v_mul_f64 v[4:5], v[4:5], v[12:13]
	v_fma_f64 v[70:71], v[2:3], v[10:11], -v[4:5]
	s_clause 0x1
	scratch_load_b128 v[2:5], off, off offset:592
	scratch_load_b128 v[10:13], off, off offset:608
	s_waitcnt vmcnt(1) lgkmcnt(0)
	v_mul_f64 v[72:73], v[6:7], v[4:5]
	v_mul_f64 v[4:5], v[8:9], v[4:5]
	s_delay_alu instid0(VALU_DEP_2) | instskip(NEXT) | instid1(VALU_DEP_2)
	v_fma_f64 v[72:73], v[8:9], v[2:3], v[72:73]
	v_fma_f64 v[86:87], v[6:7], v[2:3], -v[4:5]
	ds_load_b128 v[2:5], v1 offset:1616
	ds_load_b128 v[6:9], v1 offset:1632
	s_waitcnt vmcnt(0) lgkmcnt(1)
	v_mul_f64 v[90:91], v[2:3], v[12:13]
	s_delay_alu instid0(VALU_DEP_1) | instskip(SKIP_1) | instid1(VALU_DEP_1)
	v_fma_f64 v[90:91], v[4:5], v[10:11], v[90:91]
	v_mul_f64 v[4:5], v[4:5], v[12:13]
	v_fma_f64 v[94:95], v[2:3], v[10:11], -v[4:5]
	s_clause 0x1
	scratch_load_b128 v[2:5], off, off offset:624
	scratch_load_b128 v[10:13], off, off offset:640
	s_waitcnt vmcnt(1) lgkmcnt(0)
	v_mul_f64 v[96:97], v[6:7], v[4:5]
	v_mul_f64 v[4:5], v[8:9], v[4:5]
	s_delay_alu instid0(VALU_DEP_2) | instskip(NEXT) | instid1(VALU_DEP_2)
	v_fma_f64 v[96:97], v[8:9], v[2:3], v[96:97]
	v_fma_f64 v[98:99], v[6:7], v[2:3], -v[4:5]
	ds_load_b128 v[2:5], v1 offset:1648
	ds_load_b128 v[6:9], v1 offset:1664
	s_waitcnt vmcnt(0) lgkmcnt(1)
	v_mul_f64 v[177:178], v[2:3], v[12:13]
	s_delay_alu instid0(VALU_DEP_1) | instskip(SKIP_1) | instid1(VALU_DEP_1)
	v_fma_f64 v[177:178], v[4:5], v[10:11], v[177:178]
	v_mul_f64 v[4:5], v[4:5], v[12:13]
	v_fma_f64 v[179:180], v[2:3], v[10:11], -v[4:5]
	s_clause 0x1
	scratch_load_b128 v[2:5], off, off offset:656
	scratch_load_b128 v[10:13], off, off offset:672
	s_waitcnt vmcnt(1) lgkmcnt(0)
	v_mul_f64 v[181:182], v[6:7], v[4:5]
	v_mul_f64 v[4:5], v[8:9], v[4:5]
	s_delay_alu instid0(VALU_DEP_2) | instskip(NEXT) | instid1(VALU_DEP_2)
	v_fma_f64 v[181:182], v[8:9], v[2:3], v[181:182]
	v_fma_f64 v[183:184], v[6:7], v[2:3], -v[4:5]
	ds_load_b128 v[2:5], v1 offset:1680
	ds_load_b128 v[6:9], v1 offset:1696
	s_waitcnt vmcnt(0) lgkmcnt(1)
	v_mul_f64 v[185:186], v[2:3], v[12:13]
	s_delay_alu instid0(VALU_DEP_1) | instskip(SKIP_1) | instid1(VALU_DEP_1)
	v_fma_f64 v[185:186], v[4:5], v[10:11], v[185:186]
	v_mul_f64 v[4:5], v[4:5], v[12:13]
	v_fma_f64 v[187:188], v[2:3], v[10:11], -v[4:5]
	s_clause 0x1
	scratch_load_b128 v[2:5], off, off offset:688
	scratch_load_b128 v[10:13], off, off offset:704
	s_waitcnt vmcnt(1) lgkmcnt(0)
	v_mul_f64 v[189:190], v[6:7], v[4:5]
	v_mul_f64 v[4:5], v[8:9], v[4:5]
	s_delay_alu instid0(VALU_DEP_2) | instskip(NEXT) | instid1(VALU_DEP_2)
	v_fma_f64 v[189:190], v[8:9], v[2:3], v[189:190]
	v_fma_f64 v[191:192], v[6:7], v[2:3], -v[4:5]
	ds_load_b128 v[2:5], v1 offset:1712
	ds_load_b128 v[6:9], v1 offset:1728
	s_waitcnt vmcnt(0) lgkmcnt(1)
	v_mul_f64 v[193:194], v[2:3], v[12:13]
	s_delay_alu instid0(VALU_DEP_1) | instskip(SKIP_1) | instid1(VALU_DEP_1)
	v_fma_f64 v[193:194], v[4:5], v[10:11], v[193:194]
	v_mul_f64 v[4:5], v[4:5], v[12:13]
	v_fma_f64 v[195:196], v[2:3], v[10:11], -v[4:5]
	s_clause 0x1
	scratch_load_b128 v[2:5], off, off offset:720
	scratch_load_b128 v[10:13], off, off offset:736
	s_waitcnt vmcnt(1) lgkmcnt(0)
	v_mul_f64 v[197:198], v[6:7], v[4:5]
	v_mul_f64 v[4:5], v[8:9], v[4:5]
	s_delay_alu instid0(VALU_DEP_2) | instskip(NEXT) | instid1(VALU_DEP_2)
	v_fma_f64 v[197:198], v[8:9], v[2:3], v[197:198]
	v_fma_f64 v[199:200], v[6:7], v[2:3], -v[4:5]
	ds_load_b128 v[2:5], v1 offset:1744
	ds_load_b128 v[6:9], v1 offset:1760
	s_waitcnt vmcnt(0) lgkmcnt(1)
	v_mul_f64 v[201:202], v[2:3], v[12:13]
	s_delay_alu instid0(VALU_DEP_1) | instskip(SKIP_1) | instid1(VALU_DEP_1)
	v_fma_f64 v[201:202], v[4:5], v[10:11], v[201:202]
	v_mul_f64 v[4:5], v[4:5], v[12:13]
	v_fma_f64 v[203:204], v[2:3], v[10:11], -v[4:5]
	s_clause 0x1
	scratch_load_b128 v[2:5], off, off offset:752
	scratch_load_b128 v[10:13], off, off offset:768
	s_waitcnt vmcnt(1) lgkmcnt(0)
	v_mul_f64 v[205:206], v[6:7], v[4:5]
	v_mul_f64 v[4:5], v[8:9], v[4:5]
	s_delay_alu instid0(VALU_DEP_2) | instskip(NEXT) | instid1(VALU_DEP_2)
	v_fma_f64 v[205:206], v[8:9], v[2:3], v[205:206]
	v_fma_f64 v[207:208], v[6:7], v[2:3], -v[4:5]
	ds_load_b128 v[2:5], v1 offset:1776
	ds_load_b128 v[6:9], v1 offset:1792
	s_waitcnt vmcnt(0) lgkmcnt(1)
	v_mul_f64 v[209:210], v[2:3], v[12:13]
	s_delay_alu instid0(VALU_DEP_1) | instskip(SKIP_1) | instid1(VALU_DEP_1)
	v_fma_f64 v[209:210], v[4:5], v[10:11], v[209:210]
	v_mul_f64 v[4:5], v[4:5], v[12:13]
	v_fma_f64 v[211:212], v[2:3], v[10:11], -v[4:5]
	s_clause 0x1
	scratch_load_b128 v[2:5], off, off offset:784
	scratch_load_b128 v[10:13], off, off offset:800
	s_waitcnt vmcnt(1) lgkmcnt(0)
	v_mul_f64 v[213:214], v[6:7], v[4:5]
	v_mul_f64 v[4:5], v[8:9], v[4:5]
	s_delay_alu instid0(VALU_DEP_2) | instskip(NEXT) | instid1(VALU_DEP_2)
	v_fma_f64 v[213:214], v[8:9], v[2:3], v[213:214]
	v_fma_f64 v[215:216], v[6:7], v[2:3], -v[4:5]
	ds_load_b128 v[2:5], v1 offset:1808
	ds_load_b128 v[6:9], v1 offset:1824
	s_waitcnt vmcnt(0) lgkmcnt(1)
	v_mul_f64 v[217:218], v[2:3], v[12:13]
	s_delay_alu instid0(VALU_DEP_1) | instskip(SKIP_1) | instid1(VALU_DEP_1)
	v_fma_f64 v[217:218], v[4:5], v[10:11], v[217:218]
	v_mul_f64 v[4:5], v[4:5], v[12:13]
	v_fma_f64 v[219:220], v[2:3], v[10:11], -v[4:5]
	s_clause 0x1
	scratch_load_b128 v[2:5], off, off offset:816
	scratch_load_b128 v[10:13], off, off offset:832
	s_waitcnt vmcnt(1) lgkmcnt(0)
	v_mul_f64 v[221:222], v[6:7], v[4:5]
	v_mul_f64 v[4:5], v[8:9], v[4:5]
	s_delay_alu instid0(VALU_DEP_2) | instskip(NEXT) | instid1(VALU_DEP_2)
	v_fma_f64 v[221:222], v[8:9], v[2:3], v[221:222]
	v_fma_f64 v[223:224], v[6:7], v[2:3], -v[4:5]
	ds_load_b128 v[2:5], v1 offset:1840
	ds_load_b128 v[6:9], v1 offset:1856
	s_waitcnt vmcnt(0) lgkmcnt(1)
	v_mul_f64 v[225:226], v[2:3], v[12:13]
	s_delay_alu instid0(VALU_DEP_1) | instskip(SKIP_1) | instid1(VALU_DEP_1)
	v_fma_f64 v[225:226], v[4:5], v[10:11], v[225:226]
	v_mul_f64 v[4:5], v[4:5], v[12:13]
	v_fma_f64 v[227:228], v[2:3], v[10:11], -v[4:5]
	s_clause 0x1
	scratch_load_b128 v[2:5], off, off offset:848
	scratch_load_b128 v[10:13], off, off offset:864
	s_waitcnt vmcnt(1) lgkmcnt(0)
	v_mul_f64 v[229:230], v[6:7], v[4:5]
	v_mul_f64 v[4:5], v[8:9], v[4:5]
	s_delay_alu instid0(VALU_DEP_2) | instskip(NEXT) | instid1(VALU_DEP_2)
	v_fma_f64 v[229:230], v[8:9], v[2:3], v[229:230]
	v_fma_f64 v[231:232], v[6:7], v[2:3], -v[4:5]
	ds_load_b128 v[2:5], v1 offset:1872
	ds_load_b128 v[6:9], v1 offset:1888
	s_waitcnt vmcnt(0) lgkmcnt(1)
	v_mul_f64 v[233:234], v[2:3], v[12:13]
	s_delay_alu instid0(VALU_DEP_1) | instskip(SKIP_1) | instid1(VALU_DEP_1)
	v_fma_f64 v[233:234], v[4:5], v[10:11], v[233:234]
	v_mul_f64 v[4:5], v[4:5], v[12:13]
	v_fma_f64 v[235:236], v[2:3], v[10:11], -v[4:5]
	s_clause 0x1
	scratch_load_b128 v[2:5], off, off offset:880
	scratch_load_b128 v[10:13], off, off offset:896
	s_waitcnt vmcnt(1) lgkmcnt(0)
	v_mul_f64 v[237:238], v[6:7], v[4:5]
	v_mul_f64 v[4:5], v[8:9], v[4:5]
	s_delay_alu instid0(VALU_DEP_2) | instskip(NEXT) | instid1(VALU_DEP_2)
	v_fma_f64 v[237:238], v[8:9], v[2:3], v[237:238]
	v_fma_f64 v[239:240], v[6:7], v[2:3], -v[4:5]
	ds_load_b128 v[2:5], v1 offset:1904
	ds_load_b128 v[6:9], v1 offset:1920
	s_waitcnt vmcnt(0) lgkmcnt(1)
	v_mul_f64 v[241:242], v[2:3], v[12:13]
	s_delay_alu instid0(VALU_DEP_1) | instskip(SKIP_1) | instid1(VALU_DEP_1)
	v_fma_f64 v[241:242], v[4:5], v[10:11], v[241:242]
	v_mul_f64 v[4:5], v[4:5], v[12:13]
	v_fma_f64 v[243:244], v[2:3], v[10:11], -v[4:5]
	s_clause 0x1
	scratch_load_b128 v[2:5], off, off offset:912
	scratch_load_b128 v[10:13], off, off offset:928
	s_waitcnt vmcnt(1) lgkmcnt(0)
	v_mul_f64 v[245:246], v[6:7], v[4:5]
	v_mul_f64 v[4:5], v[8:9], v[4:5]
	s_delay_alu instid0(VALU_DEP_2) | instskip(NEXT) | instid1(VALU_DEP_2)
	v_fma_f64 v[245:246], v[8:9], v[2:3], v[245:246]
	v_fma_f64 v[247:248], v[6:7], v[2:3], -v[4:5]
	ds_load_b128 v[2:5], v1 offset:1936
	ds_load_b128 v[6:9], v1 offset:1952
	s_waitcnt vmcnt(0) lgkmcnt(1)
	v_mul_f64 v[249:250], v[2:3], v[12:13]
	s_delay_alu instid0(VALU_DEP_1) | instskip(SKIP_1) | instid1(VALU_DEP_1)
	v_fma_f64 v[249:250], v[4:5], v[10:11], v[249:250]
	v_mul_f64 v[4:5], v[4:5], v[12:13]
	v_fma_f64 v[251:252], v[2:3], v[10:11], -v[4:5]
	v_add_f64 v[2:3], v[22:23], 0
	v_add_f64 v[4:5], v[24:25], 0
	s_delay_alu instid0(VALU_DEP_2) | instskip(NEXT) | instid1(VALU_DEP_2)
	v_add_f64 v[2:3], v[2:3], v[30:31]
	v_add_f64 v[4:5], v[4:5], v[32:33]
	s_delay_alu instid0(VALU_DEP_2) | instskip(NEXT) | instid1(VALU_DEP_2)
	;; [unrolled: 3-line block ×28, first 2 shown]
	v_add_f64 v[2:3], v[2:3], v[227:228]
	v_add_f64 v[10:11], v[4:5], v[225:226]
	s_delay_alu instid0(VALU_DEP_2)
	v_add_f64 v[12:13], v[2:3], v[231:232]
	scratch_load_b128 v[2:5], off, off offset:944
	v_add_f64 v[14:15], v[10:11], v[229:230]
	v_add_f64 v[16:17], v[12:13], v[235:236]
	scratch_load_b128 v[10:13], off, off offset:960
	v_add_f64 v[18:19], v[14:15], v[233:234]
	;; [unrolled: 3-line block ×4, first 2 shown]
	v_add_f64 v[24:25], v[24:25], v[247:248]
	s_delay_alu instid0(VALU_DEP_2) | instskip(NEXT) | instid1(VALU_DEP_2)
	v_add_f64 v[22:23], v[22:23], v[245:246]
	v_add_f64 v[24:25], v[24:25], v[251:252]
	s_delay_alu instid0(VALU_DEP_2) | instskip(SKIP_3) | instid1(VALU_DEP_2)
	v_add_f64 v[22:23], v[22:23], v[249:250]
	s_waitcnt vmcnt(3) lgkmcnt(0)
	v_mul_f64 v[30:31], v[6:7], v[4:5]
	v_mul_f64 v[4:5], v[8:9], v[4:5]
	v_fma_f64 v[30:31], v[8:9], v[2:3], v[30:31]
	s_delay_alu instid0(VALU_DEP_2)
	v_fma_f64 v[32:33], v[6:7], v[2:3], -v[4:5]
	ds_load_b128 v[2:5], v1 offset:1968
	ds_load_b128 v[6:9], v1 offset:1984
	s_waitcnt vmcnt(2) lgkmcnt(1)
	v_mul_f64 v[34:35], v[2:3], v[12:13]
	v_mul_f64 v[12:13], v[4:5], v[12:13]
	s_waitcnt vmcnt(1) lgkmcnt(0)
	v_mul_f64 v[36:37], v[6:7], v[16:17]
	v_add_f64 v[22:23], v[22:23], v[30:31]
	s_delay_alu instid0(VALU_DEP_4) | instskip(NEXT) | instid1(VALU_DEP_4)
	v_fma_f64 v[34:35], v[4:5], v[10:11], v[34:35]
	v_fma_f64 v[10:11], v[2:3], v[10:11], -v[12:13]
	v_mul_f64 v[12:13], v[8:9], v[16:17]
	v_add_f64 v[16:17], v[24:25], v[32:33]
	ds_load_b128 v[2:5], v1 offset:2000
	v_fma_f64 v[8:9], v[8:9], v[14:15], v[36:37]
	s_waitcnt vmcnt(0) lgkmcnt(0)
	v_mul_f64 v[24:25], v[2:3], v[20:21]
	v_mul_f64 v[20:21], v[4:5], v[20:21]
	v_fma_f64 v[6:7], v[6:7], v[14:15], -v[12:13]
	v_add_f64 v[10:11], v[16:17], v[10:11]
	v_add_f64 v[12:13], v[22:23], v[34:35]
	v_fma_f64 v[4:5], v[4:5], v[18:19], v[24:25]
	v_fma_f64 v[2:3], v[2:3], v[18:19], -v[20:21]
	s_delay_alu instid0(VALU_DEP_4) | instskip(NEXT) | instid1(VALU_DEP_4)
	v_add_f64 v[6:7], v[10:11], v[6:7]
	v_add_f64 v[8:9], v[12:13], v[8:9]
	s_delay_alu instid0(VALU_DEP_2) | instskip(NEXT) | instid1(VALU_DEP_2)
	v_add_f64 v[2:3], v[6:7], v[2:3]
	v_add_f64 v[4:5], v[8:9], v[4:5]
	s_delay_alu instid0(VALU_DEP_2) | instskip(NEXT) | instid1(VALU_DEP_2)
	v_add_f64 v[2:3], v[26:27], -v[2:3]
	v_add_f64 v[4:5], v[28:29], -v[4:5]
	scratch_store_b128 off, v[2:5], off offset:368
	v_cmpx_lt_u32_e32 22, v176
	s_cbranch_execz .LBB62_359
; %bb.358:
	scratch_load_b32 v2, off, off offset:1196 ; 4-byte Folded Reload
	v_mov_b32_e32 v3, v1
	v_mov_b32_e32 v4, v1
	s_waitcnt vmcnt(0)
	scratch_load_b128 v[5:8], v2, off
	v_mov_b32_e32 v2, v1
	scratch_store_b128 off, v[1:4], off offset:352
	s_waitcnt vmcnt(0)
	ds_store_b128 v255, v[5:8]
.LBB62_359:
	s_or_b32 exec_lo, exec_lo, s2
	s_waitcnt lgkmcnt(0)
	s_waitcnt_vscnt null, 0x0
	s_barrier
	buffer_gl0_inv
	s_clause 0x4
	scratch_load_b128 v[2:5], off, off offset:368
	scratch_load_b128 v[6:9], off, off offset:384
	;; [unrolled: 1-line block ×5, first 2 shown]
	ds_load_b128 v[22:25], v1 offset:1376
	ds_load_b128 v[26:29], v1 offset:1392
	scratch_load_b128 v[30:33], off, off offset:352
	s_mov_b32 s2, exec_lo
	s_waitcnt vmcnt(5) lgkmcnt(1)
	v_mul_f64 v[34:35], v[24:25], v[4:5]
	v_mul_f64 v[4:5], v[22:23], v[4:5]
	s_waitcnt vmcnt(4) lgkmcnt(0)
	v_mul_f64 v[36:37], v[26:27], v[8:9]
	v_mul_f64 v[8:9], v[28:29], v[8:9]
	s_delay_alu instid0(VALU_DEP_4) | instskip(NEXT) | instid1(VALU_DEP_4)
	v_fma_f64 v[22:23], v[22:23], v[2:3], -v[34:35]
	v_fma_f64 v[24:25], v[24:25], v[2:3], v[4:5]
	ds_load_b128 v[2:5], v1 offset:1408
	v_fma_f64 v[28:29], v[28:29], v[6:7], v[36:37]
	v_fma_f64 v[26:27], v[26:27], v[6:7], -v[8:9]
	ds_load_b128 v[6:9], v1 offset:1424
	s_waitcnt vmcnt(3) lgkmcnt(1)
	v_mul_f64 v[34:35], v[2:3], v[12:13]
	v_mul_f64 v[12:13], v[4:5], v[12:13]
	s_waitcnt vmcnt(2) lgkmcnt(0)
	v_mul_f64 v[36:37], v[6:7], v[16:17]
	s_delay_alu instid0(VALU_DEP_3) | instskip(NEXT) | instid1(VALU_DEP_3)
	v_fma_f64 v[34:35], v[4:5], v[10:11], v[34:35]
	v_fma_f64 v[38:39], v[2:3], v[10:11], -v[12:13]
	v_mul_f64 v[10:11], v[8:9], v[16:17]
	ds_load_b128 v[2:5], v1 offset:1440
	v_fma_f64 v[16:17], v[8:9], v[14:15], v[36:37]
	v_fma_f64 v[14:15], v[6:7], v[14:15], -v[10:11]
	ds_load_b128 v[6:9], v1 offset:1456
	s_waitcnt vmcnt(1) lgkmcnt(1)
	v_mul_f64 v[10:11], v[2:3], v[20:21]
	v_mul_f64 v[12:13], v[4:5], v[20:21]
	s_delay_alu instid0(VALU_DEP_2) | instskip(NEXT) | instid1(VALU_DEP_2)
	v_fma_f64 v[20:21], v[4:5], v[18:19], v[10:11]
	v_fma_f64 v[18:19], v[2:3], v[18:19], -v[12:13]
	s_clause 0x1
	scratch_load_b128 v[2:5], off, off offset:448
	scratch_load_b128 v[10:13], off, off offset:464
	s_waitcnt vmcnt(1) lgkmcnt(0)
	v_mul_f64 v[36:37], v[6:7], v[4:5]
	v_mul_f64 v[4:5], v[8:9], v[4:5]
	s_delay_alu instid0(VALU_DEP_2) | instskip(NEXT) | instid1(VALU_DEP_2)
	v_fma_f64 v[36:37], v[8:9], v[2:3], v[36:37]
	v_fma_f64 v[40:41], v[6:7], v[2:3], -v[4:5]
	ds_load_b128 v[2:5], v1 offset:1472
	ds_load_b128 v[6:9], v1 offset:1488
	s_waitcnt vmcnt(0) lgkmcnt(1)
	v_mul_f64 v[42:43], v[2:3], v[12:13]
	s_delay_alu instid0(VALU_DEP_1) | instskip(SKIP_1) | instid1(VALU_DEP_1)
	v_fma_f64 v[42:43], v[4:5], v[10:11], v[42:43]
	v_mul_f64 v[4:5], v[4:5], v[12:13]
	v_fma_f64 v[44:45], v[2:3], v[10:11], -v[4:5]
	s_clause 0x1
	scratch_load_b128 v[2:5], off, off offset:480
	scratch_load_b128 v[10:13], off, off offset:496
	s_waitcnt vmcnt(1) lgkmcnt(0)
	v_mul_f64 v[46:47], v[6:7], v[4:5]
	v_mul_f64 v[4:5], v[8:9], v[4:5]
	s_delay_alu instid0(VALU_DEP_2) | instskip(NEXT) | instid1(VALU_DEP_2)
	v_fma_f64 v[46:47], v[8:9], v[2:3], v[46:47]
	v_fma_f64 v[48:49], v[6:7], v[2:3], -v[4:5]
	ds_load_b128 v[2:5], v1 offset:1504
	ds_load_b128 v[6:9], v1 offset:1520
	s_waitcnt vmcnt(0) lgkmcnt(1)
	v_mul_f64 v[52:53], v[2:3], v[12:13]
	s_delay_alu instid0(VALU_DEP_1) | instskip(SKIP_1) | instid1(VALU_DEP_1)
	v_fma_f64 v[52:53], v[4:5], v[10:11], v[52:53]
	v_mul_f64 v[4:5], v[4:5], v[12:13]
	;; [unrolled: 17-line block ×16, first 2 shown]
	v_fma_f64 v[80:81], v[2:3], v[10:11], -v[4:5]
	v_add_f64 v[2:3], v[22:23], 0
	v_add_f64 v[4:5], v[24:25], 0
	s_delay_alu instid0(VALU_DEP_2) | instskip(NEXT) | instid1(VALU_DEP_2)
	v_add_f64 v[2:3], v[2:3], v[26:27]
	v_add_f64 v[4:5], v[4:5], v[28:29]
	s_delay_alu instid0(VALU_DEP_2) | instskip(NEXT) | instid1(VALU_DEP_2)
	;; [unrolled: 3-line block ×30, first 2 shown]
	v_add_f64 v[2:3], v[2:3], v[235:236]
	v_add_f64 v[10:11], v[4:5], v[233:234]
	s_delay_alu instid0(VALU_DEP_2)
	v_add_f64 v[12:13], v[2:3], v[239:240]
	scratch_load_b128 v[2:5], off, off offset:960
	v_add_f64 v[14:15], v[10:11], v[237:238]
	v_add_f64 v[16:17], v[12:13], v[243:244]
	scratch_load_b128 v[10:13], off, off offset:976
	v_add_f64 v[18:19], v[14:15], v[241:242]
	;; [unrolled: 3-line block ×3, first 2 shown]
	v_add_f64 v[20:21], v[20:21], v[251:252]
	s_delay_alu instid0(VALU_DEP_2) | instskip(NEXT) | instid1(VALU_DEP_2)
	v_add_f64 v[18:19], v[18:19], v[249:250]
	v_add_f64 v[28:29], v[20:21], v[76:77]
	s_delay_alu instid0(VALU_DEP_2)
	v_add_f64 v[34:35], v[18:19], v[74:75]
	ds_load_b128 v[18:21], v1 offset:1984
	ds_load_b128 v[22:25], v1 offset:2000
	s_waitcnt vmcnt(2) lgkmcnt(2)
	v_mul_f64 v[26:27], v[6:7], v[4:5]
	v_mul_f64 v[4:5], v[8:9], v[4:5]
	s_waitcnt vmcnt(1) lgkmcnt(1)
	v_mul_f64 v[36:37], v[18:19], v[12:13]
	s_delay_alu instid0(VALU_DEP_3) | instskip(NEXT) | instid1(VALU_DEP_3)
	v_fma_f64 v[8:9], v[8:9], v[2:3], v[26:27]
	v_fma_f64 v[1:2], v[6:7], v[2:3], -v[4:5]
	v_mul_f64 v[3:4], v[20:21], v[12:13]
	v_add_f64 v[5:6], v[28:29], v[80:81]
	v_add_f64 v[12:13], v[34:35], v[78:79]
	s_waitcnt vmcnt(0) lgkmcnt(0)
	v_mul_f64 v[26:27], v[22:23], v[16:17]
	v_mul_f64 v[16:17], v[24:25], v[16:17]
	v_fma_f64 v[20:21], v[20:21], v[10:11], v[36:37]
	v_fma_f64 v[3:4], v[18:19], v[10:11], -v[3:4]
	v_add_f64 v[1:2], v[5:6], v[1:2]
	v_add_f64 v[5:6], v[12:13], v[8:9]
	v_fma_f64 v[7:8], v[24:25], v[14:15], v[26:27]
	v_fma_f64 v[9:10], v[22:23], v[14:15], -v[16:17]
	s_delay_alu instid0(VALU_DEP_4) | instskip(NEXT) | instid1(VALU_DEP_4)
	v_add_f64 v[1:2], v[1:2], v[3:4]
	v_add_f64 v[3:4], v[5:6], v[20:21]
	s_delay_alu instid0(VALU_DEP_2) | instskip(NEXT) | instid1(VALU_DEP_2)
	v_add_f64 v[1:2], v[1:2], v[9:10]
	v_add_f64 v[3:4], v[3:4], v[7:8]
	s_delay_alu instid0(VALU_DEP_2) | instskip(NEXT) | instid1(VALU_DEP_2)
	v_add_f64 v[1:2], v[30:31], -v[1:2]
	v_add_f64 v[3:4], v[32:33], -v[3:4]
	scratch_store_b128 off, v[1:4], off offset:352
	v_cmpx_lt_u32_e32 21, v176
	s_cbranch_execz .LBB62_361
; %bb.360:
	scratch_load_b32 v1, off, off offset:1200 ; 4-byte Folded Reload
	v_mov_b32_e32 v5, 0
	s_delay_alu instid0(VALU_DEP_1)
	v_mov_b32_e32 v6, v5
	v_mov_b32_e32 v7, v5
	v_mov_b32_e32 v8, v5
	s_waitcnt vmcnt(0)
	scratch_load_b128 v[1:4], v1, off
	scratch_store_b128 off, v[5:8], off offset:336
	s_waitcnt vmcnt(0)
	ds_store_b128 v255, v[1:4]
.LBB62_361:
	s_or_b32 exec_lo, exec_lo, s2
	s_waitcnt lgkmcnt(0)
	s_waitcnt_vscnt null, 0x0
	s_barrier
	buffer_gl0_inv
	s_clause 0x4
	scratch_load_b128 v[2:5], off, off offset:352
	scratch_load_b128 v[6:9], off, off offset:368
	;; [unrolled: 1-line block ×5, first 2 shown]
	v_mov_b32_e32 v1, 0
	scratch_load_b128 v[26:29], off, off offset:336
	s_mov_b32 s2, exec_lo
	ds_load_b128 v[22:25], v1 offset:1360
	ds_load_b128 v[30:33], v1 offset:1376
	s_waitcnt vmcnt(5) lgkmcnt(1)
	v_mul_f64 v[34:35], v[24:25], v[4:5]
	v_mul_f64 v[4:5], v[22:23], v[4:5]
	s_waitcnt vmcnt(4) lgkmcnt(0)
	v_mul_f64 v[36:37], v[30:31], v[8:9]
	v_mul_f64 v[8:9], v[32:33], v[8:9]
	s_delay_alu instid0(VALU_DEP_4) | instskip(NEXT) | instid1(VALU_DEP_4)
	v_fma_f64 v[22:23], v[22:23], v[2:3], -v[34:35]
	v_fma_f64 v[24:25], v[24:25], v[2:3], v[4:5]
	ds_load_b128 v[2:5], v1 offset:1392
	v_fma_f64 v[32:33], v[32:33], v[6:7], v[36:37]
	v_fma_f64 v[30:31], v[30:31], v[6:7], -v[8:9]
	ds_load_b128 v[6:9], v1 offset:1408
	s_waitcnt vmcnt(3) lgkmcnt(1)
	v_mul_f64 v[34:35], v[2:3], v[12:13]
	v_mul_f64 v[12:13], v[4:5], v[12:13]
	s_waitcnt vmcnt(2) lgkmcnt(0)
	v_mul_f64 v[36:37], v[6:7], v[16:17]
	s_delay_alu instid0(VALU_DEP_3) | instskip(NEXT) | instid1(VALU_DEP_3)
	v_fma_f64 v[34:35], v[4:5], v[10:11], v[34:35]
	v_fma_f64 v[38:39], v[2:3], v[10:11], -v[12:13]
	v_mul_f64 v[10:11], v[8:9], v[16:17]
	ds_load_b128 v[2:5], v1 offset:1424
	v_fma_f64 v[16:17], v[8:9], v[14:15], v[36:37]
	v_fma_f64 v[14:15], v[6:7], v[14:15], -v[10:11]
	ds_load_b128 v[6:9], v1 offset:1440
	s_waitcnt vmcnt(1) lgkmcnt(1)
	v_mul_f64 v[10:11], v[2:3], v[20:21]
	v_mul_f64 v[12:13], v[4:5], v[20:21]
	s_delay_alu instid0(VALU_DEP_2) | instskip(NEXT) | instid1(VALU_DEP_2)
	v_fma_f64 v[20:21], v[4:5], v[18:19], v[10:11]
	v_fma_f64 v[18:19], v[2:3], v[18:19], -v[12:13]
	s_clause 0x1
	scratch_load_b128 v[2:5], off, off offset:432
	scratch_load_b128 v[10:13], off, off offset:448
	s_waitcnt vmcnt(1) lgkmcnt(0)
	v_mul_f64 v[36:37], v[6:7], v[4:5]
	v_mul_f64 v[4:5], v[8:9], v[4:5]
	s_delay_alu instid0(VALU_DEP_2) | instskip(NEXT) | instid1(VALU_DEP_2)
	v_fma_f64 v[36:37], v[8:9], v[2:3], v[36:37]
	v_fma_f64 v[40:41], v[6:7], v[2:3], -v[4:5]
	ds_load_b128 v[2:5], v1 offset:1456
	ds_load_b128 v[6:9], v1 offset:1472
	s_waitcnt vmcnt(0) lgkmcnt(1)
	v_mul_f64 v[42:43], v[2:3], v[12:13]
	s_delay_alu instid0(VALU_DEP_1) | instskip(SKIP_1) | instid1(VALU_DEP_1)
	v_fma_f64 v[42:43], v[4:5], v[10:11], v[42:43]
	v_mul_f64 v[4:5], v[4:5], v[12:13]
	v_fma_f64 v[44:45], v[2:3], v[10:11], -v[4:5]
	s_clause 0x1
	scratch_load_b128 v[2:5], off, off offset:464
	scratch_load_b128 v[10:13], off, off offset:480
	s_waitcnt vmcnt(1) lgkmcnt(0)
	v_mul_f64 v[46:47], v[6:7], v[4:5]
	v_mul_f64 v[4:5], v[8:9], v[4:5]
	s_delay_alu instid0(VALU_DEP_2) | instskip(NEXT) | instid1(VALU_DEP_2)
	v_fma_f64 v[46:47], v[8:9], v[2:3], v[46:47]
	v_fma_f64 v[48:49], v[6:7], v[2:3], -v[4:5]
	ds_load_b128 v[2:5], v1 offset:1488
	ds_load_b128 v[6:9], v1 offset:1504
	s_waitcnt vmcnt(0) lgkmcnt(1)
	v_mul_f64 v[52:53], v[2:3], v[12:13]
	s_delay_alu instid0(VALU_DEP_1) | instskip(SKIP_1) | instid1(VALU_DEP_1)
	v_fma_f64 v[52:53], v[4:5], v[10:11], v[52:53]
	v_mul_f64 v[4:5], v[4:5], v[12:13]
	;; [unrolled: 17-line block ×16, first 2 shown]
	v_fma_f64 v[251:252], v[2:3], v[10:11], -v[4:5]
	v_add_f64 v[2:3], v[22:23], 0
	v_add_f64 v[4:5], v[24:25], 0
	s_delay_alu instid0(VALU_DEP_2) | instskip(NEXT) | instid1(VALU_DEP_2)
	v_add_f64 v[2:3], v[2:3], v[30:31]
	v_add_f64 v[4:5], v[4:5], v[32:33]
	s_delay_alu instid0(VALU_DEP_2) | instskip(NEXT) | instid1(VALU_DEP_2)
	v_add_f64 v[2:3], v[2:3], v[38:39]
	v_add_f64 v[4:5], v[4:5], v[34:35]
	s_delay_alu instid0(VALU_DEP_2) | instskip(NEXT) | instid1(VALU_DEP_2)
	v_add_f64 v[2:3], v[2:3], v[14:15]
	v_add_f64 v[4:5], v[4:5], v[16:17]
	s_delay_alu instid0(VALU_DEP_2) | instskip(NEXT) | instid1(VALU_DEP_2)
	v_add_f64 v[2:3], v[2:3], v[18:19]
	v_add_f64 v[4:5], v[4:5], v[20:21]
	s_delay_alu instid0(VALU_DEP_2) | instskip(NEXT) | instid1(VALU_DEP_2)
	v_add_f64 v[2:3], v[2:3], v[40:41]
	v_add_f64 v[4:5], v[4:5], v[36:37]
	s_delay_alu instid0(VALU_DEP_2) | instskip(NEXT) | instid1(VALU_DEP_2)
	v_add_f64 v[2:3], v[2:3], v[44:45]
	v_add_f64 v[4:5], v[4:5], v[42:43]
	s_delay_alu instid0(VALU_DEP_2) | instskip(NEXT) | instid1(VALU_DEP_2)
	v_add_f64 v[2:3], v[2:3], v[48:49]
	v_add_f64 v[4:5], v[4:5], v[46:47]
	s_delay_alu instid0(VALU_DEP_2) | instskip(NEXT) | instid1(VALU_DEP_2)
	v_add_f64 v[2:3], v[2:3], v[54:55]
	v_add_f64 v[4:5], v[4:5], v[52:53]
	s_delay_alu instid0(VALU_DEP_2) | instskip(NEXT) | instid1(VALU_DEP_2)
	v_add_f64 v[2:3], v[2:3], v[58:59]
	v_add_f64 v[4:5], v[4:5], v[56:57]
	s_delay_alu instid0(VALU_DEP_2) | instskip(NEXT) | instid1(VALU_DEP_2)
	v_add_f64 v[2:3], v[2:3], v[62:63]
	v_add_f64 v[4:5], v[4:5], v[60:61]
	s_delay_alu instid0(VALU_DEP_2) | instskip(NEXT) | instid1(VALU_DEP_2)
	v_add_f64 v[2:3], v[2:3], v[66:67]
	v_add_f64 v[4:5], v[4:5], v[64:65]
	s_delay_alu instid0(VALU_DEP_2) | instskip(NEXT) | instid1(VALU_DEP_2)
	v_add_f64 v[2:3], v[2:3], v[70:71]
	v_add_f64 v[4:5], v[4:5], v[68:69]
	s_delay_alu instid0(VALU_DEP_2) | instskip(NEXT) | instid1(VALU_DEP_2)
	v_add_f64 v[2:3], v[2:3], v[74:75]
	v_add_f64 v[4:5], v[4:5], v[72:73]
	s_delay_alu instid0(VALU_DEP_2) | instskip(NEXT) | instid1(VALU_DEP_2)
	v_add_f64 v[2:3], v[2:3], v[78:79]
	v_add_f64 v[4:5], v[4:5], v[76:77]
	s_delay_alu instid0(VALU_DEP_2) | instskip(NEXT) | instid1(VALU_DEP_2)
	v_add_f64 v[2:3], v[2:3], v[86:87]
	v_add_f64 v[4:5], v[4:5], v[80:81]
	s_delay_alu instid0(VALU_DEP_2) | instskip(NEXT) | instid1(VALU_DEP_2)
	v_add_f64 v[2:3], v[2:3], v[94:95]
	v_add_f64 v[4:5], v[4:5], v[90:91]
	s_delay_alu instid0(VALU_DEP_2) | instskip(NEXT) | instid1(VALU_DEP_2)
	v_add_f64 v[2:3], v[2:3], v[98:99]
	v_add_f64 v[4:5], v[4:5], v[96:97]
	s_delay_alu instid0(VALU_DEP_2) | instskip(NEXT) | instid1(VALU_DEP_2)
	v_add_f64 v[2:3], v[2:3], v[179:180]
	v_add_f64 v[4:5], v[4:5], v[177:178]
	s_delay_alu instid0(VALU_DEP_2) | instskip(NEXT) | instid1(VALU_DEP_2)
	v_add_f64 v[2:3], v[2:3], v[183:184]
	v_add_f64 v[4:5], v[4:5], v[181:182]
	s_delay_alu instid0(VALU_DEP_2) | instskip(NEXT) | instid1(VALU_DEP_2)
	v_add_f64 v[2:3], v[2:3], v[187:188]
	v_add_f64 v[4:5], v[4:5], v[185:186]
	s_delay_alu instid0(VALU_DEP_2) | instskip(NEXT) | instid1(VALU_DEP_2)
	v_add_f64 v[2:3], v[2:3], v[191:192]
	v_add_f64 v[4:5], v[4:5], v[189:190]
	s_delay_alu instid0(VALU_DEP_2) | instskip(NEXT) | instid1(VALU_DEP_2)
	v_add_f64 v[2:3], v[2:3], v[195:196]
	v_add_f64 v[4:5], v[4:5], v[193:194]
	s_delay_alu instid0(VALU_DEP_2) | instskip(NEXT) | instid1(VALU_DEP_2)
	v_add_f64 v[2:3], v[2:3], v[199:200]
	v_add_f64 v[4:5], v[4:5], v[197:198]
	s_delay_alu instid0(VALU_DEP_2) | instskip(NEXT) | instid1(VALU_DEP_2)
	v_add_f64 v[2:3], v[2:3], v[203:204]
	v_add_f64 v[4:5], v[4:5], v[201:202]
	s_delay_alu instid0(VALU_DEP_2) | instskip(NEXT) | instid1(VALU_DEP_2)
	v_add_f64 v[2:3], v[2:3], v[207:208]
	v_add_f64 v[4:5], v[4:5], v[205:206]
	s_delay_alu instid0(VALU_DEP_2) | instskip(NEXT) | instid1(VALU_DEP_2)
	v_add_f64 v[2:3], v[2:3], v[211:212]
	v_add_f64 v[4:5], v[4:5], v[209:210]
	s_delay_alu instid0(VALU_DEP_2) | instskip(NEXT) | instid1(VALU_DEP_2)
	v_add_f64 v[2:3], v[2:3], v[215:216]
	v_add_f64 v[4:5], v[4:5], v[213:214]
	s_delay_alu instid0(VALU_DEP_2) | instskip(NEXT) | instid1(VALU_DEP_2)
	v_add_f64 v[2:3], v[2:3], v[219:220]
	v_add_f64 v[4:5], v[4:5], v[217:218]
	s_delay_alu instid0(VALU_DEP_2) | instskip(NEXT) | instid1(VALU_DEP_2)
	v_add_f64 v[2:3], v[2:3], v[223:224]
	v_add_f64 v[4:5], v[4:5], v[221:222]
	s_delay_alu instid0(VALU_DEP_2) | instskip(NEXT) | instid1(VALU_DEP_2)
	v_add_f64 v[2:3], v[2:3], v[227:228]
	v_add_f64 v[10:11], v[4:5], v[225:226]
	s_delay_alu instid0(VALU_DEP_2)
	v_add_f64 v[12:13], v[2:3], v[231:232]
	scratch_load_b128 v[2:5], off, off offset:944
	v_add_f64 v[14:15], v[10:11], v[229:230]
	v_add_f64 v[16:17], v[12:13], v[235:236]
	scratch_load_b128 v[10:13], off, off offset:960
	v_add_f64 v[18:19], v[14:15], v[233:234]
	;; [unrolled: 3-line block ×4, first 2 shown]
	v_add_f64 v[24:25], v[24:25], v[247:248]
	s_delay_alu instid0(VALU_DEP_2) | instskip(NEXT) | instid1(VALU_DEP_2)
	v_add_f64 v[22:23], v[22:23], v[245:246]
	v_add_f64 v[24:25], v[24:25], v[251:252]
	s_delay_alu instid0(VALU_DEP_2) | instskip(SKIP_3) | instid1(VALU_DEP_2)
	v_add_f64 v[22:23], v[22:23], v[249:250]
	s_waitcnt vmcnt(3) lgkmcnt(0)
	v_mul_f64 v[30:31], v[6:7], v[4:5]
	v_mul_f64 v[4:5], v[8:9], v[4:5]
	v_fma_f64 v[30:31], v[8:9], v[2:3], v[30:31]
	s_delay_alu instid0(VALU_DEP_2)
	v_fma_f64 v[32:33], v[6:7], v[2:3], -v[4:5]
	ds_load_b128 v[2:5], v1 offset:1968
	ds_load_b128 v[6:9], v1 offset:1984
	s_waitcnt vmcnt(2) lgkmcnt(1)
	v_mul_f64 v[34:35], v[2:3], v[12:13]
	v_mul_f64 v[12:13], v[4:5], v[12:13]
	s_waitcnt vmcnt(1) lgkmcnt(0)
	v_mul_f64 v[36:37], v[6:7], v[16:17]
	v_add_f64 v[22:23], v[22:23], v[30:31]
	s_delay_alu instid0(VALU_DEP_4) | instskip(NEXT) | instid1(VALU_DEP_4)
	v_fma_f64 v[34:35], v[4:5], v[10:11], v[34:35]
	v_fma_f64 v[10:11], v[2:3], v[10:11], -v[12:13]
	v_mul_f64 v[12:13], v[8:9], v[16:17]
	v_add_f64 v[16:17], v[24:25], v[32:33]
	ds_load_b128 v[2:5], v1 offset:2000
	v_fma_f64 v[8:9], v[8:9], v[14:15], v[36:37]
	s_waitcnt vmcnt(0) lgkmcnt(0)
	v_mul_f64 v[24:25], v[2:3], v[20:21]
	v_mul_f64 v[20:21], v[4:5], v[20:21]
	v_fma_f64 v[6:7], v[6:7], v[14:15], -v[12:13]
	v_add_f64 v[10:11], v[16:17], v[10:11]
	v_add_f64 v[12:13], v[22:23], v[34:35]
	v_fma_f64 v[4:5], v[4:5], v[18:19], v[24:25]
	v_fma_f64 v[2:3], v[2:3], v[18:19], -v[20:21]
	s_delay_alu instid0(VALU_DEP_4) | instskip(NEXT) | instid1(VALU_DEP_4)
	v_add_f64 v[6:7], v[10:11], v[6:7]
	v_add_f64 v[8:9], v[12:13], v[8:9]
	s_delay_alu instid0(VALU_DEP_2) | instskip(NEXT) | instid1(VALU_DEP_2)
	v_add_f64 v[2:3], v[6:7], v[2:3]
	v_add_f64 v[4:5], v[8:9], v[4:5]
	s_delay_alu instid0(VALU_DEP_2) | instskip(NEXT) | instid1(VALU_DEP_2)
	v_add_f64 v[2:3], v[26:27], -v[2:3]
	v_add_f64 v[4:5], v[28:29], -v[4:5]
	scratch_store_b128 off, v[2:5], off offset:336
	v_cmpx_lt_u32_e32 20, v176
	s_cbranch_execz .LBB62_363
; %bb.362:
	scratch_load_b32 v2, off, off offset:1204 ; 4-byte Folded Reload
	v_mov_b32_e32 v3, v1
	v_mov_b32_e32 v4, v1
	s_waitcnt vmcnt(0)
	scratch_load_b128 v[5:8], v2, off
	v_mov_b32_e32 v2, v1
	scratch_store_b128 off, v[1:4], off offset:320
	s_waitcnt vmcnt(0)
	ds_store_b128 v255, v[5:8]
.LBB62_363:
	s_or_b32 exec_lo, exec_lo, s2
	s_waitcnt lgkmcnt(0)
	s_waitcnt_vscnt null, 0x0
	s_barrier
	buffer_gl0_inv
	s_clause 0x4
	scratch_load_b128 v[2:5], off, off offset:336
	scratch_load_b128 v[6:9], off, off offset:352
	;; [unrolled: 1-line block ×5, first 2 shown]
	ds_load_b128 v[22:25], v1 offset:1344
	ds_load_b128 v[26:29], v1 offset:1360
	scratch_load_b128 v[30:33], off, off offset:320
	s_mov_b32 s2, exec_lo
	s_waitcnt vmcnt(5) lgkmcnt(1)
	v_mul_f64 v[34:35], v[24:25], v[4:5]
	v_mul_f64 v[4:5], v[22:23], v[4:5]
	s_waitcnt vmcnt(4) lgkmcnt(0)
	v_mul_f64 v[36:37], v[26:27], v[8:9]
	v_mul_f64 v[8:9], v[28:29], v[8:9]
	s_delay_alu instid0(VALU_DEP_4) | instskip(NEXT) | instid1(VALU_DEP_4)
	v_fma_f64 v[22:23], v[22:23], v[2:3], -v[34:35]
	v_fma_f64 v[24:25], v[24:25], v[2:3], v[4:5]
	ds_load_b128 v[2:5], v1 offset:1376
	v_fma_f64 v[28:29], v[28:29], v[6:7], v[36:37]
	v_fma_f64 v[26:27], v[26:27], v[6:7], -v[8:9]
	ds_load_b128 v[6:9], v1 offset:1392
	s_waitcnt vmcnt(3) lgkmcnt(1)
	v_mul_f64 v[34:35], v[2:3], v[12:13]
	v_mul_f64 v[12:13], v[4:5], v[12:13]
	s_waitcnt vmcnt(2) lgkmcnt(0)
	v_mul_f64 v[36:37], v[6:7], v[16:17]
	s_delay_alu instid0(VALU_DEP_3) | instskip(NEXT) | instid1(VALU_DEP_3)
	v_fma_f64 v[34:35], v[4:5], v[10:11], v[34:35]
	v_fma_f64 v[38:39], v[2:3], v[10:11], -v[12:13]
	v_mul_f64 v[10:11], v[8:9], v[16:17]
	ds_load_b128 v[2:5], v1 offset:1408
	v_fma_f64 v[16:17], v[8:9], v[14:15], v[36:37]
	v_fma_f64 v[14:15], v[6:7], v[14:15], -v[10:11]
	ds_load_b128 v[6:9], v1 offset:1424
	s_waitcnt vmcnt(1) lgkmcnt(1)
	v_mul_f64 v[10:11], v[2:3], v[20:21]
	v_mul_f64 v[12:13], v[4:5], v[20:21]
	s_delay_alu instid0(VALU_DEP_2) | instskip(NEXT) | instid1(VALU_DEP_2)
	v_fma_f64 v[20:21], v[4:5], v[18:19], v[10:11]
	v_fma_f64 v[18:19], v[2:3], v[18:19], -v[12:13]
	s_clause 0x1
	scratch_load_b128 v[2:5], off, off offset:416
	scratch_load_b128 v[10:13], off, off offset:432
	s_waitcnt vmcnt(1) lgkmcnt(0)
	v_mul_f64 v[36:37], v[6:7], v[4:5]
	v_mul_f64 v[4:5], v[8:9], v[4:5]
	s_delay_alu instid0(VALU_DEP_2) | instskip(NEXT) | instid1(VALU_DEP_2)
	v_fma_f64 v[36:37], v[8:9], v[2:3], v[36:37]
	v_fma_f64 v[40:41], v[6:7], v[2:3], -v[4:5]
	ds_load_b128 v[2:5], v1 offset:1440
	ds_load_b128 v[6:9], v1 offset:1456
	s_waitcnt vmcnt(0) lgkmcnt(1)
	v_mul_f64 v[42:43], v[2:3], v[12:13]
	s_delay_alu instid0(VALU_DEP_1) | instskip(SKIP_1) | instid1(VALU_DEP_1)
	v_fma_f64 v[42:43], v[4:5], v[10:11], v[42:43]
	v_mul_f64 v[4:5], v[4:5], v[12:13]
	v_fma_f64 v[44:45], v[2:3], v[10:11], -v[4:5]
	s_clause 0x1
	scratch_load_b128 v[2:5], off, off offset:448
	scratch_load_b128 v[10:13], off, off offset:464
	s_waitcnt vmcnt(1) lgkmcnt(0)
	v_mul_f64 v[46:47], v[6:7], v[4:5]
	v_mul_f64 v[4:5], v[8:9], v[4:5]
	s_delay_alu instid0(VALU_DEP_2) | instskip(NEXT) | instid1(VALU_DEP_2)
	v_fma_f64 v[46:47], v[8:9], v[2:3], v[46:47]
	v_fma_f64 v[48:49], v[6:7], v[2:3], -v[4:5]
	ds_load_b128 v[2:5], v1 offset:1472
	ds_load_b128 v[6:9], v1 offset:1488
	s_waitcnt vmcnt(0) lgkmcnt(1)
	v_mul_f64 v[52:53], v[2:3], v[12:13]
	s_delay_alu instid0(VALU_DEP_1) | instskip(SKIP_1) | instid1(VALU_DEP_1)
	v_fma_f64 v[52:53], v[4:5], v[10:11], v[52:53]
	v_mul_f64 v[4:5], v[4:5], v[12:13]
	;; [unrolled: 17-line block ×17, first 2 shown]
	v_fma_f64 v[92:93], v[2:3], v[10:11], -v[4:5]
	v_add_f64 v[2:3], v[22:23], 0
	v_add_f64 v[4:5], v[24:25], 0
	s_delay_alu instid0(VALU_DEP_2) | instskip(NEXT) | instid1(VALU_DEP_2)
	v_add_f64 v[2:3], v[2:3], v[26:27]
	v_add_f64 v[4:5], v[4:5], v[28:29]
	s_delay_alu instid0(VALU_DEP_2) | instskip(NEXT) | instid1(VALU_DEP_2)
	;; [unrolled: 3-line block ×32, first 2 shown]
	v_add_f64 v[2:3], v[2:3], v[235:236]
	v_add_f64 v[10:11], v[4:5], v[233:234]
	s_delay_alu instid0(VALU_DEP_2)
	v_add_f64 v[12:13], v[2:3], v[239:240]
	scratch_load_b128 v[2:5], off, off offset:960
	v_add_f64 v[14:15], v[10:11], v[237:238]
	v_add_f64 v[16:17], v[12:13], v[243:244]
	scratch_load_b128 v[10:13], off, off offset:976
	v_add_f64 v[18:19], v[14:15], v[241:242]
	;; [unrolled: 3-line block ×3, first 2 shown]
	v_add_f64 v[20:21], v[20:21], v[251:252]
	s_delay_alu instid0(VALU_DEP_2) | instskip(NEXT) | instid1(VALU_DEP_2)
	v_add_f64 v[18:19], v[18:19], v[249:250]
	v_add_f64 v[28:29], v[20:21], v[84:85]
	s_delay_alu instid0(VALU_DEP_2)
	v_add_f64 v[34:35], v[18:19], v[82:83]
	ds_load_b128 v[18:21], v1 offset:1984
	ds_load_b128 v[22:25], v1 offset:2000
	s_waitcnt vmcnt(2) lgkmcnt(2)
	v_mul_f64 v[26:27], v[6:7], v[4:5]
	v_mul_f64 v[4:5], v[8:9], v[4:5]
	s_waitcnt vmcnt(1) lgkmcnt(1)
	v_mul_f64 v[36:37], v[18:19], v[12:13]
	s_delay_alu instid0(VALU_DEP_3) | instskip(NEXT) | instid1(VALU_DEP_3)
	v_fma_f64 v[8:9], v[8:9], v[2:3], v[26:27]
	v_fma_f64 v[1:2], v[6:7], v[2:3], -v[4:5]
	v_mul_f64 v[3:4], v[20:21], v[12:13]
	v_add_f64 v[5:6], v[28:29], v[92:93]
	v_add_f64 v[12:13], v[34:35], v[88:89]
	s_waitcnt vmcnt(0) lgkmcnt(0)
	v_mul_f64 v[26:27], v[22:23], v[16:17]
	v_mul_f64 v[16:17], v[24:25], v[16:17]
	v_fma_f64 v[20:21], v[20:21], v[10:11], v[36:37]
	v_fma_f64 v[3:4], v[18:19], v[10:11], -v[3:4]
	v_add_f64 v[1:2], v[5:6], v[1:2]
	v_add_f64 v[5:6], v[12:13], v[8:9]
	v_fma_f64 v[7:8], v[24:25], v[14:15], v[26:27]
	v_fma_f64 v[9:10], v[22:23], v[14:15], -v[16:17]
	s_delay_alu instid0(VALU_DEP_4) | instskip(NEXT) | instid1(VALU_DEP_4)
	v_add_f64 v[1:2], v[1:2], v[3:4]
	v_add_f64 v[3:4], v[5:6], v[20:21]
	s_delay_alu instid0(VALU_DEP_2) | instskip(NEXT) | instid1(VALU_DEP_2)
	v_add_f64 v[1:2], v[1:2], v[9:10]
	v_add_f64 v[3:4], v[3:4], v[7:8]
	s_delay_alu instid0(VALU_DEP_2) | instskip(NEXT) | instid1(VALU_DEP_2)
	v_add_f64 v[1:2], v[30:31], -v[1:2]
	v_add_f64 v[3:4], v[32:33], -v[3:4]
	scratch_store_b128 off, v[1:4], off offset:320
	v_cmpx_lt_u32_e32 19, v176
	s_cbranch_execz .LBB62_365
; %bb.364:
	scratch_load_b32 v1, off, off offset:1208 ; 4-byte Folded Reload
	v_mov_b32_e32 v5, 0
	s_delay_alu instid0(VALU_DEP_1)
	v_mov_b32_e32 v6, v5
	v_mov_b32_e32 v7, v5
	v_mov_b32_e32 v8, v5
	s_waitcnt vmcnt(0)
	scratch_load_b128 v[1:4], v1, off
	scratch_store_b128 off, v[5:8], off offset:304
	s_waitcnt vmcnt(0)
	ds_store_b128 v255, v[1:4]
.LBB62_365:
	s_or_b32 exec_lo, exec_lo, s2
	s_waitcnt lgkmcnt(0)
	s_waitcnt_vscnt null, 0x0
	s_barrier
	buffer_gl0_inv
	s_clause 0x4
	scratch_load_b128 v[2:5], off, off offset:320
	scratch_load_b128 v[6:9], off, off offset:336
	;; [unrolled: 1-line block ×5, first 2 shown]
	v_mov_b32_e32 v1, 0
	scratch_load_b128 v[26:29], off, off offset:304
	s_mov_b32 s2, exec_lo
	ds_load_b128 v[22:25], v1 offset:1328
	ds_load_b128 v[30:33], v1 offset:1344
	s_waitcnt vmcnt(5) lgkmcnt(1)
	v_mul_f64 v[34:35], v[24:25], v[4:5]
	v_mul_f64 v[4:5], v[22:23], v[4:5]
	s_waitcnt vmcnt(4) lgkmcnt(0)
	v_mul_f64 v[36:37], v[30:31], v[8:9]
	v_mul_f64 v[8:9], v[32:33], v[8:9]
	s_delay_alu instid0(VALU_DEP_4) | instskip(NEXT) | instid1(VALU_DEP_4)
	v_fma_f64 v[22:23], v[22:23], v[2:3], -v[34:35]
	v_fma_f64 v[24:25], v[24:25], v[2:3], v[4:5]
	ds_load_b128 v[2:5], v1 offset:1360
	v_fma_f64 v[32:33], v[32:33], v[6:7], v[36:37]
	v_fma_f64 v[30:31], v[30:31], v[6:7], -v[8:9]
	ds_load_b128 v[6:9], v1 offset:1376
	s_waitcnt vmcnt(3) lgkmcnt(1)
	v_mul_f64 v[34:35], v[2:3], v[12:13]
	v_mul_f64 v[12:13], v[4:5], v[12:13]
	s_waitcnt vmcnt(2) lgkmcnt(0)
	v_mul_f64 v[36:37], v[6:7], v[16:17]
	s_delay_alu instid0(VALU_DEP_3) | instskip(NEXT) | instid1(VALU_DEP_3)
	v_fma_f64 v[34:35], v[4:5], v[10:11], v[34:35]
	v_fma_f64 v[38:39], v[2:3], v[10:11], -v[12:13]
	v_mul_f64 v[10:11], v[8:9], v[16:17]
	ds_load_b128 v[2:5], v1 offset:1392
	v_fma_f64 v[16:17], v[8:9], v[14:15], v[36:37]
	v_fma_f64 v[14:15], v[6:7], v[14:15], -v[10:11]
	ds_load_b128 v[6:9], v1 offset:1408
	s_waitcnt vmcnt(1) lgkmcnt(1)
	v_mul_f64 v[10:11], v[2:3], v[20:21]
	v_mul_f64 v[12:13], v[4:5], v[20:21]
	s_delay_alu instid0(VALU_DEP_2) | instskip(NEXT) | instid1(VALU_DEP_2)
	v_fma_f64 v[20:21], v[4:5], v[18:19], v[10:11]
	v_fma_f64 v[18:19], v[2:3], v[18:19], -v[12:13]
	s_clause 0x1
	scratch_load_b128 v[2:5], off, off offset:400
	scratch_load_b128 v[10:13], off, off offset:416
	s_waitcnt vmcnt(1) lgkmcnt(0)
	v_mul_f64 v[36:37], v[6:7], v[4:5]
	v_mul_f64 v[4:5], v[8:9], v[4:5]
	s_delay_alu instid0(VALU_DEP_2) | instskip(NEXT) | instid1(VALU_DEP_2)
	v_fma_f64 v[36:37], v[8:9], v[2:3], v[36:37]
	v_fma_f64 v[40:41], v[6:7], v[2:3], -v[4:5]
	ds_load_b128 v[2:5], v1 offset:1424
	ds_load_b128 v[6:9], v1 offset:1440
	s_waitcnt vmcnt(0) lgkmcnt(1)
	v_mul_f64 v[42:43], v[2:3], v[12:13]
	s_delay_alu instid0(VALU_DEP_1) | instskip(SKIP_1) | instid1(VALU_DEP_1)
	v_fma_f64 v[42:43], v[4:5], v[10:11], v[42:43]
	v_mul_f64 v[4:5], v[4:5], v[12:13]
	v_fma_f64 v[44:45], v[2:3], v[10:11], -v[4:5]
	s_clause 0x1
	scratch_load_b128 v[2:5], off, off offset:432
	scratch_load_b128 v[10:13], off, off offset:448
	s_waitcnt vmcnt(1) lgkmcnt(0)
	v_mul_f64 v[46:47], v[6:7], v[4:5]
	v_mul_f64 v[4:5], v[8:9], v[4:5]
	s_delay_alu instid0(VALU_DEP_2) | instskip(NEXT) | instid1(VALU_DEP_2)
	v_fma_f64 v[46:47], v[8:9], v[2:3], v[46:47]
	v_fma_f64 v[48:49], v[6:7], v[2:3], -v[4:5]
	ds_load_b128 v[2:5], v1 offset:1456
	ds_load_b128 v[6:9], v1 offset:1472
	s_waitcnt vmcnt(0) lgkmcnt(1)
	v_mul_f64 v[52:53], v[2:3], v[12:13]
	s_delay_alu instid0(VALU_DEP_1) | instskip(SKIP_1) | instid1(VALU_DEP_1)
	v_fma_f64 v[52:53], v[4:5], v[10:11], v[52:53]
	v_mul_f64 v[4:5], v[4:5], v[12:13]
	;; [unrolled: 17-line block ×17, first 2 shown]
	v_fma_f64 v[251:252], v[2:3], v[10:11], -v[4:5]
	v_add_f64 v[2:3], v[22:23], 0
	v_add_f64 v[4:5], v[24:25], 0
	s_delay_alu instid0(VALU_DEP_2) | instskip(NEXT) | instid1(VALU_DEP_2)
	v_add_f64 v[2:3], v[2:3], v[30:31]
	v_add_f64 v[4:5], v[4:5], v[32:33]
	s_delay_alu instid0(VALU_DEP_2) | instskip(NEXT) | instid1(VALU_DEP_2)
	;; [unrolled: 3-line block ×32, first 2 shown]
	v_add_f64 v[2:3], v[2:3], v[227:228]
	v_add_f64 v[10:11], v[4:5], v[225:226]
	s_delay_alu instid0(VALU_DEP_2)
	v_add_f64 v[12:13], v[2:3], v[231:232]
	scratch_load_b128 v[2:5], off, off offset:944
	v_add_f64 v[14:15], v[10:11], v[229:230]
	v_add_f64 v[16:17], v[12:13], v[235:236]
	scratch_load_b128 v[10:13], off, off offset:960
	v_add_f64 v[18:19], v[14:15], v[233:234]
	;; [unrolled: 3-line block ×4, first 2 shown]
	v_add_f64 v[24:25], v[24:25], v[247:248]
	s_delay_alu instid0(VALU_DEP_2) | instskip(NEXT) | instid1(VALU_DEP_2)
	v_add_f64 v[22:23], v[22:23], v[245:246]
	v_add_f64 v[24:25], v[24:25], v[251:252]
	s_delay_alu instid0(VALU_DEP_2) | instskip(SKIP_3) | instid1(VALU_DEP_2)
	v_add_f64 v[22:23], v[22:23], v[249:250]
	s_waitcnt vmcnt(3) lgkmcnt(0)
	v_mul_f64 v[30:31], v[6:7], v[4:5]
	v_mul_f64 v[4:5], v[8:9], v[4:5]
	v_fma_f64 v[30:31], v[8:9], v[2:3], v[30:31]
	s_delay_alu instid0(VALU_DEP_2)
	v_fma_f64 v[32:33], v[6:7], v[2:3], -v[4:5]
	ds_load_b128 v[2:5], v1 offset:1968
	ds_load_b128 v[6:9], v1 offset:1984
	s_waitcnt vmcnt(2) lgkmcnt(1)
	v_mul_f64 v[34:35], v[2:3], v[12:13]
	v_mul_f64 v[12:13], v[4:5], v[12:13]
	s_waitcnt vmcnt(1) lgkmcnt(0)
	v_mul_f64 v[36:37], v[6:7], v[16:17]
	v_add_f64 v[22:23], v[22:23], v[30:31]
	s_delay_alu instid0(VALU_DEP_4) | instskip(NEXT) | instid1(VALU_DEP_4)
	v_fma_f64 v[34:35], v[4:5], v[10:11], v[34:35]
	v_fma_f64 v[10:11], v[2:3], v[10:11], -v[12:13]
	v_mul_f64 v[12:13], v[8:9], v[16:17]
	v_add_f64 v[16:17], v[24:25], v[32:33]
	ds_load_b128 v[2:5], v1 offset:2000
	v_fma_f64 v[8:9], v[8:9], v[14:15], v[36:37]
	s_waitcnt vmcnt(0) lgkmcnt(0)
	v_mul_f64 v[24:25], v[2:3], v[20:21]
	v_mul_f64 v[20:21], v[4:5], v[20:21]
	v_fma_f64 v[6:7], v[6:7], v[14:15], -v[12:13]
	v_add_f64 v[10:11], v[16:17], v[10:11]
	v_add_f64 v[12:13], v[22:23], v[34:35]
	v_fma_f64 v[4:5], v[4:5], v[18:19], v[24:25]
	v_fma_f64 v[2:3], v[2:3], v[18:19], -v[20:21]
	s_delay_alu instid0(VALU_DEP_4) | instskip(NEXT) | instid1(VALU_DEP_4)
	v_add_f64 v[6:7], v[10:11], v[6:7]
	v_add_f64 v[8:9], v[12:13], v[8:9]
	s_delay_alu instid0(VALU_DEP_2) | instskip(NEXT) | instid1(VALU_DEP_2)
	v_add_f64 v[2:3], v[6:7], v[2:3]
	v_add_f64 v[4:5], v[8:9], v[4:5]
	s_delay_alu instid0(VALU_DEP_2) | instskip(NEXT) | instid1(VALU_DEP_2)
	v_add_f64 v[2:3], v[26:27], -v[2:3]
	v_add_f64 v[4:5], v[28:29], -v[4:5]
	scratch_store_b128 off, v[2:5], off offset:304
	v_cmpx_lt_u32_e32 18, v176
	s_cbranch_execz .LBB62_367
; %bb.366:
	scratch_load_b32 v2, off, off offset:1212 ; 4-byte Folded Reload
	v_mov_b32_e32 v3, v1
	v_mov_b32_e32 v4, v1
	s_waitcnt vmcnt(0)
	scratch_load_b128 v[5:8], v2, off
	v_mov_b32_e32 v2, v1
	scratch_store_b128 off, v[1:4], off offset:288
	s_waitcnt vmcnt(0)
	ds_store_b128 v255, v[5:8]
.LBB62_367:
	s_or_b32 exec_lo, exec_lo, s2
	s_waitcnt lgkmcnt(0)
	s_waitcnt_vscnt null, 0x0
	s_barrier
	buffer_gl0_inv
	s_clause 0x4
	scratch_load_b128 v[2:5], off, off offset:304
	scratch_load_b128 v[6:9], off, off offset:320
	;; [unrolled: 1-line block ×5, first 2 shown]
	ds_load_b128 v[22:25], v1 offset:1312
	ds_load_b128 v[26:29], v1 offset:1328
	scratch_load_b128 v[30:33], off, off offset:288
	s_mov_b32 s2, exec_lo
	s_waitcnt vmcnt(5) lgkmcnt(1)
	v_mul_f64 v[34:35], v[24:25], v[4:5]
	v_mul_f64 v[4:5], v[22:23], v[4:5]
	s_waitcnt vmcnt(4) lgkmcnt(0)
	v_mul_f64 v[36:37], v[26:27], v[8:9]
	v_mul_f64 v[8:9], v[28:29], v[8:9]
	s_delay_alu instid0(VALU_DEP_4) | instskip(NEXT) | instid1(VALU_DEP_4)
	v_fma_f64 v[22:23], v[22:23], v[2:3], -v[34:35]
	v_fma_f64 v[24:25], v[24:25], v[2:3], v[4:5]
	ds_load_b128 v[2:5], v1 offset:1344
	v_fma_f64 v[28:29], v[28:29], v[6:7], v[36:37]
	v_fma_f64 v[26:27], v[26:27], v[6:7], -v[8:9]
	ds_load_b128 v[6:9], v1 offset:1360
	s_waitcnt vmcnt(3) lgkmcnt(1)
	v_mul_f64 v[34:35], v[2:3], v[12:13]
	v_mul_f64 v[12:13], v[4:5], v[12:13]
	s_waitcnt vmcnt(2) lgkmcnt(0)
	v_mul_f64 v[36:37], v[6:7], v[16:17]
	s_delay_alu instid0(VALU_DEP_3) | instskip(NEXT) | instid1(VALU_DEP_3)
	v_fma_f64 v[34:35], v[4:5], v[10:11], v[34:35]
	v_fma_f64 v[38:39], v[2:3], v[10:11], -v[12:13]
	v_mul_f64 v[10:11], v[8:9], v[16:17]
	ds_load_b128 v[2:5], v1 offset:1376
	v_fma_f64 v[16:17], v[8:9], v[14:15], v[36:37]
	v_fma_f64 v[14:15], v[6:7], v[14:15], -v[10:11]
	ds_load_b128 v[6:9], v1 offset:1392
	s_waitcnt vmcnt(1) lgkmcnt(1)
	v_mul_f64 v[10:11], v[2:3], v[20:21]
	v_mul_f64 v[12:13], v[4:5], v[20:21]
	s_delay_alu instid0(VALU_DEP_2) | instskip(NEXT) | instid1(VALU_DEP_2)
	v_fma_f64 v[20:21], v[4:5], v[18:19], v[10:11]
	v_fma_f64 v[18:19], v[2:3], v[18:19], -v[12:13]
	s_clause 0x1
	scratch_load_b128 v[2:5], off, off offset:384
	scratch_load_b128 v[10:13], off, off offset:400
	s_waitcnt vmcnt(1) lgkmcnt(0)
	v_mul_f64 v[36:37], v[6:7], v[4:5]
	v_mul_f64 v[4:5], v[8:9], v[4:5]
	s_delay_alu instid0(VALU_DEP_2) | instskip(NEXT) | instid1(VALU_DEP_2)
	v_fma_f64 v[36:37], v[8:9], v[2:3], v[36:37]
	v_fma_f64 v[40:41], v[6:7], v[2:3], -v[4:5]
	ds_load_b128 v[2:5], v1 offset:1408
	ds_load_b128 v[6:9], v1 offset:1424
	s_waitcnt vmcnt(0) lgkmcnt(1)
	v_mul_f64 v[42:43], v[2:3], v[12:13]
	s_delay_alu instid0(VALU_DEP_1) | instskip(SKIP_1) | instid1(VALU_DEP_1)
	v_fma_f64 v[42:43], v[4:5], v[10:11], v[42:43]
	v_mul_f64 v[4:5], v[4:5], v[12:13]
	v_fma_f64 v[44:45], v[2:3], v[10:11], -v[4:5]
	s_clause 0x1
	scratch_load_b128 v[2:5], off, off offset:416
	scratch_load_b128 v[10:13], off, off offset:432
	s_waitcnt vmcnt(1) lgkmcnt(0)
	v_mul_f64 v[46:47], v[6:7], v[4:5]
	v_mul_f64 v[4:5], v[8:9], v[4:5]
	s_delay_alu instid0(VALU_DEP_2) | instskip(NEXT) | instid1(VALU_DEP_2)
	v_fma_f64 v[46:47], v[8:9], v[2:3], v[46:47]
	v_fma_f64 v[48:49], v[6:7], v[2:3], -v[4:5]
	ds_load_b128 v[2:5], v1 offset:1440
	ds_load_b128 v[6:9], v1 offset:1456
	s_waitcnt vmcnt(0) lgkmcnt(1)
	v_mul_f64 v[52:53], v[2:3], v[12:13]
	s_delay_alu instid0(VALU_DEP_1) | instskip(SKIP_1) | instid1(VALU_DEP_1)
	v_fma_f64 v[52:53], v[4:5], v[10:11], v[52:53]
	v_mul_f64 v[4:5], v[4:5], v[12:13]
	;; [unrolled: 17-line block ×18, first 2 shown]
	v_fma_f64 v[104:105], v[2:3], v[10:11], -v[4:5]
	v_add_f64 v[2:3], v[22:23], 0
	v_add_f64 v[4:5], v[24:25], 0
	s_delay_alu instid0(VALU_DEP_2) | instskip(NEXT) | instid1(VALU_DEP_2)
	v_add_f64 v[2:3], v[2:3], v[26:27]
	v_add_f64 v[4:5], v[4:5], v[28:29]
	s_delay_alu instid0(VALU_DEP_2) | instskip(NEXT) | instid1(VALU_DEP_2)
	;; [unrolled: 3-line block ×34, first 2 shown]
	v_add_f64 v[2:3], v[2:3], v[235:236]
	v_add_f64 v[10:11], v[4:5], v[233:234]
	s_delay_alu instid0(VALU_DEP_2)
	v_add_f64 v[12:13], v[2:3], v[239:240]
	scratch_load_b128 v[2:5], off, off offset:960
	v_add_f64 v[14:15], v[10:11], v[237:238]
	v_add_f64 v[16:17], v[12:13], v[243:244]
	scratch_load_b128 v[10:13], off, off offset:976
	v_add_f64 v[18:19], v[14:15], v[241:242]
	;; [unrolled: 3-line block ×3, first 2 shown]
	v_add_f64 v[20:21], v[20:21], v[251:252]
	s_delay_alu instid0(VALU_DEP_2) | instskip(NEXT) | instid1(VALU_DEP_2)
	v_add_f64 v[18:19], v[18:19], v[249:250]
	v_add_f64 v[28:29], v[20:21], v[100:101]
	s_delay_alu instid0(VALU_DEP_2)
	v_add_f64 v[34:35], v[18:19], v[253:254]
	ds_load_b128 v[18:21], v1 offset:1984
	ds_load_b128 v[22:25], v1 offset:2000
	s_waitcnt vmcnt(2) lgkmcnt(2)
	v_mul_f64 v[26:27], v[6:7], v[4:5]
	v_mul_f64 v[4:5], v[8:9], v[4:5]
	s_waitcnt vmcnt(1) lgkmcnt(1)
	v_mul_f64 v[36:37], v[18:19], v[12:13]
	s_delay_alu instid0(VALU_DEP_3) | instskip(NEXT) | instid1(VALU_DEP_3)
	v_fma_f64 v[8:9], v[8:9], v[2:3], v[26:27]
	v_fma_f64 v[1:2], v[6:7], v[2:3], -v[4:5]
	v_mul_f64 v[3:4], v[20:21], v[12:13]
	v_add_f64 v[5:6], v[28:29], v[104:105]
	v_add_f64 v[12:13], v[34:35], v[102:103]
	s_waitcnt vmcnt(0) lgkmcnt(0)
	v_mul_f64 v[26:27], v[22:23], v[16:17]
	v_mul_f64 v[16:17], v[24:25], v[16:17]
	v_fma_f64 v[20:21], v[20:21], v[10:11], v[36:37]
	v_fma_f64 v[3:4], v[18:19], v[10:11], -v[3:4]
	v_add_f64 v[1:2], v[5:6], v[1:2]
	v_add_f64 v[5:6], v[12:13], v[8:9]
	v_fma_f64 v[7:8], v[24:25], v[14:15], v[26:27]
	v_fma_f64 v[9:10], v[22:23], v[14:15], -v[16:17]
	s_delay_alu instid0(VALU_DEP_4) | instskip(NEXT) | instid1(VALU_DEP_4)
	v_add_f64 v[1:2], v[1:2], v[3:4]
	v_add_f64 v[3:4], v[5:6], v[20:21]
	s_delay_alu instid0(VALU_DEP_2) | instskip(NEXT) | instid1(VALU_DEP_2)
	v_add_f64 v[1:2], v[1:2], v[9:10]
	v_add_f64 v[3:4], v[3:4], v[7:8]
	s_delay_alu instid0(VALU_DEP_2) | instskip(NEXT) | instid1(VALU_DEP_2)
	v_add_f64 v[1:2], v[30:31], -v[1:2]
	v_add_f64 v[3:4], v[32:33], -v[3:4]
	scratch_store_b128 off, v[1:4], off offset:288
	v_cmpx_lt_u32_e32 17, v176
	s_cbranch_execz .LBB62_369
; %bb.368:
	scratch_load_b32 v1, off, off offset:1216 ; 4-byte Folded Reload
	v_mov_b32_e32 v5, 0
	s_delay_alu instid0(VALU_DEP_1)
	v_mov_b32_e32 v6, v5
	v_mov_b32_e32 v7, v5
	;; [unrolled: 1-line block ×3, first 2 shown]
	s_waitcnt vmcnt(0)
	scratch_load_b128 v[1:4], v1, off
	scratch_store_b128 off, v[5:8], off offset:272
	s_waitcnt vmcnt(0)
	ds_store_b128 v255, v[1:4]
.LBB62_369:
	s_or_b32 exec_lo, exec_lo, s2
	s_waitcnt lgkmcnt(0)
	s_waitcnt_vscnt null, 0x0
	s_barrier
	buffer_gl0_inv
	s_clause 0x4
	scratch_load_b128 v[2:5], off, off offset:288
	scratch_load_b128 v[6:9], off, off offset:304
	scratch_load_b128 v[10:13], off, off offset:320
	scratch_load_b128 v[14:17], off, off offset:336
	scratch_load_b128 v[18:21], off, off offset:352
	v_mov_b32_e32 v1, 0
	scratch_load_b128 v[26:29], off, off offset:272
	s_mov_b32 s2, exec_lo
	ds_load_b128 v[22:25], v1 offset:1296
	ds_load_b128 v[30:33], v1 offset:1312
	s_waitcnt vmcnt(5) lgkmcnt(1)
	v_mul_f64 v[34:35], v[24:25], v[4:5]
	v_mul_f64 v[4:5], v[22:23], v[4:5]
	s_waitcnt vmcnt(4) lgkmcnt(0)
	v_mul_f64 v[36:37], v[30:31], v[8:9]
	v_mul_f64 v[8:9], v[32:33], v[8:9]
	s_delay_alu instid0(VALU_DEP_4) | instskip(NEXT) | instid1(VALU_DEP_4)
	v_fma_f64 v[22:23], v[22:23], v[2:3], -v[34:35]
	v_fma_f64 v[24:25], v[24:25], v[2:3], v[4:5]
	ds_load_b128 v[2:5], v1 offset:1328
	v_fma_f64 v[32:33], v[32:33], v[6:7], v[36:37]
	v_fma_f64 v[30:31], v[30:31], v[6:7], -v[8:9]
	ds_load_b128 v[6:9], v1 offset:1344
	s_waitcnt vmcnt(3) lgkmcnt(1)
	v_mul_f64 v[34:35], v[2:3], v[12:13]
	v_mul_f64 v[12:13], v[4:5], v[12:13]
	s_waitcnt vmcnt(2) lgkmcnt(0)
	v_mul_f64 v[36:37], v[6:7], v[16:17]
	s_delay_alu instid0(VALU_DEP_3) | instskip(NEXT) | instid1(VALU_DEP_3)
	v_fma_f64 v[34:35], v[4:5], v[10:11], v[34:35]
	v_fma_f64 v[38:39], v[2:3], v[10:11], -v[12:13]
	v_mul_f64 v[10:11], v[8:9], v[16:17]
	ds_load_b128 v[2:5], v1 offset:1360
	v_fma_f64 v[16:17], v[8:9], v[14:15], v[36:37]
	v_fma_f64 v[14:15], v[6:7], v[14:15], -v[10:11]
	ds_load_b128 v[6:9], v1 offset:1376
	s_waitcnt vmcnt(1) lgkmcnt(1)
	v_mul_f64 v[10:11], v[2:3], v[20:21]
	v_mul_f64 v[12:13], v[4:5], v[20:21]
	s_delay_alu instid0(VALU_DEP_2) | instskip(NEXT) | instid1(VALU_DEP_2)
	v_fma_f64 v[20:21], v[4:5], v[18:19], v[10:11]
	v_fma_f64 v[18:19], v[2:3], v[18:19], -v[12:13]
	s_clause 0x1
	scratch_load_b128 v[2:5], off, off offset:368
	scratch_load_b128 v[10:13], off, off offset:384
	s_waitcnt vmcnt(1) lgkmcnt(0)
	v_mul_f64 v[36:37], v[6:7], v[4:5]
	v_mul_f64 v[4:5], v[8:9], v[4:5]
	s_delay_alu instid0(VALU_DEP_2) | instskip(NEXT) | instid1(VALU_DEP_2)
	v_fma_f64 v[36:37], v[8:9], v[2:3], v[36:37]
	v_fma_f64 v[40:41], v[6:7], v[2:3], -v[4:5]
	ds_load_b128 v[2:5], v1 offset:1392
	ds_load_b128 v[6:9], v1 offset:1408
	s_waitcnt vmcnt(0) lgkmcnt(1)
	v_mul_f64 v[42:43], v[2:3], v[12:13]
	s_delay_alu instid0(VALU_DEP_1) | instskip(SKIP_1) | instid1(VALU_DEP_1)
	v_fma_f64 v[42:43], v[4:5], v[10:11], v[42:43]
	v_mul_f64 v[4:5], v[4:5], v[12:13]
	v_fma_f64 v[44:45], v[2:3], v[10:11], -v[4:5]
	s_clause 0x1
	scratch_load_b128 v[2:5], off, off offset:400
	scratch_load_b128 v[10:13], off, off offset:416
	s_waitcnt vmcnt(1) lgkmcnt(0)
	v_mul_f64 v[46:47], v[6:7], v[4:5]
	v_mul_f64 v[4:5], v[8:9], v[4:5]
	s_delay_alu instid0(VALU_DEP_2) | instskip(NEXT) | instid1(VALU_DEP_2)
	v_fma_f64 v[46:47], v[8:9], v[2:3], v[46:47]
	v_fma_f64 v[48:49], v[6:7], v[2:3], -v[4:5]
	ds_load_b128 v[2:5], v1 offset:1424
	ds_load_b128 v[6:9], v1 offset:1440
	s_waitcnt vmcnt(0) lgkmcnt(1)
	v_mul_f64 v[52:53], v[2:3], v[12:13]
	s_delay_alu instid0(VALU_DEP_1) | instskip(SKIP_1) | instid1(VALU_DEP_1)
	v_fma_f64 v[52:53], v[4:5], v[10:11], v[52:53]
	v_mul_f64 v[4:5], v[4:5], v[12:13]
	;; [unrolled: 17-line block ×18, first 2 shown]
	v_fma_f64 v[253:254], v[2:3], v[10:11], -v[4:5]
	v_add_f64 v[2:3], v[22:23], 0
	v_add_f64 v[4:5], v[24:25], 0
	s_delay_alu instid0(VALU_DEP_2) | instskip(NEXT) | instid1(VALU_DEP_2)
	v_add_f64 v[2:3], v[2:3], v[30:31]
	v_add_f64 v[4:5], v[4:5], v[32:33]
	s_delay_alu instid0(VALU_DEP_2) | instskip(NEXT) | instid1(VALU_DEP_2)
	v_add_f64 v[2:3], v[2:3], v[38:39]
	v_add_f64 v[4:5], v[4:5], v[34:35]
	s_delay_alu instid0(VALU_DEP_2) | instskip(NEXT) | instid1(VALU_DEP_2)
	v_add_f64 v[2:3], v[2:3], v[14:15]
	v_add_f64 v[4:5], v[4:5], v[16:17]
	s_delay_alu instid0(VALU_DEP_2) | instskip(NEXT) | instid1(VALU_DEP_2)
	v_add_f64 v[2:3], v[2:3], v[18:19]
	v_add_f64 v[4:5], v[4:5], v[20:21]
	s_delay_alu instid0(VALU_DEP_2) | instskip(NEXT) | instid1(VALU_DEP_2)
	v_add_f64 v[2:3], v[2:3], v[40:41]
	v_add_f64 v[4:5], v[4:5], v[36:37]
	s_delay_alu instid0(VALU_DEP_2) | instskip(NEXT) | instid1(VALU_DEP_2)
	v_add_f64 v[2:3], v[2:3], v[44:45]
	v_add_f64 v[4:5], v[4:5], v[42:43]
	s_delay_alu instid0(VALU_DEP_2) | instskip(NEXT) | instid1(VALU_DEP_2)
	v_add_f64 v[2:3], v[2:3], v[48:49]
	v_add_f64 v[4:5], v[4:5], v[46:47]
	s_delay_alu instid0(VALU_DEP_2) | instskip(NEXT) | instid1(VALU_DEP_2)
	v_add_f64 v[2:3], v[2:3], v[54:55]
	v_add_f64 v[4:5], v[4:5], v[52:53]
	s_delay_alu instid0(VALU_DEP_2) | instskip(NEXT) | instid1(VALU_DEP_2)
	v_add_f64 v[2:3], v[2:3], v[58:59]
	v_add_f64 v[4:5], v[4:5], v[56:57]
	s_delay_alu instid0(VALU_DEP_2) | instskip(NEXT) | instid1(VALU_DEP_2)
	v_add_f64 v[2:3], v[2:3], v[62:63]
	v_add_f64 v[4:5], v[4:5], v[60:61]
	s_delay_alu instid0(VALU_DEP_2) | instskip(NEXT) | instid1(VALU_DEP_2)
	v_add_f64 v[2:3], v[2:3], v[66:67]
	v_add_f64 v[4:5], v[4:5], v[64:65]
	s_delay_alu instid0(VALU_DEP_2) | instskip(NEXT) | instid1(VALU_DEP_2)
	v_add_f64 v[2:3], v[2:3], v[70:71]
	v_add_f64 v[4:5], v[4:5], v[68:69]
	s_delay_alu instid0(VALU_DEP_2) | instskip(NEXT) | instid1(VALU_DEP_2)
	v_add_f64 v[2:3], v[2:3], v[74:75]
	v_add_f64 v[4:5], v[4:5], v[72:73]
	s_delay_alu instid0(VALU_DEP_2) | instskip(NEXT) | instid1(VALU_DEP_2)
	v_add_f64 v[2:3], v[2:3], v[78:79]
	v_add_f64 v[4:5], v[4:5], v[76:77]
	s_delay_alu instid0(VALU_DEP_2) | instskip(NEXT) | instid1(VALU_DEP_2)
	v_add_f64 v[2:3], v[2:3], v[82:83]
	v_add_f64 v[4:5], v[4:5], v[80:81]
	s_delay_alu instid0(VALU_DEP_2) | instskip(NEXT) | instid1(VALU_DEP_2)
	v_add_f64 v[2:3], v[2:3], v[86:87]
	v_add_f64 v[4:5], v[4:5], v[84:85]
	s_delay_alu instid0(VALU_DEP_2) | instskip(NEXT) | instid1(VALU_DEP_2)
	v_add_f64 v[2:3], v[2:3], v[90:91]
	v_add_f64 v[4:5], v[4:5], v[88:89]
	s_delay_alu instid0(VALU_DEP_2) | instskip(NEXT) | instid1(VALU_DEP_2)
	v_add_f64 v[2:3], v[2:3], v[94:95]
	v_add_f64 v[4:5], v[4:5], v[92:93]
	s_delay_alu instid0(VALU_DEP_2) | instskip(NEXT) | instid1(VALU_DEP_2)
	v_add_f64 v[2:3], v[2:3], v[98:99]
	v_add_f64 v[4:5], v[4:5], v[96:97]
	s_delay_alu instid0(VALU_DEP_2) | instskip(NEXT) | instid1(VALU_DEP_2)
	v_add_f64 v[2:3], v[2:3], v[102:103]
	v_add_f64 v[4:5], v[4:5], v[100:101]
	s_delay_alu instid0(VALU_DEP_2) | instskip(NEXT) | instid1(VALU_DEP_2)
	v_add_f64 v[2:3], v[2:3], v[177:178]
	v_add_f64 v[4:5], v[4:5], v[104:105]
	s_delay_alu instid0(VALU_DEP_2) | instskip(NEXT) | instid1(VALU_DEP_2)
	v_add_f64 v[2:3], v[2:3], v[181:182]
	v_add_f64 v[4:5], v[4:5], v[179:180]
	s_delay_alu instid0(VALU_DEP_2) | instskip(NEXT) | instid1(VALU_DEP_2)
	v_add_f64 v[2:3], v[2:3], v[185:186]
	v_add_f64 v[4:5], v[4:5], v[183:184]
	s_delay_alu instid0(VALU_DEP_2) | instskip(NEXT) | instid1(VALU_DEP_2)
	v_add_f64 v[2:3], v[2:3], v[189:190]
	v_add_f64 v[4:5], v[4:5], v[187:188]
	s_delay_alu instid0(VALU_DEP_2) | instskip(NEXT) | instid1(VALU_DEP_2)
	v_add_f64 v[2:3], v[2:3], v[193:194]
	v_add_f64 v[4:5], v[4:5], v[191:192]
	s_delay_alu instid0(VALU_DEP_2) | instskip(NEXT) | instid1(VALU_DEP_2)
	v_add_f64 v[2:3], v[2:3], v[197:198]
	v_add_f64 v[4:5], v[4:5], v[195:196]
	s_delay_alu instid0(VALU_DEP_2) | instskip(NEXT) | instid1(VALU_DEP_2)
	v_add_f64 v[2:3], v[2:3], v[201:202]
	v_add_f64 v[4:5], v[4:5], v[199:200]
	s_delay_alu instid0(VALU_DEP_2) | instskip(NEXT) | instid1(VALU_DEP_2)
	v_add_f64 v[2:3], v[2:3], v[205:206]
	v_add_f64 v[4:5], v[4:5], v[203:204]
	s_delay_alu instid0(VALU_DEP_2) | instskip(NEXT) | instid1(VALU_DEP_2)
	v_add_f64 v[2:3], v[2:3], v[209:210]
	v_add_f64 v[4:5], v[4:5], v[207:208]
	s_delay_alu instid0(VALU_DEP_2) | instskip(NEXT) | instid1(VALU_DEP_2)
	v_add_f64 v[2:3], v[2:3], v[213:214]
	v_add_f64 v[4:5], v[4:5], v[211:212]
	s_delay_alu instid0(VALU_DEP_2) | instskip(NEXT) | instid1(VALU_DEP_2)
	v_add_f64 v[2:3], v[2:3], v[217:218]
	v_add_f64 v[4:5], v[4:5], v[215:216]
	s_delay_alu instid0(VALU_DEP_2) | instskip(NEXT) | instid1(VALU_DEP_2)
	v_add_f64 v[2:3], v[2:3], v[221:222]
	v_add_f64 v[4:5], v[4:5], v[219:220]
	s_delay_alu instid0(VALU_DEP_2) | instskip(NEXT) | instid1(VALU_DEP_2)
	v_add_f64 v[2:3], v[2:3], v[225:226]
	v_add_f64 v[4:5], v[4:5], v[223:224]
	s_delay_alu instid0(VALU_DEP_2) | instskip(NEXT) | instid1(VALU_DEP_2)
	v_add_f64 v[2:3], v[2:3], v[229:230]
	v_add_f64 v[10:11], v[4:5], v[227:228]
	s_delay_alu instid0(VALU_DEP_2)
	v_add_f64 v[12:13], v[2:3], v[233:234]
	scratch_load_b128 v[2:5], off, off offset:944
	v_add_f64 v[14:15], v[10:11], v[231:232]
	v_add_f64 v[16:17], v[12:13], v[237:238]
	scratch_load_b128 v[10:13], off, off offset:960
	v_add_f64 v[18:19], v[14:15], v[235:236]
	v_add_f64 v[20:21], v[16:17], v[241:242]
	scratch_load_b128 v[14:17], off, off offset:976
	v_add_f64 v[22:23], v[18:19], v[239:240]
	v_add_f64 v[24:25], v[20:21], v[245:246]
	scratch_load_b128 v[18:21], off, off offset:992
	v_add_f64 v[22:23], v[22:23], v[243:244]
	v_add_f64 v[24:25], v[24:25], v[249:250]
	s_delay_alu instid0(VALU_DEP_2) | instskip(NEXT) | instid1(VALU_DEP_2)
	v_add_f64 v[22:23], v[22:23], v[247:248]
	v_add_f64 v[24:25], v[24:25], v[253:254]
	s_delay_alu instid0(VALU_DEP_2) | instskip(SKIP_3) | instid1(VALU_DEP_2)
	v_add_f64 v[22:23], v[22:23], v[251:252]
	s_waitcnt vmcnt(3) lgkmcnt(0)
	v_mul_f64 v[30:31], v[6:7], v[4:5]
	v_mul_f64 v[4:5], v[8:9], v[4:5]
	v_fma_f64 v[30:31], v[8:9], v[2:3], v[30:31]
	s_delay_alu instid0(VALU_DEP_2)
	v_fma_f64 v[32:33], v[6:7], v[2:3], -v[4:5]
	ds_load_b128 v[2:5], v1 offset:1968
	ds_load_b128 v[6:9], v1 offset:1984
	s_waitcnt vmcnt(2) lgkmcnt(1)
	v_mul_f64 v[34:35], v[2:3], v[12:13]
	v_mul_f64 v[12:13], v[4:5], v[12:13]
	s_waitcnt vmcnt(1) lgkmcnt(0)
	v_mul_f64 v[36:37], v[6:7], v[16:17]
	v_add_f64 v[22:23], v[22:23], v[30:31]
	s_delay_alu instid0(VALU_DEP_4) | instskip(NEXT) | instid1(VALU_DEP_4)
	v_fma_f64 v[34:35], v[4:5], v[10:11], v[34:35]
	v_fma_f64 v[10:11], v[2:3], v[10:11], -v[12:13]
	v_mul_f64 v[12:13], v[8:9], v[16:17]
	v_add_f64 v[16:17], v[24:25], v[32:33]
	ds_load_b128 v[2:5], v1 offset:2000
	v_fma_f64 v[8:9], v[8:9], v[14:15], v[36:37]
	s_waitcnt vmcnt(0) lgkmcnt(0)
	v_mul_f64 v[24:25], v[2:3], v[20:21]
	v_mul_f64 v[20:21], v[4:5], v[20:21]
	v_fma_f64 v[6:7], v[6:7], v[14:15], -v[12:13]
	v_add_f64 v[10:11], v[16:17], v[10:11]
	v_add_f64 v[12:13], v[22:23], v[34:35]
	v_fma_f64 v[4:5], v[4:5], v[18:19], v[24:25]
	v_fma_f64 v[2:3], v[2:3], v[18:19], -v[20:21]
	s_delay_alu instid0(VALU_DEP_4) | instskip(NEXT) | instid1(VALU_DEP_4)
	v_add_f64 v[6:7], v[10:11], v[6:7]
	v_add_f64 v[8:9], v[12:13], v[8:9]
	s_delay_alu instid0(VALU_DEP_2) | instskip(NEXT) | instid1(VALU_DEP_2)
	v_add_f64 v[2:3], v[6:7], v[2:3]
	v_add_f64 v[4:5], v[8:9], v[4:5]
	s_delay_alu instid0(VALU_DEP_2) | instskip(NEXT) | instid1(VALU_DEP_2)
	v_add_f64 v[2:3], v[26:27], -v[2:3]
	v_add_f64 v[4:5], v[28:29], -v[4:5]
	scratch_store_b128 off, v[2:5], off offset:272
	v_cmpx_lt_u32_e32 16, v176
	s_cbranch_execz .LBB62_371
; %bb.370:
	scratch_load_b32 v2, off, off offset:1220 ; 4-byte Folded Reload
	v_mov_b32_e32 v3, v1
	v_mov_b32_e32 v4, v1
	s_waitcnt vmcnt(0)
	scratch_load_b128 v[5:8], v2, off
	v_mov_b32_e32 v2, v1
	scratch_store_b128 off, v[1:4], off offset:256
	s_waitcnt vmcnt(0)
	ds_store_b128 v255, v[5:8]
.LBB62_371:
	s_or_b32 exec_lo, exec_lo, s2
	s_waitcnt lgkmcnt(0)
	s_waitcnt_vscnt null, 0x0
	s_barrier
	buffer_gl0_inv
	s_clause 0x4
	scratch_load_b128 v[2:5], off, off offset:272
	scratch_load_b128 v[6:9], off, off offset:288
	scratch_load_b128 v[10:13], off, off offset:304
	scratch_load_b128 v[14:17], off, off offset:320
	scratch_load_b128 v[18:21], off, off offset:336
	ds_load_b128 v[22:25], v1 offset:1280
	ds_load_b128 v[26:29], v1 offset:1296
	scratch_load_b128 v[30:33], off, off offset:256
	s_mov_b32 s2, exec_lo
	s_waitcnt vmcnt(5) lgkmcnt(1)
	v_mul_f64 v[34:35], v[24:25], v[4:5]
	v_mul_f64 v[4:5], v[22:23], v[4:5]
	s_waitcnt vmcnt(4) lgkmcnt(0)
	v_mul_f64 v[36:37], v[26:27], v[8:9]
	v_mul_f64 v[8:9], v[28:29], v[8:9]
	s_delay_alu instid0(VALU_DEP_4) | instskip(NEXT) | instid1(VALU_DEP_4)
	v_fma_f64 v[22:23], v[22:23], v[2:3], -v[34:35]
	v_fma_f64 v[24:25], v[24:25], v[2:3], v[4:5]
	ds_load_b128 v[2:5], v1 offset:1312
	v_fma_f64 v[28:29], v[28:29], v[6:7], v[36:37]
	v_fma_f64 v[26:27], v[26:27], v[6:7], -v[8:9]
	ds_load_b128 v[6:9], v1 offset:1328
	s_waitcnt vmcnt(3) lgkmcnt(1)
	v_mul_f64 v[34:35], v[2:3], v[12:13]
	v_mul_f64 v[12:13], v[4:5], v[12:13]
	s_waitcnt vmcnt(2) lgkmcnt(0)
	v_mul_f64 v[36:37], v[6:7], v[16:17]
	s_delay_alu instid0(VALU_DEP_3) | instskip(NEXT) | instid1(VALU_DEP_3)
	v_fma_f64 v[34:35], v[4:5], v[10:11], v[34:35]
	v_fma_f64 v[38:39], v[2:3], v[10:11], -v[12:13]
	v_mul_f64 v[10:11], v[8:9], v[16:17]
	ds_load_b128 v[2:5], v1 offset:1344
	v_fma_f64 v[16:17], v[8:9], v[14:15], v[36:37]
	v_fma_f64 v[14:15], v[6:7], v[14:15], -v[10:11]
	ds_load_b128 v[6:9], v1 offset:1360
	s_waitcnt vmcnt(1) lgkmcnt(1)
	v_mul_f64 v[10:11], v[2:3], v[20:21]
	v_mul_f64 v[12:13], v[4:5], v[20:21]
	s_delay_alu instid0(VALU_DEP_2) | instskip(NEXT) | instid1(VALU_DEP_2)
	v_fma_f64 v[20:21], v[4:5], v[18:19], v[10:11]
	v_fma_f64 v[18:19], v[2:3], v[18:19], -v[12:13]
	s_clause 0x1
	scratch_load_b128 v[2:5], off, off offset:352
	scratch_load_b128 v[10:13], off, off offset:368
	s_waitcnt vmcnt(1) lgkmcnt(0)
	v_mul_f64 v[36:37], v[6:7], v[4:5]
	v_mul_f64 v[4:5], v[8:9], v[4:5]
	s_delay_alu instid0(VALU_DEP_2) | instskip(NEXT) | instid1(VALU_DEP_2)
	v_fma_f64 v[36:37], v[8:9], v[2:3], v[36:37]
	v_fma_f64 v[40:41], v[6:7], v[2:3], -v[4:5]
	ds_load_b128 v[2:5], v1 offset:1376
	ds_load_b128 v[6:9], v1 offset:1392
	s_waitcnt vmcnt(0) lgkmcnt(1)
	v_mul_f64 v[42:43], v[2:3], v[12:13]
	s_delay_alu instid0(VALU_DEP_1) | instskip(SKIP_1) | instid1(VALU_DEP_1)
	v_fma_f64 v[42:43], v[4:5], v[10:11], v[42:43]
	v_mul_f64 v[4:5], v[4:5], v[12:13]
	v_fma_f64 v[44:45], v[2:3], v[10:11], -v[4:5]
	s_clause 0x1
	scratch_load_b128 v[2:5], off, off offset:384
	scratch_load_b128 v[10:13], off, off offset:400
	s_waitcnt vmcnt(1) lgkmcnt(0)
	v_mul_f64 v[46:47], v[6:7], v[4:5]
	v_mul_f64 v[4:5], v[8:9], v[4:5]
	s_delay_alu instid0(VALU_DEP_2) | instskip(NEXT) | instid1(VALU_DEP_2)
	v_fma_f64 v[46:47], v[8:9], v[2:3], v[46:47]
	v_fma_f64 v[48:49], v[6:7], v[2:3], -v[4:5]
	ds_load_b128 v[2:5], v1 offset:1408
	ds_load_b128 v[6:9], v1 offset:1424
	s_waitcnt vmcnt(0) lgkmcnt(1)
	v_mul_f64 v[52:53], v[2:3], v[12:13]
	s_delay_alu instid0(VALU_DEP_1) | instskip(SKIP_1) | instid1(VALU_DEP_1)
	v_fma_f64 v[52:53], v[4:5], v[10:11], v[52:53]
	v_mul_f64 v[4:5], v[4:5], v[12:13]
	;; [unrolled: 17-line block ×19, first 2 shown]
	v_fma_f64 v[112:113], v[2:3], v[10:11], -v[4:5]
	v_add_f64 v[2:3], v[22:23], 0
	v_add_f64 v[4:5], v[24:25], 0
	s_delay_alu instid0(VALU_DEP_2) | instskip(NEXT) | instid1(VALU_DEP_2)
	v_add_f64 v[2:3], v[2:3], v[26:27]
	v_add_f64 v[4:5], v[4:5], v[28:29]
	s_delay_alu instid0(VALU_DEP_2) | instskip(NEXT) | instid1(VALU_DEP_2)
	;; [unrolled: 3-line block ×36, first 2 shown]
	v_add_f64 v[2:3], v[2:3], v[237:238]
	v_add_f64 v[10:11], v[4:5], v[235:236]
	s_delay_alu instid0(VALU_DEP_2)
	v_add_f64 v[12:13], v[2:3], v[241:242]
	scratch_load_b128 v[2:5], off, off offset:960
	v_add_f64 v[14:15], v[10:11], v[239:240]
	v_add_f64 v[16:17], v[12:13], v[245:246]
	scratch_load_b128 v[10:13], off, off offset:976
	v_add_f64 v[18:19], v[14:15], v[243:244]
	;; [unrolled: 3-line block ×3, first 2 shown]
	v_add_f64 v[20:21], v[20:21], v[253:254]
	s_delay_alu instid0(VALU_DEP_2) | instskip(NEXT) | instid1(VALU_DEP_2)
	v_add_f64 v[18:19], v[18:19], v[251:252]
	v_add_f64 v[28:29], v[20:21], v[108:109]
	s_delay_alu instid0(VALU_DEP_2)
	v_add_f64 v[34:35], v[18:19], v[106:107]
	ds_load_b128 v[18:21], v1 offset:1984
	ds_load_b128 v[22:25], v1 offset:2000
	s_waitcnt vmcnt(2) lgkmcnt(2)
	v_mul_f64 v[26:27], v[6:7], v[4:5]
	v_mul_f64 v[4:5], v[8:9], v[4:5]
	s_waitcnt vmcnt(1) lgkmcnt(1)
	v_mul_f64 v[36:37], v[18:19], v[12:13]
	s_delay_alu instid0(VALU_DEP_3) | instskip(NEXT) | instid1(VALU_DEP_3)
	v_fma_f64 v[8:9], v[8:9], v[2:3], v[26:27]
	v_fma_f64 v[1:2], v[6:7], v[2:3], -v[4:5]
	v_mul_f64 v[3:4], v[20:21], v[12:13]
	v_add_f64 v[5:6], v[28:29], v[112:113]
	v_add_f64 v[12:13], v[34:35], v[110:111]
	s_waitcnt vmcnt(0) lgkmcnt(0)
	v_mul_f64 v[26:27], v[22:23], v[16:17]
	v_mul_f64 v[16:17], v[24:25], v[16:17]
	v_fma_f64 v[20:21], v[20:21], v[10:11], v[36:37]
	v_fma_f64 v[3:4], v[18:19], v[10:11], -v[3:4]
	v_add_f64 v[1:2], v[5:6], v[1:2]
	v_add_f64 v[5:6], v[12:13], v[8:9]
	v_fma_f64 v[7:8], v[24:25], v[14:15], v[26:27]
	v_fma_f64 v[9:10], v[22:23], v[14:15], -v[16:17]
	s_delay_alu instid0(VALU_DEP_4) | instskip(NEXT) | instid1(VALU_DEP_4)
	v_add_f64 v[1:2], v[1:2], v[3:4]
	v_add_f64 v[3:4], v[5:6], v[20:21]
	s_delay_alu instid0(VALU_DEP_2) | instskip(NEXT) | instid1(VALU_DEP_2)
	v_add_f64 v[1:2], v[1:2], v[9:10]
	v_add_f64 v[3:4], v[3:4], v[7:8]
	s_delay_alu instid0(VALU_DEP_2) | instskip(NEXT) | instid1(VALU_DEP_2)
	v_add_f64 v[1:2], v[30:31], -v[1:2]
	v_add_f64 v[3:4], v[32:33], -v[3:4]
	scratch_store_b128 off, v[1:4], off offset:256
	v_cmpx_lt_u32_e32 15, v176
	s_cbranch_execz .LBB62_373
; %bb.372:
	scratch_load_b32 v1, off, off offset:1224 ; 4-byte Folded Reload
	v_mov_b32_e32 v5, 0
	s_delay_alu instid0(VALU_DEP_1)
	v_mov_b32_e32 v6, v5
	v_mov_b32_e32 v7, v5
	;; [unrolled: 1-line block ×3, first 2 shown]
	s_waitcnt vmcnt(0)
	scratch_load_b128 v[1:4], v1, off
	scratch_store_b128 off, v[5:8], off offset:240
	s_waitcnt vmcnt(0)
	ds_store_b128 v255, v[1:4]
.LBB62_373:
	s_or_b32 exec_lo, exec_lo, s2
	s_waitcnt lgkmcnt(0)
	s_waitcnt_vscnt null, 0x0
	s_barrier
	buffer_gl0_inv
	s_clause 0x4
	scratch_load_b128 v[2:5], off, off offset:256
	scratch_load_b128 v[6:9], off, off offset:272
	;; [unrolled: 1-line block ×5, first 2 shown]
	v_mov_b32_e32 v1, 0
	scratch_load_b128 v[26:29], off, off offset:240
	s_mov_b32 s2, exec_lo
	ds_load_b128 v[22:25], v1 offset:1264
	ds_load_b128 v[30:33], v1 offset:1280
	s_waitcnt vmcnt(5) lgkmcnt(1)
	v_mul_f64 v[34:35], v[24:25], v[4:5]
	v_mul_f64 v[4:5], v[22:23], v[4:5]
	s_waitcnt vmcnt(4) lgkmcnt(0)
	v_mul_f64 v[36:37], v[30:31], v[8:9]
	v_mul_f64 v[8:9], v[32:33], v[8:9]
	s_delay_alu instid0(VALU_DEP_4) | instskip(NEXT) | instid1(VALU_DEP_4)
	v_fma_f64 v[22:23], v[22:23], v[2:3], -v[34:35]
	v_fma_f64 v[24:25], v[24:25], v[2:3], v[4:5]
	ds_load_b128 v[2:5], v1 offset:1296
	v_fma_f64 v[32:33], v[32:33], v[6:7], v[36:37]
	v_fma_f64 v[30:31], v[30:31], v[6:7], -v[8:9]
	ds_load_b128 v[6:9], v1 offset:1312
	s_waitcnt vmcnt(3) lgkmcnt(1)
	v_mul_f64 v[34:35], v[2:3], v[12:13]
	v_mul_f64 v[12:13], v[4:5], v[12:13]
	s_waitcnt vmcnt(2) lgkmcnt(0)
	v_mul_f64 v[36:37], v[6:7], v[16:17]
	s_delay_alu instid0(VALU_DEP_3) | instskip(NEXT) | instid1(VALU_DEP_3)
	v_fma_f64 v[34:35], v[4:5], v[10:11], v[34:35]
	v_fma_f64 v[38:39], v[2:3], v[10:11], -v[12:13]
	v_mul_f64 v[10:11], v[8:9], v[16:17]
	ds_load_b128 v[2:5], v1 offset:1328
	v_fma_f64 v[16:17], v[8:9], v[14:15], v[36:37]
	v_fma_f64 v[14:15], v[6:7], v[14:15], -v[10:11]
	ds_load_b128 v[6:9], v1 offset:1344
	s_waitcnt vmcnt(1) lgkmcnt(1)
	v_mul_f64 v[10:11], v[2:3], v[20:21]
	v_mul_f64 v[12:13], v[4:5], v[20:21]
	s_delay_alu instid0(VALU_DEP_2) | instskip(NEXT) | instid1(VALU_DEP_2)
	v_fma_f64 v[20:21], v[4:5], v[18:19], v[10:11]
	v_fma_f64 v[18:19], v[2:3], v[18:19], -v[12:13]
	s_clause 0x1
	scratch_load_b128 v[2:5], off, off offset:336
	scratch_load_b128 v[10:13], off, off offset:352
	s_waitcnt vmcnt(1) lgkmcnt(0)
	v_mul_f64 v[36:37], v[6:7], v[4:5]
	v_mul_f64 v[4:5], v[8:9], v[4:5]
	s_delay_alu instid0(VALU_DEP_2) | instskip(NEXT) | instid1(VALU_DEP_2)
	v_fma_f64 v[36:37], v[8:9], v[2:3], v[36:37]
	v_fma_f64 v[40:41], v[6:7], v[2:3], -v[4:5]
	ds_load_b128 v[2:5], v1 offset:1360
	ds_load_b128 v[6:9], v1 offset:1376
	s_waitcnt vmcnt(0) lgkmcnt(1)
	v_mul_f64 v[42:43], v[2:3], v[12:13]
	s_delay_alu instid0(VALU_DEP_1) | instskip(SKIP_1) | instid1(VALU_DEP_1)
	v_fma_f64 v[42:43], v[4:5], v[10:11], v[42:43]
	v_mul_f64 v[4:5], v[4:5], v[12:13]
	v_fma_f64 v[44:45], v[2:3], v[10:11], -v[4:5]
	s_clause 0x1
	scratch_load_b128 v[2:5], off, off offset:368
	scratch_load_b128 v[10:13], off, off offset:384
	s_waitcnt vmcnt(1) lgkmcnt(0)
	v_mul_f64 v[46:47], v[6:7], v[4:5]
	v_mul_f64 v[4:5], v[8:9], v[4:5]
	s_delay_alu instid0(VALU_DEP_2) | instskip(NEXT) | instid1(VALU_DEP_2)
	v_fma_f64 v[46:47], v[8:9], v[2:3], v[46:47]
	v_fma_f64 v[48:49], v[6:7], v[2:3], -v[4:5]
	ds_load_b128 v[2:5], v1 offset:1392
	ds_load_b128 v[6:9], v1 offset:1408
	s_waitcnt vmcnt(0) lgkmcnt(1)
	v_mul_f64 v[52:53], v[2:3], v[12:13]
	s_delay_alu instid0(VALU_DEP_1) | instskip(SKIP_1) | instid1(VALU_DEP_1)
	v_fma_f64 v[52:53], v[4:5], v[10:11], v[52:53]
	v_mul_f64 v[4:5], v[4:5], v[12:13]
	;; [unrolled: 17-line block ×19, first 2 shown]
	v_fma_f64 v[253:254], v[2:3], v[10:11], -v[4:5]
	v_add_f64 v[2:3], v[22:23], 0
	v_add_f64 v[4:5], v[24:25], 0
	s_delay_alu instid0(VALU_DEP_2) | instskip(NEXT) | instid1(VALU_DEP_2)
	v_add_f64 v[2:3], v[2:3], v[30:31]
	v_add_f64 v[4:5], v[4:5], v[32:33]
	s_delay_alu instid0(VALU_DEP_2) | instskip(NEXT) | instid1(VALU_DEP_2)
	;; [unrolled: 3-line block ×36, first 2 shown]
	v_add_f64 v[2:3], v[2:3], v[229:230]
	v_add_f64 v[10:11], v[4:5], v[227:228]
	s_delay_alu instid0(VALU_DEP_2)
	v_add_f64 v[12:13], v[2:3], v[233:234]
	scratch_load_b128 v[2:5], off, off offset:944
	v_add_f64 v[14:15], v[10:11], v[231:232]
	v_add_f64 v[16:17], v[12:13], v[237:238]
	scratch_load_b128 v[10:13], off, off offset:960
	v_add_f64 v[18:19], v[14:15], v[235:236]
	v_add_f64 v[20:21], v[16:17], v[241:242]
	scratch_load_b128 v[14:17], off, off offset:976
	v_add_f64 v[22:23], v[18:19], v[239:240]
	v_add_f64 v[24:25], v[20:21], v[245:246]
	scratch_load_b128 v[18:21], off, off offset:992
	v_add_f64 v[22:23], v[22:23], v[243:244]
	v_add_f64 v[24:25], v[24:25], v[249:250]
	s_delay_alu instid0(VALU_DEP_2) | instskip(NEXT) | instid1(VALU_DEP_2)
	v_add_f64 v[22:23], v[22:23], v[247:248]
	v_add_f64 v[24:25], v[24:25], v[253:254]
	s_delay_alu instid0(VALU_DEP_2) | instskip(SKIP_3) | instid1(VALU_DEP_2)
	v_add_f64 v[22:23], v[22:23], v[251:252]
	s_waitcnt vmcnt(3) lgkmcnt(0)
	v_mul_f64 v[30:31], v[6:7], v[4:5]
	v_mul_f64 v[4:5], v[8:9], v[4:5]
	v_fma_f64 v[30:31], v[8:9], v[2:3], v[30:31]
	s_delay_alu instid0(VALU_DEP_2)
	v_fma_f64 v[32:33], v[6:7], v[2:3], -v[4:5]
	ds_load_b128 v[2:5], v1 offset:1968
	ds_load_b128 v[6:9], v1 offset:1984
	s_waitcnt vmcnt(2) lgkmcnt(1)
	v_mul_f64 v[34:35], v[2:3], v[12:13]
	v_mul_f64 v[12:13], v[4:5], v[12:13]
	s_waitcnt vmcnt(1) lgkmcnt(0)
	v_mul_f64 v[36:37], v[6:7], v[16:17]
	v_add_f64 v[22:23], v[22:23], v[30:31]
	s_delay_alu instid0(VALU_DEP_4) | instskip(NEXT) | instid1(VALU_DEP_4)
	v_fma_f64 v[34:35], v[4:5], v[10:11], v[34:35]
	v_fma_f64 v[10:11], v[2:3], v[10:11], -v[12:13]
	v_mul_f64 v[12:13], v[8:9], v[16:17]
	v_add_f64 v[16:17], v[24:25], v[32:33]
	ds_load_b128 v[2:5], v1 offset:2000
	v_fma_f64 v[8:9], v[8:9], v[14:15], v[36:37]
	s_waitcnt vmcnt(0) lgkmcnt(0)
	v_mul_f64 v[24:25], v[2:3], v[20:21]
	v_mul_f64 v[20:21], v[4:5], v[20:21]
	v_fma_f64 v[6:7], v[6:7], v[14:15], -v[12:13]
	v_add_f64 v[10:11], v[16:17], v[10:11]
	v_add_f64 v[12:13], v[22:23], v[34:35]
	v_fma_f64 v[4:5], v[4:5], v[18:19], v[24:25]
	v_fma_f64 v[2:3], v[2:3], v[18:19], -v[20:21]
	s_delay_alu instid0(VALU_DEP_4) | instskip(NEXT) | instid1(VALU_DEP_4)
	v_add_f64 v[6:7], v[10:11], v[6:7]
	v_add_f64 v[8:9], v[12:13], v[8:9]
	s_delay_alu instid0(VALU_DEP_2) | instskip(NEXT) | instid1(VALU_DEP_2)
	v_add_f64 v[2:3], v[6:7], v[2:3]
	v_add_f64 v[4:5], v[8:9], v[4:5]
	s_delay_alu instid0(VALU_DEP_2) | instskip(NEXT) | instid1(VALU_DEP_2)
	v_add_f64 v[2:3], v[26:27], -v[2:3]
	v_add_f64 v[4:5], v[28:29], -v[4:5]
	scratch_store_b128 off, v[2:5], off offset:240
	v_cmpx_lt_u32_e32 14, v176
	s_cbranch_execz .LBB62_375
; %bb.374:
	scratch_load_b32 v2, off, off offset:1228 ; 4-byte Folded Reload
	v_mov_b32_e32 v3, v1
	v_mov_b32_e32 v4, v1
	s_waitcnt vmcnt(0)
	scratch_load_b128 v[5:8], v2, off
	v_mov_b32_e32 v2, v1
	scratch_store_b128 off, v[1:4], off offset:224
	s_waitcnt vmcnt(0)
	ds_store_b128 v255, v[5:8]
.LBB62_375:
	s_or_b32 exec_lo, exec_lo, s2
	s_waitcnt lgkmcnt(0)
	s_waitcnt_vscnt null, 0x0
	s_barrier
	buffer_gl0_inv
	s_clause 0x5
	scratch_load_b128 v[22:25], off, off offset:240
	scratch_load_b128 v[2:5], off, off offset:256
	;; [unrolled: 1-line block ×6, first 2 shown]
	ds_load_b128 v[26:29], v1 offset:1248
	s_mov_b32 s2, exec_lo
	s_waitcnt vmcnt(5) lgkmcnt(0)
	v_mul_f64 v[30:31], v[28:29], v[24:25]
	v_mul_f64 v[32:33], v[26:27], v[24:25]
	s_delay_alu instid0(VALU_DEP_2) | instskip(NEXT) | instid1(VALU_DEP_2)
	v_fma_f64 v[24:25], v[26:27], v[22:23], -v[30:31]
	v_fma_f64 v[22:23], v[28:29], v[22:23], v[32:33]
	ds_load_b128 v[26:29], v1 offset:1264
	s_waitcnt vmcnt(4) lgkmcnt(0)
	v_mul_f64 v[30:31], v[26:27], v[4:5]
	v_mul_f64 v[4:5], v[28:29], v[4:5]
	s_delay_alu instid0(VALU_DEP_2) | instskip(NEXT) | instid1(VALU_DEP_2)
	v_fma_f64 v[30:31], v[28:29], v[2:3], v[30:31]
	v_fma_f64 v[32:33], v[26:27], v[2:3], -v[4:5]
	ds_load_b128 v[2:5], v1 offset:1280
	s_waitcnt vmcnt(3) lgkmcnt(0)
	v_mul_f64 v[26:27], v[2:3], v[8:9]
	v_mul_f64 v[8:9], v[4:5], v[8:9]
	s_delay_alu instid0(VALU_DEP_2) | instskip(NEXT) | instid1(VALU_DEP_2)
	v_fma_f64 v[34:35], v[4:5], v[6:7], v[26:27]
	v_fma_f64 v[36:37], v[2:3], v[6:7], -v[8:9]
	;; [unrolled: 7-line block ×5, first 2 shown]
	scratch_load_b128 v[2:5], off, off offset:336
	ds_load_b128 v[6:9], v1 offset:1344
	s_waitcnt vmcnt(0) lgkmcnt(0)
	v_mul_f64 v[14:15], v[6:7], v[4:5]
	v_mul_f64 v[4:5], v[8:9], v[4:5]
	s_delay_alu instid0(VALU_DEP_2) | instskip(NEXT) | instid1(VALU_DEP_2)
	v_fma_f64 v[46:47], v[8:9], v[2:3], v[14:15]
	v_fma_f64 v[48:49], v[6:7], v[2:3], -v[4:5]
	scratch_load_b128 v[2:5], off, off offset:352
	ds_load_b128 v[6:9], v1 offset:1360
	s_waitcnt vmcnt(0) lgkmcnt(0)
	v_mul_f64 v[14:15], v[6:7], v[4:5]
	v_mul_f64 v[4:5], v[8:9], v[4:5]
	s_delay_alu instid0(VALU_DEP_2) | instskip(NEXT) | instid1(VALU_DEP_2)
	v_fma_f64 v[52:53], v[8:9], v[2:3], v[14:15]
	v_fma_f64 v[54:55], v[6:7], v[2:3], -v[4:5]
	;; [unrolled: 8-line block ×39, first 2 shown]
	v_add_f64 v[2:3], v[24:25], 0
	v_add_f64 v[4:5], v[22:23], 0
	scratch_load_b128 v[6:9], off, off offset:976
	v_add_f64 v[2:3], v[2:3], v[32:33]
	v_add_f64 v[4:5], v[4:5], v[30:31]
	s_delay_alu instid0(VALU_DEP_2) | instskip(NEXT) | instid1(VALU_DEP_2)
	v_add_f64 v[2:3], v[2:3], v[36:37]
	v_add_f64 v[4:5], v[4:5], v[34:35]
	s_delay_alu instid0(VALU_DEP_2) | instskip(NEXT) | instid1(VALU_DEP_2)
	v_add_f64 v[2:3], v[2:3], v[10:11]
	v_add_f64 v[4:5], v[4:5], v[12:13]
	scratch_load_b128 v[10:13], off, off offset:960
	v_add_f64 v[2:3], v[2:3], v[40:41]
	v_add_f64 v[4:5], v[4:5], v[38:39]
	s_delay_alu instid0(VALU_DEP_2) | instskip(NEXT) | instid1(VALU_DEP_2)
	v_add_f64 v[2:3], v[2:3], v[44:45]
	v_add_f64 v[4:5], v[4:5], v[42:43]
	s_delay_alu instid0(VALU_DEP_2) | instskip(NEXT) | instid1(VALU_DEP_2)
	;; [unrolled: 3-line block ×36, first 2 shown]
	v_add_f64 v[22:23], v[2:3], v[249:250]
	v_add_f64 v[30:31], v[4:5], v[247:248]
	scratch_load_b128 v[2:5], off, off offset:992
	v_add_f64 v[24:25], v[22:23], v[253:254]
	v_add_f64 v[22:23], v[30:31], v[251:252]
	scratch_load_b128 v[30:33], off, off offset:224
	v_add_f64 v[28:29], v[24:25], v[28:29]
	v_add_f64 v[26:27], v[22:23], v[26:27]
	ds_load_b128 v[22:25], v1 offset:1968
	v_add_f64 v[20:21], v[28:29], v[20:21]
	v_add_f64 v[18:19], v[26:27], v[18:19]
	s_delay_alu instid0(VALU_DEP_2) | instskip(NEXT) | instid1(VALU_DEP_2)
	v_add_f64 v[20:21], v[20:21], v[16:17]
	v_add_f64 v[18:19], v[18:19], v[14:15]
	ds_load_b128 v[14:17], v1 offset:2000
	s_waitcnt vmcnt(2) lgkmcnt(1)
	v_mul_f64 v[28:29], v[22:23], v[12:13]
	v_mul_f64 v[12:13], v[24:25], v[12:13]
	s_delay_alu instid0(VALU_DEP_2) | instskip(NEXT) | instid1(VALU_DEP_2)
	v_fma_f64 v[24:25], v[24:25], v[10:11], v[28:29]
	v_fma_f64 v[22:23], v[22:23], v[10:11], -v[12:13]
	ds_load_b128 v[10:13], v1 offset:1984
	s_waitcnt lgkmcnt(0)
	v_mul_f64 v[26:27], v[10:11], v[8:9]
	v_mul_f64 v[8:9], v[12:13], v[8:9]
	s_delay_alu instid0(VALU_DEP_2) | instskip(NEXT) | instid1(VALU_DEP_2)
	v_fma_f64 v[12:13], v[12:13], v[6:7], v[26:27]
	v_fma_f64 v[6:7], v[10:11], v[6:7], -v[8:9]
	v_add_f64 v[8:9], v[20:21], v[22:23]
	v_add_f64 v[10:11], v[18:19], v[24:25]
	s_waitcnt vmcnt(1)
	v_mul_f64 v[28:29], v[14:15], v[4:5]
	v_mul_f64 v[4:5], v[16:17], v[4:5]
	s_delay_alu instid0(VALU_DEP_2) | instskip(NEXT) | instid1(VALU_DEP_2)
	v_fma_f64 v[16:17], v[16:17], v[2:3], v[28:29]
	v_fma_f64 v[1:2], v[14:15], v[2:3], -v[4:5]
	v_add_f64 v[3:4], v[8:9], v[6:7]
	v_add_f64 v[5:6], v[10:11], v[12:13]
	s_delay_alu instid0(VALU_DEP_2) | instskip(NEXT) | instid1(VALU_DEP_2)
	v_add_f64 v[1:2], v[3:4], v[1:2]
	v_add_f64 v[3:4], v[5:6], v[16:17]
	s_waitcnt vmcnt(0)
	s_delay_alu instid0(VALU_DEP_2) | instskip(NEXT) | instid1(VALU_DEP_2)
	v_add_f64 v[1:2], v[30:31], -v[1:2]
	v_add_f64 v[3:4], v[32:33], -v[3:4]
	scratch_store_b128 off, v[1:4], off offset:224
	v_cmpx_lt_u32_e32 13, v176
	s_cbranch_execz .LBB62_377
; %bb.376:
	scratch_load_b32 v1, off, off offset:1232 ; 4-byte Folded Reload
	v_mov_b32_e32 v5, 0
	s_delay_alu instid0(VALU_DEP_1)
	v_mov_b32_e32 v6, v5
	v_mov_b32_e32 v7, v5
	;; [unrolled: 1-line block ×3, first 2 shown]
	s_waitcnt vmcnt(0)
	scratch_load_b128 v[1:4], v1, off
	scratch_store_b128 off, v[5:8], off offset:208
	s_waitcnt vmcnt(0)
	ds_store_b128 v255, v[1:4]
.LBB62_377:
	s_or_b32 exec_lo, exec_lo, s2
	s_waitcnt lgkmcnt(0)
	s_waitcnt_vscnt null, 0x0
	s_barrier
	buffer_gl0_inv
	s_clause 0x5
	scratch_load_b128 v[2:5], off, off offset:224
	scratch_load_b128 v[6:9], off, off offset:240
	;; [unrolled: 1-line block ×6, first 2 shown]
	v_mov_b32_e32 v1, 0
	s_mov_b32 s2, exec_lo
	ds_load_b128 v[26:29], v1 offset:1232
	s_waitcnt vmcnt(5) lgkmcnt(0)
	v_mul_f64 v[30:31], v[28:29], v[4:5]
	v_mul_f64 v[4:5], v[26:27], v[4:5]
	s_delay_alu instid0(VALU_DEP_2) | instskip(NEXT) | instid1(VALU_DEP_2)
	v_fma_f64 v[26:27], v[26:27], v[2:3], -v[30:31]
	v_fma_f64 v[28:29], v[28:29], v[2:3], v[4:5]
	ds_load_b128 v[2:5], v1 offset:1248
	s_waitcnt vmcnt(4) lgkmcnt(0)
	v_mul_f64 v[30:31], v[2:3], v[8:9]
	v_mul_f64 v[8:9], v[4:5], v[8:9]
	s_delay_alu instid0(VALU_DEP_2) | instskip(NEXT) | instid1(VALU_DEP_2)
	v_fma_f64 v[30:31], v[4:5], v[6:7], v[30:31]
	v_fma_f64 v[32:33], v[2:3], v[6:7], -v[8:9]
	ds_load_b128 v[2:5], v1 offset:1264
	s_waitcnt vmcnt(3) lgkmcnt(0)
	v_mul_f64 v[6:7], v[2:3], v[12:13]
	v_mul_f64 v[8:9], v[4:5], v[12:13]
	s_delay_alu instid0(VALU_DEP_2) | instskip(NEXT) | instid1(VALU_DEP_2)
	v_fma_f64 v[12:13], v[4:5], v[10:11], v[6:7]
	v_fma_f64 v[10:11], v[2:3], v[10:11], -v[8:9]
	;; [unrolled: 7-line block ×5, first 2 shown]
	scratch_load_b128 v[2:5], off, off offset:320
	ds_load_b128 v[6:9], v1 offset:1328
	s_waitcnt vmcnt(0) lgkmcnt(0)
	v_mul_f64 v[14:15], v[6:7], v[4:5]
	v_mul_f64 v[4:5], v[8:9], v[4:5]
	s_delay_alu instid0(VALU_DEP_2) | instskip(NEXT) | instid1(VALU_DEP_2)
	v_fma_f64 v[46:47], v[8:9], v[2:3], v[14:15]
	v_fma_f64 v[48:49], v[6:7], v[2:3], -v[4:5]
	scratch_load_b128 v[2:5], off, off offset:336
	ds_load_b128 v[6:9], v1 offset:1344
	s_waitcnt vmcnt(0) lgkmcnt(0)
	v_mul_f64 v[14:15], v[6:7], v[4:5]
	v_mul_f64 v[4:5], v[8:9], v[4:5]
	s_delay_alu instid0(VALU_DEP_2) | instskip(NEXT) | instid1(VALU_DEP_2)
	v_fma_f64 v[52:53], v[8:9], v[2:3], v[14:15]
	v_fma_f64 v[54:55], v[6:7], v[2:3], -v[4:5]
	;; [unrolled: 8-line block ×40, first 2 shown]
	v_add_f64 v[2:3], v[26:27], 0
	v_add_f64 v[4:5], v[28:29], 0
	scratch_load_b128 v[6:9], off, off offset:976
	v_add_f64 v[2:3], v[2:3], v[32:33]
	v_add_f64 v[4:5], v[4:5], v[30:31]
	s_delay_alu instid0(VALU_DEP_2) | instskip(NEXT) | instid1(VALU_DEP_2)
	v_add_f64 v[2:3], v[2:3], v[10:11]
	v_add_f64 v[4:5], v[4:5], v[12:13]
	scratch_load_b128 v[10:13], off, off offset:960
	v_add_f64 v[2:3], v[2:3], v[36:37]
	v_add_f64 v[4:5], v[4:5], v[34:35]
	s_delay_alu instid0(VALU_DEP_2) | instskip(NEXT) | instid1(VALU_DEP_2)
	v_add_f64 v[2:3], v[2:3], v[40:41]
	v_add_f64 v[4:5], v[4:5], v[38:39]
	s_delay_alu instid0(VALU_DEP_2) | instskip(NEXT) | instid1(VALU_DEP_2)
	;; [unrolled: 3-line block ×38, first 2 shown]
	v_add_f64 v[26:27], v[2:3], v[253:254]
	v_add_f64 v[30:31], v[4:5], v[251:252]
	scratch_load_b128 v[2:5], off, off offset:992
	v_add_f64 v[28:29], v[26:27], v[116:117]
	v_add_f64 v[26:27], v[30:31], v[114:115]
	scratch_load_b128 v[30:33], off, off offset:208
	v_add_f64 v[22:23], v[28:29], v[22:23]
	v_add_f64 v[18:19], v[26:27], v[18:19]
	ds_load_b128 v[26:29], v1 offset:1968
	v_add_f64 v[22:23], v[22:23], v[24:25]
	v_add_f64 v[18:19], v[18:19], v[20:21]
	s_delay_alu instid0(VALU_DEP_2) | instskip(NEXT) | instid1(VALU_DEP_2)
	v_add_f64 v[22:23], v[22:23], v[16:17]
	v_add_f64 v[18:19], v[18:19], v[14:15]
	ds_load_b128 v[14:17], v1 offset:2000
	s_waitcnt vmcnt(2) lgkmcnt(1)
	v_mul_f64 v[24:25], v[26:27], v[12:13]
	v_mul_f64 v[12:13], v[28:29], v[12:13]
	s_delay_alu instid0(VALU_DEP_2) | instskip(NEXT) | instid1(VALU_DEP_2)
	v_fma_f64 v[20:21], v[28:29], v[10:11], v[24:25]
	v_fma_f64 v[24:25], v[26:27], v[10:11], -v[12:13]
	ds_load_b128 v[10:13], v1 offset:1984
	s_waitcnt lgkmcnt(0)
	v_mul_f64 v[26:27], v[10:11], v[8:9]
	v_mul_f64 v[8:9], v[12:13], v[8:9]
	v_add_f64 v[18:19], v[18:19], v[20:21]
	s_delay_alu instid0(VALU_DEP_3) | instskip(NEXT) | instid1(VALU_DEP_3)
	v_fma_f64 v[12:13], v[12:13], v[6:7], v[26:27]
	v_fma_f64 v[6:7], v[10:11], v[6:7], -v[8:9]
	v_add_f64 v[10:11], v[22:23], v[24:25]
	s_waitcnt vmcnt(1)
	v_mul_f64 v[8:9], v[14:15], v[4:5]
	v_mul_f64 v[4:5], v[16:17], v[4:5]
	s_delay_alu instid0(VALU_DEP_2) | instskip(NEXT) | instid1(VALU_DEP_2)
	v_fma_f64 v[8:9], v[16:17], v[2:3], v[8:9]
	v_fma_f64 v[2:3], v[14:15], v[2:3], -v[4:5]
	v_add_f64 v[4:5], v[10:11], v[6:7]
	v_add_f64 v[6:7], v[18:19], v[12:13]
	s_delay_alu instid0(VALU_DEP_2) | instskip(NEXT) | instid1(VALU_DEP_2)
	v_add_f64 v[2:3], v[4:5], v[2:3]
	v_add_f64 v[4:5], v[6:7], v[8:9]
	s_waitcnt vmcnt(0)
	s_delay_alu instid0(VALU_DEP_2) | instskip(NEXT) | instid1(VALU_DEP_2)
	v_add_f64 v[2:3], v[30:31], -v[2:3]
	v_add_f64 v[4:5], v[32:33], -v[4:5]
	scratch_store_b128 off, v[2:5], off offset:208
	v_cmpx_lt_u32_e32 12, v176
	s_cbranch_execz .LBB62_379
; %bb.378:
	scratch_load_b32 v2, off, off offset:1132 ; 4-byte Folded Reload
	v_mov_b32_e32 v3, v1
	v_mov_b32_e32 v4, v1
	s_waitcnt vmcnt(0)
	scratch_load_b128 v[5:8], v2, off
	v_mov_b32_e32 v2, v1
	scratch_store_b128 off, v[1:4], off offset:192
	s_waitcnt vmcnt(0)
	ds_store_b128 v255, v[5:8]
.LBB62_379:
	s_or_b32 exec_lo, exec_lo, s2
	s_waitcnt lgkmcnt(0)
	s_waitcnt_vscnt null, 0x0
	s_barrier
	buffer_gl0_inv
	s_clause 0x8
	scratch_load_b128 v[34:37], off, off offset:208
	scratch_load_b128 v[38:41], off, off offset:224
	;; [unrolled: 1-line block ×9, first 2 shown]
	ds_load_b128 v[46:49], v1 offset:1216
	ds_load_b128 v[42:45], v1 offset:1232
	s_clause 0x1
	scratch_load_b128 v[2:5], off, off offset:192
	scratch_load_b128 v[52:55], off, off offset:352
	s_mov_b32 s2, exec_lo
	s_waitcnt vmcnt(10) lgkmcnt(1)
	v_mul_f64 v[56:57], v[48:49], v[36:37]
	v_mul_f64 v[36:37], v[46:47], v[36:37]
	s_waitcnt vmcnt(9) lgkmcnt(0)
	v_mul_f64 v[60:61], v[42:43], v[40:41]
	v_mul_f64 v[40:41], v[44:45], v[40:41]
	s_delay_alu instid0(VALU_DEP_4) | instskip(NEXT) | instid1(VALU_DEP_4)
	v_fma_f64 v[62:63], v[46:47], v[34:35], -v[56:57]
	v_fma_f64 v[64:65], v[48:49], v[34:35], v[36:37]
	ds_load_b128 v[34:37], v1 offset:1248
	ds_load_b128 v[56:59], v1 offset:1264
	scratch_load_b128 v[46:49], off, off offset:368
	v_fma_f64 v[44:45], v[44:45], v[38:39], v[60:61]
	v_fma_f64 v[42:43], v[42:43], v[38:39], -v[40:41]
	scratch_load_b128 v[38:41], off, off offset:384
	s_waitcnt vmcnt(10) lgkmcnt(1)
	v_mul_f64 v[66:67], v[34:35], v[32:33]
	v_mul_f64 v[32:33], v[36:37], v[32:33]
	s_waitcnt vmcnt(9) lgkmcnt(0)
	v_mul_f64 v[68:69], v[58:59], v[28:29]
	v_add_f64 v[60:61], v[62:63], 0
	v_add_f64 v[62:63], v[64:65], 0
	v_mul_f64 v[64:65], v[56:57], v[28:29]
	v_fma_f64 v[36:37], v[36:37], v[30:31], v[66:67]
	v_fma_f64 v[66:67], v[34:35], v[30:31], -v[32:33]
	ds_load_b128 v[28:31], v1 offset:1280
	scratch_load_b128 v[32:35], off, off offset:400
	v_fma_f64 v[56:57], v[56:57], v[26:27], -v[68:69]
	v_add_f64 v[60:61], v[60:61], v[42:43]
	v_add_f64 v[62:63], v[62:63], v[44:45]
	ds_load_b128 v[42:45], v1 offset:1296
	v_fma_f64 v[58:59], v[58:59], v[26:27], v[64:65]
	s_waitcnt vmcnt(9) lgkmcnt(1)
	v_mul_f64 v[70:71], v[28:29], v[24:25]
	v_mul_f64 v[72:73], v[30:31], v[24:25]
	scratch_load_b128 v[24:27], off, off offset:416
	s_waitcnt vmcnt(9) lgkmcnt(0)
	v_mul_f64 v[64:65], v[44:45], v[20:21]
	v_add_f64 v[60:61], v[60:61], v[66:67]
	v_add_f64 v[36:37], v[62:63], v[36:37]
	v_mul_f64 v[62:63], v[42:43], v[20:21]
	v_fma_f64 v[66:67], v[30:31], v[22:23], v[70:71]
	v_fma_f64 v[68:69], v[28:29], v[22:23], -v[72:73]
	ds_load_b128 v[20:23], v1 offset:1312
	scratch_load_b128 v[28:31], off, off offset:432
	v_fma_f64 v[42:43], v[42:43], v[18:19], -v[64:65]
	v_add_f64 v[60:61], v[60:61], v[56:57]
	v_add_f64 v[36:37], v[36:37], v[58:59]
	ds_load_b128 v[56:59], v1 offset:1328
	s_waitcnt vmcnt(9) lgkmcnt(1)
	v_mul_f64 v[70:71], v[20:21], v[16:17]
	v_mul_f64 v[72:73], v[22:23], v[16:17]
	v_fma_f64 v[44:45], v[44:45], v[18:19], v[62:63]
	scratch_load_b128 v[16:19], off, off offset:448
	s_waitcnt vmcnt(9) lgkmcnt(0)
	v_mul_f64 v[62:63], v[56:57], v[12:13]
	v_mul_f64 v[64:65], v[58:59], v[12:13]
	v_add_f64 v[60:61], v[60:61], v[68:69]
	v_add_f64 v[36:37], v[36:37], v[66:67]
	v_fma_f64 v[66:67], v[22:23], v[14:15], v[70:71]
	v_fma_f64 v[68:69], v[20:21], v[14:15], -v[72:73]
	ds_load_b128 v[12:15], v1 offset:1344
	scratch_load_b128 v[20:23], off, off offset:464
	v_fma_f64 v[58:59], v[58:59], v[10:11], v[62:63]
	v_fma_f64 v[56:57], v[56:57], v[10:11], -v[64:65]
	v_add_f64 v[60:61], v[60:61], v[42:43]
	v_add_f64 v[36:37], v[36:37], v[44:45]
	ds_load_b128 v[42:45], v1 offset:1360
	s_waitcnt vmcnt(9) lgkmcnt(1)
	v_mul_f64 v[70:71], v[12:13], v[8:9]
	v_mul_f64 v[72:73], v[14:15], v[8:9]
	scratch_load_b128 v[8:11], off, off offset:480
	s_waitcnt vmcnt(8) lgkmcnt(0)
	v_mul_f64 v[62:63], v[42:43], v[54:55]
	v_mul_f64 v[64:65], v[44:45], v[54:55]
	v_add_f64 v[60:61], v[60:61], v[68:69]
	v_add_f64 v[36:37], v[36:37], v[66:67]
	v_fma_f64 v[66:67], v[14:15], v[6:7], v[70:71]
	v_fma_f64 v[6:7], v[12:13], v[6:7], -v[72:73]
	ds_load_b128 v[12:15], v1 offset:1376
	v_fma_f64 v[62:63], v[44:45], v[52:53], v[62:63]
	v_fma_f64 v[52:53], v[42:43], v[52:53], -v[64:65]
	scratch_load_b128 v[42:45], off, off offset:512
	v_add_f64 v[68:69], v[60:61], v[56:57]
	v_add_f64 v[36:37], v[36:37], v[58:59]
	ds_load_b128 v[58:61], v1 offset:1392
	scratch_load_b128 v[54:57], off, off offset:496
	s_waitcnt vmcnt(9) lgkmcnt(1)
	v_mul_f64 v[70:71], v[12:13], v[48:49]
	v_mul_f64 v[48:49], v[14:15], v[48:49]
	v_add_f64 v[6:7], v[68:69], v[6:7]
	v_add_f64 v[36:37], v[36:37], v[66:67]
	s_waitcnt vmcnt(8) lgkmcnt(0)
	v_mul_f64 v[66:67], v[58:59], v[40:41]
	v_mul_f64 v[40:41], v[60:61], v[40:41]
	v_fma_f64 v[68:69], v[14:15], v[46:47], v[70:71]
	v_fma_f64 v[70:71], v[12:13], v[46:47], -v[48:49]
	ds_load_b128 v[12:15], v1 offset:1408
	scratch_load_b128 v[46:49], off, off offset:528
	v_add_f64 v[6:7], v[6:7], v[52:53]
	v_add_f64 v[36:37], v[36:37], v[62:63]
	ds_load_b128 v[62:65], v1 offset:1424
	v_fma_f64 v[60:61], v[60:61], v[38:39], v[66:67]
	s_waitcnt vmcnt(8) lgkmcnt(1)
	v_mul_f64 v[52:53], v[12:13], v[34:35]
	v_mul_f64 v[72:73], v[14:15], v[34:35]
	v_fma_f64 v[38:39], v[58:59], v[38:39], -v[40:41]
	s_waitcnt vmcnt(7) lgkmcnt(0)
	v_mul_f64 v[66:67], v[62:63], v[26:27]
	v_mul_f64 v[26:27], v[64:65], v[26:27]
	v_add_f64 v[6:7], v[6:7], v[70:71]
	v_add_f64 v[40:41], v[36:37], v[68:69]
	scratch_load_b128 v[34:37], off, off offset:544
	v_fma_f64 v[52:53], v[14:15], v[32:33], v[52:53]
	v_fma_f64 v[32:33], v[12:13], v[32:33], -v[72:73]
	ds_load_b128 v[12:15], v1 offset:1440
	v_fma_f64 v[64:65], v[64:65], v[24:25], v[66:67]
	v_fma_f64 v[62:63], v[62:63], v[24:25], -v[26:27]
	scratch_load_b128 v[24:27], off, off offset:576
	v_add_f64 v[6:7], v[6:7], v[38:39]
	v_add_f64 v[68:69], v[40:41], v[60:61]
	ds_load_b128 v[58:61], v1 offset:1456
	scratch_load_b128 v[38:41], off, off offset:560
	s_waitcnt vmcnt(9) lgkmcnt(1)
	v_mul_f64 v[70:71], v[12:13], v[30:31]
	v_mul_f64 v[30:31], v[14:15], v[30:31]
	v_add_f64 v[6:7], v[6:7], v[32:33]
	v_add_f64 v[32:33], v[68:69], v[52:53]
	s_waitcnt vmcnt(8) lgkmcnt(0)
	v_mul_f64 v[52:53], v[58:59], v[18:19]
	v_mul_f64 v[18:19], v[60:61], v[18:19]
	v_fma_f64 v[66:67], v[14:15], v[28:29], v[70:71]
	v_fma_f64 v[68:69], v[12:13], v[28:29], -v[30:31]
	ds_load_b128 v[12:15], v1 offset:1472
	scratch_load_b128 v[28:31], off, off offset:592
	v_add_f64 v[6:7], v[6:7], v[62:63]
	v_add_f64 v[32:33], v[32:33], v[64:65]
	ds_load_b128 v[62:65], v1 offset:1488
	s_waitcnt vmcnt(8) lgkmcnt(1)
	v_mul_f64 v[70:71], v[12:13], v[22:23]
	v_mul_f64 v[22:23], v[14:15], v[22:23]
	v_fma_f64 v[52:53], v[60:61], v[16:17], v[52:53]
	v_fma_f64 v[58:59], v[58:59], v[16:17], -v[18:19]
	scratch_load_b128 v[16:19], off, off offset:608
	v_add_f64 v[6:7], v[6:7], v[68:69]
	v_add_f64 v[32:33], v[32:33], v[66:67]
	s_waitcnt vmcnt(8) lgkmcnt(0)
	v_mul_f64 v[66:67], v[62:63], v[10:11]
	v_mul_f64 v[68:69], v[64:65], v[10:11]
	v_fma_f64 v[14:15], v[14:15], v[20:21], v[70:71]
	v_fma_f64 v[70:71], v[12:13], v[20:21], -v[22:23]
	ds_load_b128 v[10:13], v1 offset:1504
	scratch_load_b128 v[20:23], off, off offset:624
	v_add_f64 v[6:7], v[6:7], v[58:59]
	v_add_f64 v[32:33], v[32:33], v[52:53]
	ds_load_b128 v[58:61], v1 offset:1520
	v_fma_f64 v[64:65], v[64:65], v[8:9], v[66:67]
	v_fma_f64 v[62:63], v[62:63], v[8:9], -v[68:69]
	s_waitcnt vmcnt(7) lgkmcnt(1)
	v_mul_f64 v[52:53], v[10:11], v[56:57]
	v_mul_f64 v[56:57], v[12:13], v[56:57]
	v_add_f64 v[66:67], v[6:7], v[70:71]
	scratch_load_b128 v[6:9], off, off offset:640
	v_add_f64 v[14:15], v[32:33], v[14:15]
	s_waitcnt lgkmcnt(0)
	v_mul_f64 v[32:33], v[58:59], v[44:45]
	v_mul_f64 v[44:45], v[60:61], v[44:45]
	v_fma_f64 v[68:69], v[12:13], v[54:55], v[52:53]
	v_fma_f64 v[56:57], v[10:11], v[54:55], -v[56:57]
	ds_load_b128 v[10:13], v1 offset:1536
	scratch_load_b128 v[52:55], off, off offset:656
	v_add_f64 v[66:67], v[66:67], v[62:63]
	v_add_f64 v[14:15], v[14:15], v[64:65]
	ds_load_b128 v[62:65], v1 offset:1552
	s_waitcnt vmcnt(8) lgkmcnt(1)
	v_mul_f64 v[70:71], v[10:11], v[48:49]
	v_mul_f64 v[48:49], v[12:13], v[48:49]
	v_fma_f64 v[32:33], v[60:61], v[42:43], v[32:33]
	v_fma_f64 v[58:59], v[58:59], v[42:43], -v[44:45]
	scratch_load_b128 v[42:45], off, off offset:672
	v_add_f64 v[56:57], v[66:67], v[56:57]
	v_add_f64 v[14:15], v[14:15], v[68:69]
	v_fma_f64 v[66:67], v[12:13], v[46:47], v[70:71]
	v_fma_f64 v[68:69], v[10:11], v[46:47], -v[48:49]
	ds_load_b128 v[10:13], v1 offset:1568
	scratch_load_b128 v[46:49], off, off offset:688
	s_waitcnt vmcnt(9) lgkmcnt(1)
	v_mul_f64 v[60:61], v[62:63], v[36:37]
	v_mul_f64 v[36:37], v[64:65], v[36:37]
	v_add_f64 v[70:71], v[56:57], v[58:59]
	ds_load_b128 v[56:59], v1 offset:1584
	v_add_f64 v[14:15], v[14:15], v[32:33]
	v_fma_f64 v[60:61], v[64:65], v[34:35], v[60:61]
	s_waitcnt vmcnt(7) lgkmcnt(1)
	v_mul_f64 v[72:73], v[10:11], v[40:41]
	v_mul_f64 v[40:41], v[12:13], v[40:41]
	v_fma_f64 v[36:37], v[62:63], v[34:35], -v[36:37]
	scratch_load_b128 v[32:35], off, off offset:704
	s_waitcnt lgkmcnt(0)
	v_mul_f64 v[64:65], v[56:57], v[26:27]
	v_mul_f64 v[26:27], v[58:59], v[26:27]
	v_add_f64 v[62:63], v[70:71], v[68:69]
	v_add_f64 v[14:15], v[14:15], v[66:67]
	v_fma_f64 v[66:67], v[12:13], v[38:39], v[72:73]
	v_fma_f64 v[40:41], v[10:11], v[38:39], -v[40:41]
	ds_load_b128 v[10:13], v1 offset:1600
	v_fma_f64 v[58:59], v[58:59], v[24:25], v[64:65]
	v_fma_f64 v[56:57], v[56:57], v[24:25], -v[26:27]
	scratch_load_b128 v[24:27], off, off offset:736
	v_add_f64 v[68:69], v[62:63], v[36:37]
	scratch_load_b128 v[36:39], off, off offset:720
	v_add_f64 v[14:15], v[14:15], v[60:61]
	ds_load_b128 v[60:63], v1 offset:1616
	s_waitcnt vmcnt(9) lgkmcnt(1)
	v_mul_f64 v[70:71], v[10:11], v[30:31]
	v_mul_f64 v[30:31], v[12:13], v[30:31]
	s_waitcnt vmcnt(8) lgkmcnt(0)
	v_mul_f64 v[64:65], v[60:61], v[18:19]
	v_mul_f64 v[18:19], v[62:63], v[18:19]
	v_add_f64 v[40:41], v[68:69], v[40:41]
	v_add_f64 v[14:15], v[14:15], v[66:67]
	v_fma_f64 v[66:67], v[12:13], v[28:29], v[70:71]
	v_fma_f64 v[68:69], v[10:11], v[28:29], -v[30:31]
	ds_load_b128 v[10:13], v1 offset:1632
	scratch_load_b128 v[28:31], off, off offset:752
	v_fma_f64 v[62:63], v[62:63], v[16:17], v[64:65]
	v_fma_f64 v[18:19], v[60:61], v[16:17], -v[18:19]
	v_add_f64 v[40:41], v[40:41], v[56:57]
	v_add_f64 v[14:15], v[14:15], v[58:59]
	ds_load_b128 v[56:59], v1 offset:1648
	s_waitcnt vmcnt(8) lgkmcnt(1)
	v_mul_f64 v[70:71], v[10:11], v[22:23]
	v_mul_f64 v[22:23], v[12:13], v[22:23]
	v_add_f64 v[40:41], v[40:41], v[68:69]
	v_add_f64 v[60:61], v[14:15], v[66:67]
	scratch_load_b128 v[14:17], off, off offset:768
	v_fma_f64 v[12:13], v[12:13], v[20:21], v[70:71]
	v_fma_f64 v[22:23], v[10:11], v[20:21], -v[22:23]
	s_waitcnt vmcnt(8) lgkmcnt(0)
	v_mul_f64 v[64:65], v[56:57], v[8:9]
	v_mul_f64 v[66:67], v[58:59], v[8:9]
	ds_load_b128 v[8:11], v1 offset:1664
	v_add_f64 v[40:41], v[40:41], v[18:19]
	scratch_load_b128 v[18:21], off, off offset:784
	v_add_f64 v[68:69], v[60:61], v[62:63]
	ds_load_b128 v[60:63], v1 offset:1680
	s_waitcnt vmcnt(8) lgkmcnt(1)
	v_mul_f64 v[70:71], v[8:9], v[54:55]
	v_mul_f64 v[72:73], v[10:11], v[54:55]
	v_fma_f64 v[58:59], v[58:59], v[6:7], v[64:65]
	v_fma_f64 v[6:7], v[56:57], v[6:7], -v[66:67]
	scratch_load_b128 v[54:57], off, off offset:800
	ds_load_b128 v[64:67], v1 offset:1712
	v_add_f64 v[22:23], v[40:41], v[22:23]
	s_waitcnt vmcnt(8) lgkmcnt(1)
	v_mul_f64 v[40:41], v[60:61], v[44:45]
	v_add_f64 v[12:13], v[68:69], v[12:13]
	v_mul_f64 v[44:45], v[62:63], v[44:45]
	v_fma_f64 v[68:69], v[10:11], v[52:53], v[70:71]
	v_fma_f64 v[52:53], v[8:9], v[52:53], -v[72:73]
	v_add_f64 v[22:23], v[22:23], v[6:7]
	ds_load_b128 v[6:9], v1 offset:1696
	v_add_f64 v[58:59], v[12:13], v[58:59]
	scratch_load_b128 v[10:13], off, off offset:816
	v_fma_f64 v[62:63], v[62:63], v[42:43], v[40:41]
	v_fma_f64 v[44:45], v[60:61], v[42:43], -v[44:45]
	scratch_load_b128 v[40:43], off, off offset:832
	s_waitcnt vmcnt(9) lgkmcnt(0)
	v_mul_f64 v[70:71], v[6:7], v[48:49]
	v_mul_f64 v[48:49], v[8:9], v[48:49]
	v_add_f64 v[22:23], v[22:23], v[52:53]
	v_add_f64 v[52:53], v[58:59], v[68:69]
	s_waitcnt vmcnt(8)
	v_mul_f64 v[68:69], v[64:65], v[34:35]
	v_mul_f64 v[34:35], v[66:67], v[34:35]
	ds_load_b128 v[58:61], v1 offset:1744
	v_fma_f64 v[70:71], v[8:9], v[46:47], v[70:71]
	v_fma_f64 v[48:49], v[6:7], v[46:47], -v[48:49]
	ds_load_b128 v[6:9], v1 offset:1728
	v_add_f64 v[22:23], v[22:23], v[44:45]
	scratch_load_b128 v[44:47], off, off offset:848
	v_add_f64 v[52:53], v[52:53], v[62:63]
	v_fma_f64 v[66:67], v[66:67], v[32:33], v[68:69]
	v_fma_f64 v[64:65], v[64:65], v[32:33], -v[34:35]
	scratch_load_b128 v[32:35], off, off offset:864
	s_waitcnt vmcnt(8) lgkmcnt(0)
	v_mul_f64 v[62:63], v[6:7], v[38:39]
	v_mul_f64 v[38:39], v[8:9], v[38:39]
	v_add_f64 v[22:23], v[22:23], v[48:49]
	v_add_f64 v[48:49], v[52:53], v[70:71]
	v_mul_f64 v[52:53], v[58:59], v[26:27]
	v_mul_f64 v[26:27], v[60:61], v[26:27]
	v_fma_f64 v[68:69], v[8:9], v[36:37], v[62:63]
	v_fma_f64 v[70:71], v[6:7], v[36:37], -v[38:39]
	ds_load_b128 v[6:9], v1 offset:1760
	scratch_load_b128 v[36:39], off, off offset:880
	v_add_f64 v[22:23], v[22:23], v[64:65]
	ds_load_b128 v[62:65], v1 offset:1776
	v_add_f64 v[48:49], v[48:49], v[66:67]
	s_waitcnt vmcnt(8) lgkmcnt(1)
	v_mul_f64 v[66:67], v[6:7], v[30:31]
	v_mul_f64 v[30:31], v[8:9], v[30:31]
	v_fma_f64 v[52:53], v[60:61], v[24:25], v[52:53]
	v_fma_f64 v[26:27], v[58:59], v[24:25], -v[26:27]
	v_add_f64 v[58:59], v[22:23], v[70:71]
	scratch_load_b128 v[22:25], off, off offset:896
	v_add_f64 v[48:49], v[48:49], v[68:69]
	v_fma_f64 v[66:67], v[8:9], v[28:29], v[66:67]
	v_fma_f64 v[30:31], v[6:7], v[28:29], -v[30:31]
	ds_load_b128 v[6:9], v1 offset:1792
	s_waitcnt vmcnt(8) lgkmcnt(1)
	v_mul_f64 v[68:69], v[62:63], v[16:17]
	v_mul_f64 v[16:17], v[64:65], v[16:17]
	v_add_f64 v[70:71], v[58:59], v[26:27]
	ds_load_b128 v[58:61], v1 offset:1808
	v_add_f64 v[48:49], v[48:49], v[52:53]
	scratch_load_b128 v[26:29], off, off offset:912
	s_waitcnt vmcnt(8) lgkmcnt(1)
	v_mul_f64 v[52:53], v[6:7], v[20:21]
	v_mul_f64 v[20:21], v[8:9], v[20:21]
	v_fma_f64 v[64:65], v[64:65], v[14:15], v[68:69]
	v_fma_f64 v[62:63], v[62:63], v[14:15], -v[16:17]
	scratch_load_b128 v[14:17], off, off offset:928
	v_add_f64 v[30:31], v[70:71], v[30:31]
	v_add_f64 v[48:49], v[48:49], v[66:67]
	s_waitcnt vmcnt(8) lgkmcnt(0)
	v_mul_f64 v[66:67], v[58:59], v[56:57]
	v_mul_f64 v[56:57], v[60:61], v[56:57]
	v_fma_f64 v[52:53], v[8:9], v[18:19], v[52:53]
	v_fma_f64 v[68:69], v[6:7], v[18:19], -v[20:21]
	ds_load_b128 v[6:9], v1 offset:1824
	scratch_load_b128 v[18:21], off, off offset:944
	v_add_f64 v[30:31], v[30:31], v[62:63]
	v_add_f64 v[48:49], v[48:49], v[64:65]
	ds_load_b128 v[62:65], v1 offset:1840
	v_fma_f64 v[60:61], v[60:61], v[54:55], v[66:67]
	v_fma_f64 v[56:57], v[58:59], v[54:55], -v[56:57]
	s_waitcnt vmcnt(8) lgkmcnt(1)
	v_mul_f64 v[70:71], v[6:7], v[12:13]
	v_mul_f64 v[12:13], v[8:9], v[12:13]
	s_waitcnt vmcnt(7) lgkmcnt(0)
	v_mul_f64 v[66:67], v[62:63], v[42:43]
	v_mul_f64 v[42:43], v[64:65], v[42:43]
	v_add_f64 v[30:31], v[30:31], v[68:69]
	v_add_f64 v[48:49], v[48:49], v[52:53]
	scratch_load_b128 v[52:55], off, off offset:960
	v_fma_f64 v[68:69], v[8:9], v[10:11], v[70:71]
	v_fma_f64 v[70:71], v[6:7], v[10:11], -v[12:13]
	ds_load_b128 v[6:9], v1 offset:1856
	scratch_load_b128 v[10:13], off, off offset:976
	v_fma_f64 v[64:65], v[64:65], v[40:41], v[66:67]
	v_fma_f64 v[62:63], v[62:63], v[40:41], -v[42:43]
	scratch_load_b128 v[40:43], off, off offset:992
	v_add_f64 v[30:31], v[30:31], v[56:57]
	ds_load_b128 v[56:59], v1 offset:1872
	v_add_f64 v[48:49], v[48:49], v[60:61]
	s_waitcnt vmcnt(9) lgkmcnt(1)
	v_mul_f64 v[60:61], v[6:7], v[46:47]
	v_mul_f64 v[46:47], v[8:9], v[46:47]
	s_waitcnt vmcnt(8) lgkmcnt(0)
	v_mul_f64 v[66:67], v[56:57], v[34:35]
	v_mul_f64 v[34:35], v[58:59], v[34:35]
	v_add_f64 v[30:31], v[30:31], v[70:71]
	v_add_f64 v[48:49], v[48:49], v[68:69]
	v_fma_f64 v[60:61], v[8:9], v[44:45], v[60:61]
	v_fma_f64 v[68:69], v[6:7], v[44:45], -v[46:47]
	ds_load_b128 v[6:9], v1 offset:1888
	ds_load_b128 v[44:47], v1 offset:1904
	v_fma_f64 v[58:59], v[58:59], v[32:33], v[66:67]
	v_fma_f64 v[32:33], v[56:57], v[32:33], -v[34:35]
	v_add_f64 v[30:31], v[30:31], v[62:63]
	s_waitcnt vmcnt(7) lgkmcnt(1)
	v_mul_f64 v[62:63], v[6:7], v[38:39]
	v_add_f64 v[48:49], v[48:49], v[64:65]
	v_mul_f64 v[38:39], v[8:9], v[38:39]
	s_delay_alu instid0(VALU_DEP_4) | instskip(NEXT) | instid1(VALU_DEP_4)
	v_add_f64 v[30:31], v[30:31], v[68:69]
	v_fma_f64 v[56:57], v[8:9], v[36:37], v[62:63]
	s_delay_alu instid0(VALU_DEP_4) | instskip(NEXT) | instid1(VALU_DEP_4)
	v_add_f64 v[34:35], v[48:49], v[60:61]
	v_fma_f64 v[36:37], v[6:7], v[36:37], -v[38:39]
	s_waitcnt vmcnt(6) lgkmcnt(0)
	v_mul_f64 v[48:49], v[44:45], v[24:25]
	v_mul_f64 v[24:25], v[46:47], v[24:25]
	v_add_f64 v[38:39], v[30:31], v[32:33]
	ds_load_b128 v[6:9], v1 offset:1920
	ds_load_b128 v[30:33], v1 offset:1936
	v_add_f64 v[34:35], v[34:35], v[58:59]
	v_fma_f64 v[46:47], v[46:47], v[22:23], v[48:49]
	v_fma_f64 v[22:23], v[44:45], v[22:23], -v[24:25]
	s_waitcnt vmcnt(5) lgkmcnt(1)
	v_mul_f64 v[58:59], v[6:7], v[28:29]
	v_mul_f64 v[28:29], v[8:9], v[28:29]
	v_add_f64 v[24:25], v[38:39], v[36:37]
	s_waitcnt vmcnt(4) lgkmcnt(0)
	v_mul_f64 v[36:37], v[30:31], v[16:17]
	v_add_f64 v[34:35], v[34:35], v[56:57]
	v_mul_f64 v[16:17], v[32:33], v[16:17]
	v_fma_f64 v[38:39], v[8:9], v[26:27], v[58:59]
	v_fma_f64 v[26:27], v[6:7], v[26:27], -v[28:29]
	v_add_f64 v[28:29], v[24:25], v[22:23]
	ds_load_b128 v[6:9], v1 offset:1952
	ds_load_b128 v[22:25], v1 offset:1968
	v_add_f64 v[34:35], v[34:35], v[46:47]
	v_fma_f64 v[32:33], v[32:33], v[14:15], v[36:37]
	v_fma_f64 v[14:15], v[30:31], v[14:15], -v[16:17]
	s_waitcnt vmcnt(3) lgkmcnt(1)
	v_mul_f64 v[44:45], v[6:7], v[20:21]
	v_mul_f64 v[20:21], v[8:9], v[20:21]
	v_add_f64 v[16:17], v[28:29], v[26:27]
	v_add_f64 v[26:27], v[34:35], v[38:39]
	s_waitcnt vmcnt(2) lgkmcnt(0)
	v_mul_f64 v[28:29], v[22:23], v[54:55]
	v_mul_f64 v[30:31], v[24:25], v[54:55]
	v_fma_f64 v[34:35], v[8:9], v[18:19], v[44:45]
	v_fma_f64 v[18:19], v[6:7], v[18:19], -v[20:21]
	v_add_f64 v[20:21], v[16:17], v[14:15]
	ds_load_b128 v[6:9], v1 offset:1984
	ds_load_b128 v[14:17], v1 offset:2000
	v_add_f64 v[26:27], v[26:27], v[32:33]
	v_fma_f64 v[24:25], v[24:25], v[52:53], v[28:29]
	s_waitcnt vmcnt(1) lgkmcnt(1)
	v_mul_f64 v[32:33], v[6:7], v[12:13]
	v_mul_f64 v[12:13], v[8:9], v[12:13]
	v_fma_f64 v[22:23], v[22:23], v[52:53], -v[30:31]
	s_waitcnt vmcnt(0) lgkmcnt(0)
	v_mul_f64 v[28:29], v[16:17], v[42:43]
	v_add_f64 v[18:19], v[20:21], v[18:19]
	v_add_f64 v[20:21], v[26:27], v[34:35]
	v_mul_f64 v[26:27], v[14:15], v[42:43]
	v_fma_f64 v[8:9], v[8:9], v[10:11], v[32:33]
	v_fma_f64 v[6:7], v[6:7], v[10:11], -v[12:13]
	v_fma_f64 v[14:15], v[14:15], v[40:41], -v[28:29]
	v_add_f64 v[10:11], v[18:19], v[22:23]
	v_add_f64 v[12:13], v[20:21], v[24:25]
	v_fma_f64 v[16:17], v[16:17], v[40:41], v[26:27]
	s_delay_alu instid0(VALU_DEP_3) | instskip(NEXT) | instid1(VALU_DEP_3)
	v_add_f64 v[6:7], v[10:11], v[6:7]
	v_add_f64 v[8:9], v[12:13], v[8:9]
	s_delay_alu instid0(VALU_DEP_2) | instskip(NEXT) | instid1(VALU_DEP_2)
	v_add_f64 v[6:7], v[6:7], v[14:15]
	v_add_f64 v[8:9], v[8:9], v[16:17]
	s_delay_alu instid0(VALU_DEP_2) | instskip(NEXT) | instid1(VALU_DEP_2)
	v_add_f64 v[1:2], v[2:3], -v[6:7]
	v_add_f64 v[3:4], v[4:5], -v[8:9]
	scratch_store_b128 off, v[1:4], off offset:192
	v_cmpx_lt_u32_e32 11, v176
	s_cbranch_execz .LBB62_381
; %bb.380:
	scratch_load_b32 v1, off, off offset:1136 ; 4-byte Folded Reload
	v_mov_b32_e32 v5, 0
	s_delay_alu instid0(VALU_DEP_1)
	v_mov_b32_e32 v6, v5
	v_mov_b32_e32 v7, v5
	;; [unrolled: 1-line block ×3, first 2 shown]
	s_waitcnt vmcnt(0)
	scratch_load_b128 v[1:4], v1, off
	scratch_store_b128 off, v[5:8], off offset:176
	s_waitcnt vmcnt(0)
	ds_store_b128 v255, v[1:4]
.LBB62_381:
	s_or_b32 exec_lo, exec_lo, s2
	s_waitcnt lgkmcnt(0)
	s_waitcnt_vscnt null, 0x0
	s_barrier
	buffer_gl0_inv
	s_clause 0x7
	scratch_load_b128 v[34:37], off, off offset:192
	scratch_load_b128 v[38:41], off, off offset:208
	;; [unrolled: 1-line block ×8, first 2 shown]
	v_mov_b32_e32 v1, 0
	s_mov_b32 s2, exec_lo
	ds_load_b128 v[46:49], v1 offset:1200
	s_clause 0x1
	scratch_load_b128 v[14:17], off, off offset:320
	scratch_load_b128 v[2:5], off, off offset:176
	ds_load_b128 v[42:45], v1 offset:1216
	scratch_load_b128 v[52:55], off, off offset:336
	s_waitcnt vmcnt(10) lgkmcnt(1)
	v_mul_f64 v[56:57], v[48:49], v[36:37]
	v_mul_f64 v[36:37], v[46:47], v[36:37]
	s_delay_alu instid0(VALU_DEP_2) | instskip(NEXT) | instid1(VALU_DEP_2)
	v_fma_f64 v[62:63], v[46:47], v[34:35], -v[56:57]
	v_fma_f64 v[64:65], v[48:49], v[34:35], v[36:37]
	scratch_load_b128 v[46:49], off, off offset:352
	ds_load_b128 v[34:37], v1 offset:1232
	s_waitcnt vmcnt(10) lgkmcnt(1)
	v_mul_f64 v[60:61], v[42:43], v[40:41]
	v_mul_f64 v[40:41], v[44:45], v[40:41]
	ds_load_b128 v[56:59], v1 offset:1248
	s_waitcnt vmcnt(9) lgkmcnt(1)
	v_mul_f64 v[66:67], v[34:35], v[32:33]
	v_mul_f64 v[32:33], v[36:37], v[32:33]
	v_fma_f64 v[44:45], v[44:45], v[38:39], v[60:61]
	v_fma_f64 v[42:43], v[42:43], v[38:39], -v[40:41]
	v_add_f64 v[60:61], v[62:63], 0
	v_add_f64 v[62:63], v[64:65], 0
	scratch_load_b128 v[38:41], off, off offset:368
	v_fma_f64 v[36:37], v[36:37], v[30:31], v[66:67]
	v_fma_f64 v[66:67], v[34:35], v[30:31], -v[32:33]
	scratch_load_b128 v[32:35], off, off offset:384
	v_add_f64 v[60:61], v[60:61], v[42:43]
	v_add_f64 v[62:63], v[62:63], v[44:45]
	ds_load_b128 v[42:45], v1 offset:1280
	s_waitcnt vmcnt(10) lgkmcnt(1)
	v_mul_f64 v[64:65], v[56:57], v[28:29]
	v_mul_f64 v[68:69], v[58:59], v[28:29]
	ds_load_b128 v[28:31], v1 offset:1264
	v_add_f64 v[60:61], v[60:61], v[66:67]
	v_add_f64 v[36:37], v[62:63], v[36:37]
	s_waitcnt vmcnt(8) lgkmcnt(1)
	v_mul_f64 v[62:63], v[42:43], v[20:21]
	v_fma_f64 v[58:59], v[58:59], v[26:27], v[64:65]
	v_fma_f64 v[56:57], v[56:57], v[26:27], -v[68:69]
	v_mul_f64 v[64:65], v[44:45], v[20:21]
	s_delay_alu instid0(VALU_DEP_4) | instskip(NEXT) | instid1(VALU_DEP_4)
	v_fma_f64 v[62:63], v[44:45], v[18:19], v[62:63]
	v_add_f64 v[36:37], v[36:37], v[58:59]
	s_delay_alu instid0(VALU_DEP_4)
	v_add_f64 v[60:61], v[60:61], v[56:57]
	ds_load_b128 v[56:59], v1 offset:1312
	s_waitcnt lgkmcnt(1)
	v_mul_f64 v[70:71], v[28:29], v[24:25]
	v_mul_f64 v[72:73], v[30:31], v[24:25]
	scratch_load_b128 v[24:27], off, off offset:400
	v_fma_f64 v[18:19], v[42:43], v[18:19], -v[64:65]
	scratch_load_b128 v[42:45], off, off offset:432
	s_waitcnt vmcnt(8) lgkmcnt(0)
	v_mul_f64 v[64:65], v[56:57], v[8:9]
	v_fma_f64 v[66:67], v[30:31], v[22:23], v[70:71]
	v_fma_f64 v[68:69], v[28:29], v[22:23], -v[72:73]
	ds_load_b128 v[20:23], v1 offset:1296
	scratch_load_b128 v[28:31], off, off offset:416
	v_fma_f64 v[64:65], v[58:59], v[6:7], v[64:65]
	v_add_f64 v[36:37], v[36:37], v[66:67]
	v_add_f64 v[60:61], v[60:61], v[68:69]
	v_mul_f64 v[66:67], v[58:59], v[8:9]
	s_delay_alu instid0(VALU_DEP_3) | instskip(NEXT) | instid1(VALU_DEP_3)
	v_add_f64 v[36:37], v[36:37], v[62:63]
	v_add_f64 v[68:69], v[60:61], v[18:19]
	ds_load_b128 v[60:63], v1 offset:1344
	s_waitcnt lgkmcnt(1)
	v_mul_f64 v[70:71], v[20:21], v[12:13]
	v_mul_f64 v[12:13], v[22:23], v[12:13]
	v_fma_f64 v[6:7], v[56:57], v[6:7], -v[66:67]
	scratch_load_b128 v[56:59], off, off offset:464
	v_fma_f64 v[22:23], v[22:23], v[10:11], v[70:71]
	v_fma_f64 v[12:13], v[20:21], v[10:11], -v[12:13]
	ds_load_b128 v[8:11], v1 offset:1328
	scratch_load_b128 v[18:21], off, off offset:448
	s_waitcnt vmcnt(10) lgkmcnt(0)
	v_mul_f64 v[70:71], v[8:9], v[16:17]
	v_mul_f64 v[16:17], v[10:11], v[16:17]
	v_add_f64 v[22:23], v[36:37], v[22:23]
	v_add_f64 v[12:13], v[68:69], v[12:13]
	s_waitcnt vmcnt(8)
	v_mul_f64 v[36:37], v[60:61], v[54:55]
	v_mul_f64 v[54:55], v[62:63], v[54:55]
	v_fma_f64 v[66:67], v[10:11], v[14:15], v[70:71]
	v_fma_f64 v[68:69], v[8:9], v[14:15], -v[16:17]
	ds_load_b128 v[14:17], v1 offset:1376
	v_add_f64 v[22:23], v[22:23], v[64:65]
	v_add_f64 v[70:71], v[12:13], v[6:7]
	scratch_load_b128 v[10:13], off, off offset:480
	ds_load_b128 v[6:9], v1 offset:1360
	v_fma_f64 v[36:37], v[62:63], v[52:53], v[36:37]
	v_fma_f64 v[60:61], v[60:61], v[52:53], -v[54:55]
	scratch_load_b128 v[52:55], off, off offset:496
	s_waitcnt vmcnt(9) lgkmcnt(0)
	v_mul_f64 v[64:65], v[6:7], v[48:49]
	v_mul_f64 v[48:49], v[8:9], v[48:49]
	v_add_f64 v[22:23], v[22:23], v[66:67]
	v_add_f64 v[62:63], v[70:71], v[68:69]
	s_waitcnt vmcnt(8)
	v_mul_f64 v[66:67], v[14:15], v[40:41]
	v_mul_f64 v[40:41], v[16:17], v[40:41]
	v_fma_f64 v[64:65], v[8:9], v[46:47], v[64:65]
	v_fma_f64 v[68:69], v[6:7], v[46:47], -v[48:49]
	scratch_load_b128 v[46:49], off, off offset:512
	ds_load_b128 v[6:9], v1 offset:1392
	v_add_f64 v[22:23], v[22:23], v[36:37]
	v_add_f64 v[70:71], v[62:63], v[60:61]
	ds_load_b128 v[60:63], v1 offset:1408
	v_fma_f64 v[66:67], v[16:17], v[38:39], v[66:67]
	v_fma_f64 v[38:39], v[14:15], v[38:39], -v[40:41]
	scratch_load_b128 v[14:17], off, off offset:528
	s_waitcnt vmcnt(9) lgkmcnt(1)
	v_mul_f64 v[36:37], v[6:7], v[34:35]
	v_mul_f64 v[34:35], v[8:9], v[34:35]
	v_add_f64 v[22:23], v[22:23], v[64:65]
	v_add_f64 v[40:41], v[70:71], v[68:69]
	s_waitcnt vmcnt(8) lgkmcnt(0)
	v_mul_f64 v[64:65], v[60:61], v[26:27]
	v_mul_f64 v[26:27], v[62:63], v[26:27]
	v_fma_f64 v[68:69], v[8:9], v[32:33], v[36:37]
	v_fma_f64 v[70:71], v[6:7], v[32:33], -v[34:35]
	scratch_load_b128 v[32:35], off, off offset:544
	ds_load_b128 v[6:9], v1 offset:1424
	v_add_f64 v[22:23], v[22:23], v[66:67]
	v_add_f64 v[40:41], v[40:41], v[38:39]
	ds_load_b128 v[36:39], v1 offset:1440
	s_waitcnt vmcnt(7) lgkmcnt(1)
	v_mul_f64 v[66:67], v[6:7], v[30:31]
	v_mul_f64 v[30:31], v[8:9], v[30:31]
	v_fma_f64 v[62:63], v[62:63], v[24:25], v[64:65]
	v_fma_f64 v[26:27], v[60:61], v[24:25], -v[26:27]
	s_waitcnt lgkmcnt(0)
	v_mul_f64 v[64:65], v[36:37], v[44:45]
	v_mul_f64 v[44:45], v[38:39], v[44:45]
	v_add_f64 v[60:61], v[22:23], v[68:69]
	v_add_f64 v[40:41], v[40:41], v[70:71]
	scratch_load_b128 v[22:25], off, off offset:560
	v_fma_f64 v[66:67], v[8:9], v[28:29], v[66:67]
	v_fma_f64 v[30:31], v[6:7], v[28:29], -v[30:31]
	ds_load_b128 v[6:9], v1 offset:1456
	v_fma_f64 v[64:65], v[38:39], v[42:43], v[64:65]
	v_fma_f64 v[42:43], v[36:37], v[42:43], -v[44:45]
	scratch_load_b128 v[36:39], off, off offset:592
	v_add_f64 v[68:69], v[60:61], v[62:63]
	v_add_f64 v[40:41], v[40:41], v[26:27]
	scratch_load_b128 v[26:29], off, off offset:576
	ds_load_b128 v[60:63], v1 offset:1472
	s_waitcnt vmcnt(8) lgkmcnt(1)
	v_mul_f64 v[70:71], v[6:7], v[20:21]
	v_mul_f64 v[20:21], v[8:9], v[20:21]
	s_waitcnt lgkmcnt(0)
	v_mul_f64 v[44:45], v[60:61], v[58:59]
	v_mul_f64 v[58:59], v[62:63], v[58:59]
	v_add_f64 v[30:31], v[40:41], v[30:31]
	v_add_f64 v[40:41], v[68:69], v[66:67]
	v_fma_f64 v[66:67], v[8:9], v[18:19], v[70:71]
	v_fma_f64 v[68:69], v[6:7], v[18:19], -v[20:21]
	scratch_load_b128 v[18:21], off, off offset:608
	ds_load_b128 v[6:9], v1 offset:1488
	v_fma_f64 v[44:45], v[62:63], v[56:57], v[44:45]
	v_fma_f64 v[60:61], v[60:61], v[56:57], -v[58:59]
	scratch_load_b128 v[56:59], off, off offset:624
	v_add_f64 v[30:31], v[30:31], v[42:43]
	v_add_f64 v[64:65], v[40:41], v[64:65]
	ds_load_b128 v[40:43], v1 offset:1504
	s_waitcnt vmcnt(9) lgkmcnt(1)
	v_mul_f64 v[70:71], v[6:7], v[12:13]
	v_mul_f64 v[12:13], v[8:9], v[12:13]
	v_add_f64 v[30:31], v[30:31], v[68:69]
	v_add_f64 v[62:63], v[64:65], v[66:67]
	s_waitcnt vmcnt(8) lgkmcnt(0)
	v_mul_f64 v[64:65], v[40:41], v[54:55]
	v_mul_f64 v[54:55], v[42:43], v[54:55]
	v_fma_f64 v[66:67], v[8:9], v[10:11], v[70:71]
	v_fma_f64 v[68:69], v[6:7], v[10:11], -v[12:13]
	scratch_load_b128 v[10:13], off, off offset:640
	ds_load_b128 v[6:9], v1 offset:1520
	v_add_f64 v[30:31], v[30:31], v[60:61]
	v_add_f64 v[44:45], v[62:63], v[44:45]
	ds_load_b128 v[60:63], v1 offset:1536
	s_waitcnt vmcnt(8) lgkmcnt(1)
	v_mul_f64 v[70:71], v[6:7], v[48:49]
	v_mul_f64 v[48:49], v[8:9], v[48:49]
	v_fma_f64 v[64:65], v[42:43], v[52:53], v[64:65]
	v_fma_f64 v[52:53], v[40:41], v[52:53], -v[54:55]
	scratch_load_b128 v[40:43], off, off offset:656
	v_add_f64 v[30:31], v[30:31], v[68:69]
	v_add_f64 v[44:45], v[44:45], v[66:67]
	s_waitcnt vmcnt(8) lgkmcnt(0)
	v_mul_f64 v[66:67], v[60:61], v[16:17]
	v_mul_f64 v[16:17], v[62:63], v[16:17]
	v_fma_f64 v[68:69], v[8:9], v[46:47], v[70:71]
	v_fma_f64 v[48:49], v[6:7], v[46:47], -v[48:49]
	ds_load_b128 v[6:9], v1 offset:1552
	v_add_f64 v[30:31], v[30:31], v[52:53]
	ds_load_b128 v[52:55], v1 offset:1568
	v_add_f64 v[64:65], v[44:45], v[64:65]
	scratch_load_b128 v[44:47], off, off offset:672
	s_waitcnt vmcnt(8) lgkmcnt(1)
	v_mul_f64 v[70:71], v[6:7], v[34:35]
	v_mul_f64 v[34:35], v[8:9], v[34:35]
	v_fma_f64 v[62:63], v[62:63], v[14:15], v[66:67]
	v_fma_f64 v[60:61], v[60:61], v[14:15], -v[16:17]
	scratch_load_b128 v[14:17], off, off offset:688
	v_add_f64 v[30:31], v[30:31], v[48:49]
	v_add_f64 v[48:49], v[64:65], v[68:69]
	v_fma_f64 v[66:67], v[8:9], v[32:33], v[70:71]
	v_fma_f64 v[34:35], v[6:7], v[32:33], -v[34:35]
	ds_load_b128 v[6:9], v1 offset:1584
	s_waitcnt vmcnt(8) lgkmcnt(1)
	v_mul_f64 v[64:65], v[52:53], v[24:25]
	v_mul_f64 v[24:25], v[54:55], v[24:25]
	v_add_f64 v[68:69], v[30:31], v[60:61]
	scratch_load_b128 v[30:33], off, off offset:704
	v_add_f64 v[48:49], v[48:49], v[62:63]
	ds_load_b128 v[60:63], v1 offset:1600
	s_waitcnt vmcnt(7) lgkmcnt(1)
	v_mul_f64 v[70:71], v[6:7], v[28:29]
	v_mul_f64 v[28:29], v[8:9], v[28:29]
	v_fma_f64 v[54:55], v[54:55], v[22:23], v[64:65]
	v_fma_f64 v[52:53], v[52:53], v[22:23], -v[24:25]
	scratch_load_b128 v[22:25], off, off offset:720
	s_waitcnt lgkmcnt(0)
	v_mul_f64 v[64:65], v[60:61], v[38:39]
	v_mul_f64 v[38:39], v[62:63], v[38:39]
	v_add_f64 v[34:35], v[68:69], v[34:35]
	v_add_f64 v[48:49], v[48:49], v[66:67]
	v_fma_f64 v[66:67], v[8:9], v[26:27], v[70:71]
	v_fma_f64 v[68:69], v[6:7], v[26:27], -v[28:29]
	scratch_load_b128 v[26:29], off, off offset:736
	ds_load_b128 v[6:9], v1 offset:1616
	v_fma_f64 v[62:63], v[62:63], v[36:37], v[64:65]
	v_fma_f64 v[38:39], v[60:61], v[36:37], -v[38:39]
	v_add_f64 v[34:35], v[34:35], v[52:53]
	v_add_f64 v[48:49], v[48:49], v[54:55]
	ds_load_b128 v[52:55], v1 offset:1632
	s_waitcnt vmcnt(8) lgkmcnt(1)
	v_mul_f64 v[70:71], v[6:7], v[20:21]
	v_mul_f64 v[20:21], v[8:9], v[20:21]
	s_waitcnt vmcnt(7) lgkmcnt(0)
	v_mul_f64 v[64:65], v[52:53], v[58:59]
	v_add_f64 v[60:61], v[34:35], v[68:69]
	scratch_load_b128 v[34:37], off, off offset:752
	v_add_f64 v[48:49], v[48:49], v[66:67]
	v_mul_f64 v[66:67], v[54:55], v[58:59]
	v_fma_f64 v[68:69], v[8:9], v[18:19], v[70:71]
	v_fma_f64 v[70:71], v[6:7], v[18:19], -v[20:21]
	scratch_load_b128 v[18:21], off, off offset:768
	ds_load_b128 v[6:9], v1 offset:1648
	v_fma_f64 v[64:65], v[54:55], v[56:57], v[64:65]
	v_add_f64 v[38:39], v[60:61], v[38:39]
	ds_load_b128 v[58:61], v1 offset:1664
	v_add_f64 v[48:49], v[48:49], v[62:63]
	s_waitcnt vmcnt(8) lgkmcnt(1)
	v_mul_f64 v[62:63], v[6:7], v[12:13]
	v_mul_f64 v[12:13], v[8:9], v[12:13]
	v_fma_f64 v[56:57], v[52:53], v[56:57], -v[66:67]
	scratch_load_b128 v[52:55], off, off offset:784
	s_waitcnt vmcnt(8) lgkmcnt(0)
	v_mul_f64 v[66:67], v[58:59], v[42:43]
	v_mul_f64 v[42:43], v[60:61], v[42:43]
	v_add_f64 v[38:39], v[38:39], v[70:71]
	v_add_f64 v[48:49], v[48:49], v[68:69]
	v_fma_f64 v[68:69], v[8:9], v[10:11], v[62:63]
	v_fma_f64 v[70:71], v[6:7], v[10:11], -v[12:13]
	scratch_load_b128 v[10:13], off, off offset:800
	ds_load_b128 v[6:9], v1 offset:1680
	v_fma_f64 v[60:61], v[60:61], v[40:41], v[66:67]
	v_fma_f64 v[42:43], v[58:59], v[40:41], -v[42:43]
	v_add_f64 v[38:39], v[38:39], v[56:57]
	v_add_f64 v[48:49], v[48:49], v[64:65]
	ds_load_b128 v[62:65], v1 offset:1696
	s_waitcnt vmcnt(8) lgkmcnt(1)
	v_mul_f64 v[56:57], v[6:7], v[46:47]
	v_mul_f64 v[46:47], v[8:9], v[46:47]
	s_waitcnt vmcnt(7) lgkmcnt(0)
	v_mul_f64 v[66:67], v[62:63], v[16:17]
	v_mul_f64 v[16:17], v[64:65], v[16:17]
	v_add_f64 v[58:59], v[38:39], v[70:71]
	scratch_load_b128 v[38:41], off, off offset:816
	v_add_f64 v[48:49], v[48:49], v[68:69]
	v_fma_f64 v[56:57], v[8:9], v[44:45], v[56:57]
	v_fma_f64 v[68:69], v[6:7], v[44:45], -v[46:47]
	ds_load_b128 v[6:9], v1 offset:1712
	v_fma_f64 v[64:65], v[64:65], v[14:15], v[66:67]
	v_fma_f64 v[62:63], v[62:63], v[14:15], -v[16:17]
	scratch_load_b128 v[14:17], off, off offset:848
	v_add_f64 v[58:59], v[58:59], v[42:43]
	scratch_load_b128 v[42:45], off, off offset:832
	v_add_f64 v[60:61], v[48:49], v[60:61]
	ds_load_b128 v[46:49], v1 offset:1728
	s_waitcnt vmcnt(9) lgkmcnt(1)
	v_mul_f64 v[70:71], v[6:7], v[32:33]
	v_mul_f64 v[32:33], v[8:9], v[32:33]
	v_add_f64 v[58:59], v[58:59], v[68:69]
	v_add_f64 v[56:57], v[60:61], v[56:57]
	s_waitcnt vmcnt(8) lgkmcnt(0)
	v_mul_f64 v[60:61], v[46:47], v[24:25]
	v_mul_f64 v[24:25], v[48:49], v[24:25]
	v_fma_f64 v[66:67], v[8:9], v[30:31], v[70:71]
	v_fma_f64 v[68:69], v[6:7], v[30:31], -v[32:33]
	scratch_load_b128 v[30:33], off, off offset:864
	ds_load_b128 v[6:9], v1 offset:1744
	v_add_f64 v[62:63], v[58:59], v[62:63]
	v_add_f64 v[64:65], v[56:57], v[64:65]
	ds_load_b128 v[56:59], v1 offset:1760
	s_waitcnt vmcnt(8) lgkmcnt(1)
	v_mul_f64 v[70:71], v[6:7], v[28:29]
	v_mul_f64 v[28:29], v[8:9], v[28:29]
	v_fma_f64 v[48:49], v[48:49], v[22:23], v[60:61]
	v_fma_f64 v[46:47], v[46:47], v[22:23], -v[24:25]
	scratch_load_b128 v[22:25], off, off offset:880
	v_add_f64 v[60:61], v[62:63], v[68:69]
	v_add_f64 v[62:63], v[64:65], v[66:67]
	v_fma_f64 v[66:67], v[8:9], v[26:27], v[70:71]
	v_fma_f64 v[68:69], v[6:7], v[26:27], -v[28:29]
	scratch_load_b128 v[26:29], off, off offset:896
	ds_load_b128 v[6:9], v1 offset:1776
	s_waitcnt vmcnt(9) lgkmcnt(1)
	v_mul_f64 v[64:65], v[56:57], v[36:37]
	v_mul_f64 v[36:37], v[58:59], v[36:37]
	v_add_f64 v[60:61], v[60:61], v[46:47]
	v_add_f64 v[62:63], v[62:63], v[48:49]
	ds_load_b128 v[46:49], v1 offset:1792
	s_waitcnt vmcnt(8) lgkmcnt(1)
	v_mul_f64 v[70:71], v[6:7], v[20:21]
	v_mul_f64 v[20:21], v[8:9], v[20:21]
	v_fma_f64 v[58:59], v[58:59], v[34:35], v[64:65]
	v_fma_f64 v[56:57], v[56:57], v[34:35], -v[36:37]
	scratch_load_b128 v[34:37], off, off offset:912
	s_waitcnt vmcnt(8) lgkmcnt(0)
	v_mul_f64 v[64:65], v[46:47], v[54:55]
	v_add_f64 v[60:61], v[60:61], v[68:69]
	v_add_f64 v[62:63], v[62:63], v[66:67]
	v_mul_f64 v[66:67], v[48:49], v[54:55]
	v_fma_f64 v[68:69], v[8:9], v[18:19], v[70:71]
	v_fma_f64 v[70:71], v[6:7], v[18:19], -v[20:21]
	scratch_load_b128 v[18:21], off, off offset:928
	ds_load_b128 v[6:9], v1 offset:1808
	v_fma_f64 v[64:65], v[48:49], v[52:53], v[64:65]
	v_add_f64 v[60:61], v[60:61], v[56:57]
	ds_load_b128 v[54:57], v1 offset:1824
	v_add_f64 v[58:59], v[62:63], v[58:59]
	s_waitcnt vmcnt(8) lgkmcnt(1)
	v_mul_f64 v[62:63], v[6:7], v[12:13]
	v_mul_f64 v[12:13], v[8:9], v[12:13]
	v_fma_f64 v[52:53], v[46:47], v[52:53], -v[66:67]
	scratch_load_b128 v[46:49], off, off offset:944
	v_add_f64 v[60:61], v[60:61], v[70:71]
	v_add_f64 v[58:59], v[58:59], v[68:69]
	v_fma_f64 v[62:63], v[8:9], v[10:11], v[62:63]
	v_fma_f64 v[68:69], v[6:7], v[10:11], -v[12:13]
	scratch_load_b128 v[10:13], off, off offset:960
	ds_load_b128 v[6:9], v1 offset:1840
	s_waitcnt vmcnt(9) lgkmcnt(1)
	v_mul_f64 v[66:67], v[54:55], v[40:41]
	v_mul_f64 v[40:41], v[56:57], v[40:41]
	v_add_f64 v[52:53], v[60:61], v[52:53]
	v_add_f64 v[64:65], v[58:59], v[64:65]
	ds_load_b128 v[58:61], v1 offset:1856
	s_waitcnt vmcnt(7) lgkmcnt(1)
	v_mul_f64 v[70:71], v[6:7], v[44:45]
	v_mul_f64 v[44:45], v[8:9], v[44:45]
	v_fma_f64 v[56:57], v[56:57], v[38:39], v[66:67]
	v_fma_f64 v[54:55], v[54:55], v[38:39], -v[40:41]
	scratch_load_b128 v[38:41], off, off offset:976
	v_add_f64 v[52:53], v[52:53], v[68:69]
	v_add_f64 v[62:63], v[64:65], v[62:63]
	s_waitcnt lgkmcnt(0)
	v_mul_f64 v[64:65], v[58:59], v[16:17]
	v_mul_f64 v[16:17], v[60:61], v[16:17]
	v_fma_f64 v[66:67], v[8:9], v[42:43], v[70:71]
	v_fma_f64 v[68:69], v[6:7], v[42:43], -v[44:45]
	scratch_load_b128 v[42:45], off, off offset:992
	ds_load_b128 v[6:9], v1 offset:1872
	v_add_f64 v[70:71], v[52:53], v[54:55]
	ds_load_b128 v[52:55], v1 offset:1888
	v_add_f64 v[56:57], v[62:63], v[56:57]
	s_waitcnt vmcnt(8) lgkmcnt(1)
	v_mul_f64 v[62:63], v[6:7], v[32:33]
	v_mul_f64 v[32:33], v[8:9], v[32:33]
	v_fma_f64 v[60:61], v[60:61], v[14:15], v[64:65]
	v_fma_f64 v[14:15], v[58:59], v[14:15], -v[16:17]
	s_waitcnt vmcnt(7) lgkmcnt(0)
	v_mul_f64 v[58:59], v[52:53], v[24:25]
	v_mul_f64 v[24:25], v[54:55], v[24:25]
	v_add_f64 v[16:17], v[70:71], v[68:69]
	v_add_f64 v[56:57], v[56:57], v[66:67]
	v_fma_f64 v[62:63], v[8:9], v[30:31], v[62:63]
	v_fma_f64 v[30:31], v[6:7], v[30:31], -v[32:33]
	v_fma_f64 v[54:55], v[54:55], v[22:23], v[58:59]
	v_fma_f64 v[22:23], v[52:53], v[22:23], -v[24:25]
	v_add_f64 v[32:33], v[16:17], v[14:15]
	ds_load_b128 v[6:9], v1 offset:1904
	ds_load_b128 v[14:17], v1 offset:1920
	v_add_f64 v[56:57], v[56:57], v[60:61]
	s_waitcnt vmcnt(6) lgkmcnt(1)
	v_mul_f64 v[60:61], v[6:7], v[28:29]
	v_mul_f64 v[28:29], v[8:9], v[28:29]
	v_add_f64 v[24:25], v[32:33], v[30:31]
	s_waitcnt vmcnt(5) lgkmcnt(0)
	v_mul_f64 v[32:33], v[14:15], v[36:37]
	v_add_f64 v[30:31], v[56:57], v[62:63]
	v_mul_f64 v[36:37], v[16:17], v[36:37]
	v_fma_f64 v[52:53], v[8:9], v[26:27], v[60:61]
	v_fma_f64 v[26:27], v[6:7], v[26:27], -v[28:29]
	v_add_f64 v[28:29], v[24:25], v[22:23]
	ds_load_b128 v[6:9], v1 offset:1936
	ds_load_b128 v[22:25], v1 offset:1952
	v_add_f64 v[30:31], v[30:31], v[54:55]
	v_fma_f64 v[16:17], v[16:17], v[34:35], v[32:33]
	v_fma_f64 v[14:15], v[14:15], v[34:35], -v[36:37]
	s_waitcnt vmcnt(4) lgkmcnt(1)
	v_mul_f64 v[54:55], v[6:7], v[20:21]
	v_mul_f64 v[20:21], v[8:9], v[20:21]
	s_waitcnt vmcnt(3) lgkmcnt(0)
	v_mul_f64 v[32:33], v[24:25], v[48:49]
	v_add_f64 v[26:27], v[28:29], v[26:27]
	v_add_f64 v[28:29], v[30:31], v[52:53]
	v_mul_f64 v[30:31], v[22:23], v[48:49]
	v_fma_f64 v[34:35], v[8:9], v[18:19], v[54:55]
	v_fma_f64 v[18:19], v[6:7], v[18:19], -v[20:21]
	v_fma_f64 v[22:23], v[22:23], v[46:47], -v[32:33]
	v_add_f64 v[20:21], v[26:27], v[14:15]
	v_add_f64 v[26:27], v[28:29], v[16:17]
	ds_load_b128 v[6:9], v1 offset:1968
	ds_load_b128 v[14:17], v1 offset:1984
	v_fma_f64 v[24:25], v[24:25], v[46:47], v[30:31]
	s_waitcnt vmcnt(2) lgkmcnt(1)
	v_mul_f64 v[28:29], v[6:7], v[12:13]
	v_mul_f64 v[12:13], v[8:9], v[12:13]
	s_waitcnt vmcnt(1) lgkmcnt(0)
	v_mul_f64 v[30:31], v[16:17], v[40:41]
	v_add_f64 v[18:19], v[20:21], v[18:19]
	v_add_f64 v[20:21], v[26:27], v[34:35]
	v_mul_f64 v[26:27], v[14:15], v[40:41]
	v_fma_f64 v[28:29], v[8:9], v[10:11], v[28:29]
	v_fma_f64 v[10:11], v[6:7], v[10:11], -v[12:13]
	ds_load_b128 v[6:9], v1 offset:2000
	v_fma_f64 v[14:15], v[14:15], v[38:39], -v[30:31]
	v_add_f64 v[12:13], v[18:19], v[22:23]
	v_add_f64 v[18:19], v[20:21], v[24:25]
	v_fma_f64 v[16:17], v[16:17], v[38:39], v[26:27]
	s_waitcnt vmcnt(0) lgkmcnt(0)
	v_mul_f64 v[20:21], v[6:7], v[44:45]
	v_mul_f64 v[22:23], v[8:9], v[44:45]
	v_add_f64 v[10:11], v[12:13], v[10:11]
	v_add_f64 v[12:13], v[18:19], v[28:29]
	s_delay_alu instid0(VALU_DEP_4) | instskip(NEXT) | instid1(VALU_DEP_4)
	v_fma_f64 v[8:9], v[8:9], v[42:43], v[20:21]
	v_fma_f64 v[6:7], v[6:7], v[42:43], -v[22:23]
	s_delay_alu instid0(VALU_DEP_4) | instskip(NEXT) | instid1(VALU_DEP_4)
	v_add_f64 v[10:11], v[10:11], v[14:15]
	v_add_f64 v[12:13], v[12:13], v[16:17]
	s_delay_alu instid0(VALU_DEP_2) | instskip(NEXT) | instid1(VALU_DEP_2)
	v_add_f64 v[6:7], v[10:11], v[6:7]
	v_add_f64 v[8:9], v[12:13], v[8:9]
	s_delay_alu instid0(VALU_DEP_2) | instskip(NEXT) | instid1(VALU_DEP_2)
	v_add_f64 v[2:3], v[2:3], -v[6:7]
	v_add_f64 v[4:5], v[4:5], -v[8:9]
	scratch_store_b128 off, v[2:5], off offset:176
	v_cmpx_lt_u32_e32 10, v176
	s_cbranch_execz .LBB62_383
; %bb.382:
	scratch_load_b32 v2, off, off offset:1144 ; 4-byte Folded Reload
	v_mov_b32_e32 v3, v1
	v_mov_b32_e32 v4, v1
	s_waitcnt vmcnt(0)
	scratch_load_b128 v[5:8], v2, off
	v_mov_b32_e32 v2, v1
	scratch_store_b128 off, v[1:4], off offset:160
	s_waitcnt vmcnt(0)
	ds_store_b128 v255, v[5:8]
.LBB62_383:
	s_or_b32 exec_lo, exec_lo, s2
	s_waitcnt lgkmcnt(0)
	s_waitcnt_vscnt null, 0x0
	s_barrier
	buffer_gl0_inv
	s_clause 0x8
	scratch_load_b128 v[34:37], off, off offset:176
	scratch_load_b128 v[38:41], off, off offset:192
	;; [unrolled: 1-line block ×9, first 2 shown]
	ds_load_b128 v[46:49], v1 offset:1184
	ds_load_b128 v[42:45], v1 offset:1200
	s_clause 0x1
	scratch_load_b128 v[2:5], off, off offset:160
	scratch_load_b128 v[52:55], off, off offset:320
	s_mov_b32 s2, exec_lo
	s_waitcnt vmcnt(10) lgkmcnt(1)
	v_mul_f64 v[56:57], v[48:49], v[36:37]
	v_mul_f64 v[36:37], v[46:47], v[36:37]
	s_waitcnt vmcnt(9) lgkmcnt(0)
	v_mul_f64 v[60:61], v[42:43], v[40:41]
	v_mul_f64 v[40:41], v[44:45], v[40:41]
	s_delay_alu instid0(VALU_DEP_4) | instskip(NEXT) | instid1(VALU_DEP_4)
	v_fma_f64 v[62:63], v[46:47], v[34:35], -v[56:57]
	v_fma_f64 v[64:65], v[48:49], v[34:35], v[36:37]
	ds_load_b128 v[34:37], v1 offset:1216
	ds_load_b128 v[56:59], v1 offset:1232
	scratch_load_b128 v[46:49], off, off offset:336
	v_fma_f64 v[44:45], v[44:45], v[38:39], v[60:61]
	v_fma_f64 v[42:43], v[42:43], v[38:39], -v[40:41]
	scratch_load_b128 v[38:41], off, off offset:352
	s_waitcnt vmcnt(10) lgkmcnt(1)
	v_mul_f64 v[66:67], v[34:35], v[32:33]
	v_mul_f64 v[32:33], v[36:37], v[32:33]
	s_waitcnt vmcnt(9) lgkmcnt(0)
	v_mul_f64 v[68:69], v[58:59], v[28:29]
	v_add_f64 v[60:61], v[62:63], 0
	v_add_f64 v[62:63], v[64:65], 0
	v_mul_f64 v[64:65], v[56:57], v[28:29]
	v_fma_f64 v[36:37], v[36:37], v[30:31], v[66:67]
	v_fma_f64 v[66:67], v[34:35], v[30:31], -v[32:33]
	ds_load_b128 v[28:31], v1 offset:1248
	scratch_load_b128 v[32:35], off, off offset:368
	v_fma_f64 v[56:57], v[56:57], v[26:27], -v[68:69]
	v_add_f64 v[60:61], v[60:61], v[42:43]
	v_add_f64 v[62:63], v[62:63], v[44:45]
	ds_load_b128 v[42:45], v1 offset:1264
	v_fma_f64 v[58:59], v[58:59], v[26:27], v[64:65]
	s_waitcnt vmcnt(9) lgkmcnt(1)
	v_mul_f64 v[70:71], v[28:29], v[24:25]
	v_mul_f64 v[72:73], v[30:31], v[24:25]
	scratch_load_b128 v[24:27], off, off offset:384
	s_waitcnt vmcnt(9) lgkmcnt(0)
	v_mul_f64 v[64:65], v[44:45], v[20:21]
	v_add_f64 v[60:61], v[60:61], v[66:67]
	v_add_f64 v[36:37], v[62:63], v[36:37]
	v_mul_f64 v[62:63], v[42:43], v[20:21]
	v_fma_f64 v[66:67], v[30:31], v[22:23], v[70:71]
	v_fma_f64 v[68:69], v[28:29], v[22:23], -v[72:73]
	ds_load_b128 v[20:23], v1 offset:1280
	scratch_load_b128 v[28:31], off, off offset:400
	v_fma_f64 v[42:43], v[42:43], v[18:19], -v[64:65]
	v_add_f64 v[60:61], v[60:61], v[56:57]
	v_add_f64 v[36:37], v[36:37], v[58:59]
	ds_load_b128 v[56:59], v1 offset:1296
	s_waitcnt vmcnt(9) lgkmcnt(1)
	v_mul_f64 v[70:71], v[20:21], v[16:17]
	v_mul_f64 v[72:73], v[22:23], v[16:17]
	v_fma_f64 v[44:45], v[44:45], v[18:19], v[62:63]
	scratch_load_b128 v[16:19], off, off offset:416
	s_waitcnt vmcnt(9) lgkmcnt(0)
	v_mul_f64 v[62:63], v[56:57], v[12:13]
	v_mul_f64 v[64:65], v[58:59], v[12:13]
	v_add_f64 v[60:61], v[60:61], v[68:69]
	v_add_f64 v[36:37], v[36:37], v[66:67]
	v_fma_f64 v[66:67], v[22:23], v[14:15], v[70:71]
	v_fma_f64 v[68:69], v[20:21], v[14:15], -v[72:73]
	ds_load_b128 v[12:15], v1 offset:1312
	scratch_load_b128 v[20:23], off, off offset:432
	v_fma_f64 v[58:59], v[58:59], v[10:11], v[62:63]
	v_fma_f64 v[56:57], v[56:57], v[10:11], -v[64:65]
	v_add_f64 v[60:61], v[60:61], v[42:43]
	v_add_f64 v[36:37], v[36:37], v[44:45]
	ds_load_b128 v[42:45], v1 offset:1328
	s_waitcnt vmcnt(9) lgkmcnt(1)
	v_mul_f64 v[70:71], v[12:13], v[8:9]
	v_mul_f64 v[72:73], v[14:15], v[8:9]
	scratch_load_b128 v[8:11], off, off offset:448
	s_waitcnt vmcnt(8) lgkmcnt(0)
	v_mul_f64 v[62:63], v[42:43], v[54:55]
	v_mul_f64 v[64:65], v[44:45], v[54:55]
	v_add_f64 v[60:61], v[60:61], v[68:69]
	v_add_f64 v[36:37], v[36:37], v[66:67]
	v_fma_f64 v[66:67], v[14:15], v[6:7], v[70:71]
	v_fma_f64 v[6:7], v[12:13], v[6:7], -v[72:73]
	ds_load_b128 v[12:15], v1 offset:1344
	v_fma_f64 v[62:63], v[44:45], v[52:53], v[62:63]
	v_fma_f64 v[52:53], v[42:43], v[52:53], -v[64:65]
	scratch_load_b128 v[42:45], off, off offset:480
	v_add_f64 v[68:69], v[60:61], v[56:57]
	v_add_f64 v[36:37], v[36:37], v[58:59]
	ds_load_b128 v[58:61], v1 offset:1360
	scratch_load_b128 v[54:57], off, off offset:464
	s_waitcnt vmcnt(9) lgkmcnt(1)
	v_mul_f64 v[70:71], v[12:13], v[48:49]
	v_mul_f64 v[48:49], v[14:15], v[48:49]
	v_add_f64 v[6:7], v[68:69], v[6:7]
	v_add_f64 v[36:37], v[36:37], v[66:67]
	s_waitcnt vmcnt(8) lgkmcnt(0)
	v_mul_f64 v[66:67], v[58:59], v[40:41]
	v_mul_f64 v[40:41], v[60:61], v[40:41]
	v_fma_f64 v[68:69], v[14:15], v[46:47], v[70:71]
	v_fma_f64 v[70:71], v[12:13], v[46:47], -v[48:49]
	ds_load_b128 v[12:15], v1 offset:1376
	scratch_load_b128 v[46:49], off, off offset:496
	v_add_f64 v[6:7], v[6:7], v[52:53]
	v_add_f64 v[36:37], v[36:37], v[62:63]
	ds_load_b128 v[62:65], v1 offset:1392
	v_fma_f64 v[60:61], v[60:61], v[38:39], v[66:67]
	s_waitcnt vmcnt(8) lgkmcnt(1)
	v_mul_f64 v[52:53], v[12:13], v[34:35]
	v_mul_f64 v[72:73], v[14:15], v[34:35]
	v_fma_f64 v[38:39], v[58:59], v[38:39], -v[40:41]
	s_waitcnt vmcnt(7) lgkmcnt(0)
	v_mul_f64 v[66:67], v[62:63], v[26:27]
	v_mul_f64 v[26:27], v[64:65], v[26:27]
	v_add_f64 v[6:7], v[6:7], v[70:71]
	v_add_f64 v[40:41], v[36:37], v[68:69]
	scratch_load_b128 v[34:37], off, off offset:512
	v_fma_f64 v[52:53], v[14:15], v[32:33], v[52:53]
	v_fma_f64 v[32:33], v[12:13], v[32:33], -v[72:73]
	ds_load_b128 v[12:15], v1 offset:1408
	v_fma_f64 v[64:65], v[64:65], v[24:25], v[66:67]
	v_fma_f64 v[62:63], v[62:63], v[24:25], -v[26:27]
	scratch_load_b128 v[24:27], off, off offset:544
	v_add_f64 v[6:7], v[6:7], v[38:39]
	v_add_f64 v[68:69], v[40:41], v[60:61]
	ds_load_b128 v[58:61], v1 offset:1424
	scratch_load_b128 v[38:41], off, off offset:528
	s_waitcnt vmcnt(9) lgkmcnt(1)
	v_mul_f64 v[70:71], v[12:13], v[30:31]
	v_mul_f64 v[30:31], v[14:15], v[30:31]
	v_add_f64 v[6:7], v[6:7], v[32:33]
	v_add_f64 v[32:33], v[68:69], v[52:53]
	s_waitcnt vmcnt(8) lgkmcnt(0)
	v_mul_f64 v[52:53], v[58:59], v[18:19]
	v_mul_f64 v[18:19], v[60:61], v[18:19]
	v_fma_f64 v[66:67], v[14:15], v[28:29], v[70:71]
	v_fma_f64 v[68:69], v[12:13], v[28:29], -v[30:31]
	ds_load_b128 v[12:15], v1 offset:1440
	scratch_load_b128 v[28:31], off, off offset:560
	v_add_f64 v[6:7], v[6:7], v[62:63]
	v_add_f64 v[32:33], v[32:33], v[64:65]
	ds_load_b128 v[62:65], v1 offset:1456
	s_waitcnt vmcnt(8) lgkmcnt(1)
	v_mul_f64 v[70:71], v[12:13], v[22:23]
	v_mul_f64 v[22:23], v[14:15], v[22:23]
	v_fma_f64 v[52:53], v[60:61], v[16:17], v[52:53]
	v_fma_f64 v[58:59], v[58:59], v[16:17], -v[18:19]
	scratch_load_b128 v[16:19], off, off offset:576
	v_add_f64 v[6:7], v[6:7], v[68:69]
	v_add_f64 v[32:33], v[32:33], v[66:67]
	s_waitcnt vmcnt(8) lgkmcnt(0)
	v_mul_f64 v[66:67], v[62:63], v[10:11]
	v_mul_f64 v[68:69], v[64:65], v[10:11]
	v_fma_f64 v[14:15], v[14:15], v[20:21], v[70:71]
	v_fma_f64 v[70:71], v[12:13], v[20:21], -v[22:23]
	ds_load_b128 v[10:13], v1 offset:1472
	scratch_load_b128 v[20:23], off, off offset:592
	v_add_f64 v[6:7], v[6:7], v[58:59]
	v_add_f64 v[32:33], v[32:33], v[52:53]
	ds_load_b128 v[58:61], v1 offset:1488
	v_fma_f64 v[64:65], v[64:65], v[8:9], v[66:67]
	v_fma_f64 v[62:63], v[62:63], v[8:9], -v[68:69]
	s_waitcnt vmcnt(7) lgkmcnt(1)
	v_mul_f64 v[52:53], v[10:11], v[56:57]
	v_mul_f64 v[56:57], v[12:13], v[56:57]
	v_add_f64 v[66:67], v[6:7], v[70:71]
	scratch_load_b128 v[6:9], off, off offset:608
	v_add_f64 v[14:15], v[32:33], v[14:15]
	s_waitcnt lgkmcnt(0)
	v_mul_f64 v[32:33], v[58:59], v[44:45]
	v_mul_f64 v[44:45], v[60:61], v[44:45]
	v_fma_f64 v[68:69], v[12:13], v[54:55], v[52:53]
	v_fma_f64 v[56:57], v[10:11], v[54:55], -v[56:57]
	ds_load_b128 v[10:13], v1 offset:1504
	scratch_load_b128 v[52:55], off, off offset:624
	v_add_f64 v[66:67], v[66:67], v[62:63]
	v_add_f64 v[14:15], v[14:15], v[64:65]
	ds_load_b128 v[62:65], v1 offset:1520
	s_waitcnt vmcnt(8) lgkmcnt(1)
	v_mul_f64 v[70:71], v[10:11], v[48:49]
	v_mul_f64 v[48:49], v[12:13], v[48:49]
	v_fma_f64 v[32:33], v[60:61], v[42:43], v[32:33]
	v_fma_f64 v[58:59], v[58:59], v[42:43], -v[44:45]
	scratch_load_b128 v[42:45], off, off offset:640
	v_add_f64 v[56:57], v[66:67], v[56:57]
	v_add_f64 v[14:15], v[14:15], v[68:69]
	v_fma_f64 v[66:67], v[12:13], v[46:47], v[70:71]
	v_fma_f64 v[68:69], v[10:11], v[46:47], -v[48:49]
	ds_load_b128 v[10:13], v1 offset:1536
	scratch_load_b128 v[46:49], off, off offset:656
	s_waitcnt vmcnt(9) lgkmcnt(1)
	v_mul_f64 v[60:61], v[62:63], v[36:37]
	v_mul_f64 v[36:37], v[64:65], v[36:37]
	v_add_f64 v[70:71], v[56:57], v[58:59]
	ds_load_b128 v[56:59], v1 offset:1552
	v_add_f64 v[14:15], v[14:15], v[32:33]
	v_fma_f64 v[60:61], v[64:65], v[34:35], v[60:61]
	s_waitcnt vmcnt(7) lgkmcnt(1)
	v_mul_f64 v[72:73], v[10:11], v[40:41]
	v_mul_f64 v[40:41], v[12:13], v[40:41]
	v_fma_f64 v[36:37], v[62:63], v[34:35], -v[36:37]
	scratch_load_b128 v[32:35], off, off offset:672
	s_waitcnt lgkmcnt(0)
	v_mul_f64 v[64:65], v[56:57], v[26:27]
	v_mul_f64 v[26:27], v[58:59], v[26:27]
	v_add_f64 v[62:63], v[70:71], v[68:69]
	v_add_f64 v[14:15], v[14:15], v[66:67]
	v_fma_f64 v[66:67], v[12:13], v[38:39], v[72:73]
	v_fma_f64 v[40:41], v[10:11], v[38:39], -v[40:41]
	ds_load_b128 v[10:13], v1 offset:1568
	v_fma_f64 v[58:59], v[58:59], v[24:25], v[64:65]
	v_fma_f64 v[56:57], v[56:57], v[24:25], -v[26:27]
	scratch_load_b128 v[24:27], off, off offset:704
	v_add_f64 v[68:69], v[62:63], v[36:37]
	scratch_load_b128 v[36:39], off, off offset:688
	v_add_f64 v[14:15], v[14:15], v[60:61]
	ds_load_b128 v[60:63], v1 offset:1584
	s_waitcnt vmcnt(9) lgkmcnt(1)
	v_mul_f64 v[70:71], v[10:11], v[30:31]
	v_mul_f64 v[30:31], v[12:13], v[30:31]
	s_waitcnt vmcnt(8) lgkmcnt(0)
	v_mul_f64 v[64:65], v[60:61], v[18:19]
	v_mul_f64 v[18:19], v[62:63], v[18:19]
	v_add_f64 v[40:41], v[68:69], v[40:41]
	v_add_f64 v[14:15], v[14:15], v[66:67]
	v_fma_f64 v[66:67], v[12:13], v[28:29], v[70:71]
	v_fma_f64 v[68:69], v[10:11], v[28:29], -v[30:31]
	ds_load_b128 v[10:13], v1 offset:1600
	scratch_load_b128 v[28:31], off, off offset:720
	v_fma_f64 v[62:63], v[62:63], v[16:17], v[64:65]
	v_fma_f64 v[18:19], v[60:61], v[16:17], -v[18:19]
	v_add_f64 v[40:41], v[40:41], v[56:57]
	v_add_f64 v[14:15], v[14:15], v[58:59]
	ds_load_b128 v[56:59], v1 offset:1616
	s_waitcnt vmcnt(8) lgkmcnt(1)
	v_mul_f64 v[70:71], v[10:11], v[22:23]
	v_mul_f64 v[22:23], v[12:13], v[22:23]
	v_add_f64 v[40:41], v[40:41], v[68:69]
	v_add_f64 v[60:61], v[14:15], v[66:67]
	scratch_load_b128 v[14:17], off, off offset:736
	v_fma_f64 v[12:13], v[12:13], v[20:21], v[70:71]
	v_fma_f64 v[22:23], v[10:11], v[20:21], -v[22:23]
	s_waitcnt vmcnt(8) lgkmcnt(0)
	v_mul_f64 v[64:65], v[56:57], v[8:9]
	v_mul_f64 v[66:67], v[58:59], v[8:9]
	ds_load_b128 v[8:11], v1 offset:1632
	v_add_f64 v[40:41], v[40:41], v[18:19]
	scratch_load_b128 v[18:21], off, off offset:752
	v_add_f64 v[68:69], v[60:61], v[62:63]
	ds_load_b128 v[60:63], v1 offset:1648
	s_waitcnt vmcnt(8) lgkmcnt(1)
	v_mul_f64 v[70:71], v[8:9], v[54:55]
	v_mul_f64 v[72:73], v[10:11], v[54:55]
	v_fma_f64 v[58:59], v[58:59], v[6:7], v[64:65]
	v_fma_f64 v[6:7], v[56:57], v[6:7], -v[66:67]
	scratch_load_b128 v[54:57], off, off offset:768
	ds_load_b128 v[64:67], v1 offset:1680
	v_add_f64 v[22:23], v[40:41], v[22:23]
	s_waitcnt vmcnt(8) lgkmcnt(1)
	v_mul_f64 v[40:41], v[60:61], v[44:45]
	v_add_f64 v[12:13], v[68:69], v[12:13]
	v_mul_f64 v[44:45], v[62:63], v[44:45]
	v_fma_f64 v[68:69], v[10:11], v[52:53], v[70:71]
	v_fma_f64 v[52:53], v[8:9], v[52:53], -v[72:73]
	v_add_f64 v[22:23], v[22:23], v[6:7]
	ds_load_b128 v[6:9], v1 offset:1664
	v_add_f64 v[58:59], v[12:13], v[58:59]
	scratch_load_b128 v[10:13], off, off offset:784
	v_fma_f64 v[62:63], v[62:63], v[42:43], v[40:41]
	v_fma_f64 v[44:45], v[60:61], v[42:43], -v[44:45]
	scratch_load_b128 v[40:43], off, off offset:800
	s_waitcnt vmcnt(9) lgkmcnt(0)
	v_mul_f64 v[70:71], v[6:7], v[48:49]
	v_mul_f64 v[48:49], v[8:9], v[48:49]
	v_add_f64 v[22:23], v[22:23], v[52:53]
	v_add_f64 v[52:53], v[58:59], v[68:69]
	s_waitcnt vmcnt(8)
	v_mul_f64 v[68:69], v[64:65], v[34:35]
	v_mul_f64 v[34:35], v[66:67], v[34:35]
	ds_load_b128 v[58:61], v1 offset:1712
	v_fma_f64 v[70:71], v[8:9], v[46:47], v[70:71]
	v_fma_f64 v[48:49], v[6:7], v[46:47], -v[48:49]
	ds_load_b128 v[6:9], v1 offset:1696
	v_add_f64 v[22:23], v[22:23], v[44:45]
	scratch_load_b128 v[44:47], off, off offset:816
	v_add_f64 v[52:53], v[52:53], v[62:63]
	v_fma_f64 v[66:67], v[66:67], v[32:33], v[68:69]
	v_fma_f64 v[64:65], v[64:65], v[32:33], -v[34:35]
	scratch_load_b128 v[32:35], off, off offset:832
	s_waitcnt vmcnt(8) lgkmcnt(0)
	v_mul_f64 v[62:63], v[6:7], v[38:39]
	v_mul_f64 v[38:39], v[8:9], v[38:39]
	v_add_f64 v[22:23], v[22:23], v[48:49]
	v_add_f64 v[48:49], v[52:53], v[70:71]
	v_mul_f64 v[52:53], v[58:59], v[26:27]
	v_mul_f64 v[26:27], v[60:61], v[26:27]
	v_fma_f64 v[68:69], v[8:9], v[36:37], v[62:63]
	v_fma_f64 v[70:71], v[6:7], v[36:37], -v[38:39]
	ds_load_b128 v[6:9], v1 offset:1728
	scratch_load_b128 v[36:39], off, off offset:848
	v_add_f64 v[22:23], v[22:23], v[64:65]
	ds_load_b128 v[62:65], v1 offset:1744
	v_add_f64 v[48:49], v[48:49], v[66:67]
	s_waitcnt vmcnt(8) lgkmcnt(1)
	v_mul_f64 v[66:67], v[6:7], v[30:31]
	v_mul_f64 v[30:31], v[8:9], v[30:31]
	v_fma_f64 v[52:53], v[60:61], v[24:25], v[52:53]
	v_fma_f64 v[26:27], v[58:59], v[24:25], -v[26:27]
	v_add_f64 v[58:59], v[22:23], v[70:71]
	scratch_load_b128 v[22:25], off, off offset:864
	v_add_f64 v[48:49], v[48:49], v[68:69]
	v_fma_f64 v[66:67], v[8:9], v[28:29], v[66:67]
	v_fma_f64 v[30:31], v[6:7], v[28:29], -v[30:31]
	ds_load_b128 v[6:9], v1 offset:1760
	s_waitcnt vmcnt(8) lgkmcnt(1)
	v_mul_f64 v[68:69], v[62:63], v[16:17]
	v_mul_f64 v[16:17], v[64:65], v[16:17]
	v_add_f64 v[70:71], v[58:59], v[26:27]
	ds_load_b128 v[58:61], v1 offset:1776
	v_add_f64 v[48:49], v[48:49], v[52:53]
	scratch_load_b128 v[26:29], off, off offset:880
	s_waitcnt vmcnt(8) lgkmcnt(1)
	v_mul_f64 v[52:53], v[6:7], v[20:21]
	v_mul_f64 v[20:21], v[8:9], v[20:21]
	v_fma_f64 v[64:65], v[64:65], v[14:15], v[68:69]
	v_fma_f64 v[62:63], v[62:63], v[14:15], -v[16:17]
	scratch_load_b128 v[14:17], off, off offset:896
	v_add_f64 v[30:31], v[70:71], v[30:31]
	v_add_f64 v[48:49], v[48:49], v[66:67]
	s_waitcnt vmcnt(8) lgkmcnt(0)
	v_mul_f64 v[66:67], v[58:59], v[56:57]
	v_mul_f64 v[56:57], v[60:61], v[56:57]
	v_fma_f64 v[52:53], v[8:9], v[18:19], v[52:53]
	v_fma_f64 v[68:69], v[6:7], v[18:19], -v[20:21]
	ds_load_b128 v[6:9], v1 offset:1792
	scratch_load_b128 v[18:21], off, off offset:912
	v_add_f64 v[30:31], v[30:31], v[62:63]
	v_add_f64 v[48:49], v[48:49], v[64:65]
	ds_load_b128 v[62:65], v1 offset:1808
	v_fma_f64 v[60:61], v[60:61], v[54:55], v[66:67]
	v_fma_f64 v[56:57], v[58:59], v[54:55], -v[56:57]
	s_waitcnt vmcnt(8) lgkmcnt(1)
	v_mul_f64 v[70:71], v[6:7], v[12:13]
	v_mul_f64 v[12:13], v[8:9], v[12:13]
	s_waitcnt vmcnt(7) lgkmcnt(0)
	v_mul_f64 v[66:67], v[62:63], v[42:43]
	v_mul_f64 v[42:43], v[64:65], v[42:43]
	v_add_f64 v[30:31], v[30:31], v[68:69]
	v_add_f64 v[48:49], v[48:49], v[52:53]
	scratch_load_b128 v[52:55], off, off offset:928
	v_fma_f64 v[68:69], v[8:9], v[10:11], v[70:71]
	v_fma_f64 v[70:71], v[6:7], v[10:11], -v[12:13]
	ds_load_b128 v[6:9], v1 offset:1824
	scratch_load_b128 v[10:13], off, off offset:944
	v_fma_f64 v[64:65], v[64:65], v[40:41], v[66:67]
	v_fma_f64 v[62:63], v[62:63], v[40:41], -v[42:43]
	scratch_load_b128 v[40:43], off, off offset:960
	v_add_f64 v[30:31], v[30:31], v[56:57]
	ds_load_b128 v[56:59], v1 offset:1840
	v_add_f64 v[48:49], v[48:49], v[60:61]
	s_waitcnt vmcnt(9) lgkmcnt(1)
	v_mul_f64 v[60:61], v[6:7], v[46:47]
	v_mul_f64 v[46:47], v[8:9], v[46:47]
	s_waitcnt vmcnt(8) lgkmcnt(0)
	v_mul_f64 v[66:67], v[56:57], v[34:35]
	v_mul_f64 v[34:35], v[58:59], v[34:35]
	v_add_f64 v[30:31], v[30:31], v[70:71]
	v_add_f64 v[48:49], v[48:49], v[68:69]
	v_fma_f64 v[68:69], v[8:9], v[44:45], v[60:61]
	v_fma_f64 v[70:71], v[6:7], v[44:45], -v[46:47]
	ds_load_b128 v[6:9], v1 offset:1856
	scratch_load_b128 v[44:47], off, off offset:976
	v_fma_f64 v[58:59], v[58:59], v[32:33], v[66:67]
	v_fma_f64 v[34:35], v[56:57], v[32:33], -v[34:35]
	v_add_f64 v[30:31], v[30:31], v[62:63]
	ds_load_b128 v[60:63], v1 offset:1872
	v_add_f64 v[48:49], v[48:49], v[64:65]
	s_waitcnt vmcnt(8) lgkmcnt(1)
	v_mul_f64 v[64:65], v[6:7], v[38:39]
	v_mul_f64 v[38:39], v[8:9], v[38:39]
	v_add_f64 v[56:57], v[30:31], v[70:71]
	scratch_load_b128 v[30:33], off, off offset:992
	v_add_f64 v[48:49], v[48:49], v[68:69]
	v_fma_f64 v[64:65], v[8:9], v[36:37], v[64:65]
	v_fma_f64 v[38:39], v[6:7], v[36:37], -v[38:39]
	s_waitcnt vmcnt(8) lgkmcnt(0)
	v_mul_f64 v[66:67], v[60:61], v[24:25]
	v_mul_f64 v[24:25], v[62:63], v[24:25]
	v_add_f64 v[56:57], v[56:57], v[34:35]
	ds_load_b128 v[6:9], v1 offset:1888
	ds_load_b128 v[34:37], v1 offset:1904
	v_add_f64 v[48:49], v[48:49], v[58:59]
	v_fma_f64 v[62:63], v[62:63], v[22:23], v[66:67]
	v_fma_f64 v[22:23], v[60:61], v[22:23], -v[24:25]
	s_waitcnt vmcnt(7) lgkmcnt(1)
	v_mul_f64 v[58:59], v[6:7], v[28:29]
	v_mul_f64 v[28:29], v[8:9], v[28:29]
	v_add_f64 v[24:25], v[56:57], v[38:39]
	v_add_f64 v[38:39], v[48:49], v[64:65]
	s_waitcnt vmcnt(6) lgkmcnt(0)
	v_mul_f64 v[48:49], v[34:35], v[16:17]
	v_mul_f64 v[16:17], v[36:37], v[16:17]
	v_fma_f64 v[56:57], v[8:9], v[26:27], v[58:59]
	v_fma_f64 v[26:27], v[6:7], v[26:27], -v[28:29]
	v_add_f64 v[28:29], v[24:25], v[22:23]
	ds_load_b128 v[6:9], v1 offset:1920
	ds_load_b128 v[22:25], v1 offset:1936
	v_add_f64 v[38:39], v[38:39], v[62:63]
	v_fma_f64 v[36:37], v[36:37], v[14:15], v[48:49]
	v_fma_f64 v[14:15], v[34:35], v[14:15], -v[16:17]
	s_waitcnt vmcnt(5) lgkmcnt(1)
	v_mul_f64 v[58:59], v[6:7], v[20:21]
	v_mul_f64 v[20:21], v[8:9], v[20:21]
	v_add_f64 v[16:17], v[28:29], v[26:27]
	v_add_f64 v[26:27], v[38:39], v[56:57]
	s_waitcnt vmcnt(4) lgkmcnt(0)
	v_mul_f64 v[28:29], v[22:23], v[54:55]
	v_mul_f64 v[34:35], v[24:25], v[54:55]
	v_fma_f64 v[38:39], v[8:9], v[18:19], v[58:59]
	v_fma_f64 v[18:19], v[6:7], v[18:19], -v[20:21]
	v_add_f64 v[20:21], v[16:17], v[14:15]
	ds_load_b128 v[6:9], v1 offset:1952
	ds_load_b128 v[14:17], v1 offset:1968
	v_add_f64 v[26:27], v[26:27], v[36:37]
	v_fma_f64 v[24:25], v[24:25], v[52:53], v[28:29]
	s_waitcnt vmcnt(3) lgkmcnt(1)
	v_mul_f64 v[36:37], v[6:7], v[12:13]
	v_mul_f64 v[12:13], v[8:9], v[12:13]
	v_fma_f64 v[22:23], v[22:23], v[52:53], -v[34:35]
	s_waitcnt vmcnt(2) lgkmcnt(0)
	v_mul_f64 v[28:29], v[16:17], v[42:43]
	v_add_f64 v[18:19], v[20:21], v[18:19]
	v_add_f64 v[20:21], v[26:27], v[38:39]
	v_mul_f64 v[26:27], v[14:15], v[42:43]
	v_fma_f64 v[34:35], v[8:9], v[10:11], v[36:37]
	v_fma_f64 v[36:37], v[6:7], v[10:11], -v[12:13]
	ds_load_b128 v[6:9], v1 offset:1984
	ds_load_b128 v[10:13], v1 offset:2000
	v_fma_f64 v[14:15], v[14:15], v[40:41], -v[28:29]
	v_add_f64 v[18:19], v[18:19], v[22:23]
	v_add_f64 v[20:21], v[20:21], v[24:25]
	s_waitcnt vmcnt(1) lgkmcnt(1)
	v_mul_f64 v[22:23], v[6:7], v[46:47]
	v_mul_f64 v[24:25], v[8:9], v[46:47]
	v_fma_f64 v[16:17], v[16:17], v[40:41], v[26:27]
	v_add_f64 v[18:19], v[18:19], v[36:37]
	v_add_f64 v[20:21], v[20:21], v[34:35]
	v_fma_f64 v[8:9], v[8:9], v[44:45], v[22:23]
	v_fma_f64 v[6:7], v[6:7], v[44:45], -v[24:25]
	s_waitcnt vmcnt(0) lgkmcnt(0)
	v_mul_f64 v[26:27], v[10:11], v[32:33]
	v_mul_f64 v[28:29], v[12:13], v[32:33]
	v_add_f64 v[14:15], v[18:19], v[14:15]
	v_add_f64 v[16:17], v[20:21], v[16:17]
	s_delay_alu instid0(VALU_DEP_4) | instskip(NEXT) | instid1(VALU_DEP_4)
	v_fma_f64 v[12:13], v[12:13], v[30:31], v[26:27]
	v_fma_f64 v[10:11], v[10:11], v[30:31], -v[28:29]
	s_delay_alu instid0(VALU_DEP_4) | instskip(NEXT) | instid1(VALU_DEP_4)
	v_add_f64 v[6:7], v[14:15], v[6:7]
	v_add_f64 v[8:9], v[16:17], v[8:9]
	s_delay_alu instid0(VALU_DEP_2) | instskip(NEXT) | instid1(VALU_DEP_2)
	v_add_f64 v[6:7], v[6:7], v[10:11]
	v_add_f64 v[8:9], v[8:9], v[12:13]
	s_delay_alu instid0(VALU_DEP_2) | instskip(NEXT) | instid1(VALU_DEP_2)
	v_add_f64 v[1:2], v[2:3], -v[6:7]
	v_add_f64 v[3:4], v[4:5], -v[8:9]
	scratch_store_b128 off, v[1:4], off offset:160
	v_cmpx_lt_u32_e32 9, v176
	s_cbranch_execz .LBB62_385
; %bb.384:
	scratch_load_b32 v1, off, off offset:1152 ; 4-byte Folded Reload
	v_mov_b32_e32 v5, 0
	s_delay_alu instid0(VALU_DEP_1)
	v_mov_b32_e32 v6, v5
	v_mov_b32_e32 v7, v5
	;; [unrolled: 1-line block ×3, first 2 shown]
	s_waitcnt vmcnt(0)
	scratch_load_b128 v[1:4], v1, off
	scratch_store_b128 off, v[5:8], off offset:144
	s_waitcnt vmcnt(0)
	ds_store_b128 v255, v[1:4]
.LBB62_385:
	s_or_b32 exec_lo, exec_lo, s2
	s_waitcnt lgkmcnt(0)
	s_waitcnt_vscnt null, 0x0
	s_barrier
	buffer_gl0_inv
	s_clause 0x7
	scratch_load_b128 v[34:37], off, off offset:160
	scratch_load_b128 v[38:41], off, off offset:176
	;; [unrolled: 1-line block ×8, first 2 shown]
	v_mov_b32_e32 v1, 0
	s_mov_b32 s2, exec_lo
	ds_load_b128 v[46:49], v1 offset:1168
	s_clause 0x1
	scratch_load_b128 v[14:17], off, off offset:288
	scratch_load_b128 v[2:5], off, off offset:144
	ds_load_b128 v[42:45], v1 offset:1184
	scratch_load_b128 v[52:55], off, off offset:304
	s_waitcnt vmcnt(10) lgkmcnt(1)
	v_mul_f64 v[56:57], v[48:49], v[36:37]
	v_mul_f64 v[36:37], v[46:47], v[36:37]
	s_delay_alu instid0(VALU_DEP_2) | instskip(NEXT) | instid1(VALU_DEP_2)
	v_fma_f64 v[62:63], v[46:47], v[34:35], -v[56:57]
	v_fma_f64 v[64:65], v[48:49], v[34:35], v[36:37]
	scratch_load_b128 v[46:49], off, off offset:320
	ds_load_b128 v[34:37], v1 offset:1200
	s_waitcnt vmcnt(10) lgkmcnt(1)
	v_mul_f64 v[60:61], v[42:43], v[40:41]
	v_mul_f64 v[40:41], v[44:45], v[40:41]
	ds_load_b128 v[56:59], v1 offset:1216
	s_waitcnt vmcnt(9) lgkmcnt(1)
	v_mul_f64 v[66:67], v[34:35], v[32:33]
	v_mul_f64 v[32:33], v[36:37], v[32:33]
	v_fma_f64 v[44:45], v[44:45], v[38:39], v[60:61]
	v_fma_f64 v[42:43], v[42:43], v[38:39], -v[40:41]
	v_add_f64 v[60:61], v[62:63], 0
	v_add_f64 v[62:63], v[64:65], 0
	scratch_load_b128 v[38:41], off, off offset:336
	v_fma_f64 v[36:37], v[36:37], v[30:31], v[66:67]
	v_fma_f64 v[66:67], v[34:35], v[30:31], -v[32:33]
	scratch_load_b128 v[32:35], off, off offset:352
	v_add_f64 v[60:61], v[60:61], v[42:43]
	v_add_f64 v[62:63], v[62:63], v[44:45]
	ds_load_b128 v[42:45], v1 offset:1248
	s_waitcnt vmcnt(10) lgkmcnt(1)
	v_mul_f64 v[64:65], v[56:57], v[28:29]
	v_mul_f64 v[68:69], v[58:59], v[28:29]
	ds_load_b128 v[28:31], v1 offset:1232
	v_add_f64 v[60:61], v[60:61], v[66:67]
	v_add_f64 v[36:37], v[62:63], v[36:37]
	s_waitcnt vmcnt(8) lgkmcnt(1)
	v_mul_f64 v[62:63], v[42:43], v[20:21]
	v_fma_f64 v[58:59], v[58:59], v[26:27], v[64:65]
	v_fma_f64 v[56:57], v[56:57], v[26:27], -v[68:69]
	v_mul_f64 v[64:65], v[44:45], v[20:21]
	s_delay_alu instid0(VALU_DEP_4) | instskip(NEXT) | instid1(VALU_DEP_4)
	v_fma_f64 v[62:63], v[44:45], v[18:19], v[62:63]
	v_add_f64 v[36:37], v[36:37], v[58:59]
	s_delay_alu instid0(VALU_DEP_4)
	v_add_f64 v[60:61], v[60:61], v[56:57]
	ds_load_b128 v[56:59], v1 offset:1280
	s_waitcnt lgkmcnt(1)
	v_mul_f64 v[70:71], v[28:29], v[24:25]
	v_mul_f64 v[72:73], v[30:31], v[24:25]
	scratch_load_b128 v[24:27], off, off offset:368
	v_fma_f64 v[18:19], v[42:43], v[18:19], -v[64:65]
	scratch_load_b128 v[42:45], off, off offset:400
	s_waitcnt vmcnt(8) lgkmcnt(0)
	v_mul_f64 v[64:65], v[56:57], v[8:9]
	v_fma_f64 v[66:67], v[30:31], v[22:23], v[70:71]
	v_fma_f64 v[68:69], v[28:29], v[22:23], -v[72:73]
	ds_load_b128 v[20:23], v1 offset:1264
	scratch_load_b128 v[28:31], off, off offset:384
	v_fma_f64 v[64:65], v[58:59], v[6:7], v[64:65]
	v_add_f64 v[36:37], v[36:37], v[66:67]
	v_add_f64 v[60:61], v[60:61], v[68:69]
	v_mul_f64 v[66:67], v[58:59], v[8:9]
	s_delay_alu instid0(VALU_DEP_3) | instskip(NEXT) | instid1(VALU_DEP_3)
	v_add_f64 v[36:37], v[36:37], v[62:63]
	v_add_f64 v[68:69], v[60:61], v[18:19]
	ds_load_b128 v[60:63], v1 offset:1312
	s_waitcnt lgkmcnt(1)
	v_mul_f64 v[70:71], v[20:21], v[12:13]
	v_mul_f64 v[12:13], v[22:23], v[12:13]
	v_fma_f64 v[6:7], v[56:57], v[6:7], -v[66:67]
	scratch_load_b128 v[56:59], off, off offset:432
	v_fma_f64 v[22:23], v[22:23], v[10:11], v[70:71]
	v_fma_f64 v[12:13], v[20:21], v[10:11], -v[12:13]
	ds_load_b128 v[8:11], v1 offset:1296
	scratch_load_b128 v[18:21], off, off offset:416
	s_waitcnt vmcnt(10) lgkmcnt(0)
	v_mul_f64 v[70:71], v[8:9], v[16:17]
	v_mul_f64 v[16:17], v[10:11], v[16:17]
	v_add_f64 v[22:23], v[36:37], v[22:23]
	v_add_f64 v[12:13], v[68:69], v[12:13]
	s_waitcnt vmcnt(8)
	v_mul_f64 v[36:37], v[60:61], v[54:55]
	v_mul_f64 v[54:55], v[62:63], v[54:55]
	v_fma_f64 v[66:67], v[10:11], v[14:15], v[70:71]
	v_fma_f64 v[68:69], v[8:9], v[14:15], -v[16:17]
	ds_load_b128 v[14:17], v1 offset:1344
	v_add_f64 v[22:23], v[22:23], v[64:65]
	v_add_f64 v[70:71], v[12:13], v[6:7]
	scratch_load_b128 v[10:13], off, off offset:448
	ds_load_b128 v[6:9], v1 offset:1328
	v_fma_f64 v[36:37], v[62:63], v[52:53], v[36:37]
	v_fma_f64 v[60:61], v[60:61], v[52:53], -v[54:55]
	scratch_load_b128 v[52:55], off, off offset:464
	s_waitcnt vmcnt(9) lgkmcnt(0)
	v_mul_f64 v[64:65], v[6:7], v[48:49]
	v_mul_f64 v[48:49], v[8:9], v[48:49]
	v_add_f64 v[22:23], v[22:23], v[66:67]
	v_add_f64 v[62:63], v[70:71], v[68:69]
	s_waitcnt vmcnt(8)
	v_mul_f64 v[66:67], v[14:15], v[40:41]
	v_mul_f64 v[40:41], v[16:17], v[40:41]
	v_fma_f64 v[64:65], v[8:9], v[46:47], v[64:65]
	v_fma_f64 v[68:69], v[6:7], v[46:47], -v[48:49]
	scratch_load_b128 v[46:49], off, off offset:480
	ds_load_b128 v[6:9], v1 offset:1360
	v_add_f64 v[22:23], v[22:23], v[36:37]
	v_add_f64 v[70:71], v[62:63], v[60:61]
	ds_load_b128 v[60:63], v1 offset:1376
	v_fma_f64 v[66:67], v[16:17], v[38:39], v[66:67]
	v_fma_f64 v[38:39], v[14:15], v[38:39], -v[40:41]
	scratch_load_b128 v[14:17], off, off offset:496
	s_waitcnt vmcnt(9) lgkmcnt(1)
	v_mul_f64 v[36:37], v[6:7], v[34:35]
	v_mul_f64 v[34:35], v[8:9], v[34:35]
	v_add_f64 v[22:23], v[22:23], v[64:65]
	v_add_f64 v[40:41], v[70:71], v[68:69]
	s_waitcnt vmcnt(8) lgkmcnt(0)
	v_mul_f64 v[64:65], v[60:61], v[26:27]
	v_mul_f64 v[26:27], v[62:63], v[26:27]
	v_fma_f64 v[68:69], v[8:9], v[32:33], v[36:37]
	v_fma_f64 v[70:71], v[6:7], v[32:33], -v[34:35]
	scratch_load_b128 v[32:35], off, off offset:512
	ds_load_b128 v[6:9], v1 offset:1392
	v_add_f64 v[22:23], v[22:23], v[66:67]
	v_add_f64 v[40:41], v[40:41], v[38:39]
	ds_load_b128 v[36:39], v1 offset:1408
	s_waitcnt vmcnt(7) lgkmcnt(1)
	v_mul_f64 v[66:67], v[6:7], v[30:31]
	v_mul_f64 v[30:31], v[8:9], v[30:31]
	v_fma_f64 v[62:63], v[62:63], v[24:25], v[64:65]
	v_fma_f64 v[26:27], v[60:61], v[24:25], -v[26:27]
	s_waitcnt lgkmcnt(0)
	v_mul_f64 v[64:65], v[36:37], v[44:45]
	v_mul_f64 v[44:45], v[38:39], v[44:45]
	v_add_f64 v[60:61], v[22:23], v[68:69]
	v_add_f64 v[40:41], v[40:41], v[70:71]
	scratch_load_b128 v[22:25], off, off offset:528
	v_fma_f64 v[66:67], v[8:9], v[28:29], v[66:67]
	v_fma_f64 v[30:31], v[6:7], v[28:29], -v[30:31]
	ds_load_b128 v[6:9], v1 offset:1424
	v_fma_f64 v[64:65], v[38:39], v[42:43], v[64:65]
	v_fma_f64 v[42:43], v[36:37], v[42:43], -v[44:45]
	scratch_load_b128 v[36:39], off, off offset:560
	v_add_f64 v[68:69], v[60:61], v[62:63]
	v_add_f64 v[40:41], v[40:41], v[26:27]
	scratch_load_b128 v[26:29], off, off offset:544
	ds_load_b128 v[60:63], v1 offset:1440
	s_waitcnt vmcnt(8) lgkmcnt(1)
	v_mul_f64 v[70:71], v[6:7], v[20:21]
	v_mul_f64 v[20:21], v[8:9], v[20:21]
	s_waitcnt lgkmcnt(0)
	v_mul_f64 v[44:45], v[60:61], v[58:59]
	v_mul_f64 v[58:59], v[62:63], v[58:59]
	v_add_f64 v[30:31], v[40:41], v[30:31]
	v_add_f64 v[40:41], v[68:69], v[66:67]
	v_fma_f64 v[66:67], v[8:9], v[18:19], v[70:71]
	v_fma_f64 v[68:69], v[6:7], v[18:19], -v[20:21]
	scratch_load_b128 v[18:21], off, off offset:576
	ds_load_b128 v[6:9], v1 offset:1456
	v_fma_f64 v[44:45], v[62:63], v[56:57], v[44:45]
	v_fma_f64 v[60:61], v[60:61], v[56:57], -v[58:59]
	scratch_load_b128 v[56:59], off, off offset:592
	v_add_f64 v[30:31], v[30:31], v[42:43]
	v_add_f64 v[64:65], v[40:41], v[64:65]
	ds_load_b128 v[40:43], v1 offset:1472
	s_waitcnt vmcnt(9) lgkmcnt(1)
	v_mul_f64 v[70:71], v[6:7], v[12:13]
	v_mul_f64 v[12:13], v[8:9], v[12:13]
	v_add_f64 v[30:31], v[30:31], v[68:69]
	v_add_f64 v[62:63], v[64:65], v[66:67]
	s_waitcnt vmcnt(8) lgkmcnt(0)
	v_mul_f64 v[64:65], v[40:41], v[54:55]
	v_mul_f64 v[54:55], v[42:43], v[54:55]
	v_fma_f64 v[66:67], v[8:9], v[10:11], v[70:71]
	v_fma_f64 v[68:69], v[6:7], v[10:11], -v[12:13]
	scratch_load_b128 v[10:13], off, off offset:608
	ds_load_b128 v[6:9], v1 offset:1488
	v_add_f64 v[30:31], v[30:31], v[60:61]
	v_add_f64 v[44:45], v[62:63], v[44:45]
	ds_load_b128 v[60:63], v1 offset:1504
	s_waitcnt vmcnt(8) lgkmcnt(1)
	v_mul_f64 v[70:71], v[6:7], v[48:49]
	v_mul_f64 v[48:49], v[8:9], v[48:49]
	v_fma_f64 v[64:65], v[42:43], v[52:53], v[64:65]
	v_fma_f64 v[52:53], v[40:41], v[52:53], -v[54:55]
	scratch_load_b128 v[40:43], off, off offset:624
	v_add_f64 v[30:31], v[30:31], v[68:69]
	v_add_f64 v[44:45], v[44:45], v[66:67]
	s_waitcnt vmcnt(8) lgkmcnt(0)
	v_mul_f64 v[66:67], v[60:61], v[16:17]
	v_mul_f64 v[16:17], v[62:63], v[16:17]
	v_fma_f64 v[68:69], v[8:9], v[46:47], v[70:71]
	v_fma_f64 v[48:49], v[6:7], v[46:47], -v[48:49]
	ds_load_b128 v[6:9], v1 offset:1520
	v_add_f64 v[30:31], v[30:31], v[52:53]
	ds_load_b128 v[52:55], v1 offset:1536
	v_add_f64 v[64:65], v[44:45], v[64:65]
	scratch_load_b128 v[44:47], off, off offset:640
	s_waitcnt vmcnt(8) lgkmcnt(1)
	v_mul_f64 v[70:71], v[6:7], v[34:35]
	v_mul_f64 v[34:35], v[8:9], v[34:35]
	v_fma_f64 v[62:63], v[62:63], v[14:15], v[66:67]
	v_fma_f64 v[60:61], v[60:61], v[14:15], -v[16:17]
	scratch_load_b128 v[14:17], off, off offset:656
	v_add_f64 v[30:31], v[30:31], v[48:49]
	v_add_f64 v[48:49], v[64:65], v[68:69]
	v_fma_f64 v[66:67], v[8:9], v[32:33], v[70:71]
	v_fma_f64 v[34:35], v[6:7], v[32:33], -v[34:35]
	ds_load_b128 v[6:9], v1 offset:1552
	s_waitcnt vmcnt(8) lgkmcnt(1)
	v_mul_f64 v[64:65], v[52:53], v[24:25]
	v_mul_f64 v[24:25], v[54:55], v[24:25]
	v_add_f64 v[68:69], v[30:31], v[60:61]
	scratch_load_b128 v[30:33], off, off offset:672
	v_add_f64 v[48:49], v[48:49], v[62:63]
	ds_load_b128 v[60:63], v1 offset:1568
	s_waitcnt vmcnt(7) lgkmcnt(1)
	v_mul_f64 v[70:71], v[6:7], v[28:29]
	v_mul_f64 v[28:29], v[8:9], v[28:29]
	v_fma_f64 v[54:55], v[54:55], v[22:23], v[64:65]
	v_fma_f64 v[52:53], v[52:53], v[22:23], -v[24:25]
	scratch_load_b128 v[22:25], off, off offset:688
	s_waitcnt lgkmcnt(0)
	v_mul_f64 v[64:65], v[60:61], v[38:39]
	v_mul_f64 v[38:39], v[62:63], v[38:39]
	v_add_f64 v[34:35], v[68:69], v[34:35]
	v_add_f64 v[48:49], v[48:49], v[66:67]
	v_fma_f64 v[66:67], v[8:9], v[26:27], v[70:71]
	v_fma_f64 v[68:69], v[6:7], v[26:27], -v[28:29]
	scratch_load_b128 v[26:29], off, off offset:704
	ds_load_b128 v[6:9], v1 offset:1584
	v_fma_f64 v[62:63], v[62:63], v[36:37], v[64:65]
	v_fma_f64 v[38:39], v[60:61], v[36:37], -v[38:39]
	v_add_f64 v[34:35], v[34:35], v[52:53]
	v_add_f64 v[48:49], v[48:49], v[54:55]
	ds_load_b128 v[52:55], v1 offset:1600
	s_waitcnt vmcnt(8) lgkmcnt(1)
	v_mul_f64 v[70:71], v[6:7], v[20:21]
	v_mul_f64 v[20:21], v[8:9], v[20:21]
	s_waitcnt vmcnt(7) lgkmcnt(0)
	v_mul_f64 v[64:65], v[52:53], v[58:59]
	v_add_f64 v[60:61], v[34:35], v[68:69]
	scratch_load_b128 v[34:37], off, off offset:720
	v_add_f64 v[48:49], v[48:49], v[66:67]
	v_mul_f64 v[66:67], v[54:55], v[58:59]
	v_fma_f64 v[68:69], v[8:9], v[18:19], v[70:71]
	v_fma_f64 v[70:71], v[6:7], v[18:19], -v[20:21]
	scratch_load_b128 v[18:21], off, off offset:736
	ds_load_b128 v[6:9], v1 offset:1616
	v_fma_f64 v[64:65], v[54:55], v[56:57], v[64:65]
	v_add_f64 v[38:39], v[60:61], v[38:39]
	ds_load_b128 v[58:61], v1 offset:1632
	v_add_f64 v[48:49], v[48:49], v[62:63]
	s_waitcnt vmcnt(8) lgkmcnt(1)
	v_mul_f64 v[62:63], v[6:7], v[12:13]
	v_mul_f64 v[12:13], v[8:9], v[12:13]
	v_fma_f64 v[56:57], v[52:53], v[56:57], -v[66:67]
	scratch_load_b128 v[52:55], off, off offset:752
	s_waitcnt vmcnt(8) lgkmcnt(0)
	v_mul_f64 v[66:67], v[58:59], v[42:43]
	v_mul_f64 v[42:43], v[60:61], v[42:43]
	v_add_f64 v[38:39], v[38:39], v[70:71]
	v_add_f64 v[48:49], v[48:49], v[68:69]
	v_fma_f64 v[68:69], v[8:9], v[10:11], v[62:63]
	v_fma_f64 v[70:71], v[6:7], v[10:11], -v[12:13]
	scratch_load_b128 v[10:13], off, off offset:768
	ds_load_b128 v[6:9], v1 offset:1648
	v_fma_f64 v[60:61], v[60:61], v[40:41], v[66:67]
	v_fma_f64 v[42:43], v[58:59], v[40:41], -v[42:43]
	v_add_f64 v[38:39], v[38:39], v[56:57]
	v_add_f64 v[48:49], v[48:49], v[64:65]
	ds_load_b128 v[62:65], v1 offset:1664
	s_waitcnt vmcnt(8) lgkmcnt(1)
	v_mul_f64 v[56:57], v[6:7], v[46:47]
	v_mul_f64 v[46:47], v[8:9], v[46:47]
	s_waitcnt vmcnt(7) lgkmcnt(0)
	v_mul_f64 v[66:67], v[62:63], v[16:17]
	v_mul_f64 v[16:17], v[64:65], v[16:17]
	v_add_f64 v[58:59], v[38:39], v[70:71]
	scratch_load_b128 v[38:41], off, off offset:784
	v_add_f64 v[48:49], v[48:49], v[68:69]
	v_fma_f64 v[56:57], v[8:9], v[44:45], v[56:57]
	v_fma_f64 v[68:69], v[6:7], v[44:45], -v[46:47]
	ds_load_b128 v[6:9], v1 offset:1680
	v_fma_f64 v[64:65], v[64:65], v[14:15], v[66:67]
	v_fma_f64 v[62:63], v[62:63], v[14:15], -v[16:17]
	scratch_load_b128 v[14:17], off, off offset:816
	v_add_f64 v[58:59], v[58:59], v[42:43]
	scratch_load_b128 v[42:45], off, off offset:800
	v_add_f64 v[60:61], v[48:49], v[60:61]
	ds_load_b128 v[46:49], v1 offset:1696
	s_waitcnt vmcnt(9) lgkmcnt(1)
	v_mul_f64 v[70:71], v[6:7], v[32:33]
	v_mul_f64 v[32:33], v[8:9], v[32:33]
	v_add_f64 v[58:59], v[58:59], v[68:69]
	v_add_f64 v[56:57], v[60:61], v[56:57]
	s_waitcnt vmcnt(8) lgkmcnt(0)
	v_mul_f64 v[60:61], v[46:47], v[24:25]
	v_mul_f64 v[24:25], v[48:49], v[24:25]
	v_fma_f64 v[66:67], v[8:9], v[30:31], v[70:71]
	v_fma_f64 v[68:69], v[6:7], v[30:31], -v[32:33]
	scratch_load_b128 v[30:33], off, off offset:832
	ds_load_b128 v[6:9], v1 offset:1712
	v_add_f64 v[62:63], v[58:59], v[62:63]
	v_add_f64 v[64:65], v[56:57], v[64:65]
	ds_load_b128 v[56:59], v1 offset:1728
	s_waitcnt vmcnt(8) lgkmcnt(1)
	v_mul_f64 v[70:71], v[6:7], v[28:29]
	v_mul_f64 v[28:29], v[8:9], v[28:29]
	v_fma_f64 v[48:49], v[48:49], v[22:23], v[60:61]
	v_fma_f64 v[46:47], v[46:47], v[22:23], -v[24:25]
	scratch_load_b128 v[22:25], off, off offset:848
	v_add_f64 v[60:61], v[62:63], v[68:69]
	v_add_f64 v[62:63], v[64:65], v[66:67]
	v_fma_f64 v[66:67], v[8:9], v[26:27], v[70:71]
	v_fma_f64 v[68:69], v[6:7], v[26:27], -v[28:29]
	scratch_load_b128 v[26:29], off, off offset:864
	ds_load_b128 v[6:9], v1 offset:1744
	s_waitcnt vmcnt(9) lgkmcnt(1)
	v_mul_f64 v[64:65], v[56:57], v[36:37]
	v_mul_f64 v[36:37], v[58:59], v[36:37]
	v_add_f64 v[60:61], v[60:61], v[46:47]
	v_add_f64 v[62:63], v[62:63], v[48:49]
	ds_load_b128 v[46:49], v1 offset:1760
	s_waitcnt vmcnt(8) lgkmcnt(1)
	v_mul_f64 v[70:71], v[6:7], v[20:21]
	v_mul_f64 v[20:21], v[8:9], v[20:21]
	v_fma_f64 v[58:59], v[58:59], v[34:35], v[64:65]
	v_fma_f64 v[56:57], v[56:57], v[34:35], -v[36:37]
	scratch_load_b128 v[34:37], off, off offset:880
	s_waitcnt vmcnt(8) lgkmcnt(0)
	v_mul_f64 v[64:65], v[46:47], v[54:55]
	v_add_f64 v[60:61], v[60:61], v[68:69]
	v_add_f64 v[62:63], v[62:63], v[66:67]
	v_mul_f64 v[66:67], v[48:49], v[54:55]
	v_fma_f64 v[68:69], v[8:9], v[18:19], v[70:71]
	v_fma_f64 v[70:71], v[6:7], v[18:19], -v[20:21]
	scratch_load_b128 v[18:21], off, off offset:896
	ds_load_b128 v[6:9], v1 offset:1776
	v_fma_f64 v[64:65], v[48:49], v[52:53], v[64:65]
	v_add_f64 v[60:61], v[60:61], v[56:57]
	ds_load_b128 v[54:57], v1 offset:1792
	v_add_f64 v[58:59], v[62:63], v[58:59]
	s_waitcnt vmcnt(8) lgkmcnt(1)
	v_mul_f64 v[62:63], v[6:7], v[12:13]
	v_mul_f64 v[12:13], v[8:9], v[12:13]
	v_fma_f64 v[52:53], v[46:47], v[52:53], -v[66:67]
	scratch_load_b128 v[46:49], off, off offset:912
	v_add_f64 v[60:61], v[60:61], v[70:71]
	v_add_f64 v[58:59], v[58:59], v[68:69]
	v_fma_f64 v[62:63], v[8:9], v[10:11], v[62:63]
	v_fma_f64 v[68:69], v[6:7], v[10:11], -v[12:13]
	scratch_load_b128 v[10:13], off, off offset:928
	ds_load_b128 v[6:9], v1 offset:1808
	s_waitcnt vmcnt(9) lgkmcnt(1)
	v_mul_f64 v[66:67], v[54:55], v[40:41]
	v_mul_f64 v[40:41], v[56:57], v[40:41]
	v_add_f64 v[52:53], v[60:61], v[52:53]
	v_add_f64 v[64:65], v[58:59], v[64:65]
	ds_load_b128 v[58:61], v1 offset:1824
	s_waitcnt vmcnt(7) lgkmcnt(1)
	v_mul_f64 v[70:71], v[6:7], v[44:45]
	v_mul_f64 v[44:45], v[8:9], v[44:45]
	v_fma_f64 v[56:57], v[56:57], v[38:39], v[66:67]
	v_fma_f64 v[54:55], v[54:55], v[38:39], -v[40:41]
	scratch_load_b128 v[38:41], off, off offset:944
	v_add_f64 v[52:53], v[52:53], v[68:69]
	v_add_f64 v[62:63], v[64:65], v[62:63]
	s_waitcnt lgkmcnt(0)
	v_mul_f64 v[64:65], v[58:59], v[16:17]
	v_mul_f64 v[16:17], v[60:61], v[16:17]
	v_fma_f64 v[66:67], v[8:9], v[42:43], v[70:71]
	v_fma_f64 v[68:69], v[6:7], v[42:43], -v[44:45]
	scratch_load_b128 v[42:45], off, off offset:960
	ds_load_b128 v[6:9], v1 offset:1840
	v_add_f64 v[70:71], v[52:53], v[54:55]
	ds_load_b128 v[52:55], v1 offset:1856
	v_add_f64 v[56:57], v[62:63], v[56:57]
	s_waitcnt vmcnt(8) lgkmcnt(1)
	v_mul_f64 v[62:63], v[6:7], v[32:33]
	v_mul_f64 v[32:33], v[8:9], v[32:33]
	v_fma_f64 v[60:61], v[60:61], v[14:15], v[64:65]
	v_fma_f64 v[58:59], v[58:59], v[14:15], -v[16:17]
	scratch_load_b128 v[14:17], off, off offset:976
	v_add_f64 v[64:65], v[70:71], v[68:69]
	v_add_f64 v[56:57], v[56:57], v[66:67]
	s_waitcnt vmcnt(8) lgkmcnt(0)
	v_mul_f64 v[66:67], v[52:53], v[24:25]
	v_mul_f64 v[24:25], v[54:55], v[24:25]
	v_fma_f64 v[62:63], v[8:9], v[30:31], v[62:63]
	v_fma_f64 v[68:69], v[6:7], v[30:31], -v[32:33]
	scratch_load_b128 v[30:33], off, off offset:992
	ds_load_b128 v[6:9], v1 offset:1872
	v_add_f64 v[64:65], v[64:65], v[58:59]
	v_add_f64 v[60:61], v[56:57], v[60:61]
	ds_load_b128 v[56:59], v1 offset:1888
	s_waitcnt vmcnt(8) lgkmcnt(1)
	v_mul_f64 v[70:71], v[6:7], v[28:29]
	v_mul_f64 v[28:29], v[8:9], v[28:29]
	v_fma_f64 v[54:55], v[54:55], v[22:23], v[66:67]
	v_fma_f64 v[22:23], v[52:53], v[22:23], -v[24:25]
	v_add_f64 v[24:25], v[64:65], v[68:69]
	v_add_f64 v[52:53], v[60:61], v[62:63]
	s_waitcnt vmcnt(7) lgkmcnt(0)
	v_mul_f64 v[60:61], v[56:57], v[36:37]
	v_mul_f64 v[36:37], v[58:59], v[36:37]
	v_fma_f64 v[62:63], v[8:9], v[26:27], v[70:71]
	v_fma_f64 v[26:27], v[6:7], v[26:27], -v[28:29]
	v_add_f64 v[28:29], v[24:25], v[22:23]
	ds_load_b128 v[6:9], v1 offset:1904
	ds_load_b128 v[22:25], v1 offset:1920
	v_add_f64 v[52:53], v[52:53], v[54:55]
	v_fma_f64 v[58:59], v[58:59], v[34:35], v[60:61]
	v_fma_f64 v[34:35], v[56:57], v[34:35], -v[36:37]
	s_waitcnt vmcnt(6) lgkmcnt(1)
	v_mul_f64 v[54:55], v[6:7], v[20:21]
	v_mul_f64 v[20:21], v[8:9], v[20:21]
	s_waitcnt vmcnt(5) lgkmcnt(0)
	v_mul_f64 v[36:37], v[22:23], v[48:49]
	v_mul_f64 v[48:49], v[24:25], v[48:49]
	v_add_f64 v[26:27], v[28:29], v[26:27]
	v_add_f64 v[28:29], v[52:53], v[62:63]
	v_fma_f64 v[52:53], v[8:9], v[18:19], v[54:55]
	v_fma_f64 v[54:55], v[6:7], v[18:19], -v[20:21]
	ds_load_b128 v[6:9], v1 offset:1936
	ds_load_b128 v[18:21], v1 offset:1952
	v_fma_f64 v[24:25], v[24:25], v[46:47], v[36:37]
	v_fma_f64 v[22:23], v[22:23], v[46:47], -v[48:49]
	v_add_f64 v[26:27], v[26:27], v[34:35]
	v_add_f64 v[28:29], v[28:29], v[58:59]
	s_waitcnt vmcnt(4) lgkmcnt(1)
	v_mul_f64 v[34:35], v[6:7], v[12:13]
	v_mul_f64 v[12:13], v[8:9], v[12:13]
	s_waitcnt vmcnt(3) lgkmcnt(0)
	v_mul_f64 v[36:37], v[18:19], v[40:41]
	v_add_f64 v[26:27], v[26:27], v[54:55]
	v_mul_f64 v[40:41], v[20:21], v[40:41]
	v_add_f64 v[28:29], v[28:29], v[52:53]
	v_fma_f64 v[34:35], v[8:9], v[10:11], v[34:35]
	v_fma_f64 v[46:47], v[6:7], v[10:11], -v[12:13]
	ds_load_b128 v[6:9], v1 offset:1968
	ds_load_b128 v[10:13], v1 offset:1984
	v_fma_f64 v[20:21], v[20:21], v[38:39], v[36:37]
	v_add_f64 v[22:23], v[26:27], v[22:23]
	s_waitcnt vmcnt(2) lgkmcnt(1)
	v_mul_f64 v[26:27], v[6:7], v[44:45]
	v_add_f64 v[24:25], v[28:29], v[24:25]
	v_mul_f64 v[28:29], v[8:9], v[44:45]
	v_fma_f64 v[18:19], v[18:19], v[38:39], -v[40:41]
	v_add_f64 v[22:23], v[22:23], v[46:47]
	v_fma_f64 v[26:27], v[8:9], v[42:43], v[26:27]
	v_add_f64 v[24:25], v[24:25], v[34:35]
	s_waitcnt vmcnt(1) lgkmcnt(0)
	v_mul_f64 v[34:35], v[10:11], v[16:17]
	v_mul_f64 v[16:17], v[12:13], v[16:17]
	v_fma_f64 v[28:29], v[6:7], v[42:43], -v[28:29]
	ds_load_b128 v[6:9], v1 offset:2000
	v_add_f64 v[18:19], v[22:23], v[18:19]
	s_waitcnt vmcnt(0) lgkmcnt(0)
	v_mul_f64 v[22:23], v[6:7], v[32:33]
	v_add_f64 v[20:21], v[24:25], v[20:21]
	v_mul_f64 v[24:25], v[8:9], v[32:33]
	v_fma_f64 v[12:13], v[12:13], v[14:15], v[34:35]
	v_fma_f64 v[10:11], v[10:11], v[14:15], -v[16:17]
	v_add_f64 v[14:15], v[18:19], v[28:29]
	v_fma_f64 v[8:9], v[8:9], v[30:31], v[22:23]
	v_add_f64 v[16:17], v[20:21], v[26:27]
	v_fma_f64 v[6:7], v[6:7], v[30:31], -v[24:25]
	s_delay_alu instid0(VALU_DEP_4) | instskip(NEXT) | instid1(VALU_DEP_3)
	v_add_f64 v[10:11], v[14:15], v[10:11]
	v_add_f64 v[12:13], v[16:17], v[12:13]
	s_delay_alu instid0(VALU_DEP_2) | instskip(NEXT) | instid1(VALU_DEP_2)
	v_add_f64 v[6:7], v[10:11], v[6:7]
	v_add_f64 v[8:9], v[12:13], v[8:9]
	s_delay_alu instid0(VALU_DEP_2) | instskip(NEXT) | instid1(VALU_DEP_2)
	v_add_f64 v[2:3], v[2:3], -v[6:7]
	v_add_f64 v[4:5], v[4:5], -v[8:9]
	scratch_store_b128 off, v[2:5], off offset:144
	v_cmpx_lt_u32_e32 8, v176
	s_cbranch_execz .LBB62_387
; %bb.386:
	scratch_load_b32 v2, off, off offset:1156 ; 4-byte Folded Reload
	v_mov_b32_e32 v3, v1
	v_mov_b32_e32 v4, v1
	s_waitcnt vmcnt(0)
	scratch_load_b128 v[5:8], v2, off
	v_mov_b32_e32 v2, v1
	scratch_store_b128 off, v[1:4], off offset:128
	s_waitcnt vmcnt(0)
	ds_store_b128 v255, v[5:8]
.LBB62_387:
	s_or_b32 exec_lo, exec_lo, s2
	s_waitcnt lgkmcnt(0)
	s_waitcnt_vscnt null, 0x0
	s_barrier
	buffer_gl0_inv
	s_clause 0x8
	scratch_load_b128 v[34:37], off, off offset:144
	scratch_load_b128 v[38:41], off, off offset:160
	;; [unrolled: 1-line block ×9, first 2 shown]
	ds_load_b128 v[46:49], v1 offset:1152
	ds_load_b128 v[42:45], v1 offset:1168
	s_clause 0x1
	scratch_load_b128 v[2:5], off, off offset:128
	scratch_load_b128 v[52:55], off, off offset:288
	s_mov_b32 s2, exec_lo
	s_waitcnt vmcnt(10) lgkmcnt(1)
	v_mul_f64 v[56:57], v[48:49], v[36:37]
	v_mul_f64 v[36:37], v[46:47], v[36:37]
	s_waitcnt vmcnt(9) lgkmcnt(0)
	v_mul_f64 v[60:61], v[42:43], v[40:41]
	v_mul_f64 v[40:41], v[44:45], v[40:41]
	s_delay_alu instid0(VALU_DEP_4) | instskip(NEXT) | instid1(VALU_DEP_4)
	v_fma_f64 v[62:63], v[46:47], v[34:35], -v[56:57]
	v_fma_f64 v[64:65], v[48:49], v[34:35], v[36:37]
	ds_load_b128 v[34:37], v1 offset:1184
	ds_load_b128 v[56:59], v1 offset:1200
	scratch_load_b128 v[46:49], off, off offset:304
	v_fma_f64 v[44:45], v[44:45], v[38:39], v[60:61]
	v_fma_f64 v[42:43], v[42:43], v[38:39], -v[40:41]
	scratch_load_b128 v[38:41], off, off offset:320
	s_waitcnt vmcnt(10) lgkmcnt(1)
	v_mul_f64 v[66:67], v[34:35], v[32:33]
	v_mul_f64 v[32:33], v[36:37], v[32:33]
	s_waitcnt vmcnt(9) lgkmcnt(0)
	v_mul_f64 v[68:69], v[58:59], v[28:29]
	v_add_f64 v[60:61], v[62:63], 0
	v_add_f64 v[62:63], v[64:65], 0
	v_mul_f64 v[64:65], v[56:57], v[28:29]
	v_fma_f64 v[36:37], v[36:37], v[30:31], v[66:67]
	v_fma_f64 v[66:67], v[34:35], v[30:31], -v[32:33]
	ds_load_b128 v[28:31], v1 offset:1216
	scratch_load_b128 v[32:35], off, off offset:336
	v_fma_f64 v[56:57], v[56:57], v[26:27], -v[68:69]
	v_add_f64 v[60:61], v[60:61], v[42:43]
	v_add_f64 v[62:63], v[62:63], v[44:45]
	ds_load_b128 v[42:45], v1 offset:1232
	v_fma_f64 v[58:59], v[58:59], v[26:27], v[64:65]
	s_waitcnt vmcnt(9) lgkmcnt(1)
	v_mul_f64 v[70:71], v[28:29], v[24:25]
	v_mul_f64 v[72:73], v[30:31], v[24:25]
	scratch_load_b128 v[24:27], off, off offset:352
	s_waitcnt vmcnt(9) lgkmcnt(0)
	v_mul_f64 v[64:65], v[44:45], v[20:21]
	v_add_f64 v[60:61], v[60:61], v[66:67]
	v_add_f64 v[36:37], v[62:63], v[36:37]
	v_mul_f64 v[62:63], v[42:43], v[20:21]
	v_fma_f64 v[66:67], v[30:31], v[22:23], v[70:71]
	v_fma_f64 v[68:69], v[28:29], v[22:23], -v[72:73]
	ds_load_b128 v[20:23], v1 offset:1248
	scratch_load_b128 v[28:31], off, off offset:368
	v_fma_f64 v[42:43], v[42:43], v[18:19], -v[64:65]
	v_add_f64 v[60:61], v[60:61], v[56:57]
	v_add_f64 v[36:37], v[36:37], v[58:59]
	ds_load_b128 v[56:59], v1 offset:1264
	s_waitcnt vmcnt(9) lgkmcnt(1)
	v_mul_f64 v[70:71], v[20:21], v[16:17]
	v_mul_f64 v[72:73], v[22:23], v[16:17]
	v_fma_f64 v[44:45], v[44:45], v[18:19], v[62:63]
	scratch_load_b128 v[16:19], off, off offset:384
	s_waitcnt vmcnt(9) lgkmcnt(0)
	v_mul_f64 v[62:63], v[56:57], v[12:13]
	v_mul_f64 v[64:65], v[58:59], v[12:13]
	v_add_f64 v[60:61], v[60:61], v[68:69]
	v_add_f64 v[36:37], v[36:37], v[66:67]
	v_fma_f64 v[66:67], v[22:23], v[14:15], v[70:71]
	v_fma_f64 v[68:69], v[20:21], v[14:15], -v[72:73]
	ds_load_b128 v[12:15], v1 offset:1280
	scratch_load_b128 v[20:23], off, off offset:400
	v_fma_f64 v[58:59], v[58:59], v[10:11], v[62:63]
	v_fma_f64 v[56:57], v[56:57], v[10:11], -v[64:65]
	v_add_f64 v[60:61], v[60:61], v[42:43]
	v_add_f64 v[36:37], v[36:37], v[44:45]
	ds_load_b128 v[42:45], v1 offset:1296
	s_waitcnt vmcnt(9) lgkmcnt(1)
	v_mul_f64 v[70:71], v[12:13], v[8:9]
	v_mul_f64 v[72:73], v[14:15], v[8:9]
	scratch_load_b128 v[8:11], off, off offset:416
	s_waitcnt vmcnt(8) lgkmcnt(0)
	v_mul_f64 v[62:63], v[42:43], v[54:55]
	v_mul_f64 v[64:65], v[44:45], v[54:55]
	v_add_f64 v[60:61], v[60:61], v[68:69]
	v_add_f64 v[36:37], v[36:37], v[66:67]
	v_fma_f64 v[66:67], v[14:15], v[6:7], v[70:71]
	v_fma_f64 v[6:7], v[12:13], v[6:7], -v[72:73]
	ds_load_b128 v[12:15], v1 offset:1312
	v_fma_f64 v[62:63], v[44:45], v[52:53], v[62:63]
	v_fma_f64 v[52:53], v[42:43], v[52:53], -v[64:65]
	scratch_load_b128 v[42:45], off, off offset:448
	v_add_f64 v[68:69], v[60:61], v[56:57]
	v_add_f64 v[36:37], v[36:37], v[58:59]
	ds_load_b128 v[58:61], v1 offset:1328
	scratch_load_b128 v[54:57], off, off offset:432
	s_waitcnt vmcnt(9) lgkmcnt(1)
	v_mul_f64 v[70:71], v[12:13], v[48:49]
	v_mul_f64 v[48:49], v[14:15], v[48:49]
	v_add_f64 v[6:7], v[68:69], v[6:7]
	v_add_f64 v[36:37], v[36:37], v[66:67]
	s_waitcnt vmcnt(8) lgkmcnt(0)
	v_mul_f64 v[66:67], v[58:59], v[40:41]
	v_mul_f64 v[40:41], v[60:61], v[40:41]
	v_fma_f64 v[68:69], v[14:15], v[46:47], v[70:71]
	v_fma_f64 v[70:71], v[12:13], v[46:47], -v[48:49]
	ds_load_b128 v[12:15], v1 offset:1344
	scratch_load_b128 v[46:49], off, off offset:464
	v_add_f64 v[6:7], v[6:7], v[52:53]
	v_add_f64 v[36:37], v[36:37], v[62:63]
	ds_load_b128 v[62:65], v1 offset:1360
	v_fma_f64 v[60:61], v[60:61], v[38:39], v[66:67]
	s_waitcnt vmcnt(8) lgkmcnt(1)
	v_mul_f64 v[52:53], v[12:13], v[34:35]
	v_mul_f64 v[72:73], v[14:15], v[34:35]
	v_fma_f64 v[38:39], v[58:59], v[38:39], -v[40:41]
	s_waitcnt vmcnt(7) lgkmcnt(0)
	v_mul_f64 v[66:67], v[62:63], v[26:27]
	v_mul_f64 v[26:27], v[64:65], v[26:27]
	v_add_f64 v[6:7], v[6:7], v[70:71]
	v_add_f64 v[40:41], v[36:37], v[68:69]
	scratch_load_b128 v[34:37], off, off offset:480
	v_fma_f64 v[52:53], v[14:15], v[32:33], v[52:53]
	v_fma_f64 v[32:33], v[12:13], v[32:33], -v[72:73]
	ds_load_b128 v[12:15], v1 offset:1376
	v_fma_f64 v[64:65], v[64:65], v[24:25], v[66:67]
	v_fma_f64 v[62:63], v[62:63], v[24:25], -v[26:27]
	scratch_load_b128 v[24:27], off, off offset:512
	v_add_f64 v[6:7], v[6:7], v[38:39]
	v_add_f64 v[68:69], v[40:41], v[60:61]
	ds_load_b128 v[58:61], v1 offset:1392
	scratch_load_b128 v[38:41], off, off offset:496
	s_waitcnt vmcnt(9) lgkmcnt(1)
	v_mul_f64 v[70:71], v[12:13], v[30:31]
	v_mul_f64 v[30:31], v[14:15], v[30:31]
	v_add_f64 v[6:7], v[6:7], v[32:33]
	v_add_f64 v[32:33], v[68:69], v[52:53]
	s_waitcnt vmcnt(8) lgkmcnt(0)
	v_mul_f64 v[52:53], v[58:59], v[18:19]
	v_mul_f64 v[18:19], v[60:61], v[18:19]
	v_fma_f64 v[66:67], v[14:15], v[28:29], v[70:71]
	v_fma_f64 v[68:69], v[12:13], v[28:29], -v[30:31]
	ds_load_b128 v[12:15], v1 offset:1408
	scratch_load_b128 v[28:31], off, off offset:528
	v_add_f64 v[6:7], v[6:7], v[62:63]
	v_add_f64 v[32:33], v[32:33], v[64:65]
	ds_load_b128 v[62:65], v1 offset:1424
	s_waitcnt vmcnt(8) lgkmcnt(1)
	v_mul_f64 v[70:71], v[12:13], v[22:23]
	v_mul_f64 v[22:23], v[14:15], v[22:23]
	v_fma_f64 v[52:53], v[60:61], v[16:17], v[52:53]
	v_fma_f64 v[58:59], v[58:59], v[16:17], -v[18:19]
	scratch_load_b128 v[16:19], off, off offset:544
	v_add_f64 v[6:7], v[6:7], v[68:69]
	v_add_f64 v[32:33], v[32:33], v[66:67]
	s_waitcnt vmcnt(8) lgkmcnt(0)
	v_mul_f64 v[66:67], v[62:63], v[10:11]
	v_mul_f64 v[68:69], v[64:65], v[10:11]
	v_fma_f64 v[14:15], v[14:15], v[20:21], v[70:71]
	v_fma_f64 v[70:71], v[12:13], v[20:21], -v[22:23]
	ds_load_b128 v[10:13], v1 offset:1440
	scratch_load_b128 v[20:23], off, off offset:560
	v_add_f64 v[6:7], v[6:7], v[58:59]
	v_add_f64 v[32:33], v[32:33], v[52:53]
	ds_load_b128 v[58:61], v1 offset:1456
	v_fma_f64 v[64:65], v[64:65], v[8:9], v[66:67]
	v_fma_f64 v[62:63], v[62:63], v[8:9], -v[68:69]
	s_waitcnt vmcnt(7) lgkmcnt(1)
	v_mul_f64 v[52:53], v[10:11], v[56:57]
	v_mul_f64 v[56:57], v[12:13], v[56:57]
	v_add_f64 v[66:67], v[6:7], v[70:71]
	scratch_load_b128 v[6:9], off, off offset:576
	v_add_f64 v[14:15], v[32:33], v[14:15]
	s_waitcnt lgkmcnt(0)
	v_mul_f64 v[32:33], v[58:59], v[44:45]
	v_mul_f64 v[44:45], v[60:61], v[44:45]
	v_fma_f64 v[68:69], v[12:13], v[54:55], v[52:53]
	v_fma_f64 v[56:57], v[10:11], v[54:55], -v[56:57]
	ds_load_b128 v[10:13], v1 offset:1472
	scratch_load_b128 v[52:55], off, off offset:592
	v_add_f64 v[66:67], v[66:67], v[62:63]
	v_add_f64 v[14:15], v[14:15], v[64:65]
	ds_load_b128 v[62:65], v1 offset:1488
	s_waitcnt vmcnt(8) lgkmcnt(1)
	v_mul_f64 v[70:71], v[10:11], v[48:49]
	v_mul_f64 v[48:49], v[12:13], v[48:49]
	v_fma_f64 v[32:33], v[60:61], v[42:43], v[32:33]
	v_fma_f64 v[58:59], v[58:59], v[42:43], -v[44:45]
	scratch_load_b128 v[42:45], off, off offset:608
	v_add_f64 v[56:57], v[66:67], v[56:57]
	v_add_f64 v[14:15], v[14:15], v[68:69]
	v_fma_f64 v[66:67], v[12:13], v[46:47], v[70:71]
	v_fma_f64 v[68:69], v[10:11], v[46:47], -v[48:49]
	ds_load_b128 v[10:13], v1 offset:1504
	scratch_load_b128 v[46:49], off, off offset:624
	s_waitcnt vmcnt(9) lgkmcnt(1)
	v_mul_f64 v[60:61], v[62:63], v[36:37]
	v_mul_f64 v[36:37], v[64:65], v[36:37]
	v_add_f64 v[70:71], v[56:57], v[58:59]
	ds_load_b128 v[56:59], v1 offset:1520
	v_add_f64 v[14:15], v[14:15], v[32:33]
	v_fma_f64 v[60:61], v[64:65], v[34:35], v[60:61]
	s_waitcnt vmcnt(7) lgkmcnt(1)
	v_mul_f64 v[72:73], v[10:11], v[40:41]
	v_mul_f64 v[40:41], v[12:13], v[40:41]
	v_fma_f64 v[36:37], v[62:63], v[34:35], -v[36:37]
	scratch_load_b128 v[32:35], off, off offset:640
	s_waitcnt lgkmcnt(0)
	v_mul_f64 v[64:65], v[56:57], v[26:27]
	v_mul_f64 v[26:27], v[58:59], v[26:27]
	v_add_f64 v[62:63], v[70:71], v[68:69]
	v_add_f64 v[14:15], v[14:15], v[66:67]
	v_fma_f64 v[66:67], v[12:13], v[38:39], v[72:73]
	v_fma_f64 v[40:41], v[10:11], v[38:39], -v[40:41]
	ds_load_b128 v[10:13], v1 offset:1536
	v_fma_f64 v[58:59], v[58:59], v[24:25], v[64:65]
	v_fma_f64 v[56:57], v[56:57], v[24:25], -v[26:27]
	scratch_load_b128 v[24:27], off, off offset:672
	v_add_f64 v[68:69], v[62:63], v[36:37]
	scratch_load_b128 v[36:39], off, off offset:656
	v_add_f64 v[14:15], v[14:15], v[60:61]
	ds_load_b128 v[60:63], v1 offset:1552
	s_waitcnt vmcnt(9) lgkmcnt(1)
	v_mul_f64 v[70:71], v[10:11], v[30:31]
	v_mul_f64 v[30:31], v[12:13], v[30:31]
	s_waitcnt vmcnt(8) lgkmcnt(0)
	v_mul_f64 v[64:65], v[60:61], v[18:19]
	v_mul_f64 v[18:19], v[62:63], v[18:19]
	v_add_f64 v[40:41], v[68:69], v[40:41]
	v_add_f64 v[14:15], v[14:15], v[66:67]
	v_fma_f64 v[66:67], v[12:13], v[28:29], v[70:71]
	v_fma_f64 v[68:69], v[10:11], v[28:29], -v[30:31]
	ds_load_b128 v[10:13], v1 offset:1568
	scratch_load_b128 v[28:31], off, off offset:688
	v_fma_f64 v[62:63], v[62:63], v[16:17], v[64:65]
	v_fma_f64 v[18:19], v[60:61], v[16:17], -v[18:19]
	v_add_f64 v[40:41], v[40:41], v[56:57]
	v_add_f64 v[14:15], v[14:15], v[58:59]
	ds_load_b128 v[56:59], v1 offset:1584
	s_waitcnt vmcnt(8) lgkmcnt(1)
	v_mul_f64 v[70:71], v[10:11], v[22:23]
	v_mul_f64 v[22:23], v[12:13], v[22:23]
	v_add_f64 v[40:41], v[40:41], v[68:69]
	v_add_f64 v[60:61], v[14:15], v[66:67]
	scratch_load_b128 v[14:17], off, off offset:704
	v_fma_f64 v[12:13], v[12:13], v[20:21], v[70:71]
	v_fma_f64 v[22:23], v[10:11], v[20:21], -v[22:23]
	s_waitcnt vmcnt(8) lgkmcnt(0)
	v_mul_f64 v[64:65], v[56:57], v[8:9]
	v_mul_f64 v[66:67], v[58:59], v[8:9]
	ds_load_b128 v[8:11], v1 offset:1600
	v_add_f64 v[40:41], v[40:41], v[18:19]
	scratch_load_b128 v[18:21], off, off offset:720
	v_add_f64 v[68:69], v[60:61], v[62:63]
	ds_load_b128 v[60:63], v1 offset:1616
	s_waitcnt vmcnt(8) lgkmcnt(1)
	v_mul_f64 v[70:71], v[8:9], v[54:55]
	v_mul_f64 v[72:73], v[10:11], v[54:55]
	v_fma_f64 v[58:59], v[58:59], v[6:7], v[64:65]
	v_fma_f64 v[6:7], v[56:57], v[6:7], -v[66:67]
	scratch_load_b128 v[54:57], off, off offset:736
	ds_load_b128 v[64:67], v1 offset:1648
	v_add_f64 v[22:23], v[40:41], v[22:23]
	s_waitcnt vmcnt(8) lgkmcnt(1)
	v_mul_f64 v[40:41], v[60:61], v[44:45]
	v_add_f64 v[12:13], v[68:69], v[12:13]
	v_mul_f64 v[44:45], v[62:63], v[44:45]
	v_fma_f64 v[68:69], v[10:11], v[52:53], v[70:71]
	v_fma_f64 v[52:53], v[8:9], v[52:53], -v[72:73]
	v_add_f64 v[22:23], v[22:23], v[6:7]
	ds_load_b128 v[6:9], v1 offset:1632
	v_add_f64 v[58:59], v[12:13], v[58:59]
	scratch_load_b128 v[10:13], off, off offset:752
	v_fma_f64 v[62:63], v[62:63], v[42:43], v[40:41]
	v_fma_f64 v[44:45], v[60:61], v[42:43], -v[44:45]
	scratch_load_b128 v[40:43], off, off offset:768
	s_waitcnt vmcnt(9) lgkmcnt(0)
	v_mul_f64 v[70:71], v[6:7], v[48:49]
	v_mul_f64 v[48:49], v[8:9], v[48:49]
	v_add_f64 v[22:23], v[22:23], v[52:53]
	v_add_f64 v[52:53], v[58:59], v[68:69]
	s_waitcnt vmcnt(8)
	v_mul_f64 v[68:69], v[64:65], v[34:35]
	v_mul_f64 v[34:35], v[66:67], v[34:35]
	ds_load_b128 v[58:61], v1 offset:1680
	v_fma_f64 v[70:71], v[8:9], v[46:47], v[70:71]
	v_fma_f64 v[48:49], v[6:7], v[46:47], -v[48:49]
	ds_load_b128 v[6:9], v1 offset:1664
	v_add_f64 v[22:23], v[22:23], v[44:45]
	scratch_load_b128 v[44:47], off, off offset:784
	v_add_f64 v[52:53], v[52:53], v[62:63]
	v_fma_f64 v[66:67], v[66:67], v[32:33], v[68:69]
	v_fma_f64 v[64:65], v[64:65], v[32:33], -v[34:35]
	scratch_load_b128 v[32:35], off, off offset:800
	s_waitcnt vmcnt(8) lgkmcnt(0)
	v_mul_f64 v[62:63], v[6:7], v[38:39]
	v_mul_f64 v[38:39], v[8:9], v[38:39]
	v_add_f64 v[22:23], v[22:23], v[48:49]
	v_add_f64 v[48:49], v[52:53], v[70:71]
	v_mul_f64 v[52:53], v[58:59], v[26:27]
	v_mul_f64 v[26:27], v[60:61], v[26:27]
	v_fma_f64 v[68:69], v[8:9], v[36:37], v[62:63]
	v_fma_f64 v[70:71], v[6:7], v[36:37], -v[38:39]
	ds_load_b128 v[6:9], v1 offset:1696
	scratch_load_b128 v[36:39], off, off offset:816
	v_add_f64 v[22:23], v[22:23], v[64:65]
	ds_load_b128 v[62:65], v1 offset:1712
	v_add_f64 v[48:49], v[48:49], v[66:67]
	s_waitcnt vmcnt(8) lgkmcnt(1)
	v_mul_f64 v[66:67], v[6:7], v[30:31]
	v_mul_f64 v[30:31], v[8:9], v[30:31]
	v_fma_f64 v[52:53], v[60:61], v[24:25], v[52:53]
	v_fma_f64 v[26:27], v[58:59], v[24:25], -v[26:27]
	v_add_f64 v[58:59], v[22:23], v[70:71]
	scratch_load_b128 v[22:25], off, off offset:832
	v_add_f64 v[48:49], v[48:49], v[68:69]
	v_fma_f64 v[66:67], v[8:9], v[28:29], v[66:67]
	v_fma_f64 v[30:31], v[6:7], v[28:29], -v[30:31]
	ds_load_b128 v[6:9], v1 offset:1728
	s_waitcnt vmcnt(8) lgkmcnt(1)
	v_mul_f64 v[68:69], v[62:63], v[16:17]
	v_mul_f64 v[16:17], v[64:65], v[16:17]
	v_add_f64 v[70:71], v[58:59], v[26:27]
	ds_load_b128 v[58:61], v1 offset:1744
	v_add_f64 v[48:49], v[48:49], v[52:53]
	scratch_load_b128 v[26:29], off, off offset:848
	s_waitcnt vmcnt(8) lgkmcnt(1)
	v_mul_f64 v[52:53], v[6:7], v[20:21]
	v_mul_f64 v[20:21], v[8:9], v[20:21]
	v_fma_f64 v[64:65], v[64:65], v[14:15], v[68:69]
	v_fma_f64 v[62:63], v[62:63], v[14:15], -v[16:17]
	scratch_load_b128 v[14:17], off, off offset:864
	v_add_f64 v[30:31], v[70:71], v[30:31]
	v_add_f64 v[48:49], v[48:49], v[66:67]
	s_waitcnt vmcnt(8) lgkmcnt(0)
	v_mul_f64 v[66:67], v[58:59], v[56:57]
	v_mul_f64 v[56:57], v[60:61], v[56:57]
	v_fma_f64 v[52:53], v[8:9], v[18:19], v[52:53]
	v_fma_f64 v[68:69], v[6:7], v[18:19], -v[20:21]
	ds_load_b128 v[6:9], v1 offset:1760
	scratch_load_b128 v[18:21], off, off offset:880
	v_add_f64 v[30:31], v[30:31], v[62:63]
	v_add_f64 v[48:49], v[48:49], v[64:65]
	ds_load_b128 v[62:65], v1 offset:1776
	v_fma_f64 v[60:61], v[60:61], v[54:55], v[66:67]
	v_fma_f64 v[56:57], v[58:59], v[54:55], -v[56:57]
	s_waitcnt vmcnt(8) lgkmcnt(1)
	v_mul_f64 v[70:71], v[6:7], v[12:13]
	v_mul_f64 v[12:13], v[8:9], v[12:13]
	s_waitcnt vmcnt(7) lgkmcnt(0)
	v_mul_f64 v[66:67], v[62:63], v[42:43]
	v_mul_f64 v[42:43], v[64:65], v[42:43]
	v_add_f64 v[30:31], v[30:31], v[68:69]
	v_add_f64 v[48:49], v[48:49], v[52:53]
	scratch_load_b128 v[52:55], off, off offset:896
	v_fma_f64 v[68:69], v[8:9], v[10:11], v[70:71]
	v_fma_f64 v[70:71], v[6:7], v[10:11], -v[12:13]
	ds_load_b128 v[6:9], v1 offset:1792
	scratch_load_b128 v[10:13], off, off offset:912
	v_fma_f64 v[64:65], v[64:65], v[40:41], v[66:67]
	v_fma_f64 v[62:63], v[62:63], v[40:41], -v[42:43]
	scratch_load_b128 v[40:43], off, off offset:928
	v_add_f64 v[30:31], v[30:31], v[56:57]
	ds_load_b128 v[56:59], v1 offset:1808
	v_add_f64 v[48:49], v[48:49], v[60:61]
	s_waitcnt vmcnt(9) lgkmcnt(1)
	v_mul_f64 v[60:61], v[6:7], v[46:47]
	v_mul_f64 v[46:47], v[8:9], v[46:47]
	s_waitcnt vmcnt(8) lgkmcnt(0)
	v_mul_f64 v[66:67], v[56:57], v[34:35]
	v_mul_f64 v[34:35], v[58:59], v[34:35]
	v_add_f64 v[30:31], v[30:31], v[70:71]
	v_add_f64 v[48:49], v[48:49], v[68:69]
	v_fma_f64 v[68:69], v[8:9], v[44:45], v[60:61]
	v_fma_f64 v[70:71], v[6:7], v[44:45], -v[46:47]
	ds_load_b128 v[6:9], v1 offset:1824
	scratch_load_b128 v[44:47], off, off offset:944
	v_fma_f64 v[58:59], v[58:59], v[32:33], v[66:67]
	v_fma_f64 v[34:35], v[56:57], v[32:33], -v[34:35]
	v_add_f64 v[30:31], v[30:31], v[62:63]
	ds_load_b128 v[60:63], v1 offset:1840
	v_add_f64 v[48:49], v[48:49], v[64:65]
	s_waitcnt vmcnt(8) lgkmcnt(1)
	v_mul_f64 v[64:65], v[6:7], v[38:39]
	v_mul_f64 v[38:39], v[8:9], v[38:39]
	v_add_f64 v[56:57], v[30:31], v[70:71]
	scratch_load_b128 v[30:33], off, off offset:960
	v_add_f64 v[48:49], v[48:49], v[68:69]
	v_fma_f64 v[64:65], v[8:9], v[36:37], v[64:65]
	v_fma_f64 v[38:39], v[6:7], v[36:37], -v[38:39]
	ds_load_b128 v[6:9], v1 offset:1856
	s_waitcnt vmcnt(8) lgkmcnt(1)
	v_mul_f64 v[66:67], v[60:61], v[24:25]
	v_mul_f64 v[24:25], v[62:63], v[24:25]
	v_add_f64 v[68:69], v[56:57], v[34:35]
	scratch_load_b128 v[34:37], off, off offset:976
	v_add_f64 v[48:49], v[48:49], v[58:59]
	ds_load_b128 v[56:59], v1 offset:1872
	v_fma_f64 v[62:63], v[62:63], v[22:23], v[66:67]
	v_fma_f64 v[60:61], v[60:61], v[22:23], -v[24:25]
	scratch_load_b128 v[22:25], off, off offset:992
	s_waitcnt vmcnt(9) lgkmcnt(1)
	v_mul_f64 v[70:71], v[6:7], v[28:29]
	v_mul_f64 v[28:29], v[8:9], v[28:29]
	v_add_f64 v[38:39], v[68:69], v[38:39]
	v_add_f64 v[48:49], v[48:49], v[64:65]
	s_waitcnt vmcnt(8) lgkmcnt(0)
	v_mul_f64 v[64:65], v[56:57], v[16:17]
	v_mul_f64 v[16:17], v[58:59], v[16:17]
	v_fma_f64 v[66:67], v[8:9], v[26:27], v[70:71]
	v_fma_f64 v[68:69], v[6:7], v[26:27], -v[28:29]
	ds_load_b128 v[6:9], v1 offset:1888
	ds_load_b128 v[26:29], v1 offset:1904
	v_add_f64 v[38:39], v[38:39], v[60:61]
	v_add_f64 v[48:49], v[48:49], v[62:63]
	s_waitcnt vmcnt(7) lgkmcnt(1)
	v_mul_f64 v[60:61], v[6:7], v[20:21]
	v_mul_f64 v[20:21], v[8:9], v[20:21]
	v_fma_f64 v[58:59], v[58:59], v[14:15], v[64:65]
	v_fma_f64 v[14:15], v[56:57], v[14:15], -v[16:17]
	v_add_f64 v[16:17], v[38:39], v[68:69]
	v_add_f64 v[38:39], v[48:49], v[66:67]
	v_fma_f64 v[56:57], v[8:9], v[18:19], v[60:61]
	v_fma_f64 v[18:19], v[6:7], v[18:19], -v[20:21]
	s_waitcnt vmcnt(6) lgkmcnt(0)
	v_mul_f64 v[48:49], v[26:27], v[54:55]
	v_mul_f64 v[54:55], v[28:29], v[54:55]
	v_add_f64 v[20:21], v[16:17], v[14:15]
	ds_load_b128 v[6:9], v1 offset:1920
	ds_load_b128 v[14:17], v1 offset:1936
	v_add_f64 v[38:39], v[38:39], v[58:59]
	v_fma_f64 v[28:29], v[28:29], v[52:53], v[48:49]
	s_waitcnt vmcnt(5) lgkmcnt(1)
	v_mul_f64 v[58:59], v[6:7], v[12:13]
	v_mul_f64 v[12:13], v[8:9], v[12:13]
	v_fma_f64 v[26:27], v[26:27], v[52:53], -v[54:55]
	v_add_f64 v[18:19], v[20:21], v[18:19]
	v_add_f64 v[20:21], v[38:39], v[56:57]
	s_waitcnt vmcnt(4) lgkmcnt(0)
	v_mul_f64 v[38:39], v[14:15], v[42:43]
	v_mul_f64 v[42:43], v[16:17], v[42:43]
	v_fma_f64 v[48:49], v[8:9], v[10:11], v[58:59]
	v_fma_f64 v[52:53], v[6:7], v[10:11], -v[12:13]
	ds_load_b128 v[6:9], v1 offset:1952
	ds_load_b128 v[10:13], v1 offset:1968
	v_add_f64 v[18:19], v[18:19], v[26:27]
	v_add_f64 v[20:21], v[20:21], v[28:29]
	s_waitcnt vmcnt(3) lgkmcnt(1)
	v_mul_f64 v[26:27], v[6:7], v[46:47]
	v_mul_f64 v[28:29], v[8:9], v[46:47]
	v_fma_f64 v[16:17], v[16:17], v[40:41], v[38:39]
	v_fma_f64 v[14:15], v[14:15], v[40:41], -v[42:43]
	v_add_f64 v[18:19], v[18:19], v[52:53]
	v_add_f64 v[20:21], v[20:21], v[48:49]
	v_fma_f64 v[26:27], v[8:9], v[44:45], v[26:27]
	v_fma_f64 v[28:29], v[6:7], v[44:45], -v[28:29]
	s_waitcnt vmcnt(2) lgkmcnt(0)
	v_mul_f64 v[38:39], v[10:11], v[32:33]
	v_mul_f64 v[32:33], v[12:13], v[32:33]
	v_add_f64 v[18:19], v[18:19], v[14:15]
	v_add_f64 v[20:21], v[20:21], v[16:17]
	ds_load_b128 v[6:9], v1 offset:1984
	ds_load_b128 v[14:17], v1 offset:2000
	v_fma_f64 v[12:13], v[12:13], v[30:31], v[38:39]
	v_fma_f64 v[10:11], v[10:11], v[30:31], -v[32:33]
	s_waitcnt vmcnt(1) lgkmcnt(1)
	v_mul_f64 v[40:41], v[6:7], v[36:37]
	v_mul_f64 v[36:37], v[8:9], v[36:37]
	v_add_f64 v[18:19], v[18:19], v[28:29]
	v_add_f64 v[20:21], v[20:21], v[26:27]
	s_waitcnt vmcnt(0) lgkmcnt(0)
	v_mul_f64 v[26:27], v[14:15], v[24:25]
	v_mul_f64 v[24:25], v[16:17], v[24:25]
	v_fma_f64 v[8:9], v[8:9], v[34:35], v[40:41]
	v_fma_f64 v[6:7], v[6:7], v[34:35], -v[36:37]
	v_add_f64 v[10:11], v[18:19], v[10:11]
	v_add_f64 v[12:13], v[20:21], v[12:13]
	v_fma_f64 v[16:17], v[16:17], v[22:23], v[26:27]
	v_fma_f64 v[14:15], v[14:15], v[22:23], -v[24:25]
	s_delay_alu instid0(VALU_DEP_4) | instskip(NEXT) | instid1(VALU_DEP_4)
	v_add_f64 v[6:7], v[10:11], v[6:7]
	v_add_f64 v[8:9], v[12:13], v[8:9]
	s_delay_alu instid0(VALU_DEP_2) | instskip(NEXT) | instid1(VALU_DEP_2)
	v_add_f64 v[6:7], v[6:7], v[14:15]
	v_add_f64 v[8:9], v[8:9], v[16:17]
	s_delay_alu instid0(VALU_DEP_2) | instskip(NEXT) | instid1(VALU_DEP_2)
	v_add_f64 v[1:2], v[2:3], -v[6:7]
	v_add_f64 v[3:4], v[4:5], -v[8:9]
	scratch_store_b128 off, v[1:4], off offset:128
	v_cmpx_lt_u32_e32 7, v176
	s_cbranch_execz .LBB62_389
; %bb.388:
	scratch_load_b32 v1, off, off offset:1160 ; 4-byte Folded Reload
	v_mov_b32_e32 v5, 0
	s_delay_alu instid0(VALU_DEP_1)
	v_mov_b32_e32 v6, v5
	v_mov_b32_e32 v7, v5
	;; [unrolled: 1-line block ×3, first 2 shown]
	s_waitcnt vmcnt(0)
	scratch_load_b128 v[1:4], v1, off
	scratch_store_b128 off, v[5:8], off offset:112
	s_waitcnt vmcnt(0)
	ds_store_b128 v255, v[1:4]
.LBB62_389:
	s_or_b32 exec_lo, exec_lo, s2
	s_waitcnt lgkmcnt(0)
	s_waitcnt_vscnt null, 0x0
	s_barrier
	buffer_gl0_inv
	s_clause 0x7
	scratch_load_b128 v[34:37], off, off offset:128
	scratch_load_b128 v[38:41], off, off offset:144
	;; [unrolled: 1-line block ×8, first 2 shown]
	v_mov_b32_e32 v1, 0
	s_mov_b32 s2, exec_lo
	ds_load_b128 v[46:49], v1 offset:1136
	s_clause 0x1
	scratch_load_b128 v[14:17], off, off offset:256
	scratch_load_b128 v[2:5], off, off offset:112
	ds_load_b128 v[42:45], v1 offset:1152
	scratch_load_b128 v[52:55], off, off offset:272
	s_waitcnt vmcnt(10) lgkmcnt(1)
	v_mul_f64 v[56:57], v[48:49], v[36:37]
	v_mul_f64 v[36:37], v[46:47], v[36:37]
	s_delay_alu instid0(VALU_DEP_2) | instskip(NEXT) | instid1(VALU_DEP_2)
	v_fma_f64 v[62:63], v[46:47], v[34:35], -v[56:57]
	v_fma_f64 v[64:65], v[48:49], v[34:35], v[36:37]
	scratch_load_b128 v[46:49], off, off offset:288
	ds_load_b128 v[34:37], v1 offset:1168
	s_waitcnt vmcnt(10) lgkmcnt(1)
	v_mul_f64 v[60:61], v[42:43], v[40:41]
	v_mul_f64 v[40:41], v[44:45], v[40:41]
	ds_load_b128 v[56:59], v1 offset:1184
	s_waitcnt vmcnt(9) lgkmcnt(1)
	v_mul_f64 v[66:67], v[34:35], v[32:33]
	v_mul_f64 v[32:33], v[36:37], v[32:33]
	v_fma_f64 v[44:45], v[44:45], v[38:39], v[60:61]
	v_fma_f64 v[42:43], v[42:43], v[38:39], -v[40:41]
	v_add_f64 v[60:61], v[62:63], 0
	v_add_f64 v[62:63], v[64:65], 0
	scratch_load_b128 v[38:41], off, off offset:304
	v_fma_f64 v[36:37], v[36:37], v[30:31], v[66:67]
	v_fma_f64 v[66:67], v[34:35], v[30:31], -v[32:33]
	scratch_load_b128 v[32:35], off, off offset:320
	v_add_f64 v[60:61], v[60:61], v[42:43]
	v_add_f64 v[62:63], v[62:63], v[44:45]
	ds_load_b128 v[42:45], v1 offset:1216
	s_waitcnt vmcnt(10) lgkmcnt(1)
	v_mul_f64 v[64:65], v[56:57], v[28:29]
	v_mul_f64 v[68:69], v[58:59], v[28:29]
	ds_load_b128 v[28:31], v1 offset:1200
	v_add_f64 v[60:61], v[60:61], v[66:67]
	v_add_f64 v[36:37], v[62:63], v[36:37]
	s_waitcnt vmcnt(8) lgkmcnt(1)
	v_mul_f64 v[62:63], v[42:43], v[20:21]
	v_fma_f64 v[58:59], v[58:59], v[26:27], v[64:65]
	v_fma_f64 v[56:57], v[56:57], v[26:27], -v[68:69]
	v_mul_f64 v[64:65], v[44:45], v[20:21]
	s_delay_alu instid0(VALU_DEP_4) | instskip(NEXT) | instid1(VALU_DEP_4)
	v_fma_f64 v[62:63], v[44:45], v[18:19], v[62:63]
	v_add_f64 v[36:37], v[36:37], v[58:59]
	s_delay_alu instid0(VALU_DEP_4)
	v_add_f64 v[60:61], v[60:61], v[56:57]
	ds_load_b128 v[56:59], v1 offset:1248
	s_waitcnt lgkmcnt(1)
	v_mul_f64 v[70:71], v[28:29], v[24:25]
	v_mul_f64 v[72:73], v[30:31], v[24:25]
	scratch_load_b128 v[24:27], off, off offset:336
	v_fma_f64 v[18:19], v[42:43], v[18:19], -v[64:65]
	scratch_load_b128 v[42:45], off, off offset:368
	s_waitcnt vmcnt(8) lgkmcnt(0)
	v_mul_f64 v[64:65], v[56:57], v[8:9]
	v_fma_f64 v[66:67], v[30:31], v[22:23], v[70:71]
	v_fma_f64 v[68:69], v[28:29], v[22:23], -v[72:73]
	ds_load_b128 v[20:23], v1 offset:1232
	scratch_load_b128 v[28:31], off, off offset:352
	v_fma_f64 v[64:65], v[58:59], v[6:7], v[64:65]
	v_add_f64 v[36:37], v[36:37], v[66:67]
	v_add_f64 v[60:61], v[60:61], v[68:69]
	v_mul_f64 v[66:67], v[58:59], v[8:9]
	s_delay_alu instid0(VALU_DEP_3) | instskip(NEXT) | instid1(VALU_DEP_3)
	v_add_f64 v[36:37], v[36:37], v[62:63]
	v_add_f64 v[68:69], v[60:61], v[18:19]
	ds_load_b128 v[60:63], v1 offset:1280
	s_waitcnt lgkmcnt(1)
	v_mul_f64 v[70:71], v[20:21], v[12:13]
	v_mul_f64 v[12:13], v[22:23], v[12:13]
	v_fma_f64 v[6:7], v[56:57], v[6:7], -v[66:67]
	scratch_load_b128 v[56:59], off, off offset:400
	v_fma_f64 v[22:23], v[22:23], v[10:11], v[70:71]
	v_fma_f64 v[12:13], v[20:21], v[10:11], -v[12:13]
	ds_load_b128 v[8:11], v1 offset:1264
	scratch_load_b128 v[18:21], off, off offset:384
	s_waitcnt vmcnt(10) lgkmcnt(0)
	v_mul_f64 v[70:71], v[8:9], v[16:17]
	v_mul_f64 v[16:17], v[10:11], v[16:17]
	v_add_f64 v[22:23], v[36:37], v[22:23]
	v_add_f64 v[12:13], v[68:69], v[12:13]
	s_waitcnt vmcnt(8)
	v_mul_f64 v[36:37], v[60:61], v[54:55]
	v_mul_f64 v[54:55], v[62:63], v[54:55]
	v_fma_f64 v[66:67], v[10:11], v[14:15], v[70:71]
	v_fma_f64 v[68:69], v[8:9], v[14:15], -v[16:17]
	ds_load_b128 v[14:17], v1 offset:1312
	v_add_f64 v[22:23], v[22:23], v[64:65]
	v_add_f64 v[70:71], v[12:13], v[6:7]
	scratch_load_b128 v[10:13], off, off offset:416
	ds_load_b128 v[6:9], v1 offset:1296
	v_fma_f64 v[36:37], v[62:63], v[52:53], v[36:37]
	v_fma_f64 v[60:61], v[60:61], v[52:53], -v[54:55]
	scratch_load_b128 v[52:55], off, off offset:432
	s_waitcnt vmcnt(9) lgkmcnt(0)
	v_mul_f64 v[64:65], v[6:7], v[48:49]
	v_mul_f64 v[48:49], v[8:9], v[48:49]
	v_add_f64 v[22:23], v[22:23], v[66:67]
	v_add_f64 v[62:63], v[70:71], v[68:69]
	s_waitcnt vmcnt(8)
	v_mul_f64 v[66:67], v[14:15], v[40:41]
	v_mul_f64 v[40:41], v[16:17], v[40:41]
	v_fma_f64 v[64:65], v[8:9], v[46:47], v[64:65]
	v_fma_f64 v[68:69], v[6:7], v[46:47], -v[48:49]
	scratch_load_b128 v[46:49], off, off offset:448
	ds_load_b128 v[6:9], v1 offset:1328
	v_add_f64 v[22:23], v[22:23], v[36:37]
	v_add_f64 v[70:71], v[62:63], v[60:61]
	ds_load_b128 v[60:63], v1 offset:1344
	v_fma_f64 v[66:67], v[16:17], v[38:39], v[66:67]
	v_fma_f64 v[38:39], v[14:15], v[38:39], -v[40:41]
	scratch_load_b128 v[14:17], off, off offset:464
	s_waitcnt vmcnt(9) lgkmcnt(1)
	v_mul_f64 v[36:37], v[6:7], v[34:35]
	v_mul_f64 v[34:35], v[8:9], v[34:35]
	v_add_f64 v[22:23], v[22:23], v[64:65]
	v_add_f64 v[40:41], v[70:71], v[68:69]
	s_waitcnt vmcnt(8) lgkmcnt(0)
	v_mul_f64 v[64:65], v[60:61], v[26:27]
	v_mul_f64 v[26:27], v[62:63], v[26:27]
	v_fma_f64 v[68:69], v[8:9], v[32:33], v[36:37]
	v_fma_f64 v[70:71], v[6:7], v[32:33], -v[34:35]
	scratch_load_b128 v[32:35], off, off offset:480
	ds_load_b128 v[6:9], v1 offset:1360
	v_add_f64 v[22:23], v[22:23], v[66:67]
	v_add_f64 v[40:41], v[40:41], v[38:39]
	ds_load_b128 v[36:39], v1 offset:1376
	s_waitcnt vmcnt(7) lgkmcnt(1)
	v_mul_f64 v[66:67], v[6:7], v[30:31]
	v_mul_f64 v[30:31], v[8:9], v[30:31]
	v_fma_f64 v[62:63], v[62:63], v[24:25], v[64:65]
	v_fma_f64 v[26:27], v[60:61], v[24:25], -v[26:27]
	s_waitcnt lgkmcnt(0)
	v_mul_f64 v[64:65], v[36:37], v[44:45]
	v_mul_f64 v[44:45], v[38:39], v[44:45]
	v_add_f64 v[60:61], v[22:23], v[68:69]
	v_add_f64 v[40:41], v[40:41], v[70:71]
	scratch_load_b128 v[22:25], off, off offset:496
	v_fma_f64 v[66:67], v[8:9], v[28:29], v[66:67]
	v_fma_f64 v[30:31], v[6:7], v[28:29], -v[30:31]
	ds_load_b128 v[6:9], v1 offset:1392
	v_fma_f64 v[64:65], v[38:39], v[42:43], v[64:65]
	v_fma_f64 v[42:43], v[36:37], v[42:43], -v[44:45]
	scratch_load_b128 v[36:39], off, off offset:528
	v_add_f64 v[68:69], v[60:61], v[62:63]
	v_add_f64 v[40:41], v[40:41], v[26:27]
	scratch_load_b128 v[26:29], off, off offset:512
	ds_load_b128 v[60:63], v1 offset:1408
	s_waitcnt vmcnt(8) lgkmcnt(1)
	v_mul_f64 v[70:71], v[6:7], v[20:21]
	v_mul_f64 v[20:21], v[8:9], v[20:21]
	s_waitcnt lgkmcnt(0)
	v_mul_f64 v[44:45], v[60:61], v[58:59]
	v_mul_f64 v[58:59], v[62:63], v[58:59]
	v_add_f64 v[30:31], v[40:41], v[30:31]
	v_add_f64 v[40:41], v[68:69], v[66:67]
	v_fma_f64 v[66:67], v[8:9], v[18:19], v[70:71]
	v_fma_f64 v[68:69], v[6:7], v[18:19], -v[20:21]
	scratch_load_b128 v[18:21], off, off offset:544
	ds_load_b128 v[6:9], v1 offset:1424
	v_fma_f64 v[44:45], v[62:63], v[56:57], v[44:45]
	v_fma_f64 v[60:61], v[60:61], v[56:57], -v[58:59]
	scratch_load_b128 v[56:59], off, off offset:560
	v_add_f64 v[30:31], v[30:31], v[42:43]
	v_add_f64 v[64:65], v[40:41], v[64:65]
	ds_load_b128 v[40:43], v1 offset:1440
	s_waitcnt vmcnt(9) lgkmcnt(1)
	v_mul_f64 v[70:71], v[6:7], v[12:13]
	v_mul_f64 v[12:13], v[8:9], v[12:13]
	v_add_f64 v[30:31], v[30:31], v[68:69]
	v_add_f64 v[62:63], v[64:65], v[66:67]
	s_waitcnt vmcnt(8) lgkmcnt(0)
	v_mul_f64 v[64:65], v[40:41], v[54:55]
	v_mul_f64 v[54:55], v[42:43], v[54:55]
	v_fma_f64 v[66:67], v[8:9], v[10:11], v[70:71]
	v_fma_f64 v[68:69], v[6:7], v[10:11], -v[12:13]
	scratch_load_b128 v[10:13], off, off offset:576
	ds_load_b128 v[6:9], v1 offset:1456
	v_add_f64 v[30:31], v[30:31], v[60:61]
	v_add_f64 v[44:45], v[62:63], v[44:45]
	ds_load_b128 v[60:63], v1 offset:1472
	s_waitcnt vmcnt(8) lgkmcnt(1)
	v_mul_f64 v[70:71], v[6:7], v[48:49]
	v_mul_f64 v[48:49], v[8:9], v[48:49]
	v_fma_f64 v[64:65], v[42:43], v[52:53], v[64:65]
	v_fma_f64 v[52:53], v[40:41], v[52:53], -v[54:55]
	scratch_load_b128 v[40:43], off, off offset:592
	v_add_f64 v[30:31], v[30:31], v[68:69]
	v_add_f64 v[44:45], v[44:45], v[66:67]
	s_waitcnt vmcnt(8) lgkmcnt(0)
	v_mul_f64 v[66:67], v[60:61], v[16:17]
	v_mul_f64 v[16:17], v[62:63], v[16:17]
	v_fma_f64 v[68:69], v[8:9], v[46:47], v[70:71]
	v_fma_f64 v[48:49], v[6:7], v[46:47], -v[48:49]
	ds_load_b128 v[6:9], v1 offset:1488
	v_add_f64 v[30:31], v[30:31], v[52:53]
	ds_load_b128 v[52:55], v1 offset:1504
	v_add_f64 v[64:65], v[44:45], v[64:65]
	scratch_load_b128 v[44:47], off, off offset:608
	s_waitcnt vmcnt(8) lgkmcnt(1)
	v_mul_f64 v[70:71], v[6:7], v[34:35]
	v_mul_f64 v[34:35], v[8:9], v[34:35]
	v_fma_f64 v[62:63], v[62:63], v[14:15], v[66:67]
	v_fma_f64 v[60:61], v[60:61], v[14:15], -v[16:17]
	scratch_load_b128 v[14:17], off, off offset:624
	v_add_f64 v[30:31], v[30:31], v[48:49]
	v_add_f64 v[48:49], v[64:65], v[68:69]
	v_fma_f64 v[66:67], v[8:9], v[32:33], v[70:71]
	v_fma_f64 v[34:35], v[6:7], v[32:33], -v[34:35]
	ds_load_b128 v[6:9], v1 offset:1520
	s_waitcnt vmcnt(8) lgkmcnt(1)
	v_mul_f64 v[64:65], v[52:53], v[24:25]
	v_mul_f64 v[24:25], v[54:55], v[24:25]
	v_add_f64 v[68:69], v[30:31], v[60:61]
	scratch_load_b128 v[30:33], off, off offset:640
	v_add_f64 v[48:49], v[48:49], v[62:63]
	ds_load_b128 v[60:63], v1 offset:1536
	s_waitcnt vmcnt(7) lgkmcnt(1)
	v_mul_f64 v[70:71], v[6:7], v[28:29]
	v_mul_f64 v[28:29], v[8:9], v[28:29]
	v_fma_f64 v[54:55], v[54:55], v[22:23], v[64:65]
	v_fma_f64 v[52:53], v[52:53], v[22:23], -v[24:25]
	scratch_load_b128 v[22:25], off, off offset:656
	s_waitcnt lgkmcnt(0)
	v_mul_f64 v[64:65], v[60:61], v[38:39]
	v_mul_f64 v[38:39], v[62:63], v[38:39]
	v_add_f64 v[34:35], v[68:69], v[34:35]
	v_add_f64 v[48:49], v[48:49], v[66:67]
	v_fma_f64 v[66:67], v[8:9], v[26:27], v[70:71]
	v_fma_f64 v[68:69], v[6:7], v[26:27], -v[28:29]
	scratch_load_b128 v[26:29], off, off offset:672
	ds_load_b128 v[6:9], v1 offset:1552
	v_fma_f64 v[62:63], v[62:63], v[36:37], v[64:65]
	v_fma_f64 v[38:39], v[60:61], v[36:37], -v[38:39]
	v_add_f64 v[34:35], v[34:35], v[52:53]
	v_add_f64 v[48:49], v[48:49], v[54:55]
	ds_load_b128 v[52:55], v1 offset:1568
	s_waitcnt vmcnt(8) lgkmcnt(1)
	v_mul_f64 v[70:71], v[6:7], v[20:21]
	v_mul_f64 v[20:21], v[8:9], v[20:21]
	s_waitcnt vmcnt(7) lgkmcnt(0)
	v_mul_f64 v[64:65], v[52:53], v[58:59]
	v_add_f64 v[60:61], v[34:35], v[68:69]
	scratch_load_b128 v[34:37], off, off offset:688
	v_add_f64 v[48:49], v[48:49], v[66:67]
	v_mul_f64 v[66:67], v[54:55], v[58:59]
	v_fma_f64 v[68:69], v[8:9], v[18:19], v[70:71]
	v_fma_f64 v[70:71], v[6:7], v[18:19], -v[20:21]
	scratch_load_b128 v[18:21], off, off offset:704
	ds_load_b128 v[6:9], v1 offset:1584
	v_fma_f64 v[64:65], v[54:55], v[56:57], v[64:65]
	v_add_f64 v[38:39], v[60:61], v[38:39]
	ds_load_b128 v[58:61], v1 offset:1600
	v_add_f64 v[48:49], v[48:49], v[62:63]
	s_waitcnt vmcnt(8) lgkmcnt(1)
	v_mul_f64 v[62:63], v[6:7], v[12:13]
	v_mul_f64 v[12:13], v[8:9], v[12:13]
	v_fma_f64 v[56:57], v[52:53], v[56:57], -v[66:67]
	scratch_load_b128 v[52:55], off, off offset:720
	s_waitcnt vmcnt(8) lgkmcnt(0)
	v_mul_f64 v[66:67], v[58:59], v[42:43]
	v_mul_f64 v[42:43], v[60:61], v[42:43]
	v_add_f64 v[38:39], v[38:39], v[70:71]
	v_add_f64 v[48:49], v[48:49], v[68:69]
	v_fma_f64 v[68:69], v[8:9], v[10:11], v[62:63]
	v_fma_f64 v[70:71], v[6:7], v[10:11], -v[12:13]
	scratch_load_b128 v[10:13], off, off offset:736
	ds_load_b128 v[6:9], v1 offset:1616
	v_fma_f64 v[60:61], v[60:61], v[40:41], v[66:67]
	v_fma_f64 v[42:43], v[58:59], v[40:41], -v[42:43]
	v_add_f64 v[38:39], v[38:39], v[56:57]
	v_add_f64 v[48:49], v[48:49], v[64:65]
	ds_load_b128 v[62:65], v1 offset:1632
	s_waitcnt vmcnt(8) lgkmcnt(1)
	v_mul_f64 v[56:57], v[6:7], v[46:47]
	v_mul_f64 v[46:47], v[8:9], v[46:47]
	s_waitcnt vmcnt(7) lgkmcnt(0)
	v_mul_f64 v[66:67], v[62:63], v[16:17]
	v_mul_f64 v[16:17], v[64:65], v[16:17]
	v_add_f64 v[58:59], v[38:39], v[70:71]
	scratch_load_b128 v[38:41], off, off offset:752
	v_add_f64 v[48:49], v[48:49], v[68:69]
	v_fma_f64 v[56:57], v[8:9], v[44:45], v[56:57]
	v_fma_f64 v[68:69], v[6:7], v[44:45], -v[46:47]
	ds_load_b128 v[6:9], v1 offset:1648
	v_fma_f64 v[64:65], v[64:65], v[14:15], v[66:67]
	v_fma_f64 v[62:63], v[62:63], v[14:15], -v[16:17]
	scratch_load_b128 v[14:17], off, off offset:784
	v_add_f64 v[58:59], v[58:59], v[42:43]
	scratch_load_b128 v[42:45], off, off offset:768
	v_add_f64 v[60:61], v[48:49], v[60:61]
	ds_load_b128 v[46:49], v1 offset:1664
	s_waitcnt vmcnt(9) lgkmcnt(1)
	v_mul_f64 v[70:71], v[6:7], v[32:33]
	v_mul_f64 v[32:33], v[8:9], v[32:33]
	v_add_f64 v[58:59], v[58:59], v[68:69]
	v_add_f64 v[56:57], v[60:61], v[56:57]
	s_waitcnt vmcnt(8) lgkmcnt(0)
	v_mul_f64 v[60:61], v[46:47], v[24:25]
	v_mul_f64 v[24:25], v[48:49], v[24:25]
	v_fma_f64 v[66:67], v[8:9], v[30:31], v[70:71]
	v_fma_f64 v[68:69], v[6:7], v[30:31], -v[32:33]
	scratch_load_b128 v[30:33], off, off offset:800
	ds_load_b128 v[6:9], v1 offset:1680
	v_add_f64 v[62:63], v[58:59], v[62:63]
	v_add_f64 v[64:65], v[56:57], v[64:65]
	ds_load_b128 v[56:59], v1 offset:1696
	s_waitcnt vmcnt(8) lgkmcnt(1)
	v_mul_f64 v[70:71], v[6:7], v[28:29]
	v_mul_f64 v[28:29], v[8:9], v[28:29]
	v_fma_f64 v[48:49], v[48:49], v[22:23], v[60:61]
	v_fma_f64 v[46:47], v[46:47], v[22:23], -v[24:25]
	scratch_load_b128 v[22:25], off, off offset:816
	v_add_f64 v[60:61], v[62:63], v[68:69]
	v_add_f64 v[62:63], v[64:65], v[66:67]
	v_fma_f64 v[66:67], v[8:9], v[26:27], v[70:71]
	v_fma_f64 v[68:69], v[6:7], v[26:27], -v[28:29]
	scratch_load_b128 v[26:29], off, off offset:832
	ds_load_b128 v[6:9], v1 offset:1712
	s_waitcnt vmcnt(9) lgkmcnt(1)
	v_mul_f64 v[64:65], v[56:57], v[36:37]
	v_mul_f64 v[36:37], v[58:59], v[36:37]
	v_add_f64 v[60:61], v[60:61], v[46:47]
	v_add_f64 v[62:63], v[62:63], v[48:49]
	ds_load_b128 v[46:49], v1 offset:1728
	s_waitcnt vmcnt(8) lgkmcnt(1)
	v_mul_f64 v[70:71], v[6:7], v[20:21]
	v_mul_f64 v[20:21], v[8:9], v[20:21]
	v_fma_f64 v[58:59], v[58:59], v[34:35], v[64:65]
	v_fma_f64 v[56:57], v[56:57], v[34:35], -v[36:37]
	scratch_load_b128 v[34:37], off, off offset:848
	s_waitcnt vmcnt(8) lgkmcnt(0)
	v_mul_f64 v[64:65], v[46:47], v[54:55]
	v_add_f64 v[60:61], v[60:61], v[68:69]
	v_add_f64 v[62:63], v[62:63], v[66:67]
	v_mul_f64 v[66:67], v[48:49], v[54:55]
	v_fma_f64 v[68:69], v[8:9], v[18:19], v[70:71]
	v_fma_f64 v[70:71], v[6:7], v[18:19], -v[20:21]
	scratch_load_b128 v[18:21], off, off offset:864
	ds_load_b128 v[6:9], v1 offset:1744
	v_fma_f64 v[64:65], v[48:49], v[52:53], v[64:65]
	v_add_f64 v[60:61], v[60:61], v[56:57]
	ds_load_b128 v[54:57], v1 offset:1760
	v_add_f64 v[58:59], v[62:63], v[58:59]
	s_waitcnt vmcnt(8) lgkmcnt(1)
	v_mul_f64 v[62:63], v[6:7], v[12:13]
	v_mul_f64 v[12:13], v[8:9], v[12:13]
	v_fma_f64 v[52:53], v[46:47], v[52:53], -v[66:67]
	scratch_load_b128 v[46:49], off, off offset:880
	v_add_f64 v[60:61], v[60:61], v[70:71]
	v_add_f64 v[58:59], v[58:59], v[68:69]
	v_fma_f64 v[62:63], v[8:9], v[10:11], v[62:63]
	v_fma_f64 v[68:69], v[6:7], v[10:11], -v[12:13]
	scratch_load_b128 v[10:13], off, off offset:896
	ds_load_b128 v[6:9], v1 offset:1776
	s_waitcnt vmcnt(9) lgkmcnt(1)
	v_mul_f64 v[66:67], v[54:55], v[40:41]
	v_mul_f64 v[40:41], v[56:57], v[40:41]
	v_add_f64 v[52:53], v[60:61], v[52:53]
	v_add_f64 v[64:65], v[58:59], v[64:65]
	ds_load_b128 v[58:61], v1 offset:1792
	s_waitcnt vmcnt(7) lgkmcnt(1)
	v_mul_f64 v[70:71], v[6:7], v[44:45]
	v_mul_f64 v[44:45], v[8:9], v[44:45]
	v_fma_f64 v[56:57], v[56:57], v[38:39], v[66:67]
	v_fma_f64 v[54:55], v[54:55], v[38:39], -v[40:41]
	scratch_load_b128 v[38:41], off, off offset:912
	v_add_f64 v[52:53], v[52:53], v[68:69]
	v_add_f64 v[62:63], v[64:65], v[62:63]
	s_waitcnt lgkmcnt(0)
	v_mul_f64 v[64:65], v[58:59], v[16:17]
	v_mul_f64 v[16:17], v[60:61], v[16:17]
	v_fma_f64 v[66:67], v[8:9], v[42:43], v[70:71]
	v_fma_f64 v[68:69], v[6:7], v[42:43], -v[44:45]
	scratch_load_b128 v[42:45], off, off offset:928
	ds_load_b128 v[6:9], v1 offset:1808
	v_add_f64 v[70:71], v[52:53], v[54:55]
	ds_load_b128 v[52:55], v1 offset:1824
	v_add_f64 v[56:57], v[62:63], v[56:57]
	s_waitcnt vmcnt(8) lgkmcnt(1)
	v_mul_f64 v[62:63], v[6:7], v[32:33]
	v_mul_f64 v[32:33], v[8:9], v[32:33]
	v_fma_f64 v[60:61], v[60:61], v[14:15], v[64:65]
	v_fma_f64 v[58:59], v[58:59], v[14:15], -v[16:17]
	scratch_load_b128 v[14:17], off, off offset:944
	v_add_f64 v[64:65], v[70:71], v[68:69]
	v_add_f64 v[56:57], v[56:57], v[66:67]
	s_waitcnt vmcnt(8) lgkmcnt(0)
	v_mul_f64 v[66:67], v[52:53], v[24:25]
	v_mul_f64 v[24:25], v[54:55], v[24:25]
	v_fma_f64 v[62:63], v[8:9], v[30:31], v[62:63]
	v_fma_f64 v[68:69], v[6:7], v[30:31], -v[32:33]
	scratch_load_b128 v[30:33], off, off offset:960
	ds_load_b128 v[6:9], v1 offset:1840
	v_add_f64 v[64:65], v[64:65], v[58:59]
	v_add_f64 v[60:61], v[56:57], v[60:61]
	ds_load_b128 v[56:59], v1 offset:1856
	s_waitcnt vmcnt(8) lgkmcnt(1)
	v_mul_f64 v[70:71], v[6:7], v[28:29]
	v_mul_f64 v[28:29], v[8:9], v[28:29]
	v_fma_f64 v[54:55], v[54:55], v[22:23], v[66:67]
	v_fma_f64 v[52:53], v[52:53], v[22:23], -v[24:25]
	scratch_load_b128 v[22:25], off, off offset:976
	v_add_f64 v[64:65], v[64:65], v[68:69]
	v_add_f64 v[60:61], v[60:61], v[62:63]
	s_waitcnt vmcnt(8) lgkmcnt(0)
	v_mul_f64 v[62:63], v[56:57], v[36:37]
	v_mul_f64 v[36:37], v[58:59], v[36:37]
	v_fma_f64 v[66:67], v[8:9], v[26:27], v[70:71]
	v_fma_f64 v[68:69], v[6:7], v[26:27], -v[28:29]
	scratch_load_b128 v[26:29], off, off offset:992
	ds_load_b128 v[6:9], v1 offset:1872
	v_add_f64 v[64:65], v[64:65], v[52:53]
	v_add_f64 v[60:61], v[60:61], v[54:55]
	ds_load_b128 v[52:55], v1 offset:1888
	s_waitcnt vmcnt(8) lgkmcnt(1)
	v_mul_f64 v[70:71], v[6:7], v[20:21]
	v_mul_f64 v[20:21], v[8:9], v[20:21]
	v_fma_f64 v[58:59], v[58:59], v[34:35], v[62:63]
	v_fma_f64 v[34:35], v[56:57], v[34:35], -v[36:37]
	v_add_f64 v[36:37], v[64:65], v[68:69]
	v_add_f64 v[56:57], v[60:61], v[66:67]
	s_waitcnt vmcnt(7) lgkmcnt(0)
	v_mul_f64 v[60:61], v[52:53], v[48:49]
	v_mul_f64 v[48:49], v[54:55], v[48:49]
	v_fma_f64 v[62:63], v[8:9], v[18:19], v[70:71]
	v_fma_f64 v[64:65], v[6:7], v[18:19], -v[20:21]
	ds_load_b128 v[6:9], v1 offset:1904
	ds_load_b128 v[18:21], v1 offset:1920
	v_add_f64 v[34:35], v[36:37], v[34:35]
	v_add_f64 v[36:37], v[56:57], v[58:59]
	s_waitcnt vmcnt(6) lgkmcnt(1)
	v_mul_f64 v[56:57], v[6:7], v[12:13]
	v_mul_f64 v[12:13], v[8:9], v[12:13]
	v_fma_f64 v[54:55], v[54:55], v[46:47], v[60:61]
	v_fma_f64 v[46:47], v[52:53], v[46:47], -v[48:49]
	s_waitcnt vmcnt(5) lgkmcnt(0)
	v_mul_f64 v[48:49], v[18:19], v[40:41]
	v_add_f64 v[34:35], v[34:35], v[64:65]
	v_mul_f64 v[40:41], v[20:21], v[40:41]
	v_add_f64 v[36:37], v[36:37], v[62:63]
	v_fma_f64 v[52:53], v[8:9], v[10:11], v[56:57]
	v_fma_f64 v[56:57], v[6:7], v[10:11], -v[12:13]
	ds_load_b128 v[6:9], v1 offset:1936
	ds_load_b128 v[10:13], v1 offset:1952
	v_fma_f64 v[20:21], v[20:21], v[38:39], v[48:49]
	v_add_f64 v[34:35], v[34:35], v[46:47]
	s_waitcnt vmcnt(4) lgkmcnt(1)
	v_mul_f64 v[46:47], v[6:7], v[44:45]
	v_add_f64 v[36:37], v[36:37], v[54:55]
	v_mul_f64 v[44:45], v[8:9], v[44:45]
	v_fma_f64 v[18:19], v[18:19], v[38:39], -v[40:41]
	s_waitcnt vmcnt(3) lgkmcnt(0)
	v_mul_f64 v[38:39], v[10:11], v[16:17]
	v_mul_f64 v[40:41], v[12:13], v[16:17]
	v_add_f64 v[34:35], v[34:35], v[56:57]
	v_fma_f64 v[46:47], v[8:9], v[42:43], v[46:47]
	v_add_f64 v[36:37], v[36:37], v[52:53]
	v_fma_f64 v[42:43], v[6:7], v[42:43], -v[44:45]
	v_fma_f64 v[12:13], v[12:13], v[14:15], v[38:39]
	v_fma_f64 v[10:11], v[10:11], v[14:15], -v[40:41]
	v_add_f64 v[34:35], v[34:35], v[18:19]
	ds_load_b128 v[6:9], v1 offset:1968
	ds_load_b128 v[16:19], v1 offset:1984
	v_add_f64 v[20:21], v[36:37], v[20:21]
	s_waitcnt vmcnt(2) lgkmcnt(1)
	v_mul_f64 v[36:37], v[6:7], v[32:33]
	v_mul_f64 v[32:33], v[8:9], v[32:33]
	v_add_f64 v[14:15], v[34:35], v[42:43]
	s_waitcnt vmcnt(1) lgkmcnt(0)
	v_mul_f64 v[34:35], v[16:17], v[24:25]
	v_add_f64 v[20:21], v[20:21], v[46:47]
	v_mul_f64 v[24:25], v[18:19], v[24:25]
	v_fma_f64 v[36:37], v[8:9], v[30:31], v[36:37]
	v_fma_f64 v[30:31], v[6:7], v[30:31], -v[32:33]
	ds_load_b128 v[6:9], v1 offset:2000
	v_add_f64 v[10:11], v[14:15], v[10:11]
	v_fma_f64 v[18:19], v[18:19], v[22:23], v[34:35]
	v_add_f64 v[12:13], v[20:21], v[12:13]
	v_fma_f64 v[16:17], v[16:17], v[22:23], -v[24:25]
	s_waitcnt vmcnt(0) lgkmcnt(0)
	v_mul_f64 v[14:15], v[6:7], v[28:29]
	v_mul_f64 v[20:21], v[8:9], v[28:29]
	v_add_f64 v[10:11], v[10:11], v[30:31]
	v_add_f64 v[12:13], v[12:13], v[36:37]
	s_delay_alu instid0(VALU_DEP_4) | instskip(NEXT) | instid1(VALU_DEP_4)
	v_fma_f64 v[8:9], v[8:9], v[26:27], v[14:15]
	v_fma_f64 v[6:7], v[6:7], v[26:27], -v[20:21]
	s_delay_alu instid0(VALU_DEP_4) | instskip(NEXT) | instid1(VALU_DEP_4)
	v_add_f64 v[10:11], v[10:11], v[16:17]
	v_add_f64 v[12:13], v[12:13], v[18:19]
	s_delay_alu instid0(VALU_DEP_2) | instskip(NEXT) | instid1(VALU_DEP_2)
	v_add_f64 v[6:7], v[10:11], v[6:7]
	v_add_f64 v[8:9], v[12:13], v[8:9]
	s_delay_alu instid0(VALU_DEP_2) | instskip(NEXT) | instid1(VALU_DEP_2)
	v_add_f64 v[2:3], v[2:3], -v[6:7]
	v_add_f64 v[4:5], v[4:5], -v[8:9]
	scratch_store_b128 off, v[2:5], off offset:112
	v_cmpx_lt_u32_e32 6, v176
	s_cbranch_execz .LBB62_391
; %bb.390:
	scratch_load_b32 v2, off, off offset:1168 ; 4-byte Folded Reload
	v_mov_b32_e32 v3, v1
	v_mov_b32_e32 v4, v1
	s_waitcnt vmcnt(0)
	scratch_load_b128 v[5:8], v2, off
	v_mov_b32_e32 v2, v1
	scratch_store_b128 off, v[1:4], off offset:96
	s_waitcnt vmcnt(0)
	ds_store_b128 v255, v[5:8]
.LBB62_391:
	s_or_b32 exec_lo, exec_lo, s2
	s_waitcnt lgkmcnt(0)
	s_waitcnt_vscnt null, 0x0
	s_barrier
	buffer_gl0_inv
	s_clause 0x8
	scratch_load_b128 v[34:37], off, off offset:112
	scratch_load_b128 v[38:41], off, off offset:128
	;; [unrolled: 1-line block ×9, first 2 shown]
	ds_load_b128 v[46:49], v1 offset:1120
	ds_load_b128 v[42:45], v1 offset:1136
	s_clause 0x1
	scratch_load_b128 v[2:5], off, off offset:96
	scratch_load_b128 v[52:55], off, off offset:256
	s_mov_b32 s2, exec_lo
	s_waitcnt vmcnt(10) lgkmcnt(1)
	v_mul_f64 v[56:57], v[48:49], v[36:37]
	v_mul_f64 v[36:37], v[46:47], v[36:37]
	s_waitcnt vmcnt(9) lgkmcnt(0)
	v_mul_f64 v[60:61], v[42:43], v[40:41]
	v_mul_f64 v[40:41], v[44:45], v[40:41]
	s_delay_alu instid0(VALU_DEP_4) | instskip(NEXT) | instid1(VALU_DEP_4)
	v_fma_f64 v[62:63], v[46:47], v[34:35], -v[56:57]
	v_fma_f64 v[64:65], v[48:49], v[34:35], v[36:37]
	ds_load_b128 v[34:37], v1 offset:1152
	ds_load_b128 v[56:59], v1 offset:1168
	scratch_load_b128 v[46:49], off, off offset:272
	v_fma_f64 v[44:45], v[44:45], v[38:39], v[60:61]
	v_fma_f64 v[42:43], v[42:43], v[38:39], -v[40:41]
	scratch_load_b128 v[38:41], off, off offset:288
	s_waitcnt vmcnt(10) lgkmcnt(1)
	v_mul_f64 v[66:67], v[34:35], v[32:33]
	v_mul_f64 v[32:33], v[36:37], v[32:33]
	s_waitcnt vmcnt(9) lgkmcnt(0)
	v_mul_f64 v[68:69], v[58:59], v[28:29]
	v_add_f64 v[60:61], v[62:63], 0
	v_add_f64 v[62:63], v[64:65], 0
	v_mul_f64 v[64:65], v[56:57], v[28:29]
	v_fma_f64 v[36:37], v[36:37], v[30:31], v[66:67]
	v_fma_f64 v[66:67], v[34:35], v[30:31], -v[32:33]
	ds_load_b128 v[28:31], v1 offset:1184
	scratch_load_b128 v[32:35], off, off offset:304
	v_fma_f64 v[56:57], v[56:57], v[26:27], -v[68:69]
	v_add_f64 v[60:61], v[60:61], v[42:43]
	v_add_f64 v[62:63], v[62:63], v[44:45]
	ds_load_b128 v[42:45], v1 offset:1200
	v_fma_f64 v[58:59], v[58:59], v[26:27], v[64:65]
	s_waitcnt vmcnt(9) lgkmcnt(1)
	v_mul_f64 v[70:71], v[28:29], v[24:25]
	v_mul_f64 v[72:73], v[30:31], v[24:25]
	scratch_load_b128 v[24:27], off, off offset:320
	s_waitcnt vmcnt(9) lgkmcnt(0)
	v_mul_f64 v[64:65], v[44:45], v[20:21]
	v_add_f64 v[60:61], v[60:61], v[66:67]
	v_add_f64 v[36:37], v[62:63], v[36:37]
	v_mul_f64 v[62:63], v[42:43], v[20:21]
	v_fma_f64 v[66:67], v[30:31], v[22:23], v[70:71]
	v_fma_f64 v[68:69], v[28:29], v[22:23], -v[72:73]
	ds_load_b128 v[20:23], v1 offset:1216
	scratch_load_b128 v[28:31], off, off offset:336
	v_fma_f64 v[42:43], v[42:43], v[18:19], -v[64:65]
	v_add_f64 v[60:61], v[60:61], v[56:57]
	v_add_f64 v[36:37], v[36:37], v[58:59]
	ds_load_b128 v[56:59], v1 offset:1232
	s_waitcnt vmcnt(9) lgkmcnt(1)
	v_mul_f64 v[70:71], v[20:21], v[16:17]
	v_mul_f64 v[72:73], v[22:23], v[16:17]
	v_fma_f64 v[44:45], v[44:45], v[18:19], v[62:63]
	scratch_load_b128 v[16:19], off, off offset:352
	s_waitcnt vmcnt(9) lgkmcnt(0)
	v_mul_f64 v[62:63], v[56:57], v[12:13]
	v_mul_f64 v[64:65], v[58:59], v[12:13]
	v_add_f64 v[60:61], v[60:61], v[68:69]
	v_add_f64 v[36:37], v[36:37], v[66:67]
	v_fma_f64 v[66:67], v[22:23], v[14:15], v[70:71]
	v_fma_f64 v[68:69], v[20:21], v[14:15], -v[72:73]
	ds_load_b128 v[12:15], v1 offset:1248
	scratch_load_b128 v[20:23], off, off offset:368
	v_fma_f64 v[58:59], v[58:59], v[10:11], v[62:63]
	v_fma_f64 v[56:57], v[56:57], v[10:11], -v[64:65]
	v_add_f64 v[60:61], v[60:61], v[42:43]
	v_add_f64 v[36:37], v[36:37], v[44:45]
	ds_load_b128 v[42:45], v1 offset:1264
	s_waitcnt vmcnt(9) lgkmcnt(1)
	v_mul_f64 v[70:71], v[12:13], v[8:9]
	v_mul_f64 v[72:73], v[14:15], v[8:9]
	scratch_load_b128 v[8:11], off, off offset:384
	s_waitcnt vmcnt(8) lgkmcnt(0)
	v_mul_f64 v[62:63], v[42:43], v[54:55]
	v_mul_f64 v[64:65], v[44:45], v[54:55]
	v_add_f64 v[60:61], v[60:61], v[68:69]
	v_add_f64 v[36:37], v[36:37], v[66:67]
	v_fma_f64 v[66:67], v[14:15], v[6:7], v[70:71]
	v_fma_f64 v[6:7], v[12:13], v[6:7], -v[72:73]
	ds_load_b128 v[12:15], v1 offset:1280
	v_fma_f64 v[62:63], v[44:45], v[52:53], v[62:63]
	v_fma_f64 v[52:53], v[42:43], v[52:53], -v[64:65]
	scratch_load_b128 v[42:45], off, off offset:416
	v_add_f64 v[68:69], v[60:61], v[56:57]
	v_add_f64 v[36:37], v[36:37], v[58:59]
	ds_load_b128 v[58:61], v1 offset:1296
	scratch_load_b128 v[54:57], off, off offset:400
	s_waitcnt vmcnt(9) lgkmcnt(1)
	v_mul_f64 v[70:71], v[12:13], v[48:49]
	v_mul_f64 v[48:49], v[14:15], v[48:49]
	v_add_f64 v[6:7], v[68:69], v[6:7]
	v_add_f64 v[36:37], v[36:37], v[66:67]
	s_waitcnt vmcnt(8) lgkmcnt(0)
	v_mul_f64 v[66:67], v[58:59], v[40:41]
	v_mul_f64 v[40:41], v[60:61], v[40:41]
	v_fma_f64 v[68:69], v[14:15], v[46:47], v[70:71]
	v_fma_f64 v[70:71], v[12:13], v[46:47], -v[48:49]
	ds_load_b128 v[12:15], v1 offset:1312
	scratch_load_b128 v[46:49], off, off offset:432
	v_add_f64 v[6:7], v[6:7], v[52:53]
	v_add_f64 v[36:37], v[36:37], v[62:63]
	ds_load_b128 v[62:65], v1 offset:1328
	v_fma_f64 v[60:61], v[60:61], v[38:39], v[66:67]
	s_waitcnt vmcnt(8) lgkmcnt(1)
	v_mul_f64 v[52:53], v[12:13], v[34:35]
	v_mul_f64 v[72:73], v[14:15], v[34:35]
	v_fma_f64 v[38:39], v[58:59], v[38:39], -v[40:41]
	s_waitcnt vmcnt(7) lgkmcnt(0)
	v_mul_f64 v[66:67], v[62:63], v[26:27]
	v_mul_f64 v[26:27], v[64:65], v[26:27]
	v_add_f64 v[6:7], v[6:7], v[70:71]
	v_add_f64 v[40:41], v[36:37], v[68:69]
	scratch_load_b128 v[34:37], off, off offset:448
	v_fma_f64 v[52:53], v[14:15], v[32:33], v[52:53]
	v_fma_f64 v[32:33], v[12:13], v[32:33], -v[72:73]
	ds_load_b128 v[12:15], v1 offset:1344
	v_fma_f64 v[64:65], v[64:65], v[24:25], v[66:67]
	v_fma_f64 v[62:63], v[62:63], v[24:25], -v[26:27]
	scratch_load_b128 v[24:27], off, off offset:480
	v_add_f64 v[6:7], v[6:7], v[38:39]
	v_add_f64 v[68:69], v[40:41], v[60:61]
	ds_load_b128 v[58:61], v1 offset:1360
	scratch_load_b128 v[38:41], off, off offset:464
	s_waitcnt vmcnt(9) lgkmcnt(1)
	v_mul_f64 v[70:71], v[12:13], v[30:31]
	v_mul_f64 v[30:31], v[14:15], v[30:31]
	v_add_f64 v[6:7], v[6:7], v[32:33]
	v_add_f64 v[32:33], v[68:69], v[52:53]
	s_waitcnt vmcnt(8) lgkmcnt(0)
	v_mul_f64 v[52:53], v[58:59], v[18:19]
	v_mul_f64 v[18:19], v[60:61], v[18:19]
	v_fma_f64 v[66:67], v[14:15], v[28:29], v[70:71]
	v_fma_f64 v[68:69], v[12:13], v[28:29], -v[30:31]
	ds_load_b128 v[12:15], v1 offset:1376
	scratch_load_b128 v[28:31], off, off offset:496
	v_add_f64 v[6:7], v[6:7], v[62:63]
	v_add_f64 v[32:33], v[32:33], v[64:65]
	ds_load_b128 v[62:65], v1 offset:1392
	s_waitcnt vmcnt(8) lgkmcnt(1)
	v_mul_f64 v[70:71], v[12:13], v[22:23]
	v_mul_f64 v[22:23], v[14:15], v[22:23]
	v_fma_f64 v[52:53], v[60:61], v[16:17], v[52:53]
	v_fma_f64 v[58:59], v[58:59], v[16:17], -v[18:19]
	scratch_load_b128 v[16:19], off, off offset:512
	v_add_f64 v[6:7], v[6:7], v[68:69]
	v_add_f64 v[32:33], v[32:33], v[66:67]
	s_waitcnt vmcnt(8) lgkmcnt(0)
	v_mul_f64 v[66:67], v[62:63], v[10:11]
	v_mul_f64 v[68:69], v[64:65], v[10:11]
	v_fma_f64 v[14:15], v[14:15], v[20:21], v[70:71]
	v_fma_f64 v[70:71], v[12:13], v[20:21], -v[22:23]
	ds_load_b128 v[10:13], v1 offset:1408
	scratch_load_b128 v[20:23], off, off offset:528
	v_add_f64 v[6:7], v[6:7], v[58:59]
	v_add_f64 v[32:33], v[32:33], v[52:53]
	ds_load_b128 v[58:61], v1 offset:1424
	v_fma_f64 v[64:65], v[64:65], v[8:9], v[66:67]
	v_fma_f64 v[62:63], v[62:63], v[8:9], -v[68:69]
	s_waitcnt vmcnt(7) lgkmcnt(1)
	v_mul_f64 v[52:53], v[10:11], v[56:57]
	v_mul_f64 v[56:57], v[12:13], v[56:57]
	v_add_f64 v[66:67], v[6:7], v[70:71]
	scratch_load_b128 v[6:9], off, off offset:544
	v_add_f64 v[14:15], v[32:33], v[14:15]
	s_waitcnt lgkmcnt(0)
	v_mul_f64 v[32:33], v[58:59], v[44:45]
	v_mul_f64 v[44:45], v[60:61], v[44:45]
	v_fma_f64 v[68:69], v[12:13], v[54:55], v[52:53]
	v_fma_f64 v[56:57], v[10:11], v[54:55], -v[56:57]
	ds_load_b128 v[10:13], v1 offset:1440
	scratch_load_b128 v[52:55], off, off offset:560
	v_add_f64 v[66:67], v[66:67], v[62:63]
	v_add_f64 v[14:15], v[14:15], v[64:65]
	ds_load_b128 v[62:65], v1 offset:1456
	s_waitcnt vmcnt(8) lgkmcnt(1)
	v_mul_f64 v[70:71], v[10:11], v[48:49]
	v_mul_f64 v[48:49], v[12:13], v[48:49]
	v_fma_f64 v[32:33], v[60:61], v[42:43], v[32:33]
	v_fma_f64 v[58:59], v[58:59], v[42:43], -v[44:45]
	scratch_load_b128 v[42:45], off, off offset:576
	v_add_f64 v[56:57], v[66:67], v[56:57]
	v_add_f64 v[14:15], v[14:15], v[68:69]
	v_fma_f64 v[66:67], v[12:13], v[46:47], v[70:71]
	v_fma_f64 v[68:69], v[10:11], v[46:47], -v[48:49]
	ds_load_b128 v[10:13], v1 offset:1472
	scratch_load_b128 v[46:49], off, off offset:592
	s_waitcnt vmcnt(9) lgkmcnt(1)
	v_mul_f64 v[60:61], v[62:63], v[36:37]
	v_mul_f64 v[36:37], v[64:65], v[36:37]
	v_add_f64 v[70:71], v[56:57], v[58:59]
	ds_load_b128 v[56:59], v1 offset:1488
	v_add_f64 v[14:15], v[14:15], v[32:33]
	v_fma_f64 v[60:61], v[64:65], v[34:35], v[60:61]
	s_waitcnt vmcnt(7) lgkmcnt(1)
	v_mul_f64 v[72:73], v[10:11], v[40:41]
	v_mul_f64 v[40:41], v[12:13], v[40:41]
	v_fma_f64 v[36:37], v[62:63], v[34:35], -v[36:37]
	scratch_load_b128 v[32:35], off, off offset:608
	s_waitcnt lgkmcnt(0)
	v_mul_f64 v[64:65], v[56:57], v[26:27]
	v_mul_f64 v[26:27], v[58:59], v[26:27]
	v_add_f64 v[62:63], v[70:71], v[68:69]
	v_add_f64 v[14:15], v[14:15], v[66:67]
	v_fma_f64 v[66:67], v[12:13], v[38:39], v[72:73]
	v_fma_f64 v[40:41], v[10:11], v[38:39], -v[40:41]
	ds_load_b128 v[10:13], v1 offset:1504
	v_fma_f64 v[58:59], v[58:59], v[24:25], v[64:65]
	v_fma_f64 v[56:57], v[56:57], v[24:25], -v[26:27]
	scratch_load_b128 v[24:27], off, off offset:640
	v_add_f64 v[68:69], v[62:63], v[36:37]
	scratch_load_b128 v[36:39], off, off offset:624
	v_add_f64 v[14:15], v[14:15], v[60:61]
	ds_load_b128 v[60:63], v1 offset:1520
	s_waitcnt vmcnt(9) lgkmcnt(1)
	v_mul_f64 v[70:71], v[10:11], v[30:31]
	v_mul_f64 v[30:31], v[12:13], v[30:31]
	s_waitcnt vmcnt(8) lgkmcnt(0)
	v_mul_f64 v[64:65], v[60:61], v[18:19]
	v_mul_f64 v[18:19], v[62:63], v[18:19]
	v_add_f64 v[40:41], v[68:69], v[40:41]
	v_add_f64 v[14:15], v[14:15], v[66:67]
	v_fma_f64 v[66:67], v[12:13], v[28:29], v[70:71]
	v_fma_f64 v[68:69], v[10:11], v[28:29], -v[30:31]
	ds_load_b128 v[10:13], v1 offset:1536
	scratch_load_b128 v[28:31], off, off offset:656
	v_fma_f64 v[62:63], v[62:63], v[16:17], v[64:65]
	v_fma_f64 v[18:19], v[60:61], v[16:17], -v[18:19]
	v_add_f64 v[40:41], v[40:41], v[56:57]
	v_add_f64 v[14:15], v[14:15], v[58:59]
	ds_load_b128 v[56:59], v1 offset:1552
	s_waitcnt vmcnt(8) lgkmcnt(1)
	v_mul_f64 v[70:71], v[10:11], v[22:23]
	v_mul_f64 v[22:23], v[12:13], v[22:23]
	v_add_f64 v[40:41], v[40:41], v[68:69]
	v_add_f64 v[60:61], v[14:15], v[66:67]
	scratch_load_b128 v[14:17], off, off offset:672
	v_fma_f64 v[12:13], v[12:13], v[20:21], v[70:71]
	v_fma_f64 v[22:23], v[10:11], v[20:21], -v[22:23]
	s_waitcnt vmcnt(8) lgkmcnt(0)
	v_mul_f64 v[64:65], v[56:57], v[8:9]
	v_mul_f64 v[66:67], v[58:59], v[8:9]
	ds_load_b128 v[8:11], v1 offset:1568
	v_add_f64 v[40:41], v[40:41], v[18:19]
	scratch_load_b128 v[18:21], off, off offset:688
	v_add_f64 v[68:69], v[60:61], v[62:63]
	ds_load_b128 v[60:63], v1 offset:1584
	s_waitcnt vmcnt(8) lgkmcnt(1)
	v_mul_f64 v[70:71], v[8:9], v[54:55]
	v_mul_f64 v[72:73], v[10:11], v[54:55]
	v_fma_f64 v[58:59], v[58:59], v[6:7], v[64:65]
	v_fma_f64 v[6:7], v[56:57], v[6:7], -v[66:67]
	scratch_load_b128 v[54:57], off, off offset:704
	ds_load_b128 v[64:67], v1 offset:1616
	v_add_f64 v[22:23], v[40:41], v[22:23]
	s_waitcnt vmcnt(8) lgkmcnt(1)
	v_mul_f64 v[40:41], v[60:61], v[44:45]
	v_add_f64 v[12:13], v[68:69], v[12:13]
	v_mul_f64 v[44:45], v[62:63], v[44:45]
	v_fma_f64 v[68:69], v[10:11], v[52:53], v[70:71]
	v_fma_f64 v[52:53], v[8:9], v[52:53], -v[72:73]
	v_add_f64 v[22:23], v[22:23], v[6:7]
	ds_load_b128 v[6:9], v1 offset:1600
	v_add_f64 v[58:59], v[12:13], v[58:59]
	scratch_load_b128 v[10:13], off, off offset:720
	v_fma_f64 v[62:63], v[62:63], v[42:43], v[40:41]
	v_fma_f64 v[44:45], v[60:61], v[42:43], -v[44:45]
	scratch_load_b128 v[40:43], off, off offset:736
	s_waitcnt vmcnt(9) lgkmcnt(0)
	v_mul_f64 v[70:71], v[6:7], v[48:49]
	v_mul_f64 v[48:49], v[8:9], v[48:49]
	v_add_f64 v[22:23], v[22:23], v[52:53]
	v_add_f64 v[52:53], v[58:59], v[68:69]
	s_waitcnt vmcnt(8)
	v_mul_f64 v[68:69], v[64:65], v[34:35]
	v_mul_f64 v[34:35], v[66:67], v[34:35]
	ds_load_b128 v[58:61], v1 offset:1648
	v_fma_f64 v[70:71], v[8:9], v[46:47], v[70:71]
	v_fma_f64 v[48:49], v[6:7], v[46:47], -v[48:49]
	ds_load_b128 v[6:9], v1 offset:1632
	v_add_f64 v[22:23], v[22:23], v[44:45]
	scratch_load_b128 v[44:47], off, off offset:752
	v_add_f64 v[52:53], v[52:53], v[62:63]
	v_fma_f64 v[66:67], v[66:67], v[32:33], v[68:69]
	v_fma_f64 v[64:65], v[64:65], v[32:33], -v[34:35]
	scratch_load_b128 v[32:35], off, off offset:768
	s_waitcnt vmcnt(8) lgkmcnt(0)
	v_mul_f64 v[62:63], v[6:7], v[38:39]
	v_mul_f64 v[38:39], v[8:9], v[38:39]
	v_add_f64 v[22:23], v[22:23], v[48:49]
	v_add_f64 v[48:49], v[52:53], v[70:71]
	v_mul_f64 v[52:53], v[58:59], v[26:27]
	v_mul_f64 v[26:27], v[60:61], v[26:27]
	v_fma_f64 v[68:69], v[8:9], v[36:37], v[62:63]
	v_fma_f64 v[70:71], v[6:7], v[36:37], -v[38:39]
	ds_load_b128 v[6:9], v1 offset:1664
	scratch_load_b128 v[36:39], off, off offset:784
	v_add_f64 v[22:23], v[22:23], v[64:65]
	ds_load_b128 v[62:65], v1 offset:1680
	v_add_f64 v[48:49], v[48:49], v[66:67]
	s_waitcnt vmcnt(8) lgkmcnt(1)
	v_mul_f64 v[66:67], v[6:7], v[30:31]
	v_mul_f64 v[30:31], v[8:9], v[30:31]
	v_fma_f64 v[52:53], v[60:61], v[24:25], v[52:53]
	v_fma_f64 v[26:27], v[58:59], v[24:25], -v[26:27]
	v_add_f64 v[58:59], v[22:23], v[70:71]
	scratch_load_b128 v[22:25], off, off offset:800
	v_add_f64 v[48:49], v[48:49], v[68:69]
	v_fma_f64 v[66:67], v[8:9], v[28:29], v[66:67]
	v_fma_f64 v[30:31], v[6:7], v[28:29], -v[30:31]
	ds_load_b128 v[6:9], v1 offset:1696
	s_waitcnt vmcnt(8) lgkmcnt(1)
	v_mul_f64 v[68:69], v[62:63], v[16:17]
	v_mul_f64 v[16:17], v[64:65], v[16:17]
	v_add_f64 v[70:71], v[58:59], v[26:27]
	ds_load_b128 v[58:61], v1 offset:1712
	v_add_f64 v[48:49], v[48:49], v[52:53]
	scratch_load_b128 v[26:29], off, off offset:816
	s_waitcnt vmcnt(8) lgkmcnt(1)
	v_mul_f64 v[52:53], v[6:7], v[20:21]
	v_mul_f64 v[20:21], v[8:9], v[20:21]
	v_fma_f64 v[64:65], v[64:65], v[14:15], v[68:69]
	v_fma_f64 v[62:63], v[62:63], v[14:15], -v[16:17]
	scratch_load_b128 v[14:17], off, off offset:832
	v_add_f64 v[30:31], v[70:71], v[30:31]
	v_add_f64 v[48:49], v[48:49], v[66:67]
	s_waitcnt vmcnt(8) lgkmcnt(0)
	v_mul_f64 v[66:67], v[58:59], v[56:57]
	v_mul_f64 v[56:57], v[60:61], v[56:57]
	v_fma_f64 v[52:53], v[8:9], v[18:19], v[52:53]
	v_fma_f64 v[68:69], v[6:7], v[18:19], -v[20:21]
	ds_load_b128 v[6:9], v1 offset:1728
	scratch_load_b128 v[18:21], off, off offset:848
	v_add_f64 v[30:31], v[30:31], v[62:63]
	v_add_f64 v[48:49], v[48:49], v[64:65]
	ds_load_b128 v[62:65], v1 offset:1744
	v_fma_f64 v[60:61], v[60:61], v[54:55], v[66:67]
	v_fma_f64 v[56:57], v[58:59], v[54:55], -v[56:57]
	s_waitcnt vmcnt(8) lgkmcnt(1)
	v_mul_f64 v[70:71], v[6:7], v[12:13]
	v_mul_f64 v[12:13], v[8:9], v[12:13]
	s_waitcnt vmcnt(7) lgkmcnt(0)
	v_mul_f64 v[66:67], v[62:63], v[42:43]
	v_mul_f64 v[42:43], v[64:65], v[42:43]
	v_add_f64 v[30:31], v[30:31], v[68:69]
	v_add_f64 v[48:49], v[48:49], v[52:53]
	scratch_load_b128 v[52:55], off, off offset:864
	v_fma_f64 v[68:69], v[8:9], v[10:11], v[70:71]
	v_fma_f64 v[70:71], v[6:7], v[10:11], -v[12:13]
	ds_load_b128 v[6:9], v1 offset:1760
	scratch_load_b128 v[10:13], off, off offset:880
	v_fma_f64 v[64:65], v[64:65], v[40:41], v[66:67]
	v_fma_f64 v[62:63], v[62:63], v[40:41], -v[42:43]
	scratch_load_b128 v[40:43], off, off offset:896
	v_add_f64 v[30:31], v[30:31], v[56:57]
	ds_load_b128 v[56:59], v1 offset:1776
	v_add_f64 v[48:49], v[48:49], v[60:61]
	s_waitcnt vmcnt(9) lgkmcnt(1)
	v_mul_f64 v[60:61], v[6:7], v[46:47]
	v_mul_f64 v[46:47], v[8:9], v[46:47]
	s_waitcnt vmcnt(8) lgkmcnt(0)
	v_mul_f64 v[66:67], v[56:57], v[34:35]
	v_mul_f64 v[34:35], v[58:59], v[34:35]
	v_add_f64 v[30:31], v[30:31], v[70:71]
	v_add_f64 v[48:49], v[48:49], v[68:69]
	v_fma_f64 v[68:69], v[8:9], v[44:45], v[60:61]
	v_fma_f64 v[70:71], v[6:7], v[44:45], -v[46:47]
	ds_load_b128 v[6:9], v1 offset:1792
	scratch_load_b128 v[44:47], off, off offset:912
	v_fma_f64 v[58:59], v[58:59], v[32:33], v[66:67]
	v_fma_f64 v[34:35], v[56:57], v[32:33], -v[34:35]
	v_add_f64 v[30:31], v[30:31], v[62:63]
	ds_load_b128 v[60:63], v1 offset:1808
	v_add_f64 v[48:49], v[48:49], v[64:65]
	s_waitcnt vmcnt(8) lgkmcnt(1)
	v_mul_f64 v[64:65], v[6:7], v[38:39]
	v_mul_f64 v[38:39], v[8:9], v[38:39]
	v_add_f64 v[56:57], v[30:31], v[70:71]
	scratch_load_b128 v[30:33], off, off offset:928
	v_add_f64 v[48:49], v[48:49], v[68:69]
	v_fma_f64 v[64:65], v[8:9], v[36:37], v[64:65]
	v_fma_f64 v[38:39], v[6:7], v[36:37], -v[38:39]
	ds_load_b128 v[6:9], v1 offset:1824
	s_waitcnt vmcnt(8) lgkmcnt(1)
	v_mul_f64 v[66:67], v[60:61], v[24:25]
	v_mul_f64 v[24:25], v[62:63], v[24:25]
	v_add_f64 v[68:69], v[56:57], v[34:35]
	scratch_load_b128 v[34:37], off, off offset:944
	v_add_f64 v[48:49], v[48:49], v[58:59]
	ds_load_b128 v[56:59], v1 offset:1840
	v_fma_f64 v[62:63], v[62:63], v[22:23], v[66:67]
	v_fma_f64 v[60:61], v[60:61], v[22:23], -v[24:25]
	scratch_load_b128 v[22:25], off, off offset:960
	s_waitcnt vmcnt(9) lgkmcnt(1)
	v_mul_f64 v[70:71], v[6:7], v[28:29]
	v_mul_f64 v[28:29], v[8:9], v[28:29]
	v_add_f64 v[38:39], v[68:69], v[38:39]
	v_add_f64 v[48:49], v[48:49], v[64:65]
	s_waitcnt vmcnt(8) lgkmcnt(0)
	v_mul_f64 v[64:65], v[56:57], v[16:17]
	v_mul_f64 v[16:17], v[58:59], v[16:17]
	v_fma_f64 v[66:67], v[8:9], v[26:27], v[70:71]
	v_fma_f64 v[68:69], v[6:7], v[26:27], -v[28:29]
	ds_load_b128 v[6:9], v1 offset:1856
	scratch_load_b128 v[26:29], off, off offset:976
	v_add_f64 v[38:39], v[38:39], v[60:61]
	v_add_f64 v[48:49], v[48:49], v[62:63]
	ds_load_b128 v[60:63], v1 offset:1872
	s_waitcnt vmcnt(8) lgkmcnt(1)
	v_mul_f64 v[70:71], v[6:7], v[20:21]
	v_mul_f64 v[20:21], v[8:9], v[20:21]
	v_fma_f64 v[58:59], v[58:59], v[14:15], v[64:65]
	v_fma_f64 v[56:57], v[56:57], v[14:15], -v[16:17]
	scratch_load_b128 v[14:17], off, off offset:992
	v_add_f64 v[38:39], v[38:39], v[68:69]
	v_add_f64 v[48:49], v[48:49], v[66:67]
	v_fma_f64 v[66:67], v[8:9], v[18:19], v[70:71]
	v_fma_f64 v[68:69], v[6:7], v[18:19], -v[20:21]
	ds_load_b128 v[6:9], v1 offset:1888
	ds_load_b128 v[18:21], v1 offset:1904
	s_waitcnt vmcnt(8) lgkmcnt(2)
	v_mul_f64 v[64:65], v[60:61], v[54:55]
	v_mul_f64 v[54:55], v[62:63], v[54:55]
	v_add_f64 v[38:39], v[38:39], v[56:57]
	s_waitcnt vmcnt(7) lgkmcnt(1)
	v_mul_f64 v[56:57], v[6:7], v[12:13]
	v_add_f64 v[48:49], v[48:49], v[58:59]
	v_mul_f64 v[12:13], v[8:9], v[12:13]
	v_fma_f64 v[58:59], v[62:63], v[52:53], v[64:65]
	v_fma_f64 v[52:53], v[60:61], v[52:53], -v[54:55]
	s_waitcnt vmcnt(6) lgkmcnt(0)
	v_mul_f64 v[54:55], v[18:19], v[42:43]
	v_mul_f64 v[42:43], v[20:21], v[42:43]
	v_add_f64 v[38:39], v[38:39], v[68:69]
	v_fma_f64 v[56:57], v[8:9], v[10:11], v[56:57]
	v_add_f64 v[48:49], v[48:49], v[66:67]
	v_fma_f64 v[60:61], v[6:7], v[10:11], -v[12:13]
	ds_load_b128 v[6:9], v1 offset:1920
	ds_load_b128 v[10:13], v1 offset:1936
	v_fma_f64 v[20:21], v[20:21], v[40:41], v[54:55]
	v_fma_f64 v[18:19], v[18:19], v[40:41], -v[42:43]
	v_add_f64 v[38:39], v[38:39], v[52:53]
	s_waitcnt vmcnt(5) lgkmcnt(1)
	v_mul_f64 v[52:53], v[6:7], v[46:47]
	v_add_f64 v[48:49], v[48:49], v[58:59]
	v_mul_f64 v[46:47], v[8:9], v[46:47]
	s_delay_alu instid0(VALU_DEP_4) | instskip(NEXT) | instid1(VALU_DEP_3)
	v_add_f64 v[38:39], v[38:39], v[60:61]
	v_add_f64 v[40:41], v[48:49], v[56:57]
	v_fma_f64 v[48:49], v[8:9], v[44:45], v[52:53]
	s_delay_alu instid0(VALU_DEP_4)
	v_fma_f64 v[44:45], v[6:7], v[44:45], -v[46:47]
	s_waitcnt vmcnt(4) lgkmcnt(0)
	v_mul_f64 v[42:43], v[10:11], v[32:33]
	v_mul_f64 v[32:33], v[12:13], v[32:33]
	v_add_f64 v[38:39], v[38:39], v[18:19]
	v_add_f64 v[40:41], v[40:41], v[20:21]
	ds_load_b128 v[6:9], v1 offset:1952
	ds_load_b128 v[18:21], v1 offset:1968
	v_fma_f64 v[12:13], v[12:13], v[30:31], v[42:43]
	v_fma_f64 v[10:11], v[10:11], v[30:31], -v[32:33]
	s_waitcnt vmcnt(3) lgkmcnt(1)
	v_mul_f64 v[46:47], v[6:7], v[36:37]
	v_mul_f64 v[36:37], v[8:9], v[36:37]
	v_add_f64 v[30:31], v[38:39], v[44:45]
	s_waitcnt vmcnt(2) lgkmcnt(0)
	v_mul_f64 v[38:39], v[18:19], v[24:25]
	v_add_f64 v[32:33], v[40:41], v[48:49]
	v_mul_f64 v[24:25], v[20:21], v[24:25]
	v_fma_f64 v[40:41], v[8:9], v[34:35], v[46:47]
	v_fma_f64 v[34:35], v[6:7], v[34:35], -v[36:37]
	v_add_f64 v[30:31], v[30:31], v[10:11]
	v_fma_f64 v[20:21], v[20:21], v[22:23], v[38:39]
	v_add_f64 v[32:33], v[32:33], v[12:13]
	ds_load_b128 v[6:9], v1 offset:1984
	ds_load_b128 v[10:13], v1 offset:2000
	v_fma_f64 v[18:19], v[18:19], v[22:23], -v[24:25]
	s_waitcnt vmcnt(1) lgkmcnt(1)
	v_mul_f64 v[36:37], v[6:7], v[28:29]
	v_mul_f64 v[28:29], v[8:9], v[28:29]
	v_add_f64 v[22:23], v[30:31], v[34:35]
	s_waitcnt vmcnt(0) lgkmcnt(0)
	v_mul_f64 v[30:31], v[10:11], v[16:17]
	v_add_f64 v[24:25], v[32:33], v[40:41]
	v_mul_f64 v[16:17], v[12:13], v[16:17]
	v_fma_f64 v[8:9], v[8:9], v[26:27], v[36:37]
	v_fma_f64 v[6:7], v[6:7], v[26:27], -v[28:29]
	v_add_f64 v[18:19], v[22:23], v[18:19]
	v_fma_f64 v[12:13], v[12:13], v[14:15], v[30:31]
	v_add_f64 v[20:21], v[24:25], v[20:21]
	v_fma_f64 v[10:11], v[10:11], v[14:15], -v[16:17]
	s_delay_alu instid0(VALU_DEP_4) | instskip(NEXT) | instid1(VALU_DEP_3)
	v_add_f64 v[6:7], v[18:19], v[6:7]
	v_add_f64 v[8:9], v[20:21], v[8:9]
	s_delay_alu instid0(VALU_DEP_2) | instskip(NEXT) | instid1(VALU_DEP_2)
	v_add_f64 v[6:7], v[6:7], v[10:11]
	v_add_f64 v[8:9], v[8:9], v[12:13]
	s_delay_alu instid0(VALU_DEP_2) | instskip(NEXT) | instid1(VALU_DEP_2)
	v_add_f64 v[1:2], v[2:3], -v[6:7]
	v_add_f64 v[3:4], v[4:5], -v[8:9]
	scratch_store_b128 off, v[1:4], off offset:96
	v_cmpx_lt_u32_e32 5, v176
	s_cbranch_execz .LBB62_393
; %bb.392:
	scratch_load_b32 v1, off, off offset:1176 ; 4-byte Folded Reload
	v_mov_b32_e32 v5, 0
	s_delay_alu instid0(VALU_DEP_1)
	v_mov_b32_e32 v6, v5
	v_mov_b32_e32 v7, v5
	;; [unrolled: 1-line block ×3, first 2 shown]
	s_waitcnt vmcnt(0)
	scratch_load_b128 v[1:4], v1, off
	scratch_store_b128 off, v[5:8], off offset:80
	s_waitcnt vmcnt(0)
	ds_store_b128 v255, v[1:4]
.LBB62_393:
	s_or_b32 exec_lo, exec_lo, s2
	s_waitcnt lgkmcnt(0)
	s_waitcnt_vscnt null, 0x0
	s_barrier
	buffer_gl0_inv
	s_clause 0x7
	scratch_load_b128 v[34:37], off, off offset:96
	scratch_load_b128 v[38:41], off, off offset:112
	;; [unrolled: 1-line block ×8, first 2 shown]
	v_mov_b32_e32 v1, 0
	s_mov_b32 s2, exec_lo
	ds_load_b128 v[46:49], v1 offset:1104
	s_clause 0x1
	scratch_load_b128 v[14:17], off, off offset:224
	scratch_load_b128 v[2:5], off, off offset:80
	ds_load_b128 v[42:45], v1 offset:1120
	scratch_load_b128 v[52:55], off, off offset:240
	s_waitcnt vmcnt(10) lgkmcnt(1)
	v_mul_f64 v[56:57], v[48:49], v[36:37]
	v_mul_f64 v[36:37], v[46:47], v[36:37]
	s_delay_alu instid0(VALU_DEP_2) | instskip(NEXT) | instid1(VALU_DEP_2)
	v_fma_f64 v[62:63], v[46:47], v[34:35], -v[56:57]
	v_fma_f64 v[64:65], v[48:49], v[34:35], v[36:37]
	scratch_load_b128 v[46:49], off, off offset:256
	ds_load_b128 v[34:37], v1 offset:1136
	s_waitcnt vmcnt(10) lgkmcnt(1)
	v_mul_f64 v[60:61], v[42:43], v[40:41]
	v_mul_f64 v[40:41], v[44:45], v[40:41]
	ds_load_b128 v[56:59], v1 offset:1152
	s_waitcnt vmcnt(9) lgkmcnt(1)
	v_mul_f64 v[66:67], v[34:35], v[32:33]
	v_mul_f64 v[32:33], v[36:37], v[32:33]
	v_fma_f64 v[44:45], v[44:45], v[38:39], v[60:61]
	v_fma_f64 v[42:43], v[42:43], v[38:39], -v[40:41]
	v_add_f64 v[60:61], v[62:63], 0
	v_add_f64 v[62:63], v[64:65], 0
	scratch_load_b128 v[38:41], off, off offset:272
	v_fma_f64 v[36:37], v[36:37], v[30:31], v[66:67]
	v_fma_f64 v[66:67], v[34:35], v[30:31], -v[32:33]
	scratch_load_b128 v[32:35], off, off offset:288
	v_add_f64 v[60:61], v[60:61], v[42:43]
	v_add_f64 v[62:63], v[62:63], v[44:45]
	ds_load_b128 v[42:45], v1 offset:1184
	s_waitcnt vmcnt(10) lgkmcnt(1)
	v_mul_f64 v[64:65], v[56:57], v[28:29]
	v_mul_f64 v[68:69], v[58:59], v[28:29]
	ds_load_b128 v[28:31], v1 offset:1168
	v_add_f64 v[60:61], v[60:61], v[66:67]
	v_add_f64 v[36:37], v[62:63], v[36:37]
	s_waitcnt vmcnt(8) lgkmcnt(1)
	v_mul_f64 v[62:63], v[42:43], v[20:21]
	v_fma_f64 v[58:59], v[58:59], v[26:27], v[64:65]
	v_fma_f64 v[56:57], v[56:57], v[26:27], -v[68:69]
	v_mul_f64 v[64:65], v[44:45], v[20:21]
	s_delay_alu instid0(VALU_DEP_4) | instskip(NEXT) | instid1(VALU_DEP_4)
	v_fma_f64 v[62:63], v[44:45], v[18:19], v[62:63]
	v_add_f64 v[36:37], v[36:37], v[58:59]
	s_delay_alu instid0(VALU_DEP_4)
	v_add_f64 v[60:61], v[60:61], v[56:57]
	ds_load_b128 v[56:59], v1 offset:1216
	s_waitcnt lgkmcnt(1)
	v_mul_f64 v[70:71], v[28:29], v[24:25]
	v_mul_f64 v[72:73], v[30:31], v[24:25]
	scratch_load_b128 v[24:27], off, off offset:304
	v_fma_f64 v[18:19], v[42:43], v[18:19], -v[64:65]
	scratch_load_b128 v[42:45], off, off offset:336
	s_waitcnt vmcnt(8) lgkmcnt(0)
	v_mul_f64 v[64:65], v[56:57], v[8:9]
	v_fma_f64 v[66:67], v[30:31], v[22:23], v[70:71]
	v_fma_f64 v[68:69], v[28:29], v[22:23], -v[72:73]
	ds_load_b128 v[20:23], v1 offset:1200
	scratch_load_b128 v[28:31], off, off offset:320
	v_fma_f64 v[64:65], v[58:59], v[6:7], v[64:65]
	v_add_f64 v[36:37], v[36:37], v[66:67]
	v_add_f64 v[60:61], v[60:61], v[68:69]
	v_mul_f64 v[66:67], v[58:59], v[8:9]
	s_delay_alu instid0(VALU_DEP_3) | instskip(NEXT) | instid1(VALU_DEP_3)
	v_add_f64 v[36:37], v[36:37], v[62:63]
	v_add_f64 v[68:69], v[60:61], v[18:19]
	ds_load_b128 v[60:63], v1 offset:1248
	s_waitcnt lgkmcnt(1)
	v_mul_f64 v[70:71], v[20:21], v[12:13]
	v_mul_f64 v[12:13], v[22:23], v[12:13]
	v_fma_f64 v[6:7], v[56:57], v[6:7], -v[66:67]
	scratch_load_b128 v[56:59], off, off offset:368
	v_fma_f64 v[22:23], v[22:23], v[10:11], v[70:71]
	v_fma_f64 v[12:13], v[20:21], v[10:11], -v[12:13]
	ds_load_b128 v[8:11], v1 offset:1232
	scratch_load_b128 v[18:21], off, off offset:352
	s_waitcnt vmcnt(10) lgkmcnt(0)
	v_mul_f64 v[70:71], v[8:9], v[16:17]
	v_mul_f64 v[16:17], v[10:11], v[16:17]
	v_add_f64 v[22:23], v[36:37], v[22:23]
	v_add_f64 v[12:13], v[68:69], v[12:13]
	s_waitcnt vmcnt(8)
	v_mul_f64 v[36:37], v[60:61], v[54:55]
	v_mul_f64 v[54:55], v[62:63], v[54:55]
	v_fma_f64 v[66:67], v[10:11], v[14:15], v[70:71]
	v_fma_f64 v[68:69], v[8:9], v[14:15], -v[16:17]
	ds_load_b128 v[14:17], v1 offset:1280
	v_add_f64 v[22:23], v[22:23], v[64:65]
	v_add_f64 v[70:71], v[12:13], v[6:7]
	scratch_load_b128 v[10:13], off, off offset:384
	ds_load_b128 v[6:9], v1 offset:1264
	v_fma_f64 v[36:37], v[62:63], v[52:53], v[36:37]
	v_fma_f64 v[60:61], v[60:61], v[52:53], -v[54:55]
	scratch_load_b128 v[52:55], off, off offset:400
	s_waitcnt vmcnt(9) lgkmcnt(0)
	v_mul_f64 v[64:65], v[6:7], v[48:49]
	v_mul_f64 v[48:49], v[8:9], v[48:49]
	v_add_f64 v[22:23], v[22:23], v[66:67]
	v_add_f64 v[62:63], v[70:71], v[68:69]
	s_waitcnt vmcnt(8)
	v_mul_f64 v[66:67], v[14:15], v[40:41]
	v_mul_f64 v[40:41], v[16:17], v[40:41]
	v_fma_f64 v[64:65], v[8:9], v[46:47], v[64:65]
	v_fma_f64 v[68:69], v[6:7], v[46:47], -v[48:49]
	scratch_load_b128 v[46:49], off, off offset:416
	ds_load_b128 v[6:9], v1 offset:1296
	v_add_f64 v[22:23], v[22:23], v[36:37]
	v_add_f64 v[70:71], v[62:63], v[60:61]
	ds_load_b128 v[60:63], v1 offset:1312
	v_fma_f64 v[66:67], v[16:17], v[38:39], v[66:67]
	v_fma_f64 v[38:39], v[14:15], v[38:39], -v[40:41]
	scratch_load_b128 v[14:17], off, off offset:432
	s_waitcnt vmcnt(9) lgkmcnt(1)
	v_mul_f64 v[36:37], v[6:7], v[34:35]
	v_mul_f64 v[34:35], v[8:9], v[34:35]
	v_add_f64 v[22:23], v[22:23], v[64:65]
	v_add_f64 v[40:41], v[70:71], v[68:69]
	s_waitcnt vmcnt(8) lgkmcnt(0)
	v_mul_f64 v[64:65], v[60:61], v[26:27]
	v_mul_f64 v[26:27], v[62:63], v[26:27]
	v_fma_f64 v[68:69], v[8:9], v[32:33], v[36:37]
	v_fma_f64 v[70:71], v[6:7], v[32:33], -v[34:35]
	scratch_load_b128 v[32:35], off, off offset:448
	ds_load_b128 v[6:9], v1 offset:1328
	v_add_f64 v[22:23], v[22:23], v[66:67]
	v_add_f64 v[40:41], v[40:41], v[38:39]
	ds_load_b128 v[36:39], v1 offset:1344
	s_waitcnt vmcnt(7) lgkmcnt(1)
	v_mul_f64 v[66:67], v[6:7], v[30:31]
	v_mul_f64 v[30:31], v[8:9], v[30:31]
	v_fma_f64 v[62:63], v[62:63], v[24:25], v[64:65]
	v_fma_f64 v[26:27], v[60:61], v[24:25], -v[26:27]
	s_waitcnt lgkmcnt(0)
	v_mul_f64 v[64:65], v[36:37], v[44:45]
	v_mul_f64 v[44:45], v[38:39], v[44:45]
	v_add_f64 v[60:61], v[22:23], v[68:69]
	v_add_f64 v[40:41], v[40:41], v[70:71]
	scratch_load_b128 v[22:25], off, off offset:464
	v_fma_f64 v[66:67], v[8:9], v[28:29], v[66:67]
	v_fma_f64 v[30:31], v[6:7], v[28:29], -v[30:31]
	ds_load_b128 v[6:9], v1 offset:1360
	v_fma_f64 v[64:65], v[38:39], v[42:43], v[64:65]
	v_fma_f64 v[42:43], v[36:37], v[42:43], -v[44:45]
	scratch_load_b128 v[36:39], off, off offset:496
	v_add_f64 v[68:69], v[60:61], v[62:63]
	v_add_f64 v[40:41], v[40:41], v[26:27]
	scratch_load_b128 v[26:29], off, off offset:480
	ds_load_b128 v[60:63], v1 offset:1376
	s_waitcnt vmcnt(8) lgkmcnt(1)
	v_mul_f64 v[70:71], v[6:7], v[20:21]
	v_mul_f64 v[20:21], v[8:9], v[20:21]
	s_waitcnt lgkmcnt(0)
	v_mul_f64 v[44:45], v[60:61], v[58:59]
	v_mul_f64 v[58:59], v[62:63], v[58:59]
	v_add_f64 v[30:31], v[40:41], v[30:31]
	v_add_f64 v[40:41], v[68:69], v[66:67]
	v_fma_f64 v[66:67], v[8:9], v[18:19], v[70:71]
	v_fma_f64 v[68:69], v[6:7], v[18:19], -v[20:21]
	scratch_load_b128 v[18:21], off, off offset:512
	ds_load_b128 v[6:9], v1 offset:1392
	v_fma_f64 v[44:45], v[62:63], v[56:57], v[44:45]
	v_fma_f64 v[60:61], v[60:61], v[56:57], -v[58:59]
	scratch_load_b128 v[56:59], off, off offset:528
	v_add_f64 v[30:31], v[30:31], v[42:43]
	v_add_f64 v[64:65], v[40:41], v[64:65]
	ds_load_b128 v[40:43], v1 offset:1408
	s_waitcnt vmcnt(9) lgkmcnt(1)
	v_mul_f64 v[70:71], v[6:7], v[12:13]
	v_mul_f64 v[12:13], v[8:9], v[12:13]
	v_add_f64 v[30:31], v[30:31], v[68:69]
	v_add_f64 v[62:63], v[64:65], v[66:67]
	s_waitcnt vmcnt(8) lgkmcnt(0)
	v_mul_f64 v[64:65], v[40:41], v[54:55]
	v_mul_f64 v[54:55], v[42:43], v[54:55]
	v_fma_f64 v[66:67], v[8:9], v[10:11], v[70:71]
	v_fma_f64 v[68:69], v[6:7], v[10:11], -v[12:13]
	scratch_load_b128 v[10:13], off, off offset:544
	ds_load_b128 v[6:9], v1 offset:1424
	v_add_f64 v[30:31], v[30:31], v[60:61]
	v_add_f64 v[44:45], v[62:63], v[44:45]
	ds_load_b128 v[60:63], v1 offset:1440
	s_waitcnt vmcnt(8) lgkmcnt(1)
	v_mul_f64 v[70:71], v[6:7], v[48:49]
	v_mul_f64 v[48:49], v[8:9], v[48:49]
	v_fma_f64 v[64:65], v[42:43], v[52:53], v[64:65]
	v_fma_f64 v[52:53], v[40:41], v[52:53], -v[54:55]
	scratch_load_b128 v[40:43], off, off offset:560
	v_add_f64 v[30:31], v[30:31], v[68:69]
	v_add_f64 v[44:45], v[44:45], v[66:67]
	s_waitcnt vmcnt(8) lgkmcnt(0)
	v_mul_f64 v[66:67], v[60:61], v[16:17]
	v_mul_f64 v[16:17], v[62:63], v[16:17]
	v_fma_f64 v[68:69], v[8:9], v[46:47], v[70:71]
	v_fma_f64 v[48:49], v[6:7], v[46:47], -v[48:49]
	ds_load_b128 v[6:9], v1 offset:1456
	v_add_f64 v[30:31], v[30:31], v[52:53]
	ds_load_b128 v[52:55], v1 offset:1472
	v_add_f64 v[64:65], v[44:45], v[64:65]
	scratch_load_b128 v[44:47], off, off offset:576
	s_waitcnt vmcnt(8) lgkmcnt(1)
	v_mul_f64 v[70:71], v[6:7], v[34:35]
	v_mul_f64 v[34:35], v[8:9], v[34:35]
	v_fma_f64 v[62:63], v[62:63], v[14:15], v[66:67]
	v_fma_f64 v[60:61], v[60:61], v[14:15], -v[16:17]
	scratch_load_b128 v[14:17], off, off offset:592
	v_add_f64 v[30:31], v[30:31], v[48:49]
	v_add_f64 v[48:49], v[64:65], v[68:69]
	v_fma_f64 v[66:67], v[8:9], v[32:33], v[70:71]
	v_fma_f64 v[34:35], v[6:7], v[32:33], -v[34:35]
	ds_load_b128 v[6:9], v1 offset:1488
	s_waitcnt vmcnt(8) lgkmcnt(1)
	v_mul_f64 v[64:65], v[52:53], v[24:25]
	v_mul_f64 v[24:25], v[54:55], v[24:25]
	v_add_f64 v[68:69], v[30:31], v[60:61]
	scratch_load_b128 v[30:33], off, off offset:608
	v_add_f64 v[48:49], v[48:49], v[62:63]
	ds_load_b128 v[60:63], v1 offset:1504
	s_waitcnt vmcnt(7) lgkmcnt(1)
	v_mul_f64 v[70:71], v[6:7], v[28:29]
	v_mul_f64 v[28:29], v[8:9], v[28:29]
	v_fma_f64 v[54:55], v[54:55], v[22:23], v[64:65]
	v_fma_f64 v[52:53], v[52:53], v[22:23], -v[24:25]
	scratch_load_b128 v[22:25], off, off offset:624
	s_waitcnt lgkmcnt(0)
	v_mul_f64 v[64:65], v[60:61], v[38:39]
	v_mul_f64 v[38:39], v[62:63], v[38:39]
	v_add_f64 v[34:35], v[68:69], v[34:35]
	v_add_f64 v[48:49], v[48:49], v[66:67]
	v_fma_f64 v[66:67], v[8:9], v[26:27], v[70:71]
	v_fma_f64 v[68:69], v[6:7], v[26:27], -v[28:29]
	scratch_load_b128 v[26:29], off, off offset:640
	ds_load_b128 v[6:9], v1 offset:1520
	v_fma_f64 v[62:63], v[62:63], v[36:37], v[64:65]
	v_fma_f64 v[38:39], v[60:61], v[36:37], -v[38:39]
	v_add_f64 v[34:35], v[34:35], v[52:53]
	v_add_f64 v[48:49], v[48:49], v[54:55]
	ds_load_b128 v[52:55], v1 offset:1536
	s_waitcnt vmcnt(8) lgkmcnt(1)
	v_mul_f64 v[70:71], v[6:7], v[20:21]
	v_mul_f64 v[20:21], v[8:9], v[20:21]
	s_waitcnt vmcnt(7) lgkmcnt(0)
	v_mul_f64 v[64:65], v[52:53], v[58:59]
	v_add_f64 v[60:61], v[34:35], v[68:69]
	scratch_load_b128 v[34:37], off, off offset:656
	v_add_f64 v[48:49], v[48:49], v[66:67]
	v_mul_f64 v[66:67], v[54:55], v[58:59]
	v_fma_f64 v[68:69], v[8:9], v[18:19], v[70:71]
	v_fma_f64 v[70:71], v[6:7], v[18:19], -v[20:21]
	scratch_load_b128 v[18:21], off, off offset:672
	ds_load_b128 v[6:9], v1 offset:1552
	v_fma_f64 v[64:65], v[54:55], v[56:57], v[64:65]
	v_add_f64 v[38:39], v[60:61], v[38:39]
	ds_load_b128 v[58:61], v1 offset:1568
	v_add_f64 v[48:49], v[48:49], v[62:63]
	s_waitcnt vmcnt(8) lgkmcnt(1)
	v_mul_f64 v[62:63], v[6:7], v[12:13]
	v_mul_f64 v[12:13], v[8:9], v[12:13]
	v_fma_f64 v[56:57], v[52:53], v[56:57], -v[66:67]
	scratch_load_b128 v[52:55], off, off offset:688
	s_waitcnt vmcnt(8) lgkmcnt(0)
	v_mul_f64 v[66:67], v[58:59], v[42:43]
	v_mul_f64 v[42:43], v[60:61], v[42:43]
	v_add_f64 v[38:39], v[38:39], v[70:71]
	v_add_f64 v[48:49], v[48:49], v[68:69]
	v_fma_f64 v[68:69], v[8:9], v[10:11], v[62:63]
	v_fma_f64 v[70:71], v[6:7], v[10:11], -v[12:13]
	scratch_load_b128 v[10:13], off, off offset:704
	ds_load_b128 v[6:9], v1 offset:1584
	v_fma_f64 v[60:61], v[60:61], v[40:41], v[66:67]
	v_fma_f64 v[42:43], v[58:59], v[40:41], -v[42:43]
	v_add_f64 v[38:39], v[38:39], v[56:57]
	v_add_f64 v[48:49], v[48:49], v[64:65]
	ds_load_b128 v[62:65], v1 offset:1600
	s_waitcnt vmcnt(8) lgkmcnt(1)
	v_mul_f64 v[56:57], v[6:7], v[46:47]
	v_mul_f64 v[46:47], v[8:9], v[46:47]
	s_waitcnt vmcnt(7) lgkmcnt(0)
	v_mul_f64 v[66:67], v[62:63], v[16:17]
	v_mul_f64 v[16:17], v[64:65], v[16:17]
	v_add_f64 v[58:59], v[38:39], v[70:71]
	scratch_load_b128 v[38:41], off, off offset:720
	v_add_f64 v[48:49], v[48:49], v[68:69]
	v_fma_f64 v[56:57], v[8:9], v[44:45], v[56:57]
	v_fma_f64 v[68:69], v[6:7], v[44:45], -v[46:47]
	ds_load_b128 v[6:9], v1 offset:1616
	v_fma_f64 v[64:65], v[64:65], v[14:15], v[66:67]
	v_fma_f64 v[62:63], v[62:63], v[14:15], -v[16:17]
	scratch_load_b128 v[14:17], off, off offset:752
	v_add_f64 v[58:59], v[58:59], v[42:43]
	scratch_load_b128 v[42:45], off, off offset:736
	v_add_f64 v[60:61], v[48:49], v[60:61]
	ds_load_b128 v[46:49], v1 offset:1632
	s_waitcnt vmcnt(9) lgkmcnt(1)
	v_mul_f64 v[70:71], v[6:7], v[32:33]
	v_mul_f64 v[32:33], v[8:9], v[32:33]
	v_add_f64 v[58:59], v[58:59], v[68:69]
	v_add_f64 v[56:57], v[60:61], v[56:57]
	s_waitcnt vmcnt(8) lgkmcnt(0)
	v_mul_f64 v[60:61], v[46:47], v[24:25]
	v_mul_f64 v[24:25], v[48:49], v[24:25]
	v_fma_f64 v[66:67], v[8:9], v[30:31], v[70:71]
	v_fma_f64 v[68:69], v[6:7], v[30:31], -v[32:33]
	scratch_load_b128 v[30:33], off, off offset:768
	ds_load_b128 v[6:9], v1 offset:1648
	v_add_f64 v[62:63], v[58:59], v[62:63]
	v_add_f64 v[64:65], v[56:57], v[64:65]
	ds_load_b128 v[56:59], v1 offset:1664
	s_waitcnt vmcnt(8) lgkmcnt(1)
	v_mul_f64 v[70:71], v[6:7], v[28:29]
	v_mul_f64 v[28:29], v[8:9], v[28:29]
	v_fma_f64 v[48:49], v[48:49], v[22:23], v[60:61]
	v_fma_f64 v[46:47], v[46:47], v[22:23], -v[24:25]
	scratch_load_b128 v[22:25], off, off offset:784
	v_add_f64 v[60:61], v[62:63], v[68:69]
	v_add_f64 v[62:63], v[64:65], v[66:67]
	v_fma_f64 v[66:67], v[8:9], v[26:27], v[70:71]
	v_fma_f64 v[68:69], v[6:7], v[26:27], -v[28:29]
	scratch_load_b128 v[26:29], off, off offset:800
	ds_load_b128 v[6:9], v1 offset:1680
	s_waitcnt vmcnt(9) lgkmcnt(1)
	v_mul_f64 v[64:65], v[56:57], v[36:37]
	v_mul_f64 v[36:37], v[58:59], v[36:37]
	v_add_f64 v[60:61], v[60:61], v[46:47]
	v_add_f64 v[62:63], v[62:63], v[48:49]
	ds_load_b128 v[46:49], v1 offset:1696
	s_waitcnt vmcnt(8) lgkmcnt(1)
	v_mul_f64 v[70:71], v[6:7], v[20:21]
	v_mul_f64 v[20:21], v[8:9], v[20:21]
	v_fma_f64 v[58:59], v[58:59], v[34:35], v[64:65]
	v_fma_f64 v[56:57], v[56:57], v[34:35], -v[36:37]
	scratch_load_b128 v[34:37], off, off offset:816
	s_waitcnt vmcnt(8) lgkmcnt(0)
	v_mul_f64 v[64:65], v[46:47], v[54:55]
	v_add_f64 v[60:61], v[60:61], v[68:69]
	v_add_f64 v[62:63], v[62:63], v[66:67]
	v_mul_f64 v[66:67], v[48:49], v[54:55]
	v_fma_f64 v[68:69], v[8:9], v[18:19], v[70:71]
	v_fma_f64 v[70:71], v[6:7], v[18:19], -v[20:21]
	scratch_load_b128 v[18:21], off, off offset:832
	ds_load_b128 v[6:9], v1 offset:1712
	v_fma_f64 v[64:65], v[48:49], v[52:53], v[64:65]
	v_add_f64 v[60:61], v[60:61], v[56:57]
	ds_load_b128 v[54:57], v1 offset:1728
	v_add_f64 v[58:59], v[62:63], v[58:59]
	s_waitcnt vmcnt(8) lgkmcnt(1)
	v_mul_f64 v[62:63], v[6:7], v[12:13]
	v_mul_f64 v[12:13], v[8:9], v[12:13]
	v_fma_f64 v[52:53], v[46:47], v[52:53], -v[66:67]
	scratch_load_b128 v[46:49], off, off offset:848
	v_add_f64 v[60:61], v[60:61], v[70:71]
	v_add_f64 v[58:59], v[58:59], v[68:69]
	v_fma_f64 v[62:63], v[8:9], v[10:11], v[62:63]
	v_fma_f64 v[68:69], v[6:7], v[10:11], -v[12:13]
	scratch_load_b128 v[10:13], off, off offset:864
	ds_load_b128 v[6:9], v1 offset:1744
	s_waitcnt vmcnt(9) lgkmcnt(1)
	v_mul_f64 v[66:67], v[54:55], v[40:41]
	v_mul_f64 v[40:41], v[56:57], v[40:41]
	v_add_f64 v[52:53], v[60:61], v[52:53]
	v_add_f64 v[64:65], v[58:59], v[64:65]
	ds_load_b128 v[58:61], v1 offset:1760
	s_waitcnt vmcnt(7) lgkmcnt(1)
	v_mul_f64 v[70:71], v[6:7], v[44:45]
	v_mul_f64 v[44:45], v[8:9], v[44:45]
	v_fma_f64 v[56:57], v[56:57], v[38:39], v[66:67]
	v_fma_f64 v[54:55], v[54:55], v[38:39], -v[40:41]
	scratch_load_b128 v[38:41], off, off offset:880
	v_add_f64 v[52:53], v[52:53], v[68:69]
	v_add_f64 v[62:63], v[64:65], v[62:63]
	s_waitcnt lgkmcnt(0)
	v_mul_f64 v[64:65], v[58:59], v[16:17]
	v_mul_f64 v[16:17], v[60:61], v[16:17]
	v_fma_f64 v[66:67], v[8:9], v[42:43], v[70:71]
	v_fma_f64 v[68:69], v[6:7], v[42:43], -v[44:45]
	scratch_load_b128 v[42:45], off, off offset:896
	ds_load_b128 v[6:9], v1 offset:1776
	v_add_f64 v[70:71], v[52:53], v[54:55]
	ds_load_b128 v[52:55], v1 offset:1792
	v_add_f64 v[56:57], v[62:63], v[56:57]
	s_waitcnt vmcnt(8) lgkmcnt(1)
	v_mul_f64 v[62:63], v[6:7], v[32:33]
	v_mul_f64 v[32:33], v[8:9], v[32:33]
	v_fma_f64 v[60:61], v[60:61], v[14:15], v[64:65]
	v_fma_f64 v[58:59], v[58:59], v[14:15], -v[16:17]
	scratch_load_b128 v[14:17], off, off offset:912
	v_add_f64 v[64:65], v[70:71], v[68:69]
	v_add_f64 v[56:57], v[56:57], v[66:67]
	s_waitcnt vmcnt(8) lgkmcnt(0)
	v_mul_f64 v[66:67], v[52:53], v[24:25]
	v_mul_f64 v[24:25], v[54:55], v[24:25]
	v_fma_f64 v[62:63], v[8:9], v[30:31], v[62:63]
	v_fma_f64 v[68:69], v[6:7], v[30:31], -v[32:33]
	scratch_load_b128 v[30:33], off, off offset:928
	ds_load_b128 v[6:9], v1 offset:1808
	v_add_f64 v[64:65], v[64:65], v[58:59]
	v_add_f64 v[60:61], v[56:57], v[60:61]
	ds_load_b128 v[56:59], v1 offset:1824
	s_waitcnt vmcnt(8) lgkmcnt(1)
	v_mul_f64 v[70:71], v[6:7], v[28:29]
	v_mul_f64 v[28:29], v[8:9], v[28:29]
	v_fma_f64 v[54:55], v[54:55], v[22:23], v[66:67]
	v_fma_f64 v[52:53], v[52:53], v[22:23], -v[24:25]
	scratch_load_b128 v[22:25], off, off offset:944
	v_add_f64 v[64:65], v[64:65], v[68:69]
	v_add_f64 v[60:61], v[60:61], v[62:63]
	s_waitcnt vmcnt(8) lgkmcnt(0)
	v_mul_f64 v[62:63], v[56:57], v[36:37]
	v_mul_f64 v[36:37], v[58:59], v[36:37]
	v_fma_f64 v[66:67], v[8:9], v[26:27], v[70:71]
	v_fma_f64 v[68:69], v[6:7], v[26:27], -v[28:29]
	scratch_load_b128 v[26:29], off, off offset:960
	ds_load_b128 v[6:9], v1 offset:1840
	v_add_f64 v[64:65], v[64:65], v[52:53]
	v_add_f64 v[60:61], v[60:61], v[54:55]
	ds_load_b128 v[52:55], v1 offset:1856
	s_waitcnt vmcnt(8) lgkmcnt(1)
	v_mul_f64 v[70:71], v[6:7], v[20:21]
	v_mul_f64 v[20:21], v[8:9], v[20:21]
	v_fma_f64 v[58:59], v[58:59], v[34:35], v[62:63]
	v_fma_f64 v[56:57], v[56:57], v[34:35], -v[36:37]
	scratch_load_b128 v[34:37], off, off offset:976
	v_add_f64 v[62:63], v[64:65], v[68:69]
	s_waitcnt vmcnt(8) lgkmcnt(0)
	v_mul_f64 v[64:65], v[52:53], v[48:49]
	v_add_f64 v[60:61], v[60:61], v[66:67]
	v_mul_f64 v[48:49], v[54:55], v[48:49]
	v_fma_f64 v[66:67], v[8:9], v[18:19], v[70:71]
	v_fma_f64 v[68:69], v[6:7], v[18:19], -v[20:21]
	scratch_load_b128 v[18:21], off, off offset:992
	ds_load_b128 v[6:9], v1 offset:1872
	v_add_f64 v[62:63], v[62:63], v[56:57]
	v_fma_f64 v[54:55], v[54:55], v[46:47], v[64:65]
	v_add_f64 v[60:61], v[60:61], v[58:59]
	ds_load_b128 v[56:59], v1 offset:1888
	s_waitcnt vmcnt(8) lgkmcnt(1)
	v_mul_f64 v[70:71], v[6:7], v[12:13]
	v_mul_f64 v[12:13], v[8:9], v[12:13]
	v_fma_f64 v[46:47], v[52:53], v[46:47], -v[48:49]
	v_add_f64 v[48:49], v[62:63], v[68:69]
	v_add_f64 v[52:53], v[60:61], v[66:67]
	s_waitcnt vmcnt(7) lgkmcnt(0)
	v_mul_f64 v[60:61], v[56:57], v[40:41]
	v_mul_f64 v[40:41], v[58:59], v[40:41]
	v_fma_f64 v[62:63], v[8:9], v[10:11], v[70:71]
	v_fma_f64 v[64:65], v[6:7], v[10:11], -v[12:13]
	ds_load_b128 v[6:9], v1 offset:1904
	ds_load_b128 v[10:13], v1 offset:1920
	v_add_f64 v[46:47], v[48:49], v[46:47]
	v_add_f64 v[48:49], v[52:53], v[54:55]
	s_waitcnt vmcnt(6) lgkmcnt(1)
	v_mul_f64 v[52:53], v[6:7], v[44:45]
	v_mul_f64 v[44:45], v[8:9], v[44:45]
	v_fma_f64 v[54:55], v[58:59], v[38:39], v[60:61]
	v_fma_f64 v[38:39], v[56:57], v[38:39], -v[40:41]
	v_add_f64 v[40:41], v[46:47], v[64:65]
	v_add_f64 v[46:47], v[48:49], v[62:63]
	s_waitcnt vmcnt(5) lgkmcnt(0)
	v_mul_f64 v[48:49], v[10:11], v[16:17]
	v_mul_f64 v[16:17], v[12:13], v[16:17]
	v_fma_f64 v[52:53], v[8:9], v[42:43], v[52:53]
	v_fma_f64 v[42:43], v[6:7], v[42:43], -v[44:45]
	v_add_f64 v[44:45], v[40:41], v[38:39]
	ds_load_b128 v[6:9], v1 offset:1936
	ds_load_b128 v[38:41], v1 offset:1952
	v_add_f64 v[46:47], v[46:47], v[54:55]
	v_fma_f64 v[12:13], v[12:13], v[14:15], v[48:49]
	v_fma_f64 v[10:11], v[10:11], v[14:15], -v[16:17]
	s_waitcnt vmcnt(4) lgkmcnt(1)
	v_mul_f64 v[54:55], v[6:7], v[32:33]
	v_mul_f64 v[32:33], v[8:9], v[32:33]
	v_add_f64 v[14:15], v[44:45], v[42:43]
	s_waitcnt vmcnt(3) lgkmcnt(0)
	v_mul_f64 v[42:43], v[38:39], v[24:25]
	v_add_f64 v[16:17], v[46:47], v[52:53]
	v_mul_f64 v[24:25], v[40:41], v[24:25]
	v_fma_f64 v[44:45], v[8:9], v[30:31], v[54:55]
	v_fma_f64 v[30:31], v[6:7], v[30:31], -v[32:33]
	v_add_f64 v[14:15], v[14:15], v[10:11]
	v_fma_f64 v[40:41], v[40:41], v[22:23], v[42:43]
	v_add_f64 v[16:17], v[16:17], v[12:13]
	ds_load_b128 v[6:9], v1 offset:1968
	ds_load_b128 v[10:13], v1 offset:1984
	v_fma_f64 v[22:23], v[38:39], v[22:23], -v[24:25]
	s_waitcnt vmcnt(2) lgkmcnt(1)
	v_mul_f64 v[32:33], v[6:7], v[28:29]
	v_mul_f64 v[28:29], v[8:9], v[28:29]
	s_waitcnt vmcnt(1) lgkmcnt(0)
	v_mul_f64 v[24:25], v[10:11], v[36:37]
	v_add_f64 v[14:15], v[14:15], v[30:31]
	v_mul_f64 v[30:31], v[12:13], v[36:37]
	v_add_f64 v[16:17], v[16:17], v[44:45]
	v_fma_f64 v[32:33], v[8:9], v[26:27], v[32:33]
	v_fma_f64 v[26:27], v[6:7], v[26:27], -v[28:29]
	ds_load_b128 v[6:9], v1 offset:2000
	v_fma_f64 v[12:13], v[12:13], v[34:35], v[24:25]
	v_add_f64 v[14:15], v[14:15], v[22:23]
	v_fma_f64 v[10:11], v[10:11], v[34:35], -v[30:31]
	v_add_f64 v[16:17], v[16:17], v[40:41]
	s_waitcnt vmcnt(0) lgkmcnt(0)
	v_mul_f64 v[22:23], v[6:7], v[20:21]
	v_mul_f64 v[20:21], v[8:9], v[20:21]
	v_add_f64 v[14:15], v[14:15], v[26:27]
	s_delay_alu instid0(VALU_DEP_4) | instskip(NEXT) | instid1(VALU_DEP_4)
	v_add_f64 v[16:17], v[16:17], v[32:33]
	v_fma_f64 v[8:9], v[8:9], v[18:19], v[22:23]
	s_delay_alu instid0(VALU_DEP_4) | instskip(NEXT) | instid1(VALU_DEP_4)
	v_fma_f64 v[6:7], v[6:7], v[18:19], -v[20:21]
	v_add_f64 v[10:11], v[14:15], v[10:11]
	s_delay_alu instid0(VALU_DEP_4) | instskip(NEXT) | instid1(VALU_DEP_2)
	v_add_f64 v[12:13], v[16:17], v[12:13]
	v_add_f64 v[6:7], v[10:11], v[6:7]
	s_delay_alu instid0(VALU_DEP_2) | instskip(NEXT) | instid1(VALU_DEP_2)
	v_add_f64 v[8:9], v[12:13], v[8:9]
	v_add_f64 v[2:3], v[2:3], -v[6:7]
	s_delay_alu instid0(VALU_DEP_2)
	v_add_f64 v[4:5], v[4:5], -v[8:9]
	scratch_store_b128 off, v[2:5], off offset:80
	v_cmpx_lt_u32_e32 4, v176
	s_cbranch_execz .LBB62_395
; %bb.394:
	v_add_nc_u32_e64 v2, 0, 64
	v_mov_b32_e32 v3, v1
	v_mov_b32_e32 v4, v1
	scratch_load_b128 v[5:8], v2, off
	v_mov_b32_e32 v2, v1
	scratch_store_b128 off, v[1:4], off offset:64
	s_waitcnt vmcnt(0)
	ds_store_b128 v255, v[5:8]
.LBB62_395:
	s_or_b32 exec_lo, exec_lo, s2
	s_waitcnt lgkmcnt(0)
	s_waitcnt_vscnt null, 0x0
	s_barrier
	buffer_gl0_inv
	s_clause 0x8
	scratch_load_b128 v[34:37], off, off offset:80
	scratch_load_b128 v[38:41], off, off offset:96
	;; [unrolled: 1-line block ×9, first 2 shown]
	ds_load_b128 v[46:49], v1 offset:1088
	ds_load_b128 v[42:45], v1 offset:1104
	s_clause 0x1
	scratch_load_b128 v[2:5], off, off offset:64
	scratch_load_b128 v[52:55], off, off offset:224
	s_mov_b32 s2, exec_lo
	s_waitcnt vmcnt(10) lgkmcnt(1)
	v_mul_f64 v[56:57], v[48:49], v[36:37]
	v_mul_f64 v[36:37], v[46:47], v[36:37]
	s_waitcnt vmcnt(9) lgkmcnt(0)
	v_mul_f64 v[60:61], v[42:43], v[40:41]
	v_mul_f64 v[40:41], v[44:45], v[40:41]
	s_delay_alu instid0(VALU_DEP_4) | instskip(NEXT) | instid1(VALU_DEP_4)
	v_fma_f64 v[62:63], v[46:47], v[34:35], -v[56:57]
	v_fma_f64 v[64:65], v[48:49], v[34:35], v[36:37]
	ds_load_b128 v[34:37], v1 offset:1120
	ds_load_b128 v[56:59], v1 offset:1136
	scratch_load_b128 v[46:49], off, off offset:240
	v_fma_f64 v[44:45], v[44:45], v[38:39], v[60:61]
	v_fma_f64 v[42:43], v[42:43], v[38:39], -v[40:41]
	scratch_load_b128 v[38:41], off, off offset:256
	s_waitcnt vmcnt(10) lgkmcnt(1)
	v_mul_f64 v[66:67], v[34:35], v[32:33]
	v_mul_f64 v[32:33], v[36:37], v[32:33]
	s_waitcnt vmcnt(9) lgkmcnt(0)
	v_mul_f64 v[68:69], v[58:59], v[28:29]
	v_add_f64 v[60:61], v[62:63], 0
	v_add_f64 v[62:63], v[64:65], 0
	v_mul_f64 v[64:65], v[56:57], v[28:29]
	v_fma_f64 v[36:37], v[36:37], v[30:31], v[66:67]
	v_fma_f64 v[66:67], v[34:35], v[30:31], -v[32:33]
	ds_load_b128 v[28:31], v1 offset:1152
	scratch_load_b128 v[32:35], off, off offset:272
	v_fma_f64 v[56:57], v[56:57], v[26:27], -v[68:69]
	v_add_f64 v[60:61], v[60:61], v[42:43]
	v_add_f64 v[62:63], v[62:63], v[44:45]
	ds_load_b128 v[42:45], v1 offset:1168
	v_fma_f64 v[58:59], v[58:59], v[26:27], v[64:65]
	s_waitcnt vmcnt(9) lgkmcnt(1)
	v_mul_f64 v[70:71], v[28:29], v[24:25]
	v_mul_f64 v[72:73], v[30:31], v[24:25]
	scratch_load_b128 v[24:27], off, off offset:288
	s_waitcnt vmcnt(9) lgkmcnt(0)
	v_mul_f64 v[64:65], v[44:45], v[20:21]
	v_add_f64 v[60:61], v[60:61], v[66:67]
	v_add_f64 v[36:37], v[62:63], v[36:37]
	v_mul_f64 v[62:63], v[42:43], v[20:21]
	v_fma_f64 v[66:67], v[30:31], v[22:23], v[70:71]
	v_fma_f64 v[68:69], v[28:29], v[22:23], -v[72:73]
	ds_load_b128 v[20:23], v1 offset:1184
	scratch_load_b128 v[28:31], off, off offset:304
	v_fma_f64 v[42:43], v[42:43], v[18:19], -v[64:65]
	v_add_f64 v[60:61], v[60:61], v[56:57]
	v_add_f64 v[36:37], v[36:37], v[58:59]
	ds_load_b128 v[56:59], v1 offset:1200
	s_waitcnt vmcnt(9) lgkmcnt(1)
	v_mul_f64 v[70:71], v[20:21], v[16:17]
	v_mul_f64 v[72:73], v[22:23], v[16:17]
	v_fma_f64 v[44:45], v[44:45], v[18:19], v[62:63]
	scratch_load_b128 v[16:19], off, off offset:320
	s_waitcnt vmcnt(9) lgkmcnt(0)
	v_mul_f64 v[62:63], v[56:57], v[12:13]
	v_mul_f64 v[64:65], v[58:59], v[12:13]
	v_add_f64 v[60:61], v[60:61], v[68:69]
	v_add_f64 v[36:37], v[36:37], v[66:67]
	v_fma_f64 v[66:67], v[22:23], v[14:15], v[70:71]
	v_fma_f64 v[68:69], v[20:21], v[14:15], -v[72:73]
	ds_load_b128 v[12:15], v1 offset:1216
	scratch_load_b128 v[20:23], off, off offset:336
	v_fma_f64 v[58:59], v[58:59], v[10:11], v[62:63]
	v_fma_f64 v[56:57], v[56:57], v[10:11], -v[64:65]
	v_add_f64 v[60:61], v[60:61], v[42:43]
	v_add_f64 v[36:37], v[36:37], v[44:45]
	ds_load_b128 v[42:45], v1 offset:1232
	s_waitcnt vmcnt(9) lgkmcnt(1)
	v_mul_f64 v[70:71], v[12:13], v[8:9]
	v_mul_f64 v[72:73], v[14:15], v[8:9]
	scratch_load_b128 v[8:11], off, off offset:352
	s_waitcnt vmcnt(8) lgkmcnt(0)
	v_mul_f64 v[62:63], v[42:43], v[54:55]
	v_mul_f64 v[64:65], v[44:45], v[54:55]
	v_add_f64 v[60:61], v[60:61], v[68:69]
	v_add_f64 v[36:37], v[36:37], v[66:67]
	v_fma_f64 v[66:67], v[14:15], v[6:7], v[70:71]
	v_fma_f64 v[6:7], v[12:13], v[6:7], -v[72:73]
	ds_load_b128 v[12:15], v1 offset:1248
	v_fma_f64 v[62:63], v[44:45], v[52:53], v[62:63]
	v_fma_f64 v[52:53], v[42:43], v[52:53], -v[64:65]
	scratch_load_b128 v[42:45], off, off offset:384
	v_add_f64 v[68:69], v[60:61], v[56:57]
	v_add_f64 v[36:37], v[36:37], v[58:59]
	ds_load_b128 v[58:61], v1 offset:1264
	scratch_load_b128 v[54:57], off, off offset:368
	s_waitcnt vmcnt(9) lgkmcnt(1)
	v_mul_f64 v[70:71], v[12:13], v[48:49]
	v_mul_f64 v[48:49], v[14:15], v[48:49]
	v_add_f64 v[6:7], v[68:69], v[6:7]
	v_add_f64 v[36:37], v[36:37], v[66:67]
	s_waitcnt vmcnt(8) lgkmcnt(0)
	v_mul_f64 v[66:67], v[58:59], v[40:41]
	v_mul_f64 v[40:41], v[60:61], v[40:41]
	v_fma_f64 v[68:69], v[14:15], v[46:47], v[70:71]
	v_fma_f64 v[70:71], v[12:13], v[46:47], -v[48:49]
	ds_load_b128 v[12:15], v1 offset:1280
	scratch_load_b128 v[46:49], off, off offset:400
	v_add_f64 v[6:7], v[6:7], v[52:53]
	v_add_f64 v[36:37], v[36:37], v[62:63]
	ds_load_b128 v[62:65], v1 offset:1296
	v_fma_f64 v[60:61], v[60:61], v[38:39], v[66:67]
	s_waitcnt vmcnt(8) lgkmcnt(1)
	v_mul_f64 v[52:53], v[12:13], v[34:35]
	v_mul_f64 v[72:73], v[14:15], v[34:35]
	v_fma_f64 v[38:39], v[58:59], v[38:39], -v[40:41]
	s_waitcnt vmcnt(7) lgkmcnt(0)
	v_mul_f64 v[66:67], v[62:63], v[26:27]
	v_mul_f64 v[26:27], v[64:65], v[26:27]
	v_add_f64 v[6:7], v[6:7], v[70:71]
	v_add_f64 v[40:41], v[36:37], v[68:69]
	scratch_load_b128 v[34:37], off, off offset:416
	v_fma_f64 v[52:53], v[14:15], v[32:33], v[52:53]
	v_fma_f64 v[32:33], v[12:13], v[32:33], -v[72:73]
	ds_load_b128 v[12:15], v1 offset:1312
	v_fma_f64 v[64:65], v[64:65], v[24:25], v[66:67]
	v_fma_f64 v[62:63], v[62:63], v[24:25], -v[26:27]
	scratch_load_b128 v[24:27], off, off offset:448
	v_add_f64 v[6:7], v[6:7], v[38:39]
	v_add_f64 v[68:69], v[40:41], v[60:61]
	ds_load_b128 v[58:61], v1 offset:1328
	scratch_load_b128 v[38:41], off, off offset:432
	s_waitcnt vmcnt(9) lgkmcnt(1)
	v_mul_f64 v[70:71], v[12:13], v[30:31]
	v_mul_f64 v[30:31], v[14:15], v[30:31]
	v_add_f64 v[6:7], v[6:7], v[32:33]
	v_add_f64 v[32:33], v[68:69], v[52:53]
	s_waitcnt vmcnt(8) lgkmcnt(0)
	v_mul_f64 v[52:53], v[58:59], v[18:19]
	v_mul_f64 v[18:19], v[60:61], v[18:19]
	v_fma_f64 v[66:67], v[14:15], v[28:29], v[70:71]
	v_fma_f64 v[68:69], v[12:13], v[28:29], -v[30:31]
	ds_load_b128 v[12:15], v1 offset:1344
	scratch_load_b128 v[28:31], off, off offset:464
	v_add_f64 v[6:7], v[6:7], v[62:63]
	v_add_f64 v[32:33], v[32:33], v[64:65]
	ds_load_b128 v[62:65], v1 offset:1360
	s_waitcnt vmcnt(8) lgkmcnt(1)
	v_mul_f64 v[70:71], v[12:13], v[22:23]
	v_mul_f64 v[22:23], v[14:15], v[22:23]
	v_fma_f64 v[52:53], v[60:61], v[16:17], v[52:53]
	v_fma_f64 v[58:59], v[58:59], v[16:17], -v[18:19]
	scratch_load_b128 v[16:19], off, off offset:480
	v_add_f64 v[6:7], v[6:7], v[68:69]
	v_add_f64 v[32:33], v[32:33], v[66:67]
	s_waitcnt vmcnt(8) lgkmcnt(0)
	v_mul_f64 v[66:67], v[62:63], v[10:11]
	v_mul_f64 v[68:69], v[64:65], v[10:11]
	v_fma_f64 v[14:15], v[14:15], v[20:21], v[70:71]
	v_fma_f64 v[70:71], v[12:13], v[20:21], -v[22:23]
	ds_load_b128 v[10:13], v1 offset:1376
	scratch_load_b128 v[20:23], off, off offset:496
	v_add_f64 v[6:7], v[6:7], v[58:59]
	v_add_f64 v[32:33], v[32:33], v[52:53]
	ds_load_b128 v[58:61], v1 offset:1392
	v_fma_f64 v[64:65], v[64:65], v[8:9], v[66:67]
	v_fma_f64 v[62:63], v[62:63], v[8:9], -v[68:69]
	s_waitcnt vmcnt(7) lgkmcnt(1)
	v_mul_f64 v[52:53], v[10:11], v[56:57]
	v_mul_f64 v[56:57], v[12:13], v[56:57]
	v_add_f64 v[66:67], v[6:7], v[70:71]
	scratch_load_b128 v[6:9], off, off offset:512
	v_add_f64 v[14:15], v[32:33], v[14:15]
	s_waitcnt lgkmcnt(0)
	v_mul_f64 v[32:33], v[58:59], v[44:45]
	v_mul_f64 v[44:45], v[60:61], v[44:45]
	v_fma_f64 v[68:69], v[12:13], v[54:55], v[52:53]
	v_fma_f64 v[56:57], v[10:11], v[54:55], -v[56:57]
	ds_load_b128 v[10:13], v1 offset:1408
	scratch_load_b128 v[52:55], off, off offset:528
	v_add_f64 v[66:67], v[66:67], v[62:63]
	v_add_f64 v[14:15], v[14:15], v[64:65]
	ds_load_b128 v[62:65], v1 offset:1424
	s_waitcnt vmcnt(8) lgkmcnt(1)
	v_mul_f64 v[70:71], v[10:11], v[48:49]
	v_mul_f64 v[48:49], v[12:13], v[48:49]
	v_fma_f64 v[32:33], v[60:61], v[42:43], v[32:33]
	v_fma_f64 v[58:59], v[58:59], v[42:43], -v[44:45]
	scratch_load_b128 v[42:45], off, off offset:544
	v_add_f64 v[56:57], v[66:67], v[56:57]
	v_add_f64 v[14:15], v[14:15], v[68:69]
	v_fma_f64 v[66:67], v[12:13], v[46:47], v[70:71]
	v_fma_f64 v[68:69], v[10:11], v[46:47], -v[48:49]
	ds_load_b128 v[10:13], v1 offset:1440
	scratch_load_b128 v[46:49], off, off offset:560
	s_waitcnt vmcnt(9) lgkmcnt(1)
	v_mul_f64 v[60:61], v[62:63], v[36:37]
	v_mul_f64 v[36:37], v[64:65], v[36:37]
	v_add_f64 v[70:71], v[56:57], v[58:59]
	ds_load_b128 v[56:59], v1 offset:1456
	v_add_f64 v[14:15], v[14:15], v[32:33]
	v_fma_f64 v[60:61], v[64:65], v[34:35], v[60:61]
	s_waitcnt vmcnt(7) lgkmcnt(1)
	v_mul_f64 v[72:73], v[10:11], v[40:41]
	v_mul_f64 v[40:41], v[12:13], v[40:41]
	v_fma_f64 v[36:37], v[62:63], v[34:35], -v[36:37]
	scratch_load_b128 v[32:35], off, off offset:576
	s_waitcnt lgkmcnt(0)
	v_mul_f64 v[64:65], v[56:57], v[26:27]
	v_mul_f64 v[26:27], v[58:59], v[26:27]
	v_add_f64 v[62:63], v[70:71], v[68:69]
	v_add_f64 v[14:15], v[14:15], v[66:67]
	v_fma_f64 v[66:67], v[12:13], v[38:39], v[72:73]
	v_fma_f64 v[40:41], v[10:11], v[38:39], -v[40:41]
	ds_load_b128 v[10:13], v1 offset:1472
	v_fma_f64 v[58:59], v[58:59], v[24:25], v[64:65]
	v_fma_f64 v[56:57], v[56:57], v[24:25], -v[26:27]
	scratch_load_b128 v[24:27], off, off offset:608
	v_add_f64 v[68:69], v[62:63], v[36:37]
	scratch_load_b128 v[36:39], off, off offset:592
	v_add_f64 v[14:15], v[14:15], v[60:61]
	ds_load_b128 v[60:63], v1 offset:1488
	s_waitcnt vmcnt(9) lgkmcnt(1)
	v_mul_f64 v[70:71], v[10:11], v[30:31]
	v_mul_f64 v[30:31], v[12:13], v[30:31]
	s_waitcnt vmcnt(8) lgkmcnt(0)
	v_mul_f64 v[64:65], v[60:61], v[18:19]
	v_mul_f64 v[18:19], v[62:63], v[18:19]
	v_add_f64 v[40:41], v[68:69], v[40:41]
	v_add_f64 v[14:15], v[14:15], v[66:67]
	v_fma_f64 v[66:67], v[12:13], v[28:29], v[70:71]
	v_fma_f64 v[68:69], v[10:11], v[28:29], -v[30:31]
	ds_load_b128 v[10:13], v1 offset:1504
	scratch_load_b128 v[28:31], off, off offset:624
	v_fma_f64 v[62:63], v[62:63], v[16:17], v[64:65]
	v_fma_f64 v[18:19], v[60:61], v[16:17], -v[18:19]
	v_add_f64 v[40:41], v[40:41], v[56:57]
	v_add_f64 v[14:15], v[14:15], v[58:59]
	ds_load_b128 v[56:59], v1 offset:1520
	s_waitcnt vmcnt(8) lgkmcnt(1)
	v_mul_f64 v[70:71], v[10:11], v[22:23]
	v_mul_f64 v[22:23], v[12:13], v[22:23]
	v_add_f64 v[40:41], v[40:41], v[68:69]
	v_add_f64 v[60:61], v[14:15], v[66:67]
	scratch_load_b128 v[14:17], off, off offset:640
	v_fma_f64 v[12:13], v[12:13], v[20:21], v[70:71]
	v_fma_f64 v[22:23], v[10:11], v[20:21], -v[22:23]
	s_waitcnt vmcnt(8) lgkmcnt(0)
	v_mul_f64 v[64:65], v[56:57], v[8:9]
	v_mul_f64 v[66:67], v[58:59], v[8:9]
	ds_load_b128 v[8:11], v1 offset:1536
	v_add_f64 v[40:41], v[40:41], v[18:19]
	scratch_load_b128 v[18:21], off, off offset:656
	v_add_f64 v[68:69], v[60:61], v[62:63]
	ds_load_b128 v[60:63], v1 offset:1552
	s_waitcnt vmcnt(8) lgkmcnt(1)
	v_mul_f64 v[70:71], v[8:9], v[54:55]
	v_mul_f64 v[72:73], v[10:11], v[54:55]
	v_fma_f64 v[58:59], v[58:59], v[6:7], v[64:65]
	v_fma_f64 v[6:7], v[56:57], v[6:7], -v[66:67]
	scratch_load_b128 v[54:57], off, off offset:672
	ds_load_b128 v[64:67], v1 offset:1584
	v_add_f64 v[22:23], v[40:41], v[22:23]
	s_waitcnt vmcnt(8) lgkmcnt(1)
	v_mul_f64 v[40:41], v[60:61], v[44:45]
	v_add_f64 v[12:13], v[68:69], v[12:13]
	v_mul_f64 v[44:45], v[62:63], v[44:45]
	v_fma_f64 v[68:69], v[10:11], v[52:53], v[70:71]
	v_fma_f64 v[52:53], v[8:9], v[52:53], -v[72:73]
	v_add_f64 v[22:23], v[22:23], v[6:7]
	ds_load_b128 v[6:9], v1 offset:1568
	v_add_f64 v[58:59], v[12:13], v[58:59]
	scratch_load_b128 v[10:13], off, off offset:688
	v_fma_f64 v[62:63], v[62:63], v[42:43], v[40:41]
	v_fma_f64 v[44:45], v[60:61], v[42:43], -v[44:45]
	scratch_load_b128 v[40:43], off, off offset:704
	s_waitcnt vmcnt(9) lgkmcnt(0)
	v_mul_f64 v[70:71], v[6:7], v[48:49]
	v_mul_f64 v[48:49], v[8:9], v[48:49]
	v_add_f64 v[22:23], v[22:23], v[52:53]
	v_add_f64 v[52:53], v[58:59], v[68:69]
	s_waitcnt vmcnt(8)
	v_mul_f64 v[68:69], v[64:65], v[34:35]
	v_mul_f64 v[34:35], v[66:67], v[34:35]
	ds_load_b128 v[58:61], v1 offset:1616
	v_fma_f64 v[70:71], v[8:9], v[46:47], v[70:71]
	v_fma_f64 v[48:49], v[6:7], v[46:47], -v[48:49]
	ds_load_b128 v[6:9], v1 offset:1600
	v_add_f64 v[22:23], v[22:23], v[44:45]
	scratch_load_b128 v[44:47], off, off offset:720
	v_add_f64 v[52:53], v[52:53], v[62:63]
	v_fma_f64 v[66:67], v[66:67], v[32:33], v[68:69]
	v_fma_f64 v[64:65], v[64:65], v[32:33], -v[34:35]
	scratch_load_b128 v[32:35], off, off offset:736
	s_waitcnt vmcnt(8) lgkmcnt(0)
	v_mul_f64 v[62:63], v[6:7], v[38:39]
	v_mul_f64 v[38:39], v[8:9], v[38:39]
	v_add_f64 v[22:23], v[22:23], v[48:49]
	v_add_f64 v[48:49], v[52:53], v[70:71]
	v_mul_f64 v[52:53], v[58:59], v[26:27]
	v_mul_f64 v[26:27], v[60:61], v[26:27]
	v_fma_f64 v[68:69], v[8:9], v[36:37], v[62:63]
	v_fma_f64 v[70:71], v[6:7], v[36:37], -v[38:39]
	ds_load_b128 v[6:9], v1 offset:1632
	scratch_load_b128 v[36:39], off, off offset:752
	v_add_f64 v[22:23], v[22:23], v[64:65]
	ds_load_b128 v[62:65], v1 offset:1648
	v_add_f64 v[48:49], v[48:49], v[66:67]
	s_waitcnt vmcnt(8) lgkmcnt(1)
	v_mul_f64 v[66:67], v[6:7], v[30:31]
	v_mul_f64 v[30:31], v[8:9], v[30:31]
	v_fma_f64 v[52:53], v[60:61], v[24:25], v[52:53]
	v_fma_f64 v[26:27], v[58:59], v[24:25], -v[26:27]
	v_add_f64 v[58:59], v[22:23], v[70:71]
	scratch_load_b128 v[22:25], off, off offset:768
	v_add_f64 v[48:49], v[48:49], v[68:69]
	v_fma_f64 v[66:67], v[8:9], v[28:29], v[66:67]
	v_fma_f64 v[30:31], v[6:7], v[28:29], -v[30:31]
	ds_load_b128 v[6:9], v1 offset:1664
	s_waitcnt vmcnt(8) lgkmcnt(1)
	v_mul_f64 v[68:69], v[62:63], v[16:17]
	v_mul_f64 v[16:17], v[64:65], v[16:17]
	v_add_f64 v[70:71], v[58:59], v[26:27]
	ds_load_b128 v[58:61], v1 offset:1680
	v_add_f64 v[48:49], v[48:49], v[52:53]
	scratch_load_b128 v[26:29], off, off offset:784
	s_waitcnt vmcnt(8) lgkmcnt(1)
	v_mul_f64 v[52:53], v[6:7], v[20:21]
	v_mul_f64 v[20:21], v[8:9], v[20:21]
	v_fma_f64 v[64:65], v[64:65], v[14:15], v[68:69]
	v_fma_f64 v[62:63], v[62:63], v[14:15], -v[16:17]
	scratch_load_b128 v[14:17], off, off offset:800
	v_add_f64 v[30:31], v[70:71], v[30:31]
	v_add_f64 v[48:49], v[48:49], v[66:67]
	s_waitcnt vmcnt(8) lgkmcnt(0)
	v_mul_f64 v[66:67], v[58:59], v[56:57]
	v_mul_f64 v[56:57], v[60:61], v[56:57]
	v_fma_f64 v[52:53], v[8:9], v[18:19], v[52:53]
	v_fma_f64 v[68:69], v[6:7], v[18:19], -v[20:21]
	ds_load_b128 v[6:9], v1 offset:1696
	scratch_load_b128 v[18:21], off, off offset:816
	v_add_f64 v[30:31], v[30:31], v[62:63]
	v_add_f64 v[48:49], v[48:49], v[64:65]
	ds_load_b128 v[62:65], v1 offset:1712
	v_fma_f64 v[60:61], v[60:61], v[54:55], v[66:67]
	v_fma_f64 v[56:57], v[58:59], v[54:55], -v[56:57]
	s_waitcnt vmcnt(8) lgkmcnt(1)
	v_mul_f64 v[70:71], v[6:7], v[12:13]
	v_mul_f64 v[12:13], v[8:9], v[12:13]
	s_waitcnt vmcnt(7) lgkmcnt(0)
	v_mul_f64 v[66:67], v[62:63], v[42:43]
	v_mul_f64 v[42:43], v[64:65], v[42:43]
	v_add_f64 v[30:31], v[30:31], v[68:69]
	v_add_f64 v[48:49], v[48:49], v[52:53]
	scratch_load_b128 v[52:55], off, off offset:832
	v_fma_f64 v[68:69], v[8:9], v[10:11], v[70:71]
	v_fma_f64 v[70:71], v[6:7], v[10:11], -v[12:13]
	ds_load_b128 v[6:9], v1 offset:1728
	scratch_load_b128 v[10:13], off, off offset:848
	v_fma_f64 v[64:65], v[64:65], v[40:41], v[66:67]
	v_fma_f64 v[62:63], v[62:63], v[40:41], -v[42:43]
	scratch_load_b128 v[40:43], off, off offset:864
	v_add_f64 v[30:31], v[30:31], v[56:57]
	ds_load_b128 v[56:59], v1 offset:1744
	v_add_f64 v[48:49], v[48:49], v[60:61]
	s_waitcnt vmcnt(9) lgkmcnt(1)
	v_mul_f64 v[60:61], v[6:7], v[46:47]
	v_mul_f64 v[46:47], v[8:9], v[46:47]
	s_waitcnt vmcnt(8) lgkmcnt(0)
	v_mul_f64 v[66:67], v[56:57], v[34:35]
	v_mul_f64 v[34:35], v[58:59], v[34:35]
	v_add_f64 v[30:31], v[30:31], v[70:71]
	v_add_f64 v[48:49], v[48:49], v[68:69]
	v_fma_f64 v[68:69], v[8:9], v[44:45], v[60:61]
	v_fma_f64 v[70:71], v[6:7], v[44:45], -v[46:47]
	ds_load_b128 v[6:9], v1 offset:1760
	scratch_load_b128 v[44:47], off, off offset:880
	v_fma_f64 v[58:59], v[58:59], v[32:33], v[66:67]
	v_fma_f64 v[34:35], v[56:57], v[32:33], -v[34:35]
	v_add_f64 v[30:31], v[30:31], v[62:63]
	ds_load_b128 v[60:63], v1 offset:1776
	v_add_f64 v[48:49], v[48:49], v[64:65]
	s_waitcnt vmcnt(8) lgkmcnt(1)
	v_mul_f64 v[64:65], v[6:7], v[38:39]
	v_mul_f64 v[38:39], v[8:9], v[38:39]
	v_add_f64 v[56:57], v[30:31], v[70:71]
	scratch_load_b128 v[30:33], off, off offset:896
	v_add_f64 v[48:49], v[48:49], v[68:69]
	v_fma_f64 v[64:65], v[8:9], v[36:37], v[64:65]
	v_fma_f64 v[38:39], v[6:7], v[36:37], -v[38:39]
	ds_load_b128 v[6:9], v1 offset:1792
	s_waitcnt vmcnt(8) lgkmcnt(1)
	v_mul_f64 v[66:67], v[60:61], v[24:25]
	v_mul_f64 v[24:25], v[62:63], v[24:25]
	v_add_f64 v[68:69], v[56:57], v[34:35]
	scratch_load_b128 v[34:37], off, off offset:912
	v_add_f64 v[48:49], v[48:49], v[58:59]
	ds_load_b128 v[56:59], v1 offset:1808
	v_fma_f64 v[62:63], v[62:63], v[22:23], v[66:67]
	v_fma_f64 v[60:61], v[60:61], v[22:23], -v[24:25]
	scratch_load_b128 v[22:25], off, off offset:928
	s_waitcnt vmcnt(9) lgkmcnt(1)
	v_mul_f64 v[70:71], v[6:7], v[28:29]
	v_mul_f64 v[28:29], v[8:9], v[28:29]
	v_add_f64 v[38:39], v[68:69], v[38:39]
	v_add_f64 v[48:49], v[48:49], v[64:65]
	s_waitcnt vmcnt(8) lgkmcnt(0)
	v_mul_f64 v[64:65], v[56:57], v[16:17]
	v_mul_f64 v[16:17], v[58:59], v[16:17]
	v_fma_f64 v[66:67], v[8:9], v[26:27], v[70:71]
	v_fma_f64 v[68:69], v[6:7], v[26:27], -v[28:29]
	ds_load_b128 v[6:9], v1 offset:1824
	scratch_load_b128 v[26:29], off, off offset:944
	v_add_f64 v[38:39], v[38:39], v[60:61]
	v_add_f64 v[48:49], v[48:49], v[62:63]
	ds_load_b128 v[60:63], v1 offset:1840
	s_waitcnt vmcnt(8) lgkmcnt(1)
	v_mul_f64 v[70:71], v[6:7], v[20:21]
	v_mul_f64 v[20:21], v[8:9], v[20:21]
	v_fma_f64 v[58:59], v[58:59], v[14:15], v[64:65]
	v_fma_f64 v[56:57], v[56:57], v[14:15], -v[16:17]
	scratch_load_b128 v[14:17], off, off offset:960
	v_add_f64 v[38:39], v[38:39], v[68:69]
	v_add_f64 v[48:49], v[48:49], v[66:67]
	v_fma_f64 v[68:69], v[8:9], v[18:19], v[70:71]
	v_fma_f64 v[70:71], v[6:7], v[18:19], -v[20:21]
	ds_load_b128 v[6:9], v1 offset:1856
	scratch_load_b128 v[18:21], off, off offset:976
	s_waitcnt vmcnt(9) lgkmcnt(1)
	v_mul_f64 v[64:65], v[60:61], v[54:55]
	v_mul_f64 v[66:67], v[62:63], v[54:55]
	v_add_f64 v[38:39], v[38:39], v[56:57]
	ds_load_b128 v[54:57], v1 offset:1872
	v_add_f64 v[48:49], v[48:49], v[58:59]
	s_waitcnt vmcnt(8) lgkmcnt(1)
	v_mul_f64 v[72:73], v[6:7], v[12:13]
	v_mul_f64 v[12:13], v[8:9], v[12:13]
	v_fma_f64 v[62:63], v[62:63], v[52:53], v[64:65]
	v_fma_f64 v[52:53], v[60:61], v[52:53], -v[66:67]
	scratch_load_b128 v[58:61], off, off offset:992
	s_waitcnt vmcnt(8) lgkmcnt(0)
	v_mul_f64 v[64:65], v[54:55], v[42:43]
	v_mul_f64 v[42:43], v[56:57], v[42:43]
	v_add_f64 v[38:39], v[38:39], v[70:71]
	v_add_f64 v[48:49], v[48:49], v[68:69]
	v_fma_f64 v[66:67], v[8:9], v[10:11], v[72:73]
	v_fma_f64 v[68:69], v[6:7], v[10:11], -v[12:13]
	ds_load_b128 v[6:9], v1 offset:1888
	ds_load_b128 v[10:13], v1 offset:1904
	v_fma_f64 v[56:57], v[56:57], v[40:41], v[64:65]
	v_fma_f64 v[40:41], v[54:55], v[40:41], -v[42:43]
	v_add_f64 v[38:39], v[38:39], v[52:53]
	s_waitcnt vmcnt(7) lgkmcnt(1)
	v_mul_f64 v[52:53], v[6:7], v[46:47]
	v_add_f64 v[48:49], v[48:49], v[62:63]
	v_mul_f64 v[46:47], v[8:9], v[46:47]
	s_delay_alu instid0(VALU_DEP_4) | instskip(NEXT) | instid1(VALU_DEP_4)
	v_add_f64 v[38:39], v[38:39], v[68:69]
	v_fma_f64 v[52:53], v[8:9], v[44:45], v[52:53]
	s_delay_alu instid0(VALU_DEP_4) | instskip(NEXT) | instid1(VALU_DEP_4)
	v_add_f64 v[42:43], v[48:49], v[66:67]
	v_fma_f64 v[44:45], v[6:7], v[44:45], -v[46:47]
	s_waitcnt vmcnt(6) lgkmcnt(0)
	v_mul_f64 v[48:49], v[10:11], v[32:33]
	v_mul_f64 v[32:33], v[12:13], v[32:33]
	v_add_f64 v[46:47], v[38:39], v[40:41]
	ds_load_b128 v[6:9], v1 offset:1920
	ds_load_b128 v[38:41], v1 offset:1936
	v_add_f64 v[42:43], v[42:43], v[56:57]
	v_fma_f64 v[12:13], v[12:13], v[30:31], v[48:49]
	v_fma_f64 v[10:11], v[10:11], v[30:31], -v[32:33]
	s_waitcnt vmcnt(5) lgkmcnt(1)
	v_mul_f64 v[54:55], v[6:7], v[36:37]
	v_mul_f64 v[36:37], v[8:9], v[36:37]
	v_add_f64 v[30:31], v[46:47], v[44:45]
	v_add_f64 v[32:33], v[42:43], v[52:53]
	s_waitcnt vmcnt(4) lgkmcnt(0)
	v_mul_f64 v[42:43], v[38:39], v[24:25]
	v_mul_f64 v[24:25], v[40:41], v[24:25]
	v_fma_f64 v[44:45], v[8:9], v[34:35], v[54:55]
	v_fma_f64 v[34:35], v[6:7], v[34:35], -v[36:37]
	v_add_f64 v[30:31], v[30:31], v[10:11]
	v_add_f64 v[32:33], v[32:33], v[12:13]
	ds_load_b128 v[6:9], v1 offset:1952
	ds_load_b128 v[10:13], v1 offset:1968
	v_fma_f64 v[40:41], v[40:41], v[22:23], v[42:43]
	v_fma_f64 v[22:23], v[38:39], v[22:23], -v[24:25]
	s_waitcnt vmcnt(3) lgkmcnt(1)
	v_mul_f64 v[36:37], v[6:7], v[28:29]
	v_mul_f64 v[28:29], v[8:9], v[28:29]
	v_add_f64 v[24:25], v[30:31], v[34:35]
	v_add_f64 v[30:31], v[32:33], v[44:45]
	s_waitcnt vmcnt(2) lgkmcnt(0)
	v_mul_f64 v[32:33], v[10:11], v[16:17]
	v_mul_f64 v[16:17], v[12:13], v[16:17]
	v_fma_f64 v[34:35], v[8:9], v[26:27], v[36:37]
	v_fma_f64 v[26:27], v[6:7], v[26:27], -v[28:29]
	v_add_f64 v[28:29], v[24:25], v[22:23]
	ds_load_b128 v[6:9], v1 offset:1984
	ds_load_b128 v[22:25], v1 offset:2000
	v_add_f64 v[30:31], v[30:31], v[40:41]
	v_fma_f64 v[12:13], v[12:13], v[14:15], v[32:33]
	v_fma_f64 v[10:11], v[10:11], v[14:15], -v[16:17]
	s_waitcnt vmcnt(1) lgkmcnt(1)
	v_mul_f64 v[36:37], v[6:7], v[20:21]
	v_mul_f64 v[20:21], v[8:9], v[20:21]
	v_add_f64 v[14:15], v[28:29], v[26:27]
	s_waitcnt vmcnt(0) lgkmcnt(0)
	v_mul_f64 v[26:27], v[22:23], v[60:61]
	v_add_f64 v[16:17], v[30:31], v[34:35]
	v_mul_f64 v[28:29], v[24:25], v[60:61]
	v_fma_f64 v[8:9], v[8:9], v[18:19], v[36:37]
	v_fma_f64 v[6:7], v[6:7], v[18:19], -v[20:21]
	v_add_f64 v[10:11], v[14:15], v[10:11]
	v_fma_f64 v[14:15], v[24:25], v[58:59], v[26:27]
	v_add_f64 v[12:13], v[16:17], v[12:13]
	v_fma_f64 v[16:17], v[22:23], v[58:59], -v[28:29]
	s_delay_alu instid0(VALU_DEP_4) | instskip(NEXT) | instid1(VALU_DEP_3)
	v_add_f64 v[6:7], v[10:11], v[6:7]
	v_add_f64 v[8:9], v[12:13], v[8:9]
	s_delay_alu instid0(VALU_DEP_2) | instskip(NEXT) | instid1(VALU_DEP_2)
	v_add_f64 v[6:7], v[6:7], v[16:17]
	v_add_f64 v[8:9], v[8:9], v[14:15]
	s_delay_alu instid0(VALU_DEP_2) | instskip(NEXT) | instid1(VALU_DEP_2)
	v_add_f64 v[1:2], v[2:3], -v[6:7]
	v_add_f64 v[3:4], v[4:5], -v[8:9]
	scratch_store_b128 off, v[1:4], off offset:64
	v_cmpx_lt_u32_e32 3, v176
	s_cbranch_execz .LBB62_397
; %bb.396:
	v_add_nc_u32_e64 v1, 0, 48
	v_mov_b32_e32 v5, 0
	scratch_load_b128 v[1:4], v1, off
	v_mov_b32_e32 v6, v5
	v_mov_b32_e32 v7, v5
	;; [unrolled: 1-line block ×3, first 2 shown]
	scratch_store_b128 off, v[5:8], off offset:48
	s_waitcnt vmcnt(0)
	ds_store_b128 v255, v[1:4]
.LBB62_397:
	s_or_b32 exec_lo, exec_lo, s2
	s_waitcnt lgkmcnt(0)
	s_waitcnt_vscnt null, 0x0
	s_barrier
	buffer_gl0_inv
	s_clause 0x7
	scratch_load_b128 v[34:37], off, off offset:64
	scratch_load_b128 v[38:41], off, off offset:80
	;; [unrolled: 1-line block ×8, first 2 shown]
	v_mov_b32_e32 v1, 0
	s_mov_b32 s2, exec_lo
	ds_load_b128 v[46:49], v1 offset:1072
	s_clause 0x1
	scratch_load_b128 v[14:17], off, off offset:192
	scratch_load_b128 v[2:5], off, off offset:48
	ds_load_b128 v[42:45], v1 offset:1088
	scratch_load_b128 v[52:55], off, off offset:208
	s_waitcnt vmcnt(10) lgkmcnt(1)
	v_mul_f64 v[56:57], v[48:49], v[36:37]
	v_mul_f64 v[36:37], v[46:47], v[36:37]
	s_delay_alu instid0(VALU_DEP_2) | instskip(NEXT) | instid1(VALU_DEP_2)
	v_fma_f64 v[62:63], v[46:47], v[34:35], -v[56:57]
	v_fma_f64 v[64:65], v[48:49], v[34:35], v[36:37]
	scratch_load_b128 v[46:49], off, off offset:224
	ds_load_b128 v[34:37], v1 offset:1104
	s_waitcnt vmcnt(10) lgkmcnt(1)
	v_mul_f64 v[60:61], v[42:43], v[40:41]
	v_mul_f64 v[40:41], v[44:45], v[40:41]
	ds_load_b128 v[56:59], v1 offset:1120
	s_waitcnt vmcnt(9) lgkmcnt(1)
	v_mul_f64 v[66:67], v[34:35], v[32:33]
	v_mul_f64 v[32:33], v[36:37], v[32:33]
	v_fma_f64 v[44:45], v[44:45], v[38:39], v[60:61]
	v_fma_f64 v[42:43], v[42:43], v[38:39], -v[40:41]
	v_add_f64 v[60:61], v[62:63], 0
	v_add_f64 v[62:63], v[64:65], 0
	scratch_load_b128 v[38:41], off, off offset:240
	v_fma_f64 v[36:37], v[36:37], v[30:31], v[66:67]
	v_fma_f64 v[66:67], v[34:35], v[30:31], -v[32:33]
	scratch_load_b128 v[32:35], off, off offset:256
	v_add_f64 v[60:61], v[60:61], v[42:43]
	v_add_f64 v[62:63], v[62:63], v[44:45]
	ds_load_b128 v[42:45], v1 offset:1152
	s_waitcnt vmcnt(10) lgkmcnt(1)
	v_mul_f64 v[64:65], v[56:57], v[28:29]
	v_mul_f64 v[68:69], v[58:59], v[28:29]
	ds_load_b128 v[28:31], v1 offset:1136
	v_add_f64 v[60:61], v[60:61], v[66:67]
	v_add_f64 v[36:37], v[62:63], v[36:37]
	s_waitcnt vmcnt(8) lgkmcnt(1)
	v_mul_f64 v[62:63], v[42:43], v[20:21]
	v_fma_f64 v[58:59], v[58:59], v[26:27], v[64:65]
	v_fma_f64 v[56:57], v[56:57], v[26:27], -v[68:69]
	v_mul_f64 v[64:65], v[44:45], v[20:21]
	s_delay_alu instid0(VALU_DEP_4) | instskip(NEXT) | instid1(VALU_DEP_4)
	v_fma_f64 v[62:63], v[44:45], v[18:19], v[62:63]
	v_add_f64 v[36:37], v[36:37], v[58:59]
	s_delay_alu instid0(VALU_DEP_4)
	v_add_f64 v[60:61], v[60:61], v[56:57]
	ds_load_b128 v[56:59], v1 offset:1184
	s_waitcnt lgkmcnt(1)
	v_mul_f64 v[70:71], v[28:29], v[24:25]
	v_mul_f64 v[72:73], v[30:31], v[24:25]
	scratch_load_b128 v[24:27], off, off offset:272
	v_fma_f64 v[18:19], v[42:43], v[18:19], -v[64:65]
	scratch_load_b128 v[42:45], off, off offset:304
	s_waitcnt vmcnt(8) lgkmcnt(0)
	v_mul_f64 v[64:65], v[56:57], v[8:9]
	v_fma_f64 v[66:67], v[30:31], v[22:23], v[70:71]
	v_fma_f64 v[68:69], v[28:29], v[22:23], -v[72:73]
	ds_load_b128 v[20:23], v1 offset:1168
	scratch_load_b128 v[28:31], off, off offset:288
	v_fma_f64 v[64:65], v[58:59], v[6:7], v[64:65]
	v_add_f64 v[36:37], v[36:37], v[66:67]
	v_add_f64 v[60:61], v[60:61], v[68:69]
	v_mul_f64 v[66:67], v[58:59], v[8:9]
	s_delay_alu instid0(VALU_DEP_3) | instskip(NEXT) | instid1(VALU_DEP_3)
	v_add_f64 v[36:37], v[36:37], v[62:63]
	v_add_f64 v[68:69], v[60:61], v[18:19]
	ds_load_b128 v[60:63], v1 offset:1216
	s_waitcnt lgkmcnt(1)
	v_mul_f64 v[70:71], v[20:21], v[12:13]
	v_mul_f64 v[12:13], v[22:23], v[12:13]
	v_fma_f64 v[6:7], v[56:57], v[6:7], -v[66:67]
	scratch_load_b128 v[56:59], off, off offset:336
	v_fma_f64 v[22:23], v[22:23], v[10:11], v[70:71]
	v_fma_f64 v[12:13], v[20:21], v[10:11], -v[12:13]
	ds_load_b128 v[8:11], v1 offset:1200
	scratch_load_b128 v[18:21], off, off offset:320
	s_waitcnt vmcnt(10) lgkmcnt(0)
	v_mul_f64 v[70:71], v[8:9], v[16:17]
	v_mul_f64 v[16:17], v[10:11], v[16:17]
	v_add_f64 v[22:23], v[36:37], v[22:23]
	v_add_f64 v[12:13], v[68:69], v[12:13]
	s_waitcnt vmcnt(8)
	v_mul_f64 v[36:37], v[60:61], v[54:55]
	v_mul_f64 v[54:55], v[62:63], v[54:55]
	v_fma_f64 v[66:67], v[10:11], v[14:15], v[70:71]
	v_fma_f64 v[68:69], v[8:9], v[14:15], -v[16:17]
	ds_load_b128 v[14:17], v1 offset:1248
	v_add_f64 v[22:23], v[22:23], v[64:65]
	v_add_f64 v[70:71], v[12:13], v[6:7]
	scratch_load_b128 v[10:13], off, off offset:352
	ds_load_b128 v[6:9], v1 offset:1232
	v_fma_f64 v[36:37], v[62:63], v[52:53], v[36:37]
	v_fma_f64 v[60:61], v[60:61], v[52:53], -v[54:55]
	scratch_load_b128 v[52:55], off, off offset:368
	s_waitcnt vmcnt(9) lgkmcnt(0)
	v_mul_f64 v[64:65], v[6:7], v[48:49]
	v_mul_f64 v[48:49], v[8:9], v[48:49]
	v_add_f64 v[22:23], v[22:23], v[66:67]
	v_add_f64 v[62:63], v[70:71], v[68:69]
	s_waitcnt vmcnt(8)
	v_mul_f64 v[66:67], v[14:15], v[40:41]
	v_mul_f64 v[40:41], v[16:17], v[40:41]
	v_fma_f64 v[64:65], v[8:9], v[46:47], v[64:65]
	v_fma_f64 v[68:69], v[6:7], v[46:47], -v[48:49]
	scratch_load_b128 v[46:49], off, off offset:384
	ds_load_b128 v[6:9], v1 offset:1264
	v_add_f64 v[22:23], v[22:23], v[36:37]
	v_add_f64 v[70:71], v[62:63], v[60:61]
	ds_load_b128 v[60:63], v1 offset:1280
	v_fma_f64 v[66:67], v[16:17], v[38:39], v[66:67]
	v_fma_f64 v[38:39], v[14:15], v[38:39], -v[40:41]
	scratch_load_b128 v[14:17], off, off offset:400
	s_waitcnt vmcnt(9) lgkmcnt(1)
	v_mul_f64 v[36:37], v[6:7], v[34:35]
	v_mul_f64 v[34:35], v[8:9], v[34:35]
	v_add_f64 v[22:23], v[22:23], v[64:65]
	v_add_f64 v[40:41], v[70:71], v[68:69]
	s_waitcnt vmcnt(8) lgkmcnt(0)
	v_mul_f64 v[64:65], v[60:61], v[26:27]
	v_mul_f64 v[26:27], v[62:63], v[26:27]
	v_fma_f64 v[68:69], v[8:9], v[32:33], v[36:37]
	v_fma_f64 v[70:71], v[6:7], v[32:33], -v[34:35]
	scratch_load_b128 v[32:35], off, off offset:416
	ds_load_b128 v[6:9], v1 offset:1296
	v_add_f64 v[22:23], v[22:23], v[66:67]
	v_add_f64 v[40:41], v[40:41], v[38:39]
	ds_load_b128 v[36:39], v1 offset:1312
	s_waitcnt vmcnt(7) lgkmcnt(1)
	v_mul_f64 v[66:67], v[6:7], v[30:31]
	v_mul_f64 v[30:31], v[8:9], v[30:31]
	v_fma_f64 v[62:63], v[62:63], v[24:25], v[64:65]
	v_fma_f64 v[26:27], v[60:61], v[24:25], -v[26:27]
	s_waitcnt lgkmcnt(0)
	v_mul_f64 v[64:65], v[36:37], v[44:45]
	v_mul_f64 v[44:45], v[38:39], v[44:45]
	v_add_f64 v[60:61], v[22:23], v[68:69]
	v_add_f64 v[40:41], v[40:41], v[70:71]
	scratch_load_b128 v[22:25], off, off offset:432
	v_fma_f64 v[66:67], v[8:9], v[28:29], v[66:67]
	v_fma_f64 v[30:31], v[6:7], v[28:29], -v[30:31]
	ds_load_b128 v[6:9], v1 offset:1328
	v_fma_f64 v[64:65], v[38:39], v[42:43], v[64:65]
	v_fma_f64 v[42:43], v[36:37], v[42:43], -v[44:45]
	scratch_load_b128 v[36:39], off, off offset:464
	v_add_f64 v[68:69], v[60:61], v[62:63]
	v_add_f64 v[40:41], v[40:41], v[26:27]
	scratch_load_b128 v[26:29], off, off offset:448
	ds_load_b128 v[60:63], v1 offset:1344
	s_waitcnt vmcnt(8) lgkmcnt(1)
	v_mul_f64 v[70:71], v[6:7], v[20:21]
	v_mul_f64 v[20:21], v[8:9], v[20:21]
	s_waitcnt lgkmcnt(0)
	v_mul_f64 v[44:45], v[60:61], v[58:59]
	v_mul_f64 v[58:59], v[62:63], v[58:59]
	v_add_f64 v[30:31], v[40:41], v[30:31]
	v_add_f64 v[40:41], v[68:69], v[66:67]
	v_fma_f64 v[66:67], v[8:9], v[18:19], v[70:71]
	v_fma_f64 v[68:69], v[6:7], v[18:19], -v[20:21]
	scratch_load_b128 v[18:21], off, off offset:480
	ds_load_b128 v[6:9], v1 offset:1360
	v_fma_f64 v[44:45], v[62:63], v[56:57], v[44:45]
	v_fma_f64 v[60:61], v[60:61], v[56:57], -v[58:59]
	scratch_load_b128 v[56:59], off, off offset:496
	v_add_f64 v[30:31], v[30:31], v[42:43]
	v_add_f64 v[64:65], v[40:41], v[64:65]
	ds_load_b128 v[40:43], v1 offset:1376
	s_waitcnt vmcnt(9) lgkmcnt(1)
	v_mul_f64 v[70:71], v[6:7], v[12:13]
	v_mul_f64 v[12:13], v[8:9], v[12:13]
	v_add_f64 v[30:31], v[30:31], v[68:69]
	v_add_f64 v[62:63], v[64:65], v[66:67]
	s_waitcnt vmcnt(8) lgkmcnt(0)
	v_mul_f64 v[64:65], v[40:41], v[54:55]
	v_mul_f64 v[54:55], v[42:43], v[54:55]
	v_fma_f64 v[66:67], v[8:9], v[10:11], v[70:71]
	v_fma_f64 v[68:69], v[6:7], v[10:11], -v[12:13]
	scratch_load_b128 v[10:13], off, off offset:512
	ds_load_b128 v[6:9], v1 offset:1392
	v_add_f64 v[30:31], v[30:31], v[60:61]
	v_add_f64 v[44:45], v[62:63], v[44:45]
	ds_load_b128 v[60:63], v1 offset:1408
	s_waitcnt vmcnt(8) lgkmcnt(1)
	v_mul_f64 v[70:71], v[6:7], v[48:49]
	v_mul_f64 v[48:49], v[8:9], v[48:49]
	v_fma_f64 v[64:65], v[42:43], v[52:53], v[64:65]
	v_fma_f64 v[52:53], v[40:41], v[52:53], -v[54:55]
	scratch_load_b128 v[40:43], off, off offset:528
	v_add_f64 v[30:31], v[30:31], v[68:69]
	v_add_f64 v[44:45], v[44:45], v[66:67]
	s_waitcnt vmcnt(8) lgkmcnt(0)
	v_mul_f64 v[66:67], v[60:61], v[16:17]
	v_mul_f64 v[16:17], v[62:63], v[16:17]
	v_fma_f64 v[68:69], v[8:9], v[46:47], v[70:71]
	v_fma_f64 v[48:49], v[6:7], v[46:47], -v[48:49]
	ds_load_b128 v[6:9], v1 offset:1424
	v_add_f64 v[30:31], v[30:31], v[52:53]
	ds_load_b128 v[52:55], v1 offset:1440
	v_add_f64 v[64:65], v[44:45], v[64:65]
	scratch_load_b128 v[44:47], off, off offset:544
	s_waitcnt vmcnt(8) lgkmcnt(1)
	v_mul_f64 v[70:71], v[6:7], v[34:35]
	v_mul_f64 v[34:35], v[8:9], v[34:35]
	v_fma_f64 v[62:63], v[62:63], v[14:15], v[66:67]
	v_fma_f64 v[60:61], v[60:61], v[14:15], -v[16:17]
	scratch_load_b128 v[14:17], off, off offset:560
	v_add_f64 v[30:31], v[30:31], v[48:49]
	v_add_f64 v[48:49], v[64:65], v[68:69]
	v_fma_f64 v[66:67], v[8:9], v[32:33], v[70:71]
	v_fma_f64 v[34:35], v[6:7], v[32:33], -v[34:35]
	ds_load_b128 v[6:9], v1 offset:1456
	s_waitcnt vmcnt(8) lgkmcnt(1)
	v_mul_f64 v[64:65], v[52:53], v[24:25]
	v_mul_f64 v[24:25], v[54:55], v[24:25]
	v_add_f64 v[68:69], v[30:31], v[60:61]
	scratch_load_b128 v[30:33], off, off offset:576
	v_add_f64 v[48:49], v[48:49], v[62:63]
	ds_load_b128 v[60:63], v1 offset:1472
	s_waitcnt vmcnt(7) lgkmcnt(1)
	v_mul_f64 v[70:71], v[6:7], v[28:29]
	v_mul_f64 v[28:29], v[8:9], v[28:29]
	v_fma_f64 v[54:55], v[54:55], v[22:23], v[64:65]
	v_fma_f64 v[52:53], v[52:53], v[22:23], -v[24:25]
	scratch_load_b128 v[22:25], off, off offset:592
	s_waitcnt lgkmcnt(0)
	v_mul_f64 v[64:65], v[60:61], v[38:39]
	v_mul_f64 v[38:39], v[62:63], v[38:39]
	v_add_f64 v[34:35], v[68:69], v[34:35]
	v_add_f64 v[48:49], v[48:49], v[66:67]
	v_fma_f64 v[66:67], v[8:9], v[26:27], v[70:71]
	v_fma_f64 v[68:69], v[6:7], v[26:27], -v[28:29]
	scratch_load_b128 v[26:29], off, off offset:608
	ds_load_b128 v[6:9], v1 offset:1488
	v_fma_f64 v[62:63], v[62:63], v[36:37], v[64:65]
	v_fma_f64 v[38:39], v[60:61], v[36:37], -v[38:39]
	v_add_f64 v[34:35], v[34:35], v[52:53]
	v_add_f64 v[48:49], v[48:49], v[54:55]
	ds_load_b128 v[52:55], v1 offset:1504
	s_waitcnt vmcnt(8) lgkmcnt(1)
	v_mul_f64 v[70:71], v[6:7], v[20:21]
	v_mul_f64 v[20:21], v[8:9], v[20:21]
	s_waitcnt vmcnt(7) lgkmcnt(0)
	v_mul_f64 v[64:65], v[52:53], v[58:59]
	v_add_f64 v[60:61], v[34:35], v[68:69]
	scratch_load_b128 v[34:37], off, off offset:624
	v_add_f64 v[48:49], v[48:49], v[66:67]
	v_mul_f64 v[66:67], v[54:55], v[58:59]
	v_fma_f64 v[68:69], v[8:9], v[18:19], v[70:71]
	v_fma_f64 v[70:71], v[6:7], v[18:19], -v[20:21]
	scratch_load_b128 v[18:21], off, off offset:640
	ds_load_b128 v[6:9], v1 offset:1520
	v_fma_f64 v[64:65], v[54:55], v[56:57], v[64:65]
	v_add_f64 v[38:39], v[60:61], v[38:39]
	ds_load_b128 v[58:61], v1 offset:1536
	v_add_f64 v[48:49], v[48:49], v[62:63]
	s_waitcnt vmcnt(8) lgkmcnt(1)
	v_mul_f64 v[62:63], v[6:7], v[12:13]
	v_mul_f64 v[12:13], v[8:9], v[12:13]
	v_fma_f64 v[56:57], v[52:53], v[56:57], -v[66:67]
	scratch_load_b128 v[52:55], off, off offset:656
	s_waitcnt vmcnt(8) lgkmcnt(0)
	v_mul_f64 v[66:67], v[58:59], v[42:43]
	v_mul_f64 v[42:43], v[60:61], v[42:43]
	v_add_f64 v[38:39], v[38:39], v[70:71]
	v_add_f64 v[48:49], v[48:49], v[68:69]
	v_fma_f64 v[68:69], v[8:9], v[10:11], v[62:63]
	v_fma_f64 v[70:71], v[6:7], v[10:11], -v[12:13]
	scratch_load_b128 v[10:13], off, off offset:672
	ds_load_b128 v[6:9], v1 offset:1552
	v_fma_f64 v[60:61], v[60:61], v[40:41], v[66:67]
	v_fma_f64 v[42:43], v[58:59], v[40:41], -v[42:43]
	v_add_f64 v[38:39], v[38:39], v[56:57]
	v_add_f64 v[48:49], v[48:49], v[64:65]
	ds_load_b128 v[62:65], v1 offset:1568
	s_waitcnt vmcnt(8) lgkmcnt(1)
	v_mul_f64 v[56:57], v[6:7], v[46:47]
	v_mul_f64 v[46:47], v[8:9], v[46:47]
	s_waitcnt vmcnt(7) lgkmcnt(0)
	v_mul_f64 v[66:67], v[62:63], v[16:17]
	v_mul_f64 v[16:17], v[64:65], v[16:17]
	v_add_f64 v[58:59], v[38:39], v[70:71]
	scratch_load_b128 v[38:41], off, off offset:688
	v_add_f64 v[48:49], v[48:49], v[68:69]
	v_fma_f64 v[56:57], v[8:9], v[44:45], v[56:57]
	v_fma_f64 v[68:69], v[6:7], v[44:45], -v[46:47]
	ds_load_b128 v[6:9], v1 offset:1584
	v_fma_f64 v[64:65], v[64:65], v[14:15], v[66:67]
	v_fma_f64 v[62:63], v[62:63], v[14:15], -v[16:17]
	scratch_load_b128 v[14:17], off, off offset:720
	v_add_f64 v[58:59], v[58:59], v[42:43]
	scratch_load_b128 v[42:45], off, off offset:704
	v_add_f64 v[60:61], v[48:49], v[60:61]
	ds_load_b128 v[46:49], v1 offset:1600
	s_waitcnt vmcnt(9) lgkmcnt(1)
	v_mul_f64 v[70:71], v[6:7], v[32:33]
	v_mul_f64 v[32:33], v[8:9], v[32:33]
	v_add_f64 v[58:59], v[58:59], v[68:69]
	v_add_f64 v[56:57], v[60:61], v[56:57]
	s_waitcnt vmcnt(8) lgkmcnt(0)
	v_mul_f64 v[60:61], v[46:47], v[24:25]
	v_mul_f64 v[24:25], v[48:49], v[24:25]
	v_fma_f64 v[66:67], v[8:9], v[30:31], v[70:71]
	v_fma_f64 v[68:69], v[6:7], v[30:31], -v[32:33]
	scratch_load_b128 v[30:33], off, off offset:736
	ds_load_b128 v[6:9], v1 offset:1616
	v_add_f64 v[62:63], v[58:59], v[62:63]
	v_add_f64 v[64:65], v[56:57], v[64:65]
	ds_load_b128 v[56:59], v1 offset:1632
	s_waitcnt vmcnt(8) lgkmcnt(1)
	v_mul_f64 v[70:71], v[6:7], v[28:29]
	v_mul_f64 v[28:29], v[8:9], v[28:29]
	v_fma_f64 v[48:49], v[48:49], v[22:23], v[60:61]
	v_fma_f64 v[46:47], v[46:47], v[22:23], -v[24:25]
	scratch_load_b128 v[22:25], off, off offset:752
	v_add_f64 v[60:61], v[62:63], v[68:69]
	v_add_f64 v[62:63], v[64:65], v[66:67]
	v_fma_f64 v[66:67], v[8:9], v[26:27], v[70:71]
	v_fma_f64 v[68:69], v[6:7], v[26:27], -v[28:29]
	scratch_load_b128 v[26:29], off, off offset:768
	ds_load_b128 v[6:9], v1 offset:1648
	s_waitcnt vmcnt(9) lgkmcnt(1)
	v_mul_f64 v[64:65], v[56:57], v[36:37]
	v_mul_f64 v[36:37], v[58:59], v[36:37]
	v_add_f64 v[60:61], v[60:61], v[46:47]
	v_add_f64 v[62:63], v[62:63], v[48:49]
	ds_load_b128 v[46:49], v1 offset:1664
	s_waitcnt vmcnt(8) lgkmcnt(1)
	v_mul_f64 v[70:71], v[6:7], v[20:21]
	v_mul_f64 v[20:21], v[8:9], v[20:21]
	v_fma_f64 v[58:59], v[58:59], v[34:35], v[64:65]
	v_fma_f64 v[56:57], v[56:57], v[34:35], -v[36:37]
	scratch_load_b128 v[34:37], off, off offset:784
	s_waitcnt vmcnt(8) lgkmcnt(0)
	v_mul_f64 v[64:65], v[46:47], v[54:55]
	v_add_f64 v[60:61], v[60:61], v[68:69]
	v_add_f64 v[62:63], v[62:63], v[66:67]
	v_mul_f64 v[66:67], v[48:49], v[54:55]
	v_fma_f64 v[68:69], v[8:9], v[18:19], v[70:71]
	v_fma_f64 v[70:71], v[6:7], v[18:19], -v[20:21]
	scratch_load_b128 v[18:21], off, off offset:800
	ds_load_b128 v[6:9], v1 offset:1680
	v_fma_f64 v[64:65], v[48:49], v[52:53], v[64:65]
	v_add_f64 v[60:61], v[60:61], v[56:57]
	ds_load_b128 v[54:57], v1 offset:1696
	v_add_f64 v[58:59], v[62:63], v[58:59]
	s_waitcnt vmcnt(8) lgkmcnt(1)
	v_mul_f64 v[62:63], v[6:7], v[12:13]
	v_mul_f64 v[12:13], v[8:9], v[12:13]
	v_fma_f64 v[52:53], v[46:47], v[52:53], -v[66:67]
	scratch_load_b128 v[46:49], off, off offset:816
	v_add_f64 v[60:61], v[60:61], v[70:71]
	v_add_f64 v[58:59], v[58:59], v[68:69]
	v_fma_f64 v[62:63], v[8:9], v[10:11], v[62:63]
	v_fma_f64 v[68:69], v[6:7], v[10:11], -v[12:13]
	scratch_load_b128 v[10:13], off, off offset:832
	ds_load_b128 v[6:9], v1 offset:1712
	s_waitcnt vmcnt(9) lgkmcnt(1)
	v_mul_f64 v[66:67], v[54:55], v[40:41]
	v_mul_f64 v[40:41], v[56:57], v[40:41]
	v_add_f64 v[52:53], v[60:61], v[52:53]
	v_add_f64 v[64:65], v[58:59], v[64:65]
	ds_load_b128 v[58:61], v1 offset:1728
	s_waitcnt vmcnt(7) lgkmcnt(1)
	v_mul_f64 v[70:71], v[6:7], v[44:45]
	v_mul_f64 v[44:45], v[8:9], v[44:45]
	v_fma_f64 v[56:57], v[56:57], v[38:39], v[66:67]
	v_fma_f64 v[54:55], v[54:55], v[38:39], -v[40:41]
	scratch_load_b128 v[38:41], off, off offset:848
	v_add_f64 v[52:53], v[52:53], v[68:69]
	v_add_f64 v[62:63], v[64:65], v[62:63]
	s_waitcnt lgkmcnt(0)
	v_mul_f64 v[64:65], v[58:59], v[16:17]
	v_mul_f64 v[16:17], v[60:61], v[16:17]
	v_fma_f64 v[66:67], v[8:9], v[42:43], v[70:71]
	v_fma_f64 v[68:69], v[6:7], v[42:43], -v[44:45]
	scratch_load_b128 v[42:45], off, off offset:864
	ds_load_b128 v[6:9], v1 offset:1744
	v_add_f64 v[70:71], v[52:53], v[54:55]
	ds_load_b128 v[52:55], v1 offset:1760
	v_add_f64 v[56:57], v[62:63], v[56:57]
	s_waitcnt vmcnt(8) lgkmcnt(1)
	v_mul_f64 v[62:63], v[6:7], v[32:33]
	v_mul_f64 v[32:33], v[8:9], v[32:33]
	v_fma_f64 v[60:61], v[60:61], v[14:15], v[64:65]
	v_fma_f64 v[58:59], v[58:59], v[14:15], -v[16:17]
	scratch_load_b128 v[14:17], off, off offset:880
	v_add_f64 v[64:65], v[70:71], v[68:69]
	v_add_f64 v[56:57], v[56:57], v[66:67]
	s_waitcnt vmcnt(8) lgkmcnt(0)
	v_mul_f64 v[66:67], v[52:53], v[24:25]
	v_mul_f64 v[24:25], v[54:55], v[24:25]
	v_fma_f64 v[62:63], v[8:9], v[30:31], v[62:63]
	v_fma_f64 v[68:69], v[6:7], v[30:31], -v[32:33]
	scratch_load_b128 v[30:33], off, off offset:896
	ds_load_b128 v[6:9], v1 offset:1776
	v_add_f64 v[64:65], v[64:65], v[58:59]
	v_add_f64 v[60:61], v[56:57], v[60:61]
	ds_load_b128 v[56:59], v1 offset:1792
	s_waitcnt vmcnt(8) lgkmcnt(1)
	v_mul_f64 v[70:71], v[6:7], v[28:29]
	v_mul_f64 v[28:29], v[8:9], v[28:29]
	v_fma_f64 v[54:55], v[54:55], v[22:23], v[66:67]
	v_fma_f64 v[52:53], v[52:53], v[22:23], -v[24:25]
	scratch_load_b128 v[22:25], off, off offset:912
	v_add_f64 v[64:65], v[64:65], v[68:69]
	v_add_f64 v[60:61], v[60:61], v[62:63]
	s_waitcnt vmcnt(8) lgkmcnt(0)
	v_mul_f64 v[62:63], v[56:57], v[36:37]
	v_mul_f64 v[36:37], v[58:59], v[36:37]
	v_fma_f64 v[66:67], v[8:9], v[26:27], v[70:71]
	v_fma_f64 v[68:69], v[6:7], v[26:27], -v[28:29]
	scratch_load_b128 v[26:29], off, off offset:928
	ds_load_b128 v[6:9], v1 offset:1808
	v_add_f64 v[64:65], v[64:65], v[52:53]
	v_add_f64 v[60:61], v[60:61], v[54:55]
	ds_load_b128 v[52:55], v1 offset:1824
	s_waitcnt vmcnt(8) lgkmcnt(1)
	v_mul_f64 v[70:71], v[6:7], v[20:21]
	v_mul_f64 v[20:21], v[8:9], v[20:21]
	v_fma_f64 v[58:59], v[58:59], v[34:35], v[62:63]
	v_fma_f64 v[56:57], v[56:57], v[34:35], -v[36:37]
	scratch_load_b128 v[34:37], off, off offset:944
	v_add_f64 v[62:63], v[64:65], v[68:69]
	s_waitcnt vmcnt(8) lgkmcnt(0)
	v_mul_f64 v[64:65], v[52:53], v[48:49]
	v_add_f64 v[60:61], v[60:61], v[66:67]
	v_mul_f64 v[48:49], v[54:55], v[48:49]
	v_fma_f64 v[66:67], v[8:9], v[18:19], v[70:71]
	v_fma_f64 v[68:69], v[6:7], v[18:19], -v[20:21]
	scratch_load_b128 v[18:21], off, off offset:960
	ds_load_b128 v[6:9], v1 offset:1840
	v_add_f64 v[62:63], v[62:63], v[56:57]
	v_fma_f64 v[54:55], v[54:55], v[46:47], v[64:65]
	v_add_f64 v[60:61], v[60:61], v[58:59]
	ds_load_b128 v[56:59], v1 offset:1856
	s_waitcnt vmcnt(8) lgkmcnt(1)
	v_mul_f64 v[70:71], v[6:7], v[12:13]
	v_mul_f64 v[12:13], v[8:9], v[12:13]
	v_fma_f64 v[52:53], v[52:53], v[46:47], -v[48:49]
	scratch_load_b128 v[46:49], off, off offset:976
	s_waitcnt vmcnt(8) lgkmcnt(0)
	v_mul_f64 v[64:65], v[56:57], v[40:41]
	v_add_f64 v[62:63], v[62:63], v[68:69]
	v_mul_f64 v[40:41], v[58:59], v[40:41]
	v_add_f64 v[60:61], v[60:61], v[66:67]
	v_fma_f64 v[66:67], v[8:9], v[10:11], v[70:71]
	v_fma_f64 v[68:69], v[6:7], v[10:11], -v[12:13]
	scratch_load_b128 v[10:13], off, off offset:992
	ds_load_b128 v[6:9], v1 offset:1872
	v_fma_f64 v[58:59], v[58:59], v[38:39], v[64:65]
	v_add_f64 v[62:63], v[62:63], v[52:53]
	v_fma_f64 v[38:39], v[56:57], v[38:39], -v[40:41]
	v_add_f64 v[60:61], v[60:61], v[54:55]
	ds_load_b128 v[52:55], v1 offset:1888
	s_waitcnt vmcnt(8) lgkmcnt(1)
	v_mul_f64 v[70:71], v[6:7], v[44:45]
	v_mul_f64 v[44:45], v[8:9], v[44:45]
	v_add_f64 v[40:41], v[62:63], v[68:69]
	v_add_f64 v[56:57], v[60:61], v[66:67]
	s_waitcnt vmcnt(7) lgkmcnt(0)
	v_mul_f64 v[60:61], v[52:53], v[16:17]
	v_mul_f64 v[16:17], v[54:55], v[16:17]
	v_fma_f64 v[62:63], v[8:9], v[42:43], v[70:71]
	v_fma_f64 v[42:43], v[6:7], v[42:43], -v[44:45]
	v_add_f64 v[44:45], v[40:41], v[38:39]
	ds_load_b128 v[6:9], v1 offset:1904
	ds_load_b128 v[38:41], v1 offset:1920
	v_add_f64 v[56:57], v[56:57], v[58:59]
	v_fma_f64 v[54:55], v[54:55], v[14:15], v[60:61]
	v_fma_f64 v[14:15], v[52:53], v[14:15], -v[16:17]
	s_waitcnt vmcnt(6) lgkmcnt(1)
	v_mul_f64 v[58:59], v[6:7], v[32:33]
	v_mul_f64 v[32:33], v[8:9], v[32:33]
	v_add_f64 v[16:17], v[44:45], v[42:43]
	s_waitcnt vmcnt(5) lgkmcnt(0)
	v_mul_f64 v[44:45], v[38:39], v[24:25]
	v_add_f64 v[42:43], v[56:57], v[62:63]
	v_mul_f64 v[24:25], v[40:41], v[24:25]
	v_fma_f64 v[52:53], v[8:9], v[30:31], v[58:59]
	v_fma_f64 v[30:31], v[6:7], v[30:31], -v[32:33]
	v_add_f64 v[32:33], v[16:17], v[14:15]
	ds_load_b128 v[6:9], v1 offset:1936
	ds_load_b128 v[14:17], v1 offset:1952
	v_add_f64 v[42:43], v[42:43], v[54:55]
	v_fma_f64 v[40:41], v[40:41], v[22:23], v[44:45]
	v_fma_f64 v[22:23], v[38:39], v[22:23], -v[24:25]
	s_waitcnt vmcnt(4) lgkmcnt(1)
	v_mul_f64 v[54:55], v[6:7], v[28:29]
	v_mul_f64 v[28:29], v[8:9], v[28:29]
	v_add_f64 v[24:25], v[32:33], v[30:31]
	s_waitcnt vmcnt(3) lgkmcnt(0)
	v_mul_f64 v[32:33], v[14:15], v[36:37]
	v_add_f64 v[30:31], v[42:43], v[52:53]
	v_mul_f64 v[36:37], v[16:17], v[36:37]
	v_fma_f64 v[38:39], v[8:9], v[26:27], v[54:55]
	v_fma_f64 v[26:27], v[6:7], v[26:27], -v[28:29]
	v_add_f64 v[28:29], v[24:25], v[22:23]
	ds_load_b128 v[6:9], v1 offset:1968
	ds_load_b128 v[22:25], v1 offset:1984
	v_add_f64 v[30:31], v[30:31], v[40:41]
	v_fma_f64 v[16:17], v[16:17], v[34:35], v[32:33]
	v_fma_f64 v[14:15], v[14:15], v[34:35], -v[36:37]
	s_waitcnt vmcnt(2) lgkmcnt(1)
	v_mul_f64 v[40:41], v[6:7], v[20:21]
	v_mul_f64 v[20:21], v[8:9], v[20:21]
	s_waitcnt vmcnt(1) lgkmcnt(0)
	v_mul_f64 v[32:33], v[24:25], v[48:49]
	v_add_f64 v[26:27], v[28:29], v[26:27]
	v_add_f64 v[28:29], v[30:31], v[38:39]
	v_mul_f64 v[30:31], v[22:23], v[48:49]
	v_fma_f64 v[34:35], v[8:9], v[18:19], v[40:41]
	v_fma_f64 v[18:19], v[6:7], v[18:19], -v[20:21]
	ds_load_b128 v[6:9], v1 offset:2000
	v_fma_f64 v[22:23], v[22:23], v[46:47], -v[32:33]
	v_add_f64 v[14:15], v[26:27], v[14:15]
	v_add_f64 v[16:17], v[28:29], v[16:17]
	v_fma_f64 v[24:25], v[24:25], v[46:47], v[30:31]
	s_waitcnt vmcnt(0) lgkmcnt(0)
	v_mul_f64 v[20:21], v[6:7], v[12:13]
	v_mul_f64 v[12:13], v[8:9], v[12:13]
	v_add_f64 v[14:15], v[14:15], v[18:19]
	v_add_f64 v[16:17], v[16:17], v[34:35]
	s_delay_alu instid0(VALU_DEP_4) | instskip(NEXT) | instid1(VALU_DEP_4)
	v_fma_f64 v[8:9], v[8:9], v[10:11], v[20:21]
	v_fma_f64 v[6:7], v[6:7], v[10:11], -v[12:13]
	s_delay_alu instid0(VALU_DEP_4) | instskip(NEXT) | instid1(VALU_DEP_4)
	v_add_f64 v[10:11], v[14:15], v[22:23]
	v_add_f64 v[12:13], v[16:17], v[24:25]
	s_delay_alu instid0(VALU_DEP_2) | instskip(NEXT) | instid1(VALU_DEP_2)
	v_add_f64 v[6:7], v[10:11], v[6:7]
	v_add_f64 v[8:9], v[12:13], v[8:9]
	s_delay_alu instid0(VALU_DEP_2) | instskip(NEXT) | instid1(VALU_DEP_2)
	v_add_f64 v[2:3], v[2:3], -v[6:7]
	v_add_f64 v[4:5], v[4:5], -v[8:9]
	scratch_store_b128 off, v[2:5], off offset:48
	v_cmpx_lt_u32_e32 2, v176
	s_cbranch_execz .LBB62_399
; %bb.398:
	v_add_nc_u32_e64 v2, 0, 32
	v_mov_b32_e32 v3, v1
	v_mov_b32_e32 v4, v1
	scratch_load_b128 v[5:8], v2, off
	v_mov_b32_e32 v2, v1
	scratch_store_b128 off, v[1:4], off offset:32
	s_waitcnt vmcnt(0)
	ds_store_b128 v255, v[5:8]
.LBB62_399:
	s_or_b32 exec_lo, exec_lo, s2
	s_waitcnt lgkmcnt(0)
	s_waitcnt_vscnt null, 0x0
	s_barrier
	buffer_gl0_inv
	s_clause 0x8
	scratch_load_b128 v[34:37], off, off offset:48
	scratch_load_b128 v[38:41], off, off offset:64
	;; [unrolled: 1-line block ×9, first 2 shown]
	ds_load_b128 v[46:49], v1 offset:1056
	ds_load_b128 v[42:45], v1 offset:1072
	s_clause 0x1
	scratch_load_b128 v[2:5], off, off offset:32
	scratch_load_b128 v[52:55], off, off offset:192
	s_mov_b32 s2, exec_lo
	s_waitcnt vmcnt(10) lgkmcnt(1)
	v_mul_f64 v[56:57], v[48:49], v[36:37]
	v_mul_f64 v[36:37], v[46:47], v[36:37]
	s_waitcnt vmcnt(9) lgkmcnt(0)
	v_mul_f64 v[60:61], v[42:43], v[40:41]
	v_mul_f64 v[40:41], v[44:45], v[40:41]
	s_delay_alu instid0(VALU_DEP_4) | instskip(NEXT) | instid1(VALU_DEP_4)
	v_fma_f64 v[62:63], v[46:47], v[34:35], -v[56:57]
	v_fma_f64 v[64:65], v[48:49], v[34:35], v[36:37]
	ds_load_b128 v[34:37], v1 offset:1088
	ds_load_b128 v[56:59], v1 offset:1104
	scratch_load_b128 v[46:49], off, off offset:208
	v_fma_f64 v[44:45], v[44:45], v[38:39], v[60:61]
	v_fma_f64 v[42:43], v[42:43], v[38:39], -v[40:41]
	scratch_load_b128 v[38:41], off, off offset:224
	s_waitcnt vmcnt(10) lgkmcnt(1)
	v_mul_f64 v[66:67], v[34:35], v[32:33]
	v_mul_f64 v[32:33], v[36:37], v[32:33]
	s_waitcnt vmcnt(9) lgkmcnt(0)
	v_mul_f64 v[68:69], v[58:59], v[28:29]
	v_add_f64 v[60:61], v[62:63], 0
	v_add_f64 v[62:63], v[64:65], 0
	v_mul_f64 v[64:65], v[56:57], v[28:29]
	v_fma_f64 v[36:37], v[36:37], v[30:31], v[66:67]
	v_fma_f64 v[66:67], v[34:35], v[30:31], -v[32:33]
	ds_load_b128 v[28:31], v1 offset:1120
	scratch_load_b128 v[32:35], off, off offset:240
	v_fma_f64 v[56:57], v[56:57], v[26:27], -v[68:69]
	v_add_f64 v[60:61], v[60:61], v[42:43]
	v_add_f64 v[62:63], v[62:63], v[44:45]
	ds_load_b128 v[42:45], v1 offset:1136
	v_fma_f64 v[58:59], v[58:59], v[26:27], v[64:65]
	s_waitcnt vmcnt(9) lgkmcnt(1)
	v_mul_f64 v[70:71], v[28:29], v[24:25]
	v_mul_f64 v[72:73], v[30:31], v[24:25]
	scratch_load_b128 v[24:27], off, off offset:256
	s_waitcnt vmcnt(9) lgkmcnt(0)
	v_mul_f64 v[64:65], v[44:45], v[20:21]
	v_add_f64 v[60:61], v[60:61], v[66:67]
	v_add_f64 v[36:37], v[62:63], v[36:37]
	v_mul_f64 v[62:63], v[42:43], v[20:21]
	v_fma_f64 v[66:67], v[30:31], v[22:23], v[70:71]
	v_fma_f64 v[68:69], v[28:29], v[22:23], -v[72:73]
	ds_load_b128 v[20:23], v1 offset:1152
	scratch_load_b128 v[28:31], off, off offset:272
	v_fma_f64 v[42:43], v[42:43], v[18:19], -v[64:65]
	v_add_f64 v[60:61], v[60:61], v[56:57]
	v_add_f64 v[36:37], v[36:37], v[58:59]
	ds_load_b128 v[56:59], v1 offset:1168
	s_waitcnt vmcnt(9) lgkmcnt(1)
	v_mul_f64 v[70:71], v[20:21], v[16:17]
	v_mul_f64 v[72:73], v[22:23], v[16:17]
	v_fma_f64 v[44:45], v[44:45], v[18:19], v[62:63]
	scratch_load_b128 v[16:19], off, off offset:288
	s_waitcnt vmcnt(9) lgkmcnt(0)
	v_mul_f64 v[62:63], v[56:57], v[12:13]
	v_mul_f64 v[64:65], v[58:59], v[12:13]
	v_add_f64 v[60:61], v[60:61], v[68:69]
	v_add_f64 v[36:37], v[36:37], v[66:67]
	v_fma_f64 v[66:67], v[22:23], v[14:15], v[70:71]
	v_fma_f64 v[68:69], v[20:21], v[14:15], -v[72:73]
	ds_load_b128 v[12:15], v1 offset:1184
	scratch_load_b128 v[20:23], off, off offset:304
	v_fma_f64 v[58:59], v[58:59], v[10:11], v[62:63]
	v_fma_f64 v[56:57], v[56:57], v[10:11], -v[64:65]
	v_add_f64 v[60:61], v[60:61], v[42:43]
	v_add_f64 v[36:37], v[36:37], v[44:45]
	ds_load_b128 v[42:45], v1 offset:1200
	s_waitcnt vmcnt(9) lgkmcnt(1)
	v_mul_f64 v[70:71], v[12:13], v[8:9]
	v_mul_f64 v[72:73], v[14:15], v[8:9]
	scratch_load_b128 v[8:11], off, off offset:320
	s_waitcnt vmcnt(8) lgkmcnt(0)
	v_mul_f64 v[62:63], v[42:43], v[54:55]
	v_mul_f64 v[64:65], v[44:45], v[54:55]
	v_add_f64 v[60:61], v[60:61], v[68:69]
	v_add_f64 v[36:37], v[36:37], v[66:67]
	v_fma_f64 v[66:67], v[14:15], v[6:7], v[70:71]
	v_fma_f64 v[6:7], v[12:13], v[6:7], -v[72:73]
	ds_load_b128 v[12:15], v1 offset:1216
	v_fma_f64 v[62:63], v[44:45], v[52:53], v[62:63]
	v_fma_f64 v[52:53], v[42:43], v[52:53], -v[64:65]
	scratch_load_b128 v[42:45], off, off offset:352
	v_add_f64 v[68:69], v[60:61], v[56:57]
	v_add_f64 v[36:37], v[36:37], v[58:59]
	ds_load_b128 v[58:61], v1 offset:1232
	scratch_load_b128 v[54:57], off, off offset:336
	s_waitcnt vmcnt(9) lgkmcnt(1)
	v_mul_f64 v[70:71], v[12:13], v[48:49]
	v_mul_f64 v[48:49], v[14:15], v[48:49]
	v_add_f64 v[6:7], v[68:69], v[6:7]
	v_add_f64 v[36:37], v[36:37], v[66:67]
	s_waitcnt vmcnt(8) lgkmcnt(0)
	v_mul_f64 v[66:67], v[58:59], v[40:41]
	v_mul_f64 v[40:41], v[60:61], v[40:41]
	v_fma_f64 v[68:69], v[14:15], v[46:47], v[70:71]
	v_fma_f64 v[70:71], v[12:13], v[46:47], -v[48:49]
	ds_load_b128 v[12:15], v1 offset:1248
	scratch_load_b128 v[46:49], off, off offset:368
	v_add_f64 v[6:7], v[6:7], v[52:53]
	v_add_f64 v[36:37], v[36:37], v[62:63]
	ds_load_b128 v[62:65], v1 offset:1264
	v_fma_f64 v[60:61], v[60:61], v[38:39], v[66:67]
	s_waitcnt vmcnt(8) lgkmcnt(1)
	v_mul_f64 v[52:53], v[12:13], v[34:35]
	v_mul_f64 v[72:73], v[14:15], v[34:35]
	v_fma_f64 v[38:39], v[58:59], v[38:39], -v[40:41]
	s_waitcnt vmcnt(7) lgkmcnt(0)
	v_mul_f64 v[66:67], v[62:63], v[26:27]
	v_mul_f64 v[26:27], v[64:65], v[26:27]
	v_add_f64 v[6:7], v[6:7], v[70:71]
	v_add_f64 v[40:41], v[36:37], v[68:69]
	scratch_load_b128 v[34:37], off, off offset:384
	v_fma_f64 v[52:53], v[14:15], v[32:33], v[52:53]
	v_fma_f64 v[32:33], v[12:13], v[32:33], -v[72:73]
	ds_load_b128 v[12:15], v1 offset:1280
	v_fma_f64 v[64:65], v[64:65], v[24:25], v[66:67]
	v_fma_f64 v[62:63], v[62:63], v[24:25], -v[26:27]
	scratch_load_b128 v[24:27], off, off offset:416
	v_add_f64 v[6:7], v[6:7], v[38:39]
	v_add_f64 v[68:69], v[40:41], v[60:61]
	ds_load_b128 v[58:61], v1 offset:1296
	scratch_load_b128 v[38:41], off, off offset:400
	s_waitcnt vmcnt(9) lgkmcnt(1)
	v_mul_f64 v[70:71], v[12:13], v[30:31]
	v_mul_f64 v[30:31], v[14:15], v[30:31]
	v_add_f64 v[6:7], v[6:7], v[32:33]
	v_add_f64 v[32:33], v[68:69], v[52:53]
	s_waitcnt vmcnt(8) lgkmcnt(0)
	v_mul_f64 v[52:53], v[58:59], v[18:19]
	v_mul_f64 v[18:19], v[60:61], v[18:19]
	v_fma_f64 v[66:67], v[14:15], v[28:29], v[70:71]
	v_fma_f64 v[68:69], v[12:13], v[28:29], -v[30:31]
	ds_load_b128 v[12:15], v1 offset:1312
	scratch_load_b128 v[28:31], off, off offset:432
	v_add_f64 v[6:7], v[6:7], v[62:63]
	v_add_f64 v[32:33], v[32:33], v[64:65]
	ds_load_b128 v[62:65], v1 offset:1328
	s_waitcnt vmcnt(8) lgkmcnt(1)
	v_mul_f64 v[70:71], v[12:13], v[22:23]
	v_mul_f64 v[22:23], v[14:15], v[22:23]
	v_fma_f64 v[52:53], v[60:61], v[16:17], v[52:53]
	v_fma_f64 v[58:59], v[58:59], v[16:17], -v[18:19]
	scratch_load_b128 v[16:19], off, off offset:448
	v_add_f64 v[6:7], v[6:7], v[68:69]
	v_add_f64 v[32:33], v[32:33], v[66:67]
	s_waitcnt vmcnt(8) lgkmcnt(0)
	v_mul_f64 v[66:67], v[62:63], v[10:11]
	v_mul_f64 v[68:69], v[64:65], v[10:11]
	v_fma_f64 v[14:15], v[14:15], v[20:21], v[70:71]
	v_fma_f64 v[70:71], v[12:13], v[20:21], -v[22:23]
	ds_load_b128 v[10:13], v1 offset:1344
	scratch_load_b128 v[20:23], off, off offset:464
	v_add_f64 v[6:7], v[6:7], v[58:59]
	v_add_f64 v[32:33], v[32:33], v[52:53]
	ds_load_b128 v[58:61], v1 offset:1360
	v_fma_f64 v[64:65], v[64:65], v[8:9], v[66:67]
	v_fma_f64 v[62:63], v[62:63], v[8:9], -v[68:69]
	s_waitcnt vmcnt(7) lgkmcnt(1)
	v_mul_f64 v[52:53], v[10:11], v[56:57]
	v_mul_f64 v[56:57], v[12:13], v[56:57]
	v_add_f64 v[66:67], v[6:7], v[70:71]
	scratch_load_b128 v[6:9], off, off offset:480
	v_add_f64 v[14:15], v[32:33], v[14:15]
	s_waitcnt lgkmcnt(0)
	v_mul_f64 v[32:33], v[58:59], v[44:45]
	v_mul_f64 v[44:45], v[60:61], v[44:45]
	v_fma_f64 v[68:69], v[12:13], v[54:55], v[52:53]
	v_fma_f64 v[56:57], v[10:11], v[54:55], -v[56:57]
	ds_load_b128 v[10:13], v1 offset:1376
	scratch_load_b128 v[52:55], off, off offset:496
	v_add_f64 v[66:67], v[66:67], v[62:63]
	v_add_f64 v[14:15], v[14:15], v[64:65]
	ds_load_b128 v[62:65], v1 offset:1392
	s_waitcnt vmcnt(8) lgkmcnt(1)
	v_mul_f64 v[70:71], v[10:11], v[48:49]
	v_mul_f64 v[48:49], v[12:13], v[48:49]
	v_fma_f64 v[32:33], v[60:61], v[42:43], v[32:33]
	v_fma_f64 v[58:59], v[58:59], v[42:43], -v[44:45]
	scratch_load_b128 v[42:45], off, off offset:512
	v_add_f64 v[56:57], v[66:67], v[56:57]
	v_add_f64 v[14:15], v[14:15], v[68:69]
	v_fma_f64 v[66:67], v[12:13], v[46:47], v[70:71]
	v_fma_f64 v[68:69], v[10:11], v[46:47], -v[48:49]
	ds_load_b128 v[10:13], v1 offset:1408
	scratch_load_b128 v[46:49], off, off offset:528
	s_waitcnt vmcnt(9) lgkmcnt(1)
	v_mul_f64 v[60:61], v[62:63], v[36:37]
	v_mul_f64 v[36:37], v[64:65], v[36:37]
	v_add_f64 v[70:71], v[56:57], v[58:59]
	ds_load_b128 v[56:59], v1 offset:1424
	v_add_f64 v[14:15], v[14:15], v[32:33]
	v_fma_f64 v[60:61], v[64:65], v[34:35], v[60:61]
	s_waitcnt vmcnt(7) lgkmcnt(1)
	v_mul_f64 v[72:73], v[10:11], v[40:41]
	v_mul_f64 v[40:41], v[12:13], v[40:41]
	v_fma_f64 v[36:37], v[62:63], v[34:35], -v[36:37]
	scratch_load_b128 v[32:35], off, off offset:544
	s_waitcnt lgkmcnt(0)
	v_mul_f64 v[64:65], v[56:57], v[26:27]
	v_mul_f64 v[26:27], v[58:59], v[26:27]
	v_add_f64 v[62:63], v[70:71], v[68:69]
	v_add_f64 v[14:15], v[14:15], v[66:67]
	v_fma_f64 v[66:67], v[12:13], v[38:39], v[72:73]
	v_fma_f64 v[40:41], v[10:11], v[38:39], -v[40:41]
	ds_load_b128 v[10:13], v1 offset:1440
	v_fma_f64 v[58:59], v[58:59], v[24:25], v[64:65]
	v_fma_f64 v[56:57], v[56:57], v[24:25], -v[26:27]
	scratch_load_b128 v[24:27], off, off offset:576
	v_add_f64 v[68:69], v[62:63], v[36:37]
	scratch_load_b128 v[36:39], off, off offset:560
	v_add_f64 v[14:15], v[14:15], v[60:61]
	ds_load_b128 v[60:63], v1 offset:1456
	s_waitcnt vmcnt(9) lgkmcnt(1)
	v_mul_f64 v[70:71], v[10:11], v[30:31]
	v_mul_f64 v[30:31], v[12:13], v[30:31]
	s_waitcnt vmcnt(8) lgkmcnt(0)
	v_mul_f64 v[64:65], v[60:61], v[18:19]
	v_mul_f64 v[18:19], v[62:63], v[18:19]
	v_add_f64 v[40:41], v[68:69], v[40:41]
	v_add_f64 v[14:15], v[14:15], v[66:67]
	v_fma_f64 v[66:67], v[12:13], v[28:29], v[70:71]
	v_fma_f64 v[68:69], v[10:11], v[28:29], -v[30:31]
	ds_load_b128 v[10:13], v1 offset:1472
	scratch_load_b128 v[28:31], off, off offset:592
	v_fma_f64 v[62:63], v[62:63], v[16:17], v[64:65]
	v_fma_f64 v[18:19], v[60:61], v[16:17], -v[18:19]
	v_add_f64 v[40:41], v[40:41], v[56:57]
	v_add_f64 v[14:15], v[14:15], v[58:59]
	ds_load_b128 v[56:59], v1 offset:1488
	s_waitcnt vmcnt(8) lgkmcnt(1)
	v_mul_f64 v[70:71], v[10:11], v[22:23]
	v_mul_f64 v[22:23], v[12:13], v[22:23]
	v_add_f64 v[40:41], v[40:41], v[68:69]
	v_add_f64 v[60:61], v[14:15], v[66:67]
	scratch_load_b128 v[14:17], off, off offset:608
	v_fma_f64 v[12:13], v[12:13], v[20:21], v[70:71]
	v_fma_f64 v[22:23], v[10:11], v[20:21], -v[22:23]
	s_waitcnt vmcnt(8) lgkmcnt(0)
	v_mul_f64 v[64:65], v[56:57], v[8:9]
	v_mul_f64 v[66:67], v[58:59], v[8:9]
	ds_load_b128 v[8:11], v1 offset:1504
	v_add_f64 v[40:41], v[40:41], v[18:19]
	scratch_load_b128 v[18:21], off, off offset:624
	v_add_f64 v[68:69], v[60:61], v[62:63]
	ds_load_b128 v[60:63], v1 offset:1520
	s_waitcnt vmcnt(8) lgkmcnt(1)
	v_mul_f64 v[70:71], v[8:9], v[54:55]
	v_mul_f64 v[72:73], v[10:11], v[54:55]
	v_fma_f64 v[58:59], v[58:59], v[6:7], v[64:65]
	v_fma_f64 v[6:7], v[56:57], v[6:7], -v[66:67]
	scratch_load_b128 v[54:57], off, off offset:640
	ds_load_b128 v[64:67], v1 offset:1552
	v_add_f64 v[22:23], v[40:41], v[22:23]
	s_waitcnt vmcnt(8) lgkmcnt(1)
	v_mul_f64 v[40:41], v[60:61], v[44:45]
	v_add_f64 v[12:13], v[68:69], v[12:13]
	v_mul_f64 v[44:45], v[62:63], v[44:45]
	v_fma_f64 v[68:69], v[10:11], v[52:53], v[70:71]
	v_fma_f64 v[52:53], v[8:9], v[52:53], -v[72:73]
	v_add_f64 v[22:23], v[22:23], v[6:7]
	ds_load_b128 v[6:9], v1 offset:1536
	v_add_f64 v[58:59], v[12:13], v[58:59]
	scratch_load_b128 v[10:13], off, off offset:656
	v_fma_f64 v[62:63], v[62:63], v[42:43], v[40:41]
	v_fma_f64 v[44:45], v[60:61], v[42:43], -v[44:45]
	scratch_load_b128 v[40:43], off, off offset:672
	s_waitcnt vmcnt(9) lgkmcnt(0)
	v_mul_f64 v[70:71], v[6:7], v[48:49]
	v_mul_f64 v[48:49], v[8:9], v[48:49]
	v_add_f64 v[22:23], v[22:23], v[52:53]
	v_add_f64 v[52:53], v[58:59], v[68:69]
	s_waitcnt vmcnt(8)
	v_mul_f64 v[68:69], v[64:65], v[34:35]
	v_mul_f64 v[34:35], v[66:67], v[34:35]
	ds_load_b128 v[58:61], v1 offset:1584
	v_fma_f64 v[70:71], v[8:9], v[46:47], v[70:71]
	v_fma_f64 v[48:49], v[6:7], v[46:47], -v[48:49]
	ds_load_b128 v[6:9], v1 offset:1568
	v_add_f64 v[22:23], v[22:23], v[44:45]
	scratch_load_b128 v[44:47], off, off offset:688
	v_add_f64 v[52:53], v[52:53], v[62:63]
	v_fma_f64 v[66:67], v[66:67], v[32:33], v[68:69]
	v_fma_f64 v[64:65], v[64:65], v[32:33], -v[34:35]
	scratch_load_b128 v[32:35], off, off offset:704
	s_waitcnt vmcnt(8) lgkmcnt(0)
	v_mul_f64 v[62:63], v[6:7], v[38:39]
	v_mul_f64 v[38:39], v[8:9], v[38:39]
	v_add_f64 v[22:23], v[22:23], v[48:49]
	v_add_f64 v[48:49], v[52:53], v[70:71]
	v_mul_f64 v[52:53], v[58:59], v[26:27]
	v_mul_f64 v[26:27], v[60:61], v[26:27]
	v_fma_f64 v[68:69], v[8:9], v[36:37], v[62:63]
	v_fma_f64 v[70:71], v[6:7], v[36:37], -v[38:39]
	ds_load_b128 v[6:9], v1 offset:1600
	scratch_load_b128 v[36:39], off, off offset:720
	v_add_f64 v[22:23], v[22:23], v[64:65]
	ds_load_b128 v[62:65], v1 offset:1616
	v_add_f64 v[48:49], v[48:49], v[66:67]
	s_waitcnt vmcnt(8) lgkmcnt(1)
	v_mul_f64 v[66:67], v[6:7], v[30:31]
	v_mul_f64 v[30:31], v[8:9], v[30:31]
	v_fma_f64 v[52:53], v[60:61], v[24:25], v[52:53]
	v_fma_f64 v[26:27], v[58:59], v[24:25], -v[26:27]
	v_add_f64 v[58:59], v[22:23], v[70:71]
	scratch_load_b128 v[22:25], off, off offset:736
	v_add_f64 v[48:49], v[48:49], v[68:69]
	v_fma_f64 v[66:67], v[8:9], v[28:29], v[66:67]
	v_fma_f64 v[30:31], v[6:7], v[28:29], -v[30:31]
	ds_load_b128 v[6:9], v1 offset:1632
	s_waitcnt vmcnt(8) lgkmcnt(1)
	v_mul_f64 v[68:69], v[62:63], v[16:17]
	v_mul_f64 v[16:17], v[64:65], v[16:17]
	v_add_f64 v[70:71], v[58:59], v[26:27]
	ds_load_b128 v[58:61], v1 offset:1648
	v_add_f64 v[48:49], v[48:49], v[52:53]
	scratch_load_b128 v[26:29], off, off offset:752
	s_waitcnt vmcnt(8) lgkmcnt(1)
	v_mul_f64 v[52:53], v[6:7], v[20:21]
	v_mul_f64 v[20:21], v[8:9], v[20:21]
	v_fma_f64 v[64:65], v[64:65], v[14:15], v[68:69]
	v_fma_f64 v[62:63], v[62:63], v[14:15], -v[16:17]
	scratch_load_b128 v[14:17], off, off offset:768
	v_add_f64 v[30:31], v[70:71], v[30:31]
	v_add_f64 v[48:49], v[48:49], v[66:67]
	s_waitcnt vmcnt(8) lgkmcnt(0)
	v_mul_f64 v[66:67], v[58:59], v[56:57]
	v_mul_f64 v[56:57], v[60:61], v[56:57]
	v_fma_f64 v[52:53], v[8:9], v[18:19], v[52:53]
	v_fma_f64 v[68:69], v[6:7], v[18:19], -v[20:21]
	ds_load_b128 v[6:9], v1 offset:1664
	scratch_load_b128 v[18:21], off, off offset:784
	v_add_f64 v[30:31], v[30:31], v[62:63]
	v_add_f64 v[48:49], v[48:49], v[64:65]
	ds_load_b128 v[62:65], v1 offset:1680
	v_fma_f64 v[60:61], v[60:61], v[54:55], v[66:67]
	v_fma_f64 v[56:57], v[58:59], v[54:55], -v[56:57]
	s_waitcnt vmcnt(8) lgkmcnt(1)
	v_mul_f64 v[70:71], v[6:7], v[12:13]
	v_mul_f64 v[12:13], v[8:9], v[12:13]
	s_waitcnt vmcnt(7) lgkmcnt(0)
	v_mul_f64 v[66:67], v[62:63], v[42:43]
	v_mul_f64 v[42:43], v[64:65], v[42:43]
	v_add_f64 v[30:31], v[30:31], v[68:69]
	v_add_f64 v[48:49], v[48:49], v[52:53]
	scratch_load_b128 v[52:55], off, off offset:800
	v_fma_f64 v[68:69], v[8:9], v[10:11], v[70:71]
	v_fma_f64 v[70:71], v[6:7], v[10:11], -v[12:13]
	ds_load_b128 v[6:9], v1 offset:1696
	scratch_load_b128 v[10:13], off, off offset:816
	v_fma_f64 v[64:65], v[64:65], v[40:41], v[66:67]
	v_fma_f64 v[62:63], v[62:63], v[40:41], -v[42:43]
	scratch_load_b128 v[40:43], off, off offset:832
	v_add_f64 v[30:31], v[30:31], v[56:57]
	ds_load_b128 v[56:59], v1 offset:1712
	v_add_f64 v[48:49], v[48:49], v[60:61]
	s_waitcnt vmcnt(9) lgkmcnt(1)
	v_mul_f64 v[60:61], v[6:7], v[46:47]
	v_mul_f64 v[46:47], v[8:9], v[46:47]
	s_waitcnt vmcnt(8) lgkmcnt(0)
	v_mul_f64 v[66:67], v[56:57], v[34:35]
	v_mul_f64 v[34:35], v[58:59], v[34:35]
	v_add_f64 v[30:31], v[30:31], v[70:71]
	v_add_f64 v[48:49], v[48:49], v[68:69]
	v_fma_f64 v[68:69], v[8:9], v[44:45], v[60:61]
	v_fma_f64 v[70:71], v[6:7], v[44:45], -v[46:47]
	ds_load_b128 v[6:9], v1 offset:1728
	scratch_load_b128 v[44:47], off, off offset:848
	v_fma_f64 v[58:59], v[58:59], v[32:33], v[66:67]
	v_fma_f64 v[34:35], v[56:57], v[32:33], -v[34:35]
	v_add_f64 v[30:31], v[30:31], v[62:63]
	ds_load_b128 v[60:63], v1 offset:1744
	v_add_f64 v[48:49], v[48:49], v[64:65]
	s_waitcnt vmcnt(8) lgkmcnt(1)
	v_mul_f64 v[64:65], v[6:7], v[38:39]
	v_mul_f64 v[38:39], v[8:9], v[38:39]
	v_add_f64 v[56:57], v[30:31], v[70:71]
	scratch_load_b128 v[30:33], off, off offset:864
	v_add_f64 v[48:49], v[48:49], v[68:69]
	v_fma_f64 v[64:65], v[8:9], v[36:37], v[64:65]
	v_fma_f64 v[38:39], v[6:7], v[36:37], -v[38:39]
	ds_load_b128 v[6:9], v1 offset:1760
	s_waitcnt vmcnt(8) lgkmcnt(1)
	v_mul_f64 v[66:67], v[60:61], v[24:25]
	v_mul_f64 v[24:25], v[62:63], v[24:25]
	v_add_f64 v[68:69], v[56:57], v[34:35]
	scratch_load_b128 v[34:37], off, off offset:880
	v_add_f64 v[48:49], v[48:49], v[58:59]
	ds_load_b128 v[56:59], v1 offset:1776
	v_fma_f64 v[62:63], v[62:63], v[22:23], v[66:67]
	v_fma_f64 v[60:61], v[60:61], v[22:23], -v[24:25]
	scratch_load_b128 v[22:25], off, off offset:896
	s_waitcnt vmcnt(9) lgkmcnt(1)
	v_mul_f64 v[70:71], v[6:7], v[28:29]
	v_mul_f64 v[28:29], v[8:9], v[28:29]
	v_add_f64 v[38:39], v[68:69], v[38:39]
	v_add_f64 v[48:49], v[48:49], v[64:65]
	s_waitcnt vmcnt(8) lgkmcnt(0)
	v_mul_f64 v[64:65], v[56:57], v[16:17]
	v_mul_f64 v[16:17], v[58:59], v[16:17]
	v_fma_f64 v[66:67], v[8:9], v[26:27], v[70:71]
	v_fma_f64 v[68:69], v[6:7], v[26:27], -v[28:29]
	ds_load_b128 v[6:9], v1 offset:1792
	scratch_load_b128 v[26:29], off, off offset:912
	v_add_f64 v[38:39], v[38:39], v[60:61]
	v_add_f64 v[48:49], v[48:49], v[62:63]
	ds_load_b128 v[60:63], v1 offset:1808
	s_waitcnt vmcnt(8) lgkmcnt(1)
	v_mul_f64 v[70:71], v[6:7], v[20:21]
	v_mul_f64 v[20:21], v[8:9], v[20:21]
	v_fma_f64 v[58:59], v[58:59], v[14:15], v[64:65]
	v_fma_f64 v[56:57], v[56:57], v[14:15], -v[16:17]
	scratch_load_b128 v[14:17], off, off offset:928
	v_add_f64 v[38:39], v[38:39], v[68:69]
	v_add_f64 v[48:49], v[48:49], v[66:67]
	v_fma_f64 v[68:69], v[8:9], v[18:19], v[70:71]
	v_fma_f64 v[70:71], v[6:7], v[18:19], -v[20:21]
	ds_load_b128 v[6:9], v1 offset:1824
	scratch_load_b128 v[18:21], off, off offset:944
	s_waitcnt vmcnt(9) lgkmcnt(1)
	v_mul_f64 v[64:65], v[60:61], v[54:55]
	v_mul_f64 v[66:67], v[62:63], v[54:55]
	v_add_f64 v[38:39], v[38:39], v[56:57]
	ds_load_b128 v[54:57], v1 offset:1840
	v_add_f64 v[48:49], v[48:49], v[58:59]
	s_waitcnt vmcnt(8) lgkmcnt(1)
	v_mul_f64 v[72:73], v[6:7], v[12:13]
	v_mul_f64 v[12:13], v[8:9], v[12:13]
	v_fma_f64 v[62:63], v[62:63], v[52:53], v[64:65]
	v_fma_f64 v[52:53], v[60:61], v[52:53], -v[66:67]
	scratch_load_b128 v[58:61], off, off offset:960
	s_waitcnt vmcnt(8) lgkmcnt(0)
	v_mul_f64 v[66:67], v[54:55], v[42:43]
	v_mul_f64 v[42:43], v[56:57], v[42:43]
	v_add_f64 v[38:39], v[38:39], v[70:71]
	v_add_f64 v[48:49], v[48:49], v[68:69]
	v_fma_f64 v[68:69], v[8:9], v[10:11], v[72:73]
	v_fma_f64 v[70:71], v[6:7], v[10:11], -v[12:13]
	ds_load_b128 v[6:9], v1 offset:1856
	scratch_load_b128 v[10:13], off, off offset:976
	v_fma_f64 v[56:57], v[56:57], v[40:41], v[66:67]
	v_fma_f64 v[42:43], v[54:55], v[40:41], -v[42:43]
	v_add_f64 v[38:39], v[38:39], v[52:53]
	v_add_f64 v[48:49], v[48:49], v[62:63]
	ds_load_b128 v[62:65], v1 offset:1872
	s_waitcnt vmcnt(8) lgkmcnt(1)
	v_mul_f64 v[52:53], v[6:7], v[46:47]
	v_mul_f64 v[46:47], v[8:9], v[46:47]
	v_add_f64 v[54:55], v[38:39], v[70:71]
	scratch_load_b128 v[38:41], off, off offset:992
	v_add_f64 v[48:49], v[48:49], v[68:69]
	v_fma_f64 v[52:53], v[8:9], v[44:45], v[52:53]
	v_fma_f64 v[46:47], v[6:7], v[44:45], -v[46:47]
	s_waitcnt vmcnt(8) lgkmcnt(0)
	v_mul_f64 v[66:67], v[62:63], v[32:33]
	v_mul_f64 v[32:33], v[64:65], v[32:33]
	v_add_f64 v[54:55], v[54:55], v[42:43]
	ds_load_b128 v[6:9], v1 offset:1888
	ds_load_b128 v[42:45], v1 offset:1904
	v_add_f64 v[48:49], v[48:49], v[56:57]
	v_fma_f64 v[64:65], v[64:65], v[30:31], v[66:67]
	v_fma_f64 v[30:31], v[62:63], v[30:31], -v[32:33]
	s_waitcnt vmcnt(7) lgkmcnt(1)
	v_mul_f64 v[56:57], v[6:7], v[36:37]
	v_mul_f64 v[36:37], v[8:9], v[36:37]
	v_add_f64 v[32:33], v[54:55], v[46:47]
	v_add_f64 v[46:47], v[48:49], v[52:53]
	s_waitcnt vmcnt(6) lgkmcnt(0)
	v_mul_f64 v[48:49], v[42:43], v[24:25]
	v_mul_f64 v[24:25], v[44:45], v[24:25]
	v_fma_f64 v[52:53], v[8:9], v[34:35], v[56:57]
	v_fma_f64 v[34:35], v[6:7], v[34:35], -v[36:37]
	v_add_f64 v[36:37], v[32:33], v[30:31]
	ds_load_b128 v[6:9], v1 offset:1920
	ds_load_b128 v[30:33], v1 offset:1936
	v_add_f64 v[46:47], v[46:47], v[64:65]
	v_fma_f64 v[44:45], v[44:45], v[22:23], v[48:49]
	v_fma_f64 v[22:23], v[42:43], v[22:23], -v[24:25]
	s_waitcnt vmcnt(5) lgkmcnt(1)
	v_mul_f64 v[54:55], v[6:7], v[28:29]
	v_mul_f64 v[28:29], v[8:9], v[28:29]
	v_add_f64 v[24:25], v[36:37], v[34:35]
	s_waitcnt vmcnt(4) lgkmcnt(0)
	v_mul_f64 v[36:37], v[30:31], v[16:17]
	v_add_f64 v[34:35], v[46:47], v[52:53]
	v_mul_f64 v[16:17], v[32:33], v[16:17]
	v_fma_f64 v[42:43], v[8:9], v[26:27], v[54:55]
	v_fma_f64 v[26:27], v[6:7], v[26:27], -v[28:29]
	v_add_f64 v[28:29], v[24:25], v[22:23]
	ds_load_b128 v[6:9], v1 offset:1952
	ds_load_b128 v[22:25], v1 offset:1968
	v_add_f64 v[34:35], v[34:35], v[44:45]
	v_fma_f64 v[32:33], v[32:33], v[14:15], v[36:37]
	v_fma_f64 v[14:15], v[30:31], v[14:15], -v[16:17]
	s_waitcnt vmcnt(3) lgkmcnt(1)
	v_mul_f64 v[44:45], v[6:7], v[20:21]
	v_mul_f64 v[20:21], v[8:9], v[20:21]
	s_waitcnt vmcnt(2) lgkmcnt(0)
	v_mul_f64 v[30:31], v[24:25], v[60:61]
	v_add_f64 v[16:17], v[28:29], v[26:27]
	v_mul_f64 v[28:29], v[22:23], v[60:61]
	v_add_f64 v[26:27], v[34:35], v[42:43]
	v_fma_f64 v[34:35], v[8:9], v[18:19], v[44:45]
	v_fma_f64 v[18:19], v[6:7], v[18:19], -v[20:21]
	v_fma_f64 v[22:23], v[22:23], v[58:59], -v[30:31]
	v_add_f64 v[20:21], v[16:17], v[14:15]
	ds_load_b128 v[6:9], v1 offset:1984
	ds_load_b128 v[14:17], v1 offset:2000
	v_add_f64 v[26:27], v[26:27], v[32:33]
	v_fma_f64 v[24:25], v[24:25], v[58:59], v[28:29]
	s_waitcnt vmcnt(1) lgkmcnt(1)
	v_mul_f64 v[32:33], v[6:7], v[12:13]
	v_mul_f64 v[12:13], v[8:9], v[12:13]
	v_add_f64 v[18:19], v[20:21], v[18:19]
	v_add_f64 v[20:21], v[26:27], v[34:35]
	s_waitcnt vmcnt(0) lgkmcnt(0)
	v_mul_f64 v[26:27], v[14:15], v[40:41]
	v_mul_f64 v[28:29], v[16:17], v[40:41]
	v_fma_f64 v[8:9], v[8:9], v[10:11], v[32:33]
	v_fma_f64 v[6:7], v[6:7], v[10:11], -v[12:13]
	v_add_f64 v[10:11], v[18:19], v[22:23]
	v_add_f64 v[12:13], v[20:21], v[24:25]
	v_fma_f64 v[16:17], v[16:17], v[38:39], v[26:27]
	v_fma_f64 v[14:15], v[14:15], v[38:39], -v[28:29]
	s_delay_alu instid0(VALU_DEP_4) | instskip(NEXT) | instid1(VALU_DEP_4)
	v_add_f64 v[6:7], v[10:11], v[6:7]
	v_add_f64 v[8:9], v[12:13], v[8:9]
	s_delay_alu instid0(VALU_DEP_2) | instskip(NEXT) | instid1(VALU_DEP_2)
	v_add_f64 v[6:7], v[6:7], v[14:15]
	v_add_f64 v[8:9], v[8:9], v[16:17]
	s_delay_alu instid0(VALU_DEP_2) | instskip(NEXT) | instid1(VALU_DEP_2)
	v_add_f64 v[1:2], v[2:3], -v[6:7]
	v_add_f64 v[3:4], v[4:5], -v[8:9]
	scratch_store_b128 off, v[1:4], off offset:32
	v_cmpx_lt_u32_e32 1, v176
	s_cbranch_execz .LBB62_401
; %bb.400:
	v_add_nc_u32_e64 v1, 0, 16
	v_mov_b32_e32 v5, 0
	scratch_load_b128 v[1:4], v1, off
	v_mov_b32_e32 v6, v5
	v_mov_b32_e32 v7, v5
	;; [unrolled: 1-line block ×3, first 2 shown]
	scratch_store_b128 off, v[5:8], off offset:16
	s_waitcnt vmcnt(0)
	ds_store_b128 v255, v[1:4]
.LBB62_401:
	s_or_b32 exec_lo, exec_lo, s2
	s_waitcnt lgkmcnt(0)
	s_waitcnt_vscnt null, 0x0
	s_barrier
	buffer_gl0_inv
	s_clause 0x7
	scratch_load_b128 v[34:37], off, off offset:32
	scratch_load_b128 v[38:41], off, off offset:48
	;; [unrolled: 1-line block ×8, first 2 shown]
	v_mov_b32_e32 v1, 0
	s_mov_b32 s2, exec_lo
	ds_load_b128 v[46:49], v1 offset:1040
	s_clause 0x1
	scratch_load_b128 v[14:17], off, off offset:160
	scratch_load_b128 v[2:5], off, off offset:16
	ds_load_b128 v[42:45], v1 offset:1056
	scratch_load_b128 v[52:55], off, off offset:176
	s_waitcnt vmcnt(10) lgkmcnt(1)
	v_mul_f64 v[56:57], v[48:49], v[36:37]
	v_mul_f64 v[36:37], v[46:47], v[36:37]
	s_delay_alu instid0(VALU_DEP_2) | instskip(NEXT) | instid1(VALU_DEP_2)
	v_fma_f64 v[62:63], v[46:47], v[34:35], -v[56:57]
	v_fma_f64 v[64:65], v[48:49], v[34:35], v[36:37]
	scratch_load_b128 v[46:49], off, off offset:192
	ds_load_b128 v[34:37], v1 offset:1072
	s_waitcnt vmcnt(10) lgkmcnt(1)
	v_mul_f64 v[60:61], v[42:43], v[40:41]
	v_mul_f64 v[40:41], v[44:45], v[40:41]
	ds_load_b128 v[56:59], v1 offset:1088
	s_waitcnt vmcnt(9) lgkmcnt(1)
	v_mul_f64 v[66:67], v[34:35], v[32:33]
	v_mul_f64 v[32:33], v[36:37], v[32:33]
	v_fma_f64 v[44:45], v[44:45], v[38:39], v[60:61]
	v_fma_f64 v[42:43], v[42:43], v[38:39], -v[40:41]
	v_add_f64 v[60:61], v[62:63], 0
	v_add_f64 v[62:63], v[64:65], 0
	scratch_load_b128 v[38:41], off, off offset:208
	v_fma_f64 v[36:37], v[36:37], v[30:31], v[66:67]
	v_fma_f64 v[66:67], v[34:35], v[30:31], -v[32:33]
	scratch_load_b128 v[32:35], off, off offset:224
	v_add_f64 v[60:61], v[60:61], v[42:43]
	v_add_f64 v[62:63], v[62:63], v[44:45]
	ds_load_b128 v[42:45], v1 offset:1120
	s_waitcnt vmcnt(10) lgkmcnt(1)
	v_mul_f64 v[64:65], v[56:57], v[28:29]
	v_mul_f64 v[68:69], v[58:59], v[28:29]
	ds_load_b128 v[28:31], v1 offset:1104
	v_add_f64 v[60:61], v[60:61], v[66:67]
	v_add_f64 v[36:37], v[62:63], v[36:37]
	s_waitcnt vmcnt(8) lgkmcnt(1)
	v_mul_f64 v[62:63], v[42:43], v[20:21]
	v_fma_f64 v[58:59], v[58:59], v[26:27], v[64:65]
	v_fma_f64 v[56:57], v[56:57], v[26:27], -v[68:69]
	v_mul_f64 v[64:65], v[44:45], v[20:21]
	s_delay_alu instid0(VALU_DEP_4) | instskip(NEXT) | instid1(VALU_DEP_4)
	v_fma_f64 v[62:63], v[44:45], v[18:19], v[62:63]
	v_add_f64 v[36:37], v[36:37], v[58:59]
	s_delay_alu instid0(VALU_DEP_4)
	v_add_f64 v[60:61], v[60:61], v[56:57]
	ds_load_b128 v[56:59], v1 offset:1152
	s_waitcnt lgkmcnt(1)
	v_mul_f64 v[70:71], v[28:29], v[24:25]
	v_mul_f64 v[72:73], v[30:31], v[24:25]
	scratch_load_b128 v[24:27], off, off offset:240
	v_fma_f64 v[18:19], v[42:43], v[18:19], -v[64:65]
	scratch_load_b128 v[42:45], off, off offset:272
	s_waitcnt vmcnt(8) lgkmcnt(0)
	v_mul_f64 v[64:65], v[56:57], v[8:9]
	v_fma_f64 v[66:67], v[30:31], v[22:23], v[70:71]
	v_fma_f64 v[68:69], v[28:29], v[22:23], -v[72:73]
	ds_load_b128 v[20:23], v1 offset:1136
	scratch_load_b128 v[28:31], off, off offset:256
	v_fma_f64 v[64:65], v[58:59], v[6:7], v[64:65]
	v_add_f64 v[36:37], v[36:37], v[66:67]
	v_add_f64 v[60:61], v[60:61], v[68:69]
	v_mul_f64 v[66:67], v[58:59], v[8:9]
	s_delay_alu instid0(VALU_DEP_3) | instskip(NEXT) | instid1(VALU_DEP_3)
	v_add_f64 v[36:37], v[36:37], v[62:63]
	v_add_f64 v[68:69], v[60:61], v[18:19]
	ds_load_b128 v[60:63], v1 offset:1184
	s_waitcnt lgkmcnt(1)
	v_mul_f64 v[70:71], v[20:21], v[12:13]
	v_mul_f64 v[12:13], v[22:23], v[12:13]
	v_fma_f64 v[6:7], v[56:57], v[6:7], -v[66:67]
	scratch_load_b128 v[56:59], off, off offset:304
	v_fma_f64 v[22:23], v[22:23], v[10:11], v[70:71]
	v_fma_f64 v[12:13], v[20:21], v[10:11], -v[12:13]
	ds_load_b128 v[8:11], v1 offset:1168
	scratch_load_b128 v[18:21], off, off offset:288
	s_waitcnt vmcnt(10) lgkmcnt(0)
	v_mul_f64 v[70:71], v[8:9], v[16:17]
	v_mul_f64 v[16:17], v[10:11], v[16:17]
	v_add_f64 v[22:23], v[36:37], v[22:23]
	v_add_f64 v[12:13], v[68:69], v[12:13]
	s_waitcnt vmcnt(8)
	v_mul_f64 v[36:37], v[60:61], v[54:55]
	v_mul_f64 v[54:55], v[62:63], v[54:55]
	v_fma_f64 v[66:67], v[10:11], v[14:15], v[70:71]
	v_fma_f64 v[68:69], v[8:9], v[14:15], -v[16:17]
	ds_load_b128 v[14:17], v1 offset:1216
	v_add_f64 v[22:23], v[22:23], v[64:65]
	v_add_f64 v[70:71], v[12:13], v[6:7]
	scratch_load_b128 v[10:13], off, off offset:320
	ds_load_b128 v[6:9], v1 offset:1200
	v_fma_f64 v[36:37], v[62:63], v[52:53], v[36:37]
	v_fma_f64 v[60:61], v[60:61], v[52:53], -v[54:55]
	scratch_load_b128 v[52:55], off, off offset:336
	s_waitcnt vmcnt(9) lgkmcnt(0)
	v_mul_f64 v[64:65], v[6:7], v[48:49]
	v_mul_f64 v[48:49], v[8:9], v[48:49]
	v_add_f64 v[22:23], v[22:23], v[66:67]
	v_add_f64 v[62:63], v[70:71], v[68:69]
	s_waitcnt vmcnt(8)
	v_mul_f64 v[66:67], v[14:15], v[40:41]
	v_mul_f64 v[40:41], v[16:17], v[40:41]
	v_fma_f64 v[64:65], v[8:9], v[46:47], v[64:65]
	v_fma_f64 v[68:69], v[6:7], v[46:47], -v[48:49]
	scratch_load_b128 v[46:49], off, off offset:352
	ds_load_b128 v[6:9], v1 offset:1232
	v_add_f64 v[22:23], v[22:23], v[36:37]
	v_add_f64 v[70:71], v[62:63], v[60:61]
	ds_load_b128 v[60:63], v1 offset:1248
	v_fma_f64 v[66:67], v[16:17], v[38:39], v[66:67]
	v_fma_f64 v[38:39], v[14:15], v[38:39], -v[40:41]
	scratch_load_b128 v[14:17], off, off offset:368
	s_waitcnt vmcnt(9) lgkmcnt(1)
	v_mul_f64 v[36:37], v[6:7], v[34:35]
	v_mul_f64 v[34:35], v[8:9], v[34:35]
	v_add_f64 v[22:23], v[22:23], v[64:65]
	v_add_f64 v[40:41], v[70:71], v[68:69]
	s_waitcnt vmcnt(8) lgkmcnt(0)
	v_mul_f64 v[64:65], v[60:61], v[26:27]
	v_mul_f64 v[26:27], v[62:63], v[26:27]
	v_fma_f64 v[68:69], v[8:9], v[32:33], v[36:37]
	v_fma_f64 v[70:71], v[6:7], v[32:33], -v[34:35]
	scratch_load_b128 v[32:35], off, off offset:384
	ds_load_b128 v[6:9], v1 offset:1264
	v_add_f64 v[22:23], v[22:23], v[66:67]
	v_add_f64 v[40:41], v[40:41], v[38:39]
	ds_load_b128 v[36:39], v1 offset:1280
	s_waitcnt vmcnt(7) lgkmcnt(1)
	v_mul_f64 v[66:67], v[6:7], v[30:31]
	v_mul_f64 v[30:31], v[8:9], v[30:31]
	v_fma_f64 v[62:63], v[62:63], v[24:25], v[64:65]
	v_fma_f64 v[26:27], v[60:61], v[24:25], -v[26:27]
	s_waitcnt lgkmcnt(0)
	v_mul_f64 v[64:65], v[36:37], v[44:45]
	v_mul_f64 v[44:45], v[38:39], v[44:45]
	v_add_f64 v[60:61], v[22:23], v[68:69]
	v_add_f64 v[40:41], v[40:41], v[70:71]
	scratch_load_b128 v[22:25], off, off offset:400
	v_fma_f64 v[66:67], v[8:9], v[28:29], v[66:67]
	v_fma_f64 v[30:31], v[6:7], v[28:29], -v[30:31]
	ds_load_b128 v[6:9], v1 offset:1296
	v_fma_f64 v[64:65], v[38:39], v[42:43], v[64:65]
	v_fma_f64 v[42:43], v[36:37], v[42:43], -v[44:45]
	scratch_load_b128 v[36:39], off, off offset:432
	v_add_f64 v[68:69], v[60:61], v[62:63]
	v_add_f64 v[40:41], v[40:41], v[26:27]
	scratch_load_b128 v[26:29], off, off offset:416
	ds_load_b128 v[60:63], v1 offset:1312
	s_waitcnt vmcnt(8) lgkmcnt(1)
	v_mul_f64 v[70:71], v[6:7], v[20:21]
	v_mul_f64 v[20:21], v[8:9], v[20:21]
	s_waitcnt lgkmcnt(0)
	v_mul_f64 v[44:45], v[60:61], v[58:59]
	v_mul_f64 v[58:59], v[62:63], v[58:59]
	v_add_f64 v[30:31], v[40:41], v[30:31]
	v_add_f64 v[40:41], v[68:69], v[66:67]
	v_fma_f64 v[66:67], v[8:9], v[18:19], v[70:71]
	v_fma_f64 v[68:69], v[6:7], v[18:19], -v[20:21]
	scratch_load_b128 v[18:21], off, off offset:448
	ds_load_b128 v[6:9], v1 offset:1328
	v_fma_f64 v[44:45], v[62:63], v[56:57], v[44:45]
	v_fma_f64 v[60:61], v[60:61], v[56:57], -v[58:59]
	scratch_load_b128 v[56:59], off, off offset:464
	v_add_f64 v[30:31], v[30:31], v[42:43]
	v_add_f64 v[64:65], v[40:41], v[64:65]
	ds_load_b128 v[40:43], v1 offset:1344
	s_waitcnt vmcnt(9) lgkmcnt(1)
	v_mul_f64 v[70:71], v[6:7], v[12:13]
	v_mul_f64 v[12:13], v[8:9], v[12:13]
	v_add_f64 v[30:31], v[30:31], v[68:69]
	v_add_f64 v[62:63], v[64:65], v[66:67]
	s_waitcnt vmcnt(8) lgkmcnt(0)
	v_mul_f64 v[64:65], v[40:41], v[54:55]
	v_mul_f64 v[54:55], v[42:43], v[54:55]
	v_fma_f64 v[66:67], v[8:9], v[10:11], v[70:71]
	v_fma_f64 v[68:69], v[6:7], v[10:11], -v[12:13]
	scratch_load_b128 v[10:13], off, off offset:480
	ds_load_b128 v[6:9], v1 offset:1360
	v_add_f64 v[30:31], v[30:31], v[60:61]
	v_add_f64 v[44:45], v[62:63], v[44:45]
	ds_load_b128 v[60:63], v1 offset:1376
	s_waitcnt vmcnt(8) lgkmcnt(1)
	v_mul_f64 v[70:71], v[6:7], v[48:49]
	v_mul_f64 v[48:49], v[8:9], v[48:49]
	v_fma_f64 v[64:65], v[42:43], v[52:53], v[64:65]
	v_fma_f64 v[52:53], v[40:41], v[52:53], -v[54:55]
	scratch_load_b128 v[40:43], off, off offset:496
	v_add_f64 v[30:31], v[30:31], v[68:69]
	v_add_f64 v[44:45], v[44:45], v[66:67]
	s_waitcnt vmcnt(8) lgkmcnt(0)
	v_mul_f64 v[66:67], v[60:61], v[16:17]
	v_mul_f64 v[16:17], v[62:63], v[16:17]
	v_fma_f64 v[68:69], v[8:9], v[46:47], v[70:71]
	v_fma_f64 v[48:49], v[6:7], v[46:47], -v[48:49]
	ds_load_b128 v[6:9], v1 offset:1392
	v_add_f64 v[30:31], v[30:31], v[52:53]
	ds_load_b128 v[52:55], v1 offset:1408
	v_add_f64 v[64:65], v[44:45], v[64:65]
	scratch_load_b128 v[44:47], off, off offset:512
	s_waitcnt vmcnt(8) lgkmcnt(1)
	v_mul_f64 v[70:71], v[6:7], v[34:35]
	v_mul_f64 v[34:35], v[8:9], v[34:35]
	v_fma_f64 v[62:63], v[62:63], v[14:15], v[66:67]
	v_fma_f64 v[60:61], v[60:61], v[14:15], -v[16:17]
	scratch_load_b128 v[14:17], off, off offset:528
	v_add_f64 v[30:31], v[30:31], v[48:49]
	v_add_f64 v[48:49], v[64:65], v[68:69]
	v_fma_f64 v[66:67], v[8:9], v[32:33], v[70:71]
	v_fma_f64 v[34:35], v[6:7], v[32:33], -v[34:35]
	ds_load_b128 v[6:9], v1 offset:1424
	s_waitcnt vmcnt(8) lgkmcnt(1)
	v_mul_f64 v[64:65], v[52:53], v[24:25]
	v_mul_f64 v[24:25], v[54:55], v[24:25]
	v_add_f64 v[68:69], v[30:31], v[60:61]
	scratch_load_b128 v[30:33], off, off offset:544
	v_add_f64 v[48:49], v[48:49], v[62:63]
	ds_load_b128 v[60:63], v1 offset:1440
	s_waitcnt vmcnt(7) lgkmcnt(1)
	v_mul_f64 v[70:71], v[6:7], v[28:29]
	v_mul_f64 v[28:29], v[8:9], v[28:29]
	v_fma_f64 v[54:55], v[54:55], v[22:23], v[64:65]
	v_fma_f64 v[52:53], v[52:53], v[22:23], -v[24:25]
	scratch_load_b128 v[22:25], off, off offset:560
	s_waitcnt lgkmcnt(0)
	v_mul_f64 v[64:65], v[60:61], v[38:39]
	v_mul_f64 v[38:39], v[62:63], v[38:39]
	v_add_f64 v[34:35], v[68:69], v[34:35]
	v_add_f64 v[48:49], v[48:49], v[66:67]
	v_fma_f64 v[66:67], v[8:9], v[26:27], v[70:71]
	v_fma_f64 v[68:69], v[6:7], v[26:27], -v[28:29]
	scratch_load_b128 v[26:29], off, off offset:576
	ds_load_b128 v[6:9], v1 offset:1456
	v_fma_f64 v[62:63], v[62:63], v[36:37], v[64:65]
	v_fma_f64 v[38:39], v[60:61], v[36:37], -v[38:39]
	v_add_f64 v[34:35], v[34:35], v[52:53]
	v_add_f64 v[48:49], v[48:49], v[54:55]
	ds_load_b128 v[52:55], v1 offset:1472
	s_waitcnt vmcnt(8) lgkmcnt(1)
	v_mul_f64 v[70:71], v[6:7], v[20:21]
	v_mul_f64 v[20:21], v[8:9], v[20:21]
	s_waitcnt vmcnt(7) lgkmcnt(0)
	v_mul_f64 v[64:65], v[52:53], v[58:59]
	v_add_f64 v[60:61], v[34:35], v[68:69]
	scratch_load_b128 v[34:37], off, off offset:592
	v_add_f64 v[48:49], v[48:49], v[66:67]
	v_mul_f64 v[66:67], v[54:55], v[58:59]
	v_fma_f64 v[68:69], v[8:9], v[18:19], v[70:71]
	v_fma_f64 v[70:71], v[6:7], v[18:19], -v[20:21]
	scratch_load_b128 v[18:21], off, off offset:608
	ds_load_b128 v[6:9], v1 offset:1488
	v_fma_f64 v[64:65], v[54:55], v[56:57], v[64:65]
	v_add_f64 v[38:39], v[60:61], v[38:39]
	ds_load_b128 v[58:61], v1 offset:1504
	v_add_f64 v[48:49], v[48:49], v[62:63]
	s_waitcnt vmcnt(8) lgkmcnt(1)
	v_mul_f64 v[62:63], v[6:7], v[12:13]
	v_mul_f64 v[12:13], v[8:9], v[12:13]
	v_fma_f64 v[56:57], v[52:53], v[56:57], -v[66:67]
	scratch_load_b128 v[52:55], off, off offset:624
	s_waitcnt vmcnt(8) lgkmcnt(0)
	v_mul_f64 v[66:67], v[58:59], v[42:43]
	v_mul_f64 v[42:43], v[60:61], v[42:43]
	v_add_f64 v[38:39], v[38:39], v[70:71]
	v_add_f64 v[48:49], v[48:49], v[68:69]
	v_fma_f64 v[68:69], v[8:9], v[10:11], v[62:63]
	v_fma_f64 v[70:71], v[6:7], v[10:11], -v[12:13]
	scratch_load_b128 v[10:13], off, off offset:640
	ds_load_b128 v[6:9], v1 offset:1520
	v_fma_f64 v[60:61], v[60:61], v[40:41], v[66:67]
	v_fma_f64 v[42:43], v[58:59], v[40:41], -v[42:43]
	v_add_f64 v[38:39], v[38:39], v[56:57]
	v_add_f64 v[48:49], v[48:49], v[64:65]
	ds_load_b128 v[62:65], v1 offset:1536
	s_waitcnt vmcnt(8) lgkmcnt(1)
	v_mul_f64 v[56:57], v[6:7], v[46:47]
	v_mul_f64 v[46:47], v[8:9], v[46:47]
	s_waitcnt vmcnt(7) lgkmcnt(0)
	v_mul_f64 v[66:67], v[62:63], v[16:17]
	v_mul_f64 v[16:17], v[64:65], v[16:17]
	v_add_f64 v[58:59], v[38:39], v[70:71]
	scratch_load_b128 v[38:41], off, off offset:656
	v_add_f64 v[48:49], v[48:49], v[68:69]
	v_fma_f64 v[56:57], v[8:9], v[44:45], v[56:57]
	v_fma_f64 v[68:69], v[6:7], v[44:45], -v[46:47]
	ds_load_b128 v[6:9], v1 offset:1552
	v_fma_f64 v[64:65], v[64:65], v[14:15], v[66:67]
	v_fma_f64 v[62:63], v[62:63], v[14:15], -v[16:17]
	scratch_load_b128 v[14:17], off, off offset:688
	v_add_f64 v[58:59], v[58:59], v[42:43]
	scratch_load_b128 v[42:45], off, off offset:672
	v_add_f64 v[60:61], v[48:49], v[60:61]
	ds_load_b128 v[46:49], v1 offset:1568
	s_waitcnt vmcnt(9) lgkmcnt(1)
	v_mul_f64 v[70:71], v[6:7], v[32:33]
	v_mul_f64 v[32:33], v[8:9], v[32:33]
	v_add_f64 v[58:59], v[58:59], v[68:69]
	v_add_f64 v[56:57], v[60:61], v[56:57]
	s_waitcnt vmcnt(8) lgkmcnt(0)
	v_mul_f64 v[60:61], v[46:47], v[24:25]
	v_mul_f64 v[24:25], v[48:49], v[24:25]
	v_fma_f64 v[66:67], v[8:9], v[30:31], v[70:71]
	v_fma_f64 v[68:69], v[6:7], v[30:31], -v[32:33]
	scratch_load_b128 v[30:33], off, off offset:704
	ds_load_b128 v[6:9], v1 offset:1584
	v_add_f64 v[62:63], v[58:59], v[62:63]
	v_add_f64 v[64:65], v[56:57], v[64:65]
	ds_load_b128 v[56:59], v1 offset:1600
	s_waitcnt vmcnt(8) lgkmcnt(1)
	v_mul_f64 v[70:71], v[6:7], v[28:29]
	v_mul_f64 v[28:29], v[8:9], v[28:29]
	v_fma_f64 v[48:49], v[48:49], v[22:23], v[60:61]
	v_fma_f64 v[46:47], v[46:47], v[22:23], -v[24:25]
	scratch_load_b128 v[22:25], off, off offset:720
	v_add_f64 v[60:61], v[62:63], v[68:69]
	v_add_f64 v[62:63], v[64:65], v[66:67]
	v_fma_f64 v[66:67], v[8:9], v[26:27], v[70:71]
	v_fma_f64 v[68:69], v[6:7], v[26:27], -v[28:29]
	scratch_load_b128 v[26:29], off, off offset:736
	ds_load_b128 v[6:9], v1 offset:1616
	s_waitcnt vmcnt(9) lgkmcnt(1)
	v_mul_f64 v[64:65], v[56:57], v[36:37]
	v_mul_f64 v[36:37], v[58:59], v[36:37]
	v_add_f64 v[60:61], v[60:61], v[46:47]
	v_add_f64 v[62:63], v[62:63], v[48:49]
	ds_load_b128 v[46:49], v1 offset:1632
	s_waitcnt vmcnt(8) lgkmcnt(1)
	v_mul_f64 v[70:71], v[6:7], v[20:21]
	v_mul_f64 v[20:21], v[8:9], v[20:21]
	v_fma_f64 v[58:59], v[58:59], v[34:35], v[64:65]
	v_fma_f64 v[56:57], v[56:57], v[34:35], -v[36:37]
	scratch_load_b128 v[34:37], off, off offset:752
	s_waitcnt vmcnt(8) lgkmcnt(0)
	v_mul_f64 v[64:65], v[46:47], v[54:55]
	v_add_f64 v[60:61], v[60:61], v[68:69]
	v_add_f64 v[62:63], v[62:63], v[66:67]
	v_mul_f64 v[66:67], v[48:49], v[54:55]
	v_fma_f64 v[68:69], v[8:9], v[18:19], v[70:71]
	v_fma_f64 v[70:71], v[6:7], v[18:19], -v[20:21]
	scratch_load_b128 v[18:21], off, off offset:768
	ds_load_b128 v[6:9], v1 offset:1648
	v_fma_f64 v[64:65], v[48:49], v[52:53], v[64:65]
	v_add_f64 v[60:61], v[60:61], v[56:57]
	ds_load_b128 v[54:57], v1 offset:1664
	v_add_f64 v[58:59], v[62:63], v[58:59]
	s_waitcnt vmcnt(8) lgkmcnt(1)
	v_mul_f64 v[62:63], v[6:7], v[12:13]
	v_mul_f64 v[12:13], v[8:9], v[12:13]
	v_fma_f64 v[52:53], v[46:47], v[52:53], -v[66:67]
	scratch_load_b128 v[46:49], off, off offset:784
	v_add_f64 v[60:61], v[60:61], v[70:71]
	v_add_f64 v[58:59], v[58:59], v[68:69]
	v_fma_f64 v[62:63], v[8:9], v[10:11], v[62:63]
	v_fma_f64 v[68:69], v[6:7], v[10:11], -v[12:13]
	scratch_load_b128 v[10:13], off, off offset:800
	ds_load_b128 v[6:9], v1 offset:1680
	s_waitcnt vmcnt(9) lgkmcnt(1)
	v_mul_f64 v[66:67], v[54:55], v[40:41]
	v_mul_f64 v[40:41], v[56:57], v[40:41]
	v_add_f64 v[52:53], v[60:61], v[52:53]
	v_add_f64 v[64:65], v[58:59], v[64:65]
	ds_load_b128 v[58:61], v1 offset:1696
	s_waitcnt vmcnt(7) lgkmcnt(1)
	v_mul_f64 v[70:71], v[6:7], v[44:45]
	v_mul_f64 v[44:45], v[8:9], v[44:45]
	v_fma_f64 v[56:57], v[56:57], v[38:39], v[66:67]
	v_fma_f64 v[54:55], v[54:55], v[38:39], -v[40:41]
	scratch_load_b128 v[38:41], off, off offset:816
	v_add_f64 v[52:53], v[52:53], v[68:69]
	v_add_f64 v[62:63], v[64:65], v[62:63]
	s_waitcnt lgkmcnt(0)
	v_mul_f64 v[64:65], v[58:59], v[16:17]
	v_mul_f64 v[16:17], v[60:61], v[16:17]
	v_fma_f64 v[66:67], v[8:9], v[42:43], v[70:71]
	v_fma_f64 v[68:69], v[6:7], v[42:43], -v[44:45]
	scratch_load_b128 v[42:45], off, off offset:832
	ds_load_b128 v[6:9], v1 offset:1712
	v_add_f64 v[70:71], v[52:53], v[54:55]
	ds_load_b128 v[52:55], v1 offset:1728
	v_add_f64 v[56:57], v[62:63], v[56:57]
	s_waitcnt vmcnt(8) lgkmcnt(1)
	v_mul_f64 v[62:63], v[6:7], v[32:33]
	v_mul_f64 v[32:33], v[8:9], v[32:33]
	v_fma_f64 v[60:61], v[60:61], v[14:15], v[64:65]
	v_fma_f64 v[58:59], v[58:59], v[14:15], -v[16:17]
	scratch_load_b128 v[14:17], off, off offset:848
	v_add_f64 v[64:65], v[70:71], v[68:69]
	v_add_f64 v[56:57], v[56:57], v[66:67]
	s_waitcnt vmcnt(8) lgkmcnt(0)
	v_mul_f64 v[66:67], v[52:53], v[24:25]
	v_mul_f64 v[24:25], v[54:55], v[24:25]
	v_fma_f64 v[62:63], v[8:9], v[30:31], v[62:63]
	v_fma_f64 v[68:69], v[6:7], v[30:31], -v[32:33]
	scratch_load_b128 v[30:33], off, off offset:864
	ds_load_b128 v[6:9], v1 offset:1744
	v_add_f64 v[64:65], v[64:65], v[58:59]
	v_add_f64 v[60:61], v[56:57], v[60:61]
	ds_load_b128 v[56:59], v1 offset:1760
	s_waitcnt vmcnt(8) lgkmcnt(1)
	v_mul_f64 v[70:71], v[6:7], v[28:29]
	v_mul_f64 v[28:29], v[8:9], v[28:29]
	v_fma_f64 v[54:55], v[54:55], v[22:23], v[66:67]
	v_fma_f64 v[52:53], v[52:53], v[22:23], -v[24:25]
	scratch_load_b128 v[22:25], off, off offset:880
	v_add_f64 v[64:65], v[64:65], v[68:69]
	v_add_f64 v[60:61], v[60:61], v[62:63]
	s_waitcnt vmcnt(8) lgkmcnt(0)
	v_mul_f64 v[62:63], v[56:57], v[36:37]
	v_mul_f64 v[36:37], v[58:59], v[36:37]
	v_fma_f64 v[66:67], v[8:9], v[26:27], v[70:71]
	v_fma_f64 v[68:69], v[6:7], v[26:27], -v[28:29]
	scratch_load_b128 v[26:29], off, off offset:896
	ds_load_b128 v[6:9], v1 offset:1776
	v_add_f64 v[64:65], v[64:65], v[52:53]
	v_add_f64 v[60:61], v[60:61], v[54:55]
	ds_load_b128 v[52:55], v1 offset:1792
	s_waitcnt vmcnt(8) lgkmcnt(1)
	v_mul_f64 v[70:71], v[6:7], v[20:21]
	v_mul_f64 v[20:21], v[8:9], v[20:21]
	v_fma_f64 v[58:59], v[58:59], v[34:35], v[62:63]
	v_fma_f64 v[56:57], v[56:57], v[34:35], -v[36:37]
	scratch_load_b128 v[34:37], off, off offset:912
	v_add_f64 v[62:63], v[64:65], v[68:69]
	s_waitcnt vmcnt(8) lgkmcnt(0)
	v_mul_f64 v[64:65], v[52:53], v[48:49]
	v_add_f64 v[60:61], v[60:61], v[66:67]
	v_mul_f64 v[48:49], v[54:55], v[48:49]
	v_fma_f64 v[66:67], v[8:9], v[18:19], v[70:71]
	v_fma_f64 v[68:69], v[6:7], v[18:19], -v[20:21]
	scratch_load_b128 v[18:21], off, off offset:928
	ds_load_b128 v[6:9], v1 offset:1808
	v_add_f64 v[62:63], v[62:63], v[56:57]
	v_fma_f64 v[54:55], v[54:55], v[46:47], v[64:65]
	v_add_f64 v[60:61], v[60:61], v[58:59]
	ds_load_b128 v[56:59], v1 offset:1824
	s_waitcnt vmcnt(8) lgkmcnt(1)
	v_mul_f64 v[70:71], v[6:7], v[12:13]
	v_mul_f64 v[12:13], v[8:9], v[12:13]
	v_fma_f64 v[52:53], v[52:53], v[46:47], -v[48:49]
	scratch_load_b128 v[46:49], off, off offset:944
	s_waitcnt vmcnt(8) lgkmcnt(0)
	v_mul_f64 v[64:65], v[56:57], v[40:41]
	v_add_f64 v[62:63], v[62:63], v[68:69]
	v_mul_f64 v[40:41], v[58:59], v[40:41]
	v_add_f64 v[60:61], v[60:61], v[66:67]
	v_fma_f64 v[66:67], v[8:9], v[10:11], v[70:71]
	v_fma_f64 v[68:69], v[6:7], v[10:11], -v[12:13]
	scratch_load_b128 v[10:13], off, off offset:960
	ds_load_b128 v[6:9], v1 offset:1840
	v_fma_f64 v[58:59], v[58:59], v[38:39], v[64:65]
	v_add_f64 v[62:63], v[62:63], v[52:53]
	v_fma_f64 v[56:57], v[56:57], v[38:39], -v[40:41]
	v_add_f64 v[60:61], v[60:61], v[54:55]
	ds_load_b128 v[52:55], v1 offset:1856
	s_waitcnt vmcnt(8) lgkmcnt(1)
	v_mul_f64 v[70:71], v[6:7], v[44:45]
	v_mul_f64 v[44:45], v[8:9], v[44:45]
	scratch_load_b128 v[38:41], off, off offset:976
	s_waitcnt vmcnt(8) lgkmcnt(0)
	v_mul_f64 v[64:65], v[52:53], v[16:17]
	v_mul_f64 v[16:17], v[54:55], v[16:17]
	v_add_f64 v[62:63], v[62:63], v[68:69]
	v_add_f64 v[60:61], v[60:61], v[66:67]
	v_fma_f64 v[66:67], v[8:9], v[42:43], v[70:71]
	v_fma_f64 v[68:69], v[6:7], v[42:43], -v[44:45]
	scratch_load_b128 v[42:45], off, off offset:992
	ds_load_b128 v[6:9], v1 offset:1872
	v_fma_f64 v[54:55], v[54:55], v[14:15], v[64:65]
	v_fma_f64 v[14:15], v[52:53], v[14:15], -v[16:17]
	v_add_f64 v[62:63], v[62:63], v[56:57]
	v_add_f64 v[60:61], v[60:61], v[58:59]
	ds_load_b128 v[56:59], v1 offset:1888
	s_waitcnt vmcnt(8) lgkmcnt(1)
	v_mul_f64 v[70:71], v[6:7], v[32:33]
	v_mul_f64 v[32:33], v[8:9], v[32:33]
	v_add_f64 v[16:17], v[62:63], v[68:69]
	v_add_f64 v[52:53], v[60:61], v[66:67]
	s_waitcnt vmcnt(7) lgkmcnt(0)
	v_mul_f64 v[60:61], v[56:57], v[24:25]
	v_mul_f64 v[24:25], v[58:59], v[24:25]
	v_fma_f64 v[62:63], v[8:9], v[30:31], v[70:71]
	v_fma_f64 v[30:31], v[6:7], v[30:31], -v[32:33]
	v_add_f64 v[32:33], v[16:17], v[14:15]
	ds_load_b128 v[6:9], v1 offset:1904
	ds_load_b128 v[14:17], v1 offset:1920
	v_add_f64 v[52:53], v[52:53], v[54:55]
	v_fma_f64 v[58:59], v[58:59], v[22:23], v[60:61]
	v_fma_f64 v[22:23], v[56:57], v[22:23], -v[24:25]
	s_waitcnt vmcnt(6) lgkmcnt(1)
	v_mul_f64 v[54:55], v[6:7], v[28:29]
	v_mul_f64 v[28:29], v[8:9], v[28:29]
	v_add_f64 v[24:25], v[32:33], v[30:31]
	s_waitcnt vmcnt(5) lgkmcnt(0)
	v_mul_f64 v[32:33], v[14:15], v[36:37]
	v_add_f64 v[30:31], v[52:53], v[62:63]
	v_mul_f64 v[36:37], v[16:17], v[36:37]
	v_fma_f64 v[52:53], v[8:9], v[26:27], v[54:55]
	v_fma_f64 v[26:27], v[6:7], v[26:27], -v[28:29]
	v_add_f64 v[28:29], v[24:25], v[22:23]
	ds_load_b128 v[6:9], v1 offset:1936
	ds_load_b128 v[22:25], v1 offset:1952
	v_add_f64 v[30:31], v[30:31], v[58:59]
	v_fma_f64 v[16:17], v[16:17], v[34:35], v[32:33]
	v_fma_f64 v[14:15], v[14:15], v[34:35], -v[36:37]
	s_waitcnt vmcnt(4) lgkmcnt(1)
	v_mul_f64 v[54:55], v[6:7], v[20:21]
	v_mul_f64 v[20:21], v[8:9], v[20:21]
	s_waitcnt vmcnt(3) lgkmcnt(0)
	v_mul_f64 v[32:33], v[24:25], v[48:49]
	v_add_f64 v[26:27], v[28:29], v[26:27]
	v_add_f64 v[28:29], v[30:31], v[52:53]
	v_mul_f64 v[30:31], v[22:23], v[48:49]
	v_fma_f64 v[34:35], v[8:9], v[18:19], v[54:55]
	v_fma_f64 v[18:19], v[6:7], v[18:19], -v[20:21]
	v_fma_f64 v[22:23], v[22:23], v[46:47], -v[32:33]
	v_add_f64 v[20:21], v[26:27], v[14:15]
	v_add_f64 v[26:27], v[28:29], v[16:17]
	ds_load_b128 v[6:9], v1 offset:1968
	ds_load_b128 v[14:17], v1 offset:1984
	v_fma_f64 v[24:25], v[24:25], v[46:47], v[30:31]
	s_waitcnt vmcnt(2) lgkmcnt(1)
	v_mul_f64 v[28:29], v[6:7], v[12:13]
	v_mul_f64 v[12:13], v[8:9], v[12:13]
	s_waitcnt vmcnt(1) lgkmcnt(0)
	v_mul_f64 v[30:31], v[16:17], v[40:41]
	v_add_f64 v[18:19], v[20:21], v[18:19]
	v_add_f64 v[20:21], v[26:27], v[34:35]
	v_mul_f64 v[26:27], v[14:15], v[40:41]
	v_fma_f64 v[28:29], v[8:9], v[10:11], v[28:29]
	v_fma_f64 v[10:11], v[6:7], v[10:11], -v[12:13]
	ds_load_b128 v[6:9], v1 offset:2000
	v_fma_f64 v[14:15], v[14:15], v[38:39], -v[30:31]
	v_add_f64 v[12:13], v[18:19], v[22:23]
	v_add_f64 v[18:19], v[20:21], v[24:25]
	v_fma_f64 v[16:17], v[16:17], v[38:39], v[26:27]
	s_waitcnt vmcnt(0) lgkmcnt(0)
	v_mul_f64 v[20:21], v[6:7], v[44:45]
	v_mul_f64 v[22:23], v[8:9], v[44:45]
	v_add_f64 v[10:11], v[12:13], v[10:11]
	v_add_f64 v[12:13], v[18:19], v[28:29]
	s_delay_alu instid0(VALU_DEP_4) | instskip(NEXT) | instid1(VALU_DEP_4)
	v_fma_f64 v[8:9], v[8:9], v[42:43], v[20:21]
	v_fma_f64 v[6:7], v[6:7], v[42:43], -v[22:23]
	s_delay_alu instid0(VALU_DEP_4) | instskip(NEXT) | instid1(VALU_DEP_4)
	v_add_f64 v[10:11], v[10:11], v[14:15]
	v_add_f64 v[12:13], v[12:13], v[16:17]
	s_delay_alu instid0(VALU_DEP_2) | instskip(NEXT) | instid1(VALU_DEP_2)
	v_add_f64 v[6:7], v[10:11], v[6:7]
	v_add_f64 v[8:9], v[12:13], v[8:9]
	s_delay_alu instid0(VALU_DEP_2) | instskip(NEXT) | instid1(VALU_DEP_2)
	v_add_f64 v[2:3], v[2:3], -v[6:7]
	v_add_f64 v[4:5], v[4:5], -v[8:9]
	scratch_store_b128 off, v[2:5], off offset:16
	v_cmpx_ne_u32_e32 0, v176
	s_cbranch_execz .LBB62_403
; %bb.402:
	scratch_load_b128 v[5:8], off, off
	v_mov_b32_e32 v2, v1
	v_mov_b32_e32 v3, v1
	;; [unrolled: 1-line block ×3, first 2 shown]
	scratch_store_b128 off, v[1:4], off
	s_waitcnt vmcnt(0)
	ds_store_b128 v255, v[5:8]
.LBB62_403:
	s_or_b32 exec_lo, exec_lo, s2
	s_waitcnt lgkmcnt(0)
	s_waitcnt_vscnt null, 0x0
	s_barrier
	buffer_gl0_inv
	s_clause 0x8
	scratch_load_b128 v[30:33], off, off offset:16
	scratch_load_b128 v[34:37], off, off offset:32
	;; [unrolled: 1-line block ×9, first 2 shown]
	ds_load_b128 v[46:49], v1 offset:1024
	ds_load_b128 v[42:45], v1 offset:1040
	s_clause 0x1
	scratch_load_b128 v[2:5], off, off
	scratch_load_b128 v[52:55], off, off offset:160
	s_and_b32 vcc_lo, exec_lo, s20
	s_waitcnt vmcnt(10) lgkmcnt(1)
	v_mul_f64 v[56:57], v[48:49], v[32:33]
	v_mul_f64 v[32:33], v[46:47], v[32:33]
	s_waitcnt vmcnt(9) lgkmcnt(0)
	v_mul_f64 v[60:61], v[42:43], v[36:37]
	v_mul_f64 v[36:37], v[44:45], v[36:37]
	s_delay_alu instid0(VALU_DEP_4) | instskip(NEXT) | instid1(VALU_DEP_4)
	v_fma_f64 v[62:63], v[46:47], v[30:31], -v[56:57]
	v_fma_f64 v[64:65], v[48:49], v[30:31], v[32:33]
	ds_load_b128 v[30:33], v1 offset:1056
	ds_load_b128 v[56:59], v1 offset:1072
	scratch_load_b128 v[46:49], off, off offset:176
	v_fma_f64 v[44:45], v[44:45], v[34:35], v[60:61]
	v_fma_f64 v[42:43], v[42:43], v[34:35], -v[36:37]
	scratch_load_b128 v[34:37], off, off offset:192
	s_waitcnt vmcnt(10) lgkmcnt(1)
	v_mul_f64 v[66:67], v[30:31], v[40:41]
	v_mul_f64 v[40:41], v[32:33], v[40:41]
	s_waitcnt vmcnt(9) lgkmcnt(0)
	v_mul_f64 v[68:69], v[58:59], v[28:29]
	v_add_f64 v[60:61], v[62:63], 0
	v_add_f64 v[62:63], v[64:65], 0
	v_mul_f64 v[64:65], v[56:57], v[28:29]
	v_fma_f64 v[32:33], v[32:33], v[38:39], v[66:67]
	v_fma_f64 v[66:67], v[30:31], v[38:39], -v[40:41]
	ds_load_b128 v[28:31], v1 offset:1088
	scratch_load_b128 v[38:41], off, off offset:208
	v_fma_f64 v[56:57], v[56:57], v[26:27], -v[68:69]
	v_add_f64 v[60:61], v[60:61], v[42:43]
	v_add_f64 v[62:63], v[62:63], v[44:45]
	ds_load_b128 v[42:45], v1 offset:1104
	v_fma_f64 v[58:59], v[58:59], v[26:27], v[64:65]
	s_waitcnt vmcnt(9) lgkmcnt(1)
	v_mul_f64 v[70:71], v[28:29], v[24:25]
	v_mul_f64 v[72:73], v[30:31], v[24:25]
	scratch_load_b128 v[24:27], off, off offset:224
	s_waitcnt vmcnt(9) lgkmcnt(0)
	v_mul_f64 v[64:65], v[44:45], v[20:21]
	v_add_f64 v[60:61], v[60:61], v[66:67]
	v_add_f64 v[32:33], v[62:63], v[32:33]
	v_mul_f64 v[62:63], v[42:43], v[20:21]
	v_fma_f64 v[66:67], v[30:31], v[22:23], v[70:71]
	v_fma_f64 v[68:69], v[28:29], v[22:23], -v[72:73]
	ds_load_b128 v[20:23], v1 offset:1120
	scratch_load_b128 v[28:31], off, off offset:240
	v_fma_f64 v[42:43], v[42:43], v[18:19], -v[64:65]
	v_add_f64 v[60:61], v[60:61], v[56:57]
	v_add_f64 v[32:33], v[32:33], v[58:59]
	ds_load_b128 v[56:59], v1 offset:1136
	s_waitcnt vmcnt(9) lgkmcnt(1)
	v_mul_f64 v[70:71], v[20:21], v[16:17]
	v_mul_f64 v[72:73], v[22:23], v[16:17]
	v_fma_f64 v[44:45], v[44:45], v[18:19], v[62:63]
	scratch_load_b128 v[16:19], off, off offset:256
	s_waitcnt vmcnt(9) lgkmcnt(0)
	v_mul_f64 v[62:63], v[56:57], v[12:13]
	v_mul_f64 v[64:65], v[58:59], v[12:13]
	v_add_f64 v[60:61], v[60:61], v[68:69]
	v_add_f64 v[32:33], v[32:33], v[66:67]
	v_fma_f64 v[66:67], v[22:23], v[14:15], v[70:71]
	v_fma_f64 v[68:69], v[20:21], v[14:15], -v[72:73]
	ds_load_b128 v[12:15], v1 offset:1152
	scratch_load_b128 v[20:23], off, off offset:272
	v_fma_f64 v[58:59], v[58:59], v[10:11], v[62:63]
	v_fma_f64 v[56:57], v[56:57], v[10:11], -v[64:65]
	v_add_f64 v[60:61], v[60:61], v[42:43]
	v_add_f64 v[32:33], v[32:33], v[44:45]
	ds_load_b128 v[42:45], v1 offset:1168
	s_waitcnt vmcnt(9) lgkmcnt(1)
	v_mul_f64 v[70:71], v[12:13], v[8:9]
	v_mul_f64 v[72:73], v[14:15], v[8:9]
	scratch_load_b128 v[8:11], off, off offset:288
	s_waitcnt vmcnt(8) lgkmcnt(0)
	v_mul_f64 v[62:63], v[42:43], v[54:55]
	v_mul_f64 v[64:65], v[44:45], v[54:55]
	v_add_f64 v[60:61], v[60:61], v[68:69]
	v_add_f64 v[32:33], v[32:33], v[66:67]
	v_fma_f64 v[66:67], v[14:15], v[6:7], v[70:71]
	v_fma_f64 v[6:7], v[12:13], v[6:7], -v[72:73]
	ds_load_b128 v[12:15], v1 offset:1184
	v_fma_f64 v[62:63], v[44:45], v[52:53], v[62:63]
	v_fma_f64 v[52:53], v[42:43], v[52:53], -v[64:65]
	scratch_load_b128 v[42:45], off, off offset:320
	v_add_f64 v[68:69], v[60:61], v[56:57]
	v_add_f64 v[32:33], v[32:33], v[58:59]
	ds_load_b128 v[58:61], v1 offset:1200
	scratch_load_b128 v[54:57], off, off offset:304
	s_waitcnt vmcnt(9) lgkmcnt(1)
	v_mul_f64 v[70:71], v[12:13], v[48:49]
	v_mul_f64 v[48:49], v[14:15], v[48:49]
	v_add_f64 v[6:7], v[68:69], v[6:7]
	v_add_f64 v[32:33], v[32:33], v[66:67]
	s_waitcnt vmcnt(8) lgkmcnt(0)
	v_mul_f64 v[66:67], v[58:59], v[36:37]
	v_mul_f64 v[36:37], v[60:61], v[36:37]
	v_fma_f64 v[68:69], v[14:15], v[46:47], v[70:71]
	v_fma_f64 v[70:71], v[12:13], v[46:47], -v[48:49]
	ds_load_b128 v[12:15], v1 offset:1216
	scratch_load_b128 v[46:49], off, off offset:336
	v_add_f64 v[6:7], v[6:7], v[52:53]
	v_add_f64 v[32:33], v[32:33], v[62:63]
	ds_load_b128 v[62:65], v1 offset:1232
	v_fma_f64 v[60:61], v[60:61], v[34:35], v[66:67]
	s_waitcnt vmcnt(8) lgkmcnt(1)
	v_mul_f64 v[52:53], v[12:13], v[40:41]
	v_mul_f64 v[40:41], v[14:15], v[40:41]
	v_fma_f64 v[36:37], v[58:59], v[34:35], -v[36:37]
	s_waitcnt vmcnt(7) lgkmcnt(0)
	v_mul_f64 v[66:67], v[62:63], v[26:27]
	v_mul_f64 v[26:27], v[64:65], v[26:27]
	v_add_f64 v[6:7], v[6:7], v[70:71]
	v_add_f64 v[58:59], v[32:33], v[68:69]
	scratch_load_b128 v[32:35], off, off offset:352
	v_fma_f64 v[52:53], v[14:15], v[38:39], v[52:53]
	v_fma_f64 v[40:41], v[12:13], v[38:39], -v[40:41]
	ds_load_b128 v[12:15], v1 offset:1248
	v_fma_f64 v[64:65], v[64:65], v[24:25], v[66:67]
	v_fma_f64 v[62:63], v[62:63], v[24:25], -v[26:27]
	scratch_load_b128 v[24:27], off, off offset:384
	v_add_f64 v[6:7], v[6:7], v[36:37]
	v_add_f64 v[68:69], v[58:59], v[60:61]
	ds_load_b128 v[58:61], v1 offset:1264
	scratch_load_b128 v[36:39], off, off offset:368
	s_waitcnt vmcnt(9) lgkmcnt(1)
	v_mul_f64 v[70:71], v[12:13], v[30:31]
	v_mul_f64 v[30:31], v[14:15], v[30:31]
	v_add_f64 v[6:7], v[6:7], v[40:41]
	v_add_f64 v[40:41], v[68:69], v[52:53]
	s_waitcnt vmcnt(8) lgkmcnt(0)
	v_mul_f64 v[52:53], v[58:59], v[18:19]
	v_mul_f64 v[18:19], v[60:61], v[18:19]
	v_fma_f64 v[66:67], v[14:15], v[28:29], v[70:71]
	v_fma_f64 v[68:69], v[12:13], v[28:29], -v[30:31]
	ds_load_b128 v[12:15], v1 offset:1280
	scratch_load_b128 v[28:31], off, off offset:400
	v_add_f64 v[6:7], v[6:7], v[62:63]
	v_add_f64 v[40:41], v[40:41], v[64:65]
	ds_load_b128 v[62:65], v1 offset:1296
	s_waitcnt vmcnt(8) lgkmcnt(1)
	v_mul_f64 v[70:71], v[12:13], v[22:23]
	v_mul_f64 v[22:23], v[14:15], v[22:23]
	v_fma_f64 v[52:53], v[60:61], v[16:17], v[52:53]
	v_fma_f64 v[58:59], v[58:59], v[16:17], -v[18:19]
	scratch_load_b128 v[16:19], off, off offset:416
	v_add_f64 v[6:7], v[6:7], v[68:69]
	v_add_f64 v[40:41], v[40:41], v[66:67]
	s_waitcnt vmcnt(8) lgkmcnt(0)
	v_mul_f64 v[66:67], v[62:63], v[10:11]
	v_mul_f64 v[68:69], v[64:65], v[10:11]
	v_fma_f64 v[14:15], v[14:15], v[20:21], v[70:71]
	v_fma_f64 v[70:71], v[12:13], v[20:21], -v[22:23]
	ds_load_b128 v[10:13], v1 offset:1312
	scratch_load_b128 v[20:23], off, off offset:432
	v_add_f64 v[6:7], v[6:7], v[58:59]
	v_add_f64 v[40:41], v[40:41], v[52:53]
	ds_load_b128 v[58:61], v1 offset:1328
	v_fma_f64 v[64:65], v[64:65], v[8:9], v[66:67]
	v_fma_f64 v[62:63], v[62:63], v[8:9], -v[68:69]
	s_waitcnt vmcnt(7) lgkmcnt(1)
	v_mul_f64 v[52:53], v[10:11], v[56:57]
	v_mul_f64 v[56:57], v[12:13], v[56:57]
	v_add_f64 v[66:67], v[6:7], v[70:71]
	scratch_load_b128 v[6:9], off, off offset:448
	v_add_f64 v[14:15], v[40:41], v[14:15]
	s_waitcnt lgkmcnt(0)
	v_mul_f64 v[40:41], v[58:59], v[44:45]
	v_mul_f64 v[44:45], v[60:61], v[44:45]
	v_fma_f64 v[68:69], v[12:13], v[54:55], v[52:53]
	v_fma_f64 v[56:57], v[10:11], v[54:55], -v[56:57]
	ds_load_b128 v[10:13], v1 offset:1344
	scratch_load_b128 v[52:55], off, off offset:464
	v_add_f64 v[66:67], v[66:67], v[62:63]
	v_add_f64 v[14:15], v[14:15], v[64:65]
	ds_load_b128 v[62:65], v1 offset:1360
	s_waitcnt vmcnt(8) lgkmcnt(1)
	v_mul_f64 v[70:71], v[10:11], v[48:49]
	v_mul_f64 v[48:49], v[12:13], v[48:49]
	v_fma_f64 v[60:61], v[60:61], v[42:43], v[40:41]
	v_fma_f64 v[44:45], v[58:59], v[42:43], -v[44:45]
	scratch_load_b128 v[40:43], off, off offset:480
	v_add_f64 v[56:57], v[66:67], v[56:57]
	v_add_f64 v[14:15], v[14:15], v[68:69]
	v_fma_f64 v[68:69], v[12:13], v[46:47], v[70:71]
	v_fma_f64 v[48:49], v[10:11], v[46:47], -v[48:49]
	ds_load_b128 v[10:13], v1 offset:1376
	s_waitcnt vmcnt(8) lgkmcnt(1)
	v_mul_f64 v[66:67], v[62:63], v[34:35]
	v_mul_f64 v[34:35], v[64:65], v[34:35]
	v_add_f64 v[70:71], v[56:57], v[44:45]
	ds_load_b128 v[56:59], v1 offset:1392
	v_add_f64 v[14:15], v[14:15], v[60:61]
	scratch_load_b128 v[44:47], off, off offset:496
	v_fma_f64 v[64:65], v[64:65], v[32:33], v[66:67]
	s_waitcnt vmcnt(7) lgkmcnt(1)
	v_mul_f64 v[60:61], v[10:11], v[38:39]
	v_mul_f64 v[38:39], v[12:13], v[38:39]
	v_fma_f64 v[62:63], v[62:63], v[32:33], -v[34:35]
	scratch_load_b128 v[32:35], off, off offset:512
	s_waitcnt lgkmcnt(0)
	v_mul_f64 v[66:67], v[56:57], v[26:27]
	v_mul_f64 v[26:27], v[58:59], v[26:27]
	v_add_f64 v[48:49], v[70:71], v[48:49]
	v_add_f64 v[14:15], v[14:15], v[68:69]
	v_fma_f64 v[68:69], v[12:13], v[36:37], v[60:61]
	v_fma_f64 v[70:71], v[10:11], v[36:37], -v[38:39]
	ds_load_b128 v[10:13], v1 offset:1408
	scratch_load_b128 v[36:39], off, off offset:528
	v_fma_f64 v[58:59], v[58:59], v[24:25], v[66:67]
	v_fma_f64 v[56:57], v[56:57], v[24:25], -v[26:27]
	scratch_load_b128 v[24:27], off, off offset:544
	v_add_f64 v[48:49], v[48:49], v[62:63]
	ds_load_b128 v[60:63], v1 offset:1424
	v_add_f64 v[14:15], v[14:15], v[64:65]
	s_waitcnt vmcnt(9) lgkmcnt(1)
	v_mul_f64 v[64:65], v[10:11], v[30:31]
	v_mul_f64 v[30:31], v[12:13], v[30:31]
	s_waitcnt vmcnt(8) lgkmcnt(0)
	v_mul_f64 v[66:67], v[60:61], v[18:19]
	v_mul_f64 v[18:19], v[62:63], v[18:19]
	v_add_f64 v[48:49], v[48:49], v[70:71]
	v_add_f64 v[14:15], v[14:15], v[68:69]
	v_fma_f64 v[64:65], v[12:13], v[28:29], v[64:65]
	v_fma_f64 v[68:69], v[10:11], v[28:29], -v[30:31]
	ds_load_b128 v[10:13], v1 offset:1440
	scratch_load_b128 v[28:31], off, off offset:560
	v_fma_f64 v[62:63], v[62:63], v[16:17], v[66:67]
	v_fma_f64 v[18:19], v[60:61], v[16:17], -v[18:19]
	v_add_f64 v[48:49], v[48:49], v[56:57]
	v_add_f64 v[14:15], v[14:15], v[58:59]
	ds_load_b128 v[56:59], v1 offset:1456
	s_waitcnt vmcnt(8) lgkmcnt(1)
	v_mul_f64 v[70:71], v[10:11], v[22:23]
	v_mul_f64 v[22:23], v[12:13], v[22:23]
	v_add_f64 v[48:49], v[48:49], v[68:69]
	v_add_f64 v[60:61], v[14:15], v[64:65]
	scratch_load_b128 v[14:17], off, off offset:576
	v_fma_f64 v[12:13], v[12:13], v[20:21], v[70:71]
	v_fma_f64 v[22:23], v[10:11], v[20:21], -v[22:23]
	s_waitcnt vmcnt(8) lgkmcnt(0)
	v_mul_f64 v[64:65], v[56:57], v[8:9]
	v_mul_f64 v[66:67], v[58:59], v[8:9]
	ds_load_b128 v[8:11], v1 offset:1472
	v_add_f64 v[48:49], v[48:49], v[18:19]
	scratch_load_b128 v[18:21], off, off offset:592
	v_add_f64 v[68:69], v[60:61], v[62:63]
	ds_load_b128 v[60:63], v1 offset:1488
	s_waitcnt vmcnt(8) lgkmcnt(1)
	v_mul_f64 v[70:71], v[8:9], v[54:55]
	v_mul_f64 v[72:73], v[10:11], v[54:55]
	v_fma_f64 v[58:59], v[58:59], v[6:7], v[64:65]
	v_fma_f64 v[6:7], v[56:57], v[6:7], -v[66:67]
	scratch_load_b128 v[54:57], off, off offset:608
	ds_load_b128 v[64:67], v1 offset:1520
	v_add_f64 v[22:23], v[48:49], v[22:23]
	s_waitcnt vmcnt(8) lgkmcnt(1)
	v_mul_f64 v[48:49], v[60:61], v[42:43]
	v_add_f64 v[12:13], v[68:69], v[12:13]
	v_mul_f64 v[42:43], v[62:63], v[42:43]
	v_fma_f64 v[68:69], v[10:11], v[52:53], v[70:71]
	v_fma_f64 v[52:53], v[8:9], v[52:53], -v[72:73]
	v_add_f64 v[22:23], v[22:23], v[6:7]
	ds_load_b128 v[6:9], v1 offset:1504
	v_add_f64 v[58:59], v[12:13], v[58:59]
	scratch_load_b128 v[10:13], off, off offset:624
	v_fma_f64 v[48:49], v[62:63], v[40:41], v[48:49]
	v_fma_f64 v[60:61], v[60:61], v[40:41], -v[42:43]
	scratch_load_b128 v[40:43], off, off offset:640
	s_waitcnt vmcnt(9) lgkmcnt(0)
	v_mul_f64 v[70:71], v[6:7], v[46:47]
	v_mul_f64 v[46:47], v[8:9], v[46:47]
	s_waitcnt vmcnt(8)
	v_mul_f64 v[62:63], v[64:65], v[34:35]
	v_add_f64 v[22:23], v[22:23], v[52:53]
	v_add_f64 v[52:53], v[58:59], v[68:69]
	v_mul_f64 v[34:35], v[66:67], v[34:35]
	v_fma_f64 v[68:69], v[8:9], v[44:45], v[70:71]
	v_fma_f64 v[70:71], v[6:7], v[44:45], -v[46:47]
	ds_load_b128 v[6:9], v1 offset:1536
	scratch_load_b128 v[44:47], off, off offset:656
	v_fma_f64 v[62:63], v[66:67], v[32:33], v[62:63]
	v_add_f64 v[22:23], v[22:23], v[60:61]
	v_add_f64 v[48:49], v[52:53], v[48:49]
	ds_load_b128 v[58:61], v1 offset:1552
	v_fma_f64 v[64:65], v[64:65], v[32:33], -v[34:35]
	scratch_load_b128 v[32:35], off, off offset:672
	s_waitcnt vmcnt(9) lgkmcnt(1)
	v_mul_f64 v[52:53], v[6:7], v[38:39]
	v_mul_f64 v[38:39], v[8:9], v[38:39]
	s_waitcnt vmcnt(8) lgkmcnt(0)
	v_mul_f64 v[66:67], v[58:59], v[26:27]
	v_mul_f64 v[26:27], v[60:61], v[26:27]
	v_add_f64 v[22:23], v[22:23], v[70:71]
	v_add_f64 v[48:49], v[48:49], v[68:69]
	v_fma_f64 v[52:53], v[8:9], v[36:37], v[52:53]
	v_fma_f64 v[68:69], v[6:7], v[36:37], -v[38:39]
	ds_load_b128 v[6:9], v1 offset:1568
	scratch_load_b128 v[36:39], off, off offset:688
	v_fma_f64 v[60:61], v[60:61], v[24:25], v[66:67]
	v_fma_f64 v[26:27], v[58:59], v[24:25], -v[26:27]
	v_add_f64 v[22:23], v[22:23], v[64:65]
	v_add_f64 v[48:49], v[48:49], v[62:63]
	ds_load_b128 v[62:65], v1 offset:1584
	s_waitcnt vmcnt(8) lgkmcnt(1)
	v_mul_f64 v[70:71], v[6:7], v[30:31]
	v_mul_f64 v[30:31], v[8:9], v[30:31]
	v_add_f64 v[58:59], v[22:23], v[68:69]
	scratch_load_b128 v[22:25], off, off offset:704
	v_add_f64 v[48:49], v[48:49], v[52:53]
	v_fma_f64 v[66:67], v[8:9], v[28:29], v[70:71]
	v_fma_f64 v[30:31], v[6:7], v[28:29], -v[30:31]
	ds_load_b128 v[6:9], v1 offset:1600
	s_waitcnt vmcnt(8) lgkmcnt(1)
	v_mul_f64 v[52:53], v[62:63], v[16:17]
	v_mul_f64 v[16:17], v[64:65], v[16:17]
	v_add_f64 v[68:69], v[58:59], v[26:27]
	scratch_load_b128 v[26:29], off, off offset:720
	v_add_f64 v[48:49], v[48:49], v[60:61]
	ds_load_b128 v[58:61], v1 offset:1616
	s_waitcnt vmcnt(8) lgkmcnt(1)
	v_mul_f64 v[70:71], v[6:7], v[20:21]
	v_mul_f64 v[20:21], v[8:9], v[20:21]
	v_fma_f64 v[52:53], v[64:65], v[14:15], v[52:53]
	v_fma_f64 v[62:63], v[62:63], v[14:15], -v[16:17]
	scratch_load_b128 v[14:17], off, off offset:736
	v_add_f64 v[30:31], v[68:69], v[30:31]
	v_add_f64 v[48:49], v[48:49], v[66:67]
	s_waitcnt vmcnt(8) lgkmcnt(0)
	v_mul_f64 v[66:67], v[58:59], v[56:57]
	v_mul_f64 v[56:57], v[60:61], v[56:57]
	v_fma_f64 v[68:69], v[8:9], v[18:19], v[70:71]
	v_fma_f64 v[70:71], v[6:7], v[18:19], -v[20:21]
	ds_load_b128 v[6:9], v1 offset:1632
	scratch_load_b128 v[18:21], off, off offset:752
	v_add_f64 v[30:31], v[30:31], v[62:63]
	ds_load_b128 v[62:65], v1 offset:1648
	v_add_f64 v[48:49], v[48:49], v[52:53]
	v_fma_f64 v[60:61], v[60:61], v[54:55], v[66:67]
	v_fma_f64 v[56:57], v[58:59], v[54:55], -v[56:57]
	scratch_load_b128 v[52:55], off, off offset:768
	s_waitcnt vmcnt(9) lgkmcnt(1)
	v_mul_f64 v[72:73], v[6:7], v[12:13]
	v_mul_f64 v[12:13], v[8:9], v[12:13]
	s_waitcnt vmcnt(8) lgkmcnt(0)
	v_mul_f64 v[66:67], v[62:63], v[42:43]
	v_mul_f64 v[42:43], v[64:65], v[42:43]
	v_add_f64 v[30:31], v[30:31], v[70:71]
	v_add_f64 v[48:49], v[48:49], v[68:69]
	v_fma_f64 v[68:69], v[8:9], v[10:11], v[72:73]
	v_fma_f64 v[70:71], v[6:7], v[10:11], -v[12:13]
	ds_load_b128 v[6:9], v1 offset:1664
	scratch_load_b128 v[10:13], off, off offset:784
	v_fma_f64 v[64:65], v[64:65], v[40:41], v[66:67]
	v_fma_f64 v[62:63], v[62:63], v[40:41], -v[42:43]
	scratch_load_b128 v[40:43], off, off offset:800
	v_add_f64 v[30:31], v[30:31], v[56:57]
	ds_load_b128 v[56:59], v1 offset:1680
	v_add_f64 v[48:49], v[48:49], v[60:61]
	s_waitcnt vmcnt(9) lgkmcnt(1)
	v_mul_f64 v[60:61], v[6:7], v[46:47]
	v_mul_f64 v[46:47], v[8:9], v[46:47]
	s_waitcnt vmcnt(8) lgkmcnt(0)
	v_mul_f64 v[66:67], v[56:57], v[34:35]
	v_mul_f64 v[34:35], v[58:59], v[34:35]
	v_add_f64 v[30:31], v[30:31], v[70:71]
	v_add_f64 v[48:49], v[48:49], v[68:69]
	v_fma_f64 v[68:69], v[8:9], v[44:45], v[60:61]
	v_fma_f64 v[70:71], v[6:7], v[44:45], -v[46:47]
	ds_load_b128 v[6:9], v1 offset:1696
	scratch_load_b128 v[44:47], off, off offset:816
	v_fma_f64 v[58:59], v[58:59], v[32:33], v[66:67]
	v_fma_f64 v[34:35], v[56:57], v[32:33], -v[34:35]
	v_add_f64 v[30:31], v[30:31], v[62:63]
	ds_load_b128 v[60:63], v1 offset:1712
	v_add_f64 v[48:49], v[48:49], v[64:65]
	s_waitcnt vmcnt(8) lgkmcnt(1)
	v_mul_f64 v[64:65], v[6:7], v[38:39]
	v_mul_f64 v[38:39], v[8:9], v[38:39]
	v_add_f64 v[56:57], v[30:31], v[70:71]
	scratch_load_b128 v[30:33], off, off offset:832
	v_add_f64 v[48:49], v[48:49], v[68:69]
	v_fma_f64 v[64:65], v[8:9], v[36:37], v[64:65]
	v_fma_f64 v[38:39], v[6:7], v[36:37], -v[38:39]
	ds_load_b128 v[6:9], v1 offset:1728
	s_waitcnt vmcnt(8) lgkmcnt(1)
	v_mul_f64 v[66:67], v[60:61], v[24:25]
	v_mul_f64 v[24:25], v[62:63], v[24:25]
	v_add_f64 v[68:69], v[56:57], v[34:35]
	scratch_load_b128 v[34:37], off, off offset:848
	v_add_f64 v[48:49], v[48:49], v[58:59]
	ds_load_b128 v[56:59], v1 offset:1744
	s_waitcnt vmcnt(8) lgkmcnt(1)
	v_mul_f64 v[70:71], v[6:7], v[28:29]
	v_mul_f64 v[28:29], v[8:9], v[28:29]
	v_fma_f64 v[62:63], v[62:63], v[22:23], v[66:67]
	v_fma_f64 v[60:61], v[60:61], v[22:23], -v[24:25]
	scratch_load_b128 v[22:25], off, off offset:864
	v_add_f64 v[38:39], v[68:69], v[38:39]
	v_add_f64 v[48:49], v[48:49], v[64:65]
	s_waitcnt vmcnt(8) lgkmcnt(0)
	v_mul_f64 v[64:65], v[56:57], v[16:17]
	v_mul_f64 v[16:17], v[58:59], v[16:17]
	v_fma_f64 v[66:67], v[8:9], v[26:27], v[70:71]
	v_fma_f64 v[68:69], v[6:7], v[26:27], -v[28:29]
	ds_load_b128 v[6:9], v1 offset:1760
	scratch_load_b128 v[26:29], off, off offset:880
	v_add_f64 v[38:39], v[38:39], v[60:61]
	v_add_f64 v[48:49], v[48:49], v[62:63]
	ds_load_b128 v[60:63], v1 offset:1776
	s_waitcnt vmcnt(8) lgkmcnt(1)
	v_mul_f64 v[70:71], v[6:7], v[20:21]
	v_mul_f64 v[20:21], v[8:9], v[20:21]
	v_fma_f64 v[58:59], v[58:59], v[14:15], v[64:65]
	v_fma_f64 v[56:57], v[56:57], v[14:15], -v[16:17]
	scratch_load_b128 v[14:17], off, off offset:896
	s_waitcnt vmcnt(8) lgkmcnt(0)
	v_mul_f64 v[64:65], v[60:61], v[54:55]
	v_add_f64 v[38:39], v[38:39], v[68:69]
	v_add_f64 v[48:49], v[48:49], v[66:67]
	v_mul_f64 v[66:67], v[62:63], v[54:55]
	v_fma_f64 v[68:69], v[8:9], v[18:19], v[70:71]
	v_fma_f64 v[70:71], v[6:7], v[18:19], -v[20:21]
	ds_load_b128 v[6:9], v1 offset:1792
	scratch_load_b128 v[18:21], off, off offset:912
	v_fma_f64 v[62:63], v[62:63], v[52:53], v[64:65]
	v_add_f64 v[38:39], v[38:39], v[56:57]
	ds_load_b128 v[54:57], v1 offset:1808
	v_add_f64 v[48:49], v[48:49], v[58:59]
	s_waitcnt vmcnt(8) lgkmcnt(1)
	v_mul_f64 v[72:73], v[6:7], v[12:13]
	v_mul_f64 v[12:13], v[8:9], v[12:13]
	v_fma_f64 v[52:53], v[60:61], v[52:53], -v[66:67]
	scratch_load_b128 v[58:61], off, off offset:928
	s_waitcnt vmcnt(8) lgkmcnt(0)
	v_mul_f64 v[66:67], v[54:55], v[42:43]
	v_mul_f64 v[42:43], v[56:57], v[42:43]
	v_add_f64 v[38:39], v[38:39], v[70:71]
	v_add_f64 v[48:49], v[48:49], v[68:69]
	v_fma_f64 v[68:69], v[8:9], v[10:11], v[72:73]
	v_fma_f64 v[70:71], v[6:7], v[10:11], -v[12:13]
	ds_load_b128 v[6:9], v1 offset:1824
	scratch_load_b128 v[10:13], off, off offset:944
	v_fma_f64 v[56:57], v[56:57], v[40:41], v[66:67]
	v_fma_f64 v[42:43], v[54:55], v[40:41], -v[42:43]
	v_add_f64 v[38:39], v[38:39], v[52:53]
	v_add_f64 v[48:49], v[48:49], v[62:63]
	ds_load_b128 v[62:65], v1 offset:1840
	s_waitcnt vmcnt(8) lgkmcnt(1)
	v_mul_f64 v[52:53], v[6:7], v[46:47]
	v_mul_f64 v[46:47], v[8:9], v[46:47]
	v_add_f64 v[54:55], v[38:39], v[70:71]
	scratch_load_b128 v[38:41], off, off offset:960
	v_add_f64 v[48:49], v[48:49], v[68:69]
	v_fma_f64 v[52:53], v[8:9], v[44:45], v[52:53]
	v_fma_f64 v[68:69], v[6:7], v[44:45], -v[46:47]
	ds_load_b128 v[6:9], v1 offset:1856
	s_waitcnt vmcnt(8) lgkmcnt(1)
	v_mul_f64 v[66:67], v[62:63], v[32:33]
	v_mul_f64 v[32:33], v[64:65], v[32:33]
	v_add_f64 v[54:55], v[54:55], v[42:43]
	scratch_load_b128 v[42:45], off, off offset:976
	v_add_f64 v[56:57], v[48:49], v[56:57]
	ds_load_b128 v[46:49], v1 offset:1872
	s_waitcnt vmcnt(8) lgkmcnt(1)
	v_mul_f64 v[70:71], v[6:7], v[36:37]
	v_mul_f64 v[36:37], v[8:9], v[36:37]
	v_fma_f64 v[64:65], v[64:65], v[30:31], v[66:67]
	v_fma_f64 v[62:63], v[62:63], v[30:31], -v[32:33]
	scratch_load_b128 v[30:33], off, off offset:992
	v_add_f64 v[54:55], v[54:55], v[68:69]
	v_add_f64 v[52:53], v[56:57], v[52:53]
	s_waitcnt vmcnt(8) lgkmcnt(0)
	v_mul_f64 v[56:57], v[46:47], v[24:25]
	v_mul_f64 v[24:25], v[48:49], v[24:25]
	v_fma_f64 v[66:67], v[8:9], v[34:35], v[70:71]
	v_fma_f64 v[68:69], v[6:7], v[34:35], -v[36:37]
	ds_load_b128 v[6:9], v1 offset:1888
	ds_load_b128 v[34:37], v1 offset:1904
	v_add_f64 v[54:55], v[54:55], v[62:63]
	s_waitcnt vmcnt(7) lgkmcnt(1)
	v_mul_f64 v[62:63], v[6:7], v[28:29]
	v_add_f64 v[52:53], v[52:53], v[64:65]
	v_mul_f64 v[28:29], v[8:9], v[28:29]
	v_fma_f64 v[48:49], v[48:49], v[22:23], v[56:57]
	v_fma_f64 v[22:23], v[46:47], v[22:23], -v[24:25]
	v_add_f64 v[24:25], v[54:55], v[68:69]
	v_fma_f64 v[54:55], v[8:9], v[26:27], v[62:63]
	v_add_f64 v[46:47], v[52:53], v[66:67]
	s_waitcnt vmcnt(6) lgkmcnt(0)
	v_mul_f64 v[52:53], v[34:35], v[16:17]
	v_mul_f64 v[16:17], v[36:37], v[16:17]
	v_fma_f64 v[26:27], v[6:7], v[26:27], -v[28:29]
	v_add_f64 v[28:29], v[24:25], v[22:23]
	ds_load_b128 v[6:9], v1 offset:1920
	ds_load_b128 v[22:25], v1 offset:1936
	v_add_f64 v[46:47], v[46:47], v[48:49]
	v_fma_f64 v[36:37], v[36:37], v[14:15], v[52:53]
	v_fma_f64 v[14:15], v[34:35], v[14:15], -v[16:17]
	s_waitcnt vmcnt(5) lgkmcnt(1)
	v_mul_f64 v[48:49], v[6:7], v[20:21]
	v_mul_f64 v[20:21], v[8:9], v[20:21]
	s_waitcnt vmcnt(4) lgkmcnt(0)
	v_mul_f64 v[34:35], v[24:25], v[60:61]
	v_add_f64 v[16:17], v[28:29], v[26:27]
	v_mul_f64 v[28:29], v[22:23], v[60:61]
	v_add_f64 v[26:27], v[46:47], v[54:55]
	v_fma_f64 v[46:47], v[8:9], v[18:19], v[48:49]
	v_fma_f64 v[18:19], v[6:7], v[18:19], -v[20:21]
	v_fma_f64 v[22:23], v[22:23], v[58:59], -v[34:35]
	v_add_f64 v[20:21], v[16:17], v[14:15]
	ds_load_b128 v[6:9], v1 offset:1952
	ds_load_b128 v[14:17], v1 offset:1968
	v_add_f64 v[26:27], v[26:27], v[36:37]
	v_fma_f64 v[24:25], v[24:25], v[58:59], v[28:29]
	s_waitcnt vmcnt(3) lgkmcnt(1)
	v_mul_f64 v[36:37], v[6:7], v[12:13]
	v_mul_f64 v[12:13], v[8:9], v[12:13]
	v_add_f64 v[18:19], v[20:21], v[18:19]
	v_add_f64 v[20:21], v[26:27], v[46:47]
	s_waitcnt vmcnt(2) lgkmcnt(0)
	v_mul_f64 v[26:27], v[14:15], v[40:41]
	v_mul_f64 v[28:29], v[16:17], v[40:41]
	v_fma_f64 v[34:35], v[8:9], v[10:11], v[36:37]
	v_fma_f64 v[36:37], v[6:7], v[10:11], -v[12:13]
	ds_load_b128 v[6:9], v1 offset:1984
	ds_load_b128 v[10:13], v1 offset:2000
	v_add_f64 v[18:19], v[18:19], v[22:23]
	v_add_f64 v[20:21], v[20:21], v[24:25]
	s_waitcnt vmcnt(1) lgkmcnt(1)
	v_mul_f64 v[22:23], v[6:7], v[44:45]
	v_mul_f64 v[24:25], v[8:9], v[44:45]
	v_fma_f64 v[16:17], v[16:17], v[38:39], v[26:27]
	v_fma_f64 v[14:15], v[14:15], v[38:39], -v[28:29]
	s_waitcnt vmcnt(0) lgkmcnt(0)
	v_mul_f64 v[26:27], v[10:11], v[32:33]
	v_add_f64 v[18:19], v[18:19], v[36:37]
	v_mul_f64 v[28:29], v[12:13], v[32:33]
	v_add_f64 v[20:21], v[20:21], v[34:35]
	v_fma_f64 v[8:9], v[8:9], v[42:43], v[22:23]
	v_fma_f64 v[6:7], v[6:7], v[42:43], -v[24:25]
	v_fma_f64 v[12:13], v[12:13], v[30:31], v[26:27]
	v_add_f64 v[14:15], v[18:19], v[14:15]
	v_fma_f64 v[10:11], v[10:11], v[30:31], -v[28:29]
	v_add_f64 v[16:17], v[20:21], v[16:17]
	s_delay_alu instid0(VALU_DEP_3) | instskip(NEXT) | instid1(VALU_DEP_2)
	v_add_f64 v[6:7], v[14:15], v[6:7]
	v_add_f64 v[8:9], v[16:17], v[8:9]
	s_delay_alu instid0(VALU_DEP_2) | instskip(NEXT) | instid1(VALU_DEP_2)
	v_add_f64 v[6:7], v[6:7], v[10:11]
	v_add_f64 v[8:9], v[8:9], v[12:13]
	s_delay_alu instid0(VALU_DEP_2) | instskip(NEXT) | instid1(VALU_DEP_2)
	v_add_f64 v[1:2], v[2:3], -v[6:7]
	v_add_f64 v[3:4], v[4:5], -v[8:9]
	scratch_store_b128 off, v[1:4], off
	s_cbranch_vccz .LBB62_529
; %bb.404:
	v_dual_mov_b32 v1, s16 :: v_dual_mov_b32 v2, s17
	s_load_b64 s[0:1], s[0:1], 0x4
	flat_load_b32 v1, v[1:2] offset:244
	v_bfe_u32 v2, v0, 10, 10
	v_bfe_u32 v0, v0, 20, 10
	s_waitcnt lgkmcnt(0)
	s_lshr_b32 s0, s0, 16
	s_delay_alu instid0(VALU_DEP_2) | instskip(SKIP_1) | instid1(SALU_CYCLE_1)
	v_mul_u32_u24_e32 v2, s1, v2
	s_mul_i32 s0, s0, s1
	v_mul_u32_u24_e32 v3, s0, v176
	s_mov_b32 s0, exec_lo
	s_delay_alu instid0(VALU_DEP_1) | instskip(NEXT) | instid1(VALU_DEP_1)
	v_add3_u32 v0, v3, v2, v0
	v_lshl_add_u32 v0, v0, 4, 0x7e8
	s_waitcnt vmcnt(0)
	v_cmpx_ne_u32_e32 62, v1
	s_cbranch_execz .LBB62_406
; %bb.405:
	scratch_load_b32 v10, off, off offset:1008 ; 4-byte Folded Reload
	v_lshl_add_u32 v9, v1, 4, 0
	s_waitcnt vmcnt(0)
	s_clause 0x1
	scratch_load_b128 v[1:4], v10, off
	scratch_load_b128 v[5:8], v9, off offset:-16
	s_waitcnt vmcnt(1)
	ds_store_2addr_b64 v0, v[1:2], v[3:4] offset1:1
	s_waitcnt vmcnt(0)
	s_clause 0x1
	scratch_store_b128 v10, v[5:8], off
	scratch_store_b128 v9, v[1:4], off offset:-16
.LBB62_406:
	s_or_b32 exec_lo, exec_lo, s0
	v_dual_mov_b32 v1, s16 :: v_dual_mov_b32 v2, s17
	s_mov_b32 s0, exec_lo
	flat_load_b32 v1, v[1:2] offset:240
	s_waitcnt vmcnt(0) lgkmcnt(0)
	v_cmpx_ne_u32_e32 61, v1
	s_cbranch_execz .LBB62_408
; %bb.407:
	scratch_load_b32 v10, off, off offset:1012 ; 4-byte Folded Reload
	v_lshl_add_u32 v9, v1, 4, 0
	s_waitcnt vmcnt(0)
	s_clause 0x1
	scratch_load_b128 v[1:4], v10, off
	scratch_load_b128 v[5:8], v9, off offset:-16
	s_waitcnt vmcnt(1)
	ds_store_2addr_b64 v0, v[1:2], v[3:4] offset1:1
	s_waitcnt vmcnt(0)
	s_clause 0x1
	scratch_store_b128 v10, v[5:8], off
	scratch_store_b128 v9, v[1:4], off offset:-16
.LBB62_408:
	s_or_b32 exec_lo, exec_lo, s0
	v_dual_mov_b32 v1, s16 :: v_dual_mov_b32 v2, s17
	s_mov_b32 s0, exec_lo
	flat_load_b32 v1, v[1:2] offset:236
	s_waitcnt vmcnt(0) lgkmcnt(0)
	;; [unrolled: 21-line block ×57, first 2 shown]
	v_cmpx_ne_u32_e32 5, v1
	s_cbranch_execz .LBB62_520
; %bb.519:
	v_add_nc_u32_e64 v10, 0, 64
	v_lshl_add_u32 v9, v1, 4, 0
	s_clause 0x1
	scratch_load_b128 v[1:4], v10, off
	scratch_load_b128 v[5:8], v9, off offset:-16
	s_waitcnt vmcnt(1)
	ds_store_2addr_b64 v0, v[1:2], v[3:4] offset1:1
	s_waitcnt vmcnt(0)
	s_clause 0x1
	scratch_store_b128 v10, v[5:8], off
	scratch_store_b128 v9, v[1:4], off offset:-16
.LBB62_520:
	s_or_b32 exec_lo, exec_lo, s0
	v_dual_mov_b32 v1, s16 :: v_dual_mov_b32 v2, s17
	s_mov_b32 s0, exec_lo
	flat_load_b32 v1, v[1:2] offset:12
	s_waitcnt vmcnt(0) lgkmcnt(0)
	v_cmpx_ne_u32_e32 4, v1
	s_cbranch_execz .LBB62_522
; %bb.521:
	v_add_nc_u32_e64 v10, 0, 48
	v_lshl_add_u32 v9, v1, 4, 0
	s_clause 0x1
	scratch_load_b128 v[1:4], v10, off
	scratch_load_b128 v[5:8], v9, off offset:-16
	s_waitcnt vmcnt(1)
	ds_store_2addr_b64 v0, v[1:2], v[3:4] offset1:1
	s_waitcnt vmcnt(0)
	s_clause 0x1
	scratch_store_b128 v10, v[5:8], off
	scratch_store_b128 v9, v[1:4], off offset:-16
.LBB62_522:
	s_or_b32 exec_lo, exec_lo, s0
	v_dual_mov_b32 v1, s16 :: v_dual_mov_b32 v2, s17
	s_mov_b32 s0, exec_lo
	flat_load_b32 v1, v[1:2] offset:8
	s_waitcnt vmcnt(0) lgkmcnt(0)
	;; [unrolled: 20-line block ×3, first 2 shown]
	v_cmpx_ne_u32_e32 2, v1
	s_cbranch_execz .LBB62_526
; %bb.525:
	v_add_nc_u32_e64 v10, 0, 16
	v_lshl_add_u32 v9, v1, 4, 0
	s_clause 0x1
	scratch_load_b128 v[1:4], v10, off
	scratch_load_b128 v[5:8], v9, off offset:-16
	s_waitcnt vmcnt(1)
	ds_store_2addr_b64 v0, v[1:2], v[3:4] offset1:1
	s_waitcnt vmcnt(0)
	s_clause 0x1
	scratch_store_b128 v10, v[5:8], off
	scratch_store_b128 v9, v[1:4], off offset:-16
.LBB62_526:
	s_or_b32 exec_lo, exec_lo, s0
	v_dual_mov_b32 v1, s16 :: v_dual_mov_b32 v2, s17
	s_mov_b32 s0, exec_lo
	flat_load_b32 v1, v[1:2]
	s_waitcnt vmcnt(0) lgkmcnt(0)
	v_cmpx_ne_u32_e32 1, v1
	s_cbranch_execz .LBB62_528
; %bb.527:
	v_lshl_add_u32 v9, v1, 4, 0
	scratch_load_b128 v[1:4], off, off
	scratch_load_b128 v[5:8], v9, off offset:-16
	s_waitcnt vmcnt(1)
	ds_store_2addr_b64 v0, v[1:2], v[3:4] offset1:1
	s_waitcnt vmcnt(0)
	scratch_store_b128 off, v[5:8], off
	scratch_store_b128 v9, v[1:4], off offset:-16
.LBB62_528:
	s_or_b32 exec_lo, exec_lo, s0
.LBB62_529:
	v_add_nc_u32_e64 v4, 0, 16
	v_add_nc_u32_e64 v8, 0, 32
	;; [unrolled: 1-line block ×4, first 2 shown]
	scratch_load_b128 v[0:3], off, off
	s_clause 0x3
	scratch_load_b128 v[4:7], v4, off
	scratch_load_b128 v[8:11], v8, off
	;; [unrolled: 1-line block ×4, first 2 shown]
	scratch_load_b32 v20, off, off offset:1176 ; 4-byte Folded Reload
	s_waitcnt vmcnt(0)
	scratch_load_b128 v[20:23], v20, off
	scratch_load_b32 v24, off, off offset:1168 ; 4-byte Folded Reload
	s_waitcnt vmcnt(0)
	scratch_load_b128 v[24:27], v24, off
	;; [unrolled: 3-line block ×15, first 2 shown]
	scratch_load_b32 v48, off, off offset:1204 ; 4-byte Folded Reload
	global_store_b128 v[50:51], v[0:3], off
	scratch_load_b32 v0, off, off offset:1200 ; 4-byte Folded Reload
	s_waitcnt vmcnt(1)
	scratch_load_b128 v[246:249], v48, off
	s_waitcnt vmcnt(1)
	scratch_load_b128 v[0:3], v0, off
	scratch_load_b32 v48, off, off offset:1196 ; 4-byte Folded Reload
	s_waitcnt vmcnt(0)
	scratch_load_b128 v[48:51], v48, off
	scratch_load_b64 v[72:73], off, off offset:1240 ; 8-byte Folded Reload
	s_waitcnt vmcnt(0)
	global_store_b128 v[72:73], v[4:7], off
	scratch_load_b32 v4, off, off offset:1192 ; 4-byte Folded Reload
	s_waitcnt vmcnt(0)
	scratch_load_b128 v[4:7], v4, off
	scratch_load_b32 v72, off, off offset:1188 ; 4-byte Folded Reload
	s_waitcnt vmcnt(0)
	scratch_load_b128 v[226:229], v72, off
	scratch_load_b64 v[72:73], off, off offset:1248 ; 8-byte Folded Reload
	s_waitcnt vmcnt(0)
	global_store_b128 v[72:73], v[8:11], off
	scratch_load_b32 v8, off, off offset:1184 ; 4-byte Folded Reload
	s_waitcnt vmcnt(0)
	scratch_load_b128 v[8:11], v8, off
	scratch_load_b32 v72, off, off offset:1180 ; 4-byte Folded Reload
	s_waitcnt vmcnt(0)
	scratch_load_b128 v[220:223], v72, off
	scratch_load_b64 v[72:73], off, off offset:1256 ; 8-byte Folded Reload
	s_waitcnt vmcnt(0)
	global_store_b128 v[72:73], v[12:15], off
	scratch_load_b32 v12, off, off offset:1172 ; 4-byte Folded Reload
	s_waitcnt vmcnt(0)
	scratch_load_b128 v[12:15], v12, off
	scratch_load_b32 v72, off, off offset:1164 ; 4-byte Folded Reload
	s_waitcnt vmcnt(0)
	scratch_load_b128 v[214:217], v72, off
	scratch_load_b64 v[72:73], off, off offset:1264 ; 8-byte Folded Reload
	s_waitcnt vmcnt(0)
	global_store_b128 v[72:73], v[16:19], off
	scratch_load_b32 v16, off, off offset:1148 ; 4-byte Folded Reload
	s_waitcnt vmcnt(0)
	scratch_load_b128 v[16:19], v16, off
	scratch_load_b32 v72, off, off offset:1140 ; 4-byte Folded Reload
	s_waitcnt vmcnt(0)
	scratch_load_b128 v[209:212], v72, off
	scratch_load_b64 v[72:73], off, off offset:1272 ; 8-byte Folded Reload
	s_waitcnt vmcnt(0)
	global_store_b128 v[72:73], v[20:23], off
	scratch_load_b32 v20, off, off offset:1128 ; 4-byte Folded Reload
	s_waitcnt vmcnt(0)
	scratch_load_b128 v[20:23], v20, off
	scratch_load_b32 v72, off, off offset:1124 ; 4-byte Folded Reload
	s_waitcnt vmcnt(0)
	scratch_load_b128 v[230:233], v72, off
	scratch_load_b64 v[72:73], off, off offset:1280 ; 8-byte Folded Reload
	s_waitcnt vmcnt(0)
	global_store_b128 v[72:73], v[24:27], off
	scratch_load_b32 v24, off, off offset:1120 ; 4-byte Folded Reload
	s_waitcnt vmcnt(0)
	scratch_load_b128 v[24:27], v24, off
	scratch_load_b32 v72, off, off offset:1116 ; 4-byte Folded Reload
	s_waitcnt vmcnt(0)
	scratch_load_b128 v[205:208], v72, off
	scratch_load_b64 v[72:73], off, off offset:1288 ; 8-byte Folded Reload
	s_waitcnt vmcnt(0)
	global_store_b128 v[72:73], v[28:31], off
	scratch_load_b32 v28, off, off offset:1112 ; 4-byte Folded Reload
	s_waitcnt vmcnt(0)
	scratch_load_b128 v[28:31], v28, off
	scratch_load_b32 v72, off, off offset:1108 ; 4-byte Folded Reload
	s_waitcnt vmcnt(0)
	scratch_load_b128 v[176:179], v72, off
	scratch_load_b64 v[72:73], off, off offset:1296 ; 8-byte Folded Reload
	s_waitcnt vmcnt(0)
	global_store_b128 v[72:73], v[32:35], off
	scratch_load_b32 v32, off, off offset:1104 ; 4-byte Folded Reload
	s_waitcnt vmcnt(0)
	scratch_load_b128 v[32:35], v32, off
	scratch_load_b32 v72, off, off offset:1100 ; 4-byte Folded Reload
	s_waitcnt vmcnt(0)
	scratch_load_b128 v[201:204], v72, off
	scratch_load_b64 v[72:73], off, off offset:1304 ; 8-byte Folded Reload
	s_waitcnt vmcnt(0)
	global_store_b128 v[72:73], v[36:39], off
	scratch_load_b32 v36, off, off offset:1096 ; 4-byte Folded Reload
	s_waitcnt vmcnt(0)
	scratch_load_b128 v[36:39], v36, off
	scratch_load_b32 v72, off, off offset:1092 ; 4-byte Folded Reload
	s_waitcnt vmcnt(0)
	scratch_load_b128 v[250:253], v72, off
	scratch_load_b64 v[72:73], off, off offset:1312 ; 8-byte Folded Reload
	s_waitcnt vmcnt(0)
	global_store_b128 v[72:73], v[40:43], off
	scratch_load_b32 v40, off, off offset:1088 ; 4-byte Folded Reload
	s_waitcnt vmcnt(0)
	scratch_load_b128 v[40:43], v40, off
	scratch_load_b32 v72, off, off offset:1084 ; 4-byte Folded Reload
	s_waitcnt vmcnt(0)
	scratch_load_b128 v[197:200], v72, off
	scratch_load_b64 v[72:73], off, off offset:1320 ; 8-byte Folded Reload
	s_waitcnt vmcnt(0)
	global_store_b128 v[72:73], v[44:47], off
	scratch_load_b32 v44, off, off offset:1080 ; 4-byte Folded Reload
	s_waitcnt vmcnt(0)
	scratch_load_b128 v[44:47], v44, off
	scratch_load_b32 v72, off, off offset:1076 ; 4-byte Folded Reload
	s_waitcnt vmcnt(0)
	scratch_load_b128 v[180:183], v72, off
	scratch_load_b64 v[72:73], off, off offset:1328 ; 8-byte Folded Reload
	s_waitcnt vmcnt(0)
	global_store_b128 v[72:73], v[52:55], off
	scratch_load_b32 v52, off, off offset:1072 ; 4-byte Folded Reload
	s_waitcnt vmcnt(0)
	scratch_load_b128 v[52:55], v52, off
	scratch_load_b32 v72, off, off offset:1068 ; 4-byte Folded Reload
	s_waitcnt vmcnt(0)
	scratch_load_b128 v[72:75], v72, off
	scratch_load_b64 v[76:77], off, off offset:1336 ; 8-byte Folded Reload
	s_waitcnt vmcnt(0)
	global_store_b128 v[76:77], v[56:59], off
	scratch_load_b32 v56, off, off offset:1064 ; 4-byte Folded Reload
	s_waitcnt vmcnt(0)
	scratch_load_b128 v[56:59], v56, off
	scratch_load_b32 v76, off, off offset:1060 ; 4-byte Folded Reload
	s_waitcnt vmcnt(0)
	scratch_load_b128 v[191:194], v76, off
	scratch_load_b64 v[76:77], off, off offset:1344 ; 8-byte Folded Reload
	s_waitcnt vmcnt(0)
	global_store_b128 v[76:77], v[60:63], off
	scratch_load_b32 v60, off, off offset:1056 ; 4-byte Folded Reload
	s_waitcnt vmcnt(0)
	scratch_load_b128 v[60:63], v60, off
	scratch_load_b32 v76, off, off offset:1052 ; 4-byte Folded Reload
	s_waitcnt vmcnt(0)
	scratch_load_b128 v[76:79], v76, off
	scratch_load_b64 v[80:81], off, off offset:1352 ; 8-byte Folded Reload
	s_waitcnt vmcnt(0)
	global_store_b128 v[80:81], v[64:67], off
	scratch_load_b32 v64, off, off offset:1048 ; 4-byte Folded Reload
	s_waitcnt vmcnt(0)
	scratch_load_b128 v[64:67], v64, off
	scratch_load_b32 v80, off, off offset:1044 ; 4-byte Folded Reload
	s_waitcnt vmcnt(0)
	scratch_load_b128 v[187:190], v80, off
	scratch_load_b64 v[80:81], off, off offset:1360 ; 8-byte Folded Reload
	s_waitcnt vmcnt(0)
	global_store_b128 v[80:81], v[68:71], off
	scratch_load_b32 v68, off, off offset:1040 ; 4-byte Folded Reload
	s_waitcnt vmcnt(0)
	scratch_load_b128 v[68:71], v68, off
	scratch_load_b32 v80, off, off offset:1036 ; 4-byte Folded Reload
	s_waitcnt vmcnt(0)
	scratch_load_b128 v[80:83], v80, off
	scratch_load_b64 v[84:85], off, off offset:1368 ; 8-byte Folded Reload
	s_waitcnt vmcnt(0)
	global_store_b128 v[84:85], v[234:237], off
	scratch_load_b32 v84, off, off offset:1032 ; 4-byte Folded Reload
	s_waitcnt vmcnt(0)
	scratch_load_b128 v[234:237], v84, off
	scratch_load_b32 v84, off, off offset:1028 ; 4-byte Folded Reload
	s_waitcnt vmcnt(0)
	scratch_load_b128 v[84:87], v84, off
	scratch_load_b64 v[88:89], off, off offset:1376 ; 8-byte Folded Reload
	s_waitcnt vmcnt(0)
	global_store_b128 v[88:89], v[238:241], off
	scratch_load_b32 v88, off, off offset:1024 ; 4-byte Folded Reload
	s_waitcnt vmcnt(0)
	scratch_load_b128 v[238:241], v88, off
	scratch_load_b32 v88, off, off offset:1020 ; 4-byte Folded Reload
	s_waitcnt vmcnt(0)
	scratch_load_b128 v[88:91], v88, off
	scratch_load_b64 v[92:93], off, off offset:1384 ; 8-byte Folded Reload
	s_waitcnt vmcnt(0)
	global_store_b128 v[92:93], v[242:245], off
	scratch_load_b32 v92, off, off offset:1016 ; 4-byte Folded Reload
	s_waitcnt vmcnt(0)
	scratch_load_b128 v[242:245], v92, off
	scratch_load_b32 v92, off, off offset:1012 ; 4-byte Folded Reload
	s_waitcnt vmcnt(0)
	scratch_load_b128 v[92:95], v92, off
	scratch_load_b64 v[96:97], off, off offset:1392 ; 8-byte Folded Reload
	s_waitcnt vmcnt(0)
	global_store_b128 v[96:97], v[246:249], off
	scratch_load_b32 v96, off, off offset:1008 ; 4-byte Folded Reload
	s_waitcnt vmcnt(0)
	scratch_load_b128 v[246:249], v96, off
	scratch_load_b32 v96, off, off offset:1236 ; 4-byte Folded Reload
	s_waitcnt vmcnt(0)
	scratch_load_b128 v[96:99], v96, off
	scratch_load_b64 v[100:101], off, off offset:1400 ; 8-byte Folded Reload
	s_waitcnt vmcnt(0)
	global_store_b128 v[100:101], v[0:3], off
	scratch_load_b64 v[0:1], off, off offset:1408 ; 8-byte Folded Reload
	s_waitcnt vmcnt(0)
	global_store_b128 v[0:1], v[48:51], off
	;; [unrolled: 3-line block ×12, first 2 shown]
	scratch_load_b64 v[0:1], off, off offset:1496 ; 8-byte Folded Reload
	s_waitcnt vmcnt(0)
	s_clause 0x1d
	global_store_b128 v[0:1], v[24:27], off
	global_store_b128 v[118:119], v[205:208], off
	global_store_b128 v[120:121], v[28:31], off
	global_store_b128 v[122:123], v[176:179], off
	global_store_b128 v[124:125], v[32:35], off
	global_store_b128 v[126:127], v[201:204], off
	global_store_b128 v[128:129], v[36:39], off
	global_store_b128 v[130:131], v[250:253], off
	global_store_b128 v[132:133], v[40:43], off
	global_store_b128 v[134:135], v[197:200], off
	global_store_b128 v[136:137], v[44:47], off
	global_store_b128 v[138:139], v[180:183], off
	global_store_b128 v[140:141], v[52:55], off
	global_store_b128 v[142:143], v[72:75], off
	global_store_b128 v[144:145], v[56:59], off
	global_store_b128 v[146:147], v[191:194], off
	global_store_b128 v[148:149], v[60:63], off
	global_store_b128 v[150:151], v[76:79], off
	global_store_b128 v[152:153], v[64:67], off
	global_store_b128 v[154:155], v[187:190], off
	global_store_b128 v[156:157], v[68:71], off
	global_store_b128 v[158:159], v[80:83], off
	global_store_b128 v[160:161], v[234:237], off
	global_store_b128 v[162:163], v[84:87], off
	global_store_b128 v[164:165], v[238:241], off
	global_store_b128 v[166:167], v[88:91], off
	global_store_b128 v[168:169], v[242:245], off
	global_store_b128 v[170:171], v[92:95], off
	global_store_b128 v[172:173], v[246:249], off
	global_store_b128 v[174:175], v[96:99], off
	s_endpgm
	.section	.rodata,"a",@progbits
	.p2align	6, 0x0
	.amdhsa_kernel _ZN9rocsolver6v33100L18getri_kernel_smallILi63E19rocblas_complex_numIdEPS3_EEvT1_iilPiilS6_bb
		.amdhsa_group_segment_fixed_size 3048
		.amdhsa_private_segment_fixed_size 1520
		.amdhsa_kernarg_size 60
		.amdhsa_user_sgpr_count 15
		.amdhsa_user_sgpr_dispatch_ptr 1
		.amdhsa_user_sgpr_queue_ptr 0
		.amdhsa_user_sgpr_kernarg_segment_ptr 1
		.amdhsa_user_sgpr_dispatch_id 0
		.amdhsa_user_sgpr_private_segment_size 0
		.amdhsa_wavefront_size32 1
		.amdhsa_uses_dynamic_stack 0
		.amdhsa_enable_private_segment 1
		.amdhsa_system_sgpr_workgroup_id_x 1
		.amdhsa_system_sgpr_workgroup_id_y 0
		.amdhsa_system_sgpr_workgroup_id_z 0
		.amdhsa_system_sgpr_workgroup_info 0
		.amdhsa_system_vgpr_workitem_id 2
		.amdhsa_next_free_vgpr 256
		.amdhsa_next_free_sgpr 69
		.amdhsa_reserve_vcc 1
		.amdhsa_float_round_mode_32 0
		.amdhsa_float_round_mode_16_64 0
		.amdhsa_float_denorm_mode_32 3
		.amdhsa_float_denorm_mode_16_64 3
		.amdhsa_dx10_clamp 1
		.amdhsa_ieee_mode 1
		.amdhsa_fp16_overflow 0
		.amdhsa_workgroup_processor_mode 1
		.amdhsa_memory_ordered 1
		.amdhsa_forward_progress 0
		.amdhsa_shared_vgpr_count 0
		.amdhsa_exception_fp_ieee_invalid_op 0
		.amdhsa_exception_fp_denorm_src 0
		.amdhsa_exception_fp_ieee_div_zero 0
		.amdhsa_exception_fp_ieee_overflow 0
		.amdhsa_exception_fp_ieee_underflow 0
		.amdhsa_exception_fp_ieee_inexact 0
		.amdhsa_exception_int_div_zero 0
	.end_amdhsa_kernel
	.section	.text._ZN9rocsolver6v33100L18getri_kernel_smallILi63E19rocblas_complex_numIdEPS3_EEvT1_iilPiilS6_bb,"axG",@progbits,_ZN9rocsolver6v33100L18getri_kernel_smallILi63E19rocblas_complex_numIdEPS3_EEvT1_iilPiilS6_bb,comdat
.Lfunc_end62:
	.size	_ZN9rocsolver6v33100L18getri_kernel_smallILi63E19rocblas_complex_numIdEPS3_EEvT1_iilPiilS6_bb, .Lfunc_end62-_ZN9rocsolver6v33100L18getri_kernel_smallILi63E19rocblas_complex_numIdEPS3_EEvT1_iilPiilS6_bb
                                        ; -- End function
	.section	.AMDGPU.csdata,"",@progbits
; Kernel info:
; codeLenInByte = 184604
; NumSgprs: 71
; NumVgprs: 256
; ScratchSize: 1520
; MemoryBound: 0
; FloatMode: 240
; IeeeMode: 1
; LDSByteSize: 3048 bytes/workgroup (compile time only)
; SGPRBlocks: 8
; VGPRBlocks: 31
; NumSGPRsForWavesPerEU: 71
; NumVGPRsForWavesPerEU: 256
; Occupancy: 5
; WaveLimiterHint : 1
; COMPUTE_PGM_RSRC2:SCRATCH_EN: 1
; COMPUTE_PGM_RSRC2:USER_SGPR: 15
; COMPUTE_PGM_RSRC2:TRAP_HANDLER: 0
; COMPUTE_PGM_RSRC2:TGID_X_EN: 1
; COMPUTE_PGM_RSRC2:TGID_Y_EN: 0
; COMPUTE_PGM_RSRC2:TGID_Z_EN: 0
; COMPUTE_PGM_RSRC2:TIDIG_COMP_CNT: 2
	.section	.text._ZN9rocsolver6v33100L18getri_kernel_smallILi64E19rocblas_complex_numIdEPS3_EEvT1_iilPiilS6_bb,"axG",@progbits,_ZN9rocsolver6v33100L18getri_kernel_smallILi64E19rocblas_complex_numIdEPS3_EEvT1_iilPiilS6_bb,comdat
	.globl	_ZN9rocsolver6v33100L18getri_kernel_smallILi64E19rocblas_complex_numIdEPS3_EEvT1_iilPiilS6_bb ; -- Begin function _ZN9rocsolver6v33100L18getri_kernel_smallILi64E19rocblas_complex_numIdEPS3_EEvT1_iilPiilS6_bb
	.p2align	8
	.type	_ZN9rocsolver6v33100L18getri_kernel_smallILi64E19rocblas_complex_numIdEPS3_EEvT1_iilPiilS6_bb,@function
_ZN9rocsolver6v33100L18getri_kernel_smallILi64E19rocblas_complex_numIdEPS3_EEvT1_iilPiilS6_bb: ; @_ZN9rocsolver6v33100L18getri_kernel_smallILi64E19rocblas_complex_numIdEPS3_EEvT1_iilPiilS6_bb
; %bb.0:
	s_mov_b32 s18, s15
	s_clause 0x2
	s_load_b32 s21, s[2:3], 0x38
	s_load_b128 s[12:15], s[2:3], 0x10
	s_load_b128 s[4:7], s[2:3], 0x28
                                        ; implicit-def: $sgpr16_sgpr17
	s_waitcnt lgkmcnt(0)
	s_bitcmp1_b32 s21, 8
	s_cselect_b32 s20, -1, 0
	s_bfe_u32 s8, s21, 0x10008
	s_ashr_i32 s19, s18, 31
	s_cmp_eq_u32 s8, 0
	s_cbranch_scc1 .LBB63_2
; %bb.1:
	s_load_b32 s8, s[2:3], 0x20
	s_mul_i32 s5, s18, s5
	s_mul_hi_u32 s9, s18, s4
	s_mul_i32 s10, s19, s4
	s_add_i32 s5, s9, s5
	s_mul_i32 s4, s18, s4
	s_add_i32 s5, s5, s10
	s_delay_alu instid0(SALU_CYCLE_1)
	s_lshl_b64 s[4:5], s[4:5], 2
	s_waitcnt lgkmcnt(0)
	s_ashr_i32 s9, s8, 31
	s_add_u32 s10, s14, s4
	s_addc_u32 s11, s15, s5
	s_lshl_b64 s[4:5], s[8:9], 2
	s_delay_alu instid0(SALU_CYCLE_1)
	s_add_u32 s16, s10, s4
	s_addc_u32 s17, s11, s5
.LBB63_2:
	s_load_b128 s[8:11], s[2:3], 0x0
	v_and_b32_e32 v178, 0x3ff, v0
	s_mul_i32 s2, s18, s13
	s_mul_hi_u32 s3, s18, s12
	s_mul_i32 s4, s19, s12
	s_add_i32 s3, s3, s2
	s_mul_i32 s2, s18, s12
	s_add_i32 s3, s3, s4
	v_lshlrev_b32_e32 v13, 4, v178
	s_lshl_b64 s[2:3], s[2:3], 4
	s_movk_i32 s14, 0xf0
	s_movk_i32 s15, 0x100
	;; [unrolled: 1-line block ×10, first 2 shown]
	s_waitcnt lgkmcnt(0)
	v_add3_u32 v3, s11, s11, v178
	s_ashr_i32 s5, s10, 31
	s_mov_b32 s4, s10
	s_add_u32 s8, s8, s2
	s_addc_u32 s9, s9, s3
	v_add_nc_u32_e32 v2, s11, v3
	v_ashrrev_i32_e32 v4, 31, v3
	s_lshl_b64 s[2:3], s[4:5], 4
	s_mov_b32 s12, s11
	s_add_u32 s2, s8, s2
	s_addc_u32 s3, s9, s3
	v_add_co_u32 v50, s4, s2, v13
	v_lshlrev_b64 v[9:10], 4, v[3:4]
	v_ashrrev_i32_e32 v3, 31, v2
	s_ashr_i32 s13, s11, 31
	v_add_co_ci_u32_e64 v51, null, s3, 0, s4
	s_lshl_b64 s[4:5], s[12:13], 4
	v_add_nc_u32_e32 v1, s11, v2
	v_add_co_u32 v11, vcc_lo, v50, s4
	v_lshlrev_b64 v[2:3], 4, v[2:3]
	v_add_co_ci_u32_e32 v12, vcc_lo, s5, v51, vcc_lo
	v_add_co_u32 v14, vcc_lo, s2, v9
	v_add_co_ci_u32_e32 v15, vcc_lo, s3, v10, vcc_lo
	s_delay_alu instid0(VALU_DEP_4)
	v_add_co_u32 v2, vcc_lo, s2, v2
	v_add_co_ci_u32_e32 v3, vcc_lo, s3, v3, vcc_lo
	global_load_b128 v[5:8], v13, s[2:3]
	s_clause 0x2
	scratch_store_b64 off, v[11:12], off offset:1268
	scratch_store_b64 off, v[14:15], off offset:1260
	;; [unrolled: 1-line block ×3, first 2 shown]
	s_clause 0x2
	global_load_b128 v[9:12], v[11:12], off
	global_load_b128 v[18:21], v[2:3], off
	;; [unrolled: 1-line block ×3, first 2 shown]
	v_add_nc_u32_e32 v22, s11, v1
	v_ashrrev_i32_e32 v2, 31, v1
	s_movk_i32 s4, 0x70
	s_movk_i32 s5, 0x80
	;; [unrolled: 1-line block ×3, first 2 shown]
	v_add_nc_u32_e32 v24, s11, v22
	v_ashrrev_i32_e32 v23, 31, v22
	v_lshlrev_b64 v[1:2], 4, v[1:2]
	s_movk_i32 s9, 0xa0
	s_movk_i32 s12, 0xd0
	v_add_nc_u32_e32 v26, s11, v24
	v_ashrrev_i32_e32 v25, 31, v24
	v_lshlrev_b64 v[22:23], 4, v[22:23]
	v_add_co_u32 v1, vcc_lo, s2, v1
	s_delay_alu instid0(VALU_DEP_4) | instskip(SKIP_3) | instid1(VALU_DEP_4)
	v_add_nc_u32_e32 v28, s11, v26
	v_ashrrev_i32_e32 v27, 31, v26
	v_lshlrev_b64 v[24:25], 4, v[24:25]
	v_add_co_ci_u32_e32 v2, vcc_lo, s3, v2, vcc_lo
	v_add_nc_u32_e32 v30, s11, v28
	v_ashrrev_i32_e32 v29, 31, v28
	v_add_co_u32 v22, vcc_lo, s2, v22
	v_lshlrev_b64 v[33:34], 4, v[26:27]
	s_delay_alu instid0(VALU_DEP_4) | instskip(SKIP_3) | instid1(VALU_DEP_4)
	v_add_nc_u32_e32 v32, s11, v30
	v_add_co_ci_u32_e32 v23, vcc_lo, s3, v23, vcc_lo
	v_ashrrev_i32_e32 v31, 31, v30
	v_add_co_u32 v26, vcc_lo, s2, v24
	v_add_nc_u32_e32 v38, s11, v32
	v_lshlrev_b64 v[35:36], 4, v[28:29]
	v_add_co_ci_u32_e32 v27, vcc_lo, s3, v25, vcc_lo
	v_add_co_u32 v53, vcc_lo, s2, v33
	s_delay_alu instid0(VALU_DEP_4) | instskip(SKIP_3) | instid1(VALU_DEP_4)
	v_add_nc_u32_e32 v40, s11, v38
	v_lshlrev_b64 v[41:42], 4, v[30:31]
	v_ashrrev_i32_e32 v33, 31, v32
	v_add_co_ci_u32_e32 v54, vcc_lo, s3, v34, vcc_lo
	v_add_nc_u32_e32 v46, s11, v40
	v_add_co_u32 v34, vcc_lo, s2, v35
	v_ashrrev_i32_e32 v39, 31, v38
	v_add_co_ci_u32_e32 v35, vcc_lo, s3, v36, vcc_lo
	s_delay_alu instid0(VALU_DEP_4)
	v_add_nc_u32_e32 v48, s11, v46
	v_lshlrev_b64 v[43:44], 4, v[32:33]
	s_clause 0x3
	scratch_store_b64 off, v[1:2], off offset:1276
	scratch_store_b64 off, v[22:23], off offset:1284
	;; [unrolled: 1-line block ×4, first 2 shown]
	v_add_nc_u32_e32 v52, s11, v48
	global_load_b128 v[30:33], v[53:54], off
	v_add_co_u32 v53, vcc_lo, s2, v41
	v_ashrrev_i32_e32 v41, 31, v40
	v_add_nc_u32_e32 v80, s11, v52
	v_lshlrev_b64 v[72:73], 4, v[38:39]
	v_add_co_ci_u32_e32 v54, vcc_lo, s3, v42, vcc_lo
	v_add_co_u32 v42, vcc_lo, s2, v43
	s_delay_alu instid0(VALU_DEP_4) | instskip(SKIP_3) | instid1(VALU_DEP_4)
	v_add_nc_u32_e32 v82, s11, v80
	v_lshlrev_b64 v[74:75], 4, v[40:41]
	v_add_co_ci_u32_e32 v43, vcc_lo, s3, v44, vcc_lo
	v_ashrrev_i32_e32 v47, 31, v46
	v_add_nc_u32_e32 v84, s11, v82
	s_clause 0x1
	scratch_store_b64 off, v[34:35], off offset:1308
	scratch_store_b64 off, v[53:54], off offset:1316
	global_load_b128 v[38:41], v[53:54], off
	v_add_co_u32 v54, vcc_lo, s2, v72
	v_add_nc_u32_e32 v86, s11, v84
	v_add_co_ci_u32_e32 v55, vcc_lo, s3, v73, vcc_lo
	scratch_store_b64 off, v[42:43], off offset:1324 ; 8-byte Folded Spill
	v_ashrrev_i32_e32 v49, 31, v48
	v_add_nc_u32_e32 v90, s11, v86
	scratch_store_b64 off, v[54:55], off offset:1332 ; 8-byte Folded Spill
	v_add_co_u32 v56, vcc_lo, s2, v74
	v_lshlrev_b64 v[76:77], 4, v[46:47]
	v_add_nc_u32_e32 v92, s11, v90
	v_add_co_ci_u32_e32 v57, vcc_lo, s3, v75, vcc_lo
	v_lshlrev_b64 v[78:79], 4, v[48:49]
	v_ashrrev_i32_e32 v53, 31, v52
	s_delay_alu instid0(VALU_DEP_4)
	v_add_nc_u32_e32 v96, s11, v92
	s_clause 0x1
	global_load_b128 v[46:49], v[54:55], off
	global_load_b128 v[162:165], v[56:57], off
	v_add_co_u32 v54, vcc_lo, s2, v76
	v_add_nc_u32_e32 v98, s11, v96
	v_add_co_ci_u32_e32 v55, vcc_lo, s3, v77, vcc_lo
	v_ashrrev_i32_e32 v81, 31, v80
	scratch_store_b64 off, v[56:57], off offset:1340 ; 8-byte Folded Spill
	v_add_nc_u32_e32 v100, s11, v98
	v_add_co_u32 v56, vcc_lo, s2, v78
	v_lshlrev_b64 v[52:53], 4, v[52:53]
	v_add_co_ci_u32_e32 v57, vcc_lo, s3, v79, vcc_lo
	scratch_store_b64 off, v[54:55], off offset:1348 ; 8-byte Folded Spill
	v_add_nc_u32_e32 v102, s11, v100
	v_lshlrev_b64 v[93:94], 4, v[80:81]
	v_ashrrev_i32_e32 v83, 31, v82
	s_clause 0x1
	global_load_b128 v[166:169], v[54:55], off
	global_load_b128 v[170:173], v[56:57], off
	v_add_nc_u32_e32 v104, s11, v102
	v_add_co_u32 v54, vcc_lo, s2, v52
	v_add_co_ci_u32_e32 v55, vcc_lo, s3, v53, vcc_lo
	s_delay_alu instid0(VALU_DEP_3)
	v_add_nc_u32_e32 v106, s11, v104
	v_ashrrev_i32_e32 v85, 31, v84
	s_clause 0x1
	scratch_store_b64 off, v[56:57], off offset:1356
	scratch_store_b64 off, v[54:55], off offset:1364
	v_add_co_u32 v56, vcc_lo, s2, v93
	v_add_nc_u32_e32 v108, s11, v106
	v_lshlrev_b64 v[52:53], 4, v[82:83]
	v_add_co_ci_u32_e32 v57, vcc_lo, s3, v94, vcc_lo
	v_lshlrev_b64 v[93:94], 4, v[84:85]
	s_delay_alu instid0(VALU_DEP_4)
	v_add_nc_u32_e32 v110, s11, v108
	v_ashrrev_i32_e32 v87, 31, v86
	s_clause 0x1
	global_load_b128 v[174:177], v[54:55], off
	global_load_b128 v[179:182], v[56:57], off
	v_add_co_u32 v54, vcc_lo, s2, v52
	v_add_nc_u32_e32 v112, s11, v110
	v_add_co_ci_u32_e32 v55, vcc_lo, s3, v53, vcc_lo
	scratch_store_b64 off, v[56:57], off offset:1372 ; 8-byte Folded Spill
	v_add_co_u32 v56, vcc_lo, s2, v93
	v_add_nc_u32_e32 v114, s11, v112
	v_lshlrev_b64 v[52:53], 4, v[86:87]
	v_add_co_ci_u32_e32 v57, vcc_lo, s3, v94, vcc_lo
	scratch_store_b64 off, v[54:55], off offset:1380 ; 8-byte Folded Spill
	v_add_nc_u32_e32 v116, s11, v114
	v_ashrrev_i32_e32 v91, 31, v90
	v_ashrrev_i32_e32 v93, 31, v92
	s_clause 0x1
	global_load_b128 v[183:186], v[54:55], off
	global_load_b128 v[187:190], v[56:57], off
	v_add_nc_u32_e32 v118, s11, v116
	v_add_co_u32 v54, vcc_lo, s2, v52
	v_lshlrev_b64 v[94:95], 4, v[90:91]
	v_add_co_ci_u32_e32 v55, vcc_lo, s3, v53, vcc_lo
	s_delay_alu instid0(VALU_DEP_4)
	v_add_nc_u32_e32 v120, s11, v118
	v_lshlrev_b64 v[52:53], 4, v[92:93]
	s_clause 0x1
	scratch_store_b64 off, v[56:57], off offset:1388
	scratch_store_b64 off, v[54:55], off offset:1396
	v_add_co_u32 v56, vcc_lo, s2, v94
	v_add_nc_u32_e32 v122, s11, v120
	v_add_co_ci_u32_e32 v57, vcc_lo, s3, v95, vcc_lo
	v_ashrrev_i32_e32 v97, 31, v96
	v_ashrrev_i32_e32 v99, 31, v98
	s_delay_alu instid0(VALU_DEP_4)
	v_add_nc_u32_e32 v124, s11, v122
	s_clause 0x1
	global_load_b128 v[191:194], v[54:55], off
	global_load_b128 v[195:198], v[56:57], off
	v_add_co_u32 v54, vcc_lo, s2, v52
	v_add_nc_u32_e32 v126, s11, v124
	v_lshlrev_b64 v[96:97], 4, v[96:97]
	v_add_co_ci_u32_e32 v55, vcc_lo, s3, v53, vcc_lo
	v_lshlrev_b64 v[52:53], 4, v[98:99]
	s_delay_alu instid0(VALU_DEP_4)
	v_add_nc_u32_e32 v128, s11, v126
	scratch_store_b64 off, v[56:57], off offset:1404 ; 8-byte Folded Spill
	v_add_co_u32 v56, vcc_lo, s2, v96
	v_ashrrev_i32_e32 v101, 31, v100
	v_add_nc_u32_e32 v130, s11, v128
	v_add_co_ci_u32_e32 v57, vcc_lo, s3, v97, vcc_lo
	scratch_store_b64 off, v[54:55], off offset:1412 ; 8-byte Folded Spill
	v_lshlrev_b64 v[99:100], 4, v[100:101]
	v_add_nc_u32_e32 v132, s11, v130
	v_add_co_u32 v52, vcc_lo, s2, v52
	v_add_co_ci_u32_e32 v53, vcc_lo, s3, v53, vcc_lo
	scratch_store_b64 off, v[56:57], off offset:1420 ; 8-byte Folded Spill
	v_add_nc_u32_e32 v134, s11, v132
	s_clause 0x1
	global_load_b128 v[199:202], v[54:55], off
	global_load_b128 v[203:206], v[56:57], off
	v_add_co_u32 v54, vcc_lo, s2, v99
	v_add_nc_u32_e32 v92, s11, v134
	v_add_co_ci_u32_e32 v55, vcc_lo, s3, v100, vcc_lo
	v_ashrrev_i32_e32 v103, 31, v102
	v_ashrrev_i32_e32 v105, 31, v104
	s_delay_alu instid0(VALU_DEP_4)
	v_add_nc_u32_e32 v136, s11, v92
	v_ashrrev_i32_e32 v107, 31, v106
	s_clause 0x1
	global_load_b128 v[42:45], v[42:43], off
	global_load_b128 v[207:210], v[52:53], off
	v_lshlrev_b64 v[101:102], 4, v[102:103]
	v_add_nc_u32_e32 v138, s11, v136
	scratch_store_b64 off, v[52:53], off offset:1428 ; 8-byte Folded Spill
	v_lshlrev_b64 v[103:104], 4, v[104:105]
	v_lshlrev_b64 v[105:106], 4, v[106:107]
	v_ashrrev_i32_e32 v109, 31, v108
	v_add_nc_u32_e32 v98, s11, v138
	v_add_co_u32 v52, vcc_lo, s2, v101
	v_add_co_ci_u32_e32 v53, vcc_lo, s3, v102, vcc_lo
	s_delay_alu instid0(VALU_DEP_3)
	v_add_nc_u32_e32 v96, s11, v98
	scratch_store_b64 off, v[54:55], off offset:1436 ; 8-byte Folded Spill
	s_clause 0x1
	global_load_b128 v[211:214], v[54:55], off
	global_load_b128 v[215:218], v[52:53], off
	v_add_co_u32 v54, vcc_lo, s2, v103
	v_add_nc_u32_e32 v144, s11, v96
	v_add_co_ci_u32_e32 v55, vcc_lo, s3, v104, vcc_lo
	scratch_store_b64 off, v[52:53], off offset:1444 ; 8-byte Folded Spill
	v_add_co_u32 v52, vcc_lo, s2, v105
	v_add_nc_u32_e32 v146, s11, v144
	v_lshlrev_b64 v[107:108], 4, v[108:109]
	v_add_co_ci_u32_e32 v53, vcc_lo, s3, v106, vcc_lo
	scratch_store_b64 off, v[54:55], off offset:1452 ; 8-byte Folded Spill
	v_add_nc_u32_e32 v100, s11, v146
	s_clause 0x1
	global_load_b128 v[219:222], v[54:55], off
	global_load_b128 v[223:226], v[52:53], off
	v_add_co_u32 v54, vcc_lo, s2, v107
	v_add_nc_u32_e32 v150, s11, v100
	v_add_co_ci_u32_e32 v55, vcc_lo, s3, v108, vcc_lo
	v_ashrrev_i32_e32 v111, 31, v110
	v_ashrrev_i32_e32 v113, 31, v112
	s_delay_alu instid0(VALU_DEP_4)
	v_add_nc_u32_e32 v152, s11, v150
	scratch_store_b64 off, v[54:55], off offset:1468 ; 8-byte Folded Spill
	global_load_b128 v[227:230], v[54:55], off
	v_lshlrev_b64 v[109:110], 4, v[110:111]
	v_ashrrev_i32_e32 v115, 31, v114
	v_add_nc_u32_e32 v154, s11, v152
	v_lshlrev_b64 v[111:112], 4, v[112:113]
	v_ashrrev_i32_e32 v117, 31, v116
	scratch_store_b64 off, v[52:53], off offset:1460 ; 8-byte Folded Spill
	v_add_co_u32 v52, vcc_lo, s2, v109
	v_add_nc_u32_e32 v156, s11, v154
	v_lshlrev_b64 v[113:114], 4, v[114:115]
	v_ashrrev_i32_e32 v119, 31, v118
	v_add_co_ci_u32_e32 v53, vcc_lo, s3, v110, vcc_lo
	s_delay_alu instid0(VALU_DEP_4) | instskip(SKIP_3) | instid1(VALU_DEP_4)
	v_add_nc_u32_e32 v158, s11, v156
	v_add_co_u32 v63, vcc_lo, s2, v111
	v_lshlrev_b64 v[115:116], 4, v[116:117]
	v_ashrrev_i32_e32 v121, 31, v120
	v_add_nc_u32_e32 v239, s11, v158
	global_load_b128 v[1:4], v[1:2], off
	v_add_co_ci_u32_e32 v64, vcc_lo, s3, v112, vcc_lo
	v_add_co_u32 v65, vcc_lo, s2, v113
	v_add_nc_u32_e32 v254, s11, v239
	v_lshlrev_b64 v[117:118], 4, v[118:119]
	v_ashrrev_i32_e32 v123, 31, v122
	v_add_co_ci_u32_e32 v66, vcc_lo, s3, v114, vcc_lo
	s_delay_alu instid0(VALU_DEP_4) | instskip(SKIP_3) | instid1(VALU_DEP_4)
	v_add_nc_u32_e32 v88, s11, v254
	v_add_co_u32 v67, vcc_lo, s2, v115
	v_lshlrev_b64 v[119:120], 4, v[120:121]
	v_ashrrev_i32_e32 v125, 31, v124
	v_add_nc_u32_e32 v54, s11, v88
	v_add_co_ci_u32_e32 v68, vcc_lo, s3, v116, vcc_lo
	v_add_co_u32 v69, vcc_lo, s2, v117
	s_delay_alu instid0(VALU_DEP_3) | instskip(SKIP_3) | instid1(VALU_DEP_4)
	v_add_nc_u32_e32 v56, s11, v54
	v_lshlrev_b64 v[121:122], 4, v[122:123]
	v_add_co_ci_u32_e32 v70, vcc_lo, s3, v118, vcc_lo
	v_add_co_u32 v118, vcc_lo, s2, v119
	v_add_nc_u32_e32 v58, s11, v56
	v_lshlrev_b64 v[123:124], 4, v[124:125]
	v_ashrrev_i32_e32 v127, 31, v126
	v_add_co_ci_u32_e32 v119, vcc_lo, s3, v120, vcc_lo
	s_delay_alu instid0(VALU_DEP_4) | instskip(SKIP_3) | instid1(VALU_DEP_4)
	v_add_nc_u32_e32 v60, s11, v58
	v_add_co_u32 v120, vcc_lo, s2, v121
	v_ashrrev_i32_e32 v129, 31, v128
	v_add_co_ci_u32_e32 v121, vcc_lo, s3, v122, vcc_lo
	v_add_nc_u32_e32 v62, s11, v60
	v_lshlrev_b64 v[126:127], 4, v[126:127]
	v_add_co_u32 v122, vcc_lo, s2, v123
	v_add_co_ci_u32_e32 v123, vcc_lo, s3, v124, vcc_lo
	s_delay_alu instid0(VALU_DEP_4) | instskip(SKIP_3) | instid1(VALU_DEP_4)
	v_add_nc_u32_e32 v139, s11, v62
	v_lshlrev_b64 v[124:125], 4, v[128:129]
	v_ashrrev_i32_e32 v131, 31, v130
	v_add_co_u32 v126, vcc_lo, s2, v126
	v_ashrrev_i32_e32 v140, 31, v139
	v_add_co_ci_u32_e32 v127, vcc_lo, s3, v127, vcc_lo
	v_ashrrev_i32_e32 v133, 31, v132
	v_add_co_u32 v128, vcc_lo, s2, v124
	s_delay_alu instid0(VALU_DEP_4)
	v_lshlrev_b64 v[139:140], 4, v[139:140]
	v_lshlrev_b64 v[130:131], 4, v[130:131]
	v_add_co_ci_u32_e32 v129, vcc_lo, s3, v125, vcc_lo
	v_ashrrev_i32_e32 v135, 31, v134
	v_lshlrev_b64 v[132:133], 4, v[132:133]
	v_add_co_u32 v124, vcc_lo, s2, v139
	v_add_co_ci_u32_e32 v125, vcc_lo, s3, v140, vcc_lo
	v_ashrrev_i32_e32 v93, 31, v92
	v_add_co_u32 v130, vcc_lo, s2, v130
	v_lshlrev_b64 v[134:135], 4, v[134:135]
	s_clause 0x2
	global_load_b128 v[22:25], v[22:23], off
	global_load_b128 v[26:29], v[26:27], off
	;; [unrolled: 1-line block ×3, first 2 shown]
	v_add_co_ci_u32_e32 v131, vcc_lo, s3, v131, vcc_lo
	global_load_b128 v[242:245], v[124:125], off
	s_waitcnt vmcnt(29)
	scratch_store_b128 off, v[5:8], off
	s_waitcnt vmcnt(28)
	s_clause 0x1
	scratch_store_b128 off, v[9:12], off offset:16
	scratch_store_b64 off, v[52:53], off offset:1476
	s_clause 0x1
	global_load_b128 v[5:8], v[52:53], off
	global_load_b128 v[9:12], v[63:64], off
	scratch_store_b64 off, v[63:64], off offset:1484 ; 8-byte Folded Spill
	s_waitcnt vmcnt(28)
	s_clause 0x3
	scratch_store_b128 off, v[14:17], off offset:32
	scratch_store_b64 off, v[65:66], off offset:1492
	scratch_store_b128 off, v[18:21], off offset:48
	scratch_store_b64 off, v[67:68], off offset:1500
	v_add_co_u32 v132, vcc_lo, s2, v132
	v_lshlrev_b64 v[18:19], 4, v[92:93]
	v_ashrrev_i32_e32 v137, 31, v136
	v_add_co_ci_u32_e32 v133, vcc_lo, s3, v133, vcc_lo
	v_add_co_u32 v134, vcc_lo, s2, v134
	v_ashrrev_i32_e32 v139, 31, v138
	v_add_co_ci_u32_e32 v135, vcc_lo, s3, v135, vcc_lo
	v_lshlrev_b64 v[20:21], 4, v[136:137]
	v_add_co_u32 v136, vcc_lo, s2, v18
	v_add_co_ci_u32_e32 v137, vcc_lo, s3, v19, vcc_lo
	v_lshlrev_b64 v[18:19], 4, v[138:139]
	v_ashrrev_i32_e32 v99, 31, v98
	v_add_co_u32 v138, vcc_lo, s2, v20
	v_ashrrev_i32_e32 v97, 31, v96
	v_add_co_ci_u32_e32 v139, vcc_lo, s3, v21, vcc_lo
	s_delay_alu instid0(VALU_DEP_4)
	v_lshlrev_b64 v[20:21], 4, v[98:99]
	v_add_co_u32 v140, vcc_lo, s2, v18
	global_load_b128 v[14:17], v[65:66], off
	v_add_co_ci_u32_e32 v141, vcc_lo, s3, v19, vcc_lo
	v_lshlrev_b64 v[18:19], 4, v[96:97]
	v_ashrrev_i32_e32 v145, 31, v144
	v_add_co_u32 v142, vcc_lo, s2, v20
	v_ashrrev_i32_e32 v147, 31, v146
	v_add_co_ci_u32_e32 v143, vcc_lo, s3, v21, vcc_lo
	s_delay_alu instid0(VALU_DEP_4)
	v_lshlrev_b64 v[20:21], 4, v[144:145]
	v_add_co_u32 v144, vcc_lo, s2, v18
	v_add_co_ci_u32_e32 v145, vcc_lo, s3, v19, vcc_lo
	v_lshlrev_b64 v[18:19], 4, v[146:147]
	v_ashrrev_i32_e32 v101, 31, v100
	v_add_co_u32 v146, vcc_lo, s2, v20
	v_ashrrev_i32_e32 v151, 31, v150
	v_add_co_ci_u32_e32 v147, vcc_lo, s3, v21, vcc_lo
	s_delay_alu instid0(VALU_DEP_4)
	v_lshlrev_b64 v[20:21], 4, v[100:101]
	v_add_co_u32 v148, vcc_lo, s2, v18
	;; [unrolled: 9-line block ×3, first 2 shown]
	v_add_co_ci_u32_e32 v153, vcc_lo, s3, v19, vcc_lo
	v_lshlrev_b64 v[18:19], 4, v[154:155]
	v_ashrrev_i32_e32 v157, 31, v156
	v_add_co_u32 v154, vcc_lo, s2, v20
	v_ashrrev_i32_e32 v159, 31, v158
	v_add_co_ci_u32_e32 v155, vcc_lo, s3, v21, vcc_lo
	s_delay_alu instid0(VALU_DEP_4) | instskip(SKIP_3) | instid1(VALU_DEP_4)
	v_lshlrev_b64 v[20:21], 4, v[156:157]
	v_add_co_u32 v156, vcc_lo, s2, v18
	v_add_co_ci_u32_e32 v157, vcc_lo, s3, v19, vcc_lo
	v_lshlrev_b64 v[18:19], 4, v[158:159]
	v_add_co_u32 v158, vcc_lo, s2, v20
	v_add_co_ci_u32_e32 v159, vcc_lo, s3, v21, vcc_lo
	v_ashrrev_i32_e32 v240, 31, v239
	s_delay_alu instid0(VALU_DEP_4)
	v_add_co_u32 v160, vcc_lo, s2, v18
	v_add_co_ci_u32_e32 v161, vcc_lo, s3, v19, vcc_lo
	global_load_b128 v[18:21], v[67:68], off
	s_waitcnt vmcnt(8)
	s_clause 0x1
	scratch_store_b128 off, v[1:4], off offset:64
	scratch_store_b64 off, v[69:70], off offset:1508
	global_load_b128 v[1:4], v[69:70], off
	v_ashrrev_i32_e32 v255, 31, v254
	v_lshlrev_b64 v[92:93], 4, v[239:240]
	v_ashrrev_i32_e32 v89, 31, v88
	v_ashrrev_i32_e32 v55, 31, v54
	;; [unrolled: 1-line block ×3, first 2 shown]
	v_lshlrev_b64 v[96:97], 4, v[254:255]
	v_ashrrev_i32_e32 v59, 31, v58
	v_ashrrev_i32_e32 v61, 31, v60
	;; [unrolled: 1-line block ×3, first 2 shown]
	s_movk_i32 s13, 0xe0
	s_movk_i32 s30, 0x190
	;; [unrolled: 1-line block ×42, first 2 shown]
	v_add_nc_u32_e64 v255, s11, 0
	s_bitcmp0_b32 s21, 0
	s_waitcnt vmcnt(8)
	scratch_store_b128 off, v[22:25], off offset:80
	global_load_b128 v[22:25], v[118:119], off
	s_waitcnt vmcnt(8)
	s_clause 0x1
	scratch_store_b128 off, v[26:29], off offset:96
	scratch_store_b128 off, v[30:33], off offset:112
	s_clause 0x1
	global_load_b128 v[26:29], v[120:121], off
	global_load_b128 v[30:33], v[122:123], off
	s_waitcnt vmcnt(9)
	s_clause 0x1
	scratch_store_b128 off, v[34:37], off offset:128
	scratch_store_b128 off, v[38:41], off offset:144
	s_clause 0x1
	global_load_b128 v[34:37], v[126:127], off
	global_load_b128 v[38:41], v[128:129], off
	s_clause 0x1
	scratch_store_b128 off, v[42:45], off offset:160
	scratch_store_b128 off, v[46:49], off offset:176
	s_clause 0x1
	global_load_b128 v[42:45], v[130:131], off
	global_load_b128 v[46:49], v[132:133], off
	;; [unrolled: 6-line block ×9, first 2 shown]
	s_clause 0x2
	scratch_store_b128 off, v[219:222], off offset:416
	scratch_store_b128 off, v[223:226], off offset:432
	;; [unrolled: 1-line block ×3, first 2 shown]
	s_waitcnt vmcnt(25)
	scratch_store_b128 off, v[5:8], off offset:464
	s_waitcnt vmcnt(24)
	scratch_store_b128 off, v[9:12], off offset:480
	;; [unrolled: 2-line block ×3, first 2 shown]
	v_add_co_u32 v162, vcc_lo, s2, v92
	v_lshlrev_b64 v[5:6], 4, v[88:89]
	v_add_co_ci_u32_e32 v163, vcc_lo, s3, v93, vcc_lo
	v_add_co_u32 v164, vcc_lo, s2, v96
	v_lshlrev_b64 v[7:8], 4, v[54:55]
	v_add_co_ci_u32_e32 v165, vcc_lo, s3, v97, vcc_lo
	;; [unrolled: 3-line block ×4, first 2 shown]
	v_add_co_u32 v170, vcc_lo, s2, v54
	v_add_co_ci_u32_e32 v171, vcc_lo, s3, v55, vcc_lo
	s_delay_alu instid0(VALU_DEP_4)
	v_add_co_u32 v172, vcc_lo, s2, v56
	v_add_co_ci_u32_e32 v173, vcc_lo, s3, v57, vcc_lo
	s_clause 0x5
	global_load_b128 v[5:8], v[162:163], off
	global_load_b128 v[9:12], v[164:165], off
	;; [unrolled: 1-line block ×6, first 2 shown]
	v_lshlrev_b64 v[54:55], 4, v[60:61]
	v_lshlrev_b64 v[56:57], 4, v[62:63]
	s_delay_alu instid0(VALU_DEP_2) | instskip(NEXT) | instid1(VALU_DEP_3)
	v_add_co_u32 v174, vcc_lo, s2, v54
	v_add_co_ci_u32_e32 v175, vcc_lo, s3, v55, vcc_lo
	s_delay_alu instid0(VALU_DEP_3) | instskip(NEXT) | instid1(VALU_DEP_4)
	v_add_co_u32 v176, vcc_lo, s2, v56
	v_add_co_ci_u32_e32 v177, vcc_lo, s3, v57, vcc_lo
	s_movk_i32 s2, 0x50
	s_movk_i32 s3, 0x60
	s_waitcnt vmcnt(28)
	scratch_store_b128 off, v[18:21], off offset:512
	global_load_b128 v[18:21], v[174:175], off
	s_waitcnt vmcnt(28)
	scratch_store_b128 off, v[1:4], off offset:528
	global_load_b128 v[1:4], v[176:177], off
	s_waitcnt vmcnt(28)
	scratch_store_b128 off, v[22:25], off offset:544
	v_add_nc_u32_e64 v22, s2, 0
	scratch_store_b32 off, v22, off offset:1184 ; 4-byte Folded Spill
	s_waitcnt vmcnt(27)
	scratch_store_b128 off, v[26:29], off offset:560
	v_add_nc_u32_e64 v22, s3, 0
	s_mov_b32 s3, -1
	scratch_store_b32 off, v22, off offset:1180 ; 4-byte Folded Spill
	v_add_nc_u32_e64 v22, s4, 0
	scratch_store_b32 off, v22, off offset:1176 ; 4-byte Folded Spill
	v_add_nc_u32_e64 v22, s5, 0
	;; [unrolled: 2-line block ×3, first 2 shown]
	scratch_store_b32 off, v22, off offset:1160 ; 4-byte Folded Spill
	s_waitcnt vmcnt(26)
	scratch_store_b128 off, v[30:33], off offset:576
	v_add_nc_u32_e64 v22, s9, 0
	scratch_store_b32 off, v22, off offset:1156 ; 4-byte Folded Spill
	s_waitcnt vmcnt(25)
	scratch_store_b128 off, v[34:37], off offset:592
	s_waitcnt vmcnt(24)
	scratch_store_b128 off, v[38:41], off offset:608
	;; [unrolled: 2-line block ×25, first 2 shown]
	v_add_nc_u32_e64 v5, s12, 0
	v_add_nc_u32_e64 v217, s10, 0
	scratch_store_b32 off, v5, off offset:1244 ; 4-byte Folded Spill
	v_add_nc_u32_e64 v5, s13, 0
	scratch_store_b32 off, v5, off offset:1240 ; 4-byte Folded Spill
	;; [unrolled: 2-line block ×51, first 2 shown]
	s_waitcnt vmcnt(0)
	s_clause 0x1
	scratch_store_b128 off, v[1:4], off offset:992
	scratch_store_b128 off, v[242:245], off offset:1008
	s_cbranch_scc1 .LBB63_12
; %bb.3:
	v_cmp_eq_u32_e64 s2, 0, v178
	s_delay_alu instid0(VALU_DEP_1)
	s_and_saveexec_b32 s3, s2
	s_cbranch_execz .LBB63_5
; %bb.4:
	v_mov_b32_e32 v1, 0
	ds_store_b32 v1, v1 offset:2048
.LBB63_5:
	s_or_b32 exec_lo, exec_lo, s3
	s_waitcnt lgkmcnt(0)
	s_waitcnt_vscnt null, 0x0
	s_barrier
	buffer_gl0_inv
	scratch_load_b128 v[1:4], v13, off
	s_waitcnt vmcnt(0)
	v_cmp_eq_f64_e32 vcc_lo, 0, v[1:2]
	v_cmp_eq_f64_e64 s3, 0, v[3:4]
	s_delay_alu instid0(VALU_DEP_1) | instskip(NEXT) | instid1(SALU_CYCLE_1)
	s_and_b32 s3, vcc_lo, s3
	s_and_saveexec_b32 s4, s3
	s_cbranch_execz .LBB63_9
; %bb.6:
	v_mov_b32_e32 v1, 0
	s_mov_b32 s5, 0
	ds_load_b32 v2, v1 offset:2048
	s_waitcnt lgkmcnt(0)
	v_readfirstlane_b32 s3, v2
	v_add_nc_u32_e32 v2, 1, v178
	s_delay_alu instid0(VALU_DEP_2) | instskip(NEXT) | instid1(VALU_DEP_1)
	s_cmp_eq_u32 s3, 0
	v_cmp_gt_i32_e32 vcc_lo, s3, v2
	s_cselect_b32 s8, -1, 0
	s_delay_alu instid0(SALU_CYCLE_1) | instskip(NEXT) | instid1(SALU_CYCLE_1)
	s_or_b32 s8, s8, vcc_lo
	s_and_b32 exec_lo, exec_lo, s8
	s_cbranch_execz .LBB63_9
; %bb.7:
	v_mov_b32_e32 v3, s3
.LBB63_8:                               ; =>This Inner Loop Header: Depth=1
	ds_cmpstore_rtn_b32 v3, v1, v2, v3 offset:2048
	s_waitcnt lgkmcnt(0)
	v_cmp_ne_u32_e32 vcc_lo, 0, v3
	v_cmp_le_i32_e64 s3, v3, v2
	s_delay_alu instid0(VALU_DEP_1) | instskip(NEXT) | instid1(SALU_CYCLE_1)
	s_and_b32 s3, vcc_lo, s3
	s_and_b32 s3, exec_lo, s3
	s_delay_alu instid0(SALU_CYCLE_1) | instskip(NEXT) | instid1(SALU_CYCLE_1)
	s_or_b32 s5, s3, s5
	s_and_not1_b32 exec_lo, exec_lo, s5
	s_cbranch_execnz .LBB63_8
.LBB63_9:
	s_or_b32 exec_lo, exec_lo, s4
	v_mov_b32_e32 v1, 0
	s_barrier
	buffer_gl0_inv
	ds_load_b32 v2, v1 offset:2048
	s_and_saveexec_b32 s3, s2
	s_cbranch_execz .LBB63_11
; %bb.10:
	s_lshl_b64 s[4:5], s[18:19], 2
	s_delay_alu instid0(SALU_CYCLE_1)
	s_add_u32 s4, s6, s4
	s_addc_u32 s5, s7, s5
	s_waitcnt lgkmcnt(0)
	global_store_b32 v1, v2, s[4:5]
.LBB63_11:
	s_or_b32 exec_lo, exec_lo, s3
	s_waitcnt lgkmcnt(0)
	v_cmp_ne_u32_e32 vcc_lo, 0, v2
	s_mov_b32 s3, 0
	s_cbranch_vccz .LBB63_15
.LBB63_12:
	s_and_b32 vcc_lo, exec_lo, s3
	s_cbranch_vccz .LBB63_14
.LBB63_13:
	s_lshl_b64 s[2:3], s[18:19], 2
	v_mov_b32_e32 v1, 0
	s_add_u32 s2, s6, s2
	s_addc_u32 s3, s7, s3
	global_load_b32 v1, v1, s[2:3]
	s_waitcnt vmcnt(0)
	v_cmp_ne_u32_e32 vcc_lo, 0, v1
	s_cbranch_vccz .LBB63_282
.LBB63_14:
	s_endpgm
.LBB63_15:
	v_add_nc_u32_e32 v14, 0, v13
                                        ; implicit-def: $vgpr9_vgpr10
	scratch_load_b128 v[1:4], v14, off
	s_waitcnt vmcnt(0)
	v_mov_b32_e32 v5, v1
	v_cmp_gt_f64_e32 vcc_lo, 0, v[1:2]
	v_xor_b32_e32 v6, 0x80000000, v2
	v_xor_b32_e32 v7, 0x80000000, v4
	s_delay_alu instid0(VALU_DEP_2) | instskip(SKIP_1) | instid1(VALU_DEP_3)
	v_cndmask_b32_e32 v6, v2, v6, vcc_lo
	v_cmp_gt_f64_e32 vcc_lo, 0, v[3:4]
	v_dual_cndmask_b32 v8, v4, v7 :: v_dual_mov_b32 v7, v3
	s_delay_alu instid0(VALU_DEP_1) | instskip(SKIP_1) | instid1(SALU_CYCLE_1)
	v_cmp_ngt_f64_e32 vcc_lo, v[5:6], v[7:8]
                                        ; implicit-def: $vgpr5_vgpr6
	s_and_saveexec_b32 s3, vcc_lo
	s_xor_b32 s3, exec_lo, s3
	s_cbranch_execz .LBB63_17
; %bb.16:
	v_div_scale_f64 v[5:6], null, v[3:4], v[3:4], v[1:2]
	v_div_scale_f64 v[11:12], vcc_lo, v[1:2], v[3:4], v[1:2]
	s_delay_alu instid0(VALU_DEP_2) | instskip(SKIP_2) | instid1(VALU_DEP_1)
	v_rcp_f64_e32 v[7:8], v[5:6]
	s_waitcnt_depctr 0xfff
	v_fma_f64 v[9:10], -v[5:6], v[7:8], 1.0
	v_fma_f64 v[7:8], v[7:8], v[9:10], v[7:8]
	s_delay_alu instid0(VALU_DEP_1) | instskip(NEXT) | instid1(VALU_DEP_1)
	v_fma_f64 v[9:10], -v[5:6], v[7:8], 1.0
	v_fma_f64 v[7:8], v[7:8], v[9:10], v[7:8]
	s_delay_alu instid0(VALU_DEP_1) | instskip(NEXT) | instid1(VALU_DEP_1)
	v_mul_f64 v[9:10], v[11:12], v[7:8]
	v_fma_f64 v[5:6], -v[5:6], v[9:10], v[11:12]
	s_delay_alu instid0(VALU_DEP_1) | instskip(NEXT) | instid1(VALU_DEP_1)
	v_div_fmas_f64 v[5:6], v[5:6], v[7:8], v[9:10]
	v_div_fixup_f64 v[5:6], v[5:6], v[3:4], v[1:2]
	s_delay_alu instid0(VALU_DEP_1) | instskip(NEXT) | instid1(VALU_DEP_1)
	v_fma_f64 v[1:2], v[1:2], v[5:6], v[3:4]
	v_div_scale_f64 v[3:4], null, v[1:2], v[1:2], 1.0
	v_div_scale_f64 v[11:12], vcc_lo, 1.0, v[1:2], 1.0
	s_delay_alu instid0(VALU_DEP_2) | instskip(SKIP_2) | instid1(VALU_DEP_1)
	v_rcp_f64_e32 v[7:8], v[3:4]
	s_waitcnt_depctr 0xfff
	v_fma_f64 v[9:10], -v[3:4], v[7:8], 1.0
	v_fma_f64 v[7:8], v[7:8], v[9:10], v[7:8]
	s_delay_alu instid0(VALU_DEP_1) | instskip(NEXT) | instid1(VALU_DEP_1)
	v_fma_f64 v[9:10], -v[3:4], v[7:8], 1.0
	v_fma_f64 v[7:8], v[7:8], v[9:10], v[7:8]
	s_delay_alu instid0(VALU_DEP_1) | instskip(NEXT) | instid1(VALU_DEP_1)
	v_mul_f64 v[9:10], v[11:12], v[7:8]
	v_fma_f64 v[3:4], -v[3:4], v[9:10], v[11:12]
	s_delay_alu instid0(VALU_DEP_1) | instskip(NEXT) | instid1(VALU_DEP_1)
	v_div_fmas_f64 v[3:4], v[3:4], v[7:8], v[9:10]
	v_div_fixup_f64 v[7:8], v[3:4], v[1:2], 1.0
                                        ; implicit-def: $vgpr1_vgpr2
	s_delay_alu instid0(VALU_DEP_1) | instskip(SKIP_1) | instid1(VALU_DEP_2)
	v_mul_f64 v[5:6], v[5:6], v[7:8]
	v_xor_b32_e32 v8, 0x80000000, v8
	v_xor_b32_e32 v10, 0x80000000, v6
	s_delay_alu instid0(VALU_DEP_3)
	v_mov_b32_e32 v9, v5
.LBB63_17:
	s_and_not1_saveexec_b32 s3, s3
	s_cbranch_execz .LBB63_19
; %bb.18:
	v_div_scale_f64 v[5:6], null, v[1:2], v[1:2], v[3:4]
	v_div_scale_f64 v[11:12], vcc_lo, v[3:4], v[1:2], v[3:4]
	s_delay_alu instid0(VALU_DEP_2) | instskip(SKIP_2) | instid1(VALU_DEP_1)
	v_rcp_f64_e32 v[7:8], v[5:6]
	s_waitcnt_depctr 0xfff
	v_fma_f64 v[9:10], -v[5:6], v[7:8], 1.0
	v_fma_f64 v[7:8], v[7:8], v[9:10], v[7:8]
	s_delay_alu instid0(VALU_DEP_1) | instskip(NEXT) | instid1(VALU_DEP_1)
	v_fma_f64 v[9:10], -v[5:6], v[7:8], 1.0
	v_fma_f64 v[7:8], v[7:8], v[9:10], v[7:8]
	s_delay_alu instid0(VALU_DEP_1) | instskip(NEXT) | instid1(VALU_DEP_1)
	v_mul_f64 v[9:10], v[11:12], v[7:8]
	v_fma_f64 v[5:6], -v[5:6], v[9:10], v[11:12]
	s_delay_alu instid0(VALU_DEP_1) | instskip(NEXT) | instid1(VALU_DEP_1)
	v_div_fmas_f64 v[5:6], v[5:6], v[7:8], v[9:10]
	v_div_fixup_f64 v[7:8], v[5:6], v[1:2], v[3:4]
	s_delay_alu instid0(VALU_DEP_1) | instskip(NEXT) | instid1(VALU_DEP_1)
	v_fma_f64 v[1:2], v[3:4], v[7:8], v[1:2]
	v_div_scale_f64 v[3:4], null, v[1:2], v[1:2], 1.0
	s_delay_alu instid0(VALU_DEP_1) | instskip(SKIP_2) | instid1(VALU_DEP_1)
	v_rcp_f64_e32 v[5:6], v[3:4]
	s_waitcnt_depctr 0xfff
	v_fma_f64 v[9:10], -v[3:4], v[5:6], 1.0
	v_fma_f64 v[5:6], v[5:6], v[9:10], v[5:6]
	s_delay_alu instid0(VALU_DEP_1) | instskip(NEXT) | instid1(VALU_DEP_1)
	v_fma_f64 v[9:10], -v[3:4], v[5:6], 1.0
	v_fma_f64 v[5:6], v[5:6], v[9:10], v[5:6]
	v_div_scale_f64 v[9:10], vcc_lo, 1.0, v[1:2], 1.0
	s_delay_alu instid0(VALU_DEP_1) | instskip(NEXT) | instid1(VALU_DEP_1)
	v_mul_f64 v[11:12], v[9:10], v[5:6]
	v_fma_f64 v[3:4], -v[3:4], v[11:12], v[9:10]
	s_delay_alu instid0(VALU_DEP_1) | instskip(NEXT) | instid1(VALU_DEP_1)
	v_div_fmas_f64 v[3:4], v[3:4], v[5:6], v[11:12]
	v_div_fixup_f64 v[5:6], v[3:4], v[1:2], 1.0
	s_delay_alu instid0(VALU_DEP_1)
	v_mul_f64 v[7:8], v[7:8], -v[5:6]
	v_xor_b32_e32 v10, 0x80000000, v6
	v_mov_b32_e32 v9, v5
.LBB63_19:
	s_or_b32 exec_lo, exec_lo, s3
	v_add_nc_u32_e64 v1, 0, 16
	scratch_store_b128 v14, v[5:8], off
	v_xor_b32_e32 v12, 0x80000000, v8
	v_mov_b32_e32 v11, v7
	v_or_b32_e32 v5, 0x400, v13
	scratch_load_b128 v[1:4], v1, off
	ds_store_b128 v13, v[9:12]
	s_waitcnt vmcnt(0)
	ds_store_b128 v13, v[1:4] offset:1024
	s_waitcnt lgkmcnt(0)
	s_waitcnt_vscnt null, 0x0
	s_barrier
	buffer_gl0_inv
	s_and_saveexec_b32 s3, s2
	s_cbranch_execz .LBB63_21
; %bb.20:
	scratch_load_b128 v[1:4], v14, off
	ds_load_b128 v[6:9], v5
	v_mov_b32_e32 v10, 0
	ds_load_b128 v[15:18], v10 offset:16
	s_waitcnt vmcnt(0) lgkmcnt(1)
	v_mul_f64 v[10:11], v[6:7], v[3:4]
	v_mul_f64 v[3:4], v[8:9], v[3:4]
	s_delay_alu instid0(VALU_DEP_2) | instskip(NEXT) | instid1(VALU_DEP_2)
	v_fma_f64 v[8:9], v[8:9], v[1:2], v[10:11]
	v_fma_f64 v[1:2], v[6:7], v[1:2], -v[3:4]
	s_delay_alu instid0(VALU_DEP_2) | instskip(NEXT) | instid1(VALU_DEP_2)
	v_add_f64 v[3:4], v[8:9], 0
	v_add_f64 v[1:2], v[1:2], 0
	s_waitcnt lgkmcnt(0)
	s_delay_alu instid0(VALU_DEP_2) | instskip(NEXT) | instid1(VALU_DEP_2)
	v_mul_f64 v[6:7], v[3:4], v[17:18]
	v_mul_f64 v[8:9], v[1:2], v[17:18]
	s_delay_alu instid0(VALU_DEP_2) | instskip(NEXT) | instid1(VALU_DEP_2)
	v_fma_f64 v[1:2], v[1:2], v[15:16], -v[6:7]
	v_fma_f64 v[3:4], v[3:4], v[15:16], v[8:9]
	scratch_store_b128 off, v[1:4], off offset:16
.LBB63_21:
	s_or_b32 exec_lo, exec_lo, s3
	v_add_nc_u32_e64 v1, 0, 32
	s_waitcnt_vscnt null, 0x0
	s_barrier
	buffer_gl0_inv
	v_cmp_gt_u32_e32 vcc_lo, 2, v178
	scratch_load_b128 v[1:4], v1, off
	s_waitcnt vmcnt(0)
	ds_store_b128 v5, v[1:4]
	s_waitcnt lgkmcnt(0)
	s_barrier
	buffer_gl0_inv
	s_and_saveexec_b32 s3, vcc_lo
	s_cbranch_execz .LBB63_25
; %bb.22:
	scratch_load_b128 v[1:4], v14, off
	ds_load_b128 v[6:9], v5
	s_waitcnt vmcnt(0) lgkmcnt(0)
	v_mul_f64 v[10:11], v[8:9], v[3:4]
	v_mul_f64 v[3:4], v[6:7], v[3:4]
	s_delay_alu instid0(VALU_DEP_2) | instskip(NEXT) | instid1(VALU_DEP_2)
	v_fma_f64 v[6:7], v[6:7], v[1:2], -v[10:11]
	v_fma_f64 v[3:4], v[8:9], v[1:2], v[3:4]
	s_delay_alu instid0(VALU_DEP_2) | instskip(NEXT) | instid1(VALU_DEP_2)
	v_add_f64 v[1:2], v[6:7], 0
	v_add_f64 v[3:4], v[3:4], 0
	s_and_saveexec_b32 s4, s2
	s_cbranch_execz .LBB63_24
; %bb.23:
	scratch_load_b128 v[6:9], off, off offset:16
	v_mov_b32_e32 v10, 0
	ds_load_b128 v[15:18], v10 offset:1040
	s_waitcnt vmcnt(0) lgkmcnt(0)
	v_mul_f64 v[10:11], v[15:16], v[8:9]
	v_mul_f64 v[8:9], v[17:18], v[8:9]
	s_delay_alu instid0(VALU_DEP_2) | instskip(NEXT) | instid1(VALU_DEP_2)
	v_fma_f64 v[10:11], v[17:18], v[6:7], v[10:11]
	v_fma_f64 v[6:7], v[15:16], v[6:7], -v[8:9]
	s_delay_alu instid0(VALU_DEP_2) | instskip(NEXT) | instid1(VALU_DEP_2)
	v_add_f64 v[3:4], v[3:4], v[10:11]
	v_add_f64 v[1:2], v[1:2], v[6:7]
.LBB63_24:
	s_or_b32 exec_lo, exec_lo, s4
	v_mov_b32_e32 v6, 0
	ds_load_b128 v[6:9], v6 offset:32
	s_waitcnt lgkmcnt(0)
	v_mul_f64 v[10:11], v[3:4], v[8:9]
	v_mul_f64 v[8:9], v[1:2], v[8:9]
	s_delay_alu instid0(VALU_DEP_2) | instskip(NEXT) | instid1(VALU_DEP_2)
	v_fma_f64 v[1:2], v[1:2], v[6:7], -v[10:11]
	v_fma_f64 v[3:4], v[3:4], v[6:7], v[8:9]
	scratch_store_b128 off, v[1:4], off offset:32
.LBB63_25:
	s_or_b32 exec_lo, exec_lo, s3
	v_add_nc_u32_e64 v1, 0, 48
	s_waitcnt_vscnt null, 0x0
	s_barrier
	buffer_gl0_inv
	v_add_nc_u32_e32 v6, -1, v178
	scratch_load_b128 v[1:4], v1, off
	s_mov_b32 s4, exec_lo
	s_waitcnt vmcnt(0)
	ds_store_b128 v5, v[1:4]
	s_waitcnt lgkmcnt(0)
	s_barrier
	buffer_gl0_inv
	v_cmpx_gt_u32_e32 3, v178
	s_cbranch_execz .LBB63_29
; %bb.26:
	v_mov_b32_e32 v1, 0
	v_dual_mov_b32 v2, 0 :: v_dual_add_nc_u32 v7, -1, v178
	v_or_b32_e32 v8, 0x400, v13
	v_or_b32_e32 v9, 8, v14
	s_mov_b32 s5, 0
	s_delay_alu instid0(VALU_DEP_3)
	v_dual_mov_b32 v4, v2 :: v_dual_mov_b32 v3, v1
	.p2align	6
.LBB63_27:                              ; =>This Inner Loop Header: Depth=1
	scratch_load_b128 v[15:18], v9, off offset:-8
	ds_load_b128 v[19:22], v8
	v_add_nc_u32_e32 v7, 1, v7
	v_add_nc_u32_e32 v8, 16, v8
	;; [unrolled: 1-line block ×3, first 2 shown]
	s_delay_alu instid0(VALU_DEP_3) | instskip(NEXT) | instid1(VALU_DEP_1)
	v_cmp_lt_u32_e64 s3, 1, v7
	s_or_b32 s5, s3, s5
	s_waitcnt vmcnt(0) lgkmcnt(0)
	v_mul_f64 v[10:11], v[21:22], v[17:18]
	v_mul_f64 v[17:18], v[19:20], v[17:18]
	s_delay_alu instid0(VALU_DEP_2) | instskip(NEXT) | instid1(VALU_DEP_2)
	v_fma_f64 v[10:11], v[19:20], v[15:16], -v[10:11]
	v_fma_f64 v[15:16], v[21:22], v[15:16], v[17:18]
	s_delay_alu instid0(VALU_DEP_2) | instskip(NEXT) | instid1(VALU_DEP_2)
	v_add_f64 v[3:4], v[3:4], v[10:11]
	v_add_f64 v[1:2], v[1:2], v[15:16]
	s_and_not1_b32 exec_lo, exec_lo, s5
	s_cbranch_execnz .LBB63_27
; %bb.28:
	s_or_b32 exec_lo, exec_lo, s5
	v_mov_b32_e32 v7, 0
	ds_load_b128 v[7:10], v7 offset:48
	s_waitcnt lgkmcnt(0)
	v_mul_f64 v[11:12], v[1:2], v[9:10]
	v_mul_f64 v[15:16], v[3:4], v[9:10]
	s_delay_alu instid0(VALU_DEP_2) | instskip(NEXT) | instid1(VALU_DEP_2)
	v_fma_f64 v[9:10], v[3:4], v[7:8], -v[11:12]
	v_fma_f64 v[11:12], v[1:2], v[7:8], v[15:16]
	scratch_store_b128 off, v[9:12], off offset:48
.LBB63_29:
	s_or_b32 exec_lo, exec_lo, s4
	v_add_nc_u32_e64 v1, 0, 64
	s_waitcnt_vscnt null, 0x0
	s_barrier
	buffer_gl0_inv
	v_cmp_gt_u32_e64 s3, 4, v178
	scratch_load_b128 v[1:4], v1, off
	s_waitcnt vmcnt(0)
	ds_store_b128 v5, v[1:4]
	s_waitcnt lgkmcnt(0)
	s_barrier
	buffer_gl0_inv
	s_and_saveexec_b32 s5, s3
	s_cbranch_execz .LBB63_33
; %bb.30:
	v_mov_b32_e32 v1, 0
	v_dual_mov_b32 v2, 0 :: v_dual_add_nc_u32 v7, -1, v178
	v_or_b32_e32 v8, 0x400, v13
	v_or_b32_e32 v9, 8, v14
	s_mov_b32 s8, 0
	s_delay_alu instid0(VALU_DEP_3)
	v_dual_mov_b32 v4, v2 :: v_dual_mov_b32 v3, v1
	.p2align	6
.LBB63_31:                              ; =>This Inner Loop Header: Depth=1
	scratch_load_b128 v[15:18], v9, off offset:-8
	ds_load_b128 v[19:22], v8
	v_add_nc_u32_e32 v7, 1, v7
	v_add_nc_u32_e32 v8, 16, v8
	;; [unrolled: 1-line block ×3, first 2 shown]
	s_delay_alu instid0(VALU_DEP_3) | instskip(NEXT) | instid1(VALU_DEP_1)
	v_cmp_lt_u32_e64 s4, 2, v7
	s_or_b32 s8, s4, s8
	s_waitcnt vmcnt(0) lgkmcnt(0)
	v_mul_f64 v[10:11], v[21:22], v[17:18]
	v_mul_f64 v[17:18], v[19:20], v[17:18]
	s_delay_alu instid0(VALU_DEP_2) | instskip(NEXT) | instid1(VALU_DEP_2)
	v_fma_f64 v[10:11], v[19:20], v[15:16], -v[10:11]
	v_fma_f64 v[15:16], v[21:22], v[15:16], v[17:18]
	s_delay_alu instid0(VALU_DEP_2) | instskip(NEXT) | instid1(VALU_DEP_2)
	v_add_f64 v[3:4], v[3:4], v[10:11]
	v_add_f64 v[1:2], v[1:2], v[15:16]
	s_and_not1_b32 exec_lo, exec_lo, s8
	s_cbranch_execnz .LBB63_31
; %bb.32:
	s_or_b32 exec_lo, exec_lo, s8
	v_mov_b32_e32 v7, 0
	ds_load_b128 v[7:10], v7 offset:64
	s_waitcnt lgkmcnt(0)
	v_mul_f64 v[11:12], v[1:2], v[9:10]
	v_mul_f64 v[15:16], v[3:4], v[9:10]
	s_delay_alu instid0(VALU_DEP_2) | instskip(NEXT) | instid1(VALU_DEP_2)
	v_fma_f64 v[9:10], v[3:4], v[7:8], -v[11:12]
	v_fma_f64 v[11:12], v[1:2], v[7:8], v[15:16]
	scratch_store_b128 off, v[9:12], off offset:64
.LBB63_33:
	s_or_b32 exec_lo, exec_lo, s5
	s_waitcnt_vscnt null, 0x0
	s_barrier
	buffer_gl0_inv
	scratch_load_b32 v1, off, off offset:1184 ; 4-byte Folded Reload
	s_mov_b32 s5, exec_lo
	s_waitcnt vmcnt(0)
	scratch_load_b128 v[1:4], v1, off
	s_waitcnt vmcnt(0)
	ds_store_b128 v5, v[1:4]
	s_waitcnt lgkmcnt(0)
	s_barrier
	buffer_gl0_inv
	v_cmpx_gt_u32_e32 5, v178
	s_cbranch_execz .LBB63_37
; %bb.34:
	v_mov_b32_e32 v1, 0
	v_dual_mov_b32 v2, 0 :: v_dual_add_nc_u32 v7, -1, v178
	v_or_b32_e32 v8, 0x400, v13
	v_or_b32_e32 v9, 8, v14
	s_mov_b32 s8, 0
	s_delay_alu instid0(VALU_DEP_3)
	v_dual_mov_b32 v4, v2 :: v_dual_mov_b32 v3, v1
	.p2align	6
.LBB63_35:                              ; =>This Inner Loop Header: Depth=1
	scratch_load_b128 v[15:18], v9, off offset:-8
	ds_load_b128 v[19:22], v8
	v_add_nc_u32_e32 v7, 1, v7
	v_add_nc_u32_e32 v8, 16, v8
	;; [unrolled: 1-line block ×3, first 2 shown]
	s_delay_alu instid0(VALU_DEP_3) | instskip(NEXT) | instid1(VALU_DEP_1)
	v_cmp_lt_u32_e64 s4, 3, v7
	s_or_b32 s8, s4, s8
	s_waitcnt vmcnt(0) lgkmcnt(0)
	v_mul_f64 v[10:11], v[21:22], v[17:18]
	v_mul_f64 v[17:18], v[19:20], v[17:18]
	s_delay_alu instid0(VALU_DEP_2) | instskip(NEXT) | instid1(VALU_DEP_2)
	v_fma_f64 v[10:11], v[19:20], v[15:16], -v[10:11]
	v_fma_f64 v[15:16], v[21:22], v[15:16], v[17:18]
	s_delay_alu instid0(VALU_DEP_2) | instskip(NEXT) | instid1(VALU_DEP_2)
	v_add_f64 v[3:4], v[3:4], v[10:11]
	v_add_f64 v[1:2], v[1:2], v[15:16]
	s_and_not1_b32 exec_lo, exec_lo, s8
	s_cbranch_execnz .LBB63_35
; %bb.36:
	s_or_b32 exec_lo, exec_lo, s8
	v_mov_b32_e32 v7, 0
	ds_load_b128 v[7:10], v7 offset:80
	s_waitcnt lgkmcnt(0)
	v_mul_f64 v[11:12], v[1:2], v[9:10]
	v_mul_f64 v[15:16], v[3:4], v[9:10]
	s_delay_alu instid0(VALU_DEP_2) | instskip(NEXT) | instid1(VALU_DEP_2)
	v_fma_f64 v[9:10], v[3:4], v[7:8], -v[11:12]
	v_fma_f64 v[11:12], v[1:2], v[7:8], v[15:16]
	scratch_store_b128 off, v[9:12], off offset:80
.LBB63_37:
	s_or_b32 exec_lo, exec_lo, s5
	s_waitcnt_vscnt null, 0x0
	s_barrier
	buffer_gl0_inv
	scratch_load_b32 v1, off, off offset:1180 ; 4-byte Folded Reload
	v_cmp_gt_u32_e64 s4, 6, v178
	s_waitcnt vmcnt(0)
	scratch_load_b128 v[1:4], v1, off
	s_waitcnt vmcnt(0)
	ds_store_b128 v5, v[1:4]
	s_waitcnt lgkmcnt(0)
	s_barrier
	buffer_gl0_inv
	s_and_saveexec_b32 s8, s4
	s_cbranch_execz .LBB63_41
; %bb.38:
	v_mov_b32_e32 v1, 0
	v_dual_mov_b32 v2, 0 :: v_dual_add_nc_u32 v7, -1, v178
	v_or_b32_e32 v8, 0x400, v13
	v_or_b32_e32 v9, 8, v14
	s_mov_b32 s9, 0
	s_delay_alu instid0(VALU_DEP_3)
	v_dual_mov_b32 v4, v2 :: v_dual_mov_b32 v3, v1
	.p2align	6
.LBB63_39:                              ; =>This Inner Loop Header: Depth=1
	scratch_load_b128 v[15:18], v9, off offset:-8
	ds_load_b128 v[19:22], v8
	v_add_nc_u32_e32 v7, 1, v7
	v_add_nc_u32_e32 v8, 16, v8
	;; [unrolled: 1-line block ×3, first 2 shown]
	s_delay_alu instid0(VALU_DEP_3) | instskip(NEXT) | instid1(VALU_DEP_1)
	v_cmp_lt_u32_e64 s5, 4, v7
	s_or_b32 s9, s5, s9
	s_waitcnt vmcnt(0) lgkmcnt(0)
	v_mul_f64 v[10:11], v[21:22], v[17:18]
	v_mul_f64 v[17:18], v[19:20], v[17:18]
	s_delay_alu instid0(VALU_DEP_2) | instskip(NEXT) | instid1(VALU_DEP_2)
	v_fma_f64 v[10:11], v[19:20], v[15:16], -v[10:11]
	v_fma_f64 v[15:16], v[21:22], v[15:16], v[17:18]
	s_delay_alu instid0(VALU_DEP_2) | instskip(NEXT) | instid1(VALU_DEP_2)
	v_add_f64 v[3:4], v[3:4], v[10:11]
	v_add_f64 v[1:2], v[1:2], v[15:16]
	s_and_not1_b32 exec_lo, exec_lo, s9
	s_cbranch_execnz .LBB63_39
; %bb.40:
	s_or_b32 exec_lo, exec_lo, s9
	v_mov_b32_e32 v7, 0
	ds_load_b128 v[7:10], v7 offset:96
	s_waitcnt lgkmcnt(0)
	v_mul_f64 v[11:12], v[1:2], v[9:10]
	v_mul_f64 v[15:16], v[3:4], v[9:10]
	s_delay_alu instid0(VALU_DEP_2) | instskip(NEXT) | instid1(VALU_DEP_2)
	v_fma_f64 v[9:10], v[3:4], v[7:8], -v[11:12]
	v_fma_f64 v[11:12], v[1:2], v[7:8], v[15:16]
	scratch_store_b128 off, v[9:12], off offset:96
.LBB63_41:
	s_or_b32 exec_lo, exec_lo, s8
	s_waitcnt_vscnt null, 0x0
	s_barrier
	buffer_gl0_inv
	scratch_load_b32 v1, off, off offset:1176 ; 4-byte Folded Reload
	s_mov_b32 s8, exec_lo
	s_waitcnt vmcnt(0)
	scratch_load_b128 v[1:4], v1, off
	s_waitcnt vmcnt(0)
	ds_store_b128 v5, v[1:4]
	s_waitcnt lgkmcnt(0)
	s_barrier
	buffer_gl0_inv
	v_cmpx_gt_u32_e32 7, v178
	s_cbranch_execz .LBB63_45
; %bb.42:
	v_mov_b32_e32 v1, 0
	v_dual_mov_b32 v2, 0 :: v_dual_add_nc_u32 v7, -1, v178
	v_or_b32_e32 v8, 0x400, v13
	v_or_b32_e32 v9, 8, v14
	s_mov_b32 s9, 0
	s_delay_alu instid0(VALU_DEP_3)
	v_dual_mov_b32 v4, v2 :: v_dual_mov_b32 v3, v1
	.p2align	6
.LBB63_43:                              ; =>This Inner Loop Header: Depth=1
	scratch_load_b128 v[15:18], v9, off offset:-8
	ds_load_b128 v[19:22], v8
	v_add_nc_u32_e32 v7, 1, v7
	v_add_nc_u32_e32 v8, 16, v8
	;; [unrolled: 1-line block ×3, first 2 shown]
	s_delay_alu instid0(VALU_DEP_3) | instskip(NEXT) | instid1(VALU_DEP_1)
	v_cmp_lt_u32_e64 s5, 5, v7
	s_or_b32 s9, s5, s9
	s_waitcnt vmcnt(0) lgkmcnt(0)
	v_mul_f64 v[10:11], v[21:22], v[17:18]
	v_mul_f64 v[17:18], v[19:20], v[17:18]
	s_delay_alu instid0(VALU_DEP_2) | instskip(NEXT) | instid1(VALU_DEP_2)
	v_fma_f64 v[10:11], v[19:20], v[15:16], -v[10:11]
	v_fma_f64 v[15:16], v[21:22], v[15:16], v[17:18]
	s_delay_alu instid0(VALU_DEP_2) | instskip(NEXT) | instid1(VALU_DEP_2)
	v_add_f64 v[3:4], v[3:4], v[10:11]
	v_add_f64 v[1:2], v[1:2], v[15:16]
	s_and_not1_b32 exec_lo, exec_lo, s9
	s_cbranch_execnz .LBB63_43
; %bb.44:
	s_or_b32 exec_lo, exec_lo, s9
	v_mov_b32_e32 v7, 0
	ds_load_b128 v[7:10], v7 offset:112
	s_waitcnt lgkmcnt(0)
	v_mul_f64 v[11:12], v[1:2], v[9:10]
	v_mul_f64 v[15:16], v[3:4], v[9:10]
	s_delay_alu instid0(VALU_DEP_2) | instskip(NEXT) | instid1(VALU_DEP_2)
	v_fma_f64 v[9:10], v[3:4], v[7:8], -v[11:12]
	v_fma_f64 v[11:12], v[1:2], v[7:8], v[15:16]
	scratch_store_b128 off, v[9:12], off offset:112
.LBB63_45:
	s_or_b32 exec_lo, exec_lo, s8
	s_waitcnt_vscnt null, 0x0
	s_barrier
	buffer_gl0_inv
	scratch_load_b32 v1, off, off offset:1168 ; 4-byte Folded Reload
	s_mov_b32 s8, exec_lo
	s_waitcnt vmcnt(0)
	scratch_load_b128 v[1:4], v1, off
	s_waitcnt vmcnt(0)
	ds_store_b128 v5, v[1:4]
	s_waitcnt lgkmcnt(0)
	s_barrier
	buffer_gl0_inv
	v_cmpx_gt_u32_e32 8, v178
	s_cbranch_execz .LBB63_61
; %bb.46:
	scratch_load_b128 v[1:4], v14, off
	ds_load_b128 v[7:10], v5
	s_mov_b32 s9, exec_lo
	s_waitcnt vmcnt(0) lgkmcnt(0)
	v_mul_f64 v[11:12], v[9:10], v[3:4]
	v_mul_f64 v[3:4], v[7:8], v[3:4]
	s_delay_alu instid0(VALU_DEP_2) | instskip(NEXT) | instid1(VALU_DEP_2)
	v_fma_f64 v[7:8], v[7:8], v[1:2], -v[11:12]
	v_fma_f64 v[1:2], v[9:10], v[1:2], v[3:4]
	s_delay_alu instid0(VALU_DEP_2) | instskip(NEXT) | instid1(VALU_DEP_2)
	v_add_f64 v[3:4], v[7:8], 0
	v_add_f64 v[1:2], v[1:2], 0
	v_cmpx_ne_u32_e32 7, v178
	s_cbranch_execz .LBB63_60
; %bb.47:
	scratch_load_b128 v[7:10], v14, off offset:16
	ds_load_b128 v[15:18], v5 offset:16
	s_waitcnt vmcnt(0) lgkmcnt(0)
	v_mul_f64 v[11:12], v[17:18], v[9:10]
	v_mul_f64 v[9:10], v[15:16], v[9:10]
	s_delay_alu instid0(VALU_DEP_2) | instskip(NEXT) | instid1(VALU_DEP_2)
	v_fma_f64 v[11:12], v[15:16], v[7:8], -v[11:12]
	v_fma_f64 v[7:8], v[17:18], v[7:8], v[9:10]
	s_delay_alu instid0(VALU_DEP_2) | instskip(NEXT) | instid1(VALU_DEP_2)
	v_add_f64 v[3:4], v[3:4], v[11:12]
	v_add_f64 v[1:2], v[1:2], v[7:8]
	s_and_saveexec_b32 s5, s4
	s_cbranch_execz .LBB63_59
; %bb.48:
	scratch_load_b128 v[7:10], v14, off offset:32
	ds_load_b128 v[15:18], v5 offset:32
	s_mov_b32 s10, exec_lo
	s_waitcnt vmcnt(0) lgkmcnt(0)
	v_mul_f64 v[11:12], v[17:18], v[9:10]
	v_mul_f64 v[9:10], v[15:16], v[9:10]
	s_delay_alu instid0(VALU_DEP_2) | instskip(NEXT) | instid1(VALU_DEP_2)
	v_fma_f64 v[11:12], v[15:16], v[7:8], -v[11:12]
	v_fma_f64 v[7:8], v[17:18], v[7:8], v[9:10]
	s_delay_alu instid0(VALU_DEP_2) | instskip(NEXT) | instid1(VALU_DEP_2)
	v_add_f64 v[3:4], v[3:4], v[11:12]
	v_add_f64 v[1:2], v[1:2], v[7:8]
	v_cmpx_ne_u32_e32 5, v178
	s_cbranch_execz .LBB63_58
; %bb.49:
	scratch_load_b128 v[7:10], v14, off offset:48
	ds_load_b128 v[15:18], v5 offset:48
	s_waitcnt vmcnt(0) lgkmcnt(0)
	v_mul_f64 v[11:12], v[17:18], v[9:10]
	v_mul_f64 v[9:10], v[15:16], v[9:10]
	s_delay_alu instid0(VALU_DEP_2) | instskip(NEXT) | instid1(VALU_DEP_2)
	v_fma_f64 v[11:12], v[15:16], v[7:8], -v[11:12]
	v_fma_f64 v[7:8], v[17:18], v[7:8], v[9:10]
	s_delay_alu instid0(VALU_DEP_2) | instskip(NEXT) | instid1(VALU_DEP_2)
	v_add_f64 v[3:4], v[3:4], v[11:12]
	v_add_f64 v[1:2], v[1:2], v[7:8]
	s_and_saveexec_b32 s4, s3
	s_cbranch_execz .LBB63_57
; %bb.50:
	scratch_load_b128 v[7:10], v14, off offset:64
	ds_load_b128 v[15:18], v5 offset:64
	s_mov_b32 s11, exec_lo
	s_waitcnt vmcnt(0) lgkmcnt(0)
	v_mul_f64 v[11:12], v[17:18], v[9:10]
	v_mul_f64 v[9:10], v[15:16], v[9:10]
	s_delay_alu instid0(VALU_DEP_2) | instskip(NEXT) | instid1(VALU_DEP_2)
	v_fma_f64 v[11:12], v[15:16], v[7:8], -v[11:12]
	v_fma_f64 v[7:8], v[17:18], v[7:8], v[9:10]
	s_delay_alu instid0(VALU_DEP_2) | instskip(NEXT) | instid1(VALU_DEP_2)
	v_add_f64 v[3:4], v[3:4], v[11:12]
	v_add_f64 v[1:2], v[1:2], v[7:8]
	v_cmpx_ne_u32_e32 3, v178
	s_cbranch_execz .LBB63_56
; %bb.51:
	scratch_load_b128 v[7:10], v14, off offset:80
	ds_load_b128 v[15:18], v5 offset:80
	s_waitcnt vmcnt(0) lgkmcnt(0)
	v_mul_f64 v[11:12], v[17:18], v[9:10]
	v_mul_f64 v[9:10], v[15:16], v[9:10]
	s_delay_alu instid0(VALU_DEP_2) | instskip(NEXT) | instid1(VALU_DEP_2)
	v_fma_f64 v[11:12], v[15:16], v[7:8], -v[11:12]
	v_fma_f64 v[7:8], v[17:18], v[7:8], v[9:10]
	s_delay_alu instid0(VALU_DEP_2) | instskip(NEXT) | instid1(VALU_DEP_2)
	v_add_f64 v[3:4], v[3:4], v[11:12]
	v_add_f64 v[1:2], v[1:2], v[7:8]
	s_and_saveexec_b32 s3, vcc_lo
	s_cbranch_execz .LBB63_55
; %bb.52:
	scratch_load_b128 v[7:10], v14, off offset:96
	ds_load_b128 v[15:18], v5 offset:96
	s_waitcnt vmcnt(0) lgkmcnt(0)
	v_mul_f64 v[11:12], v[17:18], v[9:10]
	v_mul_f64 v[9:10], v[15:16], v[9:10]
	s_delay_alu instid0(VALU_DEP_2) | instskip(NEXT) | instid1(VALU_DEP_2)
	v_fma_f64 v[11:12], v[15:16], v[7:8], -v[11:12]
	v_fma_f64 v[7:8], v[17:18], v[7:8], v[9:10]
	s_delay_alu instid0(VALU_DEP_2) | instskip(NEXT) | instid1(VALU_DEP_2)
	v_add_f64 v[3:4], v[3:4], v[11:12]
	v_add_f64 v[1:2], v[1:2], v[7:8]
	s_and_saveexec_b32 s12, s2
	s_cbranch_execz .LBB63_54
; %bb.53:
	scratch_load_b128 v[7:10], v14, off offset:112
	ds_load_b128 v[15:18], v5 offset:112
	s_waitcnt vmcnt(0) lgkmcnt(0)
	v_mul_f64 v[11:12], v[17:18], v[9:10]
	v_mul_f64 v[9:10], v[15:16], v[9:10]
	s_delay_alu instid0(VALU_DEP_2) | instskip(NEXT) | instid1(VALU_DEP_2)
	v_fma_f64 v[11:12], v[15:16], v[7:8], -v[11:12]
	v_fma_f64 v[7:8], v[17:18], v[7:8], v[9:10]
	s_delay_alu instid0(VALU_DEP_2) | instskip(NEXT) | instid1(VALU_DEP_2)
	v_add_f64 v[3:4], v[3:4], v[11:12]
	v_add_f64 v[1:2], v[1:2], v[7:8]
.LBB63_54:
	s_or_b32 exec_lo, exec_lo, s12
.LBB63_55:
	s_delay_alu instid0(SALU_CYCLE_1)
	s_or_b32 exec_lo, exec_lo, s3
.LBB63_56:
	s_delay_alu instid0(SALU_CYCLE_1)
	s_or_b32 exec_lo, exec_lo, s11
.LBB63_57:
	s_delay_alu instid0(SALU_CYCLE_1)
	s_or_b32 exec_lo, exec_lo, s4
.LBB63_58:
	s_delay_alu instid0(SALU_CYCLE_1)
	s_or_b32 exec_lo, exec_lo, s10
.LBB63_59:
	s_delay_alu instid0(SALU_CYCLE_1)
	s_or_b32 exec_lo, exec_lo, s5
.LBB63_60:
	s_delay_alu instid0(SALU_CYCLE_1)
	s_or_b32 exec_lo, exec_lo, s9
	v_mov_b32_e32 v7, 0
	ds_load_b128 v[7:10], v7 offset:128
	s_waitcnt lgkmcnt(0)
	v_mul_f64 v[11:12], v[1:2], v[9:10]
	v_mul_f64 v[15:16], v[3:4], v[9:10]
	s_delay_alu instid0(VALU_DEP_2) | instskip(NEXT) | instid1(VALU_DEP_2)
	v_fma_f64 v[9:10], v[3:4], v[7:8], -v[11:12]
	v_fma_f64 v[11:12], v[1:2], v[7:8], v[15:16]
	scratch_store_b128 off, v[9:12], off offset:128
.LBB63_61:
	s_or_b32 exec_lo, exec_lo, s8
	s_waitcnt_vscnt null, 0x0
	s_barrier
	buffer_gl0_inv
	scratch_load_b32 v1, off, off offset:1160 ; 4-byte Folded Reload
	s_mov_b32 s2, exec_lo
	s_waitcnt vmcnt(0)
	scratch_load_b128 v[1:4], v1, off
	s_waitcnt vmcnt(0)
	ds_store_b128 v5, v[1:4]
	s_waitcnt lgkmcnt(0)
	s_barrier
	buffer_gl0_inv
	v_cmpx_gt_u32_e32 9, v178
	s_cbranch_execz .LBB63_65
; %bb.62:
	v_mov_b32_e32 v1, 0
	v_dual_mov_b32 v2, 0 :: v_dual_add_nc_u32 v7, -1, v178
	v_or_b32_e32 v8, 0x400, v13
	v_or_b32_e32 v9, 8, v14
	s_mov_b32 s3, 0
	s_delay_alu instid0(VALU_DEP_3)
	v_dual_mov_b32 v4, v2 :: v_dual_mov_b32 v3, v1
	.p2align	6
.LBB63_63:                              ; =>This Inner Loop Header: Depth=1
	scratch_load_b128 v[15:18], v9, off offset:-8
	ds_load_b128 v[19:22], v8
	v_add_nc_u32_e32 v7, 1, v7
	v_add_nc_u32_e32 v8, 16, v8
	;; [unrolled: 1-line block ×3, first 2 shown]
	s_delay_alu instid0(VALU_DEP_3) | instskip(SKIP_4) | instid1(VALU_DEP_2)
	v_cmp_lt_u32_e32 vcc_lo, 7, v7
	s_or_b32 s3, vcc_lo, s3
	s_waitcnt vmcnt(0) lgkmcnt(0)
	v_mul_f64 v[10:11], v[21:22], v[17:18]
	v_mul_f64 v[17:18], v[19:20], v[17:18]
	v_fma_f64 v[10:11], v[19:20], v[15:16], -v[10:11]
	s_delay_alu instid0(VALU_DEP_2) | instskip(NEXT) | instid1(VALU_DEP_2)
	v_fma_f64 v[15:16], v[21:22], v[15:16], v[17:18]
	v_add_f64 v[3:4], v[3:4], v[10:11]
	s_delay_alu instid0(VALU_DEP_2)
	v_add_f64 v[1:2], v[1:2], v[15:16]
	s_and_not1_b32 exec_lo, exec_lo, s3
	s_cbranch_execnz .LBB63_63
; %bb.64:
	s_or_b32 exec_lo, exec_lo, s3
	v_mov_b32_e32 v7, 0
	ds_load_b128 v[7:10], v7 offset:144
	s_waitcnt lgkmcnt(0)
	v_mul_f64 v[11:12], v[1:2], v[9:10]
	v_mul_f64 v[15:16], v[3:4], v[9:10]
	s_delay_alu instid0(VALU_DEP_2) | instskip(NEXT) | instid1(VALU_DEP_2)
	v_fma_f64 v[9:10], v[3:4], v[7:8], -v[11:12]
	v_fma_f64 v[11:12], v[1:2], v[7:8], v[15:16]
	scratch_store_b128 off, v[9:12], off offset:144
.LBB63_65:
	s_or_b32 exec_lo, exec_lo, s2
	s_waitcnt_vscnt null, 0x0
	s_barrier
	buffer_gl0_inv
	scratch_load_b32 v1, off, off offset:1156 ; 4-byte Folded Reload
	s_mov_b32 s2, exec_lo
	s_waitcnt vmcnt(0)
	scratch_load_b128 v[1:4], v1, off
	s_waitcnt vmcnt(0)
	ds_store_b128 v5, v[1:4]
	s_waitcnt lgkmcnt(0)
	s_barrier
	buffer_gl0_inv
	v_cmpx_gt_u32_e32 10, v178
	s_cbranch_execz .LBB63_69
; %bb.66:
	v_mov_b32_e32 v1, 0
	v_dual_mov_b32 v2, 0 :: v_dual_add_nc_u32 v7, -1, v178
	v_or_b32_e32 v8, 0x400, v13
	v_or_b32_e32 v9, 8, v14
	s_mov_b32 s3, 0
	s_delay_alu instid0(VALU_DEP_3)
	v_dual_mov_b32 v4, v2 :: v_dual_mov_b32 v3, v1
	.p2align	6
.LBB63_67:                              ; =>This Inner Loop Header: Depth=1
	scratch_load_b128 v[15:18], v9, off offset:-8
	ds_load_b128 v[19:22], v8
	v_add_nc_u32_e32 v7, 1, v7
	v_add_nc_u32_e32 v8, 16, v8
	;; [unrolled: 1-line block ×3, first 2 shown]
	s_delay_alu instid0(VALU_DEP_3) | instskip(SKIP_4) | instid1(VALU_DEP_2)
	v_cmp_lt_u32_e32 vcc_lo, 8, v7
	s_or_b32 s3, vcc_lo, s3
	s_waitcnt vmcnt(0) lgkmcnt(0)
	v_mul_f64 v[10:11], v[21:22], v[17:18]
	v_mul_f64 v[17:18], v[19:20], v[17:18]
	v_fma_f64 v[10:11], v[19:20], v[15:16], -v[10:11]
	s_delay_alu instid0(VALU_DEP_2) | instskip(NEXT) | instid1(VALU_DEP_2)
	v_fma_f64 v[15:16], v[21:22], v[15:16], v[17:18]
	v_add_f64 v[3:4], v[3:4], v[10:11]
	s_delay_alu instid0(VALU_DEP_2)
	v_add_f64 v[1:2], v[1:2], v[15:16]
	s_and_not1_b32 exec_lo, exec_lo, s3
	s_cbranch_execnz .LBB63_67
; %bb.68:
	s_or_b32 exec_lo, exec_lo, s3
	v_mov_b32_e32 v7, 0
	ds_load_b128 v[7:10], v7 offset:160
	s_waitcnt lgkmcnt(0)
	v_mul_f64 v[11:12], v[1:2], v[9:10]
	v_mul_f64 v[15:16], v[3:4], v[9:10]
	s_delay_alu instid0(VALU_DEP_2) | instskip(NEXT) | instid1(VALU_DEP_2)
	v_fma_f64 v[9:10], v[3:4], v[7:8], -v[11:12]
	v_fma_f64 v[11:12], v[1:2], v[7:8], v[15:16]
	scratch_store_b128 off, v[9:12], off offset:160
.LBB63_69:
	s_or_b32 exec_lo, exec_lo, s2
	s_waitcnt_vscnt null, 0x0
	s_barrier
	buffer_gl0_inv
	scratch_load_b128 v[1:4], v217, off
	s_mov_b32 s2, exec_lo
	s_waitcnt vmcnt(0)
	ds_store_b128 v5, v[1:4]
	s_waitcnt lgkmcnt(0)
	s_barrier
	buffer_gl0_inv
	v_cmpx_gt_u32_e32 11, v178
	s_cbranch_execz .LBB63_73
; %bb.70:
	v_mov_b32_e32 v1, 0
	v_dual_mov_b32 v2, 0 :: v_dual_add_nc_u32 v7, -1, v178
	v_or_b32_e32 v8, 0x400, v13
	v_or_b32_e32 v9, 8, v14
	s_mov_b32 s3, 0
	s_delay_alu instid0(VALU_DEP_3)
	v_dual_mov_b32 v4, v2 :: v_dual_mov_b32 v3, v1
	.p2align	6
.LBB63_71:                              ; =>This Inner Loop Header: Depth=1
	scratch_load_b128 v[15:18], v9, off offset:-8
	ds_load_b128 v[19:22], v8
	v_add_nc_u32_e32 v7, 1, v7
	v_add_nc_u32_e32 v8, 16, v8
	;; [unrolled: 1-line block ×3, first 2 shown]
	s_delay_alu instid0(VALU_DEP_3) | instskip(SKIP_4) | instid1(VALU_DEP_2)
	v_cmp_lt_u32_e32 vcc_lo, 9, v7
	s_or_b32 s3, vcc_lo, s3
	s_waitcnt vmcnt(0) lgkmcnt(0)
	v_mul_f64 v[10:11], v[21:22], v[17:18]
	v_mul_f64 v[17:18], v[19:20], v[17:18]
	v_fma_f64 v[10:11], v[19:20], v[15:16], -v[10:11]
	s_delay_alu instid0(VALU_DEP_2) | instskip(NEXT) | instid1(VALU_DEP_2)
	v_fma_f64 v[15:16], v[21:22], v[15:16], v[17:18]
	v_add_f64 v[3:4], v[3:4], v[10:11]
	s_delay_alu instid0(VALU_DEP_2)
	v_add_f64 v[1:2], v[1:2], v[15:16]
	s_and_not1_b32 exec_lo, exec_lo, s3
	s_cbranch_execnz .LBB63_71
; %bb.72:
	s_or_b32 exec_lo, exec_lo, s3
	v_mov_b32_e32 v7, 0
	ds_load_b128 v[7:10], v7 offset:176
	s_waitcnt lgkmcnt(0)
	v_mul_f64 v[11:12], v[1:2], v[9:10]
	v_mul_f64 v[15:16], v[3:4], v[9:10]
	s_delay_alu instid0(VALU_DEP_2) | instskip(NEXT) | instid1(VALU_DEP_2)
	v_fma_f64 v[9:10], v[3:4], v[7:8], -v[11:12]
	v_fma_f64 v[11:12], v[1:2], v[7:8], v[15:16]
	scratch_store_b128 off, v[9:12], off offset:176
.LBB63_73:
	s_or_b32 exec_lo, exec_lo, s2
	s_waitcnt_vscnt null, 0x0
	s_barrier
	buffer_gl0_inv
	scratch_load_b128 v[1:4], v255, off
	s_mov_b32 s2, exec_lo
	s_waitcnt vmcnt(0)
	ds_store_b128 v5, v[1:4]
	s_waitcnt lgkmcnt(0)
	s_barrier
	buffer_gl0_inv
	v_cmpx_gt_u32_e32 12, v178
	s_cbranch_execz .LBB63_77
; %bb.74:
	v_mov_b32_e32 v1, 0
	v_dual_mov_b32 v2, 0 :: v_dual_add_nc_u32 v7, -1, v178
	v_or_b32_e32 v8, 0x400, v13
	v_or_b32_e32 v9, 8, v14
	s_mov_b32 s3, 0
	s_delay_alu instid0(VALU_DEP_3)
	v_dual_mov_b32 v4, v2 :: v_dual_mov_b32 v3, v1
	.p2align	6
.LBB63_75:                              ; =>This Inner Loop Header: Depth=1
	scratch_load_b128 v[15:18], v9, off offset:-8
	ds_load_b128 v[19:22], v8
	v_add_nc_u32_e32 v7, 1, v7
	v_add_nc_u32_e32 v8, 16, v8
	;; [unrolled: 1-line block ×3, first 2 shown]
	s_delay_alu instid0(VALU_DEP_3) | instskip(SKIP_4) | instid1(VALU_DEP_2)
	v_cmp_lt_u32_e32 vcc_lo, 10, v7
	s_or_b32 s3, vcc_lo, s3
	s_waitcnt vmcnt(0) lgkmcnt(0)
	v_mul_f64 v[10:11], v[21:22], v[17:18]
	v_mul_f64 v[17:18], v[19:20], v[17:18]
	v_fma_f64 v[10:11], v[19:20], v[15:16], -v[10:11]
	s_delay_alu instid0(VALU_DEP_2) | instskip(NEXT) | instid1(VALU_DEP_2)
	v_fma_f64 v[15:16], v[21:22], v[15:16], v[17:18]
	v_add_f64 v[3:4], v[3:4], v[10:11]
	s_delay_alu instid0(VALU_DEP_2)
	v_add_f64 v[1:2], v[1:2], v[15:16]
	s_and_not1_b32 exec_lo, exec_lo, s3
	s_cbranch_execnz .LBB63_75
; %bb.76:
	s_or_b32 exec_lo, exec_lo, s3
	v_mov_b32_e32 v7, 0
	ds_load_b128 v[7:10], v7 offset:192
	s_waitcnt lgkmcnt(0)
	v_mul_f64 v[11:12], v[1:2], v[9:10]
	v_mul_f64 v[15:16], v[3:4], v[9:10]
	s_delay_alu instid0(VALU_DEP_2) | instskip(NEXT) | instid1(VALU_DEP_2)
	v_fma_f64 v[9:10], v[3:4], v[7:8], -v[11:12]
	v_fma_f64 v[11:12], v[1:2], v[7:8], v[15:16]
	scratch_store_b128 off, v[9:12], off offset:192
.LBB63_77:
	s_or_b32 exec_lo, exec_lo, s2
	s_waitcnt_vscnt null, 0x0
	s_barrier
	buffer_gl0_inv
	scratch_load_b32 v1, off, off offset:1244 ; 4-byte Folded Reload
	s_mov_b32 s2, exec_lo
	s_waitcnt vmcnt(0)
	scratch_load_b128 v[1:4], v1, off
	s_waitcnt vmcnt(0)
	ds_store_b128 v5, v[1:4]
	s_waitcnt lgkmcnt(0)
	s_barrier
	buffer_gl0_inv
	v_cmpx_gt_u32_e32 13, v178
	s_cbranch_execz .LBB63_81
; %bb.78:
	v_mov_b32_e32 v1, 0
	v_dual_mov_b32 v2, 0 :: v_dual_add_nc_u32 v7, -1, v178
	v_or_b32_e32 v8, 0x400, v13
	v_or_b32_e32 v9, 8, v14
	s_mov_b32 s3, 0
	s_delay_alu instid0(VALU_DEP_3)
	v_dual_mov_b32 v4, v2 :: v_dual_mov_b32 v3, v1
	.p2align	6
.LBB63_79:                              ; =>This Inner Loop Header: Depth=1
	scratch_load_b128 v[15:18], v9, off offset:-8
	ds_load_b128 v[19:22], v8
	v_add_nc_u32_e32 v7, 1, v7
	v_add_nc_u32_e32 v8, 16, v8
	;; [unrolled: 1-line block ×3, first 2 shown]
	s_delay_alu instid0(VALU_DEP_3) | instskip(SKIP_4) | instid1(VALU_DEP_2)
	v_cmp_lt_u32_e32 vcc_lo, 11, v7
	s_or_b32 s3, vcc_lo, s3
	s_waitcnt vmcnt(0) lgkmcnt(0)
	v_mul_f64 v[10:11], v[21:22], v[17:18]
	v_mul_f64 v[17:18], v[19:20], v[17:18]
	v_fma_f64 v[10:11], v[19:20], v[15:16], -v[10:11]
	s_delay_alu instid0(VALU_DEP_2) | instskip(NEXT) | instid1(VALU_DEP_2)
	v_fma_f64 v[15:16], v[21:22], v[15:16], v[17:18]
	v_add_f64 v[3:4], v[3:4], v[10:11]
	s_delay_alu instid0(VALU_DEP_2)
	v_add_f64 v[1:2], v[1:2], v[15:16]
	s_and_not1_b32 exec_lo, exec_lo, s3
	s_cbranch_execnz .LBB63_79
; %bb.80:
	s_or_b32 exec_lo, exec_lo, s3
	v_mov_b32_e32 v7, 0
	ds_load_b128 v[7:10], v7 offset:208
	s_waitcnt lgkmcnt(0)
	v_mul_f64 v[11:12], v[1:2], v[9:10]
	v_mul_f64 v[15:16], v[3:4], v[9:10]
	s_delay_alu instid0(VALU_DEP_2) | instskip(NEXT) | instid1(VALU_DEP_2)
	v_fma_f64 v[9:10], v[3:4], v[7:8], -v[11:12]
	v_fma_f64 v[11:12], v[1:2], v[7:8], v[15:16]
	scratch_store_b128 off, v[9:12], off offset:208
.LBB63_81:
	s_or_b32 exec_lo, exec_lo, s2
	s_waitcnt_vscnt null, 0x0
	s_barrier
	buffer_gl0_inv
	scratch_load_b32 v1, off, off offset:1240 ; 4-byte Folded Reload
	s_mov_b32 s2, exec_lo
	s_waitcnt vmcnt(0)
	scratch_load_b128 v[1:4], v1, off
	s_waitcnt vmcnt(0)
	ds_store_b128 v5, v[1:4]
	s_waitcnt lgkmcnt(0)
	s_barrier
	buffer_gl0_inv
	v_cmpx_gt_u32_e32 14, v178
	s_cbranch_execz .LBB63_85
; %bb.82:
	v_mov_b32_e32 v1, 0
	v_dual_mov_b32 v2, 0 :: v_dual_add_nc_u32 v7, -1, v178
	v_or_b32_e32 v8, 0x400, v13
	v_or_b32_e32 v9, 8, v14
	s_mov_b32 s3, 0
	s_delay_alu instid0(VALU_DEP_3)
	v_dual_mov_b32 v4, v2 :: v_dual_mov_b32 v3, v1
	.p2align	6
.LBB63_83:                              ; =>This Inner Loop Header: Depth=1
	scratch_load_b128 v[15:18], v9, off offset:-8
	ds_load_b128 v[19:22], v8
	v_add_nc_u32_e32 v7, 1, v7
	v_add_nc_u32_e32 v8, 16, v8
	v_add_nc_u32_e32 v9, 16, v9
	s_delay_alu instid0(VALU_DEP_3) | instskip(SKIP_4) | instid1(VALU_DEP_2)
	v_cmp_lt_u32_e32 vcc_lo, 12, v7
	s_or_b32 s3, vcc_lo, s3
	s_waitcnt vmcnt(0) lgkmcnt(0)
	v_mul_f64 v[10:11], v[21:22], v[17:18]
	v_mul_f64 v[17:18], v[19:20], v[17:18]
	v_fma_f64 v[10:11], v[19:20], v[15:16], -v[10:11]
	s_delay_alu instid0(VALU_DEP_2) | instskip(NEXT) | instid1(VALU_DEP_2)
	v_fma_f64 v[15:16], v[21:22], v[15:16], v[17:18]
	v_add_f64 v[3:4], v[3:4], v[10:11]
	s_delay_alu instid0(VALU_DEP_2)
	v_add_f64 v[1:2], v[1:2], v[15:16]
	s_and_not1_b32 exec_lo, exec_lo, s3
	s_cbranch_execnz .LBB63_83
; %bb.84:
	s_or_b32 exec_lo, exec_lo, s3
	v_mov_b32_e32 v7, 0
	ds_load_b128 v[7:10], v7 offset:224
	s_waitcnt lgkmcnt(0)
	v_mul_f64 v[11:12], v[1:2], v[9:10]
	v_mul_f64 v[15:16], v[3:4], v[9:10]
	s_delay_alu instid0(VALU_DEP_2) | instskip(NEXT) | instid1(VALU_DEP_2)
	v_fma_f64 v[9:10], v[3:4], v[7:8], -v[11:12]
	v_fma_f64 v[11:12], v[1:2], v[7:8], v[15:16]
	scratch_store_b128 off, v[9:12], off offset:224
.LBB63_85:
	s_or_b32 exec_lo, exec_lo, s2
	s_waitcnt_vscnt null, 0x0
	s_barrier
	buffer_gl0_inv
	scratch_load_b32 v1, off, off offset:1236 ; 4-byte Folded Reload
	s_mov_b32 s2, exec_lo
	s_waitcnt vmcnt(0)
	scratch_load_b128 v[1:4], v1, off
	s_waitcnt vmcnt(0)
	ds_store_b128 v5, v[1:4]
	s_waitcnt lgkmcnt(0)
	s_barrier
	buffer_gl0_inv
	v_cmpx_gt_u32_e32 15, v178
	s_cbranch_execz .LBB63_89
; %bb.86:
	v_mov_b32_e32 v1, 0
	v_dual_mov_b32 v2, 0 :: v_dual_add_nc_u32 v7, -1, v178
	v_or_b32_e32 v8, 0x400, v13
	v_or_b32_e32 v9, 8, v14
	s_mov_b32 s3, 0
	s_delay_alu instid0(VALU_DEP_3)
	v_dual_mov_b32 v4, v2 :: v_dual_mov_b32 v3, v1
	.p2align	6
.LBB63_87:                              ; =>This Inner Loop Header: Depth=1
	scratch_load_b128 v[15:18], v9, off offset:-8
	ds_load_b128 v[19:22], v8
	v_add_nc_u32_e32 v7, 1, v7
	v_add_nc_u32_e32 v8, 16, v8
	;; [unrolled: 1-line block ×3, first 2 shown]
	s_delay_alu instid0(VALU_DEP_3) | instskip(SKIP_4) | instid1(VALU_DEP_2)
	v_cmp_lt_u32_e32 vcc_lo, 13, v7
	s_or_b32 s3, vcc_lo, s3
	s_waitcnt vmcnt(0) lgkmcnt(0)
	v_mul_f64 v[10:11], v[21:22], v[17:18]
	v_mul_f64 v[17:18], v[19:20], v[17:18]
	v_fma_f64 v[10:11], v[19:20], v[15:16], -v[10:11]
	s_delay_alu instid0(VALU_DEP_2) | instskip(NEXT) | instid1(VALU_DEP_2)
	v_fma_f64 v[15:16], v[21:22], v[15:16], v[17:18]
	v_add_f64 v[3:4], v[3:4], v[10:11]
	s_delay_alu instid0(VALU_DEP_2)
	v_add_f64 v[1:2], v[1:2], v[15:16]
	s_and_not1_b32 exec_lo, exec_lo, s3
	s_cbranch_execnz .LBB63_87
; %bb.88:
	s_or_b32 exec_lo, exec_lo, s3
	v_mov_b32_e32 v7, 0
	ds_load_b128 v[7:10], v7 offset:240
	s_waitcnt lgkmcnt(0)
	v_mul_f64 v[11:12], v[1:2], v[9:10]
	v_mul_f64 v[15:16], v[3:4], v[9:10]
	s_delay_alu instid0(VALU_DEP_2) | instskip(NEXT) | instid1(VALU_DEP_2)
	v_fma_f64 v[9:10], v[3:4], v[7:8], -v[11:12]
	v_fma_f64 v[11:12], v[1:2], v[7:8], v[15:16]
	scratch_store_b128 off, v[9:12], off offset:240
.LBB63_89:
	s_or_b32 exec_lo, exec_lo, s2
	s_waitcnt_vscnt null, 0x0
	s_barrier
	buffer_gl0_inv
	scratch_load_b32 v1, off, off offset:1232 ; 4-byte Folded Reload
	s_mov_b32 s2, exec_lo
	s_waitcnt vmcnt(0)
	scratch_load_b128 v[1:4], v1, off
	s_waitcnt vmcnt(0)
	ds_store_b128 v5, v[1:4]
	s_waitcnt lgkmcnt(0)
	s_barrier
	buffer_gl0_inv
	v_cmpx_gt_u32_e32 16, v178
	s_cbranch_execz .LBB63_93
; %bb.90:
	v_mov_b32_e32 v1, 0
	v_dual_mov_b32 v2, 0 :: v_dual_add_nc_u32 v7, -1, v178
	v_or_b32_e32 v8, 0x400, v13
	v_or_b32_e32 v9, 8, v14
	s_mov_b32 s3, 0
	s_delay_alu instid0(VALU_DEP_3)
	v_dual_mov_b32 v4, v2 :: v_dual_mov_b32 v3, v1
	.p2align	6
.LBB63_91:                              ; =>This Inner Loop Header: Depth=1
	scratch_load_b128 v[15:18], v9, off offset:-8
	ds_load_b128 v[19:22], v8
	v_add_nc_u32_e32 v7, 1, v7
	v_add_nc_u32_e32 v8, 16, v8
	;; [unrolled: 1-line block ×3, first 2 shown]
	s_delay_alu instid0(VALU_DEP_3) | instskip(SKIP_4) | instid1(VALU_DEP_2)
	v_cmp_lt_u32_e32 vcc_lo, 14, v7
	s_or_b32 s3, vcc_lo, s3
	s_waitcnt vmcnt(0) lgkmcnt(0)
	v_mul_f64 v[10:11], v[21:22], v[17:18]
	v_mul_f64 v[17:18], v[19:20], v[17:18]
	v_fma_f64 v[10:11], v[19:20], v[15:16], -v[10:11]
	s_delay_alu instid0(VALU_DEP_2) | instskip(NEXT) | instid1(VALU_DEP_2)
	v_fma_f64 v[15:16], v[21:22], v[15:16], v[17:18]
	v_add_f64 v[3:4], v[3:4], v[10:11]
	s_delay_alu instid0(VALU_DEP_2)
	v_add_f64 v[1:2], v[1:2], v[15:16]
	s_and_not1_b32 exec_lo, exec_lo, s3
	s_cbranch_execnz .LBB63_91
; %bb.92:
	s_or_b32 exec_lo, exec_lo, s3
	v_mov_b32_e32 v7, 0
	ds_load_b128 v[7:10], v7 offset:256
	s_waitcnt lgkmcnt(0)
	v_mul_f64 v[11:12], v[1:2], v[9:10]
	v_mul_f64 v[15:16], v[3:4], v[9:10]
	s_delay_alu instid0(VALU_DEP_2) | instskip(NEXT) | instid1(VALU_DEP_2)
	v_fma_f64 v[9:10], v[3:4], v[7:8], -v[11:12]
	v_fma_f64 v[11:12], v[1:2], v[7:8], v[15:16]
	scratch_store_b128 off, v[9:12], off offset:256
.LBB63_93:
	s_or_b32 exec_lo, exec_lo, s2
	s_waitcnt_vscnt null, 0x0
	s_barrier
	buffer_gl0_inv
	scratch_load_b32 v1, off, off offset:1228 ; 4-byte Folded Reload
	s_mov_b32 s2, exec_lo
	s_waitcnt vmcnt(0)
	scratch_load_b128 v[1:4], v1, off
	s_waitcnt vmcnt(0)
	ds_store_b128 v5, v[1:4]
	s_waitcnt lgkmcnt(0)
	s_barrier
	buffer_gl0_inv
	v_cmpx_gt_u32_e32 17, v178
	s_cbranch_execz .LBB63_97
; %bb.94:
	v_mov_b32_e32 v1, 0
	v_dual_mov_b32 v2, 0 :: v_dual_add_nc_u32 v7, -1, v178
	v_or_b32_e32 v8, 0x400, v13
	v_or_b32_e32 v9, 8, v14
	s_mov_b32 s3, 0
	s_delay_alu instid0(VALU_DEP_3)
	v_dual_mov_b32 v4, v2 :: v_dual_mov_b32 v3, v1
	.p2align	6
.LBB63_95:                              ; =>This Inner Loop Header: Depth=1
	scratch_load_b128 v[15:18], v9, off offset:-8
	ds_load_b128 v[19:22], v8
	v_add_nc_u32_e32 v7, 1, v7
	v_add_nc_u32_e32 v8, 16, v8
	;; [unrolled: 1-line block ×3, first 2 shown]
	s_delay_alu instid0(VALU_DEP_3) | instskip(SKIP_4) | instid1(VALU_DEP_2)
	v_cmp_lt_u32_e32 vcc_lo, 15, v7
	s_or_b32 s3, vcc_lo, s3
	s_waitcnt vmcnt(0) lgkmcnt(0)
	v_mul_f64 v[10:11], v[21:22], v[17:18]
	v_mul_f64 v[17:18], v[19:20], v[17:18]
	v_fma_f64 v[10:11], v[19:20], v[15:16], -v[10:11]
	s_delay_alu instid0(VALU_DEP_2) | instskip(NEXT) | instid1(VALU_DEP_2)
	v_fma_f64 v[15:16], v[21:22], v[15:16], v[17:18]
	v_add_f64 v[3:4], v[3:4], v[10:11]
	s_delay_alu instid0(VALU_DEP_2)
	v_add_f64 v[1:2], v[1:2], v[15:16]
	s_and_not1_b32 exec_lo, exec_lo, s3
	s_cbranch_execnz .LBB63_95
; %bb.96:
	s_or_b32 exec_lo, exec_lo, s3
	v_mov_b32_e32 v7, 0
	ds_load_b128 v[7:10], v7 offset:272
	s_waitcnt lgkmcnt(0)
	v_mul_f64 v[11:12], v[1:2], v[9:10]
	v_mul_f64 v[15:16], v[3:4], v[9:10]
	s_delay_alu instid0(VALU_DEP_2) | instskip(NEXT) | instid1(VALU_DEP_2)
	v_fma_f64 v[9:10], v[3:4], v[7:8], -v[11:12]
	v_fma_f64 v[11:12], v[1:2], v[7:8], v[15:16]
	scratch_store_b128 off, v[9:12], off offset:272
.LBB63_97:
	s_or_b32 exec_lo, exec_lo, s2
	s_waitcnt_vscnt null, 0x0
	s_barrier
	buffer_gl0_inv
	scratch_load_b32 v1, off, off offset:1224 ; 4-byte Folded Reload
	s_mov_b32 s2, exec_lo
	s_waitcnt vmcnt(0)
	scratch_load_b128 v[1:4], v1, off
	s_waitcnt vmcnt(0)
	ds_store_b128 v5, v[1:4]
	s_waitcnt lgkmcnt(0)
	s_barrier
	buffer_gl0_inv
	v_cmpx_gt_u32_e32 18, v178
	s_cbranch_execz .LBB63_101
; %bb.98:
	v_mov_b32_e32 v1, 0
	v_dual_mov_b32 v2, 0 :: v_dual_add_nc_u32 v7, -1, v178
	v_or_b32_e32 v8, 0x400, v13
	v_or_b32_e32 v9, 8, v14
	s_mov_b32 s3, 0
	s_delay_alu instid0(VALU_DEP_3)
	v_dual_mov_b32 v4, v2 :: v_dual_mov_b32 v3, v1
	.p2align	6
.LBB63_99:                              ; =>This Inner Loop Header: Depth=1
	scratch_load_b128 v[15:18], v9, off offset:-8
	ds_load_b128 v[19:22], v8
	v_add_nc_u32_e32 v7, 1, v7
	v_add_nc_u32_e32 v8, 16, v8
	;; [unrolled: 1-line block ×3, first 2 shown]
	s_delay_alu instid0(VALU_DEP_3) | instskip(SKIP_4) | instid1(VALU_DEP_2)
	v_cmp_lt_u32_e32 vcc_lo, 16, v7
	s_or_b32 s3, vcc_lo, s3
	s_waitcnt vmcnt(0) lgkmcnt(0)
	v_mul_f64 v[10:11], v[21:22], v[17:18]
	v_mul_f64 v[17:18], v[19:20], v[17:18]
	v_fma_f64 v[10:11], v[19:20], v[15:16], -v[10:11]
	s_delay_alu instid0(VALU_DEP_2) | instskip(NEXT) | instid1(VALU_DEP_2)
	v_fma_f64 v[15:16], v[21:22], v[15:16], v[17:18]
	v_add_f64 v[3:4], v[3:4], v[10:11]
	s_delay_alu instid0(VALU_DEP_2)
	v_add_f64 v[1:2], v[1:2], v[15:16]
	s_and_not1_b32 exec_lo, exec_lo, s3
	s_cbranch_execnz .LBB63_99
; %bb.100:
	s_or_b32 exec_lo, exec_lo, s3
	v_mov_b32_e32 v7, 0
	ds_load_b128 v[7:10], v7 offset:288
	s_waitcnt lgkmcnt(0)
	v_mul_f64 v[11:12], v[1:2], v[9:10]
	v_mul_f64 v[15:16], v[3:4], v[9:10]
	s_delay_alu instid0(VALU_DEP_2) | instskip(NEXT) | instid1(VALU_DEP_2)
	v_fma_f64 v[9:10], v[3:4], v[7:8], -v[11:12]
	v_fma_f64 v[11:12], v[1:2], v[7:8], v[15:16]
	scratch_store_b128 off, v[9:12], off offset:288
.LBB63_101:
	s_or_b32 exec_lo, exec_lo, s2
	s_waitcnt_vscnt null, 0x0
	s_barrier
	buffer_gl0_inv
	scratch_load_b32 v1, off, off offset:1220 ; 4-byte Folded Reload
	s_mov_b32 s2, exec_lo
	s_waitcnt vmcnt(0)
	scratch_load_b128 v[1:4], v1, off
	s_waitcnt vmcnt(0)
	ds_store_b128 v5, v[1:4]
	s_waitcnt lgkmcnt(0)
	s_barrier
	buffer_gl0_inv
	v_cmpx_gt_u32_e32 19, v178
	s_cbranch_execz .LBB63_105
; %bb.102:
	v_mov_b32_e32 v1, 0
	v_dual_mov_b32 v2, 0 :: v_dual_add_nc_u32 v7, -1, v178
	v_or_b32_e32 v8, 0x400, v13
	v_or_b32_e32 v9, 8, v14
	s_mov_b32 s3, 0
	s_delay_alu instid0(VALU_DEP_3)
	v_dual_mov_b32 v4, v2 :: v_dual_mov_b32 v3, v1
	.p2align	6
.LBB63_103:                             ; =>This Inner Loop Header: Depth=1
	scratch_load_b128 v[15:18], v9, off offset:-8
	ds_load_b128 v[19:22], v8
	v_add_nc_u32_e32 v7, 1, v7
	v_add_nc_u32_e32 v8, 16, v8
	;; [unrolled: 1-line block ×3, first 2 shown]
	s_delay_alu instid0(VALU_DEP_3) | instskip(SKIP_4) | instid1(VALU_DEP_2)
	v_cmp_lt_u32_e32 vcc_lo, 17, v7
	s_or_b32 s3, vcc_lo, s3
	s_waitcnt vmcnt(0) lgkmcnt(0)
	v_mul_f64 v[10:11], v[21:22], v[17:18]
	v_mul_f64 v[17:18], v[19:20], v[17:18]
	v_fma_f64 v[10:11], v[19:20], v[15:16], -v[10:11]
	s_delay_alu instid0(VALU_DEP_2) | instskip(NEXT) | instid1(VALU_DEP_2)
	v_fma_f64 v[15:16], v[21:22], v[15:16], v[17:18]
	v_add_f64 v[3:4], v[3:4], v[10:11]
	s_delay_alu instid0(VALU_DEP_2)
	v_add_f64 v[1:2], v[1:2], v[15:16]
	s_and_not1_b32 exec_lo, exec_lo, s3
	s_cbranch_execnz .LBB63_103
; %bb.104:
	s_or_b32 exec_lo, exec_lo, s3
	v_mov_b32_e32 v7, 0
	ds_load_b128 v[7:10], v7 offset:304
	s_waitcnt lgkmcnt(0)
	v_mul_f64 v[11:12], v[1:2], v[9:10]
	v_mul_f64 v[15:16], v[3:4], v[9:10]
	s_delay_alu instid0(VALU_DEP_2) | instskip(NEXT) | instid1(VALU_DEP_2)
	v_fma_f64 v[9:10], v[3:4], v[7:8], -v[11:12]
	v_fma_f64 v[11:12], v[1:2], v[7:8], v[15:16]
	scratch_store_b128 off, v[9:12], off offset:304
.LBB63_105:
	s_or_b32 exec_lo, exec_lo, s2
	s_waitcnt_vscnt null, 0x0
	s_barrier
	buffer_gl0_inv
	scratch_load_b32 v1, off, off offset:1216 ; 4-byte Folded Reload
	s_mov_b32 s2, exec_lo
	s_waitcnt vmcnt(0)
	scratch_load_b128 v[1:4], v1, off
	s_waitcnt vmcnt(0)
	ds_store_b128 v5, v[1:4]
	s_waitcnt lgkmcnt(0)
	s_barrier
	buffer_gl0_inv
	v_cmpx_gt_u32_e32 20, v178
	s_cbranch_execz .LBB63_109
; %bb.106:
	v_mov_b32_e32 v1, 0
	v_dual_mov_b32 v2, 0 :: v_dual_add_nc_u32 v7, -1, v178
	v_or_b32_e32 v8, 0x400, v13
	v_or_b32_e32 v9, 8, v14
	s_mov_b32 s3, 0
	s_delay_alu instid0(VALU_DEP_3)
	v_dual_mov_b32 v4, v2 :: v_dual_mov_b32 v3, v1
	.p2align	6
.LBB63_107:                             ; =>This Inner Loop Header: Depth=1
	scratch_load_b128 v[15:18], v9, off offset:-8
	ds_load_b128 v[19:22], v8
	v_add_nc_u32_e32 v7, 1, v7
	v_add_nc_u32_e32 v8, 16, v8
	v_add_nc_u32_e32 v9, 16, v9
	s_delay_alu instid0(VALU_DEP_3) | instskip(SKIP_4) | instid1(VALU_DEP_2)
	v_cmp_lt_u32_e32 vcc_lo, 18, v7
	s_or_b32 s3, vcc_lo, s3
	s_waitcnt vmcnt(0) lgkmcnt(0)
	v_mul_f64 v[10:11], v[21:22], v[17:18]
	v_mul_f64 v[17:18], v[19:20], v[17:18]
	v_fma_f64 v[10:11], v[19:20], v[15:16], -v[10:11]
	s_delay_alu instid0(VALU_DEP_2) | instskip(NEXT) | instid1(VALU_DEP_2)
	v_fma_f64 v[15:16], v[21:22], v[15:16], v[17:18]
	v_add_f64 v[3:4], v[3:4], v[10:11]
	s_delay_alu instid0(VALU_DEP_2)
	v_add_f64 v[1:2], v[1:2], v[15:16]
	s_and_not1_b32 exec_lo, exec_lo, s3
	s_cbranch_execnz .LBB63_107
; %bb.108:
	s_or_b32 exec_lo, exec_lo, s3
	v_mov_b32_e32 v7, 0
	ds_load_b128 v[7:10], v7 offset:320
	s_waitcnt lgkmcnt(0)
	v_mul_f64 v[11:12], v[1:2], v[9:10]
	v_mul_f64 v[15:16], v[3:4], v[9:10]
	s_delay_alu instid0(VALU_DEP_2) | instskip(NEXT) | instid1(VALU_DEP_2)
	v_fma_f64 v[9:10], v[3:4], v[7:8], -v[11:12]
	v_fma_f64 v[11:12], v[1:2], v[7:8], v[15:16]
	scratch_store_b128 off, v[9:12], off offset:320
.LBB63_109:
	s_or_b32 exec_lo, exec_lo, s2
	s_waitcnt_vscnt null, 0x0
	s_barrier
	buffer_gl0_inv
	scratch_load_b32 v1, off, off offset:1212 ; 4-byte Folded Reload
	s_mov_b32 s2, exec_lo
	s_waitcnt vmcnt(0)
	scratch_load_b128 v[1:4], v1, off
	s_waitcnt vmcnt(0)
	ds_store_b128 v5, v[1:4]
	s_waitcnt lgkmcnt(0)
	s_barrier
	buffer_gl0_inv
	v_cmpx_gt_u32_e32 21, v178
	s_cbranch_execz .LBB63_113
; %bb.110:
	v_mov_b32_e32 v1, 0
	v_dual_mov_b32 v2, 0 :: v_dual_add_nc_u32 v7, -1, v178
	v_or_b32_e32 v8, 0x400, v13
	v_or_b32_e32 v9, 8, v14
	s_mov_b32 s3, 0
	s_delay_alu instid0(VALU_DEP_3)
	v_dual_mov_b32 v4, v2 :: v_dual_mov_b32 v3, v1
	.p2align	6
.LBB63_111:                             ; =>This Inner Loop Header: Depth=1
	scratch_load_b128 v[15:18], v9, off offset:-8
	ds_load_b128 v[19:22], v8
	v_add_nc_u32_e32 v7, 1, v7
	v_add_nc_u32_e32 v8, 16, v8
	;; [unrolled: 1-line block ×3, first 2 shown]
	s_delay_alu instid0(VALU_DEP_3) | instskip(SKIP_4) | instid1(VALU_DEP_2)
	v_cmp_lt_u32_e32 vcc_lo, 19, v7
	s_or_b32 s3, vcc_lo, s3
	s_waitcnt vmcnt(0) lgkmcnt(0)
	v_mul_f64 v[10:11], v[21:22], v[17:18]
	v_mul_f64 v[17:18], v[19:20], v[17:18]
	v_fma_f64 v[10:11], v[19:20], v[15:16], -v[10:11]
	s_delay_alu instid0(VALU_DEP_2) | instskip(NEXT) | instid1(VALU_DEP_2)
	v_fma_f64 v[15:16], v[21:22], v[15:16], v[17:18]
	v_add_f64 v[3:4], v[3:4], v[10:11]
	s_delay_alu instid0(VALU_DEP_2)
	v_add_f64 v[1:2], v[1:2], v[15:16]
	s_and_not1_b32 exec_lo, exec_lo, s3
	s_cbranch_execnz .LBB63_111
; %bb.112:
	s_or_b32 exec_lo, exec_lo, s3
	v_mov_b32_e32 v7, 0
	ds_load_b128 v[7:10], v7 offset:336
	s_waitcnt lgkmcnt(0)
	v_mul_f64 v[11:12], v[1:2], v[9:10]
	v_mul_f64 v[15:16], v[3:4], v[9:10]
	s_delay_alu instid0(VALU_DEP_2) | instskip(NEXT) | instid1(VALU_DEP_2)
	v_fma_f64 v[9:10], v[3:4], v[7:8], -v[11:12]
	v_fma_f64 v[11:12], v[1:2], v[7:8], v[15:16]
	scratch_store_b128 off, v[9:12], off offset:336
.LBB63_113:
	s_or_b32 exec_lo, exec_lo, s2
	s_waitcnt_vscnt null, 0x0
	s_barrier
	buffer_gl0_inv
	scratch_load_b32 v1, off, off offset:1208 ; 4-byte Folded Reload
	s_mov_b32 s2, exec_lo
	s_waitcnt vmcnt(0)
	scratch_load_b128 v[1:4], v1, off
	s_waitcnt vmcnt(0)
	ds_store_b128 v5, v[1:4]
	s_waitcnt lgkmcnt(0)
	s_barrier
	buffer_gl0_inv
	v_cmpx_gt_u32_e32 22, v178
	s_cbranch_execz .LBB63_117
; %bb.114:
	v_mov_b32_e32 v1, 0
	v_dual_mov_b32 v2, 0 :: v_dual_add_nc_u32 v7, -1, v178
	v_or_b32_e32 v8, 0x400, v13
	v_or_b32_e32 v9, 8, v14
	s_mov_b32 s3, 0
	s_delay_alu instid0(VALU_DEP_3)
	v_dual_mov_b32 v4, v2 :: v_dual_mov_b32 v3, v1
	.p2align	6
.LBB63_115:                             ; =>This Inner Loop Header: Depth=1
	scratch_load_b128 v[15:18], v9, off offset:-8
	ds_load_b128 v[19:22], v8
	v_add_nc_u32_e32 v7, 1, v7
	v_add_nc_u32_e32 v8, 16, v8
	;; [unrolled: 1-line block ×3, first 2 shown]
	s_delay_alu instid0(VALU_DEP_3) | instskip(SKIP_4) | instid1(VALU_DEP_2)
	v_cmp_lt_u32_e32 vcc_lo, 20, v7
	s_or_b32 s3, vcc_lo, s3
	s_waitcnt vmcnt(0) lgkmcnt(0)
	v_mul_f64 v[10:11], v[21:22], v[17:18]
	v_mul_f64 v[17:18], v[19:20], v[17:18]
	v_fma_f64 v[10:11], v[19:20], v[15:16], -v[10:11]
	s_delay_alu instid0(VALU_DEP_2) | instskip(NEXT) | instid1(VALU_DEP_2)
	v_fma_f64 v[15:16], v[21:22], v[15:16], v[17:18]
	v_add_f64 v[3:4], v[3:4], v[10:11]
	s_delay_alu instid0(VALU_DEP_2)
	v_add_f64 v[1:2], v[1:2], v[15:16]
	s_and_not1_b32 exec_lo, exec_lo, s3
	s_cbranch_execnz .LBB63_115
; %bb.116:
	s_or_b32 exec_lo, exec_lo, s3
	v_mov_b32_e32 v7, 0
	ds_load_b128 v[7:10], v7 offset:352
	s_waitcnt lgkmcnt(0)
	v_mul_f64 v[11:12], v[1:2], v[9:10]
	v_mul_f64 v[15:16], v[3:4], v[9:10]
	s_delay_alu instid0(VALU_DEP_2) | instskip(NEXT) | instid1(VALU_DEP_2)
	v_fma_f64 v[9:10], v[3:4], v[7:8], -v[11:12]
	v_fma_f64 v[11:12], v[1:2], v[7:8], v[15:16]
	scratch_store_b128 off, v[9:12], off offset:352
.LBB63_117:
	s_or_b32 exec_lo, exec_lo, s2
	s_waitcnt_vscnt null, 0x0
	s_barrier
	buffer_gl0_inv
	scratch_load_b32 v1, off, off offset:1204 ; 4-byte Folded Reload
	s_mov_b32 s2, exec_lo
	s_waitcnt vmcnt(0)
	scratch_load_b128 v[1:4], v1, off
	s_waitcnt vmcnt(0)
	ds_store_b128 v5, v[1:4]
	s_waitcnt lgkmcnt(0)
	s_barrier
	buffer_gl0_inv
	v_cmpx_gt_u32_e32 23, v178
	s_cbranch_execz .LBB63_121
; %bb.118:
	v_mov_b32_e32 v1, 0
	v_dual_mov_b32 v2, 0 :: v_dual_add_nc_u32 v7, -1, v178
	v_or_b32_e32 v8, 0x400, v13
	v_or_b32_e32 v9, 8, v14
	s_mov_b32 s3, 0
	s_delay_alu instid0(VALU_DEP_3)
	v_dual_mov_b32 v4, v2 :: v_dual_mov_b32 v3, v1
	.p2align	6
.LBB63_119:                             ; =>This Inner Loop Header: Depth=1
	scratch_load_b128 v[15:18], v9, off offset:-8
	ds_load_b128 v[19:22], v8
	v_add_nc_u32_e32 v7, 1, v7
	v_add_nc_u32_e32 v8, 16, v8
	;; [unrolled: 1-line block ×3, first 2 shown]
	s_delay_alu instid0(VALU_DEP_3) | instskip(SKIP_4) | instid1(VALU_DEP_2)
	v_cmp_lt_u32_e32 vcc_lo, 21, v7
	s_or_b32 s3, vcc_lo, s3
	s_waitcnt vmcnt(0) lgkmcnt(0)
	v_mul_f64 v[10:11], v[21:22], v[17:18]
	v_mul_f64 v[17:18], v[19:20], v[17:18]
	v_fma_f64 v[10:11], v[19:20], v[15:16], -v[10:11]
	s_delay_alu instid0(VALU_DEP_2) | instskip(NEXT) | instid1(VALU_DEP_2)
	v_fma_f64 v[15:16], v[21:22], v[15:16], v[17:18]
	v_add_f64 v[3:4], v[3:4], v[10:11]
	s_delay_alu instid0(VALU_DEP_2)
	v_add_f64 v[1:2], v[1:2], v[15:16]
	s_and_not1_b32 exec_lo, exec_lo, s3
	s_cbranch_execnz .LBB63_119
; %bb.120:
	s_or_b32 exec_lo, exec_lo, s3
	v_mov_b32_e32 v7, 0
	ds_load_b128 v[7:10], v7 offset:368
	s_waitcnt lgkmcnt(0)
	v_mul_f64 v[11:12], v[1:2], v[9:10]
	v_mul_f64 v[15:16], v[3:4], v[9:10]
	s_delay_alu instid0(VALU_DEP_2) | instskip(NEXT) | instid1(VALU_DEP_2)
	v_fma_f64 v[9:10], v[3:4], v[7:8], -v[11:12]
	v_fma_f64 v[11:12], v[1:2], v[7:8], v[15:16]
	scratch_store_b128 off, v[9:12], off offset:368
.LBB63_121:
	s_or_b32 exec_lo, exec_lo, s2
	s_waitcnt_vscnt null, 0x0
	s_barrier
	buffer_gl0_inv
	scratch_load_b32 v1, off, off offset:1200 ; 4-byte Folded Reload
	s_mov_b32 s2, exec_lo
	s_waitcnt vmcnt(0)
	scratch_load_b128 v[1:4], v1, off
	s_waitcnt vmcnt(0)
	ds_store_b128 v5, v[1:4]
	s_waitcnt lgkmcnt(0)
	s_barrier
	buffer_gl0_inv
	v_cmpx_gt_u32_e32 24, v178
	s_cbranch_execz .LBB63_125
; %bb.122:
	v_mov_b32_e32 v1, 0
	v_dual_mov_b32 v2, 0 :: v_dual_add_nc_u32 v7, -1, v178
	v_or_b32_e32 v8, 0x400, v13
	v_or_b32_e32 v9, 8, v14
	s_mov_b32 s3, 0
	s_delay_alu instid0(VALU_DEP_3)
	v_dual_mov_b32 v4, v2 :: v_dual_mov_b32 v3, v1
	.p2align	6
.LBB63_123:                             ; =>This Inner Loop Header: Depth=1
	scratch_load_b128 v[15:18], v9, off offset:-8
	ds_load_b128 v[19:22], v8
	v_add_nc_u32_e32 v7, 1, v7
	v_add_nc_u32_e32 v8, 16, v8
	;; [unrolled: 1-line block ×3, first 2 shown]
	s_delay_alu instid0(VALU_DEP_3) | instskip(SKIP_4) | instid1(VALU_DEP_2)
	v_cmp_lt_u32_e32 vcc_lo, 22, v7
	s_or_b32 s3, vcc_lo, s3
	s_waitcnt vmcnt(0) lgkmcnt(0)
	v_mul_f64 v[10:11], v[21:22], v[17:18]
	v_mul_f64 v[17:18], v[19:20], v[17:18]
	v_fma_f64 v[10:11], v[19:20], v[15:16], -v[10:11]
	s_delay_alu instid0(VALU_DEP_2) | instskip(NEXT) | instid1(VALU_DEP_2)
	v_fma_f64 v[15:16], v[21:22], v[15:16], v[17:18]
	v_add_f64 v[3:4], v[3:4], v[10:11]
	s_delay_alu instid0(VALU_DEP_2)
	v_add_f64 v[1:2], v[1:2], v[15:16]
	s_and_not1_b32 exec_lo, exec_lo, s3
	s_cbranch_execnz .LBB63_123
; %bb.124:
	s_or_b32 exec_lo, exec_lo, s3
	v_mov_b32_e32 v7, 0
	ds_load_b128 v[7:10], v7 offset:384
	s_waitcnt lgkmcnt(0)
	v_mul_f64 v[11:12], v[1:2], v[9:10]
	v_mul_f64 v[15:16], v[3:4], v[9:10]
	s_delay_alu instid0(VALU_DEP_2) | instskip(NEXT) | instid1(VALU_DEP_2)
	v_fma_f64 v[9:10], v[3:4], v[7:8], -v[11:12]
	v_fma_f64 v[11:12], v[1:2], v[7:8], v[15:16]
	scratch_store_b128 off, v[9:12], off offset:384
.LBB63_125:
	s_or_b32 exec_lo, exec_lo, s2
	s_waitcnt_vscnt null, 0x0
	s_barrier
	buffer_gl0_inv
	scratch_load_b32 v1, off, off offset:1196 ; 4-byte Folded Reload
	s_mov_b32 s2, exec_lo
	s_waitcnt vmcnt(0)
	scratch_load_b128 v[1:4], v1, off
	s_waitcnt vmcnt(0)
	ds_store_b128 v5, v[1:4]
	s_waitcnt lgkmcnt(0)
	s_barrier
	buffer_gl0_inv
	v_cmpx_gt_u32_e32 25, v178
	s_cbranch_execz .LBB63_129
; %bb.126:
	v_mov_b32_e32 v1, 0
	v_dual_mov_b32 v2, 0 :: v_dual_add_nc_u32 v7, -1, v178
	v_or_b32_e32 v8, 0x400, v13
	v_or_b32_e32 v9, 8, v14
	s_mov_b32 s3, 0
	s_delay_alu instid0(VALU_DEP_3)
	v_dual_mov_b32 v4, v2 :: v_dual_mov_b32 v3, v1
	.p2align	6
.LBB63_127:                             ; =>This Inner Loop Header: Depth=1
	scratch_load_b128 v[15:18], v9, off offset:-8
	ds_load_b128 v[19:22], v8
	v_add_nc_u32_e32 v7, 1, v7
	v_add_nc_u32_e32 v8, 16, v8
	;; [unrolled: 1-line block ×3, first 2 shown]
	s_delay_alu instid0(VALU_DEP_3) | instskip(SKIP_4) | instid1(VALU_DEP_2)
	v_cmp_lt_u32_e32 vcc_lo, 23, v7
	s_or_b32 s3, vcc_lo, s3
	s_waitcnt vmcnt(0) lgkmcnt(0)
	v_mul_f64 v[10:11], v[21:22], v[17:18]
	v_mul_f64 v[17:18], v[19:20], v[17:18]
	v_fma_f64 v[10:11], v[19:20], v[15:16], -v[10:11]
	s_delay_alu instid0(VALU_DEP_2) | instskip(NEXT) | instid1(VALU_DEP_2)
	v_fma_f64 v[15:16], v[21:22], v[15:16], v[17:18]
	v_add_f64 v[3:4], v[3:4], v[10:11]
	s_delay_alu instid0(VALU_DEP_2)
	v_add_f64 v[1:2], v[1:2], v[15:16]
	s_and_not1_b32 exec_lo, exec_lo, s3
	s_cbranch_execnz .LBB63_127
; %bb.128:
	s_or_b32 exec_lo, exec_lo, s3
	v_mov_b32_e32 v7, 0
	ds_load_b128 v[7:10], v7 offset:400
	s_waitcnt lgkmcnt(0)
	v_mul_f64 v[11:12], v[1:2], v[9:10]
	v_mul_f64 v[15:16], v[3:4], v[9:10]
	s_delay_alu instid0(VALU_DEP_2) | instskip(NEXT) | instid1(VALU_DEP_2)
	v_fma_f64 v[9:10], v[3:4], v[7:8], -v[11:12]
	v_fma_f64 v[11:12], v[1:2], v[7:8], v[15:16]
	scratch_store_b128 off, v[9:12], off offset:400
.LBB63_129:
	s_or_b32 exec_lo, exec_lo, s2
	s_waitcnt_vscnt null, 0x0
	s_barrier
	buffer_gl0_inv
	scratch_load_b32 v1, off, off offset:1192 ; 4-byte Folded Reload
	s_mov_b32 s2, exec_lo
	s_waitcnt vmcnt(0)
	scratch_load_b128 v[1:4], v1, off
	s_waitcnt vmcnt(0)
	ds_store_b128 v5, v[1:4]
	s_waitcnt lgkmcnt(0)
	s_barrier
	buffer_gl0_inv
	v_cmpx_gt_u32_e32 26, v178
	s_cbranch_execz .LBB63_133
; %bb.130:
	v_mov_b32_e32 v1, 0
	v_dual_mov_b32 v2, 0 :: v_dual_add_nc_u32 v7, -1, v178
	v_or_b32_e32 v8, 0x400, v13
	v_or_b32_e32 v9, 8, v14
	s_mov_b32 s3, 0
	s_delay_alu instid0(VALU_DEP_3)
	v_dual_mov_b32 v4, v2 :: v_dual_mov_b32 v3, v1
	.p2align	6
.LBB63_131:                             ; =>This Inner Loop Header: Depth=1
	scratch_load_b128 v[15:18], v9, off offset:-8
	ds_load_b128 v[19:22], v8
	v_add_nc_u32_e32 v7, 1, v7
	v_add_nc_u32_e32 v8, 16, v8
	;; [unrolled: 1-line block ×3, first 2 shown]
	s_delay_alu instid0(VALU_DEP_3) | instskip(SKIP_4) | instid1(VALU_DEP_2)
	v_cmp_lt_u32_e32 vcc_lo, 24, v7
	s_or_b32 s3, vcc_lo, s3
	s_waitcnt vmcnt(0) lgkmcnt(0)
	v_mul_f64 v[10:11], v[21:22], v[17:18]
	v_mul_f64 v[17:18], v[19:20], v[17:18]
	v_fma_f64 v[10:11], v[19:20], v[15:16], -v[10:11]
	s_delay_alu instid0(VALU_DEP_2) | instskip(NEXT) | instid1(VALU_DEP_2)
	v_fma_f64 v[15:16], v[21:22], v[15:16], v[17:18]
	v_add_f64 v[3:4], v[3:4], v[10:11]
	s_delay_alu instid0(VALU_DEP_2)
	v_add_f64 v[1:2], v[1:2], v[15:16]
	s_and_not1_b32 exec_lo, exec_lo, s3
	s_cbranch_execnz .LBB63_131
; %bb.132:
	s_or_b32 exec_lo, exec_lo, s3
	v_mov_b32_e32 v7, 0
	ds_load_b128 v[7:10], v7 offset:416
	s_waitcnt lgkmcnt(0)
	v_mul_f64 v[11:12], v[1:2], v[9:10]
	v_mul_f64 v[15:16], v[3:4], v[9:10]
	s_delay_alu instid0(VALU_DEP_2) | instskip(NEXT) | instid1(VALU_DEP_2)
	v_fma_f64 v[9:10], v[3:4], v[7:8], -v[11:12]
	v_fma_f64 v[11:12], v[1:2], v[7:8], v[15:16]
	scratch_store_b128 off, v[9:12], off offset:416
.LBB63_133:
	s_or_b32 exec_lo, exec_lo, s2
	s_waitcnt_vscnt null, 0x0
	s_barrier
	buffer_gl0_inv
	scratch_load_b32 v1, off, off offset:1188 ; 4-byte Folded Reload
	s_mov_b32 s2, exec_lo
	s_waitcnt vmcnt(0)
	scratch_load_b128 v[1:4], v1, off
	s_waitcnt vmcnt(0)
	ds_store_b128 v5, v[1:4]
	s_waitcnt lgkmcnt(0)
	s_barrier
	buffer_gl0_inv
	v_cmpx_gt_u32_e32 27, v178
	s_cbranch_execz .LBB63_137
; %bb.134:
	v_mov_b32_e32 v1, 0
	v_dual_mov_b32 v2, 0 :: v_dual_add_nc_u32 v7, -1, v178
	v_or_b32_e32 v8, 0x400, v13
	v_or_b32_e32 v9, 8, v14
	s_mov_b32 s3, 0
	s_delay_alu instid0(VALU_DEP_3)
	v_dual_mov_b32 v4, v2 :: v_dual_mov_b32 v3, v1
	.p2align	6
.LBB63_135:                             ; =>This Inner Loop Header: Depth=1
	scratch_load_b128 v[15:18], v9, off offset:-8
	ds_load_b128 v[19:22], v8
	v_add_nc_u32_e32 v7, 1, v7
	v_add_nc_u32_e32 v8, 16, v8
	;; [unrolled: 1-line block ×3, first 2 shown]
	s_delay_alu instid0(VALU_DEP_3) | instskip(SKIP_4) | instid1(VALU_DEP_2)
	v_cmp_lt_u32_e32 vcc_lo, 25, v7
	s_or_b32 s3, vcc_lo, s3
	s_waitcnt vmcnt(0) lgkmcnt(0)
	v_mul_f64 v[10:11], v[21:22], v[17:18]
	v_mul_f64 v[17:18], v[19:20], v[17:18]
	v_fma_f64 v[10:11], v[19:20], v[15:16], -v[10:11]
	s_delay_alu instid0(VALU_DEP_2) | instskip(NEXT) | instid1(VALU_DEP_2)
	v_fma_f64 v[15:16], v[21:22], v[15:16], v[17:18]
	v_add_f64 v[3:4], v[3:4], v[10:11]
	s_delay_alu instid0(VALU_DEP_2)
	v_add_f64 v[1:2], v[1:2], v[15:16]
	s_and_not1_b32 exec_lo, exec_lo, s3
	s_cbranch_execnz .LBB63_135
; %bb.136:
	s_or_b32 exec_lo, exec_lo, s3
	v_mov_b32_e32 v7, 0
	ds_load_b128 v[7:10], v7 offset:432
	s_waitcnt lgkmcnt(0)
	v_mul_f64 v[11:12], v[1:2], v[9:10]
	v_mul_f64 v[15:16], v[3:4], v[9:10]
	s_delay_alu instid0(VALU_DEP_2) | instskip(NEXT) | instid1(VALU_DEP_2)
	v_fma_f64 v[9:10], v[3:4], v[7:8], -v[11:12]
	v_fma_f64 v[11:12], v[1:2], v[7:8], v[15:16]
	scratch_store_b128 off, v[9:12], off offset:432
.LBB63_137:
	s_or_b32 exec_lo, exec_lo, s2
	s_waitcnt_vscnt null, 0x0
	s_barrier
	buffer_gl0_inv
	scratch_load_b32 v1, off, off offset:1172 ; 4-byte Folded Reload
	s_mov_b32 s2, exec_lo
	s_waitcnt vmcnt(0)
	scratch_load_b128 v[1:4], v1, off
	s_waitcnt vmcnt(0)
	ds_store_b128 v5, v[1:4]
	s_waitcnt lgkmcnt(0)
	s_barrier
	buffer_gl0_inv
	v_cmpx_gt_u32_e32 28, v178
	s_cbranch_execz .LBB63_141
; %bb.138:
	v_mov_b32_e32 v1, 0
	v_dual_mov_b32 v2, 0 :: v_dual_add_nc_u32 v7, -1, v178
	v_or_b32_e32 v8, 0x400, v13
	v_or_b32_e32 v9, 8, v14
	s_mov_b32 s3, 0
	s_delay_alu instid0(VALU_DEP_3)
	v_dual_mov_b32 v4, v2 :: v_dual_mov_b32 v3, v1
	.p2align	6
.LBB63_139:                             ; =>This Inner Loop Header: Depth=1
	scratch_load_b128 v[15:18], v9, off offset:-8
	ds_load_b128 v[19:22], v8
	v_add_nc_u32_e32 v7, 1, v7
	v_add_nc_u32_e32 v8, 16, v8
	;; [unrolled: 1-line block ×3, first 2 shown]
	s_delay_alu instid0(VALU_DEP_3) | instskip(SKIP_4) | instid1(VALU_DEP_2)
	v_cmp_lt_u32_e32 vcc_lo, 26, v7
	s_or_b32 s3, vcc_lo, s3
	s_waitcnt vmcnt(0) lgkmcnt(0)
	v_mul_f64 v[10:11], v[21:22], v[17:18]
	v_mul_f64 v[17:18], v[19:20], v[17:18]
	v_fma_f64 v[10:11], v[19:20], v[15:16], -v[10:11]
	s_delay_alu instid0(VALU_DEP_2) | instskip(NEXT) | instid1(VALU_DEP_2)
	v_fma_f64 v[15:16], v[21:22], v[15:16], v[17:18]
	v_add_f64 v[3:4], v[3:4], v[10:11]
	s_delay_alu instid0(VALU_DEP_2)
	v_add_f64 v[1:2], v[1:2], v[15:16]
	s_and_not1_b32 exec_lo, exec_lo, s3
	s_cbranch_execnz .LBB63_139
; %bb.140:
	s_or_b32 exec_lo, exec_lo, s3
	v_mov_b32_e32 v7, 0
	ds_load_b128 v[7:10], v7 offset:448
	s_waitcnt lgkmcnt(0)
	v_mul_f64 v[11:12], v[1:2], v[9:10]
	v_mul_f64 v[15:16], v[3:4], v[9:10]
	s_delay_alu instid0(VALU_DEP_2) | instskip(NEXT) | instid1(VALU_DEP_2)
	v_fma_f64 v[9:10], v[3:4], v[7:8], -v[11:12]
	v_fma_f64 v[11:12], v[1:2], v[7:8], v[15:16]
	scratch_store_b128 off, v[9:12], off offset:448
.LBB63_141:
	s_or_b32 exec_lo, exec_lo, s2
	s_waitcnt_vscnt null, 0x0
	s_barrier
	buffer_gl0_inv
	scratch_load_b32 v1, off, off offset:1164 ; 4-byte Folded Reload
	s_mov_b32 s2, exec_lo
	s_waitcnt vmcnt(0)
	scratch_load_b128 v[1:4], v1, off
	s_waitcnt vmcnt(0)
	ds_store_b128 v5, v[1:4]
	s_waitcnt lgkmcnt(0)
	s_barrier
	buffer_gl0_inv
	v_cmpx_gt_u32_e32 29, v178
	s_cbranch_execz .LBB63_145
; %bb.142:
	v_mov_b32_e32 v1, 0
	v_dual_mov_b32 v2, 0 :: v_dual_add_nc_u32 v7, -1, v178
	v_or_b32_e32 v8, 0x400, v13
	v_or_b32_e32 v9, 8, v14
	s_mov_b32 s3, 0
	s_delay_alu instid0(VALU_DEP_3)
	v_dual_mov_b32 v4, v2 :: v_dual_mov_b32 v3, v1
	.p2align	6
.LBB63_143:                             ; =>This Inner Loop Header: Depth=1
	scratch_load_b128 v[15:18], v9, off offset:-8
	ds_load_b128 v[19:22], v8
	v_add_nc_u32_e32 v7, 1, v7
	v_add_nc_u32_e32 v8, 16, v8
	;; [unrolled: 1-line block ×3, first 2 shown]
	s_delay_alu instid0(VALU_DEP_3) | instskip(SKIP_4) | instid1(VALU_DEP_2)
	v_cmp_lt_u32_e32 vcc_lo, 27, v7
	s_or_b32 s3, vcc_lo, s3
	s_waitcnt vmcnt(0) lgkmcnt(0)
	v_mul_f64 v[10:11], v[21:22], v[17:18]
	v_mul_f64 v[17:18], v[19:20], v[17:18]
	v_fma_f64 v[10:11], v[19:20], v[15:16], -v[10:11]
	s_delay_alu instid0(VALU_DEP_2) | instskip(NEXT) | instid1(VALU_DEP_2)
	v_fma_f64 v[15:16], v[21:22], v[15:16], v[17:18]
	v_add_f64 v[3:4], v[3:4], v[10:11]
	s_delay_alu instid0(VALU_DEP_2)
	v_add_f64 v[1:2], v[1:2], v[15:16]
	s_and_not1_b32 exec_lo, exec_lo, s3
	s_cbranch_execnz .LBB63_143
; %bb.144:
	s_or_b32 exec_lo, exec_lo, s3
	v_mov_b32_e32 v7, 0
	ds_load_b128 v[7:10], v7 offset:464
	s_waitcnt lgkmcnt(0)
	v_mul_f64 v[11:12], v[1:2], v[9:10]
	v_mul_f64 v[15:16], v[3:4], v[9:10]
	s_delay_alu instid0(VALU_DEP_2) | instskip(NEXT) | instid1(VALU_DEP_2)
	v_fma_f64 v[9:10], v[3:4], v[7:8], -v[11:12]
	v_fma_f64 v[11:12], v[1:2], v[7:8], v[15:16]
	scratch_store_b128 off, v[9:12], off offset:464
.LBB63_145:
	s_or_b32 exec_lo, exec_lo, s2
	s_waitcnt_vscnt null, 0x0
	s_barrier
	buffer_gl0_inv
	scratch_load_b32 v1, off, off offset:1152 ; 4-byte Folded Reload
	s_mov_b32 s2, exec_lo
	s_waitcnt vmcnt(0)
	scratch_load_b128 v[1:4], v1, off
	s_waitcnt vmcnt(0)
	ds_store_b128 v5, v[1:4]
	s_waitcnt lgkmcnt(0)
	s_barrier
	buffer_gl0_inv
	v_cmpx_gt_u32_e32 30, v178
	s_cbranch_execz .LBB63_149
; %bb.146:
	v_mov_b32_e32 v1, 0
	v_dual_mov_b32 v2, 0 :: v_dual_add_nc_u32 v7, -1, v178
	v_or_b32_e32 v8, 0x400, v13
	v_or_b32_e32 v9, 8, v14
	s_mov_b32 s3, 0
	s_delay_alu instid0(VALU_DEP_3)
	v_dual_mov_b32 v4, v2 :: v_dual_mov_b32 v3, v1
	.p2align	6
.LBB63_147:                             ; =>This Inner Loop Header: Depth=1
	scratch_load_b128 v[15:18], v9, off offset:-8
	ds_load_b128 v[19:22], v8
	v_add_nc_u32_e32 v7, 1, v7
	v_add_nc_u32_e32 v8, 16, v8
	;; [unrolled: 1-line block ×3, first 2 shown]
	s_delay_alu instid0(VALU_DEP_3) | instskip(SKIP_4) | instid1(VALU_DEP_2)
	v_cmp_lt_u32_e32 vcc_lo, 28, v7
	s_or_b32 s3, vcc_lo, s3
	s_waitcnt vmcnt(0) lgkmcnt(0)
	v_mul_f64 v[10:11], v[21:22], v[17:18]
	v_mul_f64 v[17:18], v[19:20], v[17:18]
	v_fma_f64 v[10:11], v[19:20], v[15:16], -v[10:11]
	s_delay_alu instid0(VALU_DEP_2) | instskip(NEXT) | instid1(VALU_DEP_2)
	v_fma_f64 v[15:16], v[21:22], v[15:16], v[17:18]
	v_add_f64 v[3:4], v[3:4], v[10:11]
	s_delay_alu instid0(VALU_DEP_2)
	v_add_f64 v[1:2], v[1:2], v[15:16]
	s_and_not1_b32 exec_lo, exec_lo, s3
	s_cbranch_execnz .LBB63_147
; %bb.148:
	s_or_b32 exec_lo, exec_lo, s3
	v_mov_b32_e32 v7, 0
	ds_load_b128 v[7:10], v7 offset:480
	s_waitcnt lgkmcnt(0)
	v_mul_f64 v[11:12], v[1:2], v[9:10]
	v_mul_f64 v[15:16], v[3:4], v[9:10]
	s_delay_alu instid0(VALU_DEP_2) | instskip(NEXT) | instid1(VALU_DEP_2)
	v_fma_f64 v[9:10], v[3:4], v[7:8], -v[11:12]
	v_fma_f64 v[11:12], v[1:2], v[7:8], v[15:16]
	scratch_store_b128 off, v[9:12], off offset:480
.LBB63_149:
	s_or_b32 exec_lo, exec_lo, s2
	s_waitcnt_vscnt null, 0x0
	s_barrier
	buffer_gl0_inv
	scratch_load_b32 v1, off, off offset:1148 ; 4-byte Folded Reload
	s_mov_b32 s2, exec_lo
	s_waitcnt vmcnt(0)
	scratch_load_b128 v[1:4], v1, off
	s_waitcnt vmcnt(0)
	ds_store_b128 v5, v[1:4]
	s_waitcnt lgkmcnt(0)
	s_barrier
	buffer_gl0_inv
	v_cmpx_gt_u32_e32 31, v178
	s_cbranch_execz .LBB63_153
; %bb.150:
	v_mov_b32_e32 v1, 0
	v_dual_mov_b32 v2, 0 :: v_dual_add_nc_u32 v7, -1, v178
	v_or_b32_e32 v8, 0x400, v13
	v_or_b32_e32 v9, 8, v14
	s_mov_b32 s3, 0
	s_delay_alu instid0(VALU_DEP_3)
	v_dual_mov_b32 v4, v2 :: v_dual_mov_b32 v3, v1
	.p2align	6
.LBB63_151:                             ; =>This Inner Loop Header: Depth=1
	scratch_load_b128 v[15:18], v9, off offset:-8
	ds_load_b128 v[19:22], v8
	v_add_nc_u32_e32 v7, 1, v7
	v_add_nc_u32_e32 v8, 16, v8
	;; [unrolled: 1-line block ×3, first 2 shown]
	s_delay_alu instid0(VALU_DEP_3) | instskip(SKIP_4) | instid1(VALU_DEP_2)
	v_cmp_lt_u32_e32 vcc_lo, 29, v7
	s_or_b32 s3, vcc_lo, s3
	s_waitcnt vmcnt(0) lgkmcnt(0)
	v_mul_f64 v[10:11], v[21:22], v[17:18]
	v_mul_f64 v[17:18], v[19:20], v[17:18]
	v_fma_f64 v[10:11], v[19:20], v[15:16], -v[10:11]
	s_delay_alu instid0(VALU_DEP_2) | instskip(NEXT) | instid1(VALU_DEP_2)
	v_fma_f64 v[15:16], v[21:22], v[15:16], v[17:18]
	v_add_f64 v[3:4], v[3:4], v[10:11]
	s_delay_alu instid0(VALU_DEP_2)
	v_add_f64 v[1:2], v[1:2], v[15:16]
	s_and_not1_b32 exec_lo, exec_lo, s3
	s_cbranch_execnz .LBB63_151
; %bb.152:
	s_or_b32 exec_lo, exec_lo, s3
	v_mov_b32_e32 v7, 0
	ds_load_b128 v[7:10], v7 offset:496
	s_waitcnt lgkmcnt(0)
	v_mul_f64 v[11:12], v[1:2], v[9:10]
	v_mul_f64 v[15:16], v[3:4], v[9:10]
	s_delay_alu instid0(VALU_DEP_2) | instskip(NEXT) | instid1(VALU_DEP_2)
	v_fma_f64 v[9:10], v[3:4], v[7:8], -v[11:12]
	v_fma_f64 v[11:12], v[1:2], v[7:8], v[15:16]
	scratch_store_b128 off, v[9:12], off offset:496
.LBB63_153:
	s_or_b32 exec_lo, exec_lo, s2
	s_waitcnt_vscnt null, 0x0
	s_barrier
	buffer_gl0_inv
	scratch_load_b32 v1, off, off offset:1144 ; 4-byte Folded Reload
	s_mov_b32 s2, exec_lo
	s_waitcnt vmcnt(0)
	scratch_load_b128 v[1:4], v1, off
	s_waitcnt vmcnt(0)
	ds_store_b128 v5, v[1:4]
	s_waitcnt lgkmcnt(0)
	s_barrier
	buffer_gl0_inv
	v_cmpx_gt_u32_e32 32, v178
	s_cbranch_execz .LBB63_157
; %bb.154:
	v_mov_b32_e32 v1, 0
	v_dual_mov_b32 v2, 0 :: v_dual_add_nc_u32 v7, -1, v178
	v_or_b32_e32 v8, 0x400, v13
	v_or_b32_e32 v9, 8, v14
	s_mov_b32 s3, 0
	s_delay_alu instid0(VALU_DEP_3)
	v_dual_mov_b32 v4, v2 :: v_dual_mov_b32 v3, v1
	.p2align	6
.LBB63_155:                             ; =>This Inner Loop Header: Depth=1
	scratch_load_b128 v[15:18], v9, off offset:-8
	ds_load_b128 v[19:22], v8
	v_add_nc_u32_e32 v7, 1, v7
	v_add_nc_u32_e32 v8, 16, v8
	;; [unrolled: 1-line block ×3, first 2 shown]
	s_delay_alu instid0(VALU_DEP_3) | instskip(SKIP_4) | instid1(VALU_DEP_2)
	v_cmp_lt_u32_e32 vcc_lo, 30, v7
	s_or_b32 s3, vcc_lo, s3
	s_waitcnt vmcnt(0) lgkmcnt(0)
	v_mul_f64 v[10:11], v[21:22], v[17:18]
	v_mul_f64 v[17:18], v[19:20], v[17:18]
	v_fma_f64 v[10:11], v[19:20], v[15:16], -v[10:11]
	s_delay_alu instid0(VALU_DEP_2) | instskip(NEXT) | instid1(VALU_DEP_2)
	v_fma_f64 v[15:16], v[21:22], v[15:16], v[17:18]
	v_add_f64 v[3:4], v[3:4], v[10:11]
	s_delay_alu instid0(VALU_DEP_2)
	v_add_f64 v[1:2], v[1:2], v[15:16]
	s_and_not1_b32 exec_lo, exec_lo, s3
	s_cbranch_execnz .LBB63_155
; %bb.156:
	s_or_b32 exec_lo, exec_lo, s3
	v_mov_b32_e32 v7, 0
	ds_load_b128 v[7:10], v7 offset:512
	s_waitcnt lgkmcnt(0)
	v_mul_f64 v[11:12], v[1:2], v[9:10]
	v_mul_f64 v[15:16], v[3:4], v[9:10]
	s_delay_alu instid0(VALU_DEP_2) | instskip(NEXT) | instid1(VALU_DEP_2)
	v_fma_f64 v[9:10], v[3:4], v[7:8], -v[11:12]
	v_fma_f64 v[11:12], v[1:2], v[7:8], v[15:16]
	scratch_store_b128 off, v[9:12], off offset:512
.LBB63_157:
	s_or_b32 exec_lo, exec_lo, s2
	s_waitcnt_vscnt null, 0x0
	s_barrier
	buffer_gl0_inv
	scratch_load_b32 v1, off, off offset:1140 ; 4-byte Folded Reload
	s_mov_b32 s2, exec_lo
	s_waitcnt vmcnt(0)
	scratch_load_b128 v[1:4], v1, off
	s_waitcnt vmcnt(0)
	ds_store_b128 v5, v[1:4]
	s_waitcnt lgkmcnt(0)
	s_barrier
	buffer_gl0_inv
	v_cmpx_gt_u32_e32 33, v178
	s_cbranch_execz .LBB63_161
; %bb.158:
	v_mov_b32_e32 v1, 0
	v_dual_mov_b32 v2, 0 :: v_dual_add_nc_u32 v7, -1, v178
	v_or_b32_e32 v8, 0x400, v13
	v_or_b32_e32 v9, 8, v14
	s_mov_b32 s3, 0
	s_delay_alu instid0(VALU_DEP_3)
	v_dual_mov_b32 v4, v2 :: v_dual_mov_b32 v3, v1
	.p2align	6
.LBB63_159:                             ; =>This Inner Loop Header: Depth=1
	scratch_load_b128 v[15:18], v9, off offset:-8
	ds_load_b128 v[19:22], v8
	v_add_nc_u32_e32 v7, 1, v7
	v_add_nc_u32_e32 v8, 16, v8
	;; [unrolled: 1-line block ×3, first 2 shown]
	s_delay_alu instid0(VALU_DEP_3) | instskip(SKIP_4) | instid1(VALU_DEP_2)
	v_cmp_lt_u32_e32 vcc_lo, 31, v7
	s_or_b32 s3, vcc_lo, s3
	s_waitcnt vmcnt(0) lgkmcnt(0)
	v_mul_f64 v[10:11], v[21:22], v[17:18]
	v_mul_f64 v[17:18], v[19:20], v[17:18]
	v_fma_f64 v[10:11], v[19:20], v[15:16], -v[10:11]
	s_delay_alu instid0(VALU_DEP_2) | instskip(NEXT) | instid1(VALU_DEP_2)
	v_fma_f64 v[15:16], v[21:22], v[15:16], v[17:18]
	v_add_f64 v[3:4], v[3:4], v[10:11]
	s_delay_alu instid0(VALU_DEP_2)
	v_add_f64 v[1:2], v[1:2], v[15:16]
	s_and_not1_b32 exec_lo, exec_lo, s3
	s_cbranch_execnz .LBB63_159
; %bb.160:
	s_or_b32 exec_lo, exec_lo, s3
	v_mov_b32_e32 v7, 0
	ds_load_b128 v[7:10], v7 offset:528
	s_waitcnt lgkmcnt(0)
	v_mul_f64 v[11:12], v[1:2], v[9:10]
	v_mul_f64 v[15:16], v[3:4], v[9:10]
	s_delay_alu instid0(VALU_DEP_2) | instskip(NEXT) | instid1(VALU_DEP_2)
	v_fma_f64 v[9:10], v[3:4], v[7:8], -v[11:12]
	v_fma_f64 v[11:12], v[1:2], v[7:8], v[15:16]
	scratch_store_b128 off, v[9:12], off offset:528
.LBB63_161:
	s_or_b32 exec_lo, exec_lo, s2
	s_waitcnt_vscnt null, 0x0
	s_barrier
	buffer_gl0_inv
	scratch_load_b32 v1, off, off offset:1136 ; 4-byte Folded Reload
	s_mov_b32 s2, exec_lo
	s_waitcnt vmcnt(0)
	scratch_load_b128 v[1:4], v1, off
	s_waitcnt vmcnt(0)
	ds_store_b128 v5, v[1:4]
	s_waitcnt lgkmcnt(0)
	s_barrier
	buffer_gl0_inv
	v_cmpx_gt_u32_e32 34, v178
	s_cbranch_execz .LBB63_165
; %bb.162:
	v_mov_b32_e32 v1, 0
	v_dual_mov_b32 v2, 0 :: v_dual_add_nc_u32 v7, -1, v178
	v_or_b32_e32 v8, 0x400, v13
	v_or_b32_e32 v9, 8, v14
	s_mov_b32 s3, 0
	s_delay_alu instid0(VALU_DEP_3)
	v_dual_mov_b32 v4, v2 :: v_dual_mov_b32 v3, v1
	.p2align	6
.LBB63_163:                             ; =>This Inner Loop Header: Depth=1
	scratch_load_b128 v[15:18], v9, off offset:-8
	ds_load_b128 v[19:22], v8
	v_add_nc_u32_e32 v7, 1, v7
	v_add_nc_u32_e32 v8, 16, v8
	;; [unrolled: 1-line block ×3, first 2 shown]
	s_delay_alu instid0(VALU_DEP_3) | instskip(SKIP_4) | instid1(VALU_DEP_2)
	v_cmp_lt_u32_e32 vcc_lo, 32, v7
	s_or_b32 s3, vcc_lo, s3
	s_waitcnt vmcnt(0) lgkmcnt(0)
	v_mul_f64 v[10:11], v[21:22], v[17:18]
	v_mul_f64 v[17:18], v[19:20], v[17:18]
	v_fma_f64 v[10:11], v[19:20], v[15:16], -v[10:11]
	s_delay_alu instid0(VALU_DEP_2) | instskip(NEXT) | instid1(VALU_DEP_2)
	v_fma_f64 v[15:16], v[21:22], v[15:16], v[17:18]
	v_add_f64 v[3:4], v[3:4], v[10:11]
	s_delay_alu instid0(VALU_DEP_2)
	v_add_f64 v[1:2], v[1:2], v[15:16]
	s_and_not1_b32 exec_lo, exec_lo, s3
	s_cbranch_execnz .LBB63_163
; %bb.164:
	s_or_b32 exec_lo, exec_lo, s3
	v_mov_b32_e32 v7, 0
	ds_load_b128 v[7:10], v7 offset:544
	s_waitcnt lgkmcnt(0)
	v_mul_f64 v[11:12], v[1:2], v[9:10]
	v_mul_f64 v[15:16], v[3:4], v[9:10]
	s_delay_alu instid0(VALU_DEP_2) | instskip(NEXT) | instid1(VALU_DEP_2)
	v_fma_f64 v[9:10], v[3:4], v[7:8], -v[11:12]
	v_fma_f64 v[11:12], v[1:2], v[7:8], v[15:16]
	scratch_store_b128 off, v[9:12], off offset:544
.LBB63_165:
	s_or_b32 exec_lo, exec_lo, s2
	s_waitcnt_vscnt null, 0x0
	s_barrier
	buffer_gl0_inv
	scratch_load_b32 v1, off, off offset:1132 ; 4-byte Folded Reload
	s_mov_b32 s2, exec_lo
	s_waitcnt vmcnt(0)
	scratch_load_b128 v[1:4], v1, off
	s_waitcnt vmcnt(0)
	ds_store_b128 v5, v[1:4]
	s_waitcnt lgkmcnt(0)
	s_barrier
	buffer_gl0_inv
	v_cmpx_gt_u32_e32 35, v178
	s_cbranch_execz .LBB63_169
; %bb.166:
	v_mov_b32_e32 v1, 0
	v_dual_mov_b32 v2, 0 :: v_dual_add_nc_u32 v7, -1, v178
	v_or_b32_e32 v8, 0x400, v13
	v_or_b32_e32 v9, 8, v14
	s_mov_b32 s3, 0
	s_delay_alu instid0(VALU_DEP_3)
	v_dual_mov_b32 v4, v2 :: v_dual_mov_b32 v3, v1
	.p2align	6
.LBB63_167:                             ; =>This Inner Loop Header: Depth=1
	scratch_load_b128 v[15:18], v9, off offset:-8
	ds_load_b128 v[19:22], v8
	v_add_nc_u32_e32 v7, 1, v7
	v_add_nc_u32_e32 v8, 16, v8
	;; [unrolled: 1-line block ×3, first 2 shown]
	s_delay_alu instid0(VALU_DEP_3) | instskip(SKIP_4) | instid1(VALU_DEP_2)
	v_cmp_lt_u32_e32 vcc_lo, 33, v7
	s_or_b32 s3, vcc_lo, s3
	s_waitcnt vmcnt(0) lgkmcnt(0)
	v_mul_f64 v[10:11], v[21:22], v[17:18]
	v_mul_f64 v[17:18], v[19:20], v[17:18]
	v_fma_f64 v[10:11], v[19:20], v[15:16], -v[10:11]
	s_delay_alu instid0(VALU_DEP_2) | instskip(NEXT) | instid1(VALU_DEP_2)
	v_fma_f64 v[15:16], v[21:22], v[15:16], v[17:18]
	v_add_f64 v[3:4], v[3:4], v[10:11]
	s_delay_alu instid0(VALU_DEP_2)
	v_add_f64 v[1:2], v[1:2], v[15:16]
	s_and_not1_b32 exec_lo, exec_lo, s3
	s_cbranch_execnz .LBB63_167
; %bb.168:
	s_or_b32 exec_lo, exec_lo, s3
	v_mov_b32_e32 v7, 0
	ds_load_b128 v[7:10], v7 offset:560
	s_waitcnt lgkmcnt(0)
	v_mul_f64 v[11:12], v[1:2], v[9:10]
	v_mul_f64 v[15:16], v[3:4], v[9:10]
	s_delay_alu instid0(VALU_DEP_2) | instskip(NEXT) | instid1(VALU_DEP_2)
	v_fma_f64 v[9:10], v[3:4], v[7:8], -v[11:12]
	v_fma_f64 v[11:12], v[1:2], v[7:8], v[15:16]
	scratch_store_b128 off, v[9:12], off offset:560
.LBB63_169:
	s_or_b32 exec_lo, exec_lo, s2
	s_waitcnt_vscnt null, 0x0
	s_barrier
	buffer_gl0_inv
	scratch_load_b32 v1, off, off offset:1128 ; 4-byte Folded Reload
	s_mov_b32 s2, exec_lo
	s_waitcnt vmcnt(0)
	scratch_load_b128 v[1:4], v1, off
	s_waitcnt vmcnt(0)
	ds_store_b128 v5, v[1:4]
	s_waitcnt lgkmcnt(0)
	s_barrier
	buffer_gl0_inv
	v_cmpx_gt_u32_e32 36, v178
	s_cbranch_execz .LBB63_173
; %bb.170:
	v_mov_b32_e32 v1, 0
	v_dual_mov_b32 v2, 0 :: v_dual_add_nc_u32 v7, -1, v178
	v_or_b32_e32 v8, 0x400, v13
	v_or_b32_e32 v9, 8, v14
	s_mov_b32 s3, 0
	s_delay_alu instid0(VALU_DEP_3)
	v_dual_mov_b32 v4, v2 :: v_dual_mov_b32 v3, v1
	.p2align	6
.LBB63_171:                             ; =>This Inner Loop Header: Depth=1
	scratch_load_b128 v[15:18], v9, off offset:-8
	ds_load_b128 v[19:22], v8
	v_add_nc_u32_e32 v7, 1, v7
	v_add_nc_u32_e32 v8, 16, v8
	;; [unrolled: 1-line block ×3, first 2 shown]
	s_delay_alu instid0(VALU_DEP_3) | instskip(SKIP_4) | instid1(VALU_DEP_2)
	v_cmp_lt_u32_e32 vcc_lo, 34, v7
	s_or_b32 s3, vcc_lo, s3
	s_waitcnt vmcnt(0) lgkmcnt(0)
	v_mul_f64 v[10:11], v[21:22], v[17:18]
	v_mul_f64 v[17:18], v[19:20], v[17:18]
	v_fma_f64 v[10:11], v[19:20], v[15:16], -v[10:11]
	s_delay_alu instid0(VALU_DEP_2) | instskip(NEXT) | instid1(VALU_DEP_2)
	v_fma_f64 v[15:16], v[21:22], v[15:16], v[17:18]
	v_add_f64 v[3:4], v[3:4], v[10:11]
	s_delay_alu instid0(VALU_DEP_2)
	v_add_f64 v[1:2], v[1:2], v[15:16]
	s_and_not1_b32 exec_lo, exec_lo, s3
	s_cbranch_execnz .LBB63_171
; %bb.172:
	s_or_b32 exec_lo, exec_lo, s3
	v_mov_b32_e32 v7, 0
	ds_load_b128 v[7:10], v7 offset:576
	s_waitcnt lgkmcnt(0)
	v_mul_f64 v[11:12], v[1:2], v[9:10]
	v_mul_f64 v[15:16], v[3:4], v[9:10]
	s_delay_alu instid0(VALU_DEP_2) | instskip(NEXT) | instid1(VALU_DEP_2)
	v_fma_f64 v[9:10], v[3:4], v[7:8], -v[11:12]
	v_fma_f64 v[11:12], v[1:2], v[7:8], v[15:16]
	scratch_store_b128 off, v[9:12], off offset:576
.LBB63_173:
	s_or_b32 exec_lo, exec_lo, s2
	s_waitcnt_vscnt null, 0x0
	s_barrier
	buffer_gl0_inv
	scratch_load_b32 v1, off, off offset:1124 ; 4-byte Folded Reload
	s_mov_b32 s2, exec_lo
	s_waitcnt vmcnt(0)
	scratch_load_b128 v[1:4], v1, off
	s_waitcnt vmcnt(0)
	ds_store_b128 v5, v[1:4]
	s_waitcnt lgkmcnt(0)
	s_barrier
	buffer_gl0_inv
	v_cmpx_gt_u32_e32 37, v178
	s_cbranch_execz .LBB63_177
; %bb.174:
	v_mov_b32_e32 v1, 0
	v_dual_mov_b32 v2, 0 :: v_dual_add_nc_u32 v7, -1, v178
	v_or_b32_e32 v8, 0x400, v13
	v_or_b32_e32 v9, 8, v14
	s_mov_b32 s3, 0
	s_delay_alu instid0(VALU_DEP_3)
	v_dual_mov_b32 v4, v2 :: v_dual_mov_b32 v3, v1
	.p2align	6
.LBB63_175:                             ; =>This Inner Loop Header: Depth=1
	scratch_load_b128 v[15:18], v9, off offset:-8
	ds_load_b128 v[19:22], v8
	v_add_nc_u32_e32 v7, 1, v7
	v_add_nc_u32_e32 v8, 16, v8
	;; [unrolled: 1-line block ×3, first 2 shown]
	s_delay_alu instid0(VALU_DEP_3) | instskip(SKIP_4) | instid1(VALU_DEP_2)
	v_cmp_lt_u32_e32 vcc_lo, 35, v7
	s_or_b32 s3, vcc_lo, s3
	s_waitcnt vmcnt(0) lgkmcnt(0)
	v_mul_f64 v[10:11], v[21:22], v[17:18]
	v_mul_f64 v[17:18], v[19:20], v[17:18]
	v_fma_f64 v[10:11], v[19:20], v[15:16], -v[10:11]
	s_delay_alu instid0(VALU_DEP_2) | instskip(NEXT) | instid1(VALU_DEP_2)
	v_fma_f64 v[15:16], v[21:22], v[15:16], v[17:18]
	v_add_f64 v[3:4], v[3:4], v[10:11]
	s_delay_alu instid0(VALU_DEP_2)
	v_add_f64 v[1:2], v[1:2], v[15:16]
	s_and_not1_b32 exec_lo, exec_lo, s3
	s_cbranch_execnz .LBB63_175
; %bb.176:
	s_or_b32 exec_lo, exec_lo, s3
	v_mov_b32_e32 v7, 0
	ds_load_b128 v[7:10], v7 offset:592
	s_waitcnt lgkmcnt(0)
	v_mul_f64 v[11:12], v[1:2], v[9:10]
	v_mul_f64 v[15:16], v[3:4], v[9:10]
	s_delay_alu instid0(VALU_DEP_2) | instskip(NEXT) | instid1(VALU_DEP_2)
	v_fma_f64 v[9:10], v[3:4], v[7:8], -v[11:12]
	v_fma_f64 v[11:12], v[1:2], v[7:8], v[15:16]
	scratch_store_b128 off, v[9:12], off offset:592
.LBB63_177:
	s_or_b32 exec_lo, exec_lo, s2
	s_waitcnt_vscnt null, 0x0
	s_barrier
	buffer_gl0_inv
	scratch_load_b32 v1, off, off offset:1120 ; 4-byte Folded Reload
	s_mov_b32 s2, exec_lo
	s_waitcnt vmcnt(0)
	scratch_load_b128 v[1:4], v1, off
	s_waitcnt vmcnt(0)
	ds_store_b128 v5, v[1:4]
	s_waitcnt lgkmcnt(0)
	s_barrier
	buffer_gl0_inv
	v_cmpx_gt_u32_e32 38, v178
	s_cbranch_execz .LBB63_181
; %bb.178:
	v_mov_b32_e32 v1, 0
	v_dual_mov_b32 v2, 0 :: v_dual_add_nc_u32 v7, -1, v178
	v_or_b32_e32 v8, 0x400, v13
	v_or_b32_e32 v9, 8, v14
	s_mov_b32 s3, 0
	s_delay_alu instid0(VALU_DEP_3)
	v_dual_mov_b32 v4, v2 :: v_dual_mov_b32 v3, v1
	.p2align	6
.LBB63_179:                             ; =>This Inner Loop Header: Depth=1
	scratch_load_b128 v[15:18], v9, off offset:-8
	ds_load_b128 v[19:22], v8
	v_add_nc_u32_e32 v7, 1, v7
	v_add_nc_u32_e32 v8, 16, v8
	;; [unrolled: 1-line block ×3, first 2 shown]
	s_delay_alu instid0(VALU_DEP_3) | instskip(SKIP_4) | instid1(VALU_DEP_2)
	v_cmp_lt_u32_e32 vcc_lo, 36, v7
	s_or_b32 s3, vcc_lo, s3
	s_waitcnt vmcnt(0) lgkmcnt(0)
	v_mul_f64 v[10:11], v[21:22], v[17:18]
	v_mul_f64 v[17:18], v[19:20], v[17:18]
	v_fma_f64 v[10:11], v[19:20], v[15:16], -v[10:11]
	s_delay_alu instid0(VALU_DEP_2) | instskip(NEXT) | instid1(VALU_DEP_2)
	v_fma_f64 v[15:16], v[21:22], v[15:16], v[17:18]
	v_add_f64 v[3:4], v[3:4], v[10:11]
	s_delay_alu instid0(VALU_DEP_2)
	v_add_f64 v[1:2], v[1:2], v[15:16]
	s_and_not1_b32 exec_lo, exec_lo, s3
	s_cbranch_execnz .LBB63_179
; %bb.180:
	s_or_b32 exec_lo, exec_lo, s3
	v_mov_b32_e32 v7, 0
	ds_load_b128 v[7:10], v7 offset:608
	s_waitcnt lgkmcnt(0)
	v_mul_f64 v[11:12], v[1:2], v[9:10]
	v_mul_f64 v[15:16], v[3:4], v[9:10]
	s_delay_alu instid0(VALU_DEP_2) | instskip(NEXT) | instid1(VALU_DEP_2)
	v_fma_f64 v[9:10], v[3:4], v[7:8], -v[11:12]
	v_fma_f64 v[11:12], v[1:2], v[7:8], v[15:16]
	scratch_store_b128 off, v[9:12], off offset:608
.LBB63_181:
	s_or_b32 exec_lo, exec_lo, s2
	s_waitcnt_vscnt null, 0x0
	s_barrier
	buffer_gl0_inv
	scratch_load_b32 v1, off, off offset:1116 ; 4-byte Folded Reload
	s_mov_b32 s2, exec_lo
	s_waitcnt vmcnt(0)
	scratch_load_b128 v[1:4], v1, off
	s_waitcnt vmcnt(0)
	ds_store_b128 v5, v[1:4]
	s_waitcnt lgkmcnt(0)
	s_barrier
	buffer_gl0_inv
	v_cmpx_gt_u32_e32 39, v178
	s_cbranch_execz .LBB63_185
; %bb.182:
	v_mov_b32_e32 v1, 0
	v_dual_mov_b32 v2, 0 :: v_dual_add_nc_u32 v7, -1, v178
	v_or_b32_e32 v8, 0x400, v13
	v_or_b32_e32 v9, 8, v14
	s_mov_b32 s3, 0
	s_delay_alu instid0(VALU_DEP_3)
	v_dual_mov_b32 v4, v2 :: v_dual_mov_b32 v3, v1
	.p2align	6
.LBB63_183:                             ; =>This Inner Loop Header: Depth=1
	scratch_load_b128 v[15:18], v9, off offset:-8
	ds_load_b128 v[19:22], v8
	v_add_nc_u32_e32 v7, 1, v7
	v_add_nc_u32_e32 v8, 16, v8
	;; [unrolled: 1-line block ×3, first 2 shown]
	s_delay_alu instid0(VALU_DEP_3) | instskip(SKIP_4) | instid1(VALU_DEP_2)
	v_cmp_lt_u32_e32 vcc_lo, 37, v7
	s_or_b32 s3, vcc_lo, s3
	s_waitcnt vmcnt(0) lgkmcnt(0)
	v_mul_f64 v[10:11], v[21:22], v[17:18]
	v_mul_f64 v[17:18], v[19:20], v[17:18]
	v_fma_f64 v[10:11], v[19:20], v[15:16], -v[10:11]
	s_delay_alu instid0(VALU_DEP_2) | instskip(NEXT) | instid1(VALU_DEP_2)
	v_fma_f64 v[15:16], v[21:22], v[15:16], v[17:18]
	v_add_f64 v[3:4], v[3:4], v[10:11]
	s_delay_alu instid0(VALU_DEP_2)
	v_add_f64 v[1:2], v[1:2], v[15:16]
	s_and_not1_b32 exec_lo, exec_lo, s3
	s_cbranch_execnz .LBB63_183
; %bb.184:
	s_or_b32 exec_lo, exec_lo, s3
	v_mov_b32_e32 v7, 0
	ds_load_b128 v[7:10], v7 offset:624
	s_waitcnt lgkmcnt(0)
	v_mul_f64 v[11:12], v[1:2], v[9:10]
	v_mul_f64 v[15:16], v[3:4], v[9:10]
	s_delay_alu instid0(VALU_DEP_2) | instskip(NEXT) | instid1(VALU_DEP_2)
	v_fma_f64 v[9:10], v[3:4], v[7:8], -v[11:12]
	v_fma_f64 v[11:12], v[1:2], v[7:8], v[15:16]
	scratch_store_b128 off, v[9:12], off offset:624
.LBB63_185:
	s_or_b32 exec_lo, exec_lo, s2
	s_waitcnt_vscnt null, 0x0
	s_barrier
	buffer_gl0_inv
	scratch_load_b32 v1, off, off offset:1112 ; 4-byte Folded Reload
	s_mov_b32 s2, exec_lo
	s_waitcnt vmcnt(0)
	scratch_load_b128 v[1:4], v1, off
	s_waitcnt vmcnt(0)
	ds_store_b128 v5, v[1:4]
	s_waitcnt lgkmcnt(0)
	s_barrier
	buffer_gl0_inv
	v_cmpx_gt_u32_e32 40, v178
	s_cbranch_execz .LBB63_189
; %bb.186:
	v_mov_b32_e32 v1, 0
	v_dual_mov_b32 v2, 0 :: v_dual_add_nc_u32 v7, -1, v178
	v_or_b32_e32 v8, 0x400, v13
	v_or_b32_e32 v9, 8, v14
	s_mov_b32 s3, 0
	s_delay_alu instid0(VALU_DEP_3)
	v_dual_mov_b32 v4, v2 :: v_dual_mov_b32 v3, v1
	.p2align	6
.LBB63_187:                             ; =>This Inner Loop Header: Depth=1
	scratch_load_b128 v[15:18], v9, off offset:-8
	ds_load_b128 v[19:22], v8
	v_add_nc_u32_e32 v7, 1, v7
	v_add_nc_u32_e32 v8, 16, v8
	;; [unrolled: 1-line block ×3, first 2 shown]
	s_delay_alu instid0(VALU_DEP_3) | instskip(SKIP_4) | instid1(VALU_DEP_2)
	v_cmp_lt_u32_e32 vcc_lo, 38, v7
	s_or_b32 s3, vcc_lo, s3
	s_waitcnt vmcnt(0) lgkmcnt(0)
	v_mul_f64 v[10:11], v[21:22], v[17:18]
	v_mul_f64 v[17:18], v[19:20], v[17:18]
	v_fma_f64 v[10:11], v[19:20], v[15:16], -v[10:11]
	s_delay_alu instid0(VALU_DEP_2) | instskip(NEXT) | instid1(VALU_DEP_2)
	v_fma_f64 v[15:16], v[21:22], v[15:16], v[17:18]
	v_add_f64 v[3:4], v[3:4], v[10:11]
	s_delay_alu instid0(VALU_DEP_2)
	v_add_f64 v[1:2], v[1:2], v[15:16]
	s_and_not1_b32 exec_lo, exec_lo, s3
	s_cbranch_execnz .LBB63_187
; %bb.188:
	s_or_b32 exec_lo, exec_lo, s3
	v_mov_b32_e32 v7, 0
	ds_load_b128 v[7:10], v7 offset:640
	s_waitcnt lgkmcnt(0)
	v_mul_f64 v[11:12], v[1:2], v[9:10]
	v_mul_f64 v[15:16], v[3:4], v[9:10]
	s_delay_alu instid0(VALU_DEP_2) | instskip(NEXT) | instid1(VALU_DEP_2)
	v_fma_f64 v[9:10], v[3:4], v[7:8], -v[11:12]
	v_fma_f64 v[11:12], v[1:2], v[7:8], v[15:16]
	scratch_store_b128 off, v[9:12], off offset:640
.LBB63_189:
	s_or_b32 exec_lo, exec_lo, s2
	s_waitcnt_vscnt null, 0x0
	s_barrier
	buffer_gl0_inv
	scratch_load_b32 v1, off, off offset:1108 ; 4-byte Folded Reload
	s_mov_b32 s2, exec_lo
	s_waitcnt vmcnt(0)
	scratch_load_b128 v[1:4], v1, off
	s_waitcnt vmcnt(0)
	ds_store_b128 v5, v[1:4]
	s_waitcnt lgkmcnt(0)
	s_barrier
	buffer_gl0_inv
	v_cmpx_gt_u32_e32 41, v178
	s_cbranch_execz .LBB63_193
; %bb.190:
	v_mov_b32_e32 v1, 0
	v_dual_mov_b32 v2, 0 :: v_dual_add_nc_u32 v7, -1, v178
	v_or_b32_e32 v8, 0x400, v13
	v_or_b32_e32 v9, 8, v14
	s_mov_b32 s3, 0
	s_delay_alu instid0(VALU_DEP_3)
	v_dual_mov_b32 v4, v2 :: v_dual_mov_b32 v3, v1
	.p2align	6
.LBB63_191:                             ; =>This Inner Loop Header: Depth=1
	scratch_load_b128 v[15:18], v9, off offset:-8
	ds_load_b128 v[19:22], v8
	v_add_nc_u32_e32 v7, 1, v7
	v_add_nc_u32_e32 v8, 16, v8
	;; [unrolled: 1-line block ×3, first 2 shown]
	s_delay_alu instid0(VALU_DEP_3) | instskip(SKIP_4) | instid1(VALU_DEP_2)
	v_cmp_lt_u32_e32 vcc_lo, 39, v7
	s_or_b32 s3, vcc_lo, s3
	s_waitcnt vmcnt(0) lgkmcnt(0)
	v_mul_f64 v[10:11], v[21:22], v[17:18]
	v_mul_f64 v[17:18], v[19:20], v[17:18]
	v_fma_f64 v[10:11], v[19:20], v[15:16], -v[10:11]
	s_delay_alu instid0(VALU_DEP_2) | instskip(NEXT) | instid1(VALU_DEP_2)
	v_fma_f64 v[15:16], v[21:22], v[15:16], v[17:18]
	v_add_f64 v[3:4], v[3:4], v[10:11]
	s_delay_alu instid0(VALU_DEP_2)
	v_add_f64 v[1:2], v[1:2], v[15:16]
	s_and_not1_b32 exec_lo, exec_lo, s3
	s_cbranch_execnz .LBB63_191
; %bb.192:
	s_or_b32 exec_lo, exec_lo, s3
	v_mov_b32_e32 v7, 0
	ds_load_b128 v[7:10], v7 offset:656
	s_waitcnt lgkmcnt(0)
	v_mul_f64 v[11:12], v[1:2], v[9:10]
	v_mul_f64 v[15:16], v[3:4], v[9:10]
	s_delay_alu instid0(VALU_DEP_2) | instskip(NEXT) | instid1(VALU_DEP_2)
	v_fma_f64 v[9:10], v[3:4], v[7:8], -v[11:12]
	v_fma_f64 v[11:12], v[1:2], v[7:8], v[15:16]
	scratch_store_b128 off, v[9:12], off offset:656
.LBB63_193:
	s_or_b32 exec_lo, exec_lo, s2
	s_waitcnt_vscnt null, 0x0
	s_barrier
	buffer_gl0_inv
	scratch_load_b32 v1, off, off offset:1104 ; 4-byte Folded Reload
	s_mov_b32 s2, exec_lo
	s_waitcnt vmcnt(0)
	scratch_load_b128 v[1:4], v1, off
	s_waitcnt vmcnt(0)
	ds_store_b128 v5, v[1:4]
	s_waitcnt lgkmcnt(0)
	s_barrier
	buffer_gl0_inv
	v_cmpx_gt_u32_e32 42, v178
	s_cbranch_execz .LBB63_197
; %bb.194:
	v_mov_b32_e32 v1, 0
	v_dual_mov_b32 v2, 0 :: v_dual_add_nc_u32 v7, -1, v178
	v_or_b32_e32 v8, 0x400, v13
	v_or_b32_e32 v9, 8, v14
	s_mov_b32 s3, 0
	s_delay_alu instid0(VALU_DEP_3)
	v_dual_mov_b32 v4, v2 :: v_dual_mov_b32 v3, v1
	.p2align	6
.LBB63_195:                             ; =>This Inner Loop Header: Depth=1
	scratch_load_b128 v[15:18], v9, off offset:-8
	ds_load_b128 v[19:22], v8
	v_add_nc_u32_e32 v7, 1, v7
	v_add_nc_u32_e32 v8, 16, v8
	;; [unrolled: 1-line block ×3, first 2 shown]
	s_delay_alu instid0(VALU_DEP_3) | instskip(SKIP_4) | instid1(VALU_DEP_2)
	v_cmp_lt_u32_e32 vcc_lo, 40, v7
	s_or_b32 s3, vcc_lo, s3
	s_waitcnt vmcnt(0) lgkmcnt(0)
	v_mul_f64 v[10:11], v[21:22], v[17:18]
	v_mul_f64 v[17:18], v[19:20], v[17:18]
	v_fma_f64 v[10:11], v[19:20], v[15:16], -v[10:11]
	s_delay_alu instid0(VALU_DEP_2) | instskip(NEXT) | instid1(VALU_DEP_2)
	v_fma_f64 v[15:16], v[21:22], v[15:16], v[17:18]
	v_add_f64 v[3:4], v[3:4], v[10:11]
	s_delay_alu instid0(VALU_DEP_2)
	v_add_f64 v[1:2], v[1:2], v[15:16]
	s_and_not1_b32 exec_lo, exec_lo, s3
	s_cbranch_execnz .LBB63_195
; %bb.196:
	s_or_b32 exec_lo, exec_lo, s3
	v_mov_b32_e32 v7, 0
	ds_load_b128 v[7:10], v7 offset:672
	s_waitcnt lgkmcnt(0)
	v_mul_f64 v[11:12], v[1:2], v[9:10]
	v_mul_f64 v[15:16], v[3:4], v[9:10]
	s_delay_alu instid0(VALU_DEP_2) | instskip(NEXT) | instid1(VALU_DEP_2)
	v_fma_f64 v[9:10], v[3:4], v[7:8], -v[11:12]
	v_fma_f64 v[11:12], v[1:2], v[7:8], v[15:16]
	scratch_store_b128 off, v[9:12], off offset:672
.LBB63_197:
	s_or_b32 exec_lo, exec_lo, s2
	s_waitcnt_vscnt null, 0x0
	s_barrier
	buffer_gl0_inv
	scratch_load_b32 v1, off, off offset:1100 ; 4-byte Folded Reload
	s_mov_b32 s2, exec_lo
	s_waitcnt vmcnt(0)
	scratch_load_b128 v[1:4], v1, off
	s_waitcnt vmcnt(0)
	ds_store_b128 v5, v[1:4]
	s_waitcnt lgkmcnt(0)
	s_barrier
	buffer_gl0_inv
	v_cmpx_gt_u32_e32 43, v178
	s_cbranch_execz .LBB63_201
; %bb.198:
	v_mov_b32_e32 v1, 0
	v_dual_mov_b32 v2, 0 :: v_dual_add_nc_u32 v7, -1, v178
	v_or_b32_e32 v8, 0x400, v13
	v_or_b32_e32 v9, 8, v14
	s_mov_b32 s3, 0
	s_delay_alu instid0(VALU_DEP_3)
	v_dual_mov_b32 v4, v2 :: v_dual_mov_b32 v3, v1
	.p2align	6
.LBB63_199:                             ; =>This Inner Loop Header: Depth=1
	scratch_load_b128 v[15:18], v9, off offset:-8
	ds_load_b128 v[19:22], v8
	v_add_nc_u32_e32 v7, 1, v7
	v_add_nc_u32_e32 v8, 16, v8
	;; [unrolled: 1-line block ×3, first 2 shown]
	s_delay_alu instid0(VALU_DEP_3) | instskip(SKIP_4) | instid1(VALU_DEP_2)
	v_cmp_lt_u32_e32 vcc_lo, 41, v7
	s_or_b32 s3, vcc_lo, s3
	s_waitcnt vmcnt(0) lgkmcnt(0)
	v_mul_f64 v[10:11], v[21:22], v[17:18]
	v_mul_f64 v[17:18], v[19:20], v[17:18]
	v_fma_f64 v[10:11], v[19:20], v[15:16], -v[10:11]
	s_delay_alu instid0(VALU_DEP_2) | instskip(NEXT) | instid1(VALU_DEP_2)
	v_fma_f64 v[15:16], v[21:22], v[15:16], v[17:18]
	v_add_f64 v[3:4], v[3:4], v[10:11]
	s_delay_alu instid0(VALU_DEP_2)
	v_add_f64 v[1:2], v[1:2], v[15:16]
	s_and_not1_b32 exec_lo, exec_lo, s3
	s_cbranch_execnz .LBB63_199
; %bb.200:
	s_or_b32 exec_lo, exec_lo, s3
	v_mov_b32_e32 v7, 0
	ds_load_b128 v[7:10], v7 offset:688
	s_waitcnt lgkmcnt(0)
	v_mul_f64 v[11:12], v[1:2], v[9:10]
	v_mul_f64 v[15:16], v[3:4], v[9:10]
	s_delay_alu instid0(VALU_DEP_2) | instskip(NEXT) | instid1(VALU_DEP_2)
	v_fma_f64 v[9:10], v[3:4], v[7:8], -v[11:12]
	v_fma_f64 v[11:12], v[1:2], v[7:8], v[15:16]
	scratch_store_b128 off, v[9:12], off offset:688
.LBB63_201:
	s_or_b32 exec_lo, exec_lo, s2
	s_waitcnt_vscnt null, 0x0
	s_barrier
	buffer_gl0_inv
	scratch_load_b32 v1, off, off offset:1096 ; 4-byte Folded Reload
	s_mov_b32 s2, exec_lo
	s_waitcnt vmcnt(0)
	scratch_load_b128 v[1:4], v1, off
	s_waitcnt vmcnt(0)
	ds_store_b128 v5, v[1:4]
	s_waitcnt lgkmcnt(0)
	s_barrier
	buffer_gl0_inv
	v_cmpx_gt_u32_e32 44, v178
	s_cbranch_execz .LBB63_205
; %bb.202:
	v_mov_b32_e32 v1, 0
	v_dual_mov_b32 v2, 0 :: v_dual_add_nc_u32 v7, -1, v178
	v_or_b32_e32 v8, 0x400, v13
	v_or_b32_e32 v9, 8, v14
	s_mov_b32 s3, 0
	s_delay_alu instid0(VALU_DEP_3)
	v_dual_mov_b32 v4, v2 :: v_dual_mov_b32 v3, v1
	.p2align	6
.LBB63_203:                             ; =>This Inner Loop Header: Depth=1
	scratch_load_b128 v[15:18], v9, off offset:-8
	ds_load_b128 v[19:22], v8
	v_add_nc_u32_e32 v7, 1, v7
	v_add_nc_u32_e32 v8, 16, v8
	;; [unrolled: 1-line block ×3, first 2 shown]
	s_delay_alu instid0(VALU_DEP_3) | instskip(SKIP_4) | instid1(VALU_DEP_2)
	v_cmp_lt_u32_e32 vcc_lo, 42, v7
	s_or_b32 s3, vcc_lo, s3
	s_waitcnt vmcnt(0) lgkmcnt(0)
	v_mul_f64 v[10:11], v[21:22], v[17:18]
	v_mul_f64 v[17:18], v[19:20], v[17:18]
	v_fma_f64 v[10:11], v[19:20], v[15:16], -v[10:11]
	s_delay_alu instid0(VALU_DEP_2) | instskip(NEXT) | instid1(VALU_DEP_2)
	v_fma_f64 v[15:16], v[21:22], v[15:16], v[17:18]
	v_add_f64 v[3:4], v[3:4], v[10:11]
	s_delay_alu instid0(VALU_DEP_2)
	v_add_f64 v[1:2], v[1:2], v[15:16]
	s_and_not1_b32 exec_lo, exec_lo, s3
	s_cbranch_execnz .LBB63_203
; %bb.204:
	s_or_b32 exec_lo, exec_lo, s3
	v_mov_b32_e32 v7, 0
	ds_load_b128 v[7:10], v7 offset:704
	s_waitcnt lgkmcnt(0)
	v_mul_f64 v[11:12], v[1:2], v[9:10]
	v_mul_f64 v[15:16], v[3:4], v[9:10]
	s_delay_alu instid0(VALU_DEP_2) | instskip(NEXT) | instid1(VALU_DEP_2)
	v_fma_f64 v[9:10], v[3:4], v[7:8], -v[11:12]
	v_fma_f64 v[11:12], v[1:2], v[7:8], v[15:16]
	scratch_store_b128 off, v[9:12], off offset:704
.LBB63_205:
	s_or_b32 exec_lo, exec_lo, s2
	s_waitcnt_vscnt null, 0x0
	s_barrier
	buffer_gl0_inv
	scratch_load_b32 v1, off, off offset:1092 ; 4-byte Folded Reload
	s_mov_b32 s2, exec_lo
	s_waitcnt vmcnt(0)
	scratch_load_b128 v[1:4], v1, off
	s_waitcnt vmcnt(0)
	ds_store_b128 v5, v[1:4]
	s_waitcnt lgkmcnt(0)
	s_barrier
	buffer_gl0_inv
	v_cmpx_gt_u32_e32 45, v178
	s_cbranch_execz .LBB63_209
; %bb.206:
	v_mov_b32_e32 v1, 0
	v_dual_mov_b32 v2, 0 :: v_dual_add_nc_u32 v7, -1, v178
	v_or_b32_e32 v8, 0x400, v13
	v_or_b32_e32 v9, 8, v14
	s_mov_b32 s3, 0
	s_delay_alu instid0(VALU_DEP_3)
	v_dual_mov_b32 v4, v2 :: v_dual_mov_b32 v3, v1
	.p2align	6
.LBB63_207:                             ; =>This Inner Loop Header: Depth=1
	scratch_load_b128 v[15:18], v9, off offset:-8
	ds_load_b128 v[19:22], v8
	v_add_nc_u32_e32 v7, 1, v7
	v_add_nc_u32_e32 v8, 16, v8
	;; [unrolled: 1-line block ×3, first 2 shown]
	s_delay_alu instid0(VALU_DEP_3) | instskip(SKIP_4) | instid1(VALU_DEP_2)
	v_cmp_lt_u32_e32 vcc_lo, 43, v7
	s_or_b32 s3, vcc_lo, s3
	s_waitcnt vmcnt(0) lgkmcnt(0)
	v_mul_f64 v[10:11], v[21:22], v[17:18]
	v_mul_f64 v[17:18], v[19:20], v[17:18]
	v_fma_f64 v[10:11], v[19:20], v[15:16], -v[10:11]
	s_delay_alu instid0(VALU_DEP_2) | instskip(NEXT) | instid1(VALU_DEP_2)
	v_fma_f64 v[15:16], v[21:22], v[15:16], v[17:18]
	v_add_f64 v[3:4], v[3:4], v[10:11]
	s_delay_alu instid0(VALU_DEP_2)
	v_add_f64 v[1:2], v[1:2], v[15:16]
	s_and_not1_b32 exec_lo, exec_lo, s3
	s_cbranch_execnz .LBB63_207
; %bb.208:
	s_or_b32 exec_lo, exec_lo, s3
	v_mov_b32_e32 v7, 0
	ds_load_b128 v[7:10], v7 offset:720
	s_waitcnt lgkmcnt(0)
	v_mul_f64 v[11:12], v[1:2], v[9:10]
	v_mul_f64 v[15:16], v[3:4], v[9:10]
	s_delay_alu instid0(VALU_DEP_2) | instskip(NEXT) | instid1(VALU_DEP_2)
	v_fma_f64 v[9:10], v[3:4], v[7:8], -v[11:12]
	v_fma_f64 v[11:12], v[1:2], v[7:8], v[15:16]
	scratch_store_b128 off, v[9:12], off offset:720
.LBB63_209:
	s_or_b32 exec_lo, exec_lo, s2
	s_waitcnt_vscnt null, 0x0
	s_barrier
	buffer_gl0_inv
	scratch_load_b32 v1, off, off offset:1088 ; 4-byte Folded Reload
	s_mov_b32 s2, exec_lo
	s_waitcnt vmcnt(0)
	scratch_load_b128 v[1:4], v1, off
	s_waitcnt vmcnt(0)
	ds_store_b128 v5, v[1:4]
	s_waitcnt lgkmcnt(0)
	s_barrier
	buffer_gl0_inv
	v_cmpx_gt_u32_e32 46, v178
	s_cbranch_execz .LBB63_213
; %bb.210:
	v_mov_b32_e32 v1, 0
	v_dual_mov_b32 v2, 0 :: v_dual_add_nc_u32 v7, -1, v178
	v_or_b32_e32 v8, 0x400, v13
	v_or_b32_e32 v9, 8, v14
	s_mov_b32 s3, 0
	s_delay_alu instid0(VALU_DEP_3)
	v_dual_mov_b32 v4, v2 :: v_dual_mov_b32 v3, v1
	.p2align	6
.LBB63_211:                             ; =>This Inner Loop Header: Depth=1
	scratch_load_b128 v[15:18], v9, off offset:-8
	ds_load_b128 v[19:22], v8
	v_add_nc_u32_e32 v7, 1, v7
	v_add_nc_u32_e32 v8, 16, v8
	;; [unrolled: 1-line block ×3, first 2 shown]
	s_delay_alu instid0(VALU_DEP_3) | instskip(SKIP_4) | instid1(VALU_DEP_2)
	v_cmp_lt_u32_e32 vcc_lo, 44, v7
	s_or_b32 s3, vcc_lo, s3
	s_waitcnt vmcnt(0) lgkmcnt(0)
	v_mul_f64 v[10:11], v[21:22], v[17:18]
	v_mul_f64 v[17:18], v[19:20], v[17:18]
	v_fma_f64 v[10:11], v[19:20], v[15:16], -v[10:11]
	s_delay_alu instid0(VALU_DEP_2) | instskip(NEXT) | instid1(VALU_DEP_2)
	v_fma_f64 v[15:16], v[21:22], v[15:16], v[17:18]
	v_add_f64 v[3:4], v[3:4], v[10:11]
	s_delay_alu instid0(VALU_DEP_2)
	v_add_f64 v[1:2], v[1:2], v[15:16]
	s_and_not1_b32 exec_lo, exec_lo, s3
	s_cbranch_execnz .LBB63_211
; %bb.212:
	s_or_b32 exec_lo, exec_lo, s3
	v_mov_b32_e32 v7, 0
	ds_load_b128 v[7:10], v7 offset:736
	s_waitcnt lgkmcnt(0)
	v_mul_f64 v[11:12], v[1:2], v[9:10]
	v_mul_f64 v[15:16], v[3:4], v[9:10]
	s_delay_alu instid0(VALU_DEP_2) | instskip(NEXT) | instid1(VALU_DEP_2)
	v_fma_f64 v[9:10], v[3:4], v[7:8], -v[11:12]
	v_fma_f64 v[11:12], v[1:2], v[7:8], v[15:16]
	scratch_store_b128 off, v[9:12], off offset:736
.LBB63_213:
	s_or_b32 exec_lo, exec_lo, s2
	s_waitcnt_vscnt null, 0x0
	s_barrier
	buffer_gl0_inv
	scratch_load_b32 v1, off, off offset:1084 ; 4-byte Folded Reload
	s_mov_b32 s2, exec_lo
	s_waitcnt vmcnt(0)
	scratch_load_b128 v[1:4], v1, off
	s_waitcnt vmcnt(0)
	ds_store_b128 v5, v[1:4]
	s_waitcnt lgkmcnt(0)
	s_barrier
	buffer_gl0_inv
	v_cmpx_gt_u32_e32 47, v178
	s_cbranch_execz .LBB63_217
; %bb.214:
	v_mov_b32_e32 v1, 0
	v_dual_mov_b32 v2, 0 :: v_dual_add_nc_u32 v7, -1, v178
	v_or_b32_e32 v8, 0x400, v13
	v_or_b32_e32 v9, 8, v14
	s_mov_b32 s3, 0
	s_delay_alu instid0(VALU_DEP_3)
	v_dual_mov_b32 v4, v2 :: v_dual_mov_b32 v3, v1
	.p2align	6
.LBB63_215:                             ; =>This Inner Loop Header: Depth=1
	scratch_load_b128 v[15:18], v9, off offset:-8
	ds_load_b128 v[19:22], v8
	v_add_nc_u32_e32 v7, 1, v7
	v_add_nc_u32_e32 v8, 16, v8
	;; [unrolled: 1-line block ×3, first 2 shown]
	s_delay_alu instid0(VALU_DEP_3) | instskip(SKIP_4) | instid1(VALU_DEP_2)
	v_cmp_lt_u32_e32 vcc_lo, 45, v7
	s_or_b32 s3, vcc_lo, s3
	s_waitcnt vmcnt(0) lgkmcnt(0)
	v_mul_f64 v[10:11], v[21:22], v[17:18]
	v_mul_f64 v[17:18], v[19:20], v[17:18]
	v_fma_f64 v[10:11], v[19:20], v[15:16], -v[10:11]
	s_delay_alu instid0(VALU_DEP_2) | instskip(NEXT) | instid1(VALU_DEP_2)
	v_fma_f64 v[15:16], v[21:22], v[15:16], v[17:18]
	v_add_f64 v[3:4], v[3:4], v[10:11]
	s_delay_alu instid0(VALU_DEP_2)
	v_add_f64 v[1:2], v[1:2], v[15:16]
	s_and_not1_b32 exec_lo, exec_lo, s3
	s_cbranch_execnz .LBB63_215
; %bb.216:
	s_or_b32 exec_lo, exec_lo, s3
	v_mov_b32_e32 v7, 0
	ds_load_b128 v[7:10], v7 offset:752
	s_waitcnt lgkmcnt(0)
	v_mul_f64 v[11:12], v[1:2], v[9:10]
	v_mul_f64 v[15:16], v[3:4], v[9:10]
	s_delay_alu instid0(VALU_DEP_2) | instskip(NEXT) | instid1(VALU_DEP_2)
	v_fma_f64 v[9:10], v[3:4], v[7:8], -v[11:12]
	v_fma_f64 v[11:12], v[1:2], v[7:8], v[15:16]
	scratch_store_b128 off, v[9:12], off offset:752
.LBB63_217:
	s_or_b32 exec_lo, exec_lo, s2
	s_waitcnt_vscnt null, 0x0
	s_barrier
	buffer_gl0_inv
	scratch_load_b32 v1, off, off offset:1080 ; 4-byte Folded Reload
	s_mov_b32 s2, exec_lo
	s_waitcnt vmcnt(0)
	scratch_load_b128 v[1:4], v1, off
	s_waitcnt vmcnt(0)
	ds_store_b128 v5, v[1:4]
	s_waitcnt lgkmcnt(0)
	s_barrier
	buffer_gl0_inv
	v_cmpx_gt_u32_e32 48, v178
	s_cbranch_execz .LBB63_221
; %bb.218:
	v_mov_b32_e32 v1, 0
	v_dual_mov_b32 v2, 0 :: v_dual_add_nc_u32 v7, -1, v178
	v_or_b32_e32 v8, 0x400, v13
	v_or_b32_e32 v9, 8, v14
	s_mov_b32 s3, 0
	s_delay_alu instid0(VALU_DEP_3)
	v_dual_mov_b32 v4, v2 :: v_dual_mov_b32 v3, v1
	.p2align	6
.LBB63_219:                             ; =>This Inner Loop Header: Depth=1
	scratch_load_b128 v[15:18], v9, off offset:-8
	ds_load_b128 v[19:22], v8
	v_add_nc_u32_e32 v7, 1, v7
	v_add_nc_u32_e32 v8, 16, v8
	;; [unrolled: 1-line block ×3, first 2 shown]
	s_delay_alu instid0(VALU_DEP_3) | instskip(SKIP_4) | instid1(VALU_DEP_2)
	v_cmp_lt_u32_e32 vcc_lo, 46, v7
	s_or_b32 s3, vcc_lo, s3
	s_waitcnt vmcnt(0) lgkmcnt(0)
	v_mul_f64 v[10:11], v[21:22], v[17:18]
	v_mul_f64 v[17:18], v[19:20], v[17:18]
	v_fma_f64 v[10:11], v[19:20], v[15:16], -v[10:11]
	s_delay_alu instid0(VALU_DEP_2) | instskip(NEXT) | instid1(VALU_DEP_2)
	v_fma_f64 v[15:16], v[21:22], v[15:16], v[17:18]
	v_add_f64 v[3:4], v[3:4], v[10:11]
	s_delay_alu instid0(VALU_DEP_2)
	v_add_f64 v[1:2], v[1:2], v[15:16]
	s_and_not1_b32 exec_lo, exec_lo, s3
	s_cbranch_execnz .LBB63_219
; %bb.220:
	s_or_b32 exec_lo, exec_lo, s3
	v_mov_b32_e32 v7, 0
	ds_load_b128 v[7:10], v7 offset:768
	s_waitcnt lgkmcnt(0)
	v_mul_f64 v[11:12], v[1:2], v[9:10]
	v_mul_f64 v[15:16], v[3:4], v[9:10]
	s_delay_alu instid0(VALU_DEP_2) | instskip(NEXT) | instid1(VALU_DEP_2)
	v_fma_f64 v[9:10], v[3:4], v[7:8], -v[11:12]
	v_fma_f64 v[11:12], v[1:2], v[7:8], v[15:16]
	scratch_store_b128 off, v[9:12], off offset:768
.LBB63_221:
	s_or_b32 exec_lo, exec_lo, s2
	s_waitcnt_vscnt null, 0x0
	s_barrier
	buffer_gl0_inv
	scratch_load_b32 v1, off, off offset:1076 ; 4-byte Folded Reload
	s_mov_b32 s2, exec_lo
	s_waitcnt vmcnt(0)
	scratch_load_b128 v[1:4], v1, off
	s_waitcnt vmcnt(0)
	ds_store_b128 v5, v[1:4]
	s_waitcnt lgkmcnt(0)
	s_barrier
	buffer_gl0_inv
	v_cmpx_gt_u32_e32 49, v178
	s_cbranch_execz .LBB63_225
; %bb.222:
	v_mov_b32_e32 v1, 0
	v_dual_mov_b32 v2, 0 :: v_dual_add_nc_u32 v7, -1, v178
	v_or_b32_e32 v8, 0x400, v13
	v_or_b32_e32 v9, 8, v14
	s_mov_b32 s3, 0
	s_delay_alu instid0(VALU_DEP_3)
	v_dual_mov_b32 v4, v2 :: v_dual_mov_b32 v3, v1
	.p2align	6
.LBB63_223:                             ; =>This Inner Loop Header: Depth=1
	scratch_load_b128 v[15:18], v9, off offset:-8
	ds_load_b128 v[19:22], v8
	v_add_nc_u32_e32 v7, 1, v7
	v_add_nc_u32_e32 v8, 16, v8
	;; [unrolled: 1-line block ×3, first 2 shown]
	s_delay_alu instid0(VALU_DEP_3) | instskip(SKIP_4) | instid1(VALU_DEP_2)
	v_cmp_lt_u32_e32 vcc_lo, 47, v7
	s_or_b32 s3, vcc_lo, s3
	s_waitcnt vmcnt(0) lgkmcnt(0)
	v_mul_f64 v[10:11], v[21:22], v[17:18]
	v_mul_f64 v[17:18], v[19:20], v[17:18]
	v_fma_f64 v[10:11], v[19:20], v[15:16], -v[10:11]
	s_delay_alu instid0(VALU_DEP_2) | instskip(NEXT) | instid1(VALU_DEP_2)
	v_fma_f64 v[15:16], v[21:22], v[15:16], v[17:18]
	v_add_f64 v[3:4], v[3:4], v[10:11]
	s_delay_alu instid0(VALU_DEP_2)
	v_add_f64 v[1:2], v[1:2], v[15:16]
	s_and_not1_b32 exec_lo, exec_lo, s3
	s_cbranch_execnz .LBB63_223
; %bb.224:
	s_or_b32 exec_lo, exec_lo, s3
	v_mov_b32_e32 v7, 0
	ds_load_b128 v[7:10], v7 offset:784
	s_waitcnt lgkmcnt(0)
	v_mul_f64 v[11:12], v[1:2], v[9:10]
	v_mul_f64 v[15:16], v[3:4], v[9:10]
	s_delay_alu instid0(VALU_DEP_2) | instskip(NEXT) | instid1(VALU_DEP_2)
	v_fma_f64 v[9:10], v[3:4], v[7:8], -v[11:12]
	v_fma_f64 v[11:12], v[1:2], v[7:8], v[15:16]
	scratch_store_b128 off, v[9:12], off offset:784
.LBB63_225:
	s_or_b32 exec_lo, exec_lo, s2
	s_waitcnt_vscnt null, 0x0
	s_barrier
	buffer_gl0_inv
	scratch_load_b32 v1, off, off offset:1072 ; 4-byte Folded Reload
	s_mov_b32 s2, exec_lo
	s_waitcnt vmcnt(0)
	scratch_load_b128 v[1:4], v1, off
	s_waitcnt vmcnt(0)
	ds_store_b128 v5, v[1:4]
	s_waitcnt lgkmcnt(0)
	s_barrier
	buffer_gl0_inv
	v_cmpx_gt_u32_e32 50, v178
	s_cbranch_execz .LBB63_229
; %bb.226:
	v_mov_b32_e32 v1, 0
	v_dual_mov_b32 v2, 0 :: v_dual_add_nc_u32 v7, -1, v178
	v_or_b32_e32 v8, 0x400, v13
	v_or_b32_e32 v9, 8, v14
	s_mov_b32 s3, 0
	s_delay_alu instid0(VALU_DEP_3)
	v_dual_mov_b32 v4, v2 :: v_dual_mov_b32 v3, v1
	.p2align	6
.LBB63_227:                             ; =>This Inner Loop Header: Depth=1
	scratch_load_b128 v[15:18], v9, off offset:-8
	ds_load_b128 v[19:22], v8
	v_add_nc_u32_e32 v7, 1, v7
	v_add_nc_u32_e32 v8, 16, v8
	;; [unrolled: 1-line block ×3, first 2 shown]
	s_delay_alu instid0(VALU_DEP_3) | instskip(SKIP_4) | instid1(VALU_DEP_2)
	v_cmp_lt_u32_e32 vcc_lo, 48, v7
	s_or_b32 s3, vcc_lo, s3
	s_waitcnt vmcnt(0) lgkmcnt(0)
	v_mul_f64 v[10:11], v[21:22], v[17:18]
	v_mul_f64 v[17:18], v[19:20], v[17:18]
	v_fma_f64 v[10:11], v[19:20], v[15:16], -v[10:11]
	s_delay_alu instid0(VALU_DEP_2) | instskip(NEXT) | instid1(VALU_DEP_2)
	v_fma_f64 v[15:16], v[21:22], v[15:16], v[17:18]
	v_add_f64 v[3:4], v[3:4], v[10:11]
	s_delay_alu instid0(VALU_DEP_2)
	v_add_f64 v[1:2], v[1:2], v[15:16]
	s_and_not1_b32 exec_lo, exec_lo, s3
	s_cbranch_execnz .LBB63_227
; %bb.228:
	s_or_b32 exec_lo, exec_lo, s3
	v_mov_b32_e32 v7, 0
	ds_load_b128 v[7:10], v7 offset:800
	s_waitcnt lgkmcnt(0)
	v_mul_f64 v[11:12], v[1:2], v[9:10]
	v_mul_f64 v[15:16], v[3:4], v[9:10]
	s_delay_alu instid0(VALU_DEP_2) | instskip(NEXT) | instid1(VALU_DEP_2)
	v_fma_f64 v[9:10], v[3:4], v[7:8], -v[11:12]
	v_fma_f64 v[11:12], v[1:2], v[7:8], v[15:16]
	scratch_store_b128 off, v[9:12], off offset:800
.LBB63_229:
	s_or_b32 exec_lo, exec_lo, s2
	s_waitcnt_vscnt null, 0x0
	s_barrier
	buffer_gl0_inv
	scratch_load_b32 v1, off, off offset:1068 ; 4-byte Folded Reload
	s_mov_b32 s2, exec_lo
	s_waitcnt vmcnt(0)
	scratch_load_b128 v[1:4], v1, off
	s_waitcnt vmcnt(0)
	ds_store_b128 v5, v[1:4]
	s_waitcnt lgkmcnt(0)
	s_barrier
	buffer_gl0_inv
	v_cmpx_gt_u32_e32 51, v178
	s_cbranch_execz .LBB63_233
; %bb.230:
	v_mov_b32_e32 v1, 0
	v_dual_mov_b32 v2, 0 :: v_dual_add_nc_u32 v7, -1, v178
	v_or_b32_e32 v8, 0x400, v13
	v_or_b32_e32 v9, 8, v14
	s_mov_b32 s3, 0
	s_delay_alu instid0(VALU_DEP_3)
	v_dual_mov_b32 v4, v2 :: v_dual_mov_b32 v3, v1
	.p2align	6
.LBB63_231:                             ; =>This Inner Loop Header: Depth=1
	scratch_load_b128 v[15:18], v9, off offset:-8
	ds_load_b128 v[19:22], v8
	v_add_nc_u32_e32 v7, 1, v7
	v_add_nc_u32_e32 v8, 16, v8
	v_add_nc_u32_e32 v9, 16, v9
	s_delay_alu instid0(VALU_DEP_3) | instskip(SKIP_4) | instid1(VALU_DEP_2)
	v_cmp_lt_u32_e32 vcc_lo, 49, v7
	s_or_b32 s3, vcc_lo, s3
	s_waitcnt vmcnt(0) lgkmcnt(0)
	v_mul_f64 v[10:11], v[21:22], v[17:18]
	v_mul_f64 v[17:18], v[19:20], v[17:18]
	v_fma_f64 v[10:11], v[19:20], v[15:16], -v[10:11]
	s_delay_alu instid0(VALU_DEP_2) | instskip(NEXT) | instid1(VALU_DEP_2)
	v_fma_f64 v[15:16], v[21:22], v[15:16], v[17:18]
	v_add_f64 v[3:4], v[3:4], v[10:11]
	s_delay_alu instid0(VALU_DEP_2)
	v_add_f64 v[1:2], v[1:2], v[15:16]
	s_and_not1_b32 exec_lo, exec_lo, s3
	s_cbranch_execnz .LBB63_231
; %bb.232:
	s_or_b32 exec_lo, exec_lo, s3
	v_mov_b32_e32 v7, 0
	ds_load_b128 v[7:10], v7 offset:816
	s_waitcnt lgkmcnt(0)
	v_mul_f64 v[11:12], v[1:2], v[9:10]
	v_mul_f64 v[15:16], v[3:4], v[9:10]
	s_delay_alu instid0(VALU_DEP_2) | instskip(NEXT) | instid1(VALU_DEP_2)
	v_fma_f64 v[9:10], v[3:4], v[7:8], -v[11:12]
	v_fma_f64 v[11:12], v[1:2], v[7:8], v[15:16]
	scratch_store_b128 off, v[9:12], off offset:816
.LBB63_233:
	s_or_b32 exec_lo, exec_lo, s2
	s_waitcnt_vscnt null, 0x0
	s_barrier
	buffer_gl0_inv
	scratch_load_b32 v1, off, off offset:1064 ; 4-byte Folded Reload
	s_mov_b32 s2, exec_lo
	s_waitcnt vmcnt(0)
	scratch_load_b128 v[1:4], v1, off
	s_waitcnt vmcnt(0)
	ds_store_b128 v5, v[1:4]
	s_waitcnt lgkmcnt(0)
	s_barrier
	buffer_gl0_inv
	v_cmpx_gt_u32_e32 52, v178
	s_cbranch_execz .LBB63_237
; %bb.234:
	v_mov_b32_e32 v1, 0
	v_dual_mov_b32 v2, 0 :: v_dual_add_nc_u32 v7, -1, v178
	v_or_b32_e32 v8, 0x400, v13
	v_or_b32_e32 v9, 8, v14
	s_mov_b32 s3, 0
	s_delay_alu instid0(VALU_DEP_3)
	v_dual_mov_b32 v4, v2 :: v_dual_mov_b32 v3, v1
	.p2align	6
.LBB63_235:                             ; =>This Inner Loop Header: Depth=1
	scratch_load_b128 v[15:18], v9, off offset:-8
	ds_load_b128 v[19:22], v8
	v_add_nc_u32_e32 v7, 1, v7
	v_add_nc_u32_e32 v8, 16, v8
	v_add_nc_u32_e32 v9, 16, v9
	s_delay_alu instid0(VALU_DEP_3) | instskip(SKIP_4) | instid1(VALU_DEP_2)
	v_cmp_lt_u32_e32 vcc_lo, 50, v7
	s_or_b32 s3, vcc_lo, s3
	s_waitcnt vmcnt(0) lgkmcnt(0)
	v_mul_f64 v[10:11], v[21:22], v[17:18]
	v_mul_f64 v[17:18], v[19:20], v[17:18]
	v_fma_f64 v[10:11], v[19:20], v[15:16], -v[10:11]
	s_delay_alu instid0(VALU_DEP_2) | instskip(NEXT) | instid1(VALU_DEP_2)
	v_fma_f64 v[15:16], v[21:22], v[15:16], v[17:18]
	v_add_f64 v[3:4], v[3:4], v[10:11]
	s_delay_alu instid0(VALU_DEP_2)
	v_add_f64 v[1:2], v[1:2], v[15:16]
	s_and_not1_b32 exec_lo, exec_lo, s3
	s_cbranch_execnz .LBB63_235
; %bb.236:
	s_or_b32 exec_lo, exec_lo, s3
	v_mov_b32_e32 v7, 0
	ds_load_b128 v[7:10], v7 offset:832
	s_waitcnt lgkmcnt(0)
	v_mul_f64 v[11:12], v[1:2], v[9:10]
	v_mul_f64 v[15:16], v[3:4], v[9:10]
	s_delay_alu instid0(VALU_DEP_2) | instskip(NEXT) | instid1(VALU_DEP_2)
	v_fma_f64 v[9:10], v[3:4], v[7:8], -v[11:12]
	v_fma_f64 v[11:12], v[1:2], v[7:8], v[15:16]
	scratch_store_b128 off, v[9:12], off offset:832
.LBB63_237:
	s_or_b32 exec_lo, exec_lo, s2
	s_waitcnt_vscnt null, 0x0
	s_barrier
	buffer_gl0_inv
	scratch_load_b32 v1, off, off offset:1060 ; 4-byte Folded Reload
	s_mov_b32 s2, exec_lo
	s_waitcnt vmcnt(0)
	scratch_load_b128 v[1:4], v1, off
	s_waitcnt vmcnt(0)
	ds_store_b128 v5, v[1:4]
	s_waitcnt lgkmcnt(0)
	s_barrier
	buffer_gl0_inv
	v_cmpx_gt_u32_e32 53, v178
	s_cbranch_execz .LBB63_241
; %bb.238:
	v_mov_b32_e32 v1, 0
	v_dual_mov_b32 v2, 0 :: v_dual_add_nc_u32 v7, -1, v178
	v_or_b32_e32 v8, 0x400, v13
	v_or_b32_e32 v9, 8, v14
	s_mov_b32 s3, 0
	s_delay_alu instid0(VALU_DEP_3)
	v_dual_mov_b32 v4, v2 :: v_dual_mov_b32 v3, v1
	.p2align	6
.LBB63_239:                             ; =>This Inner Loop Header: Depth=1
	scratch_load_b128 v[15:18], v9, off offset:-8
	ds_load_b128 v[19:22], v8
	v_add_nc_u32_e32 v7, 1, v7
	v_add_nc_u32_e32 v8, 16, v8
	v_add_nc_u32_e32 v9, 16, v9
	s_delay_alu instid0(VALU_DEP_3) | instskip(SKIP_4) | instid1(VALU_DEP_2)
	v_cmp_lt_u32_e32 vcc_lo, 51, v7
	s_or_b32 s3, vcc_lo, s3
	s_waitcnt vmcnt(0) lgkmcnt(0)
	v_mul_f64 v[10:11], v[21:22], v[17:18]
	v_mul_f64 v[17:18], v[19:20], v[17:18]
	v_fma_f64 v[10:11], v[19:20], v[15:16], -v[10:11]
	s_delay_alu instid0(VALU_DEP_2) | instskip(NEXT) | instid1(VALU_DEP_2)
	v_fma_f64 v[15:16], v[21:22], v[15:16], v[17:18]
	v_add_f64 v[3:4], v[3:4], v[10:11]
	s_delay_alu instid0(VALU_DEP_2)
	v_add_f64 v[1:2], v[1:2], v[15:16]
	s_and_not1_b32 exec_lo, exec_lo, s3
	s_cbranch_execnz .LBB63_239
; %bb.240:
	s_or_b32 exec_lo, exec_lo, s3
	v_mov_b32_e32 v7, 0
	ds_load_b128 v[7:10], v7 offset:848
	s_waitcnt lgkmcnt(0)
	v_mul_f64 v[11:12], v[1:2], v[9:10]
	v_mul_f64 v[15:16], v[3:4], v[9:10]
	s_delay_alu instid0(VALU_DEP_2) | instskip(NEXT) | instid1(VALU_DEP_2)
	v_fma_f64 v[9:10], v[3:4], v[7:8], -v[11:12]
	v_fma_f64 v[11:12], v[1:2], v[7:8], v[15:16]
	scratch_store_b128 off, v[9:12], off offset:848
.LBB63_241:
	s_or_b32 exec_lo, exec_lo, s2
	s_waitcnt_vscnt null, 0x0
	s_barrier
	buffer_gl0_inv
	scratch_load_b32 v1, off, off offset:1056 ; 4-byte Folded Reload
	s_mov_b32 s2, exec_lo
	s_waitcnt vmcnt(0)
	scratch_load_b128 v[1:4], v1, off
	s_waitcnt vmcnt(0)
	ds_store_b128 v5, v[1:4]
	s_waitcnt lgkmcnt(0)
	s_barrier
	buffer_gl0_inv
	v_cmpx_gt_u32_e32 54, v178
	s_cbranch_execz .LBB63_245
; %bb.242:
	v_mov_b32_e32 v1, 0
	v_dual_mov_b32 v2, 0 :: v_dual_add_nc_u32 v7, -1, v178
	v_or_b32_e32 v8, 0x400, v13
	v_or_b32_e32 v9, 8, v14
	s_mov_b32 s3, 0
	s_delay_alu instid0(VALU_DEP_3)
	v_dual_mov_b32 v4, v2 :: v_dual_mov_b32 v3, v1
	.p2align	6
.LBB63_243:                             ; =>This Inner Loop Header: Depth=1
	scratch_load_b128 v[15:18], v9, off offset:-8
	ds_load_b128 v[19:22], v8
	v_add_nc_u32_e32 v7, 1, v7
	v_add_nc_u32_e32 v8, 16, v8
	;; [unrolled: 1-line block ×3, first 2 shown]
	s_delay_alu instid0(VALU_DEP_3) | instskip(SKIP_4) | instid1(VALU_DEP_2)
	v_cmp_lt_u32_e32 vcc_lo, 52, v7
	s_or_b32 s3, vcc_lo, s3
	s_waitcnt vmcnt(0) lgkmcnt(0)
	v_mul_f64 v[10:11], v[21:22], v[17:18]
	v_mul_f64 v[17:18], v[19:20], v[17:18]
	v_fma_f64 v[10:11], v[19:20], v[15:16], -v[10:11]
	s_delay_alu instid0(VALU_DEP_2) | instskip(NEXT) | instid1(VALU_DEP_2)
	v_fma_f64 v[15:16], v[21:22], v[15:16], v[17:18]
	v_add_f64 v[3:4], v[3:4], v[10:11]
	s_delay_alu instid0(VALU_DEP_2)
	v_add_f64 v[1:2], v[1:2], v[15:16]
	s_and_not1_b32 exec_lo, exec_lo, s3
	s_cbranch_execnz .LBB63_243
; %bb.244:
	s_or_b32 exec_lo, exec_lo, s3
	v_mov_b32_e32 v7, 0
	ds_load_b128 v[7:10], v7 offset:864
	s_waitcnt lgkmcnt(0)
	v_mul_f64 v[11:12], v[1:2], v[9:10]
	v_mul_f64 v[15:16], v[3:4], v[9:10]
	s_delay_alu instid0(VALU_DEP_2) | instskip(NEXT) | instid1(VALU_DEP_2)
	v_fma_f64 v[9:10], v[3:4], v[7:8], -v[11:12]
	v_fma_f64 v[11:12], v[1:2], v[7:8], v[15:16]
	scratch_store_b128 off, v[9:12], off offset:864
.LBB63_245:
	s_or_b32 exec_lo, exec_lo, s2
	s_waitcnt_vscnt null, 0x0
	s_barrier
	buffer_gl0_inv
	scratch_load_b32 v1, off, off offset:1052 ; 4-byte Folded Reload
	s_mov_b32 s2, exec_lo
	s_waitcnt vmcnt(0)
	scratch_load_b128 v[1:4], v1, off
	s_waitcnt vmcnt(0)
	ds_store_b128 v5, v[1:4]
	s_waitcnt lgkmcnt(0)
	s_barrier
	buffer_gl0_inv
	v_cmpx_gt_u32_e32 55, v178
	s_cbranch_execz .LBB63_249
; %bb.246:
	v_mov_b32_e32 v1, 0
	v_dual_mov_b32 v2, 0 :: v_dual_add_nc_u32 v7, -1, v178
	v_or_b32_e32 v8, 0x400, v13
	v_or_b32_e32 v9, 8, v14
	s_mov_b32 s3, 0
	s_delay_alu instid0(VALU_DEP_3)
	v_dual_mov_b32 v4, v2 :: v_dual_mov_b32 v3, v1
	.p2align	6
.LBB63_247:                             ; =>This Inner Loop Header: Depth=1
	scratch_load_b128 v[15:18], v9, off offset:-8
	ds_load_b128 v[19:22], v8
	v_add_nc_u32_e32 v7, 1, v7
	v_add_nc_u32_e32 v8, 16, v8
	;; [unrolled: 1-line block ×3, first 2 shown]
	s_delay_alu instid0(VALU_DEP_3) | instskip(SKIP_4) | instid1(VALU_DEP_2)
	v_cmp_lt_u32_e32 vcc_lo, 53, v7
	s_or_b32 s3, vcc_lo, s3
	s_waitcnt vmcnt(0) lgkmcnt(0)
	v_mul_f64 v[10:11], v[21:22], v[17:18]
	v_mul_f64 v[17:18], v[19:20], v[17:18]
	v_fma_f64 v[10:11], v[19:20], v[15:16], -v[10:11]
	s_delay_alu instid0(VALU_DEP_2) | instskip(NEXT) | instid1(VALU_DEP_2)
	v_fma_f64 v[15:16], v[21:22], v[15:16], v[17:18]
	v_add_f64 v[3:4], v[3:4], v[10:11]
	s_delay_alu instid0(VALU_DEP_2)
	v_add_f64 v[1:2], v[1:2], v[15:16]
	s_and_not1_b32 exec_lo, exec_lo, s3
	s_cbranch_execnz .LBB63_247
; %bb.248:
	s_or_b32 exec_lo, exec_lo, s3
	v_mov_b32_e32 v7, 0
	ds_load_b128 v[7:10], v7 offset:880
	s_waitcnt lgkmcnt(0)
	v_mul_f64 v[11:12], v[1:2], v[9:10]
	v_mul_f64 v[15:16], v[3:4], v[9:10]
	s_delay_alu instid0(VALU_DEP_2) | instskip(NEXT) | instid1(VALU_DEP_2)
	v_fma_f64 v[9:10], v[3:4], v[7:8], -v[11:12]
	v_fma_f64 v[11:12], v[1:2], v[7:8], v[15:16]
	scratch_store_b128 off, v[9:12], off offset:880
.LBB63_249:
	s_or_b32 exec_lo, exec_lo, s2
	s_waitcnt_vscnt null, 0x0
	s_barrier
	buffer_gl0_inv
	scratch_load_b32 v1, off, off offset:1048 ; 4-byte Folded Reload
	s_mov_b32 s2, exec_lo
	s_waitcnt vmcnt(0)
	scratch_load_b128 v[1:4], v1, off
	s_waitcnt vmcnt(0)
	ds_store_b128 v5, v[1:4]
	s_waitcnt lgkmcnt(0)
	s_barrier
	buffer_gl0_inv
	v_cmpx_gt_u32_e32 56, v178
	s_cbranch_execz .LBB63_253
; %bb.250:
	v_mov_b32_e32 v1, 0
	v_dual_mov_b32 v2, 0 :: v_dual_add_nc_u32 v7, -1, v178
	v_or_b32_e32 v8, 0x400, v13
	v_or_b32_e32 v9, 8, v14
	s_mov_b32 s3, 0
	s_delay_alu instid0(VALU_DEP_3)
	v_dual_mov_b32 v4, v2 :: v_dual_mov_b32 v3, v1
	.p2align	6
.LBB63_251:                             ; =>This Inner Loop Header: Depth=1
	scratch_load_b128 v[15:18], v9, off offset:-8
	ds_load_b128 v[19:22], v8
	v_add_nc_u32_e32 v7, 1, v7
	v_add_nc_u32_e32 v8, 16, v8
	;; [unrolled: 1-line block ×3, first 2 shown]
	s_delay_alu instid0(VALU_DEP_3) | instskip(SKIP_4) | instid1(VALU_DEP_2)
	v_cmp_lt_u32_e32 vcc_lo, 54, v7
	s_or_b32 s3, vcc_lo, s3
	s_waitcnt vmcnt(0) lgkmcnt(0)
	v_mul_f64 v[10:11], v[21:22], v[17:18]
	v_mul_f64 v[17:18], v[19:20], v[17:18]
	v_fma_f64 v[10:11], v[19:20], v[15:16], -v[10:11]
	s_delay_alu instid0(VALU_DEP_2) | instskip(NEXT) | instid1(VALU_DEP_2)
	v_fma_f64 v[15:16], v[21:22], v[15:16], v[17:18]
	v_add_f64 v[3:4], v[3:4], v[10:11]
	s_delay_alu instid0(VALU_DEP_2)
	v_add_f64 v[1:2], v[1:2], v[15:16]
	s_and_not1_b32 exec_lo, exec_lo, s3
	s_cbranch_execnz .LBB63_251
; %bb.252:
	s_or_b32 exec_lo, exec_lo, s3
	v_mov_b32_e32 v7, 0
	ds_load_b128 v[7:10], v7 offset:896
	s_waitcnt lgkmcnt(0)
	v_mul_f64 v[11:12], v[1:2], v[9:10]
	v_mul_f64 v[15:16], v[3:4], v[9:10]
	s_delay_alu instid0(VALU_DEP_2) | instskip(NEXT) | instid1(VALU_DEP_2)
	v_fma_f64 v[9:10], v[3:4], v[7:8], -v[11:12]
	v_fma_f64 v[11:12], v[1:2], v[7:8], v[15:16]
	scratch_store_b128 off, v[9:12], off offset:896
.LBB63_253:
	s_or_b32 exec_lo, exec_lo, s2
	s_waitcnt_vscnt null, 0x0
	s_barrier
	buffer_gl0_inv
	scratch_load_b32 v1, off, off offset:1044 ; 4-byte Folded Reload
	s_mov_b32 s2, exec_lo
	s_waitcnt vmcnt(0)
	scratch_load_b128 v[1:4], v1, off
	s_waitcnt vmcnt(0)
	ds_store_b128 v5, v[1:4]
	s_waitcnt lgkmcnt(0)
	s_barrier
	buffer_gl0_inv
	v_cmpx_gt_u32_e32 57, v178
	s_cbranch_execz .LBB63_257
; %bb.254:
	v_mov_b32_e32 v1, 0
	v_dual_mov_b32 v2, 0 :: v_dual_add_nc_u32 v7, -1, v178
	v_or_b32_e32 v8, 0x400, v13
	v_or_b32_e32 v9, 8, v14
	s_mov_b32 s3, 0
	s_delay_alu instid0(VALU_DEP_3)
	v_dual_mov_b32 v4, v2 :: v_dual_mov_b32 v3, v1
	.p2align	6
.LBB63_255:                             ; =>This Inner Loop Header: Depth=1
	scratch_load_b128 v[15:18], v9, off offset:-8
	ds_load_b128 v[19:22], v8
	v_add_nc_u32_e32 v7, 1, v7
	v_add_nc_u32_e32 v8, 16, v8
	;; [unrolled: 1-line block ×3, first 2 shown]
	s_delay_alu instid0(VALU_DEP_3) | instskip(SKIP_4) | instid1(VALU_DEP_2)
	v_cmp_lt_u32_e32 vcc_lo, 55, v7
	s_or_b32 s3, vcc_lo, s3
	s_waitcnt vmcnt(0) lgkmcnt(0)
	v_mul_f64 v[10:11], v[21:22], v[17:18]
	v_mul_f64 v[17:18], v[19:20], v[17:18]
	v_fma_f64 v[10:11], v[19:20], v[15:16], -v[10:11]
	s_delay_alu instid0(VALU_DEP_2) | instskip(NEXT) | instid1(VALU_DEP_2)
	v_fma_f64 v[15:16], v[21:22], v[15:16], v[17:18]
	v_add_f64 v[3:4], v[3:4], v[10:11]
	s_delay_alu instid0(VALU_DEP_2)
	v_add_f64 v[1:2], v[1:2], v[15:16]
	s_and_not1_b32 exec_lo, exec_lo, s3
	s_cbranch_execnz .LBB63_255
; %bb.256:
	s_or_b32 exec_lo, exec_lo, s3
	v_mov_b32_e32 v7, 0
	ds_load_b128 v[7:10], v7 offset:912
	s_waitcnt lgkmcnt(0)
	v_mul_f64 v[11:12], v[1:2], v[9:10]
	v_mul_f64 v[15:16], v[3:4], v[9:10]
	s_delay_alu instid0(VALU_DEP_2) | instskip(NEXT) | instid1(VALU_DEP_2)
	v_fma_f64 v[9:10], v[3:4], v[7:8], -v[11:12]
	v_fma_f64 v[11:12], v[1:2], v[7:8], v[15:16]
	scratch_store_b128 off, v[9:12], off offset:912
.LBB63_257:
	s_or_b32 exec_lo, exec_lo, s2
	s_waitcnt_vscnt null, 0x0
	s_barrier
	buffer_gl0_inv
	scratch_load_b32 v1, off, off offset:1040 ; 4-byte Folded Reload
	s_mov_b32 s2, exec_lo
	s_waitcnt vmcnt(0)
	scratch_load_b128 v[1:4], v1, off
	s_waitcnt vmcnt(0)
	ds_store_b128 v5, v[1:4]
	s_waitcnt lgkmcnt(0)
	s_barrier
	buffer_gl0_inv
	v_cmpx_gt_u32_e32 58, v178
	s_cbranch_execz .LBB63_261
; %bb.258:
	v_mov_b32_e32 v1, 0
	v_dual_mov_b32 v2, 0 :: v_dual_add_nc_u32 v7, -1, v178
	v_or_b32_e32 v8, 0x400, v13
	v_or_b32_e32 v9, 8, v14
	s_mov_b32 s3, 0
	s_delay_alu instid0(VALU_DEP_3)
	v_dual_mov_b32 v4, v2 :: v_dual_mov_b32 v3, v1
	.p2align	6
.LBB63_259:                             ; =>This Inner Loop Header: Depth=1
	scratch_load_b128 v[15:18], v9, off offset:-8
	ds_load_b128 v[19:22], v8
	v_add_nc_u32_e32 v7, 1, v7
	v_add_nc_u32_e32 v8, 16, v8
	;; [unrolled: 1-line block ×3, first 2 shown]
	s_delay_alu instid0(VALU_DEP_3) | instskip(SKIP_4) | instid1(VALU_DEP_2)
	v_cmp_lt_u32_e32 vcc_lo, 56, v7
	s_or_b32 s3, vcc_lo, s3
	s_waitcnt vmcnt(0) lgkmcnt(0)
	v_mul_f64 v[10:11], v[21:22], v[17:18]
	v_mul_f64 v[17:18], v[19:20], v[17:18]
	v_fma_f64 v[10:11], v[19:20], v[15:16], -v[10:11]
	s_delay_alu instid0(VALU_DEP_2) | instskip(NEXT) | instid1(VALU_DEP_2)
	v_fma_f64 v[15:16], v[21:22], v[15:16], v[17:18]
	v_add_f64 v[3:4], v[3:4], v[10:11]
	s_delay_alu instid0(VALU_DEP_2)
	v_add_f64 v[1:2], v[1:2], v[15:16]
	s_and_not1_b32 exec_lo, exec_lo, s3
	s_cbranch_execnz .LBB63_259
; %bb.260:
	s_or_b32 exec_lo, exec_lo, s3
	v_mov_b32_e32 v7, 0
	ds_load_b128 v[7:10], v7 offset:928
	s_waitcnt lgkmcnt(0)
	v_mul_f64 v[11:12], v[1:2], v[9:10]
	v_mul_f64 v[15:16], v[3:4], v[9:10]
	s_delay_alu instid0(VALU_DEP_2) | instskip(NEXT) | instid1(VALU_DEP_2)
	v_fma_f64 v[9:10], v[3:4], v[7:8], -v[11:12]
	v_fma_f64 v[11:12], v[1:2], v[7:8], v[15:16]
	scratch_store_b128 off, v[9:12], off offset:928
.LBB63_261:
	s_or_b32 exec_lo, exec_lo, s2
	s_waitcnt_vscnt null, 0x0
	s_barrier
	buffer_gl0_inv
	scratch_load_b32 v1, off, off offset:1036 ; 4-byte Folded Reload
	s_mov_b32 s2, exec_lo
	s_waitcnt vmcnt(0)
	scratch_load_b128 v[1:4], v1, off
	s_waitcnt vmcnt(0)
	ds_store_b128 v5, v[1:4]
	s_waitcnt lgkmcnt(0)
	s_barrier
	buffer_gl0_inv
	v_cmpx_gt_u32_e32 59, v178
	s_cbranch_execz .LBB63_265
; %bb.262:
	v_mov_b32_e32 v1, 0
	v_dual_mov_b32 v2, 0 :: v_dual_add_nc_u32 v7, -1, v178
	v_or_b32_e32 v8, 0x400, v13
	v_or_b32_e32 v9, 8, v14
	s_mov_b32 s3, 0
	s_delay_alu instid0(VALU_DEP_3)
	v_dual_mov_b32 v4, v2 :: v_dual_mov_b32 v3, v1
	.p2align	6
.LBB63_263:                             ; =>This Inner Loop Header: Depth=1
	scratch_load_b128 v[15:18], v9, off offset:-8
	ds_load_b128 v[19:22], v8
	v_add_nc_u32_e32 v7, 1, v7
	v_add_nc_u32_e32 v8, 16, v8
	v_add_nc_u32_e32 v9, 16, v9
	s_delay_alu instid0(VALU_DEP_3) | instskip(SKIP_4) | instid1(VALU_DEP_2)
	v_cmp_lt_u32_e32 vcc_lo, 57, v7
	s_or_b32 s3, vcc_lo, s3
	s_waitcnt vmcnt(0) lgkmcnt(0)
	v_mul_f64 v[10:11], v[21:22], v[17:18]
	v_mul_f64 v[17:18], v[19:20], v[17:18]
	v_fma_f64 v[10:11], v[19:20], v[15:16], -v[10:11]
	s_delay_alu instid0(VALU_DEP_2) | instskip(NEXT) | instid1(VALU_DEP_2)
	v_fma_f64 v[15:16], v[21:22], v[15:16], v[17:18]
	v_add_f64 v[3:4], v[3:4], v[10:11]
	s_delay_alu instid0(VALU_DEP_2)
	v_add_f64 v[1:2], v[1:2], v[15:16]
	s_and_not1_b32 exec_lo, exec_lo, s3
	s_cbranch_execnz .LBB63_263
; %bb.264:
	s_or_b32 exec_lo, exec_lo, s3
	v_mov_b32_e32 v7, 0
	ds_load_b128 v[7:10], v7 offset:944
	s_waitcnt lgkmcnt(0)
	v_mul_f64 v[11:12], v[1:2], v[9:10]
	v_mul_f64 v[15:16], v[3:4], v[9:10]
	s_delay_alu instid0(VALU_DEP_2) | instskip(NEXT) | instid1(VALU_DEP_2)
	v_fma_f64 v[9:10], v[3:4], v[7:8], -v[11:12]
	v_fma_f64 v[11:12], v[1:2], v[7:8], v[15:16]
	scratch_store_b128 off, v[9:12], off offset:944
.LBB63_265:
	s_or_b32 exec_lo, exec_lo, s2
	s_waitcnt_vscnt null, 0x0
	s_barrier
	buffer_gl0_inv
	scratch_load_b32 v1, off, off offset:1032 ; 4-byte Folded Reload
	s_mov_b32 s2, exec_lo
	s_waitcnt vmcnt(0)
	scratch_load_b128 v[1:4], v1, off
	s_waitcnt vmcnt(0)
	ds_store_b128 v5, v[1:4]
	s_waitcnt lgkmcnt(0)
	s_barrier
	buffer_gl0_inv
	v_cmpx_gt_u32_e32 60, v178
	s_cbranch_execz .LBB63_269
; %bb.266:
	v_mov_b32_e32 v1, 0
	v_dual_mov_b32 v2, 0 :: v_dual_add_nc_u32 v7, -1, v178
	v_or_b32_e32 v8, 0x400, v13
	v_or_b32_e32 v9, 8, v14
	s_mov_b32 s3, 0
	s_delay_alu instid0(VALU_DEP_3)
	v_dual_mov_b32 v4, v2 :: v_dual_mov_b32 v3, v1
	.p2align	6
.LBB63_267:                             ; =>This Inner Loop Header: Depth=1
	scratch_load_b128 v[15:18], v9, off offset:-8
	ds_load_b128 v[19:22], v8
	v_add_nc_u32_e32 v7, 1, v7
	v_add_nc_u32_e32 v8, 16, v8
	;; [unrolled: 1-line block ×3, first 2 shown]
	s_delay_alu instid0(VALU_DEP_3) | instskip(SKIP_4) | instid1(VALU_DEP_2)
	v_cmp_lt_u32_e32 vcc_lo, 58, v7
	s_or_b32 s3, vcc_lo, s3
	s_waitcnt vmcnt(0) lgkmcnt(0)
	v_mul_f64 v[10:11], v[21:22], v[17:18]
	v_mul_f64 v[17:18], v[19:20], v[17:18]
	v_fma_f64 v[10:11], v[19:20], v[15:16], -v[10:11]
	s_delay_alu instid0(VALU_DEP_2) | instskip(NEXT) | instid1(VALU_DEP_2)
	v_fma_f64 v[15:16], v[21:22], v[15:16], v[17:18]
	v_add_f64 v[3:4], v[3:4], v[10:11]
	s_delay_alu instid0(VALU_DEP_2)
	v_add_f64 v[1:2], v[1:2], v[15:16]
	s_and_not1_b32 exec_lo, exec_lo, s3
	s_cbranch_execnz .LBB63_267
; %bb.268:
	s_or_b32 exec_lo, exec_lo, s3
	v_mov_b32_e32 v7, 0
	ds_load_b128 v[7:10], v7 offset:960
	s_waitcnt lgkmcnt(0)
	v_mul_f64 v[11:12], v[1:2], v[9:10]
	v_mul_f64 v[15:16], v[3:4], v[9:10]
	s_delay_alu instid0(VALU_DEP_2) | instskip(NEXT) | instid1(VALU_DEP_2)
	v_fma_f64 v[9:10], v[3:4], v[7:8], -v[11:12]
	v_fma_f64 v[11:12], v[1:2], v[7:8], v[15:16]
	scratch_store_b128 off, v[9:12], off offset:960
.LBB63_269:
	s_or_b32 exec_lo, exec_lo, s2
	s_waitcnt_vscnt null, 0x0
	s_barrier
	buffer_gl0_inv
	scratch_load_b32 v1, off, off offset:1028 ; 4-byte Folded Reload
	s_mov_b32 s2, exec_lo
	s_waitcnt vmcnt(0)
	scratch_load_b128 v[1:4], v1, off
	s_waitcnt vmcnt(0)
	ds_store_b128 v5, v[1:4]
	s_waitcnt lgkmcnt(0)
	s_barrier
	buffer_gl0_inv
	v_cmpx_gt_u32_e32 61, v178
	s_cbranch_execz .LBB63_273
; %bb.270:
	v_mov_b32_e32 v1, 0
	v_dual_mov_b32 v2, 0 :: v_dual_add_nc_u32 v7, -1, v178
	v_or_b32_e32 v8, 0x400, v13
	v_or_b32_e32 v9, 8, v14
	s_mov_b32 s3, 0
	s_delay_alu instid0(VALU_DEP_3)
	v_dual_mov_b32 v4, v2 :: v_dual_mov_b32 v3, v1
	.p2align	6
.LBB63_271:                             ; =>This Inner Loop Header: Depth=1
	scratch_load_b128 v[15:18], v9, off offset:-8
	ds_load_b128 v[19:22], v8
	v_add_nc_u32_e32 v7, 1, v7
	v_add_nc_u32_e32 v8, 16, v8
	;; [unrolled: 1-line block ×3, first 2 shown]
	s_delay_alu instid0(VALU_DEP_3) | instskip(SKIP_4) | instid1(VALU_DEP_2)
	v_cmp_lt_u32_e32 vcc_lo, 59, v7
	s_or_b32 s3, vcc_lo, s3
	s_waitcnt vmcnt(0) lgkmcnt(0)
	v_mul_f64 v[10:11], v[21:22], v[17:18]
	v_mul_f64 v[17:18], v[19:20], v[17:18]
	v_fma_f64 v[10:11], v[19:20], v[15:16], -v[10:11]
	s_delay_alu instid0(VALU_DEP_2) | instskip(NEXT) | instid1(VALU_DEP_2)
	v_fma_f64 v[15:16], v[21:22], v[15:16], v[17:18]
	v_add_f64 v[3:4], v[3:4], v[10:11]
	s_delay_alu instid0(VALU_DEP_2)
	v_add_f64 v[1:2], v[1:2], v[15:16]
	s_and_not1_b32 exec_lo, exec_lo, s3
	s_cbranch_execnz .LBB63_271
; %bb.272:
	s_or_b32 exec_lo, exec_lo, s3
	v_mov_b32_e32 v7, 0
	ds_load_b128 v[7:10], v7 offset:976
	s_waitcnt lgkmcnt(0)
	v_mul_f64 v[11:12], v[1:2], v[9:10]
	v_mul_f64 v[15:16], v[3:4], v[9:10]
	s_delay_alu instid0(VALU_DEP_2) | instskip(NEXT) | instid1(VALU_DEP_2)
	v_fma_f64 v[9:10], v[3:4], v[7:8], -v[11:12]
	v_fma_f64 v[11:12], v[1:2], v[7:8], v[15:16]
	scratch_store_b128 off, v[9:12], off offset:976
.LBB63_273:
	s_or_b32 exec_lo, exec_lo, s2
	s_waitcnt_vscnt null, 0x0
	s_barrier
	buffer_gl0_inv
	scratch_load_b32 v1, off, off offset:1024 ; 4-byte Folded Reload
	s_mov_b32 s2, exec_lo
	s_waitcnt vmcnt(0)
	scratch_load_b128 v[1:4], v1, off
	s_waitcnt vmcnt(0)
	ds_store_b128 v5, v[1:4]
	s_waitcnt lgkmcnt(0)
	s_barrier
	buffer_gl0_inv
	v_cmpx_gt_u32_e32 62, v178
	s_cbranch_execz .LBB63_277
; %bb.274:
	v_mov_b32_e32 v1, 0
	v_dual_mov_b32 v2, 0 :: v_dual_add_nc_u32 v7, -1, v178
	v_or_b32_e32 v8, 0x400, v13
	v_or_b32_e32 v9, 8, v14
	s_mov_b32 s3, 0
	s_delay_alu instid0(VALU_DEP_3)
	v_dual_mov_b32 v4, v2 :: v_dual_mov_b32 v3, v1
	.p2align	6
.LBB63_275:                             ; =>This Inner Loop Header: Depth=1
	scratch_load_b128 v[10:13], v9, off offset:-8
	ds_load_b128 v[15:18], v8
	v_add_nc_u32_e32 v7, 1, v7
	v_add_nc_u32_e32 v8, 16, v8
	;; [unrolled: 1-line block ×3, first 2 shown]
	s_delay_alu instid0(VALU_DEP_3) | instskip(SKIP_4) | instid1(VALU_DEP_2)
	v_cmp_lt_u32_e32 vcc_lo, 60, v7
	s_or_b32 s3, vcc_lo, s3
	s_waitcnt vmcnt(0) lgkmcnt(0)
	v_mul_f64 v[19:20], v[17:18], v[12:13]
	v_mul_f64 v[12:13], v[15:16], v[12:13]
	v_fma_f64 v[15:16], v[15:16], v[10:11], -v[19:20]
	s_delay_alu instid0(VALU_DEP_2) | instskip(NEXT) | instid1(VALU_DEP_2)
	v_fma_f64 v[10:11], v[17:18], v[10:11], v[12:13]
	v_add_f64 v[3:4], v[3:4], v[15:16]
	s_delay_alu instid0(VALU_DEP_2)
	v_add_f64 v[1:2], v[1:2], v[10:11]
	s_and_not1_b32 exec_lo, exec_lo, s3
	s_cbranch_execnz .LBB63_275
; %bb.276:
	s_or_b32 exec_lo, exec_lo, s3
	v_mov_b32_e32 v7, 0
	ds_load_b128 v[7:10], v7 offset:992
	s_waitcnt lgkmcnt(0)
	v_mul_f64 v[11:12], v[1:2], v[9:10]
	v_mul_f64 v[15:16], v[3:4], v[9:10]
	s_delay_alu instid0(VALU_DEP_2) | instskip(NEXT) | instid1(VALU_DEP_2)
	v_fma_f64 v[9:10], v[3:4], v[7:8], -v[11:12]
	v_fma_f64 v[11:12], v[1:2], v[7:8], v[15:16]
	scratch_store_b128 off, v[9:12], off offset:992
.LBB63_277:
	s_or_b32 exec_lo, exec_lo, s2
	s_waitcnt_vscnt null, 0x0
	s_barrier
	buffer_gl0_inv
	scratch_load_b32 v1, off, off offset:1248 ; 4-byte Folded Reload
	s_mov_b32 s2, exec_lo
	s_waitcnt vmcnt(0)
	scratch_load_b128 v[1:4], v1, off
	s_waitcnt vmcnt(0)
	ds_store_b128 v5, v[1:4]
	s_waitcnt lgkmcnt(0)
	s_barrier
	buffer_gl0_inv
	v_cmpx_ne_u32_e32 63, v178
	s_cbranch_execz .LBB63_281
; %bb.278:
	v_mov_b32_e32 v1, 0
	v_mov_b32_e32 v2, 0
	v_or_b32_e32 v7, 8, v14
	s_mov_b32 s3, 0
	s_delay_alu instid0(VALU_DEP_2)
	v_dual_mov_b32 v4, v2 :: v_dual_mov_b32 v3, v1
	.p2align	6
.LBB63_279:                             ; =>This Inner Loop Header: Depth=1
	scratch_load_b128 v[8:11], v7, off offset:-8
	ds_load_b128 v[12:15], v5
	v_add_nc_u32_e32 v6, 1, v6
	v_add_nc_u32_e32 v5, 16, v5
	v_add_nc_u32_e32 v7, 16, v7
	s_delay_alu instid0(VALU_DEP_3) | instskip(SKIP_4) | instid1(VALU_DEP_2)
	v_cmp_lt_u32_e32 vcc_lo, 61, v6
	s_or_b32 s3, vcc_lo, s3
	s_waitcnt vmcnt(0) lgkmcnt(0)
	v_mul_f64 v[16:17], v[14:15], v[10:11]
	v_mul_f64 v[10:11], v[12:13], v[10:11]
	v_fma_f64 v[12:13], v[12:13], v[8:9], -v[16:17]
	s_delay_alu instid0(VALU_DEP_2) | instskip(NEXT) | instid1(VALU_DEP_2)
	v_fma_f64 v[8:9], v[14:15], v[8:9], v[10:11]
	v_add_f64 v[3:4], v[3:4], v[12:13]
	s_delay_alu instid0(VALU_DEP_2)
	v_add_f64 v[1:2], v[1:2], v[8:9]
	s_and_not1_b32 exec_lo, exec_lo, s3
	s_cbranch_execnz .LBB63_279
; %bb.280:
	s_or_b32 exec_lo, exec_lo, s3
	v_mov_b32_e32 v5, 0
	ds_load_b128 v[5:8], v5 offset:1008
	s_waitcnt lgkmcnt(0)
	v_mul_f64 v[9:10], v[1:2], v[7:8]
	v_mul_f64 v[7:8], v[3:4], v[7:8]
	s_delay_alu instid0(VALU_DEP_2) | instskip(NEXT) | instid1(VALU_DEP_2)
	v_fma_f64 v[3:4], v[3:4], v[5:6], -v[9:10]
	v_fma_f64 v[5:6], v[1:2], v[5:6], v[7:8]
	scratch_store_b128 off, v[3:6], off offset:1008
.LBB63_281:
	s_or_b32 exec_lo, exec_lo, s2
	s_waitcnt_vscnt null, 0x0
	s_barrier
	buffer_gl0_inv
	s_cbranch_execnz .LBB63_13
	s_branch .LBB63_14
.LBB63_282:
	v_lshl_or_b32 v242, v178, 4, 0x400
	s_mov_b32 s2, exec_lo
	v_cmpx_eq_u32_e32 63, v178
	s_cbranch_execz .LBB63_284
; %bb.283:
	scratch_load_b32 v1, off, off offset:1024 ; 4-byte Folded Reload
	v_mov_b32_e32 v5, 0
	s_delay_alu instid0(VALU_DEP_1)
	v_mov_b32_e32 v6, v5
	v_mov_b32_e32 v7, v5
	;; [unrolled: 1-line block ×3, first 2 shown]
	s_waitcnt vmcnt(0)
	scratch_load_b128 v[1:4], v1, off
	scratch_store_b128 off, v[5:8], off offset:992
	s_waitcnt vmcnt(0)
	ds_store_b128 v242, v[1:4]
.LBB63_284:
	s_or_b32 exec_lo, exec_lo, s2
	s_waitcnt lgkmcnt(0)
	s_waitcnt_vscnt null, 0x0
	s_barrier
	buffer_gl0_inv
	s_clause 0x1
	scratch_load_b128 v[2:5], off, off offset:1008
	scratch_load_b128 v[6:9], off, off offset:992
	v_mov_b32_e32 v1, 0
	s_mov_b32 s2, exec_lo
	ds_load_b128 v[10:13], v1 offset:2032
	s_waitcnt vmcnt(1) lgkmcnt(0)
	v_mul_f64 v[14:15], v[12:13], v[4:5]
	v_mul_f64 v[4:5], v[10:11], v[4:5]
	s_delay_alu instid0(VALU_DEP_2) | instskip(NEXT) | instid1(VALU_DEP_2)
	v_fma_f64 v[10:11], v[10:11], v[2:3], -v[14:15]
	v_fma_f64 v[2:3], v[12:13], v[2:3], v[4:5]
	s_delay_alu instid0(VALU_DEP_2) | instskip(NEXT) | instid1(VALU_DEP_2)
	v_add_f64 v[4:5], v[10:11], 0
	v_add_f64 v[10:11], v[2:3], 0
	s_waitcnt vmcnt(0)
	s_delay_alu instid0(VALU_DEP_2) | instskip(NEXT) | instid1(VALU_DEP_2)
	v_add_f64 v[2:3], v[6:7], -v[4:5]
	v_add_f64 v[4:5], v[8:9], -v[10:11]
	scratch_store_b128 off, v[2:5], off offset:992
	v_cmpx_lt_u32_e32 61, v178
	s_cbranch_execz .LBB63_286
; %bb.285:
	scratch_load_b32 v2, off, off offset:1028 ; 4-byte Folded Reload
	v_mov_b32_e32 v3, v1
	v_mov_b32_e32 v4, v1
	s_waitcnt vmcnt(0)
	scratch_load_b128 v[5:8], v2, off
	v_mov_b32_e32 v2, v1
	scratch_store_b128 off, v[1:4], off offset:976
	s_waitcnt vmcnt(0)
	ds_store_b128 v242, v[5:8]
.LBB63_286:
	s_or_b32 exec_lo, exec_lo, s2
	s_waitcnt lgkmcnt(0)
	s_waitcnt_vscnt null, 0x0
	s_barrier
	buffer_gl0_inv
	s_clause 0x2
	scratch_load_b128 v[2:5], off, off offset:992
	scratch_load_b128 v[6:9], off, off offset:1008
	;; [unrolled: 1-line block ×3, first 2 shown]
	ds_load_b128 v[14:17], v1 offset:2016
	ds_load_b128 v[18:21], v1 offset:2032
	s_mov_b32 s2, exec_lo
	s_waitcnt vmcnt(2) lgkmcnt(1)
	v_mul_f64 v[22:23], v[16:17], v[4:5]
	v_mul_f64 v[4:5], v[14:15], v[4:5]
	s_waitcnt vmcnt(1) lgkmcnt(0)
	v_mul_f64 v[24:25], v[18:19], v[8:9]
	v_mul_f64 v[8:9], v[20:21], v[8:9]
	s_delay_alu instid0(VALU_DEP_4) | instskip(NEXT) | instid1(VALU_DEP_4)
	v_fma_f64 v[14:15], v[14:15], v[2:3], -v[22:23]
	v_fma_f64 v[1:2], v[16:17], v[2:3], v[4:5]
	s_delay_alu instid0(VALU_DEP_4) | instskip(NEXT) | instid1(VALU_DEP_4)
	v_fma_f64 v[3:4], v[20:21], v[6:7], v[24:25]
	v_fma_f64 v[5:6], v[18:19], v[6:7], -v[8:9]
	s_delay_alu instid0(VALU_DEP_4) | instskip(NEXT) | instid1(VALU_DEP_4)
	v_add_f64 v[7:8], v[14:15], 0
	v_add_f64 v[1:2], v[1:2], 0
	s_delay_alu instid0(VALU_DEP_2) | instskip(NEXT) | instid1(VALU_DEP_2)
	v_add_f64 v[5:6], v[7:8], v[5:6]
	v_add_f64 v[3:4], v[1:2], v[3:4]
	s_waitcnt vmcnt(0)
	s_delay_alu instid0(VALU_DEP_2) | instskip(NEXT) | instid1(VALU_DEP_2)
	v_add_f64 v[1:2], v[10:11], -v[5:6]
	v_add_f64 v[3:4], v[12:13], -v[3:4]
	scratch_store_b128 off, v[1:4], off offset:976
	v_cmpx_lt_u32_e32 60, v178
	s_cbranch_execz .LBB63_288
; %bb.287:
	scratch_load_b32 v1, off, off offset:1032 ; 4-byte Folded Reload
	v_mov_b32_e32 v5, 0
	s_delay_alu instid0(VALU_DEP_1)
	v_mov_b32_e32 v6, v5
	v_mov_b32_e32 v7, v5
	;; [unrolled: 1-line block ×3, first 2 shown]
	s_waitcnt vmcnt(0)
	scratch_load_b128 v[1:4], v1, off
	scratch_store_b128 off, v[5:8], off offset:960
	s_waitcnt vmcnt(0)
	ds_store_b128 v242, v[1:4]
.LBB63_288:
	s_or_b32 exec_lo, exec_lo, s2
	s_waitcnt lgkmcnt(0)
	s_waitcnt_vscnt null, 0x0
	s_barrier
	buffer_gl0_inv
	s_clause 0x3
	scratch_load_b128 v[2:5], off, off offset:976
	scratch_load_b128 v[6:9], off, off offset:992
	;; [unrolled: 1-line block ×4, first 2 shown]
	v_mov_b32_e32 v1, 0
	ds_load_b128 v[18:21], v1 offset:2000
	ds_load_b128 v[22:25], v1 offset:2016
	s_mov_b32 s2, exec_lo
	s_waitcnt vmcnt(3) lgkmcnt(1)
	v_mul_f64 v[26:27], v[20:21], v[4:5]
	v_mul_f64 v[4:5], v[18:19], v[4:5]
	s_waitcnt vmcnt(2) lgkmcnt(0)
	v_mul_f64 v[28:29], v[22:23], v[8:9]
	v_mul_f64 v[8:9], v[24:25], v[8:9]
	s_delay_alu instid0(VALU_DEP_4) | instskip(NEXT) | instid1(VALU_DEP_4)
	v_fma_f64 v[18:19], v[18:19], v[2:3], -v[26:27]
	v_fma_f64 v[20:21], v[20:21], v[2:3], v[4:5]
	ds_load_b128 v[2:5], v1 offset:2032
	v_fma_f64 v[24:25], v[24:25], v[6:7], v[28:29]
	v_fma_f64 v[6:7], v[22:23], v[6:7], -v[8:9]
	s_waitcnt vmcnt(1) lgkmcnt(0)
	v_mul_f64 v[26:27], v[2:3], v[12:13]
	v_mul_f64 v[12:13], v[4:5], v[12:13]
	v_add_f64 v[8:9], v[18:19], 0
	v_add_f64 v[18:19], v[20:21], 0
	s_delay_alu instid0(VALU_DEP_4) | instskip(NEXT) | instid1(VALU_DEP_4)
	v_fma_f64 v[4:5], v[4:5], v[10:11], v[26:27]
	v_fma_f64 v[2:3], v[2:3], v[10:11], -v[12:13]
	s_delay_alu instid0(VALU_DEP_4) | instskip(NEXT) | instid1(VALU_DEP_4)
	v_add_f64 v[6:7], v[8:9], v[6:7]
	v_add_f64 v[8:9], v[18:19], v[24:25]
	s_delay_alu instid0(VALU_DEP_2) | instskip(NEXT) | instid1(VALU_DEP_2)
	v_add_f64 v[2:3], v[6:7], v[2:3]
	v_add_f64 v[4:5], v[8:9], v[4:5]
	s_waitcnt vmcnt(0)
	s_delay_alu instid0(VALU_DEP_2) | instskip(NEXT) | instid1(VALU_DEP_2)
	v_add_f64 v[2:3], v[14:15], -v[2:3]
	v_add_f64 v[4:5], v[16:17], -v[4:5]
	scratch_store_b128 off, v[2:5], off offset:960
	v_cmpx_lt_u32_e32 59, v178
	s_cbranch_execz .LBB63_290
; %bb.289:
	scratch_load_b32 v2, off, off offset:1036 ; 4-byte Folded Reload
	v_mov_b32_e32 v3, v1
	v_mov_b32_e32 v4, v1
	s_waitcnt vmcnt(0)
	scratch_load_b128 v[5:8], v2, off
	v_mov_b32_e32 v2, v1
	scratch_store_b128 off, v[1:4], off offset:944
	s_waitcnt vmcnt(0)
	ds_store_b128 v242, v[5:8]
.LBB63_290:
	s_or_b32 exec_lo, exec_lo, s2
	s_waitcnt lgkmcnt(0)
	s_waitcnt_vscnt null, 0x0
	s_barrier
	buffer_gl0_inv
	s_clause 0x4
	scratch_load_b128 v[2:5], off, off offset:960
	scratch_load_b128 v[6:9], off, off offset:976
	;; [unrolled: 1-line block ×5, first 2 shown]
	ds_load_b128 v[22:25], v1 offset:1984
	ds_load_b128 v[26:29], v1 offset:2000
	s_mov_b32 s2, exec_lo
	s_waitcnt vmcnt(4) lgkmcnt(1)
	v_mul_f64 v[30:31], v[24:25], v[4:5]
	v_mul_f64 v[4:5], v[22:23], v[4:5]
	s_waitcnt vmcnt(3) lgkmcnt(0)
	v_mul_f64 v[32:33], v[26:27], v[8:9]
	v_mul_f64 v[8:9], v[28:29], v[8:9]
	s_delay_alu instid0(VALU_DEP_4) | instskip(NEXT) | instid1(VALU_DEP_4)
	v_fma_f64 v[30:31], v[22:23], v[2:3], -v[30:31]
	v_fma_f64 v[34:35], v[24:25], v[2:3], v[4:5]
	ds_load_b128 v[2:5], v1 offset:2016
	ds_load_b128 v[22:25], v1 offset:2032
	v_fma_f64 v[28:29], v[28:29], v[6:7], v[32:33]
	v_fma_f64 v[6:7], v[26:27], v[6:7], -v[8:9]
	s_waitcnt vmcnt(2) lgkmcnt(1)
	v_mul_f64 v[36:37], v[2:3], v[12:13]
	v_mul_f64 v[12:13], v[4:5], v[12:13]
	v_add_f64 v[8:9], v[30:31], 0
	v_add_f64 v[26:27], v[34:35], 0
	s_waitcnt vmcnt(1) lgkmcnt(0)
	v_mul_f64 v[30:31], v[22:23], v[16:17]
	v_mul_f64 v[16:17], v[24:25], v[16:17]
	v_fma_f64 v[4:5], v[4:5], v[10:11], v[36:37]
	v_fma_f64 v[1:2], v[2:3], v[10:11], -v[12:13]
	v_add_f64 v[6:7], v[8:9], v[6:7]
	v_add_f64 v[8:9], v[26:27], v[28:29]
	v_fma_f64 v[10:11], v[24:25], v[14:15], v[30:31]
	v_fma_f64 v[12:13], v[22:23], v[14:15], -v[16:17]
	s_delay_alu instid0(VALU_DEP_4) | instskip(NEXT) | instid1(VALU_DEP_4)
	v_add_f64 v[1:2], v[6:7], v[1:2]
	v_add_f64 v[3:4], v[8:9], v[4:5]
	s_delay_alu instid0(VALU_DEP_2) | instskip(NEXT) | instid1(VALU_DEP_2)
	v_add_f64 v[1:2], v[1:2], v[12:13]
	v_add_f64 v[3:4], v[3:4], v[10:11]
	s_waitcnt vmcnt(0)
	s_delay_alu instid0(VALU_DEP_2) | instskip(NEXT) | instid1(VALU_DEP_2)
	v_add_f64 v[1:2], v[18:19], -v[1:2]
	v_add_f64 v[3:4], v[20:21], -v[3:4]
	scratch_store_b128 off, v[1:4], off offset:944
	v_cmpx_lt_u32_e32 58, v178
	s_cbranch_execz .LBB63_292
; %bb.291:
	scratch_load_b32 v1, off, off offset:1040 ; 4-byte Folded Reload
	v_mov_b32_e32 v5, 0
	s_delay_alu instid0(VALU_DEP_1)
	v_mov_b32_e32 v6, v5
	v_mov_b32_e32 v7, v5
	;; [unrolled: 1-line block ×3, first 2 shown]
	s_waitcnt vmcnt(0)
	scratch_load_b128 v[1:4], v1, off
	scratch_store_b128 off, v[5:8], off offset:928
	s_waitcnt vmcnt(0)
	ds_store_b128 v242, v[1:4]
.LBB63_292:
	s_or_b32 exec_lo, exec_lo, s2
	s_waitcnt lgkmcnt(0)
	s_waitcnt_vscnt null, 0x0
	s_barrier
	buffer_gl0_inv
	s_clause 0x5
	scratch_load_b128 v[2:5], off, off offset:944
	scratch_load_b128 v[6:9], off, off offset:960
	;; [unrolled: 1-line block ×6, first 2 shown]
	v_mov_b32_e32 v1, 0
	ds_load_b128 v[26:29], v1 offset:1968
	ds_load_b128 v[30:33], v1 offset:1984
	s_mov_b32 s2, exec_lo
	s_waitcnt vmcnt(5) lgkmcnt(1)
	v_mul_f64 v[34:35], v[28:29], v[4:5]
	v_mul_f64 v[4:5], v[26:27], v[4:5]
	s_waitcnt vmcnt(4) lgkmcnt(0)
	v_mul_f64 v[36:37], v[30:31], v[8:9]
	v_mul_f64 v[8:9], v[32:33], v[8:9]
	s_delay_alu instid0(VALU_DEP_4) | instskip(NEXT) | instid1(VALU_DEP_4)
	v_fma_f64 v[34:35], v[26:27], v[2:3], -v[34:35]
	v_fma_f64 v[38:39], v[28:29], v[2:3], v[4:5]
	ds_load_b128 v[2:5], v1 offset:2000
	ds_load_b128 v[26:29], v1 offset:2016
	v_fma_f64 v[32:33], v[32:33], v[6:7], v[36:37]
	v_fma_f64 v[6:7], v[30:31], v[6:7], -v[8:9]
	s_waitcnt vmcnt(3) lgkmcnt(1)
	v_mul_f64 v[40:41], v[2:3], v[12:13]
	v_mul_f64 v[12:13], v[4:5], v[12:13]
	v_add_f64 v[8:9], v[34:35], 0
	v_add_f64 v[30:31], v[38:39], 0
	s_waitcnt vmcnt(2) lgkmcnt(0)
	v_mul_f64 v[34:35], v[26:27], v[16:17]
	v_mul_f64 v[16:17], v[28:29], v[16:17]
	v_fma_f64 v[36:37], v[4:5], v[10:11], v[40:41]
	v_fma_f64 v[10:11], v[2:3], v[10:11], -v[12:13]
	ds_load_b128 v[2:5], v1 offset:2032
	v_add_f64 v[6:7], v[8:9], v[6:7]
	v_add_f64 v[8:9], v[30:31], v[32:33]
	v_fma_f64 v[28:29], v[28:29], v[14:15], v[34:35]
	v_fma_f64 v[14:15], v[26:27], v[14:15], -v[16:17]
	s_waitcnt vmcnt(1) lgkmcnt(0)
	v_mul_f64 v[12:13], v[2:3], v[20:21]
	v_mul_f64 v[20:21], v[4:5], v[20:21]
	v_add_f64 v[6:7], v[6:7], v[10:11]
	v_add_f64 v[8:9], v[8:9], v[36:37]
	s_delay_alu instid0(VALU_DEP_4) | instskip(NEXT) | instid1(VALU_DEP_4)
	v_fma_f64 v[4:5], v[4:5], v[18:19], v[12:13]
	v_fma_f64 v[2:3], v[2:3], v[18:19], -v[20:21]
	s_delay_alu instid0(VALU_DEP_4) | instskip(NEXT) | instid1(VALU_DEP_4)
	v_add_f64 v[6:7], v[6:7], v[14:15]
	v_add_f64 v[8:9], v[8:9], v[28:29]
	s_delay_alu instid0(VALU_DEP_2) | instskip(NEXT) | instid1(VALU_DEP_2)
	v_add_f64 v[2:3], v[6:7], v[2:3]
	v_add_f64 v[4:5], v[8:9], v[4:5]
	s_waitcnt vmcnt(0)
	s_delay_alu instid0(VALU_DEP_2) | instskip(NEXT) | instid1(VALU_DEP_2)
	v_add_f64 v[2:3], v[22:23], -v[2:3]
	v_add_f64 v[4:5], v[24:25], -v[4:5]
	scratch_store_b128 off, v[2:5], off offset:928
	v_cmpx_lt_u32_e32 57, v178
	s_cbranch_execz .LBB63_294
; %bb.293:
	scratch_load_b32 v2, off, off offset:1044 ; 4-byte Folded Reload
	v_mov_b32_e32 v3, v1
	v_mov_b32_e32 v4, v1
	s_waitcnt vmcnt(0)
	scratch_load_b128 v[5:8], v2, off
	v_mov_b32_e32 v2, v1
	scratch_store_b128 off, v[1:4], off offset:912
	s_waitcnt vmcnt(0)
	ds_store_b128 v242, v[5:8]
.LBB63_294:
	s_or_b32 exec_lo, exec_lo, s2
	s_waitcnt lgkmcnt(0)
	s_waitcnt_vscnt null, 0x0
	s_barrier
	buffer_gl0_inv
	s_clause 0x5
	scratch_load_b128 v[2:5], off, off offset:928
	scratch_load_b128 v[6:9], off, off offset:944
	;; [unrolled: 1-line block ×6, first 2 shown]
	ds_load_b128 v[26:29], v1 offset:1952
	ds_load_b128 v[34:37], v1 offset:1968
	scratch_load_b128 v[30:33], off, off offset:912
	s_mov_b32 s2, exec_lo
	s_waitcnt vmcnt(6) lgkmcnt(1)
	v_mul_f64 v[38:39], v[28:29], v[4:5]
	v_mul_f64 v[4:5], v[26:27], v[4:5]
	s_waitcnt vmcnt(5) lgkmcnt(0)
	v_mul_f64 v[40:41], v[34:35], v[8:9]
	v_mul_f64 v[8:9], v[36:37], v[8:9]
	s_delay_alu instid0(VALU_DEP_4) | instskip(NEXT) | instid1(VALU_DEP_4)
	v_fma_f64 v[26:27], v[26:27], v[2:3], -v[38:39]
	v_fma_f64 v[28:29], v[28:29], v[2:3], v[4:5]
	ds_load_b128 v[2:5], v1 offset:1984
	v_fma_f64 v[36:37], v[36:37], v[6:7], v[40:41]
	v_fma_f64 v[34:35], v[34:35], v[6:7], -v[8:9]
	ds_load_b128 v[6:9], v1 offset:2000
	s_waitcnt vmcnt(4) lgkmcnt(1)
	v_mul_f64 v[38:39], v[2:3], v[12:13]
	v_mul_f64 v[12:13], v[4:5], v[12:13]
	s_waitcnt vmcnt(3) lgkmcnt(0)
	v_mul_f64 v[40:41], v[6:7], v[16:17]
	v_mul_f64 v[16:17], v[8:9], v[16:17]
	v_add_f64 v[26:27], v[26:27], 0
	v_add_f64 v[28:29], v[28:29], 0
	v_fma_f64 v[38:39], v[4:5], v[10:11], v[38:39]
	v_fma_f64 v[10:11], v[2:3], v[10:11], -v[12:13]
	ds_load_b128 v[2:5], v1 offset:2016
	v_add_f64 v[12:13], v[26:27], v[34:35]
	v_add_f64 v[26:27], v[28:29], v[36:37]
	v_fma_f64 v[34:35], v[8:9], v[14:15], v[40:41]
	v_fma_f64 v[14:15], v[6:7], v[14:15], -v[16:17]
	ds_load_b128 v[6:9], v1 offset:2032
	s_waitcnt vmcnt(2) lgkmcnt(1)
	v_mul_f64 v[28:29], v[2:3], v[20:21]
	v_mul_f64 v[20:21], v[4:5], v[20:21]
	s_waitcnt vmcnt(1) lgkmcnt(0)
	v_mul_f64 v[16:17], v[6:7], v[24:25]
	v_mul_f64 v[24:25], v[8:9], v[24:25]
	v_add_f64 v[10:11], v[12:13], v[10:11]
	v_add_f64 v[12:13], v[26:27], v[38:39]
	v_fma_f64 v[4:5], v[4:5], v[18:19], v[28:29]
	v_fma_f64 v[1:2], v[2:3], v[18:19], -v[20:21]
	v_fma_f64 v[8:9], v[8:9], v[22:23], v[16:17]
	v_fma_f64 v[6:7], v[6:7], v[22:23], -v[24:25]
	v_add_f64 v[10:11], v[10:11], v[14:15]
	v_add_f64 v[12:13], v[12:13], v[34:35]
	s_delay_alu instid0(VALU_DEP_2) | instskip(NEXT) | instid1(VALU_DEP_2)
	v_add_f64 v[1:2], v[10:11], v[1:2]
	v_add_f64 v[3:4], v[12:13], v[4:5]
	s_delay_alu instid0(VALU_DEP_2) | instskip(NEXT) | instid1(VALU_DEP_2)
	v_add_f64 v[1:2], v[1:2], v[6:7]
	v_add_f64 v[3:4], v[3:4], v[8:9]
	s_waitcnt vmcnt(0)
	s_delay_alu instid0(VALU_DEP_2) | instskip(NEXT) | instid1(VALU_DEP_2)
	v_add_f64 v[1:2], v[30:31], -v[1:2]
	v_add_f64 v[3:4], v[32:33], -v[3:4]
	scratch_store_b128 off, v[1:4], off offset:912
	v_cmpx_lt_u32_e32 56, v178
	s_cbranch_execz .LBB63_296
; %bb.295:
	scratch_load_b32 v1, off, off offset:1048 ; 4-byte Folded Reload
	v_mov_b32_e32 v5, 0
	s_delay_alu instid0(VALU_DEP_1)
	v_mov_b32_e32 v6, v5
	v_mov_b32_e32 v7, v5
	;; [unrolled: 1-line block ×3, first 2 shown]
	s_waitcnt vmcnt(0)
	scratch_load_b128 v[1:4], v1, off
	scratch_store_b128 off, v[5:8], off offset:896
	s_waitcnt vmcnt(0)
	ds_store_b128 v242, v[1:4]
.LBB63_296:
	s_or_b32 exec_lo, exec_lo, s2
	s_waitcnt lgkmcnt(0)
	s_waitcnt_vscnt null, 0x0
	s_barrier
	buffer_gl0_inv
	s_clause 0x6
	scratch_load_b128 v[2:5], off, off offset:912
	scratch_load_b128 v[6:9], off, off offset:928
	;; [unrolled: 1-line block ×7, first 2 shown]
	v_mov_b32_e32 v1, 0
	scratch_load_b128 v[38:41], off, off offset:896
	s_mov_b32 s2, exec_lo
	ds_load_b128 v[30:33], v1 offset:1936
	ds_load_b128 v[34:37], v1 offset:1952
	s_waitcnt vmcnt(7) lgkmcnt(1)
	v_mul_f64 v[42:43], v[32:33], v[4:5]
	v_mul_f64 v[4:5], v[30:31], v[4:5]
	s_waitcnt vmcnt(6) lgkmcnt(0)
	v_mul_f64 v[44:45], v[34:35], v[8:9]
	v_mul_f64 v[8:9], v[36:37], v[8:9]
	s_delay_alu instid0(VALU_DEP_4) | instskip(NEXT) | instid1(VALU_DEP_4)
	v_fma_f64 v[30:31], v[30:31], v[2:3], -v[42:43]
	v_fma_f64 v[32:33], v[32:33], v[2:3], v[4:5]
	ds_load_b128 v[2:5], v1 offset:1968
	v_fma_f64 v[36:37], v[36:37], v[6:7], v[44:45]
	v_fma_f64 v[34:35], v[34:35], v[6:7], -v[8:9]
	ds_load_b128 v[6:9], v1 offset:1984
	s_waitcnt vmcnt(5) lgkmcnt(1)
	v_mul_f64 v[42:43], v[2:3], v[12:13]
	v_mul_f64 v[12:13], v[4:5], v[12:13]
	s_waitcnt vmcnt(4) lgkmcnt(0)
	v_mul_f64 v[44:45], v[6:7], v[16:17]
	v_mul_f64 v[16:17], v[8:9], v[16:17]
	v_add_f64 v[30:31], v[30:31], 0
	v_add_f64 v[32:33], v[32:33], 0
	v_fma_f64 v[42:43], v[4:5], v[10:11], v[42:43]
	v_fma_f64 v[10:11], v[2:3], v[10:11], -v[12:13]
	ds_load_b128 v[2:5], v1 offset:2000
	v_add_f64 v[12:13], v[30:31], v[34:35]
	v_add_f64 v[30:31], v[32:33], v[36:37]
	v_fma_f64 v[34:35], v[8:9], v[14:15], v[44:45]
	v_fma_f64 v[14:15], v[6:7], v[14:15], -v[16:17]
	ds_load_b128 v[6:9], v1 offset:2016
	s_waitcnt vmcnt(3) lgkmcnt(1)
	v_mul_f64 v[32:33], v[2:3], v[20:21]
	v_mul_f64 v[20:21], v[4:5], v[20:21]
	s_waitcnt vmcnt(2) lgkmcnt(0)
	v_mul_f64 v[16:17], v[6:7], v[24:25]
	v_mul_f64 v[24:25], v[8:9], v[24:25]
	v_add_f64 v[10:11], v[12:13], v[10:11]
	v_add_f64 v[12:13], v[30:31], v[42:43]
	v_fma_f64 v[30:31], v[4:5], v[18:19], v[32:33]
	v_fma_f64 v[18:19], v[2:3], v[18:19], -v[20:21]
	ds_load_b128 v[2:5], v1 offset:2032
	v_fma_f64 v[8:9], v[8:9], v[22:23], v[16:17]
	v_fma_f64 v[6:7], v[6:7], v[22:23], -v[24:25]
	s_waitcnt vmcnt(1) lgkmcnt(0)
	v_mul_f64 v[20:21], v[4:5], v[28:29]
	v_add_f64 v[10:11], v[10:11], v[14:15]
	v_add_f64 v[12:13], v[12:13], v[34:35]
	v_mul_f64 v[14:15], v[2:3], v[28:29]
	s_delay_alu instid0(VALU_DEP_4) | instskip(NEXT) | instid1(VALU_DEP_4)
	v_fma_f64 v[2:3], v[2:3], v[26:27], -v[20:21]
	v_add_f64 v[10:11], v[10:11], v[18:19]
	s_delay_alu instid0(VALU_DEP_4) | instskip(NEXT) | instid1(VALU_DEP_4)
	v_add_f64 v[12:13], v[12:13], v[30:31]
	v_fma_f64 v[4:5], v[4:5], v[26:27], v[14:15]
	s_delay_alu instid0(VALU_DEP_3) | instskip(NEXT) | instid1(VALU_DEP_3)
	v_add_f64 v[6:7], v[10:11], v[6:7]
	v_add_f64 v[8:9], v[12:13], v[8:9]
	s_delay_alu instid0(VALU_DEP_2) | instskip(NEXT) | instid1(VALU_DEP_2)
	v_add_f64 v[2:3], v[6:7], v[2:3]
	v_add_f64 v[4:5], v[8:9], v[4:5]
	s_waitcnt vmcnt(0)
	s_delay_alu instid0(VALU_DEP_2) | instskip(NEXT) | instid1(VALU_DEP_2)
	v_add_f64 v[2:3], v[38:39], -v[2:3]
	v_add_f64 v[4:5], v[40:41], -v[4:5]
	scratch_store_b128 off, v[2:5], off offset:896
	v_cmpx_lt_u32_e32 55, v178
	s_cbranch_execz .LBB63_298
; %bb.297:
	scratch_load_b32 v2, off, off offset:1052 ; 4-byte Folded Reload
	v_mov_b32_e32 v3, v1
	v_mov_b32_e32 v4, v1
	s_waitcnt vmcnt(0)
	scratch_load_b128 v[5:8], v2, off
	v_mov_b32_e32 v2, v1
	scratch_store_b128 off, v[1:4], off offset:880
	s_waitcnt vmcnt(0)
	ds_store_b128 v242, v[5:8]
.LBB63_298:
	s_or_b32 exec_lo, exec_lo, s2
	s_waitcnt lgkmcnt(0)
	s_waitcnt_vscnt null, 0x0
	s_barrier
	buffer_gl0_inv
	s_clause 0x7
	scratch_load_b128 v[2:5], off, off offset:896
	scratch_load_b128 v[6:9], off, off offset:912
	scratch_load_b128 v[10:13], off, off offset:928
	scratch_load_b128 v[14:17], off, off offset:944
	scratch_load_b128 v[18:21], off, off offset:960
	scratch_load_b128 v[22:25], off, off offset:976
	scratch_load_b128 v[26:29], off, off offset:992
	scratch_load_b128 v[30:33], off, off offset:1008
	ds_load_b128 v[34:37], v1 offset:1920
	ds_load_b128 v[38:41], v1 offset:1936
	scratch_load_b128 v[42:45], off, off offset:880
	s_mov_b32 s2, exec_lo
	s_waitcnt vmcnt(8) lgkmcnt(1)
	v_mul_f64 v[46:47], v[36:37], v[4:5]
	v_mul_f64 v[4:5], v[34:35], v[4:5]
	s_waitcnt vmcnt(7) lgkmcnt(0)
	v_mul_f64 v[48:49], v[38:39], v[8:9]
	v_mul_f64 v[8:9], v[40:41], v[8:9]
	s_delay_alu instid0(VALU_DEP_4) | instskip(NEXT) | instid1(VALU_DEP_4)
	v_fma_f64 v[46:47], v[34:35], v[2:3], -v[46:47]
	v_fma_f64 v[54:55], v[36:37], v[2:3], v[4:5]
	ds_load_b128 v[2:5], v1 offset:1952
	ds_load_b128 v[34:37], v1 offset:1968
	v_fma_f64 v[40:41], v[40:41], v[6:7], v[48:49]
	v_fma_f64 v[6:7], v[38:39], v[6:7], -v[8:9]
	s_waitcnt vmcnt(6) lgkmcnt(1)
	v_mul_f64 v[56:57], v[2:3], v[12:13]
	v_mul_f64 v[12:13], v[4:5], v[12:13]
	v_add_f64 v[8:9], v[46:47], 0
	v_add_f64 v[38:39], v[54:55], 0
	s_waitcnt vmcnt(5) lgkmcnt(0)
	v_mul_f64 v[46:47], v[34:35], v[16:17]
	v_mul_f64 v[16:17], v[36:37], v[16:17]
	v_fma_f64 v[48:49], v[4:5], v[10:11], v[56:57]
	v_fma_f64 v[10:11], v[2:3], v[10:11], -v[12:13]
	v_add_f64 v[12:13], v[8:9], v[6:7]
	v_add_f64 v[38:39], v[38:39], v[40:41]
	ds_load_b128 v[2:5], v1 offset:1984
	ds_load_b128 v[6:9], v1 offset:2000
	v_fma_f64 v[36:37], v[36:37], v[14:15], v[46:47]
	v_fma_f64 v[14:15], v[34:35], v[14:15], -v[16:17]
	s_waitcnt vmcnt(4) lgkmcnt(1)
	v_mul_f64 v[40:41], v[2:3], v[20:21]
	v_mul_f64 v[20:21], v[4:5], v[20:21]
	s_waitcnt vmcnt(3) lgkmcnt(0)
	v_mul_f64 v[16:17], v[6:7], v[24:25]
	v_mul_f64 v[24:25], v[8:9], v[24:25]
	v_add_f64 v[10:11], v[12:13], v[10:11]
	v_add_f64 v[12:13], v[38:39], v[48:49]
	v_fma_f64 v[34:35], v[4:5], v[18:19], v[40:41]
	v_fma_f64 v[18:19], v[2:3], v[18:19], -v[20:21]
	v_fma_f64 v[8:9], v[8:9], v[22:23], v[16:17]
	v_fma_f64 v[6:7], v[6:7], v[22:23], -v[24:25]
	v_add_f64 v[14:15], v[10:11], v[14:15]
	v_add_f64 v[20:21], v[12:13], v[36:37]
	ds_load_b128 v[2:5], v1 offset:2016
	ds_load_b128 v[10:13], v1 offset:2032
	s_waitcnt vmcnt(2) lgkmcnt(1)
	v_mul_f64 v[36:37], v[2:3], v[28:29]
	v_mul_f64 v[28:29], v[4:5], v[28:29]
	v_add_f64 v[14:15], v[14:15], v[18:19]
	v_add_f64 v[16:17], v[20:21], v[34:35]
	s_waitcnt vmcnt(1) lgkmcnt(0)
	v_mul_f64 v[18:19], v[10:11], v[32:33]
	v_mul_f64 v[20:21], v[12:13], v[32:33]
	v_fma_f64 v[4:5], v[4:5], v[26:27], v[36:37]
	v_fma_f64 v[1:2], v[2:3], v[26:27], -v[28:29]
	v_add_f64 v[6:7], v[14:15], v[6:7]
	v_add_f64 v[8:9], v[16:17], v[8:9]
	v_fma_f64 v[12:13], v[12:13], v[30:31], v[18:19]
	v_fma_f64 v[10:11], v[10:11], v[30:31], -v[20:21]
	s_delay_alu instid0(VALU_DEP_4) | instskip(NEXT) | instid1(VALU_DEP_4)
	v_add_f64 v[1:2], v[6:7], v[1:2]
	v_add_f64 v[3:4], v[8:9], v[4:5]
	s_delay_alu instid0(VALU_DEP_2) | instskip(NEXT) | instid1(VALU_DEP_2)
	v_add_f64 v[1:2], v[1:2], v[10:11]
	v_add_f64 v[3:4], v[3:4], v[12:13]
	s_waitcnt vmcnt(0)
	s_delay_alu instid0(VALU_DEP_2) | instskip(NEXT) | instid1(VALU_DEP_2)
	v_add_f64 v[1:2], v[42:43], -v[1:2]
	v_add_f64 v[3:4], v[44:45], -v[3:4]
	scratch_store_b128 off, v[1:4], off offset:880
	v_cmpx_lt_u32_e32 54, v178
	s_cbranch_execz .LBB63_300
; %bb.299:
	scratch_load_b32 v1, off, off offset:1056 ; 4-byte Folded Reload
	v_mov_b32_e32 v5, 0
	s_delay_alu instid0(VALU_DEP_1)
	v_mov_b32_e32 v6, v5
	v_mov_b32_e32 v7, v5
	;; [unrolled: 1-line block ×3, first 2 shown]
	s_waitcnt vmcnt(0)
	scratch_load_b128 v[1:4], v1, off
	scratch_store_b128 off, v[5:8], off offset:864
	s_waitcnt vmcnt(0)
	ds_store_b128 v242, v[1:4]
.LBB63_300:
	s_or_b32 exec_lo, exec_lo, s2
	s_waitcnt lgkmcnt(0)
	s_waitcnt_vscnt null, 0x0
	s_barrier
	buffer_gl0_inv
	s_clause 0x7
	scratch_load_b128 v[2:5], off, off offset:880
	scratch_load_b128 v[6:9], off, off offset:896
	;; [unrolled: 1-line block ×8, first 2 shown]
	v_mov_b32_e32 v1, 0
	s_mov_b32 s2, exec_lo
	ds_load_b128 v[34:37], v1 offset:1904
	s_clause 0x1
	scratch_load_b128 v[38:41], off, off offset:1008
	scratch_load_b128 v[42:45], off, off offset:864
	ds_load_b128 v[46:49], v1 offset:1920
	s_waitcnt vmcnt(9) lgkmcnt(1)
	v_mul_f64 v[54:55], v[36:37], v[4:5]
	v_mul_f64 v[4:5], v[34:35], v[4:5]
	s_waitcnt vmcnt(8) lgkmcnt(0)
	v_mul_f64 v[56:57], v[46:47], v[8:9]
	v_mul_f64 v[8:9], v[48:49], v[8:9]
	s_delay_alu instid0(VALU_DEP_4) | instskip(NEXT) | instid1(VALU_DEP_4)
	v_fma_f64 v[54:55], v[34:35], v[2:3], -v[54:55]
	v_fma_f64 v[58:59], v[36:37], v[2:3], v[4:5]
	ds_load_b128 v[2:5], v1 offset:1936
	ds_load_b128 v[34:37], v1 offset:1952
	v_fma_f64 v[48:49], v[48:49], v[6:7], v[56:57]
	v_fma_f64 v[6:7], v[46:47], v[6:7], -v[8:9]
	s_waitcnt vmcnt(7) lgkmcnt(1)
	v_mul_f64 v[60:61], v[2:3], v[12:13]
	v_mul_f64 v[12:13], v[4:5], v[12:13]
	v_add_f64 v[8:9], v[54:55], 0
	v_add_f64 v[46:47], v[58:59], 0
	s_waitcnt vmcnt(6) lgkmcnt(0)
	v_mul_f64 v[54:55], v[34:35], v[16:17]
	v_mul_f64 v[16:17], v[36:37], v[16:17]
	v_fma_f64 v[56:57], v[4:5], v[10:11], v[60:61]
	v_fma_f64 v[10:11], v[2:3], v[10:11], -v[12:13]
	v_add_f64 v[12:13], v[8:9], v[6:7]
	v_add_f64 v[46:47], v[46:47], v[48:49]
	ds_load_b128 v[2:5], v1 offset:1968
	ds_load_b128 v[6:9], v1 offset:1984
	v_fma_f64 v[36:37], v[36:37], v[14:15], v[54:55]
	v_fma_f64 v[14:15], v[34:35], v[14:15], -v[16:17]
	s_waitcnt vmcnt(5) lgkmcnt(1)
	v_mul_f64 v[48:49], v[2:3], v[20:21]
	v_mul_f64 v[20:21], v[4:5], v[20:21]
	s_waitcnt vmcnt(4) lgkmcnt(0)
	v_mul_f64 v[16:17], v[6:7], v[24:25]
	v_mul_f64 v[24:25], v[8:9], v[24:25]
	v_add_f64 v[10:11], v[12:13], v[10:11]
	v_add_f64 v[12:13], v[46:47], v[56:57]
	v_fma_f64 v[34:35], v[4:5], v[18:19], v[48:49]
	v_fma_f64 v[18:19], v[2:3], v[18:19], -v[20:21]
	v_fma_f64 v[8:9], v[8:9], v[22:23], v[16:17]
	v_fma_f64 v[6:7], v[6:7], v[22:23], -v[24:25]
	v_add_f64 v[14:15], v[10:11], v[14:15]
	v_add_f64 v[20:21], v[12:13], v[36:37]
	ds_load_b128 v[2:5], v1 offset:2000
	ds_load_b128 v[10:13], v1 offset:2016
	s_waitcnt vmcnt(3) lgkmcnt(1)
	v_mul_f64 v[36:37], v[2:3], v[28:29]
	v_mul_f64 v[28:29], v[4:5], v[28:29]
	v_add_f64 v[14:15], v[14:15], v[18:19]
	v_add_f64 v[16:17], v[20:21], v[34:35]
	s_waitcnt vmcnt(2) lgkmcnt(0)
	v_mul_f64 v[18:19], v[10:11], v[32:33]
	v_mul_f64 v[20:21], v[12:13], v[32:33]
	v_fma_f64 v[22:23], v[4:5], v[26:27], v[36:37]
	v_fma_f64 v[24:25], v[2:3], v[26:27], -v[28:29]
	ds_load_b128 v[2:5], v1 offset:2032
	v_add_f64 v[6:7], v[14:15], v[6:7]
	v_add_f64 v[8:9], v[16:17], v[8:9]
	v_fma_f64 v[12:13], v[12:13], v[30:31], v[18:19]
	v_fma_f64 v[10:11], v[10:11], v[30:31], -v[20:21]
	s_waitcnt vmcnt(1) lgkmcnt(0)
	v_mul_f64 v[14:15], v[2:3], v[40:41]
	v_mul_f64 v[16:17], v[4:5], v[40:41]
	v_add_f64 v[6:7], v[6:7], v[24:25]
	v_add_f64 v[8:9], v[8:9], v[22:23]
	s_delay_alu instid0(VALU_DEP_4) | instskip(NEXT) | instid1(VALU_DEP_4)
	v_fma_f64 v[4:5], v[4:5], v[38:39], v[14:15]
	v_fma_f64 v[2:3], v[2:3], v[38:39], -v[16:17]
	s_delay_alu instid0(VALU_DEP_4) | instskip(NEXT) | instid1(VALU_DEP_4)
	v_add_f64 v[6:7], v[6:7], v[10:11]
	v_add_f64 v[8:9], v[8:9], v[12:13]
	s_delay_alu instid0(VALU_DEP_2) | instskip(NEXT) | instid1(VALU_DEP_2)
	v_add_f64 v[2:3], v[6:7], v[2:3]
	v_add_f64 v[4:5], v[8:9], v[4:5]
	s_waitcnt vmcnt(0)
	s_delay_alu instid0(VALU_DEP_2) | instskip(NEXT) | instid1(VALU_DEP_2)
	v_add_f64 v[2:3], v[42:43], -v[2:3]
	v_add_f64 v[4:5], v[44:45], -v[4:5]
	scratch_store_b128 off, v[2:5], off offset:864
	v_cmpx_lt_u32_e32 53, v178
	s_cbranch_execz .LBB63_302
; %bb.301:
	scratch_load_b32 v2, off, off offset:1060 ; 4-byte Folded Reload
	v_mov_b32_e32 v3, v1
	v_mov_b32_e32 v4, v1
	s_waitcnt vmcnt(0)
	scratch_load_b128 v[5:8], v2, off
	v_mov_b32_e32 v2, v1
	scratch_store_b128 off, v[1:4], off offset:848
	s_waitcnt vmcnt(0)
	ds_store_b128 v242, v[5:8]
.LBB63_302:
	s_or_b32 exec_lo, exec_lo, s2
	s_waitcnt lgkmcnt(0)
	s_waitcnt_vscnt null, 0x0
	s_barrier
	buffer_gl0_inv
	s_clause 0x4
	scratch_load_b128 v[2:5], off, off offset:864
	scratch_load_b128 v[6:9], off, off offset:880
	;; [unrolled: 1-line block ×5, first 2 shown]
	ds_load_b128 v[22:25], v1 offset:1888
	ds_load_b128 v[26:29], v1 offset:1904
	scratch_load_b128 v[30:33], off, off offset:848
	s_mov_b32 s2, exec_lo
	s_waitcnt vmcnt(5) lgkmcnt(1)
	v_mul_f64 v[34:35], v[24:25], v[4:5]
	v_mul_f64 v[4:5], v[22:23], v[4:5]
	s_waitcnt vmcnt(4) lgkmcnt(0)
	v_mul_f64 v[36:37], v[26:27], v[8:9]
	v_mul_f64 v[8:9], v[28:29], v[8:9]
	s_delay_alu instid0(VALU_DEP_4) | instskip(NEXT) | instid1(VALU_DEP_4)
	v_fma_f64 v[22:23], v[22:23], v[2:3], -v[34:35]
	v_fma_f64 v[24:25], v[24:25], v[2:3], v[4:5]
	ds_load_b128 v[2:5], v1 offset:1920
	v_fma_f64 v[28:29], v[28:29], v[6:7], v[36:37]
	v_fma_f64 v[26:27], v[26:27], v[6:7], -v[8:9]
	ds_load_b128 v[6:9], v1 offset:1936
	s_waitcnt vmcnt(3) lgkmcnt(1)
	v_mul_f64 v[34:35], v[2:3], v[12:13]
	v_mul_f64 v[12:13], v[4:5], v[12:13]
	s_waitcnt vmcnt(2) lgkmcnt(0)
	v_mul_f64 v[36:37], v[6:7], v[16:17]
	s_delay_alu instid0(VALU_DEP_3) | instskip(NEXT) | instid1(VALU_DEP_3)
	v_fma_f64 v[34:35], v[4:5], v[10:11], v[34:35]
	v_fma_f64 v[38:39], v[2:3], v[10:11], -v[12:13]
	v_mul_f64 v[10:11], v[8:9], v[16:17]
	ds_load_b128 v[2:5], v1 offset:1952
	v_fma_f64 v[36:37], v[8:9], v[14:15], v[36:37]
	v_fma_f64 v[14:15], v[6:7], v[14:15], -v[10:11]
	ds_load_b128 v[6:9], v1 offset:1968
	s_waitcnt vmcnt(1) lgkmcnt(1)
	v_mul_f64 v[10:11], v[2:3], v[20:21]
	v_mul_f64 v[12:13], v[4:5], v[20:21]
	s_delay_alu instid0(VALU_DEP_2) | instskip(NEXT) | instid1(VALU_DEP_2)
	v_fma_f64 v[20:21], v[4:5], v[18:19], v[10:11]
	v_fma_f64 v[18:19], v[2:3], v[18:19], -v[12:13]
	s_clause 0x1
	scratch_load_b128 v[2:5], off, off offset:944
	scratch_load_b128 v[10:13], off, off offset:960
	s_waitcnt vmcnt(1) lgkmcnt(0)
	v_mul_f64 v[16:17], v[6:7], v[4:5]
	v_mul_f64 v[4:5], v[8:9], v[4:5]
	s_delay_alu instid0(VALU_DEP_2) | instskip(NEXT) | instid1(VALU_DEP_2)
	v_fma_f64 v[40:41], v[8:9], v[2:3], v[16:17]
	v_fma_f64 v[42:43], v[6:7], v[2:3], -v[4:5]
	ds_load_b128 v[2:5], v1 offset:1984
	ds_load_b128 v[6:9], v1 offset:2000
	s_waitcnt vmcnt(0) lgkmcnt(1)
	v_mul_f64 v[16:17], v[2:3], v[12:13]
	s_delay_alu instid0(VALU_DEP_1) | instskip(SKIP_1) | instid1(VALU_DEP_1)
	v_fma_f64 v[44:45], v[4:5], v[10:11], v[16:17]
	v_mul_f64 v[4:5], v[4:5], v[12:13]
	v_fma_f64 v[46:47], v[2:3], v[10:11], -v[4:5]
	v_add_f64 v[2:3], v[22:23], 0
	v_add_f64 v[10:11], v[24:25], 0
	s_delay_alu instid0(VALU_DEP_2)
	v_add_f64 v[12:13], v[2:3], v[26:27]
	scratch_load_b128 v[2:5], off, off offset:976
	v_add_f64 v[16:17], v[10:11], v[28:29]
	v_add_f64 v[22:23], v[12:13], v[38:39]
	scratch_load_b128 v[10:13], off, off offset:992
	v_add_f64 v[24:25], v[16:17], v[34:35]
	;; [unrolled: 3-line block ×3, first 2 shown]
	v_add_f64 v[18:19], v[22:23], v[18:19]
	s_delay_alu instid0(VALU_DEP_2) | instskip(NEXT) | instid1(VALU_DEP_2)
	v_add_f64 v[20:21], v[24:25], v[20:21]
	v_add_f64 v[28:29], v[18:19], v[42:43]
	s_delay_alu instid0(VALU_DEP_2)
	v_add_f64 v[34:35], v[20:21], v[40:41]
	ds_load_b128 v[18:21], v1 offset:2016
	ds_load_b128 v[22:25], v1 offset:2032
	s_waitcnt vmcnt(2) lgkmcnt(2)
	v_mul_f64 v[26:27], v[6:7], v[4:5]
	v_mul_f64 v[4:5], v[8:9], v[4:5]
	s_waitcnt vmcnt(1) lgkmcnt(1)
	v_mul_f64 v[36:37], v[18:19], v[12:13]
	s_delay_alu instid0(VALU_DEP_3) | instskip(NEXT) | instid1(VALU_DEP_3)
	v_fma_f64 v[8:9], v[8:9], v[2:3], v[26:27]
	v_fma_f64 v[1:2], v[6:7], v[2:3], -v[4:5]
	v_mul_f64 v[3:4], v[20:21], v[12:13]
	v_add_f64 v[5:6], v[28:29], v[46:47]
	v_add_f64 v[12:13], v[34:35], v[44:45]
	s_waitcnt vmcnt(0) lgkmcnt(0)
	v_mul_f64 v[26:27], v[22:23], v[16:17]
	v_mul_f64 v[16:17], v[24:25], v[16:17]
	v_fma_f64 v[20:21], v[20:21], v[10:11], v[36:37]
	v_fma_f64 v[3:4], v[18:19], v[10:11], -v[3:4]
	v_add_f64 v[1:2], v[5:6], v[1:2]
	v_add_f64 v[5:6], v[12:13], v[8:9]
	v_fma_f64 v[7:8], v[24:25], v[14:15], v[26:27]
	v_fma_f64 v[9:10], v[22:23], v[14:15], -v[16:17]
	s_delay_alu instid0(VALU_DEP_4) | instskip(NEXT) | instid1(VALU_DEP_4)
	v_add_f64 v[1:2], v[1:2], v[3:4]
	v_add_f64 v[3:4], v[5:6], v[20:21]
	s_delay_alu instid0(VALU_DEP_2) | instskip(NEXT) | instid1(VALU_DEP_2)
	v_add_f64 v[1:2], v[1:2], v[9:10]
	v_add_f64 v[3:4], v[3:4], v[7:8]
	s_delay_alu instid0(VALU_DEP_2) | instskip(NEXT) | instid1(VALU_DEP_2)
	v_add_f64 v[1:2], v[30:31], -v[1:2]
	v_add_f64 v[3:4], v[32:33], -v[3:4]
	scratch_store_b128 off, v[1:4], off offset:848
	v_cmpx_lt_u32_e32 52, v178
	s_cbranch_execz .LBB63_304
; %bb.303:
	scratch_load_b32 v1, off, off offset:1064 ; 4-byte Folded Reload
	v_mov_b32_e32 v5, 0
	s_delay_alu instid0(VALU_DEP_1)
	v_mov_b32_e32 v6, v5
	v_mov_b32_e32 v7, v5
	;; [unrolled: 1-line block ×3, first 2 shown]
	s_waitcnt vmcnt(0)
	scratch_load_b128 v[1:4], v1, off
	scratch_store_b128 off, v[5:8], off offset:832
	s_waitcnt vmcnt(0)
	ds_store_b128 v242, v[1:4]
.LBB63_304:
	s_or_b32 exec_lo, exec_lo, s2
	s_waitcnt lgkmcnt(0)
	s_waitcnt_vscnt null, 0x0
	s_barrier
	buffer_gl0_inv
	s_clause 0x4
	scratch_load_b128 v[2:5], off, off offset:848
	scratch_load_b128 v[6:9], off, off offset:864
	scratch_load_b128 v[10:13], off, off offset:880
	scratch_load_b128 v[14:17], off, off offset:896
	scratch_load_b128 v[18:21], off, off offset:912
	v_mov_b32_e32 v1, 0
	scratch_load_b128 v[26:29], off, off offset:832
	s_mov_b32 s2, exec_lo
	ds_load_b128 v[22:25], v1 offset:1872
	ds_load_b128 v[30:33], v1 offset:1888
	s_waitcnt vmcnt(5) lgkmcnt(1)
	v_mul_f64 v[34:35], v[24:25], v[4:5]
	v_mul_f64 v[4:5], v[22:23], v[4:5]
	s_waitcnt vmcnt(4) lgkmcnt(0)
	v_mul_f64 v[36:37], v[30:31], v[8:9]
	v_mul_f64 v[8:9], v[32:33], v[8:9]
	s_delay_alu instid0(VALU_DEP_4) | instskip(NEXT) | instid1(VALU_DEP_4)
	v_fma_f64 v[22:23], v[22:23], v[2:3], -v[34:35]
	v_fma_f64 v[24:25], v[24:25], v[2:3], v[4:5]
	ds_load_b128 v[2:5], v1 offset:1904
	v_fma_f64 v[32:33], v[32:33], v[6:7], v[36:37]
	v_fma_f64 v[30:31], v[30:31], v[6:7], -v[8:9]
	ds_load_b128 v[6:9], v1 offset:1920
	s_waitcnt vmcnt(3) lgkmcnt(1)
	v_mul_f64 v[34:35], v[2:3], v[12:13]
	v_mul_f64 v[12:13], v[4:5], v[12:13]
	s_waitcnt vmcnt(2) lgkmcnt(0)
	v_mul_f64 v[36:37], v[6:7], v[16:17]
	s_delay_alu instid0(VALU_DEP_3) | instskip(NEXT) | instid1(VALU_DEP_3)
	v_fma_f64 v[34:35], v[4:5], v[10:11], v[34:35]
	v_fma_f64 v[38:39], v[2:3], v[10:11], -v[12:13]
	v_mul_f64 v[10:11], v[8:9], v[16:17]
	ds_load_b128 v[2:5], v1 offset:1936
	v_fma_f64 v[36:37], v[8:9], v[14:15], v[36:37]
	v_fma_f64 v[14:15], v[6:7], v[14:15], -v[10:11]
	ds_load_b128 v[6:9], v1 offset:1952
	s_waitcnt vmcnt(1) lgkmcnt(1)
	v_mul_f64 v[10:11], v[2:3], v[20:21]
	v_mul_f64 v[12:13], v[4:5], v[20:21]
	s_delay_alu instid0(VALU_DEP_2) | instskip(NEXT) | instid1(VALU_DEP_2)
	v_fma_f64 v[40:41], v[4:5], v[18:19], v[10:11]
	v_fma_f64 v[18:19], v[2:3], v[18:19], -v[12:13]
	s_clause 0x1
	scratch_load_b128 v[2:5], off, off offset:928
	scratch_load_b128 v[10:13], off, off offset:944
	s_waitcnt vmcnt(1) lgkmcnt(0)
	v_mul_f64 v[16:17], v[6:7], v[4:5]
	v_mul_f64 v[4:5], v[8:9], v[4:5]
	s_delay_alu instid0(VALU_DEP_2) | instskip(NEXT) | instid1(VALU_DEP_2)
	v_fma_f64 v[42:43], v[8:9], v[2:3], v[16:17]
	v_fma_f64 v[44:45], v[6:7], v[2:3], -v[4:5]
	ds_load_b128 v[2:5], v1 offset:1968
	ds_load_b128 v[6:9], v1 offset:1984
	s_waitcnt vmcnt(0) lgkmcnt(1)
	v_mul_f64 v[16:17], v[2:3], v[12:13]
	s_delay_alu instid0(VALU_DEP_1) | instskip(SKIP_2) | instid1(VALU_DEP_2)
	v_fma_f64 v[46:47], v[4:5], v[10:11], v[16:17]
	v_mul_f64 v[4:5], v[4:5], v[12:13]
	v_add_f64 v[12:13], v[24:25], 0
	v_fma_f64 v[48:49], v[2:3], v[10:11], -v[4:5]
	v_add_f64 v[2:3], v[22:23], 0
	s_delay_alu instid0(VALU_DEP_3) | instskip(NEXT) | instid1(VALU_DEP_2)
	v_add_f64 v[16:17], v[12:13], v[32:33]
	v_add_f64 v[10:11], v[2:3], v[30:31]
	scratch_load_b128 v[2:5], off, off offset:960
	v_add_f64 v[22:23], v[16:17], v[34:35]
	v_add_f64 v[20:21], v[10:11], v[38:39]
	scratch_load_b128 v[10:13], off, off offset:976
	;; [unrolled: 3-line block ×4, first 2 shown]
	v_add_f64 v[22:23], v[22:23], v[42:43]
	v_add_f64 v[24:25], v[24:25], v[44:45]
	s_delay_alu instid0(VALU_DEP_2) | instskip(NEXT) | instid1(VALU_DEP_2)
	v_add_f64 v[22:23], v[22:23], v[46:47]
	v_add_f64 v[24:25], v[24:25], v[48:49]
	s_waitcnt vmcnt(3) lgkmcnt(0)
	v_mul_f64 v[30:31], v[6:7], v[4:5]
	v_mul_f64 v[4:5], v[8:9], v[4:5]
	s_delay_alu instid0(VALU_DEP_2) | instskip(NEXT) | instid1(VALU_DEP_2)
	v_fma_f64 v[30:31], v[8:9], v[2:3], v[30:31]
	v_fma_f64 v[32:33], v[6:7], v[2:3], -v[4:5]
	ds_load_b128 v[2:5], v1 offset:2000
	ds_load_b128 v[6:9], v1 offset:2016
	s_waitcnt vmcnt(2) lgkmcnt(1)
	v_mul_f64 v[34:35], v[2:3], v[12:13]
	v_mul_f64 v[12:13], v[4:5], v[12:13]
	s_waitcnt vmcnt(1) lgkmcnt(0)
	v_mul_f64 v[36:37], v[6:7], v[16:17]
	v_add_f64 v[22:23], v[22:23], v[30:31]
	s_delay_alu instid0(VALU_DEP_4) | instskip(NEXT) | instid1(VALU_DEP_4)
	v_fma_f64 v[34:35], v[4:5], v[10:11], v[34:35]
	v_fma_f64 v[10:11], v[2:3], v[10:11], -v[12:13]
	v_mul_f64 v[12:13], v[8:9], v[16:17]
	v_add_f64 v[16:17], v[24:25], v[32:33]
	ds_load_b128 v[2:5], v1 offset:2032
	v_fma_f64 v[8:9], v[8:9], v[14:15], v[36:37]
	s_waitcnt vmcnt(0) lgkmcnt(0)
	v_mul_f64 v[24:25], v[2:3], v[20:21]
	v_mul_f64 v[20:21], v[4:5], v[20:21]
	v_fma_f64 v[6:7], v[6:7], v[14:15], -v[12:13]
	v_add_f64 v[10:11], v[16:17], v[10:11]
	v_add_f64 v[12:13], v[22:23], v[34:35]
	v_fma_f64 v[4:5], v[4:5], v[18:19], v[24:25]
	v_fma_f64 v[2:3], v[2:3], v[18:19], -v[20:21]
	s_delay_alu instid0(VALU_DEP_4) | instskip(NEXT) | instid1(VALU_DEP_4)
	v_add_f64 v[6:7], v[10:11], v[6:7]
	v_add_f64 v[8:9], v[12:13], v[8:9]
	s_delay_alu instid0(VALU_DEP_2) | instskip(NEXT) | instid1(VALU_DEP_2)
	v_add_f64 v[2:3], v[6:7], v[2:3]
	v_add_f64 v[4:5], v[8:9], v[4:5]
	s_delay_alu instid0(VALU_DEP_2) | instskip(NEXT) | instid1(VALU_DEP_2)
	v_add_f64 v[2:3], v[26:27], -v[2:3]
	v_add_f64 v[4:5], v[28:29], -v[4:5]
	scratch_store_b128 off, v[2:5], off offset:832
	v_cmpx_lt_u32_e32 51, v178
	s_cbranch_execz .LBB63_306
; %bb.305:
	scratch_load_b32 v2, off, off offset:1068 ; 4-byte Folded Reload
	v_mov_b32_e32 v3, v1
	v_mov_b32_e32 v4, v1
	s_waitcnt vmcnt(0)
	scratch_load_b128 v[5:8], v2, off
	v_mov_b32_e32 v2, v1
	scratch_store_b128 off, v[1:4], off offset:816
	s_waitcnt vmcnt(0)
	ds_store_b128 v242, v[5:8]
.LBB63_306:
	s_or_b32 exec_lo, exec_lo, s2
	s_waitcnt lgkmcnt(0)
	s_waitcnt_vscnt null, 0x0
	s_barrier
	buffer_gl0_inv
	s_clause 0x4
	scratch_load_b128 v[2:5], off, off offset:832
	scratch_load_b128 v[6:9], off, off offset:848
	;; [unrolled: 1-line block ×5, first 2 shown]
	ds_load_b128 v[22:25], v1 offset:1856
	ds_load_b128 v[26:29], v1 offset:1872
	scratch_load_b128 v[30:33], off, off offset:816
	s_mov_b32 s2, exec_lo
	s_waitcnt vmcnt(5) lgkmcnt(1)
	v_mul_f64 v[34:35], v[24:25], v[4:5]
	v_mul_f64 v[4:5], v[22:23], v[4:5]
	s_waitcnt vmcnt(4) lgkmcnt(0)
	v_mul_f64 v[36:37], v[26:27], v[8:9]
	v_mul_f64 v[8:9], v[28:29], v[8:9]
	s_delay_alu instid0(VALU_DEP_4) | instskip(NEXT) | instid1(VALU_DEP_4)
	v_fma_f64 v[22:23], v[22:23], v[2:3], -v[34:35]
	v_fma_f64 v[24:25], v[24:25], v[2:3], v[4:5]
	ds_load_b128 v[2:5], v1 offset:1888
	v_fma_f64 v[28:29], v[28:29], v[6:7], v[36:37]
	v_fma_f64 v[26:27], v[26:27], v[6:7], -v[8:9]
	ds_load_b128 v[6:9], v1 offset:1904
	s_waitcnt vmcnt(3) lgkmcnt(1)
	v_mul_f64 v[34:35], v[2:3], v[12:13]
	v_mul_f64 v[12:13], v[4:5], v[12:13]
	s_waitcnt vmcnt(2) lgkmcnt(0)
	v_mul_f64 v[36:37], v[6:7], v[16:17]
	s_delay_alu instid0(VALU_DEP_3) | instskip(NEXT) | instid1(VALU_DEP_3)
	v_fma_f64 v[34:35], v[4:5], v[10:11], v[34:35]
	v_fma_f64 v[38:39], v[2:3], v[10:11], -v[12:13]
	v_mul_f64 v[10:11], v[8:9], v[16:17]
	ds_load_b128 v[2:5], v1 offset:1920
	v_fma_f64 v[16:17], v[8:9], v[14:15], v[36:37]
	v_fma_f64 v[14:15], v[6:7], v[14:15], -v[10:11]
	ds_load_b128 v[6:9], v1 offset:1936
	s_waitcnt vmcnt(1) lgkmcnt(1)
	v_mul_f64 v[10:11], v[2:3], v[20:21]
	v_mul_f64 v[12:13], v[4:5], v[20:21]
	s_delay_alu instid0(VALU_DEP_2) | instskip(NEXT) | instid1(VALU_DEP_2)
	v_fma_f64 v[20:21], v[4:5], v[18:19], v[10:11]
	v_fma_f64 v[18:19], v[2:3], v[18:19], -v[12:13]
	s_clause 0x1
	scratch_load_b128 v[2:5], off, off offset:912
	scratch_load_b128 v[10:13], off, off offset:928
	s_waitcnt vmcnt(1) lgkmcnt(0)
	v_mul_f64 v[36:37], v[6:7], v[4:5]
	v_mul_f64 v[4:5], v[8:9], v[4:5]
	s_delay_alu instid0(VALU_DEP_2) | instskip(NEXT) | instid1(VALU_DEP_2)
	v_fma_f64 v[36:37], v[8:9], v[2:3], v[36:37]
	v_fma_f64 v[40:41], v[6:7], v[2:3], -v[4:5]
	ds_load_b128 v[2:5], v1 offset:1952
	ds_load_b128 v[6:9], v1 offset:1968
	s_waitcnt vmcnt(0) lgkmcnt(1)
	v_mul_f64 v[42:43], v[2:3], v[12:13]
	s_delay_alu instid0(VALU_DEP_1) | instskip(SKIP_1) | instid1(VALU_DEP_1)
	v_fma_f64 v[42:43], v[4:5], v[10:11], v[42:43]
	v_mul_f64 v[4:5], v[4:5], v[12:13]
	v_fma_f64 v[44:45], v[2:3], v[10:11], -v[4:5]
	s_clause 0x1
	scratch_load_b128 v[2:5], off, off offset:944
	scratch_load_b128 v[10:13], off, off offset:960
	s_waitcnt vmcnt(1) lgkmcnt(0)
	v_mul_f64 v[46:47], v[6:7], v[4:5]
	v_mul_f64 v[4:5], v[8:9], v[4:5]
	s_delay_alu instid0(VALU_DEP_2) | instskip(NEXT) | instid1(VALU_DEP_2)
	v_fma_f64 v[46:47], v[8:9], v[2:3], v[46:47]
	v_fma_f64 v[48:49], v[6:7], v[2:3], -v[4:5]
	ds_load_b128 v[2:5], v1 offset:1984
	ds_load_b128 v[6:9], v1 offset:2000
	s_waitcnt vmcnt(0) lgkmcnt(1)
	v_mul_f64 v[54:55], v[2:3], v[12:13]
	s_delay_alu instid0(VALU_DEP_1) | instskip(SKIP_1) | instid1(VALU_DEP_1)
	v_fma_f64 v[54:55], v[4:5], v[10:11], v[54:55]
	v_mul_f64 v[4:5], v[4:5], v[12:13]
	v_fma_f64 v[56:57], v[2:3], v[10:11], -v[4:5]
	v_add_f64 v[2:3], v[22:23], 0
	v_add_f64 v[4:5], v[24:25], 0
	s_delay_alu instid0(VALU_DEP_2) | instskip(NEXT) | instid1(VALU_DEP_2)
	v_add_f64 v[2:3], v[2:3], v[26:27]
	v_add_f64 v[4:5], v[4:5], v[28:29]
	s_delay_alu instid0(VALU_DEP_2) | instskip(NEXT) | instid1(VALU_DEP_2)
	v_add_f64 v[2:3], v[2:3], v[38:39]
	v_add_f64 v[10:11], v[4:5], v[34:35]
	s_delay_alu instid0(VALU_DEP_2)
	v_add_f64 v[12:13], v[2:3], v[14:15]
	scratch_load_b128 v[2:5], off, off offset:976
	v_add_f64 v[14:15], v[10:11], v[16:17]
	v_add_f64 v[16:17], v[12:13], v[18:19]
	scratch_load_b128 v[10:13], off, off offset:992
	v_add_f64 v[18:19], v[14:15], v[20:21]
	;; [unrolled: 3-line block ×3, first 2 shown]
	v_add_f64 v[20:21], v[20:21], v[44:45]
	s_delay_alu instid0(VALU_DEP_2) | instskip(NEXT) | instid1(VALU_DEP_2)
	v_add_f64 v[18:19], v[18:19], v[42:43]
	v_add_f64 v[28:29], v[20:21], v[48:49]
	s_delay_alu instid0(VALU_DEP_2)
	v_add_f64 v[34:35], v[18:19], v[46:47]
	ds_load_b128 v[18:21], v1 offset:2016
	ds_load_b128 v[22:25], v1 offset:2032
	s_waitcnt vmcnt(2) lgkmcnt(2)
	v_mul_f64 v[26:27], v[6:7], v[4:5]
	v_mul_f64 v[4:5], v[8:9], v[4:5]
	s_waitcnt vmcnt(1) lgkmcnt(1)
	v_mul_f64 v[36:37], v[18:19], v[12:13]
	s_delay_alu instid0(VALU_DEP_3) | instskip(NEXT) | instid1(VALU_DEP_3)
	v_fma_f64 v[8:9], v[8:9], v[2:3], v[26:27]
	v_fma_f64 v[1:2], v[6:7], v[2:3], -v[4:5]
	v_mul_f64 v[3:4], v[20:21], v[12:13]
	v_add_f64 v[5:6], v[28:29], v[56:57]
	v_add_f64 v[12:13], v[34:35], v[54:55]
	s_waitcnt vmcnt(0) lgkmcnt(0)
	v_mul_f64 v[26:27], v[22:23], v[16:17]
	v_mul_f64 v[16:17], v[24:25], v[16:17]
	v_fma_f64 v[20:21], v[20:21], v[10:11], v[36:37]
	v_fma_f64 v[3:4], v[18:19], v[10:11], -v[3:4]
	v_add_f64 v[1:2], v[5:6], v[1:2]
	v_add_f64 v[5:6], v[12:13], v[8:9]
	v_fma_f64 v[7:8], v[24:25], v[14:15], v[26:27]
	v_fma_f64 v[9:10], v[22:23], v[14:15], -v[16:17]
	s_delay_alu instid0(VALU_DEP_4) | instskip(NEXT) | instid1(VALU_DEP_4)
	v_add_f64 v[1:2], v[1:2], v[3:4]
	v_add_f64 v[3:4], v[5:6], v[20:21]
	s_delay_alu instid0(VALU_DEP_2) | instskip(NEXT) | instid1(VALU_DEP_2)
	v_add_f64 v[1:2], v[1:2], v[9:10]
	v_add_f64 v[3:4], v[3:4], v[7:8]
	s_delay_alu instid0(VALU_DEP_2) | instskip(NEXT) | instid1(VALU_DEP_2)
	v_add_f64 v[1:2], v[30:31], -v[1:2]
	v_add_f64 v[3:4], v[32:33], -v[3:4]
	scratch_store_b128 off, v[1:4], off offset:816
	v_cmpx_lt_u32_e32 50, v178
	s_cbranch_execz .LBB63_308
; %bb.307:
	scratch_load_b32 v1, off, off offset:1072 ; 4-byte Folded Reload
	v_mov_b32_e32 v5, 0
	s_delay_alu instid0(VALU_DEP_1)
	v_mov_b32_e32 v6, v5
	v_mov_b32_e32 v7, v5
	v_mov_b32_e32 v8, v5
	s_waitcnt vmcnt(0)
	scratch_load_b128 v[1:4], v1, off
	scratch_store_b128 off, v[5:8], off offset:800
	s_waitcnt vmcnt(0)
	ds_store_b128 v242, v[1:4]
.LBB63_308:
	s_or_b32 exec_lo, exec_lo, s2
	s_waitcnt lgkmcnt(0)
	s_waitcnt_vscnt null, 0x0
	s_barrier
	buffer_gl0_inv
	s_clause 0x4
	scratch_load_b128 v[2:5], off, off offset:816
	scratch_load_b128 v[6:9], off, off offset:832
	;; [unrolled: 1-line block ×5, first 2 shown]
	v_mov_b32_e32 v1, 0
	scratch_load_b128 v[26:29], off, off offset:800
	s_mov_b32 s2, exec_lo
	ds_load_b128 v[22:25], v1 offset:1840
	ds_load_b128 v[30:33], v1 offset:1856
	s_waitcnt vmcnt(5) lgkmcnt(1)
	v_mul_f64 v[34:35], v[24:25], v[4:5]
	v_mul_f64 v[4:5], v[22:23], v[4:5]
	s_waitcnt vmcnt(4) lgkmcnt(0)
	v_mul_f64 v[36:37], v[30:31], v[8:9]
	v_mul_f64 v[8:9], v[32:33], v[8:9]
	s_delay_alu instid0(VALU_DEP_4) | instskip(NEXT) | instid1(VALU_DEP_4)
	v_fma_f64 v[22:23], v[22:23], v[2:3], -v[34:35]
	v_fma_f64 v[24:25], v[24:25], v[2:3], v[4:5]
	ds_load_b128 v[2:5], v1 offset:1872
	v_fma_f64 v[32:33], v[32:33], v[6:7], v[36:37]
	v_fma_f64 v[30:31], v[30:31], v[6:7], -v[8:9]
	ds_load_b128 v[6:9], v1 offset:1888
	s_waitcnt vmcnt(3) lgkmcnt(1)
	v_mul_f64 v[34:35], v[2:3], v[12:13]
	v_mul_f64 v[12:13], v[4:5], v[12:13]
	s_waitcnt vmcnt(2) lgkmcnt(0)
	v_mul_f64 v[36:37], v[6:7], v[16:17]
	s_delay_alu instid0(VALU_DEP_3) | instskip(NEXT) | instid1(VALU_DEP_3)
	v_fma_f64 v[34:35], v[4:5], v[10:11], v[34:35]
	v_fma_f64 v[38:39], v[2:3], v[10:11], -v[12:13]
	v_mul_f64 v[10:11], v[8:9], v[16:17]
	ds_load_b128 v[2:5], v1 offset:1904
	v_fma_f64 v[16:17], v[8:9], v[14:15], v[36:37]
	v_fma_f64 v[14:15], v[6:7], v[14:15], -v[10:11]
	ds_load_b128 v[6:9], v1 offset:1920
	s_waitcnt vmcnt(1) lgkmcnt(1)
	v_mul_f64 v[10:11], v[2:3], v[20:21]
	v_mul_f64 v[12:13], v[4:5], v[20:21]
	s_delay_alu instid0(VALU_DEP_2) | instskip(NEXT) | instid1(VALU_DEP_2)
	v_fma_f64 v[20:21], v[4:5], v[18:19], v[10:11]
	v_fma_f64 v[18:19], v[2:3], v[18:19], -v[12:13]
	s_clause 0x1
	scratch_load_b128 v[2:5], off, off offset:896
	scratch_load_b128 v[10:13], off, off offset:912
	s_waitcnt vmcnt(1) lgkmcnt(0)
	v_mul_f64 v[36:37], v[6:7], v[4:5]
	v_mul_f64 v[4:5], v[8:9], v[4:5]
	s_delay_alu instid0(VALU_DEP_2) | instskip(NEXT) | instid1(VALU_DEP_2)
	v_fma_f64 v[36:37], v[8:9], v[2:3], v[36:37]
	v_fma_f64 v[40:41], v[6:7], v[2:3], -v[4:5]
	ds_load_b128 v[2:5], v1 offset:1936
	ds_load_b128 v[6:9], v1 offset:1952
	s_waitcnt vmcnt(0) lgkmcnt(1)
	v_mul_f64 v[42:43], v[2:3], v[12:13]
	s_delay_alu instid0(VALU_DEP_1) | instskip(SKIP_1) | instid1(VALU_DEP_1)
	v_fma_f64 v[42:43], v[4:5], v[10:11], v[42:43]
	v_mul_f64 v[4:5], v[4:5], v[12:13]
	v_fma_f64 v[44:45], v[2:3], v[10:11], -v[4:5]
	s_clause 0x1
	scratch_load_b128 v[2:5], off, off offset:928
	scratch_load_b128 v[10:13], off, off offset:944
	s_waitcnt vmcnt(1) lgkmcnt(0)
	v_mul_f64 v[46:47], v[6:7], v[4:5]
	v_mul_f64 v[4:5], v[8:9], v[4:5]
	s_delay_alu instid0(VALU_DEP_2) | instskip(NEXT) | instid1(VALU_DEP_2)
	v_fma_f64 v[46:47], v[8:9], v[2:3], v[46:47]
	v_fma_f64 v[48:49], v[6:7], v[2:3], -v[4:5]
	ds_load_b128 v[2:5], v1 offset:1968
	ds_load_b128 v[6:9], v1 offset:1984
	s_waitcnt vmcnt(0) lgkmcnt(1)
	v_mul_f64 v[54:55], v[2:3], v[12:13]
	s_delay_alu instid0(VALU_DEP_1) | instskip(SKIP_1) | instid1(VALU_DEP_1)
	v_fma_f64 v[54:55], v[4:5], v[10:11], v[54:55]
	v_mul_f64 v[4:5], v[4:5], v[12:13]
	v_fma_f64 v[56:57], v[2:3], v[10:11], -v[4:5]
	v_add_f64 v[2:3], v[22:23], 0
	v_add_f64 v[4:5], v[24:25], 0
	s_delay_alu instid0(VALU_DEP_2) | instskip(NEXT) | instid1(VALU_DEP_2)
	v_add_f64 v[2:3], v[2:3], v[30:31]
	v_add_f64 v[4:5], v[4:5], v[32:33]
	s_delay_alu instid0(VALU_DEP_2) | instskip(NEXT) | instid1(VALU_DEP_2)
	v_add_f64 v[2:3], v[2:3], v[38:39]
	v_add_f64 v[10:11], v[4:5], v[34:35]
	s_delay_alu instid0(VALU_DEP_2)
	v_add_f64 v[12:13], v[2:3], v[14:15]
	scratch_load_b128 v[2:5], off, off offset:960
	v_add_f64 v[14:15], v[10:11], v[16:17]
	v_add_f64 v[16:17], v[12:13], v[18:19]
	scratch_load_b128 v[10:13], off, off offset:976
	v_add_f64 v[18:19], v[14:15], v[20:21]
	;; [unrolled: 3-line block ×4, first 2 shown]
	v_add_f64 v[24:25], v[24:25], v[48:49]
	s_delay_alu instid0(VALU_DEP_2) | instskip(NEXT) | instid1(VALU_DEP_2)
	v_add_f64 v[22:23], v[22:23], v[46:47]
	v_add_f64 v[24:25], v[24:25], v[56:57]
	s_delay_alu instid0(VALU_DEP_2) | instskip(SKIP_3) | instid1(VALU_DEP_2)
	v_add_f64 v[22:23], v[22:23], v[54:55]
	s_waitcnt vmcnt(3) lgkmcnt(0)
	v_mul_f64 v[30:31], v[6:7], v[4:5]
	v_mul_f64 v[4:5], v[8:9], v[4:5]
	v_fma_f64 v[30:31], v[8:9], v[2:3], v[30:31]
	s_delay_alu instid0(VALU_DEP_2)
	v_fma_f64 v[32:33], v[6:7], v[2:3], -v[4:5]
	ds_load_b128 v[2:5], v1 offset:2000
	ds_load_b128 v[6:9], v1 offset:2016
	s_waitcnt vmcnt(2) lgkmcnt(1)
	v_mul_f64 v[34:35], v[2:3], v[12:13]
	v_mul_f64 v[12:13], v[4:5], v[12:13]
	s_waitcnt vmcnt(1) lgkmcnt(0)
	v_mul_f64 v[36:37], v[6:7], v[16:17]
	v_add_f64 v[22:23], v[22:23], v[30:31]
	s_delay_alu instid0(VALU_DEP_4) | instskip(NEXT) | instid1(VALU_DEP_4)
	v_fma_f64 v[34:35], v[4:5], v[10:11], v[34:35]
	v_fma_f64 v[10:11], v[2:3], v[10:11], -v[12:13]
	v_mul_f64 v[12:13], v[8:9], v[16:17]
	v_add_f64 v[16:17], v[24:25], v[32:33]
	ds_load_b128 v[2:5], v1 offset:2032
	v_fma_f64 v[8:9], v[8:9], v[14:15], v[36:37]
	s_waitcnt vmcnt(0) lgkmcnt(0)
	v_mul_f64 v[24:25], v[2:3], v[20:21]
	v_mul_f64 v[20:21], v[4:5], v[20:21]
	v_fma_f64 v[6:7], v[6:7], v[14:15], -v[12:13]
	v_add_f64 v[10:11], v[16:17], v[10:11]
	v_add_f64 v[12:13], v[22:23], v[34:35]
	v_fma_f64 v[4:5], v[4:5], v[18:19], v[24:25]
	v_fma_f64 v[2:3], v[2:3], v[18:19], -v[20:21]
	s_delay_alu instid0(VALU_DEP_4) | instskip(NEXT) | instid1(VALU_DEP_4)
	v_add_f64 v[6:7], v[10:11], v[6:7]
	v_add_f64 v[8:9], v[12:13], v[8:9]
	s_delay_alu instid0(VALU_DEP_2) | instskip(NEXT) | instid1(VALU_DEP_2)
	v_add_f64 v[2:3], v[6:7], v[2:3]
	v_add_f64 v[4:5], v[8:9], v[4:5]
	s_delay_alu instid0(VALU_DEP_2) | instskip(NEXT) | instid1(VALU_DEP_2)
	v_add_f64 v[2:3], v[26:27], -v[2:3]
	v_add_f64 v[4:5], v[28:29], -v[4:5]
	scratch_store_b128 off, v[2:5], off offset:800
	v_cmpx_lt_u32_e32 49, v178
	s_cbranch_execz .LBB63_310
; %bb.309:
	scratch_load_b32 v2, off, off offset:1076 ; 4-byte Folded Reload
	v_mov_b32_e32 v3, v1
	v_mov_b32_e32 v4, v1
	s_waitcnt vmcnt(0)
	scratch_load_b128 v[5:8], v2, off
	v_mov_b32_e32 v2, v1
	scratch_store_b128 off, v[1:4], off offset:784
	s_waitcnt vmcnt(0)
	ds_store_b128 v242, v[5:8]
.LBB63_310:
	s_or_b32 exec_lo, exec_lo, s2
	s_waitcnt lgkmcnt(0)
	s_waitcnt_vscnt null, 0x0
	s_barrier
	buffer_gl0_inv
	s_clause 0x4
	scratch_load_b128 v[2:5], off, off offset:800
	scratch_load_b128 v[6:9], off, off offset:816
	;; [unrolled: 1-line block ×5, first 2 shown]
	ds_load_b128 v[22:25], v1 offset:1824
	ds_load_b128 v[26:29], v1 offset:1840
	scratch_load_b128 v[30:33], off, off offset:784
	s_mov_b32 s2, exec_lo
	s_waitcnt vmcnt(5) lgkmcnt(1)
	v_mul_f64 v[34:35], v[24:25], v[4:5]
	v_mul_f64 v[4:5], v[22:23], v[4:5]
	s_waitcnt vmcnt(4) lgkmcnt(0)
	v_mul_f64 v[36:37], v[26:27], v[8:9]
	v_mul_f64 v[8:9], v[28:29], v[8:9]
	s_delay_alu instid0(VALU_DEP_4) | instskip(NEXT) | instid1(VALU_DEP_4)
	v_fma_f64 v[22:23], v[22:23], v[2:3], -v[34:35]
	v_fma_f64 v[24:25], v[24:25], v[2:3], v[4:5]
	ds_load_b128 v[2:5], v1 offset:1856
	v_fma_f64 v[28:29], v[28:29], v[6:7], v[36:37]
	v_fma_f64 v[26:27], v[26:27], v[6:7], -v[8:9]
	ds_load_b128 v[6:9], v1 offset:1872
	s_waitcnt vmcnt(3) lgkmcnt(1)
	v_mul_f64 v[34:35], v[2:3], v[12:13]
	v_mul_f64 v[12:13], v[4:5], v[12:13]
	s_waitcnt vmcnt(2) lgkmcnt(0)
	v_mul_f64 v[36:37], v[6:7], v[16:17]
	s_delay_alu instid0(VALU_DEP_3) | instskip(NEXT) | instid1(VALU_DEP_3)
	v_fma_f64 v[34:35], v[4:5], v[10:11], v[34:35]
	v_fma_f64 v[38:39], v[2:3], v[10:11], -v[12:13]
	v_mul_f64 v[10:11], v[8:9], v[16:17]
	ds_load_b128 v[2:5], v1 offset:1888
	v_fma_f64 v[16:17], v[8:9], v[14:15], v[36:37]
	v_fma_f64 v[14:15], v[6:7], v[14:15], -v[10:11]
	ds_load_b128 v[6:9], v1 offset:1904
	s_waitcnt vmcnt(1) lgkmcnt(1)
	v_mul_f64 v[10:11], v[2:3], v[20:21]
	v_mul_f64 v[12:13], v[4:5], v[20:21]
	s_delay_alu instid0(VALU_DEP_2) | instskip(NEXT) | instid1(VALU_DEP_2)
	v_fma_f64 v[20:21], v[4:5], v[18:19], v[10:11]
	v_fma_f64 v[18:19], v[2:3], v[18:19], -v[12:13]
	s_clause 0x1
	scratch_load_b128 v[2:5], off, off offset:880
	scratch_load_b128 v[10:13], off, off offset:896
	s_waitcnt vmcnt(1) lgkmcnt(0)
	v_mul_f64 v[36:37], v[6:7], v[4:5]
	v_mul_f64 v[4:5], v[8:9], v[4:5]
	s_delay_alu instid0(VALU_DEP_2) | instskip(NEXT) | instid1(VALU_DEP_2)
	v_fma_f64 v[36:37], v[8:9], v[2:3], v[36:37]
	v_fma_f64 v[40:41], v[6:7], v[2:3], -v[4:5]
	ds_load_b128 v[2:5], v1 offset:1920
	ds_load_b128 v[6:9], v1 offset:1936
	s_waitcnt vmcnt(0) lgkmcnt(1)
	v_mul_f64 v[42:43], v[2:3], v[12:13]
	s_delay_alu instid0(VALU_DEP_1) | instskip(SKIP_1) | instid1(VALU_DEP_1)
	v_fma_f64 v[42:43], v[4:5], v[10:11], v[42:43]
	v_mul_f64 v[4:5], v[4:5], v[12:13]
	v_fma_f64 v[44:45], v[2:3], v[10:11], -v[4:5]
	s_clause 0x1
	scratch_load_b128 v[2:5], off, off offset:912
	scratch_load_b128 v[10:13], off, off offset:928
	s_waitcnt vmcnt(1) lgkmcnt(0)
	v_mul_f64 v[46:47], v[6:7], v[4:5]
	v_mul_f64 v[4:5], v[8:9], v[4:5]
	s_delay_alu instid0(VALU_DEP_2) | instskip(NEXT) | instid1(VALU_DEP_2)
	v_fma_f64 v[46:47], v[8:9], v[2:3], v[46:47]
	v_fma_f64 v[48:49], v[6:7], v[2:3], -v[4:5]
	ds_load_b128 v[2:5], v1 offset:1952
	ds_load_b128 v[6:9], v1 offset:1968
	s_waitcnt vmcnt(0) lgkmcnt(1)
	v_mul_f64 v[54:55], v[2:3], v[12:13]
	s_delay_alu instid0(VALU_DEP_1) | instskip(SKIP_1) | instid1(VALU_DEP_1)
	v_fma_f64 v[54:55], v[4:5], v[10:11], v[54:55]
	v_mul_f64 v[4:5], v[4:5], v[12:13]
	;; [unrolled: 17-line block ×3, first 2 shown]
	v_fma_f64 v[88:89], v[2:3], v[10:11], -v[4:5]
	v_add_f64 v[2:3], v[22:23], 0
	v_add_f64 v[4:5], v[24:25], 0
	s_delay_alu instid0(VALU_DEP_2) | instskip(NEXT) | instid1(VALU_DEP_2)
	v_add_f64 v[2:3], v[2:3], v[26:27]
	v_add_f64 v[4:5], v[4:5], v[28:29]
	s_delay_alu instid0(VALU_DEP_2) | instskip(NEXT) | instid1(VALU_DEP_2)
	;; [unrolled: 3-line block ×4, first 2 shown]
	v_add_f64 v[2:3], v[2:3], v[18:19]
	v_add_f64 v[10:11], v[4:5], v[20:21]
	s_delay_alu instid0(VALU_DEP_2)
	v_add_f64 v[12:13], v[2:3], v[40:41]
	scratch_load_b128 v[2:5], off, off offset:976
	v_add_f64 v[14:15], v[10:11], v[36:37]
	v_add_f64 v[16:17], v[12:13], v[44:45]
	scratch_load_b128 v[10:13], off, off offset:992
	v_add_f64 v[18:19], v[14:15], v[42:43]
	;; [unrolled: 3-line block ×3, first 2 shown]
	v_add_f64 v[20:21], v[20:21], v[56:57]
	s_delay_alu instid0(VALU_DEP_2) | instskip(NEXT) | instid1(VALU_DEP_2)
	v_add_f64 v[18:19], v[18:19], v[54:55]
	v_add_f64 v[28:29], v[20:21], v[60:61]
	s_delay_alu instid0(VALU_DEP_2)
	v_add_f64 v[34:35], v[18:19], v[58:59]
	ds_load_b128 v[18:21], v1 offset:2016
	ds_load_b128 v[22:25], v1 offset:2032
	s_waitcnt vmcnt(2) lgkmcnt(2)
	v_mul_f64 v[26:27], v[6:7], v[4:5]
	v_mul_f64 v[4:5], v[8:9], v[4:5]
	s_waitcnt vmcnt(1) lgkmcnt(1)
	v_mul_f64 v[36:37], v[18:19], v[12:13]
	s_delay_alu instid0(VALU_DEP_3) | instskip(NEXT) | instid1(VALU_DEP_3)
	v_fma_f64 v[8:9], v[8:9], v[2:3], v[26:27]
	v_fma_f64 v[1:2], v[6:7], v[2:3], -v[4:5]
	v_mul_f64 v[3:4], v[20:21], v[12:13]
	v_add_f64 v[5:6], v[28:29], v[88:89]
	v_add_f64 v[12:13], v[34:35], v[62:63]
	s_waitcnt vmcnt(0) lgkmcnt(0)
	v_mul_f64 v[26:27], v[22:23], v[16:17]
	v_mul_f64 v[16:17], v[24:25], v[16:17]
	v_fma_f64 v[20:21], v[20:21], v[10:11], v[36:37]
	v_fma_f64 v[3:4], v[18:19], v[10:11], -v[3:4]
	v_add_f64 v[1:2], v[5:6], v[1:2]
	v_add_f64 v[5:6], v[12:13], v[8:9]
	v_fma_f64 v[7:8], v[24:25], v[14:15], v[26:27]
	v_fma_f64 v[9:10], v[22:23], v[14:15], -v[16:17]
	s_delay_alu instid0(VALU_DEP_4) | instskip(NEXT) | instid1(VALU_DEP_4)
	v_add_f64 v[1:2], v[1:2], v[3:4]
	v_add_f64 v[3:4], v[5:6], v[20:21]
	s_delay_alu instid0(VALU_DEP_2) | instskip(NEXT) | instid1(VALU_DEP_2)
	v_add_f64 v[1:2], v[1:2], v[9:10]
	v_add_f64 v[3:4], v[3:4], v[7:8]
	s_delay_alu instid0(VALU_DEP_2) | instskip(NEXT) | instid1(VALU_DEP_2)
	v_add_f64 v[1:2], v[30:31], -v[1:2]
	v_add_f64 v[3:4], v[32:33], -v[3:4]
	scratch_store_b128 off, v[1:4], off offset:784
	v_cmpx_lt_u32_e32 48, v178
	s_cbranch_execz .LBB63_312
; %bb.311:
	scratch_load_b32 v1, off, off offset:1080 ; 4-byte Folded Reload
	v_mov_b32_e32 v5, 0
	s_delay_alu instid0(VALU_DEP_1)
	v_mov_b32_e32 v6, v5
	v_mov_b32_e32 v7, v5
	;; [unrolled: 1-line block ×3, first 2 shown]
	s_waitcnt vmcnt(0)
	scratch_load_b128 v[1:4], v1, off
	scratch_store_b128 off, v[5:8], off offset:768
	s_waitcnt vmcnt(0)
	ds_store_b128 v242, v[1:4]
.LBB63_312:
	s_or_b32 exec_lo, exec_lo, s2
	s_waitcnt lgkmcnt(0)
	s_waitcnt_vscnt null, 0x0
	s_barrier
	buffer_gl0_inv
	s_clause 0x4
	scratch_load_b128 v[2:5], off, off offset:784
	scratch_load_b128 v[6:9], off, off offset:800
	;; [unrolled: 1-line block ×5, first 2 shown]
	v_mov_b32_e32 v1, 0
	scratch_load_b128 v[26:29], off, off offset:768
	s_mov_b32 s2, exec_lo
	ds_load_b128 v[22:25], v1 offset:1808
	ds_load_b128 v[30:33], v1 offset:1824
	s_waitcnt vmcnt(5) lgkmcnt(1)
	v_mul_f64 v[34:35], v[24:25], v[4:5]
	v_mul_f64 v[4:5], v[22:23], v[4:5]
	s_waitcnt vmcnt(4) lgkmcnt(0)
	v_mul_f64 v[36:37], v[30:31], v[8:9]
	v_mul_f64 v[8:9], v[32:33], v[8:9]
	s_delay_alu instid0(VALU_DEP_4) | instskip(NEXT) | instid1(VALU_DEP_4)
	v_fma_f64 v[22:23], v[22:23], v[2:3], -v[34:35]
	v_fma_f64 v[24:25], v[24:25], v[2:3], v[4:5]
	ds_load_b128 v[2:5], v1 offset:1840
	v_fma_f64 v[32:33], v[32:33], v[6:7], v[36:37]
	v_fma_f64 v[30:31], v[30:31], v[6:7], -v[8:9]
	ds_load_b128 v[6:9], v1 offset:1856
	s_waitcnt vmcnt(3) lgkmcnt(1)
	v_mul_f64 v[34:35], v[2:3], v[12:13]
	v_mul_f64 v[12:13], v[4:5], v[12:13]
	s_waitcnt vmcnt(2) lgkmcnt(0)
	v_mul_f64 v[36:37], v[6:7], v[16:17]
	s_delay_alu instid0(VALU_DEP_3) | instskip(NEXT) | instid1(VALU_DEP_3)
	v_fma_f64 v[34:35], v[4:5], v[10:11], v[34:35]
	v_fma_f64 v[38:39], v[2:3], v[10:11], -v[12:13]
	v_mul_f64 v[10:11], v[8:9], v[16:17]
	ds_load_b128 v[2:5], v1 offset:1872
	v_fma_f64 v[16:17], v[8:9], v[14:15], v[36:37]
	v_fma_f64 v[14:15], v[6:7], v[14:15], -v[10:11]
	ds_load_b128 v[6:9], v1 offset:1888
	s_waitcnt vmcnt(1) lgkmcnt(1)
	v_mul_f64 v[10:11], v[2:3], v[20:21]
	v_mul_f64 v[12:13], v[4:5], v[20:21]
	s_delay_alu instid0(VALU_DEP_2) | instskip(NEXT) | instid1(VALU_DEP_2)
	v_fma_f64 v[20:21], v[4:5], v[18:19], v[10:11]
	v_fma_f64 v[18:19], v[2:3], v[18:19], -v[12:13]
	s_clause 0x1
	scratch_load_b128 v[2:5], off, off offset:864
	scratch_load_b128 v[10:13], off, off offset:880
	s_waitcnt vmcnt(1) lgkmcnt(0)
	v_mul_f64 v[36:37], v[6:7], v[4:5]
	v_mul_f64 v[4:5], v[8:9], v[4:5]
	s_delay_alu instid0(VALU_DEP_2) | instskip(NEXT) | instid1(VALU_DEP_2)
	v_fma_f64 v[36:37], v[8:9], v[2:3], v[36:37]
	v_fma_f64 v[40:41], v[6:7], v[2:3], -v[4:5]
	ds_load_b128 v[2:5], v1 offset:1904
	ds_load_b128 v[6:9], v1 offset:1920
	s_waitcnt vmcnt(0) lgkmcnt(1)
	v_mul_f64 v[42:43], v[2:3], v[12:13]
	s_delay_alu instid0(VALU_DEP_1) | instskip(SKIP_1) | instid1(VALU_DEP_1)
	v_fma_f64 v[42:43], v[4:5], v[10:11], v[42:43]
	v_mul_f64 v[4:5], v[4:5], v[12:13]
	v_fma_f64 v[44:45], v[2:3], v[10:11], -v[4:5]
	s_clause 0x1
	scratch_load_b128 v[2:5], off, off offset:896
	scratch_load_b128 v[10:13], off, off offset:912
	s_waitcnt vmcnt(1) lgkmcnt(0)
	v_mul_f64 v[46:47], v[6:7], v[4:5]
	v_mul_f64 v[4:5], v[8:9], v[4:5]
	s_delay_alu instid0(VALU_DEP_2) | instskip(NEXT) | instid1(VALU_DEP_2)
	v_fma_f64 v[46:47], v[8:9], v[2:3], v[46:47]
	v_fma_f64 v[48:49], v[6:7], v[2:3], -v[4:5]
	ds_load_b128 v[2:5], v1 offset:1936
	ds_load_b128 v[6:9], v1 offset:1952
	s_waitcnt vmcnt(0) lgkmcnt(1)
	v_mul_f64 v[54:55], v[2:3], v[12:13]
	s_delay_alu instid0(VALU_DEP_1) | instskip(SKIP_1) | instid1(VALU_DEP_1)
	v_fma_f64 v[54:55], v[4:5], v[10:11], v[54:55]
	v_mul_f64 v[4:5], v[4:5], v[12:13]
	;; [unrolled: 17-line block ×3, first 2 shown]
	v_fma_f64 v[88:89], v[2:3], v[10:11], -v[4:5]
	v_add_f64 v[2:3], v[22:23], 0
	v_add_f64 v[4:5], v[24:25], 0
	s_delay_alu instid0(VALU_DEP_2) | instskip(NEXT) | instid1(VALU_DEP_2)
	v_add_f64 v[2:3], v[2:3], v[30:31]
	v_add_f64 v[4:5], v[4:5], v[32:33]
	s_delay_alu instid0(VALU_DEP_2) | instskip(NEXT) | instid1(VALU_DEP_2)
	;; [unrolled: 3-line block ×4, first 2 shown]
	v_add_f64 v[2:3], v[2:3], v[18:19]
	v_add_f64 v[10:11], v[4:5], v[20:21]
	s_delay_alu instid0(VALU_DEP_2)
	v_add_f64 v[12:13], v[2:3], v[40:41]
	scratch_load_b128 v[2:5], off, off offset:960
	v_add_f64 v[14:15], v[10:11], v[36:37]
	v_add_f64 v[16:17], v[12:13], v[44:45]
	scratch_load_b128 v[10:13], off, off offset:976
	v_add_f64 v[18:19], v[14:15], v[42:43]
	;; [unrolled: 3-line block ×4, first 2 shown]
	v_add_f64 v[24:25], v[24:25], v[60:61]
	s_delay_alu instid0(VALU_DEP_2) | instskip(NEXT) | instid1(VALU_DEP_2)
	v_add_f64 v[22:23], v[22:23], v[58:59]
	v_add_f64 v[24:25], v[24:25], v[88:89]
	s_delay_alu instid0(VALU_DEP_2) | instskip(SKIP_3) | instid1(VALU_DEP_2)
	v_add_f64 v[22:23], v[22:23], v[62:63]
	s_waitcnt vmcnt(3) lgkmcnt(0)
	v_mul_f64 v[30:31], v[6:7], v[4:5]
	v_mul_f64 v[4:5], v[8:9], v[4:5]
	v_fma_f64 v[30:31], v[8:9], v[2:3], v[30:31]
	s_delay_alu instid0(VALU_DEP_2)
	v_fma_f64 v[32:33], v[6:7], v[2:3], -v[4:5]
	ds_load_b128 v[2:5], v1 offset:2000
	ds_load_b128 v[6:9], v1 offset:2016
	s_waitcnt vmcnt(2) lgkmcnt(1)
	v_mul_f64 v[34:35], v[2:3], v[12:13]
	v_mul_f64 v[12:13], v[4:5], v[12:13]
	s_waitcnt vmcnt(1) lgkmcnt(0)
	v_mul_f64 v[36:37], v[6:7], v[16:17]
	v_add_f64 v[22:23], v[22:23], v[30:31]
	s_delay_alu instid0(VALU_DEP_4) | instskip(NEXT) | instid1(VALU_DEP_4)
	v_fma_f64 v[34:35], v[4:5], v[10:11], v[34:35]
	v_fma_f64 v[10:11], v[2:3], v[10:11], -v[12:13]
	v_mul_f64 v[12:13], v[8:9], v[16:17]
	v_add_f64 v[16:17], v[24:25], v[32:33]
	ds_load_b128 v[2:5], v1 offset:2032
	v_fma_f64 v[8:9], v[8:9], v[14:15], v[36:37]
	s_waitcnt vmcnt(0) lgkmcnt(0)
	v_mul_f64 v[24:25], v[2:3], v[20:21]
	v_mul_f64 v[20:21], v[4:5], v[20:21]
	v_fma_f64 v[6:7], v[6:7], v[14:15], -v[12:13]
	v_add_f64 v[10:11], v[16:17], v[10:11]
	v_add_f64 v[12:13], v[22:23], v[34:35]
	v_fma_f64 v[4:5], v[4:5], v[18:19], v[24:25]
	v_fma_f64 v[2:3], v[2:3], v[18:19], -v[20:21]
	s_delay_alu instid0(VALU_DEP_4) | instskip(NEXT) | instid1(VALU_DEP_4)
	v_add_f64 v[6:7], v[10:11], v[6:7]
	v_add_f64 v[8:9], v[12:13], v[8:9]
	s_delay_alu instid0(VALU_DEP_2) | instskip(NEXT) | instid1(VALU_DEP_2)
	v_add_f64 v[2:3], v[6:7], v[2:3]
	v_add_f64 v[4:5], v[8:9], v[4:5]
	s_delay_alu instid0(VALU_DEP_2) | instskip(NEXT) | instid1(VALU_DEP_2)
	v_add_f64 v[2:3], v[26:27], -v[2:3]
	v_add_f64 v[4:5], v[28:29], -v[4:5]
	scratch_store_b128 off, v[2:5], off offset:768
	v_cmpx_lt_u32_e32 47, v178
	s_cbranch_execz .LBB63_314
; %bb.313:
	scratch_load_b32 v2, off, off offset:1084 ; 4-byte Folded Reload
	v_mov_b32_e32 v3, v1
	v_mov_b32_e32 v4, v1
	s_waitcnt vmcnt(0)
	scratch_load_b128 v[5:8], v2, off
	v_mov_b32_e32 v2, v1
	scratch_store_b128 off, v[1:4], off offset:752
	s_waitcnt vmcnt(0)
	ds_store_b128 v242, v[5:8]
.LBB63_314:
	s_or_b32 exec_lo, exec_lo, s2
	s_waitcnt lgkmcnt(0)
	s_waitcnt_vscnt null, 0x0
	s_barrier
	buffer_gl0_inv
	s_clause 0x4
	scratch_load_b128 v[2:5], off, off offset:768
	scratch_load_b128 v[6:9], off, off offset:784
	;; [unrolled: 1-line block ×5, first 2 shown]
	ds_load_b128 v[22:25], v1 offset:1792
	ds_load_b128 v[26:29], v1 offset:1808
	scratch_load_b128 v[30:33], off, off offset:752
	s_mov_b32 s2, exec_lo
	s_waitcnt vmcnt(5) lgkmcnt(1)
	v_mul_f64 v[34:35], v[24:25], v[4:5]
	v_mul_f64 v[4:5], v[22:23], v[4:5]
	s_waitcnt vmcnt(4) lgkmcnt(0)
	v_mul_f64 v[36:37], v[26:27], v[8:9]
	v_mul_f64 v[8:9], v[28:29], v[8:9]
	s_delay_alu instid0(VALU_DEP_4) | instskip(NEXT) | instid1(VALU_DEP_4)
	v_fma_f64 v[22:23], v[22:23], v[2:3], -v[34:35]
	v_fma_f64 v[24:25], v[24:25], v[2:3], v[4:5]
	ds_load_b128 v[2:5], v1 offset:1824
	v_fma_f64 v[28:29], v[28:29], v[6:7], v[36:37]
	v_fma_f64 v[26:27], v[26:27], v[6:7], -v[8:9]
	ds_load_b128 v[6:9], v1 offset:1840
	s_waitcnt vmcnt(3) lgkmcnt(1)
	v_mul_f64 v[34:35], v[2:3], v[12:13]
	v_mul_f64 v[12:13], v[4:5], v[12:13]
	s_waitcnt vmcnt(2) lgkmcnt(0)
	v_mul_f64 v[36:37], v[6:7], v[16:17]
	s_delay_alu instid0(VALU_DEP_3) | instskip(NEXT) | instid1(VALU_DEP_3)
	v_fma_f64 v[34:35], v[4:5], v[10:11], v[34:35]
	v_fma_f64 v[38:39], v[2:3], v[10:11], -v[12:13]
	v_mul_f64 v[10:11], v[8:9], v[16:17]
	ds_load_b128 v[2:5], v1 offset:1856
	v_fma_f64 v[16:17], v[8:9], v[14:15], v[36:37]
	v_fma_f64 v[14:15], v[6:7], v[14:15], -v[10:11]
	ds_load_b128 v[6:9], v1 offset:1872
	s_waitcnt vmcnt(1) lgkmcnt(1)
	v_mul_f64 v[10:11], v[2:3], v[20:21]
	v_mul_f64 v[12:13], v[4:5], v[20:21]
	s_delay_alu instid0(VALU_DEP_2) | instskip(NEXT) | instid1(VALU_DEP_2)
	v_fma_f64 v[20:21], v[4:5], v[18:19], v[10:11]
	v_fma_f64 v[18:19], v[2:3], v[18:19], -v[12:13]
	s_clause 0x1
	scratch_load_b128 v[2:5], off, off offset:848
	scratch_load_b128 v[10:13], off, off offset:864
	s_waitcnt vmcnt(1) lgkmcnt(0)
	v_mul_f64 v[36:37], v[6:7], v[4:5]
	v_mul_f64 v[4:5], v[8:9], v[4:5]
	s_delay_alu instid0(VALU_DEP_2) | instskip(NEXT) | instid1(VALU_DEP_2)
	v_fma_f64 v[36:37], v[8:9], v[2:3], v[36:37]
	v_fma_f64 v[40:41], v[6:7], v[2:3], -v[4:5]
	ds_load_b128 v[2:5], v1 offset:1888
	ds_load_b128 v[6:9], v1 offset:1904
	s_waitcnt vmcnt(0) lgkmcnt(1)
	v_mul_f64 v[42:43], v[2:3], v[12:13]
	s_delay_alu instid0(VALU_DEP_1) | instskip(SKIP_1) | instid1(VALU_DEP_1)
	v_fma_f64 v[42:43], v[4:5], v[10:11], v[42:43]
	v_mul_f64 v[4:5], v[4:5], v[12:13]
	v_fma_f64 v[44:45], v[2:3], v[10:11], -v[4:5]
	s_clause 0x1
	scratch_load_b128 v[2:5], off, off offset:880
	scratch_load_b128 v[10:13], off, off offset:896
	s_waitcnt vmcnt(1) lgkmcnt(0)
	v_mul_f64 v[46:47], v[6:7], v[4:5]
	v_mul_f64 v[4:5], v[8:9], v[4:5]
	s_delay_alu instid0(VALU_DEP_2) | instskip(NEXT) | instid1(VALU_DEP_2)
	v_fma_f64 v[46:47], v[8:9], v[2:3], v[46:47]
	v_fma_f64 v[48:49], v[6:7], v[2:3], -v[4:5]
	ds_load_b128 v[2:5], v1 offset:1920
	ds_load_b128 v[6:9], v1 offset:1936
	s_waitcnt vmcnt(0) lgkmcnt(1)
	v_mul_f64 v[54:55], v[2:3], v[12:13]
	s_delay_alu instid0(VALU_DEP_1) | instskip(SKIP_1) | instid1(VALU_DEP_1)
	v_fma_f64 v[54:55], v[4:5], v[10:11], v[54:55]
	v_mul_f64 v[4:5], v[4:5], v[12:13]
	;; [unrolled: 17-line block ×4, first 2 shown]
	v_fma_f64 v[100:101], v[2:3], v[10:11], -v[4:5]
	v_add_f64 v[2:3], v[22:23], 0
	v_add_f64 v[4:5], v[24:25], 0
	s_delay_alu instid0(VALU_DEP_2) | instskip(NEXT) | instid1(VALU_DEP_2)
	v_add_f64 v[2:3], v[2:3], v[26:27]
	v_add_f64 v[4:5], v[4:5], v[28:29]
	s_delay_alu instid0(VALU_DEP_2) | instskip(NEXT) | instid1(VALU_DEP_2)
	;; [unrolled: 3-line block ×6, first 2 shown]
	v_add_f64 v[2:3], v[2:3], v[44:45]
	v_add_f64 v[10:11], v[4:5], v[42:43]
	s_delay_alu instid0(VALU_DEP_2)
	v_add_f64 v[12:13], v[2:3], v[48:49]
	scratch_load_b128 v[2:5], off, off offset:976
	v_add_f64 v[14:15], v[10:11], v[46:47]
	v_add_f64 v[16:17], v[12:13], v[56:57]
	scratch_load_b128 v[10:13], off, off offset:992
	v_add_f64 v[18:19], v[14:15], v[54:55]
	;; [unrolled: 3-line block ×3, first 2 shown]
	v_add_f64 v[20:21], v[20:21], v[88:89]
	s_delay_alu instid0(VALU_DEP_2) | instskip(NEXT) | instid1(VALU_DEP_2)
	v_add_f64 v[18:19], v[18:19], v[62:63]
	v_add_f64 v[28:29], v[20:21], v[96:97]
	s_delay_alu instid0(VALU_DEP_2)
	v_add_f64 v[34:35], v[18:19], v[92:93]
	ds_load_b128 v[18:21], v1 offset:2016
	ds_load_b128 v[22:25], v1 offset:2032
	s_waitcnt vmcnt(2) lgkmcnt(2)
	v_mul_f64 v[26:27], v[6:7], v[4:5]
	v_mul_f64 v[4:5], v[8:9], v[4:5]
	s_waitcnt vmcnt(1) lgkmcnt(1)
	v_mul_f64 v[36:37], v[18:19], v[12:13]
	s_delay_alu instid0(VALU_DEP_3) | instskip(NEXT) | instid1(VALU_DEP_3)
	v_fma_f64 v[8:9], v[8:9], v[2:3], v[26:27]
	v_fma_f64 v[1:2], v[6:7], v[2:3], -v[4:5]
	v_mul_f64 v[3:4], v[20:21], v[12:13]
	v_add_f64 v[5:6], v[28:29], v[100:101]
	v_add_f64 v[12:13], v[34:35], v[98:99]
	s_waitcnt vmcnt(0) lgkmcnt(0)
	v_mul_f64 v[26:27], v[22:23], v[16:17]
	v_mul_f64 v[16:17], v[24:25], v[16:17]
	v_fma_f64 v[20:21], v[20:21], v[10:11], v[36:37]
	v_fma_f64 v[3:4], v[18:19], v[10:11], -v[3:4]
	v_add_f64 v[1:2], v[5:6], v[1:2]
	v_add_f64 v[5:6], v[12:13], v[8:9]
	v_fma_f64 v[7:8], v[24:25], v[14:15], v[26:27]
	v_fma_f64 v[9:10], v[22:23], v[14:15], -v[16:17]
	s_delay_alu instid0(VALU_DEP_4) | instskip(NEXT) | instid1(VALU_DEP_4)
	v_add_f64 v[1:2], v[1:2], v[3:4]
	v_add_f64 v[3:4], v[5:6], v[20:21]
	s_delay_alu instid0(VALU_DEP_2) | instskip(NEXT) | instid1(VALU_DEP_2)
	v_add_f64 v[1:2], v[1:2], v[9:10]
	v_add_f64 v[3:4], v[3:4], v[7:8]
	s_delay_alu instid0(VALU_DEP_2) | instskip(NEXT) | instid1(VALU_DEP_2)
	v_add_f64 v[1:2], v[30:31], -v[1:2]
	v_add_f64 v[3:4], v[32:33], -v[3:4]
	scratch_store_b128 off, v[1:4], off offset:752
	v_cmpx_lt_u32_e32 46, v178
	s_cbranch_execz .LBB63_316
; %bb.315:
	scratch_load_b32 v1, off, off offset:1088 ; 4-byte Folded Reload
	v_mov_b32_e32 v5, 0
	s_delay_alu instid0(VALU_DEP_1)
	v_mov_b32_e32 v6, v5
	v_mov_b32_e32 v7, v5
	;; [unrolled: 1-line block ×3, first 2 shown]
	s_waitcnt vmcnt(0)
	scratch_load_b128 v[1:4], v1, off
	scratch_store_b128 off, v[5:8], off offset:736
	s_waitcnt vmcnt(0)
	ds_store_b128 v242, v[1:4]
.LBB63_316:
	s_or_b32 exec_lo, exec_lo, s2
	s_waitcnt lgkmcnt(0)
	s_waitcnt_vscnt null, 0x0
	s_barrier
	buffer_gl0_inv
	s_clause 0x4
	scratch_load_b128 v[2:5], off, off offset:752
	scratch_load_b128 v[6:9], off, off offset:768
	;; [unrolled: 1-line block ×5, first 2 shown]
	v_mov_b32_e32 v1, 0
	scratch_load_b128 v[26:29], off, off offset:736
	s_mov_b32 s2, exec_lo
	ds_load_b128 v[22:25], v1 offset:1776
	ds_load_b128 v[30:33], v1 offset:1792
	s_waitcnt vmcnt(5) lgkmcnt(1)
	v_mul_f64 v[34:35], v[24:25], v[4:5]
	v_mul_f64 v[4:5], v[22:23], v[4:5]
	s_waitcnt vmcnt(4) lgkmcnt(0)
	v_mul_f64 v[36:37], v[30:31], v[8:9]
	v_mul_f64 v[8:9], v[32:33], v[8:9]
	s_delay_alu instid0(VALU_DEP_4) | instskip(NEXT) | instid1(VALU_DEP_4)
	v_fma_f64 v[22:23], v[22:23], v[2:3], -v[34:35]
	v_fma_f64 v[24:25], v[24:25], v[2:3], v[4:5]
	ds_load_b128 v[2:5], v1 offset:1808
	v_fma_f64 v[32:33], v[32:33], v[6:7], v[36:37]
	v_fma_f64 v[30:31], v[30:31], v[6:7], -v[8:9]
	ds_load_b128 v[6:9], v1 offset:1824
	s_waitcnt vmcnt(3) lgkmcnt(1)
	v_mul_f64 v[34:35], v[2:3], v[12:13]
	v_mul_f64 v[12:13], v[4:5], v[12:13]
	s_waitcnt vmcnt(2) lgkmcnt(0)
	v_mul_f64 v[36:37], v[6:7], v[16:17]
	s_delay_alu instid0(VALU_DEP_3) | instskip(NEXT) | instid1(VALU_DEP_3)
	v_fma_f64 v[34:35], v[4:5], v[10:11], v[34:35]
	v_fma_f64 v[38:39], v[2:3], v[10:11], -v[12:13]
	v_mul_f64 v[10:11], v[8:9], v[16:17]
	ds_load_b128 v[2:5], v1 offset:1840
	v_fma_f64 v[16:17], v[8:9], v[14:15], v[36:37]
	v_fma_f64 v[14:15], v[6:7], v[14:15], -v[10:11]
	ds_load_b128 v[6:9], v1 offset:1856
	s_waitcnt vmcnt(1) lgkmcnt(1)
	v_mul_f64 v[10:11], v[2:3], v[20:21]
	v_mul_f64 v[12:13], v[4:5], v[20:21]
	s_delay_alu instid0(VALU_DEP_2) | instskip(NEXT) | instid1(VALU_DEP_2)
	v_fma_f64 v[20:21], v[4:5], v[18:19], v[10:11]
	v_fma_f64 v[18:19], v[2:3], v[18:19], -v[12:13]
	s_clause 0x1
	scratch_load_b128 v[2:5], off, off offset:832
	scratch_load_b128 v[10:13], off, off offset:848
	s_waitcnt vmcnt(1) lgkmcnt(0)
	v_mul_f64 v[36:37], v[6:7], v[4:5]
	v_mul_f64 v[4:5], v[8:9], v[4:5]
	s_delay_alu instid0(VALU_DEP_2) | instskip(NEXT) | instid1(VALU_DEP_2)
	v_fma_f64 v[36:37], v[8:9], v[2:3], v[36:37]
	v_fma_f64 v[40:41], v[6:7], v[2:3], -v[4:5]
	ds_load_b128 v[2:5], v1 offset:1872
	ds_load_b128 v[6:9], v1 offset:1888
	s_waitcnt vmcnt(0) lgkmcnt(1)
	v_mul_f64 v[42:43], v[2:3], v[12:13]
	s_delay_alu instid0(VALU_DEP_1) | instskip(SKIP_1) | instid1(VALU_DEP_1)
	v_fma_f64 v[42:43], v[4:5], v[10:11], v[42:43]
	v_mul_f64 v[4:5], v[4:5], v[12:13]
	v_fma_f64 v[44:45], v[2:3], v[10:11], -v[4:5]
	s_clause 0x1
	scratch_load_b128 v[2:5], off, off offset:864
	scratch_load_b128 v[10:13], off, off offset:880
	s_waitcnt vmcnt(1) lgkmcnt(0)
	v_mul_f64 v[46:47], v[6:7], v[4:5]
	v_mul_f64 v[4:5], v[8:9], v[4:5]
	s_delay_alu instid0(VALU_DEP_2) | instskip(NEXT) | instid1(VALU_DEP_2)
	v_fma_f64 v[46:47], v[8:9], v[2:3], v[46:47]
	v_fma_f64 v[48:49], v[6:7], v[2:3], -v[4:5]
	ds_load_b128 v[2:5], v1 offset:1904
	ds_load_b128 v[6:9], v1 offset:1920
	s_waitcnt vmcnt(0) lgkmcnt(1)
	v_mul_f64 v[54:55], v[2:3], v[12:13]
	s_delay_alu instid0(VALU_DEP_1) | instskip(SKIP_1) | instid1(VALU_DEP_1)
	v_fma_f64 v[54:55], v[4:5], v[10:11], v[54:55]
	v_mul_f64 v[4:5], v[4:5], v[12:13]
	v_fma_f64 v[56:57], v[2:3], v[10:11], -v[4:5]
	s_clause 0x1
	scratch_load_b128 v[2:5], off, off offset:896
	scratch_load_b128 v[10:13], off, off offset:912
	s_waitcnt vmcnt(1) lgkmcnt(0)
	v_mul_f64 v[58:59], v[6:7], v[4:5]
	v_mul_f64 v[4:5], v[8:9], v[4:5]
	s_delay_alu instid0(VALU_DEP_2) | instskip(NEXT) | instid1(VALU_DEP_2)
	v_fma_f64 v[58:59], v[8:9], v[2:3], v[58:59]
	v_fma_f64 v[60:61], v[6:7], v[2:3], -v[4:5]
	ds_load_b128 v[2:5], v1 offset:1936
	ds_load_b128 v[6:9], v1 offset:1952
	s_waitcnt vmcnt(0) lgkmcnt(1)
	v_mul_f64 v[62:63], v[2:3], v[12:13]
	s_delay_alu instid0(VALU_DEP_1) | instskip(SKIP_1) | instid1(VALU_DEP_1)
	v_fma_f64 v[62:63], v[4:5], v[10:11], v[62:63]
	v_mul_f64 v[4:5], v[4:5], v[12:13]
	v_fma_f64 v[88:89], v[2:3], v[10:11], -v[4:5]
	s_clause 0x1
	scratch_load_b128 v[2:5], off, off offset:928
	scratch_load_b128 v[10:13], off, off offset:944
	s_waitcnt vmcnt(1) lgkmcnt(0)
	v_mul_f64 v[92:93], v[6:7], v[4:5]
	v_mul_f64 v[4:5], v[8:9], v[4:5]
	s_delay_alu instid0(VALU_DEP_2) | instskip(NEXT) | instid1(VALU_DEP_2)
	v_fma_f64 v[92:93], v[8:9], v[2:3], v[92:93]
	v_fma_f64 v[96:97], v[6:7], v[2:3], -v[4:5]
	ds_load_b128 v[2:5], v1 offset:1968
	ds_load_b128 v[6:9], v1 offset:1984
	s_waitcnt vmcnt(0) lgkmcnt(1)
	v_mul_f64 v[98:99], v[2:3], v[12:13]
	s_delay_alu instid0(VALU_DEP_1) | instskip(SKIP_1) | instid1(VALU_DEP_1)
	v_fma_f64 v[98:99], v[4:5], v[10:11], v[98:99]
	v_mul_f64 v[4:5], v[4:5], v[12:13]
	v_fma_f64 v[100:101], v[2:3], v[10:11], -v[4:5]
	v_add_f64 v[2:3], v[22:23], 0
	v_add_f64 v[4:5], v[24:25], 0
	s_delay_alu instid0(VALU_DEP_2) | instskip(NEXT) | instid1(VALU_DEP_2)
	v_add_f64 v[2:3], v[2:3], v[30:31]
	v_add_f64 v[4:5], v[4:5], v[32:33]
	s_delay_alu instid0(VALU_DEP_2) | instskip(NEXT) | instid1(VALU_DEP_2)
	;; [unrolled: 3-line block ×6, first 2 shown]
	v_add_f64 v[2:3], v[2:3], v[44:45]
	v_add_f64 v[10:11], v[4:5], v[42:43]
	s_delay_alu instid0(VALU_DEP_2)
	v_add_f64 v[12:13], v[2:3], v[48:49]
	scratch_load_b128 v[2:5], off, off offset:960
	v_add_f64 v[14:15], v[10:11], v[46:47]
	v_add_f64 v[16:17], v[12:13], v[56:57]
	scratch_load_b128 v[10:13], off, off offset:976
	v_add_f64 v[18:19], v[14:15], v[54:55]
	;; [unrolled: 3-line block ×4, first 2 shown]
	v_add_f64 v[24:25], v[24:25], v[96:97]
	s_delay_alu instid0(VALU_DEP_2) | instskip(NEXT) | instid1(VALU_DEP_2)
	v_add_f64 v[22:23], v[22:23], v[92:93]
	v_add_f64 v[24:25], v[24:25], v[100:101]
	s_delay_alu instid0(VALU_DEP_2) | instskip(SKIP_3) | instid1(VALU_DEP_2)
	v_add_f64 v[22:23], v[22:23], v[98:99]
	s_waitcnt vmcnt(3) lgkmcnt(0)
	v_mul_f64 v[30:31], v[6:7], v[4:5]
	v_mul_f64 v[4:5], v[8:9], v[4:5]
	v_fma_f64 v[30:31], v[8:9], v[2:3], v[30:31]
	s_delay_alu instid0(VALU_DEP_2)
	v_fma_f64 v[32:33], v[6:7], v[2:3], -v[4:5]
	ds_load_b128 v[2:5], v1 offset:2000
	ds_load_b128 v[6:9], v1 offset:2016
	s_waitcnt vmcnt(2) lgkmcnt(1)
	v_mul_f64 v[34:35], v[2:3], v[12:13]
	v_mul_f64 v[12:13], v[4:5], v[12:13]
	s_waitcnt vmcnt(1) lgkmcnt(0)
	v_mul_f64 v[36:37], v[6:7], v[16:17]
	v_add_f64 v[22:23], v[22:23], v[30:31]
	s_delay_alu instid0(VALU_DEP_4) | instskip(NEXT) | instid1(VALU_DEP_4)
	v_fma_f64 v[34:35], v[4:5], v[10:11], v[34:35]
	v_fma_f64 v[10:11], v[2:3], v[10:11], -v[12:13]
	v_mul_f64 v[12:13], v[8:9], v[16:17]
	v_add_f64 v[16:17], v[24:25], v[32:33]
	ds_load_b128 v[2:5], v1 offset:2032
	v_fma_f64 v[8:9], v[8:9], v[14:15], v[36:37]
	s_waitcnt vmcnt(0) lgkmcnt(0)
	v_mul_f64 v[24:25], v[2:3], v[20:21]
	v_mul_f64 v[20:21], v[4:5], v[20:21]
	v_fma_f64 v[6:7], v[6:7], v[14:15], -v[12:13]
	v_add_f64 v[10:11], v[16:17], v[10:11]
	v_add_f64 v[12:13], v[22:23], v[34:35]
	v_fma_f64 v[4:5], v[4:5], v[18:19], v[24:25]
	v_fma_f64 v[2:3], v[2:3], v[18:19], -v[20:21]
	s_delay_alu instid0(VALU_DEP_4) | instskip(NEXT) | instid1(VALU_DEP_4)
	v_add_f64 v[6:7], v[10:11], v[6:7]
	v_add_f64 v[8:9], v[12:13], v[8:9]
	s_delay_alu instid0(VALU_DEP_2) | instskip(NEXT) | instid1(VALU_DEP_2)
	v_add_f64 v[2:3], v[6:7], v[2:3]
	v_add_f64 v[4:5], v[8:9], v[4:5]
	s_delay_alu instid0(VALU_DEP_2) | instskip(NEXT) | instid1(VALU_DEP_2)
	v_add_f64 v[2:3], v[26:27], -v[2:3]
	v_add_f64 v[4:5], v[28:29], -v[4:5]
	scratch_store_b128 off, v[2:5], off offset:736
	v_cmpx_lt_u32_e32 45, v178
	s_cbranch_execz .LBB63_318
; %bb.317:
	scratch_load_b32 v2, off, off offset:1092 ; 4-byte Folded Reload
	v_mov_b32_e32 v3, v1
	v_mov_b32_e32 v4, v1
	s_waitcnt vmcnt(0)
	scratch_load_b128 v[5:8], v2, off
	v_mov_b32_e32 v2, v1
	scratch_store_b128 off, v[1:4], off offset:720
	s_waitcnt vmcnt(0)
	ds_store_b128 v242, v[5:8]
.LBB63_318:
	s_or_b32 exec_lo, exec_lo, s2
	s_waitcnt lgkmcnt(0)
	s_waitcnt_vscnt null, 0x0
	s_barrier
	buffer_gl0_inv
	s_clause 0x4
	scratch_load_b128 v[2:5], off, off offset:736
	scratch_load_b128 v[6:9], off, off offset:752
	;; [unrolled: 1-line block ×5, first 2 shown]
	ds_load_b128 v[22:25], v1 offset:1760
	ds_load_b128 v[26:29], v1 offset:1776
	scratch_load_b128 v[30:33], off, off offset:720
	s_mov_b32 s2, exec_lo
	s_waitcnt vmcnt(5) lgkmcnt(1)
	v_mul_f64 v[34:35], v[24:25], v[4:5]
	v_mul_f64 v[4:5], v[22:23], v[4:5]
	s_waitcnt vmcnt(4) lgkmcnt(0)
	v_mul_f64 v[36:37], v[26:27], v[8:9]
	v_mul_f64 v[8:9], v[28:29], v[8:9]
	s_delay_alu instid0(VALU_DEP_4) | instskip(NEXT) | instid1(VALU_DEP_4)
	v_fma_f64 v[22:23], v[22:23], v[2:3], -v[34:35]
	v_fma_f64 v[24:25], v[24:25], v[2:3], v[4:5]
	ds_load_b128 v[2:5], v1 offset:1792
	v_fma_f64 v[28:29], v[28:29], v[6:7], v[36:37]
	v_fma_f64 v[26:27], v[26:27], v[6:7], -v[8:9]
	ds_load_b128 v[6:9], v1 offset:1808
	s_waitcnt vmcnt(3) lgkmcnt(1)
	v_mul_f64 v[34:35], v[2:3], v[12:13]
	v_mul_f64 v[12:13], v[4:5], v[12:13]
	s_waitcnt vmcnt(2) lgkmcnt(0)
	v_mul_f64 v[36:37], v[6:7], v[16:17]
	s_delay_alu instid0(VALU_DEP_3) | instskip(NEXT) | instid1(VALU_DEP_3)
	v_fma_f64 v[34:35], v[4:5], v[10:11], v[34:35]
	v_fma_f64 v[38:39], v[2:3], v[10:11], -v[12:13]
	v_mul_f64 v[10:11], v[8:9], v[16:17]
	ds_load_b128 v[2:5], v1 offset:1824
	v_fma_f64 v[16:17], v[8:9], v[14:15], v[36:37]
	v_fma_f64 v[14:15], v[6:7], v[14:15], -v[10:11]
	ds_load_b128 v[6:9], v1 offset:1840
	s_waitcnt vmcnt(1) lgkmcnt(1)
	v_mul_f64 v[10:11], v[2:3], v[20:21]
	v_mul_f64 v[12:13], v[4:5], v[20:21]
	s_delay_alu instid0(VALU_DEP_2) | instskip(NEXT) | instid1(VALU_DEP_2)
	v_fma_f64 v[20:21], v[4:5], v[18:19], v[10:11]
	v_fma_f64 v[18:19], v[2:3], v[18:19], -v[12:13]
	s_clause 0x1
	scratch_load_b128 v[2:5], off, off offset:816
	scratch_load_b128 v[10:13], off, off offset:832
	s_waitcnt vmcnt(1) lgkmcnt(0)
	v_mul_f64 v[36:37], v[6:7], v[4:5]
	v_mul_f64 v[4:5], v[8:9], v[4:5]
	s_delay_alu instid0(VALU_DEP_2) | instskip(NEXT) | instid1(VALU_DEP_2)
	v_fma_f64 v[36:37], v[8:9], v[2:3], v[36:37]
	v_fma_f64 v[40:41], v[6:7], v[2:3], -v[4:5]
	ds_load_b128 v[2:5], v1 offset:1856
	ds_load_b128 v[6:9], v1 offset:1872
	s_waitcnt vmcnt(0) lgkmcnt(1)
	v_mul_f64 v[42:43], v[2:3], v[12:13]
	s_delay_alu instid0(VALU_DEP_1) | instskip(SKIP_1) | instid1(VALU_DEP_1)
	v_fma_f64 v[42:43], v[4:5], v[10:11], v[42:43]
	v_mul_f64 v[4:5], v[4:5], v[12:13]
	v_fma_f64 v[44:45], v[2:3], v[10:11], -v[4:5]
	s_clause 0x1
	scratch_load_b128 v[2:5], off, off offset:848
	scratch_load_b128 v[10:13], off, off offset:864
	s_waitcnt vmcnt(1) lgkmcnt(0)
	v_mul_f64 v[46:47], v[6:7], v[4:5]
	v_mul_f64 v[4:5], v[8:9], v[4:5]
	s_delay_alu instid0(VALU_DEP_2) | instskip(NEXT) | instid1(VALU_DEP_2)
	v_fma_f64 v[46:47], v[8:9], v[2:3], v[46:47]
	v_fma_f64 v[48:49], v[6:7], v[2:3], -v[4:5]
	ds_load_b128 v[2:5], v1 offset:1888
	ds_load_b128 v[6:9], v1 offset:1904
	s_waitcnt vmcnt(0) lgkmcnt(1)
	v_mul_f64 v[54:55], v[2:3], v[12:13]
	s_delay_alu instid0(VALU_DEP_1) | instskip(SKIP_1) | instid1(VALU_DEP_1)
	v_fma_f64 v[54:55], v[4:5], v[10:11], v[54:55]
	v_mul_f64 v[4:5], v[4:5], v[12:13]
	;; [unrolled: 17-line block ×5, first 2 shown]
	v_fma_f64 v[185:186], v[2:3], v[10:11], -v[4:5]
	v_add_f64 v[2:3], v[22:23], 0
	v_add_f64 v[4:5], v[24:25], 0
	s_delay_alu instid0(VALU_DEP_2) | instskip(NEXT) | instid1(VALU_DEP_2)
	v_add_f64 v[2:3], v[2:3], v[26:27]
	v_add_f64 v[4:5], v[4:5], v[28:29]
	s_delay_alu instid0(VALU_DEP_2) | instskip(NEXT) | instid1(VALU_DEP_2)
	;; [unrolled: 3-line block ×8, first 2 shown]
	v_add_f64 v[2:3], v[2:3], v[56:57]
	v_add_f64 v[10:11], v[4:5], v[54:55]
	s_delay_alu instid0(VALU_DEP_2)
	v_add_f64 v[12:13], v[2:3], v[60:61]
	scratch_load_b128 v[2:5], off, off offset:976
	v_add_f64 v[14:15], v[10:11], v[58:59]
	v_add_f64 v[16:17], v[12:13], v[88:89]
	scratch_load_b128 v[10:13], off, off offset:992
	v_add_f64 v[18:19], v[14:15], v[62:63]
	v_add_f64 v[20:21], v[16:17], v[96:97]
	scratch_load_b128 v[14:17], off, off offset:1008
	v_add_f64 v[18:19], v[18:19], v[92:93]
	v_add_f64 v[20:21], v[20:21], v[100:101]
	s_delay_alu instid0(VALU_DEP_2) | instskip(NEXT) | instid1(VALU_DEP_2)
	v_add_f64 v[18:19], v[18:19], v[98:99]
	v_add_f64 v[28:29], v[20:21], v[181:182]
	s_delay_alu instid0(VALU_DEP_2)
	v_add_f64 v[34:35], v[18:19], v[179:180]
	ds_load_b128 v[18:21], v1 offset:2016
	ds_load_b128 v[22:25], v1 offset:2032
	s_waitcnt vmcnt(2) lgkmcnt(2)
	v_mul_f64 v[26:27], v[6:7], v[4:5]
	v_mul_f64 v[4:5], v[8:9], v[4:5]
	s_waitcnt vmcnt(1) lgkmcnt(1)
	v_mul_f64 v[36:37], v[18:19], v[12:13]
	s_delay_alu instid0(VALU_DEP_3) | instskip(NEXT) | instid1(VALU_DEP_3)
	v_fma_f64 v[8:9], v[8:9], v[2:3], v[26:27]
	v_fma_f64 v[1:2], v[6:7], v[2:3], -v[4:5]
	v_mul_f64 v[3:4], v[20:21], v[12:13]
	v_add_f64 v[5:6], v[28:29], v[185:186]
	v_add_f64 v[12:13], v[34:35], v[183:184]
	s_waitcnt vmcnt(0) lgkmcnt(0)
	v_mul_f64 v[26:27], v[22:23], v[16:17]
	v_mul_f64 v[16:17], v[24:25], v[16:17]
	v_fma_f64 v[20:21], v[20:21], v[10:11], v[36:37]
	v_fma_f64 v[3:4], v[18:19], v[10:11], -v[3:4]
	v_add_f64 v[1:2], v[5:6], v[1:2]
	v_add_f64 v[5:6], v[12:13], v[8:9]
	v_fma_f64 v[7:8], v[24:25], v[14:15], v[26:27]
	v_fma_f64 v[9:10], v[22:23], v[14:15], -v[16:17]
	s_delay_alu instid0(VALU_DEP_4) | instskip(NEXT) | instid1(VALU_DEP_4)
	v_add_f64 v[1:2], v[1:2], v[3:4]
	v_add_f64 v[3:4], v[5:6], v[20:21]
	s_delay_alu instid0(VALU_DEP_2) | instskip(NEXT) | instid1(VALU_DEP_2)
	v_add_f64 v[1:2], v[1:2], v[9:10]
	v_add_f64 v[3:4], v[3:4], v[7:8]
	s_delay_alu instid0(VALU_DEP_2) | instskip(NEXT) | instid1(VALU_DEP_2)
	v_add_f64 v[1:2], v[30:31], -v[1:2]
	v_add_f64 v[3:4], v[32:33], -v[3:4]
	scratch_store_b128 off, v[1:4], off offset:720
	v_cmpx_lt_u32_e32 44, v178
	s_cbranch_execz .LBB63_320
; %bb.319:
	scratch_load_b32 v1, off, off offset:1096 ; 4-byte Folded Reload
	v_mov_b32_e32 v5, 0
	s_delay_alu instid0(VALU_DEP_1)
	v_mov_b32_e32 v6, v5
	v_mov_b32_e32 v7, v5
	;; [unrolled: 1-line block ×3, first 2 shown]
	s_waitcnt vmcnt(0)
	scratch_load_b128 v[1:4], v1, off
	scratch_store_b128 off, v[5:8], off offset:704
	s_waitcnt vmcnt(0)
	ds_store_b128 v242, v[1:4]
.LBB63_320:
	s_or_b32 exec_lo, exec_lo, s2
	s_waitcnt lgkmcnt(0)
	s_waitcnt_vscnt null, 0x0
	s_barrier
	buffer_gl0_inv
	s_clause 0x4
	scratch_load_b128 v[2:5], off, off offset:720
	scratch_load_b128 v[6:9], off, off offset:736
	;; [unrolled: 1-line block ×5, first 2 shown]
	v_mov_b32_e32 v1, 0
	scratch_load_b128 v[26:29], off, off offset:704
	s_mov_b32 s2, exec_lo
	ds_load_b128 v[22:25], v1 offset:1744
	ds_load_b128 v[30:33], v1 offset:1760
	s_waitcnt vmcnt(5) lgkmcnt(1)
	v_mul_f64 v[34:35], v[24:25], v[4:5]
	v_mul_f64 v[4:5], v[22:23], v[4:5]
	s_waitcnt vmcnt(4) lgkmcnt(0)
	v_mul_f64 v[36:37], v[30:31], v[8:9]
	v_mul_f64 v[8:9], v[32:33], v[8:9]
	s_delay_alu instid0(VALU_DEP_4) | instskip(NEXT) | instid1(VALU_DEP_4)
	v_fma_f64 v[22:23], v[22:23], v[2:3], -v[34:35]
	v_fma_f64 v[24:25], v[24:25], v[2:3], v[4:5]
	ds_load_b128 v[2:5], v1 offset:1776
	v_fma_f64 v[32:33], v[32:33], v[6:7], v[36:37]
	v_fma_f64 v[30:31], v[30:31], v[6:7], -v[8:9]
	ds_load_b128 v[6:9], v1 offset:1792
	s_waitcnt vmcnt(3) lgkmcnt(1)
	v_mul_f64 v[34:35], v[2:3], v[12:13]
	v_mul_f64 v[12:13], v[4:5], v[12:13]
	s_waitcnt vmcnt(2) lgkmcnt(0)
	v_mul_f64 v[36:37], v[6:7], v[16:17]
	s_delay_alu instid0(VALU_DEP_3) | instskip(NEXT) | instid1(VALU_DEP_3)
	v_fma_f64 v[34:35], v[4:5], v[10:11], v[34:35]
	v_fma_f64 v[38:39], v[2:3], v[10:11], -v[12:13]
	v_mul_f64 v[10:11], v[8:9], v[16:17]
	ds_load_b128 v[2:5], v1 offset:1808
	v_fma_f64 v[16:17], v[8:9], v[14:15], v[36:37]
	v_fma_f64 v[14:15], v[6:7], v[14:15], -v[10:11]
	ds_load_b128 v[6:9], v1 offset:1824
	s_waitcnt vmcnt(1) lgkmcnt(1)
	v_mul_f64 v[10:11], v[2:3], v[20:21]
	v_mul_f64 v[12:13], v[4:5], v[20:21]
	s_delay_alu instid0(VALU_DEP_2) | instskip(NEXT) | instid1(VALU_DEP_2)
	v_fma_f64 v[20:21], v[4:5], v[18:19], v[10:11]
	v_fma_f64 v[18:19], v[2:3], v[18:19], -v[12:13]
	s_clause 0x1
	scratch_load_b128 v[2:5], off, off offset:800
	scratch_load_b128 v[10:13], off, off offset:816
	s_waitcnt vmcnt(1) lgkmcnt(0)
	v_mul_f64 v[36:37], v[6:7], v[4:5]
	v_mul_f64 v[4:5], v[8:9], v[4:5]
	s_delay_alu instid0(VALU_DEP_2) | instskip(NEXT) | instid1(VALU_DEP_2)
	v_fma_f64 v[36:37], v[8:9], v[2:3], v[36:37]
	v_fma_f64 v[40:41], v[6:7], v[2:3], -v[4:5]
	ds_load_b128 v[2:5], v1 offset:1840
	ds_load_b128 v[6:9], v1 offset:1856
	s_waitcnt vmcnt(0) lgkmcnt(1)
	v_mul_f64 v[42:43], v[2:3], v[12:13]
	s_delay_alu instid0(VALU_DEP_1) | instskip(SKIP_1) | instid1(VALU_DEP_1)
	v_fma_f64 v[42:43], v[4:5], v[10:11], v[42:43]
	v_mul_f64 v[4:5], v[4:5], v[12:13]
	v_fma_f64 v[44:45], v[2:3], v[10:11], -v[4:5]
	s_clause 0x1
	scratch_load_b128 v[2:5], off, off offset:832
	scratch_load_b128 v[10:13], off, off offset:848
	s_waitcnt vmcnt(1) lgkmcnt(0)
	v_mul_f64 v[46:47], v[6:7], v[4:5]
	v_mul_f64 v[4:5], v[8:9], v[4:5]
	s_delay_alu instid0(VALU_DEP_2) | instskip(NEXT) | instid1(VALU_DEP_2)
	v_fma_f64 v[46:47], v[8:9], v[2:3], v[46:47]
	v_fma_f64 v[48:49], v[6:7], v[2:3], -v[4:5]
	ds_load_b128 v[2:5], v1 offset:1872
	ds_load_b128 v[6:9], v1 offset:1888
	s_waitcnt vmcnt(0) lgkmcnt(1)
	v_mul_f64 v[54:55], v[2:3], v[12:13]
	s_delay_alu instid0(VALU_DEP_1) | instskip(SKIP_1) | instid1(VALU_DEP_1)
	v_fma_f64 v[54:55], v[4:5], v[10:11], v[54:55]
	v_mul_f64 v[4:5], v[4:5], v[12:13]
	;; [unrolled: 17-line block ×5, first 2 shown]
	v_fma_f64 v[185:186], v[2:3], v[10:11], -v[4:5]
	v_add_f64 v[2:3], v[22:23], 0
	v_add_f64 v[4:5], v[24:25], 0
	s_delay_alu instid0(VALU_DEP_2) | instskip(NEXT) | instid1(VALU_DEP_2)
	v_add_f64 v[2:3], v[2:3], v[30:31]
	v_add_f64 v[4:5], v[4:5], v[32:33]
	s_delay_alu instid0(VALU_DEP_2) | instskip(NEXT) | instid1(VALU_DEP_2)
	;; [unrolled: 3-line block ×8, first 2 shown]
	v_add_f64 v[2:3], v[2:3], v[56:57]
	v_add_f64 v[10:11], v[4:5], v[54:55]
	s_delay_alu instid0(VALU_DEP_2)
	v_add_f64 v[12:13], v[2:3], v[60:61]
	scratch_load_b128 v[2:5], off, off offset:960
	v_add_f64 v[14:15], v[10:11], v[58:59]
	v_add_f64 v[16:17], v[12:13], v[88:89]
	scratch_load_b128 v[10:13], off, off offset:976
	v_add_f64 v[18:19], v[14:15], v[62:63]
	;; [unrolled: 3-line block ×4, first 2 shown]
	v_add_f64 v[24:25], v[24:25], v[181:182]
	s_delay_alu instid0(VALU_DEP_2) | instskip(NEXT) | instid1(VALU_DEP_2)
	v_add_f64 v[22:23], v[22:23], v[179:180]
	v_add_f64 v[24:25], v[24:25], v[185:186]
	s_delay_alu instid0(VALU_DEP_2) | instskip(SKIP_3) | instid1(VALU_DEP_2)
	v_add_f64 v[22:23], v[22:23], v[183:184]
	s_waitcnt vmcnt(3) lgkmcnt(0)
	v_mul_f64 v[30:31], v[6:7], v[4:5]
	v_mul_f64 v[4:5], v[8:9], v[4:5]
	v_fma_f64 v[30:31], v[8:9], v[2:3], v[30:31]
	s_delay_alu instid0(VALU_DEP_2)
	v_fma_f64 v[32:33], v[6:7], v[2:3], -v[4:5]
	ds_load_b128 v[2:5], v1 offset:2000
	ds_load_b128 v[6:9], v1 offset:2016
	s_waitcnt vmcnt(2) lgkmcnt(1)
	v_mul_f64 v[34:35], v[2:3], v[12:13]
	v_mul_f64 v[12:13], v[4:5], v[12:13]
	s_waitcnt vmcnt(1) lgkmcnt(0)
	v_mul_f64 v[36:37], v[6:7], v[16:17]
	v_add_f64 v[22:23], v[22:23], v[30:31]
	s_delay_alu instid0(VALU_DEP_4) | instskip(NEXT) | instid1(VALU_DEP_4)
	v_fma_f64 v[34:35], v[4:5], v[10:11], v[34:35]
	v_fma_f64 v[10:11], v[2:3], v[10:11], -v[12:13]
	v_mul_f64 v[12:13], v[8:9], v[16:17]
	v_add_f64 v[16:17], v[24:25], v[32:33]
	ds_load_b128 v[2:5], v1 offset:2032
	v_fma_f64 v[8:9], v[8:9], v[14:15], v[36:37]
	s_waitcnt vmcnt(0) lgkmcnt(0)
	v_mul_f64 v[24:25], v[2:3], v[20:21]
	v_mul_f64 v[20:21], v[4:5], v[20:21]
	v_fma_f64 v[6:7], v[6:7], v[14:15], -v[12:13]
	v_add_f64 v[10:11], v[16:17], v[10:11]
	v_add_f64 v[12:13], v[22:23], v[34:35]
	v_fma_f64 v[4:5], v[4:5], v[18:19], v[24:25]
	v_fma_f64 v[2:3], v[2:3], v[18:19], -v[20:21]
	s_delay_alu instid0(VALU_DEP_4) | instskip(NEXT) | instid1(VALU_DEP_4)
	v_add_f64 v[6:7], v[10:11], v[6:7]
	v_add_f64 v[8:9], v[12:13], v[8:9]
	s_delay_alu instid0(VALU_DEP_2) | instskip(NEXT) | instid1(VALU_DEP_2)
	v_add_f64 v[2:3], v[6:7], v[2:3]
	v_add_f64 v[4:5], v[8:9], v[4:5]
	s_delay_alu instid0(VALU_DEP_2) | instskip(NEXT) | instid1(VALU_DEP_2)
	v_add_f64 v[2:3], v[26:27], -v[2:3]
	v_add_f64 v[4:5], v[28:29], -v[4:5]
	scratch_store_b128 off, v[2:5], off offset:704
	v_cmpx_lt_u32_e32 43, v178
	s_cbranch_execz .LBB63_322
; %bb.321:
	scratch_load_b32 v2, off, off offset:1100 ; 4-byte Folded Reload
	v_mov_b32_e32 v3, v1
	v_mov_b32_e32 v4, v1
	s_waitcnt vmcnt(0)
	scratch_load_b128 v[5:8], v2, off
	v_mov_b32_e32 v2, v1
	scratch_store_b128 off, v[1:4], off offset:688
	s_waitcnt vmcnt(0)
	ds_store_b128 v242, v[5:8]
.LBB63_322:
	s_or_b32 exec_lo, exec_lo, s2
	s_waitcnt lgkmcnt(0)
	s_waitcnt_vscnt null, 0x0
	s_barrier
	buffer_gl0_inv
	s_clause 0x4
	scratch_load_b128 v[2:5], off, off offset:704
	scratch_load_b128 v[6:9], off, off offset:720
	;; [unrolled: 1-line block ×5, first 2 shown]
	ds_load_b128 v[22:25], v1 offset:1728
	ds_load_b128 v[26:29], v1 offset:1744
	scratch_load_b128 v[30:33], off, off offset:688
	s_mov_b32 s2, exec_lo
	s_waitcnt vmcnt(5) lgkmcnt(1)
	v_mul_f64 v[34:35], v[24:25], v[4:5]
	v_mul_f64 v[4:5], v[22:23], v[4:5]
	s_waitcnt vmcnt(4) lgkmcnt(0)
	v_mul_f64 v[36:37], v[26:27], v[8:9]
	v_mul_f64 v[8:9], v[28:29], v[8:9]
	s_delay_alu instid0(VALU_DEP_4) | instskip(NEXT) | instid1(VALU_DEP_4)
	v_fma_f64 v[22:23], v[22:23], v[2:3], -v[34:35]
	v_fma_f64 v[24:25], v[24:25], v[2:3], v[4:5]
	ds_load_b128 v[2:5], v1 offset:1760
	v_fma_f64 v[28:29], v[28:29], v[6:7], v[36:37]
	v_fma_f64 v[26:27], v[26:27], v[6:7], -v[8:9]
	ds_load_b128 v[6:9], v1 offset:1776
	s_waitcnt vmcnt(3) lgkmcnt(1)
	v_mul_f64 v[34:35], v[2:3], v[12:13]
	v_mul_f64 v[12:13], v[4:5], v[12:13]
	s_waitcnt vmcnt(2) lgkmcnt(0)
	v_mul_f64 v[36:37], v[6:7], v[16:17]
	s_delay_alu instid0(VALU_DEP_3) | instskip(NEXT) | instid1(VALU_DEP_3)
	v_fma_f64 v[34:35], v[4:5], v[10:11], v[34:35]
	v_fma_f64 v[38:39], v[2:3], v[10:11], -v[12:13]
	v_mul_f64 v[10:11], v[8:9], v[16:17]
	ds_load_b128 v[2:5], v1 offset:1792
	v_fma_f64 v[16:17], v[8:9], v[14:15], v[36:37]
	v_fma_f64 v[14:15], v[6:7], v[14:15], -v[10:11]
	ds_load_b128 v[6:9], v1 offset:1808
	s_waitcnt vmcnt(1) lgkmcnt(1)
	v_mul_f64 v[10:11], v[2:3], v[20:21]
	v_mul_f64 v[12:13], v[4:5], v[20:21]
	s_delay_alu instid0(VALU_DEP_2) | instskip(NEXT) | instid1(VALU_DEP_2)
	v_fma_f64 v[20:21], v[4:5], v[18:19], v[10:11]
	v_fma_f64 v[18:19], v[2:3], v[18:19], -v[12:13]
	s_clause 0x1
	scratch_load_b128 v[2:5], off, off offset:784
	scratch_load_b128 v[10:13], off, off offset:800
	s_waitcnt vmcnt(1) lgkmcnt(0)
	v_mul_f64 v[36:37], v[6:7], v[4:5]
	v_mul_f64 v[4:5], v[8:9], v[4:5]
	s_delay_alu instid0(VALU_DEP_2) | instskip(NEXT) | instid1(VALU_DEP_2)
	v_fma_f64 v[36:37], v[8:9], v[2:3], v[36:37]
	v_fma_f64 v[40:41], v[6:7], v[2:3], -v[4:5]
	ds_load_b128 v[2:5], v1 offset:1824
	ds_load_b128 v[6:9], v1 offset:1840
	s_waitcnt vmcnt(0) lgkmcnt(1)
	v_mul_f64 v[42:43], v[2:3], v[12:13]
	s_delay_alu instid0(VALU_DEP_1) | instskip(SKIP_1) | instid1(VALU_DEP_1)
	v_fma_f64 v[42:43], v[4:5], v[10:11], v[42:43]
	v_mul_f64 v[4:5], v[4:5], v[12:13]
	v_fma_f64 v[44:45], v[2:3], v[10:11], -v[4:5]
	s_clause 0x1
	scratch_load_b128 v[2:5], off, off offset:816
	scratch_load_b128 v[10:13], off, off offset:832
	s_waitcnt vmcnt(1) lgkmcnt(0)
	v_mul_f64 v[46:47], v[6:7], v[4:5]
	v_mul_f64 v[4:5], v[8:9], v[4:5]
	s_delay_alu instid0(VALU_DEP_2) | instskip(NEXT) | instid1(VALU_DEP_2)
	v_fma_f64 v[46:47], v[8:9], v[2:3], v[46:47]
	v_fma_f64 v[48:49], v[6:7], v[2:3], -v[4:5]
	ds_load_b128 v[2:5], v1 offset:1856
	ds_load_b128 v[6:9], v1 offset:1872
	s_waitcnt vmcnt(0) lgkmcnt(1)
	v_mul_f64 v[54:55], v[2:3], v[12:13]
	s_delay_alu instid0(VALU_DEP_1) | instskip(SKIP_1) | instid1(VALU_DEP_1)
	v_fma_f64 v[54:55], v[4:5], v[10:11], v[54:55]
	v_mul_f64 v[4:5], v[4:5], v[12:13]
	;; [unrolled: 17-line block ×6, first 2 shown]
	v_fma_f64 v[243:244], v[2:3], v[10:11], -v[4:5]
	v_add_f64 v[2:3], v[22:23], 0
	v_add_f64 v[4:5], v[24:25], 0
	s_delay_alu instid0(VALU_DEP_2) | instskip(NEXT) | instid1(VALU_DEP_2)
	v_add_f64 v[2:3], v[2:3], v[26:27]
	v_add_f64 v[4:5], v[4:5], v[28:29]
	s_delay_alu instid0(VALU_DEP_2) | instskip(NEXT) | instid1(VALU_DEP_2)
	;; [unrolled: 3-line block ×10, first 2 shown]
	v_add_f64 v[2:3], v[2:3], v[88:89]
	v_add_f64 v[10:11], v[4:5], v[62:63]
	s_delay_alu instid0(VALU_DEP_2)
	v_add_f64 v[12:13], v[2:3], v[96:97]
	scratch_load_b128 v[2:5], off, off offset:976
	v_add_f64 v[14:15], v[10:11], v[92:93]
	v_add_f64 v[16:17], v[12:13], v[100:101]
	scratch_load_b128 v[10:13], off, off offset:992
	v_add_f64 v[18:19], v[14:15], v[98:99]
	;; [unrolled: 3-line block ×3, first 2 shown]
	v_add_f64 v[20:21], v[20:21], v[185:186]
	s_delay_alu instid0(VALU_DEP_2) | instskip(NEXT) | instid1(VALU_DEP_2)
	v_add_f64 v[18:19], v[18:19], v[183:184]
	v_add_f64 v[28:29], v[20:21], v[218:219]
	s_delay_alu instid0(VALU_DEP_2)
	v_add_f64 v[34:35], v[18:19], v[187:188]
	ds_load_b128 v[18:21], v1 offset:2016
	ds_load_b128 v[22:25], v1 offset:2032
	s_waitcnt vmcnt(2) lgkmcnt(2)
	v_mul_f64 v[26:27], v[6:7], v[4:5]
	v_mul_f64 v[4:5], v[8:9], v[4:5]
	s_waitcnt vmcnt(1) lgkmcnt(1)
	v_mul_f64 v[36:37], v[18:19], v[12:13]
	s_delay_alu instid0(VALU_DEP_3) | instskip(NEXT) | instid1(VALU_DEP_3)
	v_fma_f64 v[8:9], v[8:9], v[2:3], v[26:27]
	v_fma_f64 v[1:2], v[6:7], v[2:3], -v[4:5]
	v_mul_f64 v[3:4], v[20:21], v[12:13]
	v_add_f64 v[5:6], v[28:29], v[243:244]
	v_add_f64 v[12:13], v[34:35], v[224:225]
	s_waitcnt vmcnt(0) lgkmcnt(0)
	v_mul_f64 v[26:27], v[22:23], v[16:17]
	v_mul_f64 v[16:17], v[24:25], v[16:17]
	v_fma_f64 v[20:21], v[20:21], v[10:11], v[36:37]
	v_fma_f64 v[3:4], v[18:19], v[10:11], -v[3:4]
	v_add_f64 v[1:2], v[5:6], v[1:2]
	v_add_f64 v[5:6], v[12:13], v[8:9]
	v_fma_f64 v[7:8], v[24:25], v[14:15], v[26:27]
	v_fma_f64 v[9:10], v[22:23], v[14:15], -v[16:17]
	s_delay_alu instid0(VALU_DEP_4) | instskip(NEXT) | instid1(VALU_DEP_4)
	v_add_f64 v[1:2], v[1:2], v[3:4]
	v_add_f64 v[3:4], v[5:6], v[20:21]
	s_delay_alu instid0(VALU_DEP_2) | instskip(NEXT) | instid1(VALU_DEP_2)
	v_add_f64 v[1:2], v[1:2], v[9:10]
	v_add_f64 v[3:4], v[3:4], v[7:8]
	s_delay_alu instid0(VALU_DEP_2) | instskip(NEXT) | instid1(VALU_DEP_2)
	v_add_f64 v[1:2], v[30:31], -v[1:2]
	v_add_f64 v[3:4], v[32:33], -v[3:4]
	scratch_store_b128 off, v[1:4], off offset:688
	v_cmpx_lt_u32_e32 42, v178
	s_cbranch_execz .LBB63_324
; %bb.323:
	scratch_load_b32 v1, off, off offset:1104 ; 4-byte Folded Reload
	v_mov_b32_e32 v5, 0
	s_delay_alu instid0(VALU_DEP_1)
	v_mov_b32_e32 v6, v5
	v_mov_b32_e32 v7, v5
	;; [unrolled: 1-line block ×3, first 2 shown]
	s_waitcnt vmcnt(0)
	scratch_load_b128 v[1:4], v1, off
	scratch_store_b128 off, v[5:8], off offset:672
	s_waitcnt vmcnt(0)
	ds_store_b128 v242, v[1:4]
.LBB63_324:
	s_or_b32 exec_lo, exec_lo, s2
	s_waitcnt lgkmcnt(0)
	s_waitcnt_vscnt null, 0x0
	s_barrier
	buffer_gl0_inv
	s_clause 0x4
	scratch_load_b128 v[2:5], off, off offset:688
	scratch_load_b128 v[6:9], off, off offset:704
	;; [unrolled: 1-line block ×5, first 2 shown]
	v_mov_b32_e32 v1, 0
	scratch_load_b128 v[26:29], off, off offset:672
	s_mov_b32 s2, exec_lo
	ds_load_b128 v[22:25], v1 offset:1712
	ds_load_b128 v[30:33], v1 offset:1728
	s_waitcnt vmcnt(5) lgkmcnt(1)
	v_mul_f64 v[34:35], v[24:25], v[4:5]
	v_mul_f64 v[4:5], v[22:23], v[4:5]
	s_waitcnt vmcnt(4) lgkmcnt(0)
	v_mul_f64 v[36:37], v[30:31], v[8:9]
	v_mul_f64 v[8:9], v[32:33], v[8:9]
	s_delay_alu instid0(VALU_DEP_4) | instskip(NEXT) | instid1(VALU_DEP_4)
	v_fma_f64 v[22:23], v[22:23], v[2:3], -v[34:35]
	v_fma_f64 v[24:25], v[24:25], v[2:3], v[4:5]
	ds_load_b128 v[2:5], v1 offset:1744
	v_fma_f64 v[32:33], v[32:33], v[6:7], v[36:37]
	v_fma_f64 v[30:31], v[30:31], v[6:7], -v[8:9]
	ds_load_b128 v[6:9], v1 offset:1760
	s_waitcnt vmcnt(3) lgkmcnt(1)
	v_mul_f64 v[34:35], v[2:3], v[12:13]
	v_mul_f64 v[12:13], v[4:5], v[12:13]
	s_waitcnt vmcnt(2) lgkmcnt(0)
	v_mul_f64 v[36:37], v[6:7], v[16:17]
	s_delay_alu instid0(VALU_DEP_3) | instskip(NEXT) | instid1(VALU_DEP_3)
	v_fma_f64 v[34:35], v[4:5], v[10:11], v[34:35]
	v_fma_f64 v[38:39], v[2:3], v[10:11], -v[12:13]
	v_mul_f64 v[10:11], v[8:9], v[16:17]
	ds_load_b128 v[2:5], v1 offset:1776
	v_fma_f64 v[16:17], v[8:9], v[14:15], v[36:37]
	v_fma_f64 v[14:15], v[6:7], v[14:15], -v[10:11]
	ds_load_b128 v[6:9], v1 offset:1792
	s_waitcnt vmcnt(1) lgkmcnt(1)
	v_mul_f64 v[10:11], v[2:3], v[20:21]
	v_mul_f64 v[12:13], v[4:5], v[20:21]
	s_delay_alu instid0(VALU_DEP_2) | instskip(NEXT) | instid1(VALU_DEP_2)
	v_fma_f64 v[20:21], v[4:5], v[18:19], v[10:11]
	v_fma_f64 v[18:19], v[2:3], v[18:19], -v[12:13]
	s_clause 0x1
	scratch_load_b128 v[2:5], off, off offset:768
	scratch_load_b128 v[10:13], off, off offset:784
	s_waitcnt vmcnt(1) lgkmcnt(0)
	v_mul_f64 v[36:37], v[6:7], v[4:5]
	v_mul_f64 v[4:5], v[8:9], v[4:5]
	s_delay_alu instid0(VALU_DEP_2) | instskip(NEXT) | instid1(VALU_DEP_2)
	v_fma_f64 v[36:37], v[8:9], v[2:3], v[36:37]
	v_fma_f64 v[40:41], v[6:7], v[2:3], -v[4:5]
	ds_load_b128 v[2:5], v1 offset:1808
	ds_load_b128 v[6:9], v1 offset:1824
	s_waitcnt vmcnt(0) lgkmcnt(1)
	v_mul_f64 v[42:43], v[2:3], v[12:13]
	s_delay_alu instid0(VALU_DEP_1) | instskip(SKIP_1) | instid1(VALU_DEP_1)
	v_fma_f64 v[42:43], v[4:5], v[10:11], v[42:43]
	v_mul_f64 v[4:5], v[4:5], v[12:13]
	v_fma_f64 v[44:45], v[2:3], v[10:11], -v[4:5]
	s_clause 0x1
	scratch_load_b128 v[2:5], off, off offset:800
	scratch_load_b128 v[10:13], off, off offset:816
	s_waitcnt vmcnt(1) lgkmcnt(0)
	v_mul_f64 v[46:47], v[6:7], v[4:5]
	v_mul_f64 v[4:5], v[8:9], v[4:5]
	s_delay_alu instid0(VALU_DEP_2) | instskip(NEXT) | instid1(VALU_DEP_2)
	v_fma_f64 v[46:47], v[8:9], v[2:3], v[46:47]
	v_fma_f64 v[48:49], v[6:7], v[2:3], -v[4:5]
	ds_load_b128 v[2:5], v1 offset:1840
	ds_load_b128 v[6:9], v1 offset:1856
	s_waitcnt vmcnt(0) lgkmcnt(1)
	v_mul_f64 v[54:55], v[2:3], v[12:13]
	s_delay_alu instid0(VALU_DEP_1) | instskip(SKIP_1) | instid1(VALU_DEP_1)
	v_fma_f64 v[54:55], v[4:5], v[10:11], v[54:55]
	v_mul_f64 v[4:5], v[4:5], v[12:13]
	;; [unrolled: 17-line block ×6, first 2 shown]
	v_fma_f64 v[243:244], v[2:3], v[10:11], -v[4:5]
	v_add_f64 v[2:3], v[22:23], 0
	v_add_f64 v[4:5], v[24:25], 0
	s_delay_alu instid0(VALU_DEP_2) | instskip(NEXT) | instid1(VALU_DEP_2)
	v_add_f64 v[2:3], v[2:3], v[30:31]
	v_add_f64 v[4:5], v[4:5], v[32:33]
	s_delay_alu instid0(VALU_DEP_2) | instskip(NEXT) | instid1(VALU_DEP_2)
	;; [unrolled: 3-line block ×10, first 2 shown]
	v_add_f64 v[2:3], v[2:3], v[88:89]
	v_add_f64 v[10:11], v[4:5], v[62:63]
	s_delay_alu instid0(VALU_DEP_2)
	v_add_f64 v[12:13], v[2:3], v[96:97]
	scratch_load_b128 v[2:5], off, off offset:960
	v_add_f64 v[14:15], v[10:11], v[92:93]
	v_add_f64 v[16:17], v[12:13], v[100:101]
	scratch_load_b128 v[10:13], off, off offset:976
	v_add_f64 v[18:19], v[14:15], v[98:99]
	;; [unrolled: 3-line block ×4, first 2 shown]
	v_add_f64 v[24:25], v[24:25], v[218:219]
	s_delay_alu instid0(VALU_DEP_2) | instskip(NEXT) | instid1(VALU_DEP_2)
	v_add_f64 v[22:23], v[22:23], v[187:188]
	v_add_f64 v[24:25], v[24:25], v[243:244]
	s_delay_alu instid0(VALU_DEP_2) | instskip(SKIP_3) | instid1(VALU_DEP_2)
	v_add_f64 v[22:23], v[22:23], v[224:225]
	s_waitcnt vmcnt(3) lgkmcnt(0)
	v_mul_f64 v[30:31], v[6:7], v[4:5]
	v_mul_f64 v[4:5], v[8:9], v[4:5]
	v_fma_f64 v[30:31], v[8:9], v[2:3], v[30:31]
	s_delay_alu instid0(VALU_DEP_2)
	v_fma_f64 v[32:33], v[6:7], v[2:3], -v[4:5]
	ds_load_b128 v[2:5], v1 offset:2000
	ds_load_b128 v[6:9], v1 offset:2016
	s_waitcnt vmcnt(2) lgkmcnt(1)
	v_mul_f64 v[34:35], v[2:3], v[12:13]
	v_mul_f64 v[12:13], v[4:5], v[12:13]
	s_waitcnt vmcnt(1) lgkmcnt(0)
	v_mul_f64 v[36:37], v[6:7], v[16:17]
	v_add_f64 v[22:23], v[22:23], v[30:31]
	s_delay_alu instid0(VALU_DEP_4) | instskip(NEXT) | instid1(VALU_DEP_4)
	v_fma_f64 v[34:35], v[4:5], v[10:11], v[34:35]
	v_fma_f64 v[10:11], v[2:3], v[10:11], -v[12:13]
	v_mul_f64 v[12:13], v[8:9], v[16:17]
	v_add_f64 v[16:17], v[24:25], v[32:33]
	ds_load_b128 v[2:5], v1 offset:2032
	v_fma_f64 v[8:9], v[8:9], v[14:15], v[36:37]
	s_waitcnt vmcnt(0) lgkmcnt(0)
	v_mul_f64 v[24:25], v[2:3], v[20:21]
	v_mul_f64 v[20:21], v[4:5], v[20:21]
	v_fma_f64 v[6:7], v[6:7], v[14:15], -v[12:13]
	v_add_f64 v[10:11], v[16:17], v[10:11]
	v_add_f64 v[12:13], v[22:23], v[34:35]
	v_fma_f64 v[4:5], v[4:5], v[18:19], v[24:25]
	v_fma_f64 v[2:3], v[2:3], v[18:19], -v[20:21]
	s_delay_alu instid0(VALU_DEP_4) | instskip(NEXT) | instid1(VALU_DEP_4)
	v_add_f64 v[6:7], v[10:11], v[6:7]
	v_add_f64 v[8:9], v[12:13], v[8:9]
	s_delay_alu instid0(VALU_DEP_2) | instskip(NEXT) | instid1(VALU_DEP_2)
	v_add_f64 v[2:3], v[6:7], v[2:3]
	v_add_f64 v[4:5], v[8:9], v[4:5]
	s_delay_alu instid0(VALU_DEP_2) | instskip(NEXT) | instid1(VALU_DEP_2)
	v_add_f64 v[2:3], v[26:27], -v[2:3]
	v_add_f64 v[4:5], v[28:29], -v[4:5]
	scratch_store_b128 off, v[2:5], off offset:672
	v_cmpx_lt_u32_e32 41, v178
	s_cbranch_execz .LBB63_326
; %bb.325:
	scratch_load_b32 v2, off, off offset:1108 ; 4-byte Folded Reload
	v_mov_b32_e32 v3, v1
	v_mov_b32_e32 v4, v1
	s_waitcnt vmcnt(0)
	scratch_load_b128 v[5:8], v2, off
	v_mov_b32_e32 v2, v1
	scratch_store_b128 off, v[1:4], off offset:656
	s_waitcnt vmcnt(0)
	ds_store_b128 v242, v[5:8]
.LBB63_326:
	s_or_b32 exec_lo, exec_lo, s2
	s_waitcnt lgkmcnt(0)
	s_waitcnt_vscnt null, 0x0
	s_barrier
	buffer_gl0_inv
	s_clause 0x4
	scratch_load_b128 v[2:5], off, off offset:672
	scratch_load_b128 v[6:9], off, off offset:688
	;; [unrolled: 1-line block ×5, first 2 shown]
	ds_load_b128 v[22:25], v1 offset:1696
	ds_load_b128 v[26:29], v1 offset:1712
	scratch_load_b128 v[30:33], off, off offset:656
	s_mov_b32 s2, exec_lo
	s_waitcnt vmcnt(5) lgkmcnt(1)
	v_mul_f64 v[34:35], v[24:25], v[4:5]
	v_mul_f64 v[4:5], v[22:23], v[4:5]
	s_waitcnt vmcnt(4) lgkmcnt(0)
	v_mul_f64 v[36:37], v[26:27], v[8:9]
	v_mul_f64 v[8:9], v[28:29], v[8:9]
	s_delay_alu instid0(VALU_DEP_4) | instskip(NEXT) | instid1(VALU_DEP_4)
	v_fma_f64 v[22:23], v[22:23], v[2:3], -v[34:35]
	v_fma_f64 v[24:25], v[24:25], v[2:3], v[4:5]
	ds_load_b128 v[2:5], v1 offset:1728
	v_fma_f64 v[28:29], v[28:29], v[6:7], v[36:37]
	v_fma_f64 v[26:27], v[26:27], v[6:7], -v[8:9]
	ds_load_b128 v[6:9], v1 offset:1744
	s_waitcnt vmcnt(3) lgkmcnt(1)
	v_mul_f64 v[34:35], v[2:3], v[12:13]
	v_mul_f64 v[12:13], v[4:5], v[12:13]
	s_waitcnt vmcnt(2) lgkmcnt(0)
	v_mul_f64 v[36:37], v[6:7], v[16:17]
	s_delay_alu instid0(VALU_DEP_3) | instskip(NEXT) | instid1(VALU_DEP_3)
	v_fma_f64 v[34:35], v[4:5], v[10:11], v[34:35]
	v_fma_f64 v[38:39], v[2:3], v[10:11], -v[12:13]
	v_mul_f64 v[10:11], v[8:9], v[16:17]
	ds_load_b128 v[2:5], v1 offset:1760
	v_fma_f64 v[16:17], v[8:9], v[14:15], v[36:37]
	v_fma_f64 v[14:15], v[6:7], v[14:15], -v[10:11]
	ds_load_b128 v[6:9], v1 offset:1776
	s_waitcnt vmcnt(1) lgkmcnt(1)
	v_mul_f64 v[10:11], v[2:3], v[20:21]
	v_mul_f64 v[12:13], v[4:5], v[20:21]
	s_delay_alu instid0(VALU_DEP_2) | instskip(NEXT) | instid1(VALU_DEP_2)
	v_fma_f64 v[20:21], v[4:5], v[18:19], v[10:11]
	v_fma_f64 v[18:19], v[2:3], v[18:19], -v[12:13]
	s_clause 0x1
	scratch_load_b128 v[2:5], off, off offset:752
	scratch_load_b128 v[10:13], off, off offset:768
	s_waitcnt vmcnt(1) lgkmcnt(0)
	v_mul_f64 v[36:37], v[6:7], v[4:5]
	v_mul_f64 v[4:5], v[8:9], v[4:5]
	s_delay_alu instid0(VALU_DEP_2) | instskip(NEXT) | instid1(VALU_DEP_2)
	v_fma_f64 v[36:37], v[8:9], v[2:3], v[36:37]
	v_fma_f64 v[40:41], v[6:7], v[2:3], -v[4:5]
	ds_load_b128 v[2:5], v1 offset:1792
	ds_load_b128 v[6:9], v1 offset:1808
	s_waitcnt vmcnt(0) lgkmcnt(1)
	v_mul_f64 v[42:43], v[2:3], v[12:13]
	s_delay_alu instid0(VALU_DEP_1) | instskip(SKIP_1) | instid1(VALU_DEP_1)
	v_fma_f64 v[42:43], v[4:5], v[10:11], v[42:43]
	v_mul_f64 v[4:5], v[4:5], v[12:13]
	v_fma_f64 v[44:45], v[2:3], v[10:11], -v[4:5]
	s_clause 0x1
	scratch_load_b128 v[2:5], off, off offset:784
	scratch_load_b128 v[10:13], off, off offset:800
	s_waitcnt vmcnt(1) lgkmcnt(0)
	v_mul_f64 v[46:47], v[6:7], v[4:5]
	v_mul_f64 v[4:5], v[8:9], v[4:5]
	s_delay_alu instid0(VALU_DEP_2) | instskip(NEXT) | instid1(VALU_DEP_2)
	v_fma_f64 v[46:47], v[8:9], v[2:3], v[46:47]
	v_fma_f64 v[48:49], v[6:7], v[2:3], -v[4:5]
	ds_load_b128 v[2:5], v1 offset:1824
	ds_load_b128 v[6:9], v1 offset:1840
	s_waitcnt vmcnt(0) lgkmcnt(1)
	v_mul_f64 v[54:55], v[2:3], v[12:13]
	s_delay_alu instid0(VALU_DEP_1) | instskip(SKIP_1) | instid1(VALU_DEP_1)
	v_fma_f64 v[54:55], v[4:5], v[10:11], v[54:55]
	v_mul_f64 v[4:5], v[4:5], v[12:13]
	;; [unrolled: 17-line block ×7, first 2 shown]
	v_fma_f64 v[251:252], v[2:3], v[10:11], -v[4:5]
	v_add_f64 v[2:3], v[22:23], 0
	v_add_f64 v[4:5], v[24:25], 0
	s_delay_alu instid0(VALU_DEP_2) | instskip(NEXT) | instid1(VALU_DEP_2)
	v_add_f64 v[2:3], v[2:3], v[26:27]
	v_add_f64 v[4:5], v[4:5], v[28:29]
	s_delay_alu instid0(VALU_DEP_2) | instskip(NEXT) | instid1(VALU_DEP_2)
	;; [unrolled: 3-line block ×12, first 2 shown]
	v_add_f64 v[2:3], v[2:3], v[100:101]
	v_add_f64 v[10:11], v[4:5], v[98:99]
	s_delay_alu instid0(VALU_DEP_2)
	v_add_f64 v[12:13], v[2:3], v[181:182]
	scratch_load_b128 v[2:5], off, off offset:976
	v_add_f64 v[14:15], v[10:11], v[179:180]
	v_add_f64 v[16:17], v[12:13], v[185:186]
	scratch_load_b128 v[10:13], off, off offset:992
	v_add_f64 v[18:19], v[14:15], v[183:184]
	;; [unrolled: 3-line block ×3, first 2 shown]
	v_add_f64 v[20:21], v[20:21], v[243:244]
	s_delay_alu instid0(VALU_DEP_2) | instskip(NEXT) | instid1(VALU_DEP_2)
	v_add_f64 v[18:19], v[18:19], v[224:225]
	v_add_f64 v[28:29], v[20:21], v[247:248]
	s_delay_alu instid0(VALU_DEP_2)
	v_add_f64 v[34:35], v[18:19], v[245:246]
	ds_load_b128 v[18:21], v1 offset:2016
	ds_load_b128 v[22:25], v1 offset:2032
	s_waitcnt vmcnt(2) lgkmcnt(2)
	v_mul_f64 v[26:27], v[6:7], v[4:5]
	v_mul_f64 v[4:5], v[8:9], v[4:5]
	s_waitcnt vmcnt(1) lgkmcnt(1)
	v_mul_f64 v[36:37], v[18:19], v[12:13]
	s_delay_alu instid0(VALU_DEP_3) | instskip(NEXT) | instid1(VALU_DEP_3)
	v_fma_f64 v[8:9], v[8:9], v[2:3], v[26:27]
	v_fma_f64 v[1:2], v[6:7], v[2:3], -v[4:5]
	v_mul_f64 v[3:4], v[20:21], v[12:13]
	v_add_f64 v[5:6], v[28:29], v[251:252]
	v_add_f64 v[12:13], v[34:35], v[249:250]
	s_waitcnt vmcnt(0) lgkmcnt(0)
	v_mul_f64 v[26:27], v[22:23], v[16:17]
	v_mul_f64 v[16:17], v[24:25], v[16:17]
	v_fma_f64 v[20:21], v[20:21], v[10:11], v[36:37]
	v_fma_f64 v[3:4], v[18:19], v[10:11], -v[3:4]
	v_add_f64 v[1:2], v[5:6], v[1:2]
	v_add_f64 v[5:6], v[12:13], v[8:9]
	v_fma_f64 v[7:8], v[24:25], v[14:15], v[26:27]
	v_fma_f64 v[9:10], v[22:23], v[14:15], -v[16:17]
	s_delay_alu instid0(VALU_DEP_4) | instskip(NEXT) | instid1(VALU_DEP_4)
	v_add_f64 v[1:2], v[1:2], v[3:4]
	v_add_f64 v[3:4], v[5:6], v[20:21]
	s_delay_alu instid0(VALU_DEP_2) | instskip(NEXT) | instid1(VALU_DEP_2)
	v_add_f64 v[1:2], v[1:2], v[9:10]
	v_add_f64 v[3:4], v[3:4], v[7:8]
	s_delay_alu instid0(VALU_DEP_2) | instskip(NEXT) | instid1(VALU_DEP_2)
	v_add_f64 v[1:2], v[30:31], -v[1:2]
	v_add_f64 v[3:4], v[32:33], -v[3:4]
	scratch_store_b128 off, v[1:4], off offset:656
	v_cmpx_lt_u32_e32 40, v178
	s_cbranch_execz .LBB63_328
; %bb.327:
	scratch_load_b32 v1, off, off offset:1112 ; 4-byte Folded Reload
	v_mov_b32_e32 v5, 0
	s_delay_alu instid0(VALU_DEP_1)
	v_mov_b32_e32 v6, v5
	v_mov_b32_e32 v7, v5
	;; [unrolled: 1-line block ×3, first 2 shown]
	s_waitcnt vmcnt(0)
	scratch_load_b128 v[1:4], v1, off
	scratch_store_b128 off, v[5:8], off offset:640
	s_waitcnt vmcnt(0)
	ds_store_b128 v242, v[1:4]
.LBB63_328:
	s_or_b32 exec_lo, exec_lo, s2
	s_waitcnt lgkmcnt(0)
	s_waitcnt_vscnt null, 0x0
	s_barrier
	buffer_gl0_inv
	s_clause 0x4
	scratch_load_b128 v[2:5], off, off offset:656
	scratch_load_b128 v[6:9], off, off offset:672
	;; [unrolled: 1-line block ×5, first 2 shown]
	v_mov_b32_e32 v1, 0
	scratch_load_b128 v[26:29], off, off offset:640
	s_mov_b32 s2, exec_lo
	ds_load_b128 v[22:25], v1 offset:1680
	ds_load_b128 v[30:33], v1 offset:1696
	s_waitcnt vmcnt(5) lgkmcnt(1)
	v_mul_f64 v[34:35], v[24:25], v[4:5]
	v_mul_f64 v[4:5], v[22:23], v[4:5]
	s_waitcnt vmcnt(4) lgkmcnt(0)
	v_mul_f64 v[36:37], v[30:31], v[8:9]
	v_mul_f64 v[8:9], v[32:33], v[8:9]
	s_delay_alu instid0(VALU_DEP_4) | instskip(NEXT) | instid1(VALU_DEP_4)
	v_fma_f64 v[22:23], v[22:23], v[2:3], -v[34:35]
	v_fma_f64 v[24:25], v[24:25], v[2:3], v[4:5]
	ds_load_b128 v[2:5], v1 offset:1712
	v_fma_f64 v[32:33], v[32:33], v[6:7], v[36:37]
	v_fma_f64 v[30:31], v[30:31], v[6:7], -v[8:9]
	ds_load_b128 v[6:9], v1 offset:1728
	s_waitcnt vmcnt(3) lgkmcnt(1)
	v_mul_f64 v[34:35], v[2:3], v[12:13]
	v_mul_f64 v[12:13], v[4:5], v[12:13]
	s_waitcnt vmcnt(2) lgkmcnt(0)
	v_mul_f64 v[36:37], v[6:7], v[16:17]
	s_delay_alu instid0(VALU_DEP_3) | instskip(NEXT) | instid1(VALU_DEP_3)
	v_fma_f64 v[34:35], v[4:5], v[10:11], v[34:35]
	v_fma_f64 v[38:39], v[2:3], v[10:11], -v[12:13]
	v_mul_f64 v[10:11], v[8:9], v[16:17]
	ds_load_b128 v[2:5], v1 offset:1744
	v_fma_f64 v[16:17], v[8:9], v[14:15], v[36:37]
	v_fma_f64 v[14:15], v[6:7], v[14:15], -v[10:11]
	ds_load_b128 v[6:9], v1 offset:1760
	s_waitcnt vmcnt(1) lgkmcnt(1)
	v_mul_f64 v[10:11], v[2:3], v[20:21]
	v_mul_f64 v[12:13], v[4:5], v[20:21]
	s_delay_alu instid0(VALU_DEP_2) | instskip(NEXT) | instid1(VALU_DEP_2)
	v_fma_f64 v[20:21], v[4:5], v[18:19], v[10:11]
	v_fma_f64 v[18:19], v[2:3], v[18:19], -v[12:13]
	s_clause 0x1
	scratch_load_b128 v[2:5], off, off offset:736
	scratch_load_b128 v[10:13], off, off offset:752
	s_waitcnt vmcnt(1) lgkmcnt(0)
	v_mul_f64 v[36:37], v[6:7], v[4:5]
	v_mul_f64 v[4:5], v[8:9], v[4:5]
	s_delay_alu instid0(VALU_DEP_2) | instskip(NEXT) | instid1(VALU_DEP_2)
	v_fma_f64 v[36:37], v[8:9], v[2:3], v[36:37]
	v_fma_f64 v[40:41], v[6:7], v[2:3], -v[4:5]
	ds_load_b128 v[2:5], v1 offset:1776
	ds_load_b128 v[6:9], v1 offset:1792
	s_waitcnt vmcnt(0) lgkmcnt(1)
	v_mul_f64 v[42:43], v[2:3], v[12:13]
	s_delay_alu instid0(VALU_DEP_1) | instskip(SKIP_1) | instid1(VALU_DEP_1)
	v_fma_f64 v[42:43], v[4:5], v[10:11], v[42:43]
	v_mul_f64 v[4:5], v[4:5], v[12:13]
	v_fma_f64 v[44:45], v[2:3], v[10:11], -v[4:5]
	s_clause 0x1
	scratch_load_b128 v[2:5], off, off offset:768
	scratch_load_b128 v[10:13], off, off offset:784
	s_waitcnt vmcnt(1) lgkmcnt(0)
	v_mul_f64 v[46:47], v[6:7], v[4:5]
	v_mul_f64 v[4:5], v[8:9], v[4:5]
	s_delay_alu instid0(VALU_DEP_2) | instskip(NEXT) | instid1(VALU_DEP_2)
	v_fma_f64 v[46:47], v[8:9], v[2:3], v[46:47]
	v_fma_f64 v[48:49], v[6:7], v[2:3], -v[4:5]
	ds_load_b128 v[2:5], v1 offset:1808
	ds_load_b128 v[6:9], v1 offset:1824
	s_waitcnt vmcnt(0) lgkmcnt(1)
	v_mul_f64 v[54:55], v[2:3], v[12:13]
	s_delay_alu instid0(VALU_DEP_1) | instskip(SKIP_1) | instid1(VALU_DEP_1)
	v_fma_f64 v[54:55], v[4:5], v[10:11], v[54:55]
	v_mul_f64 v[4:5], v[4:5], v[12:13]
	v_fma_f64 v[56:57], v[2:3], v[10:11], -v[4:5]
	s_clause 0x1
	scratch_load_b128 v[2:5], off, off offset:800
	scratch_load_b128 v[10:13], off, off offset:816
	s_waitcnt vmcnt(1) lgkmcnt(0)
	v_mul_f64 v[58:59], v[6:7], v[4:5]
	v_mul_f64 v[4:5], v[8:9], v[4:5]
	s_delay_alu instid0(VALU_DEP_2) | instskip(NEXT) | instid1(VALU_DEP_2)
	v_fma_f64 v[58:59], v[8:9], v[2:3], v[58:59]
	v_fma_f64 v[60:61], v[6:7], v[2:3], -v[4:5]
	ds_load_b128 v[2:5], v1 offset:1840
	ds_load_b128 v[6:9], v1 offset:1856
	s_waitcnt vmcnt(0) lgkmcnt(1)
	v_mul_f64 v[62:63], v[2:3], v[12:13]
	s_delay_alu instid0(VALU_DEP_1) | instskip(SKIP_1) | instid1(VALU_DEP_1)
	v_fma_f64 v[62:63], v[4:5], v[10:11], v[62:63]
	v_mul_f64 v[4:5], v[4:5], v[12:13]
	v_fma_f64 v[88:89], v[2:3], v[10:11], -v[4:5]
	s_clause 0x1
	scratch_load_b128 v[2:5], off, off offset:832
	scratch_load_b128 v[10:13], off, off offset:848
	s_waitcnt vmcnt(1) lgkmcnt(0)
	v_mul_f64 v[92:93], v[6:7], v[4:5]
	v_mul_f64 v[4:5], v[8:9], v[4:5]
	s_delay_alu instid0(VALU_DEP_2) | instskip(NEXT) | instid1(VALU_DEP_2)
	v_fma_f64 v[92:93], v[8:9], v[2:3], v[92:93]
	v_fma_f64 v[96:97], v[6:7], v[2:3], -v[4:5]
	ds_load_b128 v[2:5], v1 offset:1872
	ds_load_b128 v[6:9], v1 offset:1888
	s_waitcnt vmcnt(0) lgkmcnt(1)
	v_mul_f64 v[98:99], v[2:3], v[12:13]
	s_delay_alu instid0(VALU_DEP_1) | instskip(SKIP_1) | instid1(VALU_DEP_1)
	v_fma_f64 v[98:99], v[4:5], v[10:11], v[98:99]
	v_mul_f64 v[4:5], v[4:5], v[12:13]
	v_fma_f64 v[100:101], v[2:3], v[10:11], -v[4:5]
	s_clause 0x1
	scratch_load_b128 v[2:5], off, off offset:864
	scratch_load_b128 v[10:13], off, off offset:880
	s_waitcnt vmcnt(1) lgkmcnt(0)
	v_mul_f64 v[179:180], v[6:7], v[4:5]
	v_mul_f64 v[4:5], v[8:9], v[4:5]
	s_delay_alu instid0(VALU_DEP_2) | instskip(NEXT) | instid1(VALU_DEP_2)
	v_fma_f64 v[179:180], v[8:9], v[2:3], v[179:180]
	v_fma_f64 v[181:182], v[6:7], v[2:3], -v[4:5]
	ds_load_b128 v[2:5], v1 offset:1904
	ds_load_b128 v[6:9], v1 offset:1920
	s_waitcnt vmcnt(0) lgkmcnt(1)
	v_mul_f64 v[183:184], v[2:3], v[12:13]
	s_delay_alu instid0(VALU_DEP_1) | instskip(SKIP_1) | instid1(VALU_DEP_1)
	v_fma_f64 v[183:184], v[4:5], v[10:11], v[183:184]
	v_mul_f64 v[4:5], v[4:5], v[12:13]
	v_fma_f64 v[185:186], v[2:3], v[10:11], -v[4:5]
	s_clause 0x1
	scratch_load_b128 v[2:5], off, off offset:896
	scratch_load_b128 v[10:13], off, off offset:912
	s_waitcnt vmcnt(1) lgkmcnt(0)
	v_mul_f64 v[187:188], v[6:7], v[4:5]
	v_mul_f64 v[4:5], v[8:9], v[4:5]
	s_delay_alu instid0(VALU_DEP_2) | instskip(NEXT) | instid1(VALU_DEP_2)
	v_fma_f64 v[187:188], v[8:9], v[2:3], v[187:188]
	v_fma_f64 v[218:219], v[6:7], v[2:3], -v[4:5]
	ds_load_b128 v[2:5], v1 offset:1936
	ds_load_b128 v[6:9], v1 offset:1952
	s_waitcnt vmcnt(0) lgkmcnt(1)
	v_mul_f64 v[224:225], v[2:3], v[12:13]
	s_delay_alu instid0(VALU_DEP_1) | instskip(SKIP_1) | instid1(VALU_DEP_1)
	v_fma_f64 v[224:225], v[4:5], v[10:11], v[224:225]
	v_mul_f64 v[4:5], v[4:5], v[12:13]
	v_fma_f64 v[243:244], v[2:3], v[10:11], -v[4:5]
	s_clause 0x1
	scratch_load_b128 v[2:5], off, off offset:928
	scratch_load_b128 v[10:13], off, off offset:944
	s_waitcnt vmcnt(1) lgkmcnt(0)
	v_mul_f64 v[245:246], v[6:7], v[4:5]
	v_mul_f64 v[4:5], v[8:9], v[4:5]
	s_delay_alu instid0(VALU_DEP_2) | instskip(NEXT) | instid1(VALU_DEP_2)
	v_fma_f64 v[245:246], v[8:9], v[2:3], v[245:246]
	v_fma_f64 v[247:248], v[6:7], v[2:3], -v[4:5]
	ds_load_b128 v[2:5], v1 offset:1968
	ds_load_b128 v[6:9], v1 offset:1984
	s_waitcnt vmcnt(0) lgkmcnt(1)
	v_mul_f64 v[249:250], v[2:3], v[12:13]
	s_delay_alu instid0(VALU_DEP_1) | instskip(SKIP_1) | instid1(VALU_DEP_1)
	v_fma_f64 v[249:250], v[4:5], v[10:11], v[249:250]
	v_mul_f64 v[4:5], v[4:5], v[12:13]
	v_fma_f64 v[251:252], v[2:3], v[10:11], -v[4:5]
	v_add_f64 v[2:3], v[22:23], 0
	v_add_f64 v[4:5], v[24:25], 0
	s_delay_alu instid0(VALU_DEP_2) | instskip(NEXT) | instid1(VALU_DEP_2)
	v_add_f64 v[2:3], v[2:3], v[30:31]
	v_add_f64 v[4:5], v[4:5], v[32:33]
	s_delay_alu instid0(VALU_DEP_2) | instskip(NEXT) | instid1(VALU_DEP_2)
	;; [unrolled: 3-line block ×12, first 2 shown]
	v_add_f64 v[2:3], v[2:3], v[100:101]
	v_add_f64 v[10:11], v[4:5], v[98:99]
	s_delay_alu instid0(VALU_DEP_2)
	v_add_f64 v[12:13], v[2:3], v[181:182]
	scratch_load_b128 v[2:5], off, off offset:960
	v_add_f64 v[14:15], v[10:11], v[179:180]
	v_add_f64 v[16:17], v[12:13], v[185:186]
	scratch_load_b128 v[10:13], off, off offset:976
	v_add_f64 v[18:19], v[14:15], v[183:184]
	;; [unrolled: 3-line block ×4, first 2 shown]
	v_add_f64 v[24:25], v[24:25], v[247:248]
	s_delay_alu instid0(VALU_DEP_2) | instskip(NEXT) | instid1(VALU_DEP_2)
	v_add_f64 v[22:23], v[22:23], v[245:246]
	v_add_f64 v[24:25], v[24:25], v[251:252]
	s_delay_alu instid0(VALU_DEP_2) | instskip(SKIP_3) | instid1(VALU_DEP_2)
	v_add_f64 v[22:23], v[22:23], v[249:250]
	s_waitcnt vmcnt(3) lgkmcnt(0)
	v_mul_f64 v[30:31], v[6:7], v[4:5]
	v_mul_f64 v[4:5], v[8:9], v[4:5]
	v_fma_f64 v[30:31], v[8:9], v[2:3], v[30:31]
	s_delay_alu instid0(VALU_DEP_2)
	v_fma_f64 v[32:33], v[6:7], v[2:3], -v[4:5]
	ds_load_b128 v[2:5], v1 offset:2000
	ds_load_b128 v[6:9], v1 offset:2016
	s_waitcnt vmcnt(2) lgkmcnt(1)
	v_mul_f64 v[34:35], v[2:3], v[12:13]
	v_mul_f64 v[12:13], v[4:5], v[12:13]
	s_waitcnt vmcnt(1) lgkmcnt(0)
	v_mul_f64 v[36:37], v[6:7], v[16:17]
	v_add_f64 v[22:23], v[22:23], v[30:31]
	s_delay_alu instid0(VALU_DEP_4) | instskip(NEXT) | instid1(VALU_DEP_4)
	v_fma_f64 v[34:35], v[4:5], v[10:11], v[34:35]
	v_fma_f64 v[10:11], v[2:3], v[10:11], -v[12:13]
	v_mul_f64 v[12:13], v[8:9], v[16:17]
	v_add_f64 v[16:17], v[24:25], v[32:33]
	ds_load_b128 v[2:5], v1 offset:2032
	v_fma_f64 v[8:9], v[8:9], v[14:15], v[36:37]
	s_waitcnt vmcnt(0) lgkmcnt(0)
	v_mul_f64 v[24:25], v[2:3], v[20:21]
	v_mul_f64 v[20:21], v[4:5], v[20:21]
	v_fma_f64 v[6:7], v[6:7], v[14:15], -v[12:13]
	v_add_f64 v[10:11], v[16:17], v[10:11]
	v_add_f64 v[12:13], v[22:23], v[34:35]
	v_fma_f64 v[4:5], v[4:5], v[18:19], v[24:25]
	v_fma_f64 v[2:3], v[2:3], v[18:19], -v[20:21]
	s_delay_alu instid0(VALU_DEP_4) | instskip(NEXT) | instid1(VALU_DEP_4)
	v_add_f64 v[6:7], v[10:11], v[6:7]
	v_add_f64 v[8:9], v[12:13], v[8:9]
	s_delay_alu instid0(VALU_DEP_2) | instskip(NEXT) | instid1(VALU_DEP_2)
	v_add_f64 v[2:3], v[6:7], v[2:3]
	v_add_f64 v[4:5], v[8:9], v[4:5]
	s_delay_alu instid0(VALU_DEP_2) | instskip(NEXT) | instid1(VALU_DEP_2)
	v_add_f64 v[2:3], v[26:27], -v[2:3]
	v_add_f64 v[4:5], v[28:29], -v[4:5]
	scratch_store_b128 off, v[2:5], off offset:640
	v_cmpx_lt_u32_e32 39, v178
	s_cbranch_execz .LBB63_330
; %bb.329:
	scratch_load_b32 v2, off, off offset:1116 ; 4-byte Folded Reload
	v_mov_b32_e32 v3, v1
	v_mov_b32_e32 v4, v1
	s_waitcnt vmcnt(0)
	scratch_load_b128 v[5:8], v2, off
	v_mov_b32_e32 v2, v1
	scratch_store_b128 off, v[1:4], off offset:624
	s_waitcnt vmcnt(0)
	ds_store_b128 v242, v[5:8]
.LBB63_330:
	s_or_b32 exec_lo, exec_lo, s2
	s_waitcnt lgkmcnt(0)
	s_waitcnt_vscnt null, 0x0
	s_barrier
	buffer_gl0_inv
	s_clause 0x4
	scratch_load_b128 v[2:5], off, off offset:640
	scratch_load_b128 v[6:9], off, off offset:656
	;; [unrolled: 1-line block ×5, first 2 shown]
	ds_load_b128 v[22:25], v1 offset:1664
	ds_load_b128 v[26:29], v1 offset:1680
	scratch_load_b128 v[30:33], off, off offset:624
	s_mov_b32 s2, exec_lo
	s_waitcnt vmcnt(5) lgkmcnt(1)
	v_mul_f64 v[34:35], v[24:25], v[4:5]
	v_mul_f64 v[4:5], v[22:23], v[4:5]
	s_waitcnt vmcnt(4) lgkmcnt(0)
	v_mul_f64 v[36:37], v[26:27], v[8:9]
	v_mul_f64 v[8:9], v[28:29], v[8:9]
	s_delay_alu instid0(VALU_DEP_4) | instskip(NEXT) | instid1(VALU_DEP_4)
	v_fma_f64 v[22:23], v[22:23], v[2:3], -v[34:35]
	v_fma_f64 v[24:25], v[24:25], v[2:3], v[4:5]
	ds_load_b128 v[2:5], v1 offset:1696
	v_fma_f64 v[28:29], v[28:29], v[6:7], v[36:37]
	v_fma_f64 v[26:27], v[26:27], v[6:7], -v[8:9]
	ds_load_b128 v[6:9], v1 offset:1712
	s_waitcnt vmcnt(3) lgkmcnt(1)
	v_mul_f64 v[34:35], v[2:3], v[12:13]
	v_mul_f64 v[12:13], v[4:5], v[12:13]
	s_waitcnt vmcnt(2) lgkmcnt(0)
	v_mul_f64 v[36:37], v[6:7], v[16:17]
	s_delay_alu instid0(VALU_DEP_3) | instskip(NEXT) | instid1(VALU_DEP_3)
	v_fma_f64 v[34:35], v[4:5], v[10:11], v[34:35]
	v_fma_f64 v[38:39], v[2:3], v[10:11], -v[12:13]
	v_mul_f64 v[10:11], v[8:9], v[16:17]
	ds_load_b128 v[2:5], v1 offset:1728
	v_fma_f64 v[16:17], v[8:9], v[14:15], v[36:37]
	v_fma_f64 v[14:15], v[6:7], v[14:15], -v[10:11]
	ds_load_b128 v[6:9], v1 offset:1744
	s_waitcnt vmcnt(1) lgkmcnt(1)
	v_mul_f64 v[10:11], v[2:3], v[20:21]
	v_mul_f64 v[12:13], v[4:5], v[20:21]
	s_delay_alu instid0(VALU_DEP_2) | instskip(NEXT) | instid1(VALU_DEP_2)
	v_fma_f64 v[20:21], v[4:5], v[18:19], v[10:11]
	v_fma_f64 v[18:19], v[2:3], v[18:19], -v[12:13]
	s_clause 0x1
	scratch_load_b128 v[2:5], off, off offset:720
	scratch_load_b128 v[10:13], off, off offset:736
	s_waitcnt vmcnt(1) lgkmcnt(0)
	v_mul_f64 v[36:37], v[6:7], v[4:5]
	v_mul_f64 v[4:5], v[8:9], v[4:5]
	s_delay_alu instid0(VALU_DEP_2) | instskip(NEXT) | instid1(VALU_DEP_2)
	v_fma_f64 v[36:37], v[8:9], v[2:3], v[36:37]
	v_fma_f64 v[40:41], v[6:7], v[2:3], -v[4:5]
	ds_load_b128 v[2:5], v1 offset:1760
	ds_load_b128 v[6:9], v1 offset:1776
	s_waitcnt vmcnt(0) lgkmcnt(1)
	v_mul_f64 v[42:43], v[2:3], v[12:13]
	s_delay_alu instid0(VALU_DEP_1) | instskip(SKIP_1) | instid1(VALU_DEP_1)
	v_fma_f64 v[42:43], v[4:5], v[10:11], v[42:43]
	v_mul_f64 v[4:5], v[4:5], v[12:13]
	v_fma_f64 v[44:45], v[2:3], v[10:11], -v[4:5]
	s_clause 0x1
	scratch_load_b128 v[2:5], off, off offset:752
	scratch_load_b128 v[10:13], off, off offset:768
	s_waitcnt vmcnt(1) lgkmcnt(0)
	v_mul_f64 v[46:47], v[6:7], v[4:5]
	v_mul_f64 v[4:5], v[8:9], v[4:5]
	s_delay_alu instid0(VALU_DEP_2) | instskip(NEXT) | instid1(VALU_DEP_2)
	v_fma_f64 v[46:47], v[8:9], v[2:3], v[46:47]
	v_fma_f64 v[48:49], v[6:7], v[2:3], -v[4:5]
	ds_load_b128 v[2:5], v1 offset:1792
	ds_load_b128 v[6:9], v1 offset:1808
	s_waitcnt vmcnt(0) lgkmcnt(1)
	v_mul_f64 v[54:55], v[2:3], v[12:13]
	s_delay_alu instid0(VALU_DEP_1) | instskip(SKIP_1) | instid1(VALU_DEP_1)
	v_fma_f64 v[54:55], v[4:5], v[10:11], v[54:55]
	v_mul_f64 v[4:5], v[4:5], v[12:13]
	;; [unrolled: 17-line block ×8, first 2 shown]
	v_fma_f64 v[193:194], v[2:3], v[10:11], -v[4:5]
	v_add_f64 v[2:3], v[22:23], 0
	v_add_f64 v[4:5], v[24:25], 0
	s_delay_alu instid0(VALU_DEP_2) | instskip(NEXT) | instid1(VALU_DEP_2)
	v_add_f64 v[2:3], v[2:3], v[26:27]
	v_add_f64 v[4:5], v[4:5], v[28:29]
	s_delay_alu instid0(VALU_DEP_2) | instskip(NEXT) | instid1(VALU_DEP_2)
	;; [unrolled: 3-line block ×14, first 2 shown]
	v_add_f64 v[2:3], v[2:3], v[185:186]
	v_add_f64 v[10:11], v[4:5], v[183:184]
	s_delay_alu instid0(VALU_DEP_2)
	v_add_f64 v[12:13], v[2:3], v[218:219]
	scratch_load_b128 v[2:5], off, off offset:976
	v_add_f64 v[14:15], v[10:11], v[187:188]
	v_add_f64 v[16:17], v[12:13], v[243:244]
	scratch_load_b128 v[10:13], off, off offset:992
	v_add_f64 v[18:19], v[14:15], v[224:225]
	;; [unrolled: 3-line block ×3, first 2 shown]
	v_add_f64 v[20:21], v[20:21], v[251:252]
	s_delay_alu instid0(VALU_DEP_2) | instskip(NEXT) | instid1(VALU_DEP_2)
	v_add_f64 v[18:19], v[18:19], v[249:250]
	v_add_f64 v[28:29], v[20:21], v[189:190]
	s_delay_alu instid0(VALU_DEP_2)
	v_add_f64 v[34:35], v[18:19], v[213:214]
	ds_load_b128 v[18:21], v1 offset:2016
	ds_load_b128 v[22:25], v1 offset:2032
	s_waitcnt vmcnt(2) lgkmcnt(2)
	v_mul_f64 v[26:27], v[6:7], v[4:5]
	v_mul_f64 v[4:5], v[8:9], v[4:5]
	s_waitcnt vmcnt(1) lgkmcnt(1)
	v_mul_f64 v[36:37], v[18:19], v[12:13]
	s_delay_alu instid0(VALU_DEP_3) | instskip(NEXT) | instid1(VALU_DEP_3)
	v_fma_f64 v[8:9], v[8:9], v[2:3], v[26:27]
	v_fma_f64 v[1:2], v[6:7], v[2:3], -v[4:5]
	v_mul_f64 v[3:4], v[20:21], v[12:13]
	v_add_f64 v[5:6], v[28:29], v[193:194]
	v_add_f64 v[12:13], v[34:35], v[191:192]
	s_waitcnt vmcnt(0) lgkmcnt(0)
	v_mul_f64 v[26:27], v[22:23], v[16:17]
	v_mul_f64 v[16:17], v[24:25], v[16:17]
	v_fma_f64 v[20:21], v[20:21], v[10:11], v[36:37]
	v_fma_f64 v[3:4], v[18:19], v[10:11], -v[3:4]
	v_add_f64 v[1:2], v[5:6], v[1:2]
	v_add_f64 v[5:6], v[12:13], v[8:9]
	v_fma_f64 v[7:8], v[24:25], v[14:15], v[26:27]
	v_fma_f64 v[9:10], v[22:23], v[14:15], -v[16:17]
	s_delay_alu instid0(VALU_DEP_4) | instskip(NEXT) | instid1(VALU_DEP_4)
	v_add_f64 v[1:2], v[1:2], v[3:4]
	v_add_f64 v[3:4], v[5:6], v[20:21]
	s_delay_alu instid0(VALU_DEP_2) | instskip(NEXT) | instid1(VALU_DEP_2)
	v_add_f64 v[1:2], v[1:2], v[9:10]
	v_add_f64 v[3:4], v[3:4], v[7:8]
	s_delay_alu instid0(VALU_DEP_2) | instskip(NEXT) | instid1(VALU_DEP_2)
	v_add_f64 v[1:2], v[30:31], -v[1:2]
	v_add_f64 v[3:4], v[32:33], -v[3:4]
	scratch_store_b128 off, v[1:4], off offset:624
	v_cmpx_lt_u32_e32 38, v178
	s_cbranch_execz .LBB63_332
; %bb.331:
	scratch_load_b32 v1, off, off offset:1120 ; 4-byte Folded Reload
	v_mov_b32_e32 v5, 0
	s_delay_alu instid0(VALU_DEP_1)
	v_mov_b32_e32 v6, v5
	v_mov_b32_e32 v7, v5
	;; [unrolled: 1-line block ×3, first 2 shown]
	s_waitcnt vmcnt(0)
	scratch_load_b128 v[1:4], v1, off
	scratch_store_b128 off, v[5:8], off offset:608
	s_waitcnt vmcnt(0)
	ds_store_b128 v242, v[1:4]
.LBB63_332:
	s_or_b32 exec_lo, exec_lo, s2
	s_waitcnt lgkmcnt(0)
	s_waitcnt_vscnt null, 0x0
	s_barrier
	buffer_gl0_inv
	s_clause 0x4
	scratch_load_b128 v[2:5], off, off offset:624
	scratch_load_b128 v[6:9], off, off offset:640
	;; [unrolled: 1-line block ×5, first 2 shown]
	v_mov_b32_e32 v1, 0
	scratch_load_b128 v[26:29], off, off offset:608
	s_mov_b32 s2, exec_lo
	ds_load_b128 v[22:25], v1 offset:1648
	ds_load_b128 v[30:33], v1 offset:1664
	s_waitcnt vmcnt(5) lgkmcnt(1)
	v_mul_f64 v[34:35], v[24:25], v[4:5]
	v_mul_f64 v[4:5], v[22:23], v[4:5]
	s_waitcnt vmcnt(4) lgkmcnt(0)
	v_mul_f64 v[36:37], v[30:31], v[8:9]
	v_mul_f64 v[8:9], v[32:33], v[8:9]
	s_delay_alu instid0(VALU_DEP_4) | instskip(NEXT) | instid1(VALU_DEP_4)
	v_fma_f64 v[22:23], v[22:23], v[2:3], -v[34:35]
	v_fma_f64 v[24:25], v[24:25], v[2:3], v[4:5]
	ds_load_b128 v[2:5], v1 offset:1680
	v_fma_f64 v[32:33], v[32:33], v[6:7], v[36:37]
	v_fma_f64 v[30:31], v[30:31], v[6:7], -v[8:9]
	ds_load_b128 v[6:9], v1 offset:1696
	s_waitcnt vmcnt(3) lgkmcnt(1)
	v_mul_f64 v[34:35], v[2:3], v[12:13]
	v_mul_f64 v[12:13], v[4:5], v[12:13]
	s_waitcnt vmcnt(2) lgkmcnt(0)
	v_mul_f64 v[36:37], v[6:7], v[16:17]
	s_delay_alu instid0(VALU_DEP_3) | instskip(NEXT) | instid1(VALU_DEP_3)
	v_fma_f64 v[34:35], v[4:5], v[10:11], v[34:35]
	v_fma_f64 v[38:39], v[2:3], v[10:11], -v[12:13]
	v_mul_f64 v[10:11], v[8:9], v[16:17]
	ds_load_b128 v[2:5], v1 offset:1712
	v_fma_f64 v[16:17], v[8:9], v[14:15], v[36:37]
	v_fma_f64 v[14:15], v[6:7], v[14:15], -v[10:11]
	ds_load_b128 v[6:9], v1 offset:1728
	s_waitcnt vmcnt(1) lgkmcnt(1)
	v_mul_f64 v[10:11], v[2:3], v[20:21]
	v_mul_f64 v[12:13], v[4:5], v[20:21]
	s_delay_alu instid0(VALU_DEP_2) | instskip(NEXT) | instid1(VALU_DEP_2)
	v_fma_f64 v[20:21], v[4:5], v[18:19], v[10:11]
	v_fma_f64 v[18:19], v[2:3], v[18:19], -v[12:13]
	s_clause 0x1
	scratch_load_b128 v[2:5], off, off offset:704
	scratch_load_b128 v[10:13], off, off offset:720
	s_waitcnt vmcnt(1) lgkmcnt(0)
	v_mul_f64 v[36:37], v[6:7], v[4:5]
	v_mul_f64 v[4:5], v[8:9], v[4:5]
	s_delay_alu instid0(VALU_DEP_2) | instskip(NEXT) | instid1(VALU_DEP_2)
	v_fma_f64 v[36:37], v[8:9], v[2:3], v[36:37]
	v_fma_f64 v[40:41], v[6:7], v[2:3], -v[4:5]
	ds_load_b128 v[2:5], v1 offset:1744
	ds_load_b128 v[6:9], v1 offset:1760
	s_waitcnt vmcnt(0) lgkmcnt(1)
	v_mul_f64 v[42:43], v[2:3], v[12:13]
	s_delay_alu instid0(VALU_DEP_1) | instskip(SKIP_1) | instid1(VALU_DEP_1)
	v_fma_f64 v[42:43], v[4:5], v[10:11], v[42:43]
	v_mul_f64 v[4:5], v[4:5], v[12:13]
	v_fma_f64 v[44:45], v[2:3], v[10:11], -v[4:5]
	s_clause 0x1
	scratch_load_b128 v[2:5], off, off offset:736
	scratch_load_b128 v[10:13], off, off offset:752
	s_waitcnt vmcnt(1) lgkmcnt(0)
	v_mul_f64 v[46:47], v[6:7], v[4:5]
	v_mul_f64 v[4:5], v[8:9], v[4:5]
	s_delay_alu instid0(VALU_DEP_2) | instskip(NEXT) | instid1(VALU_DEP_2)
	v_fma_f64 v[46:47], v[8:9], v[2:3], v[46:47]
	v_fma_f64 v[48:49], v[6:7], v[2:3], -v[4:5]
	ds_load_b128 v[2:5], v1 offset:1776
	ds_load_b128 v[6:9], v1 offset:1792
	s_waitcnt vmcnt(0) lgkmcnt(1)
	v_mul_f64 v[54:55], v[2:3], v[12:13]
	s_delay_alu instid0(VALU_DEP_1) | instskip(SKIP_1) | instid1(VALU_DEP_1)
	v_fma_f64 v[54:55], v[4:5], v[10:11], v[54:55]
	v_mul_f64 v[4:5], v[4:5], v[12:13]
	;; [unrolled: 17-line block ×8, first 2 shown]
	v_fma_f64 v[251:252], v[2:3], v[10:11], -v[4:5]
	v_add_f64 v[2:3], v[22:23], 0
	v_add_f64 v[4:5], v[24:25], 0
	s_delay_alu instid0(VALU_DEP_2) | instskip(NEXT) | instid1(VALU_DEP_2)
	v_add_f64 v[2:3], v[2:3], v[30:31]
	v_add_f64 v[4:5], v[4:5], v[32:33]
	s_delay_alu instid0(VALU_DEP_2) | instskip(NEXT) | instid1(VALU_DEP_2)
	;; [unrolled: 3-line block ×14, first 2 shown]
	v_add_f64 v[2:3], v[2:3], v[185:186]
	v_add_f64 v[10:11], v[4:5], v[183:184]
	s_delay_alu instid0(VALU_DEP_2)
	v_add_f64 v[12:13], v[2:3], v[189:190]
	scratch_load_b128 v[2:5], off, off offset:960
	v_add_f64 v[14:15], v[10:11], v[187:188]
	v_add_f64 v[16:17], v[12:13], v[193:194]
	scratch_load_b128 v[10:13], off, off offset:976
	v_add_f64 v[18:19], v[14:15], v[191:192]
	;; [unrolled: 3-line block ×4, first 2 shown]
	v_add_f64 v[24:25], v[24:25], v[247:248]
	s_delay_alu instid0(VALU_DEP_2) | instskip(NEXT) | instid1(VALU_DEP_2)
	v_add_f64 v[22:23], v[22:23], v[245:246]
	v_add_f64 v[24:25], v[24:25], v[251:252]
	s_delay_alu instid0(VALU_DEP_2) | instskip(SKIP_3) | instid1(VALU_DEP_2)
	v_add_f64 v[22:23], v[22:23], v[249:250]
	s_waitcnt vmcnt(3) lgkmcnt(0)
	v_mul_f64 v[30:31], v[6:7], v[4:5]
	v_mul_f64 v[4:5], v[8:9], v[4:5]
	v_fma_f64 v[30:31], v[8:9], v[2:3], v[30:31]
	s_delay_alu instid0(VALU_DEP_2)
	v_fma_f64 v[32:33], v[6:7], v[2:3], -v[4:5]
	ds_load_b128 v[2:5], v1 offset:2000
	ds_load_b128 v[6:9], v1 offset:2016
	s_waitcnt vmcnt(2) lgkmcnt(1)
	v_mul_f64 v[34:35], v[2:3], v[12:13]
	v_mul_f64 v[12:13], v[4:5], v[12:13]
	s_waitcnt vmcnt(1) lgkmcnt(0)
	v_mul_f64 v[36:37], v[6:7], v[16:17]
	v_add_f64 v[22:23], v[22:23], v[30:31]
	s_delay_alu instid0(VALU_DEP_4) | instskip(NEXT) | instid1(VALU_DEP_4)
	v_fma_f64 v[34:35], v[4:5], v[10:11], v[34:35]
	v_fma_f64 v[10:11], v[2:3], v[10:11], -v[12:13]
	v_mul_f64 v[12:13], v[8:9], v[16:17]
	v_add_f64 v[16:17], v[24:25], v[32:33]
	ds_load_b128 v[2:5], v1 offset:2032
	v_fma_f64 v[8:9], v[8:9], v[14:15], v[36:37]
	s_waitcnt vmcnt(0) lgkmcnt(0)
	v_mul_f64 v[24:25], v[2:3], v[20:21]
	v_mul_f64 v[20:21], v[4:5], v[20:21]
	v_fma_f64 v[6:7], v[6:7], v[14:15], -v[12:13]
	v_add_f64 v[10:11], v[16:17], v[10:11]
	v_add_f64 v[12:13], v[22:23], v[34:35]
	v_fma_f64 v[4:5], v[4:5], v[18:19], v[24:25]
	v_fma_f64 v[2:3], v[2:3], v[18:19], -v[20:21]
	s_delay_alu instid0(VALU_DEP_4) | instskip(NEXT) | instid1(VALU_DEP_4)
	v_add_f64 v[6:7], v[10:11], v[6:7]
	v_add_f64 v[8:9], v[12:13], v[8:9]
	s_delay_alu instid0(VALU_DEP_2) | instskip(NEXT) | instid1(VALU_DEP_2)
	v_add_f64 v[2:3], v[6:7], v[2:3]
	v_add_f64 v[4:5], v[8:9], v[4:5]
	s_delay_alu instid0(VALU_DEP_2) | instskip(NEXT) | instid1(VALU_DEP_2)
	v_add_f64 v[2:3], v[26:27], -v[2:3]
	v_add_f64 v[4:5], v[28:29], -v[4:5]
	scratch_store_b128 off, v[2:5], off offset:608
	v_cmpx_lt_u32_e32 37, v178
	s_cbranch_execz .LBB63_334
; %bb.333:
	scratch_load_b32 v2, off, off offset:1124 ; 4-byte Folded Reload
	v_mov_b32_e32 v3, v1
	v_mov_b32_e32 v4, v1
	s_waitcnt vmcnt(0)
	scratch_load_b128 v[5:8], v2, off
	v_mov_b32_e32 v2, v1
	scratch_store_b128 off, v[1:4], off offset:592
	s_waitcnt vmcnt(0)
	ds_store_b128 v242, v[5:8]
.LBB63_334:
	s_or_b32 exec_lo, exec_lo, s2
	s_waitcnt lgkmcnt(0)
	s_waitcnt_vscnt null, 0x0
	s_barrier
	buffer_gl0_inv
	s_clause 0x4
	scratch_load_b128 v[2:5], off, off offset:608
	scratch_load_b128 v[6:9], off, off offset:624
	scratch_load_b128 v[10:13], off, off offset:640
	scratch_load_b128 v[14:17], off, off offset:656
	scratch_load_b128 v[18:21], off, off offset:672
	ds_load_b128 v[22:25], v1 offset:1632
	ds_load_b128 v[26:29], v1 offset:1648
	scratch_load_b128 v[30:33], off, off offset:592
	s_mov_b32 s2, exec_lo
	s_waitcnt vmcnt(5) lgkmcnt(1)
	v_mul_f64 v[34:35], v[24:25], v[4:5]
	v_mul_f64 v[4:5], v[22:23], v[4:5]
	s_waitcnt vmcnt(4) lgkmcnt(0)
	v_mul_f64 v[36:37], v[26:27], v[8:9]
	v_mul_f64 v[8:9], v[28:29], v[8:9]
	s_delay_alu instid0(VALU_DEP_4) | instskip(NEXT) | instid1(VALU_DEP_4)
	v_fma_f64 v[22:23], v[22:23], v[2:3], -v[34:35]
	v_fma_f64 v[24:25], v[24:25], v[2:3], v[4:5]
	ds_load_b128 v[2:5], v1 offset:1664
	v_fma_f64 v[28:29], v[28:29], v[6:7], v[36:37]
	v_fma_f64 v[26:27], v[26:27], v[6:7], -v[8:9]
	ds_load_b128 v[6:9], v1 offset:1680
	s_waitcnt vmcnt(3) lgkmcnt(1)
	v_mul_f64 v[34:35], v[2:3], v[12:13]
	v_mul_f64 v[12:13], v[4:5], v[12:13]
	s_waitcnt vmcnt(2) lgkmcnt(0)
	v_mul_f64 v[36:37], v[6:7], v[16:17]
	s_delay_alu instid0(VALU_DEP_3) | instskip(NEXT) | instid1(VALU_DEP_3)
	v_fma_f64 v[34:35], v[4:5], v[10:11], v[34:35]
	v_fma_f64 v[38:39], v[2:3], v[10:11], -v[12:13]
	v_mul_f64 v[10:11], v[8:9], v[16:17]
	ds_load_b128 v[2:5], v1 offset:1696
	v_fma_f64 v[16:17], v[8:9], v[14:15], v[36:37]
	v_fma_f64 v[14:15], v[6:7], v[14:15], -v[10:11]
	ds_load_b128 v[6:9], v1 offset:1712
	s_waitcnt vmcnt(1) lgkmcnt(1)
	v_mul_f64 v[10:11], v[2:3], v[20:21]
	v_mul_f64 v[12:13], v[4:5], v[20:21]
	s_delay_alu instid0(VALU_DEP_2) | instskip(NEXT) | instid1(VALU_DEP_2)
	v_fma_f64 v[20:21], v[4:5], v[18:19], v[10:11]
	v_fma_f64 v[18:19], v[2:3], v[18:19], -v[12:13]
	s_clause 0x1
	scratch_load_b128 v[2:5], off, off offset:688
	scratch_load_b128 v[10:13], off, off offset:704
	s_waitcnt vmcnt(1) lgkmcnt(0)
	v_mul_f64 v[36:37], v[6:7], v[4:5]
	v_mul_f64 v[4:5], v[8:9], v[4:5]
	s_delay_alu instid0(VALU_DEP_2) | instskip(NEXT) | instid1(VALU_DEP_2)
	v_fma_f64 v[36:37], v[8:9], v[2:3], v[36:37]
	v_fma_f64 v[40:41], v[6:7], v[2:3], -v[4:5]
	ds_load_b128 v[2:5], v1 offset:1728
	ds_load_b128 v[6:9], v1 offset:1744
	s_waitcnt vmcnt(0) lgkmcnt(1)
	v_mul_f64 v[42:43], v[2:3], v[12:13]
	s_delay_alu instid0(VALU_DEP_1) | instskip(SKIP_1) | instid1(VALU_DEP_1)
	v_fma_f64 v[42:43], v[4:5], v[10:11], v[42:43]
	v_mul_f64 v[4:5], v[4:5], v[12:13]
	v_fma_f64 v[44:45], v[2:3], v[10:11], -v[4:5]
	s_clause 0x1
	scratch_load_b128 v[2:5], off, off offset:720
	scratch_load_b128 v[10:13], off, off offset:736
	s_waitcnt vmcnt(1) lgkmcnt(0)
	v_mul_f64 v[46:47], v[6:7], v[4:5]
	v_mul_f64 v[4:5], v[8:9], v[4:5]
	s_delay_alu instid0(VALU_DEP_2) | instskip(NEXT) | instid1(VALU_DEP_2)
	v_fma_f64 v[46:47], v[8:9], v[2:3], v[46:47]
	v_fma_f64 v[48:49], v[6:7], v[2:3], -v[4:5]
	ds_load_b128 v[2:5], v1 offset:1760
	ds_load_b128 v[6:9], v1 offset:1776
	s_waitcnt vmcnt(0) lgkmcnt(1)
	v_mul_f64 v[54:55], v[2:3], v[12:13]
	s_delay_alu instid0(VALU_DEP_1) | instskip(SKIP_1) | instid1(VALU_DEP_1)
	v_fma_f64 v[54:55], v[4:5], v[10:11], v[54:55]
	v_mul_f64 v[4:5], v[4:5], v[12:13]
	;; [unrolled: 17-line block ×9, first 2 shown]
	v_fma_f64 v[201:202], v[2:3], v[10:11], -v[4:5]
	v_add_f64 v[2:3], v[22:23], 0
	v_add_f64 v[4:5], v[24:25], 0
	s_delay_alu instid0(VALU_DEP_2) | instskip(NEXT) | instid1(VALU_DEP_2)
	v_add_f64 v[2:3], v[2:3], v[26:27]
	v_add_f64 v[4:5], v[4:5], v[28:29]
	s_delay_alu instid0(VALU_DEP_2) | instskip(NEXT) | instid1(VALU_DEP_2)
	;; [unrolled: 3-line block ×16, first 2 shown]
	v_add_f64 v[2:3], v[2:3], v[193:194]
	v_add_f64 v[10:11], v[4:5], v[191:192]
	s_delay_alu instid0(VALU_DEP_2)
	v_add_f64 v[12:13], v[2:3], v[218:219]
	scratch_load_b128 v[2:5], off, off offset:976
	v_add_f64 v[14:15], v[10:11], v[213:214]
	v_add_f64 v[16:17], v[12:13], v[243:244]
	scratch_load_b128 v[10:13], off, off offset:992
	v_add_f64 v[18:19], v[14:15], v[224:225]
	v_add_f64 v[20:21], v[16:17], v[247:248]
	scratch_load_b128 v[14:17], off, off offset:1008
	v_add_f64 v[18:19], v[18:19], v[245:246]
	v_add_f64 v[20:21], v[20:21], v[251:252]
	s_delay_alu instid0(VALU_DEP_2) | instskip(NEXT) | instid1(VALU_DEP_2)
	v_add_f64 v[18:19], v[18:19], v[249:250]
	v_add_f64 v[28:29], v[20:21], v[197:198]
	s_delay_alu instid0(VALU_DEP_2)
	v_add_f64 v[34:35], v[18:19], v[195:196]
	ds_load_b128 v[18:21], v1 offset:2016
	ds_load_b128 v[22:25], v1 offset:2032
	s_waitcnt vmcnt(2) lgkmcnt(2)
	v_mul_f64 v[26:27], v[6:7], v[4:5]
	v_mul_f64 v[4:5], v[8:9], v[4:5]
	s_waitcnt vmcnt(1) lgkmcnt(1)
	v_mul_f64 v[36:37], v[18:19], v[12:13]
	s_delay_alu instid0(VALU_DEP_3) | instskip(NEXT) | instid1(VALU_DEP_3)
	v_fma_f64 v[8:9], v[8:9], v[2:3], v[26:27]
	v_fma_f64 v[1:2], v[6:7], v[2:3], -v[4:5]
	v_mul_f64 v[3:4], v[20:21], v[12:13]
	v_add_f64 v[5:6], v[28:29], v[201:202]
	v_add_f64 v[12:13], v[34:35], v[199:200]
	s_waitcnt vmcnt(0) lgkmcnt(0)
	v_mul_f64 v[26:27], v[22:23], v[16:17]
	v_mul_f64 v[16:17], v[24:25], v[16:17]
	v_fma_f64 v[20:21], v[20:21], v[10:11], v[36:37]
	v_fma_f64 v[3:4], v[18:19], v[10:11], -v[3:4]
	v_add_f64 v[1:2], v[5:6], v[1:2]
	v_add_f64 v[5:6], v[12:13], v[8:9]
	v_fma_f64 v[7:8], v[24:25], v[14:15], v[26:27]
	v_fma_f64 v[9:10], v[22:23], v[14:15], -v[16:17]
	s_delay_alu instid0(VALU_DEP_4) | instskip(NEXT) | instid1(VALU_DEP_4)
	v_add_f64 v[1:2], v[1:2], v[3:4]
	v_add_f64 v[3:4], v[5:6], v[20:21]
	s_delay_alu instid0(VALU_DEP_2) | instskip(NEXT) | instid1(VALU_DEP_2)
	v_add_f64 v[1:2], v[1:2], v[9:10]
	v_add_f64 v[3:4], v[3:4], v[7:8]
	s_delay_alu instid0(VALU_DEP_2) | instskip(NEXT) | instid1(VALU_DEP_2)
	v_add_f64 v[1:2], v[30:31], -v[1:2]
	v_add_f64 v[3:4], v[32:33], -v[3:4]
	scratch_store_b128 off, v[1:4], off offset:592
	v_cmpx_lt_u32_e32 36, v178
	s_cbranch_execz .LBB63_336
; %bb.335:
	scratch_load_b32 v1, off, off offset:1128 ; 4-byte Folded Reload
	v_mov_b32_e32 v5, 0
	s_delay_alu instid0(VALU_DEP_1)
	v_mov_b32_e32 v6, v5
	v_mov_b32_e32 v7, v5
	;; [unrolled: 1-line block ×3, first 2 shown]
	s_waitcnt vmcnt(0)
	scratch_load_b128 v[1:4], v1, off
	scratch_store_b128 off, v[5:8], off offset:576
	s_waitcnt vmcnt(0)
	ds_store_b128 v242, v[1:4]
.LBB63_336:
	s_or_b32 exec_lo, exec_lo, s2
	s_waitcnt lgkmcnt(0)
	s_waitcnt_vscnt null, 0x0
	s_barrier
	buffer_gl0_inv
	s_clause 0x4
	scratch_load_b128 v[2:5], off, off offset:592
	scratch_load_b128 v[6:9], off, off offset:608
	;; [unrolled: 1-line block ×5, first 2 shown]
	v_mov_b32_e32 v1, 0
	scratch_load_b128 v[26:29], off, off offset:576
	s_mov_b32 s2, exec_lo
	ds_load_b128 v[22:25], v1 offset:1616
	ds_load_b128 v[30:33], v1 offset:1632
	s_waitcnt vmcnt(5) lgkmcnt(1)
	v_mul_f64 v[34:35], v[24:25], v[4:5]
	v_mul_f64 v[4:5], v[22:23], v[4:5]
	s_waitcnt vmcnt(4) lgkmcnt(0)
	v_mul_f64 v[36:37], v[30:31], v[8:9]
	v_mul_f64 v[8:9], v[32:33], v[8:9]
	s_delay_alu instid0(VALU_DEP_4) | instskip(NEXT) | instid1(VALU_DEP_4)
	v_fma_f64 v[22:23], v[22:23], v[2:3], -v[34:35]
	v_fma_f64 v[24:25], v[24:25], v[2:3], v[4:5]
	ds_load_b128 v[2:5], v1 offset:1648
	v_fma_f64 v[32:33], v[32:33], v[6:7], v[36:37]
	v_fma_f64 v[30:31], v[30:31], v[6:7], -v[8:9]
	ds_load_b128 v[6:9], v1 offset:1664
	s_waitcnt vmcnt(3) lgkmcnt(1)
	v_mul_f64 v[34:35], v[2:3], v[12:13]
	v_mul_f64 v[12:13], v[4:5], v[12:13]
	s_waitcnt vmcnt(2) lgkmcnt(0)
	v_mul_f64 v[36:37], v[6:7], v[16:17]
	s_delay_alu instid0(VALU_DEP_3) | instskip(NEXT) | instid1(VALU_DEP_3)
	v_fma_f64 v[34:35], v[4:5], v[10:11], v[34:35]
	v_fma_f64 v[38:39], v[2:3], v[10:11], -v[12:13]
	v_mul_f64 v[10:11], v[8:9], v[16:17]
	ds_load_b128 v[2:5], v1 offset:1680
	v_fma_f64 v[16:17], v[8:9], v[14:15], v[36:37]
	v_fma_f64 v[14:15], v[6:7], v[14:15], -v[10:11]
	ds_load_b128 v[6:9], v1 offset:1696
	s_waitcnt vmcnt(1) lgkmcnt(1)
	v_mul_f64 v[10:11], v[2:3], v[20:21]
	v_mul_f64 v[12:13], v[4:5], v[20:21]
	s_delay_alu instid0(VALU_DEP_2) | instskip(NEXT) | instid1(VALU_DEP_2)
	v_fma_f64 v[20:21], v[4:5], v[18:19], v[10:11]
	v_fma_f64 v[18:19], v[2:3], v[18:19], -v[12:13]
	s_clause 0x1
	scratch_load_b128 v[2:5], off, off offset:672
	scratch_load_b128 v[10:13], off, off offset:688
	s_waitcnt vmcnt(1) lgkmcnt(0)
	v_mul_f64 v[36:37], v[6:7], v[4:5]
	v_mul_f64 v[4:5], v[8:9], v[4:5]
	s_delay_alu instid0(VALU_DEP_2) | instskip(NEXT) | instid1(VALU_DEP_2)
	v_fma_f64 v[36:37], v[8:9], v[2:3], v[36:37]
	v_fma_f64 v[40:41], v[6:7], v[2:3], -v[4:5]
	ds_load_b128 v[2:5], v1 offset:1712
	ds_load_b128 v[6:9], v1 offset:1728
	s_waitcnt vmcnt(0) lgkmcnt(1)
	v_mul_f64 v[42:43], v[2:3], v[12:13]
	s_delay_alu instid0(VALU_DEP_1) | instskip(SKIP_1) | instid1(VALU_DEP_1)
	v_fma_f64 v[42:43], v[4:5], v[10:11], v[42:43]
	v_mul_f64 v[4:5], v[4:5], v[12:13]
	v_fma_f64 v[44:45], v[2:3], v[10:11], -v[4:5]
	s_clause 0x1
	scratch_load_b128 v[2:5], off, off offset:704
	scratch_load_b128 v[10:13], off, off offset:720
	s_waitcnt vmcnt(1) lgkmcnt(0)
	v_mul_f64 v[46:47], v[6:7], v[4:5]
	v_mul_f64 v[4:5], v[8:9], v[4:5]
	s_delay_alu instid0(VALU_DEP_2) | instskip(NEXT) | instid1(VALU_DEP_2)
	v_fma_f64 v[46:47], v[8:9], v[2:3], v[46:47]
	v_fma_f64 v[48:49], v[6:7], v[2:3], -v[4:5]
	ds_load_b128 v[2:5], v1 offset:1744
	ds_load_b128 v[6:9], v1 offset:1760
	s_waitcnt vmcnt(0) lgkmcnt(1)
	v_mul_f64 v[54:55], v[2:3], v[12:13]
	s_delay_alu instid0(VALU_DEP_1) | instskip(SKIP_1) | instid1(VALU_DEP_1)
	v_fma_f64 v[54:55], v[4:5], v[10:11], v[54:55]
	v_mul_f64 v[4:5], v[4:5], v[12:13]
	;; [unrolled: 17-line block ×9, first 2 shown]
	v_fma_f64 v[251:252], v[2:3], v[10:11], -v[4:5]
	v_add_f64 v[2:3], v[22:23], 0
	v_add_f64 v[4:5], v[24:25], 0
	s_delay_alu instid0(VALU_DEP_2) | instskip(NEXT) | instid1(VALU_DEP_2)
	v_add_f64 v[2:3], v[2:3], v[30:31]
	v_add_f64 v[4:5], v[4:5], v[32:33]
	s_delay_alu instid0(VALU_DEP_2) | instskip(NEXT) | instid1(VALU_DEP_2)
	;; [unrolled: 3-line block ×16, first 2 shown]
	v_add_f64 v[2:3], v[2:3], v[193:194]
	v_add_f64 v[10:11], v[4:5], v[191:192]
	s_delay_alu instid0(VALU_DEP_2)
	v_add_f64 v[12:13], v[2:3], v[197:198]
	scratch_load_b128 v[2:5], off, off offset:960
	v_add_f64 v[14:15], v[10:11], v[195:196]
	v_add_f64 v[16:17], v[12:13], v[201:202]
	scratch_load_b128 v[10:13], off, off offset:976
	v_add_f64 v[18:19], v[14:15], v[199:200]
	;; [unrolled: 3-line block ×4, first 2 shown]
	v_add_f64 v[24:25], v[24:25], v[247:248]
	s_delay_alu instid0(VALU_DEP_2) | instskip(NEXT) | instid1(VALU_DEP_2)
	v_add_f64 v[22:23], v[22:23], v[245:246]
	v_add_f64 v[24:25], v[24:25], v[251:252]
	s_delay_alu instid0(VALU_DEP_2) | instskip(SKIP_3) | instid1(VALU_DEP_2)
	v_add_f64 v[22:23], v[22:23], v[249:250]
	s_waitcnt vmcnt(3) lgkmcnt(0)
	v_mul_f64 v[30:31], v[6:7], v[4:5]
	v_mul_f64 v[4:5], v[8:9], v[4:5]
	v_fma_f64 v[30:31], v[8:9], v[2:3], v[30:31]
	s_delay_alu instid0(VALU_DEP_2)
	v_fma_f64 v[32:33], v[6:7], v[2:3], -v[4:5]
	ds_load_b128 v[2:5], v1 offset:2000
	ds_load_b128 v[6:9], v1 offset:2016
	s_waitcnt vmcnt(2) lgkmcnt(1)
	v_mul_f64 v[34:35], v[2:3], v[12:13]
	v_mul_f64 v[12:13], v[4:5], v[12:13]
	s_waitcnt vmcnt(1) lgkmcnt(0)
	v_mul_f64 v[36:37], v[6:7], v[16:17]
	v_add_f64 v[22:23], v[22:23], v[30:31]
	s_delay_alu instid0(VALU_DEP_4) | instskip(NEXT) | instid1(VALU_DEP_4)
	v_fma_f64 v[34:35], v[4:5], v[10:11], v[34:35]
	v_fma_f64 v[10:11], v[2:3], v[10:11], -v[12:13]
	v_mul_f64 v[12:13], v[8:9], v[16:17]
	v_add_f64 v[16:17], v[24:25], v[32:33]
	ds_load_b128 v[2:5], v1 offset:2032
	v_fma_f64 v[8:9], v[8:9], v[14:15], v[36:37]
	s_waitcnt vmcnt(0) lgkmcnt(0)
	v_mul_f64 v[24:25], v[2:3], v[20:21]
	v_mul_f64 v[20:21], v[4:5], v[20:21]
	v_fma_f64 v[6:7], v[6:7], v[14:15], -v[12:13]
	v_add_f64 v[10:11], v[16:17], v[10:11]
	v_add_f64 v[12:13], v[22:23], v[34:35]
	v_fma_f64 v[4:5], v[4:5], v[18:19], v[24:25]
	v_fma_f64 v[2:3], v[2:3], v[18:19], -v[20:21]
	s_delay_alu instid0(VALU_DEP_4) | instskip(NEXT) | instid1(VALU_DEP_4)
	v_add_f64 v[6:7], v[10:11], v[6:7]
	v_add_f64 v[8:9], v[12:13], v[8:9]
	s_delay_alu instid0(VALU_DEP_2) | instskip(NEXT) | instid1(VALU_DEP_2)
	v_add_f64 v[2:3], v[6:7], v[2:3]
	v_add_f64 v[4:5], v[8:9], v[4:5]
	s_delay_alu instid0(VALU_DEP_2) | instskip(NEXT) | instid1(VALU_DEP_2)
	v_add_f64 v[2:3], v[26:27], -v[2:3]
	v_add_f64 v[4:5], v[28:29], -v[4:5]
	scratch_store_b128 off, v[2:5], off offset:576
	v_cmpx_lt_u32_e32 35, v178
	s_cbranch_execz .LBB63_338
; %bb.337:
	scratch_load_b32 v2, off, off offset:1132 ; 4-byte Folded Reload
	v_mov_b32_e32 v3, v1
	v_mov_b32_e32 v4, v1
	s_waitcnt vmcnt(0)
	scratch_load_b128 v[5:8], v2, off
	v_mov_b32_e32 v2, v1
	scratch_store_b128 off, v[1:4], off offset:560
	s_waitcnt vmcnt(0)
	ds_store_b128 v242, v[5:8]
.LBB63_338:
	s_or_b32 exec_lo, exec_lo, s2
	s_waitcnt lgkmcnt(0)
	s_waitcnt_vscnt null, 0x0
	s_barrier
	buffer_gl0_inv
	s_clause 0x4
	scratch_load_b128 v[2:5], off, off offset:576
	scratch_load_b128 v[6:9], off, off offset:592
	;; [unrolled: 1-line block ×5, first 2 shown]
	ds_load_b128 v[22:25], v1 offset:1600
	ds_load_b128 v[26:29], v1 offset:1616
	scratch_load_b128 v[30:33], off, off offset:560
	s_mov_b32 s2, exec_lo
	s_waitcnt vmcnt(5) lgkmcnt(1)
	v_mul_f64 v[34:35], v[24:25], v[4:5]
	v_mul_f64 v[4:5], v[22:23], v[4:5]
	s_waitcnt vmcnt(4) lgkmcnt(0)
	v_mul_f64 v[36:37], v[26:27], v[8:9]
	v_mul_f64 v[8:9], v[28:29], v[8:9]
	s_delay_alu instid0(VALU_DEP_4) | instskip(NEXT) | instid1(VALU_DEP_4)
	v_fma_f64 v[22:23], v[22:23], v[2:3], -v[34:35]
	v_fma_f64 v[24:25], v[24:25], v[2:3], v[4:5]
	ds_load_b128 v[2:5], v1 offset:1632
	v_fma_f64 v[28:29], v[28:29], v[6:7], v[36:37]
	v_fma_f64 v[26:27], v[26:27], v[6:7], -v[8:9]
	ds_load_b128 v[6:9], v1 offset:1648
	s_waitcnt vmcnt(3) lgkmcnt(1)
	v_mul_f64 v[34:35], v[2:3], v[12:13]
	v_mul_f64 v[12:13], v[4:5], v[12:13]
	s_waitcnt vmcnt(2) lgkmcnt(0)
	v_mul_f64 v[36:37], v[6:7], v[16:17]
	s_delay_alu instid0(VALU_DEP_3) | instskip(NEXT) | instid1(VALU_DEP_3)
	v_fma_f64 v[34:35], v[4:5], v[10:11], v[34:35]
	v_fma_f64 v[38:39], v[2:3], v[10:11], -v[12:13]
	v_mul_f64 v[10:11], v[8:9], v[16:17]
	ds_load_b128 v[2:5], v1 offset:1664
	v_fma_f64 v[16:17], v[8:9], v[14:15], v[36:37]
	v_fma_f64 v[14:15], v[6:7], v[14:15], -v[10:11]
	ds_load_b128 v[6:9], v1 offset:1680
	s_waitcnt vmcnt(1) lgkmcnt(1)
	v_mul_f64 v[10:11], v[2:3], v[20:21]
	v_mul_f64 v[12:13], v[4:5], v[20:21]
	s_delay_alu instid0(VALU_DEP_2) | instskip(NEXT) | instid1(VALU_DEP_2)
	v_fma_f64 v[20:21], v[4:5], v[18:19], v[10:11]
	v_fma_f64 v[18:19], v[2:3], v[18:19], -v[12:13]
	s_clause 0x1
	scratch_load_b128 v[2:5], off, off offset:656
	scratch_load_b128 v[10:13], off, off offset:672
	s_waitcnt vmcnt(1) lgkmcnt(0)
	v_mul_f64 v[36:37], v[6:7], v[4:5]
	v_mul_f64 v[4:5], v[8:9], v[4:5]
	s_delay_alu instid0(VALU_DEP_2) | instskip(NEXT) | instid1(VALU_DEP_2)
	v_fma_f64 v[36:37], v[8:9], v[2:3], v[36:37]
	v_fma_f64 v[40:41], v[6:7], v[2:3], -v[4:5]
	ds_load_b128 v[2:5], v1 offset:1696
	ds_load_b128 v[6:9], v1 offset:1712
	s_waitcnt vmcnt(0) lgkmcnt(1)
	v_mul_f64 v[42:43], v[2:3], v[12:13]
	s_delay_alu instid0(VALU_DEP_1) | instskip(SKIP_1) | instid1(VALU_DEP_1)
	v_fma_f64 v[42:43], v[4:5], v[10:11], v[42:43]
	v_mul_f64 v[4:5], v[4:5], v[12:13]
	v_fma_f64 v[44:45], v[2:3], v[10:11], -v[4:5]
	s_clause 0x1
	scratch_load_b128 v[2:5], off, off offset:688
	scratch_load_b128 v[10:13], off, off offset:704
	s_waitcnt vmcnt(1) lgkmcnt(0)
	v_mul_f64 v[46:47], v[6:7], v[4:5]
	v_mul_f64 v[4:5], v[8:9], v[4:5]
	s_delay_alu instid0(VALU_DEP_2) | instskip(NEXT) | instid1(VALU_DEP_2)
	v_fma_f64 v[46:47], v[8:9], v[2:3], v[46:47]
	v_fma_f64 v[48:49], v[6:7], v[2:3], -v[4:5]
	ds_load_b128 v[2:5], v1 offset:1728
	ds_load_b128 v[6:9], v1 offset:1744
	s_waitcnt vmcnt(0) lgkmcnt(1)
	v_mul_f64 v[54:55], v[2:3], v[12:13]
	s_delay_alu instid0(VALU_DEP_1) | instskip(SKIP_1) | instid1(VALU_DEP_1)
	v_fma_f64 v[54:55], v[4:5], v[10:11], v[54:55]
	v_mul_f64 v[4:5], v[4:5], v[12:13]
	;; [unrolled: 17-line block ×10, first 2 shown]
	v_fma_f64 v[209:210], v[2:3], v[10:11], -v[4:5]
	v_add_f64 v[2:3], v[22:23], 0
	v_add_f64 v[4:5], v[24:25], 0
	s_delay_alu instid0(VALU_DEP_2) | instskip(NEXT) | instid1(VALU_DEP_2)
	v_add_f64 v[2:3], v[2:3], v[26:27]
	v_add_f64 v[4:5], v[4:5], v[28:29]
	s_delay_alu instid0(VALU_DEP_2) | instskip(NEXT) | instid1(VALU_DEP_2)
	;; [unrolled: 3-line block ×18, first 2 shown]
	v_add_f64 v[2:3], v[2:3], v[201:202]
	v_add_f64 v[10:11], v[4:5], v[199:200]
	s_delay_alu instid0(VALU_DEP_2)
	v_add_f64 v[12:13], v[2:3], v[218:219]
	scratch_load_b128 v[2:5], off, off offset:976
	v_add_f64 v[14:15], v[10:11], v[213:214]
	v_add_f64 v[16:17], v[12:13], v[243:244]
	scratch_load_b128 v[10:13], off, off offset:992
	v_add_f64 v[18:19], v[14:15], v[224:225]
	;; [unrolled: 3-line block ×3, first 2 shown]
	v_add_f64 v[20:21], v[20:21], v[251:252]
	s_delay_alu instid0(VALU_DEP_2) | instskip(NEXT) | instid1(VALU_DEP_2)
	v_add_f64 v[18:19], v[18:19], v[249:250]
	v_add_f64 v[28:29], v[20:21], v[205:206]
	s_delay_alu instid0(VALU_DEP_2)
	v_add_f64 v[34:35], v[18:19], v[203:204]
	ds_load_b128 v[18:21], v1 offset:2016
	ds_load_b128 v[22:25], v1 offset:2032
	s_waitcnt vmcnt(2) lgkmcnt(2)
	v_mul_f64 v[26:27], v[6:7], v[4:5]
	v_mul_f64 v[4:5], v[8:9], v[4:5]
	s_waitcnt vmcnt(1) lgkmcnt(1)
	v_mul_f64 v[36:37], v[18:19], v[12:13]
	s_delay_alu instid0(VALU_DEP_3) | instskip(NEXT) | instid1(VALU_DEP_3)
	v_fma_f64 v[8:9], v[8:9], v[2:3], v[26:27]
	v_fma_f64 v[1:2], v[6:7], v[2:3], -v[4:5]
	v_mul_f64 v[3:4], v[20:21], v[12:13]
	v_add_f64 v[5:6], v[28:29], v[209:210]
	v_add_f64 v[12:13], v[34:35], v[207:208]
	s_waitcnt vmcnt(0) lgkmcnt(0)
	v_mul_f64 v[26:27], v[22:23], v[16:17]
	v_mul_f64 v[16:17], v[24:25], v[16:17]
	v_fma_f64 v[20:21], v[20:21], v[10:11], v[36:37]
	v_fma_f64 v[3:4], v[18:19], v[10:11], -v[3:4]
	v_add_f64 v[1:2], v[5:6], v[1:2]
	v_add_f64 v[5:6], v[12:13], v[8:9]
	v_fma_f64 v[7:8], v[24:25], v[14:15], v[26:27]
	v_fma_f64 v[9:10], v[22:23], v[14:15], -v[16:17]
	s_delay_alu instid0(VALU_DEP_4) | instskip(NEXT) | instid1(VALU_DEP_4)
	v_add_f64 v[1:2], v[1:2], v[3:4]
	v_add_f64 v[3:4], v[5:6], v[20:21]
	s_delay_alu instid0(VALU_DEP_2) | instskip(NEXT) | instid1(VALU_DEP_2)
	v_add_f64 v[1:2], v[1:2], v[9:10]
	v_add_f64 v[3:4], v[3:4], v[7:8]
	s_delay_alu instid0(VALU_DEP_2) | instskip(NEXT) | instid1(VALU_DEP_2)
	v_add_f64 v[1:2], v[30:31], -v[1:2]
	v_add_f64 v[3:4], v[32:33], -v[3:4]
	scratch_store_b128 off, v[1:4], off offset:560
	v_cmpx_lt_u32_e32 34, v178
	s_cbranch_execz .LBB63_340
; %bb.339:
	scratch_load_b32 v1, off, off offset:1136 ; 4-byte Folded Reload
	v_mov_b32_e32 v5, 0
	s_delay_alu instid0(VALU_DEP_1)
	v_mov_b32_e32 v6, v5
	v_mov_b32_e32 v7, v5
	;; [unrolled: 1-line block ×3, first 2 shown]
	s_waitcnt vmcnt(0)
	scratch_load_b128 v[1:4], v1, off
	scratch_store_b128 off, v[5:8], off offset:544
	s_waitcnt vmcnt(0)
	ds_store_b128 v242, v[1:4]
.LBB63_340:
	s_or_b32 exec_lo, exec_lo, s2
	s_waitcnt lgkmcnt(0)
	s_waitcnt_vscnt null, 0x0
	s_barrier
	buffer_gl0_inv
	s_clause 0x4
	scratch_load_b128 v[2:5], off, off offset:560
	scratch_load_b128 v[6:9], off, off offset:576
	;; [unrolled: 1-line block ×5, first 2 shown]
	v_mov_b32_e32 v1, 0
	scratch_load_b128 v[26:29], off, off offset:544
	s_mov_b32 s2, exec_lo
	ds_load_b128 v[22:25], v1 offset:1584
	ds_load_b128 v[30:33], v1 offset:1600
	s_waitcnt vmcnt(5) lgkmcnt(1)
	v_mul_f64 v[34:35], v[24:25], v[4:5]
	v_mul_f64 v[4:5], v[22:23], v[4:5]
	s_waitcnt vmcnt(4) lgkmcnt(0)
	v_mul_f64 v[36:37], v[30:31], v[8:9]
	v_mul_f64 v[8:9], v[32:33], v[8:9]
	s_delay_alu instid0(VALU_DEP_4) | instskip(NEXT) | instid1(VALU_DEP_4)
	v_fma_f64 v[22:23], v[22:23], v[2:3], -v[34:35]
	v_fma_f64 v[24:25], v[24:25], v[2:3], v[4:5]
	ds_load_b128 v[2:5], v1 offset:1616
	v_fma_f64 v[32:33], v[32:33], v[6:7], v[36:37]
	v_fma_f64 v[30:31], v[30:31], v[6:7], -v[8:9]
	ds_load_b128 v[6:9], v1 offset:1632
	s_waitcnt vmcnt(3) lgkmcnt(1)
	v_mul_f64 v[34:35], v[2:3], v[12:13]
	v_mul_f64 v[12:13], v[4:5], v[12:13]
	s_waitcnt vmcnt(2) lgkmcnt(0)
	v_mul_f64 v[36:37], v[6:7], v[16:17]
	s_delay_alu instid0(VALU_DEP_3) | instskip(NEXT) | instid1(VALU_DEP_3)
	v_fma_f64 v[34:35], v[4:5], v[10:11], v[34:35]
	v_fma_f64 v[38:39], v[2:3], v[10:11], -v[12:13]
	v_mul_f64 v[10:11], v[8:9], v[16:17]
	ds_load_b128 v[2:5], v1 offset:1648
	v_fma_f64 v[16:17], v[8:9], v[14:15], v[36:37]
	v_fma_f64 v[14:15], v[6:7], v[14:15], -v[10:11]
	ds_load_b128 v[6:9], v1 offset:1664
	s_waitcnt vmcnt(1) lgkmcnt(1)
	v_mul_f64 v[10:11], v[2:3], v[20:21]
	v_mul_f64 v[12:13], v[4:5], v[20:21]
	s_delay_alu instid0(VALU_DEP_2) | instskip(NEXT) | instid1(VALU_DEP_2)
	v_fma_f64 v[20:21], v[4:5], v[18:19], v[10:11]
	v_fma_f64 v[18:19], v[2:3], v[18:19], -v[12:13]
	s_clause 0x1
	scratch_load_b128 v[2:5], off, off offset:640
	scratch_load_b128 v[10:13], off, off offset:656
	s_waitcnt vmcnt(1) lgkmcnt(0)
	v_mul_f64 v[36:37], v[6:7], v[4:5]
	v_mul_f64 v[4:5], v[8:9], v[4:5]
	s_delay_alu instid0(VALU_DEP_2) | instskip(NEXT) | instid1(VALU_DEP_2)
	v_fma_f64 v[36:37], v[8:9], v[2:3], v[36:37]
	v_fma_f64 v[40:41], v[6:7], v[2:3], -v[4:5]
	ds_load_b128 v[2:5], v1 offset:1680
	ds_load_b128 v[6:9], v1 offset:1696
	s_waitcnt vmcnt(0) lgkmcnt(1)
	v_mul_f64 v[42:43], v[2:3], v[12:13]
	s_delay_alu instid0(VALU_DEP_1) | instskip(SKIP_1) | instid1(VALU_DEP_1)
	v_fma_f64 v[42:43], v[4:5], v[10:11], v[42:43]
	v_mul_f64 v[4:5], v[4:5], v[12:13]
	v_fma_f64 v[44:45], v[2:3], v[10:11], -v[4:5]
	s_clause 0x1
	scratch_load_b128 v[2:5], off, off offset:672
	scratch_load_b128 v[10:13], off, off offset:688
	s_waitcnt vmcnt(1) lgkmcnt(0)
	v_mul_f64 v[46:47], v[6:7], v[4:5]
	v_mul_f64 v[4:5], v[8:9], v[4:5]
	s_delay_alu instid0(VALU_DEP_2) | instskip(NEXT) | instid1(VALU_DEP_2)
	v_fma_f64 v[46:47], v[8:9], v[2:3], v[46:47]
	v_fma_f64 v[48:49], v[6:7], v[2:3], -v[4:5]
	ds_load_b128 v[2:5], v1 offset:1712
	ds_load_b128 v[6:9], v1 offset:1728
	s_waitcnt vmcnt(0) lgkmcnt(1)
	v_mul_f64 v[54:55], v[2:3], v[12:13]
	s_delay_alu instid0(VALU_DEP_1) | instskip(SKIP_1) | instid1(VALU_DEP_1)
	v_fma_f64 v[54:55], v[4:5], v[10:11], v[54:55]
	v_mul_f64 v[4:5], v[4:5], v[12:13]
	;; [unrolled: 17-line block ×10, first 2 shown]
	v_fma_f64 v[251:252], v[2:3], v[10:11], -v[4:5]
	v_add_f64 v[2:3], v[22:23], 0
	v_add_f64 v[4:5], v[24:25], 0
	s_delay_alu instid0(VALU_DEP_2) | instskip(NEXT) | instid1(VALU_DEP_2)
	v_add_f64 v[2:3], v[2:3], v[30:31]
	v_add_f64 v[4:5], v[4:5], v[32:33]
	s_delay_alu instid0(VALU_DEP_2) | instskip(NEXT) | instid1(VALU_DEP_2)
	;; [unrolled: 3-line block ×18, first 2 shown]
	v_add_f64 v[2:3], v[2:3], v[201:202]
	v_add_f64 v[10:11], v[4:5], v[199:200]
	s_delay_alu instid0(VALU_DEP_2)
	v_add_f64 v[12:13], v[2:3], v[205:206]
	scratch_load_b128 v[2:5], off, off offset:960
	v_add_f64 v[14:15], v[10:11], v[203:204]
	v_add_f64 v[16:17], v[12:13], v[209:210]
	scratch_load_b128 v[10:13], off, off offset:976
	v_add_f64 v[18:19], v[14:15], v[207:208]
	;; [unrolled: 3-line block ×4, first 2 shown]
	v_add_f64 v[24:25], v[24:25], v[247:248]
	s_delay_alu instid0(VALU_DEP_2) | instskip(NEXT) | instid1(VALU_DEP_2)
	v_add_f64 v[22:23], v[22:23], v[245:246]
	v_add_f64 v[24:25], v[24:25], v[251:252]
	s_delay_alu instid0(VALU_DEP_2) | instskip(SKIP_3) | instid1(VALU_DEP_2)
	v_add_f64 v[22:23], v[22:23], v[249:250]
	s_waitcnt vmcnt(3) lgkmcnt(0)
	v_mul_f64 v[30:31], v[6:7], v[4:5]
	v_mul_f64 v[4:5], v[8:9], v[4:5]
	v_fma_f64 v[30:31], v[8:9], v[2:3], v[30:31]
	s_delay_alu instid0(VALU_DEP_2)
	v_fma_f64 v[32:33], v[6:7], v[2:3], -v[4:5]
	ds_load_b128 v[2:5], v1 offset:2000
	ds_load_b128 v[6:9], v1 offset:2016
	s_waitcnt vmcnt(2) lgkmcnt(1)
	v_mul_f64 v[34:35], v[2:3], v[12:13]
	v_mul_f64 v[12:13], v[4:5], v[12:13]
	s_waitcnt vmcnt(1) lgkmcnt(0)
	v_mul_f64 v[36:37], v[6:7], v[16:17]
	v_add_f64 v[22:23], v[22:23], v[30:31]
	s_delay_alu instid0(VALU_DEP_4) | instskip(NEXT) | instid1(VALU_DEP_4)
	v_fma_f64 v[34:35], v[4:5], v[10:11], v[34:35]
	v_fma_f64 v[10:11], v[2:3], v[10:11], -v[12:13]
	v_mul_f64 v[12:13], v[8:9], v[16:17]
	v_add_f64 v[16:17], v[24:25], v[32:33]
	ds_load_b128 v[2:5], v1 offset:2032
	v_fma_f64 v[8:9], v[8:9], v[14:15], v[36:37]
	s_waitcnt vmcnt(0) lgkmcnt(0)
	v_mul_f64 v[24:25], v[2:3], v[20:21]
	v_mul_f64 v[20:21], v[4:5], v[20:21]
	v_fma_f64 v[6:7], v[6:7], v[14:15], -v[12:13]
	v_add_f64 v[10:11], v[16:17], v[10:11]
	v_add_f64 v[12:13], v[22:23], v[34:35]
	v_fma_f64 v[4:5], v[4:5], v[18:19], v[24:25]
	v_fma_f64 v[2:3], v[2:3], v[18:19], -v[20:21]
	s_delay_alu instid0(VALU_DEP_4) | instskip(NEXT) | instid1(VALU_DEP_4)
	v_add_f64 v[6:7], v[10:11], v[6:7]
	v_add_f64 v[8:9], v[12:13], v[8:9]
	s_delay_alu instid0(VALU_DEP_2) | instskip(NEXT) | instid1(VALU_DEP_2)
	v_add_f64 v[2:3], v[6:7], v[2:3]
	v_add_f64 v[4:5], v[8:9], v[4:5]
	s_delay_alu instid0(VALU_DEP_2) | instskip(NEXT) | instid1(VALU_DEP_2)
	v_add_f64 v[2:3], v[26:27], -v[2:3]
	v_add_f64 v[4:5], v[28:29], -v[4:5]
	scratch_store_b128 off, v[2:5], off offset:544
	v_cmpx_lt_u32_e32 33, v178
	s_cbranch_execz .LBB63_342
; %bb.341:
	scratch_load_b32 v2, off, off offset:1140 ; 4-byte Folded Reload
	v_mov_b32_e32 v3, v1
	v_mov_b32_e32 v4, v1
	s_waitcnt vmcnt(0)
	scratch_load_b128 v[5:8], v2, off
	v_mov_b32_e32 v2, v1
	scratch_store_b128 off, v[1:4], off offset:528
	s_waitcnt vmcnt(0)
	ds_store_b128 v242, v[5:8]
.LBB63_342:
	s_or_b32 exec_lo, exec_lo, s2
	s_waitcnt lgkmcnt(0)
	s_waitcnt_vscnt null, 0x0
	s_barrier
	buffer_gl0_inv
	s_clause 0x4
	scratch_load_b128 v[2:5], off, off offset:544
	scratch_load_b128 v[6:9], off, off offset:560
	;; [unrolled: 1-line block ×5, first 2 shown]
	ds_load_b128 v[22:25], v1 offset:1568
	ds_load_b128 v[26:29], v1 offset:1584
	scratch_load_b128 v[30:33], off, off offset:528
	s_mov_b32 s2, exec_lo
	s_waitcnt vmcnt(5) lgkmcnt(1)
	v_mul_f64 v[34:35], v[24:25], v[4:5]
	v_mul_f64 v[4:5], v[22:23], v[4:5]
	s_waitcnt vmcnt(4) lgkmcnt(0)
	v_mul_f64 v[36:37], v[26:27], v[8:9]
	v_mul_f64 v[8:9], v[28:29], v[8:9]
	s_delay_alu instid0(VALU_DEP_4) | instskip(NEXT) | instid1(VALU_DEP_4)
	v_fma_f64 v[22:23], v[22:23], v[2:3], -v[34:35]
	v_fma_f64 v[24:25], v[24:25], v[2:3], v[4:5]
	ds_load_b128 v[2:5], v1 offset:1600
	v_fma_f64 v[28:29], v[28:29], v[6:7], v[36:37]
	v_fma_f64 v[26:27], v[26:27], v[6:7], -v[8:9]
	ds_load_b128 v[6:9], v1 offset:1616
	s_waitcnt vmcnt(3) lgkmcnt(1)
	v_mul_f64 v[34:35], v[2:3], v[12:13]
	v_mul_f64 v[12:13], v[4:5], v[12:13]
	s_waitcnt vmcnt(2) lgkmcnt(0)
	v_mul_f64 v[36:37], v[6:7], v[16:17]
	s_delay_alu instid0(VALU_DEP_3) | instskip(NEXT) | instid1(VALU_DEP_3)
	v_fma_f64 v[34:35], v[4:5], v[10:11], v[34:35]
	v_fma_f64 v[38:39], v[2:3], v[10:11], -v[12:13]
	v_mul_f64 v[10:11], v[8:9], v[16:17]
	ds_load_b128 v[2:5], v1 offset:1632
	v_fma_f64 v[16:17], v[8:9], v[14:15], v[36:37]
	v_fma_f64 v[14:15], v[6:7], v[14:15], -v[10:11]
	ds_load_b128 v[6:9], v1 offset:1648
	s_waitcnt vmcnt(1) lgkmcnt(1)
	v_mul_f64 v[10:11], v[2:3], v[20:21]
	v_mul_f64 v[12:13], v[4:5], v[20:21]
	s_delay_alu instid0(VALU_DEP_2) | instskip(NEXT) | instid1(VALU_DEP_2)
	v_fma_f64 v[20:21], v[4:5], v[18:19], v[10:11]
	v_fma_f64 v[18:19], v[2:3], v[18:19], -v[12:13]
	s_clause 0x1
	scratch_load_b128 v[2:5], off, off offset:624
	scratch_load_b128 v[10:13], off, off offset:640
	s_waitcnt vmcnt(1) lgkmcnt(0)
	v_mul_f64 v[36:37], v[6:7], v[4:5]
	v_mul_f64 v[4:5], v[8:9], v[4:5]
	s_delay_alu instid0(VALU_DEP_2) | instskip(NEXT) | instid1(VALU_DEP_2)
	v_fma_f64 v[36:37], v[8:9], v[2:3], v[36:37]
	v_fma_f64 v[40:41], v[6:7], v[2:3], -v[4:5]
	ds_load_b128 v[2:5], v1 offset:1664
	ds_load_b128 v[6:9], v1 offset:1680
	s_waitcnt vmcnt(0) lgkmcnt(1)
	v_mul_f64 v[42:43], v[2:3], v[12:13]
	s_delay_alu instid0(VALU_DEP_1) | instskip(SKIP_1) | instid1(VALU_DEP_1)
	v_fma_f64 v[42:43], v[4:5], v[10:11], v[42:43]
	v_mul_f64 v[4:5], v[4:5], v[12:13]
	v_fma_f64 v[44:45], v[2:3], v[10:11], -v[4:5]
	s_clause 0x1
	scratch_load_b128 v[2:5], off, off offset:656
	scratch_load_b128 v[10:13], off, off offset:672
	s_waitcnt vmcnt(1) lgkmcnt(0)
	v_mul_f64 v[46:47], v[6:7], v[4:5]
	v_mul_f64 v[4:5], v[8:9], v[4:5]
	s_delay_alu instid0(VALU_DEP_2) | instskip(NEXT) | instid1(VALU_DEP_2)
	v_fma_f64 v[46:47], v[8:9], v[2:3], v[46:47]
	v_fma_f64 v[48:49], v[6:7], v[2:3], -v[4:5]
	ds_load_b128 v[2:5], v1 offset:1696
	ds_load_b128 v[6:9], v1 offset:1712
	s_waitcnt vmcnt(0) lgkmcnt(1)
	v_mul_f64 v[54:55], v[2:3], v[12:13]
	s_delay_alu instid0(VALU_DEP_1) | instskip(SKIP_1) | instid1(VALU_DEP_1)
	v_fma_f64 v[54:55], v[4:5], v[10:11], v[54:55]
	v_mul_f64 v[4:5], v[4:5], v[12:13]
	;; [unrolled: 17-line block ×11, first 2 shown]
	v_fma_f64 v[222:223], v[2:3], v[10:11], -v[4:5]
	v_add_f64 v[2:3], v[22:23], 0
	v_add_f64 v[4:5], v[24:25], 0
	s_delay_alu instid0(VALU_DEP_2) | instskip(NEXT) | instid1(VALU_DEP_2)
	v_add_f64 v[2:3], v[2:3], v[26:27]
	v_add_f64 v[4:5], v[4:5], v[28:29]
	s_delay_alu instid0(VALU_DEP_2) | instskip(NEXT) | instid1(VALU_DEP_2)
	;; [unrolled: 3-line block ×20, first 2 shown]
	v_add_f64 v[2:3], v[2:3], v[209:210]
	v_add_f64 v[10:11], v[4:5], v[207:208]
	s_delay_alu instid0(VALU_DEP_2)
	v_add_f64 v[12:13], v[2:3], v[218:219]
	scratch_load_b128 v[2:5], off, off offset:976
	v_add_f64 v[14:15], v[10:11], v[213:214]
	v_add_f64 v[16:17], v[12:13], v[243:244]
	scratch_load_b128 v[10:13], off, off offset:992
	v_add_f64 v[18:19], v[14:15], v[224:225]
	;; [unrolled: 3-line block ×3, first 2 shown]
	v_add_f64 v[20:21], v[20:21], v[251:252]
	s_delay_alu instid0(VALU_DEP_2) | instskip(NEXT) | instid1(VALU_DEP_2)
	v_add_f64 v[18:19], v[18:19], v[249:250]
	v_add_f64 v[28:29], v[20:21], v[215:216]
	s_delay_alu instid0(VALU_DEP_2)
	v_add_f64 v[34:35], v[18:19], v[211:212]
	ds_load_b128 v[18:21], v1 offset:2016
	ds_load_b128 v[22:25], v1 offset:2032
	s_waitcnt vmcnt(2) lgkmcnt(2)
	v_mul_f64 v[26:27], v[6:7], v[4:5]
	v_mul_f64 v[4:5], v[8:9], v[4:5]
	s_waitcnt vmcnt(1) lgkmcnt(1)
	v_mul_f64 v[36:37], v[18:19], v[12:13]
	s_delay_alu instid0(VALU_DEP_3) | instskip(NEXT) | instid1(VALU_DEP_3)
	v_fma_f64 v[8:9], v[8:9], v[2:3], v[26:27]
	v_fma_f64 v[1:2], v[6:7], v[2:3], -v[4:5]
	v_mul_f64 v[3:4], v[20:21], v[12:13]
	v_add_f64 v[5:6], v[28:29], v[222:223]
	v_add_f64 v[12:13], v[34:35], v[220:221]
	s_waitcnt vmcnt(0) lgkmcnt(0)
	v_mul_f64 v[26:27], v[22:23], v[16:17]
	v_mul_f64 v[16:17], v[24:25], v[16:17]
	v_fma_f64 v[20:21], v[20:21], v[10:11], v[36:37]
	v_fma_f64 v[3:4], v[18:19], v[10:11], -v[3:4]
	v_add_f64 v[1:2], v[5:6], v[1:2]
	v_add_f64 v[5:6], v[12:13], v[8:9]
	v_fma_f64 v[7:8], v[24:25], v[14:15], v[26:27]
	v_fma_f64 v[9:10], v[22:23], v[14:15], -v[16:17]
	s_delay_alu instid0(VALU_DEP_4) | instskip(NEXT) | instid1(VALU_DEP_4)
	v_add_f64 v[1:2], v[1:2], v[3:4]
	v_add_f64 v[3:4], v[5:6], v[20:21]
	s_delay_alu instid0(VALU_DEP_2) | instskip(NEXT) | instid1(VALU_DEP_2)
	v_add_f64 v[1:2], v[1:2], v[9:10]
	v_add_f64 v[3:4], v[3:4], v[7:8]
	s_delay_alu instid0(VALU_DEP_2) | instskip(NEXT) | instid1(VALU_DEP_2)
	v_add_f64 v[1:2], v[30:31], -v[1:2]
	v_add_f64 v[3:4], v[32:33], -v[3:4]
	scratch_store_b128 off, v[1:4], off offset:528
	v_cmpx_lt_u32_e32 32, v178
	s_cbranch_execz .LBB63_344
; %bb.343:
	scratch_load_b32 v1, off, off offset:1144 ; 4-byte Folded Reload
	v_mov_b32_e32 v5, 0
	s_delay_alu instid0(VALU_DEP_1)
	v_mov_b32_e32 v6, v5
	v_mov_b32_e32 v7, v5
	;; [unrolled: 1-line block ×3, first 2 shown]
	s_waitcnt vmcnt(0)
	scratch_load_b128 v[1:4], v1, off
	scratch_store_b128 off, v[5:8], off offset:512
	s_waitcnt vmcnt(0)
	ds_store_b128 v242, v[1:4]
.LBB63_344:
	s_or_b32 exec_lo, exec_lo, s2
	s_waitcnt lgkmcnt(0)
	s_waitcnt_vscnt null, 0x0
	s_barrier
	buffer_gl0_inv
	s_clause 0x4
	scratch_load_b128 v[2:5], off, off offset:528
	scratch_load_b128 v[6:9], off, off offset:544
	;; [unrolled: 1-line block ×5, first 2 shown]
	v_mov_b32_e32 v1, 0
	scratch_load_b128 v[26:29], off, off offset:512
	s_mov_b32 s2, exec_lo
	ds_load_b128 v[22:25], v1 offset:1552
	ds_load_b128 v[30:33], v1 offset:1568
	s_waitcnt vmcnt(5) lgkmcnt(1)
	v_mul_f64 v[34:35], v[24:25], v[4:5]
	v_mul_f64 v[4:5], v[22:23], v[4:5]
	s_waitcnt vmcnt(4) lgkmcnt(0)
	v_mul_f64 v[36:37], v[30:31], v[8:9]
	v_mul_f64 v[8:9], v[32:33], v[8:9]
	s_delay_alu instid0(VALU_DEP_4) | instskip(NEXT) | instid1(VALU_DEP_4)
	v_fma_f64 v[22:23], v[22:23], v[2:3], -v[34:35]
	v_fma_f64 v[24:25], v[24:25], v[2:3], v[4:5]
	ds_load_b128 v[2:5], v1 offset:1584
	v_fma_f64 v[32:33], v[32:33], v[6:7], v[36:37]
	v_fma_f64 v[30:31], v[30:31], v[6:7], -v[8:9]
	ds_load_b128 v[6:9], v1 offset:1600
	s_waitcnt vmcnt(3) lgkmcnt(1)
	v_mul_f64 v[34:35], v[2:3], v[12:13]
	v_mul_f64 v[12:13], v[4:5], v[12:13]
	s_waitcnt vmcnt(2) lgkmcnt(0)
	v_mul_f64 v[36:37], v[6:7], v[16:17]
	s_delay_alu instid0(VALU_DEP_3) | instskip(NEXT) | instid1(VALU_DEP_3)
	v_fma_f64 v[34:35], v[4:5], v[10:11], v[34:35]
	v_fma_f64 v[38:39], v[2:3], v[10:11], -v[12:13]
	v_mul_f64 v[10:11], v[8:9], v[16:17]
	ds_load_b128 v[2:5], v1 offset:1616
	v_fma_f64 v[16:17], v[8:9], v[14:15], v[36:37]
	v_fma_f64 v[14:15], v[6:7], v[14:15], -v[10:11]
	ds_load_b128 v[6:9], v1 offset:1632
	s_waitcnt vmcnt(1) lgkmcnt(1)
	v_mul_f64 v[10:11], v[2:3], v[20:21]
	v_mul_f64 v[12:13], v[4:5], v[20:21]
	s_delay_alu instid0(VALU_DEP_2) | instskip(NEXT) | instid1(VALU_DEP_2)
	v_fma_f64 v[20:21], v[4:5], v[18:19], v[10:11]
	v_fma_f64 v[18:19], v[2:3], v[18:19], -v[12:13]
	s_clause 0x1
	scratch_load_b128 v[2:5], off, off offset:608
	scratch_load_b128 v[10:13], off, off offset:624
	s_waitcnt vmcnt(1) lgkmcnt(0)
	v_mul_f64 v[36:37], v[6:7], v[4:5]
	v_mul_f64 v[4:5], v[8:9], v[4:5]
	s_delay_alu instid0(VALU_DEP_2) | instskip(NEXT) | instid1(VALU_DEP_2)
	v_fma_f64 v[36:37], v[8:9], v[2:3], v[36:37]
	v_fma_f64 v[40:41], v[6:7], v[2:3], -v[4:5]
	ds_load_b128 v[2:5], v1 offset:1648
	ds_load_b128 v[6:9], v1 offset:1664
	s_waitcnt vmcnt(0) lgkmcnt(1)
	v_mul_f64 v[42:43], v[2:3], v[12:13]
	s_delay_alu instid0(VALU_DEP_1) | instskip(SKIP_1) | instid1(VALU_DEP_1)
	v_fma_f64 v[42:43], v[4:5], v[10:11], v[42:43]
	v_mul_f64 v[4:5], v[4:5], v[12:13]
	v_fma_f64 v[44:45], v[2:3], v[10:11], -v[4:5]
	s_clause 0x1
	scratch_load_b128 v[2:5], off, off offset:640
	scratch_load_b128 v[10:13], off, off offset:656
	s_waitcnt vmcnt(1) lgkmcnt(0)
	v_mul_f64 v[46:47], v[6:7], v[4:5]
	v_mul_f64 v[4:5], v[8:9], v[4:5]
	s_delay_alu instid0(VALU_DEP_2) | instskip(NEXT) | instid1(VALU_DEP_2)
	v_fma_f64 v[46:47], v[8:9], v[2:3], v[46:47]
	v_fma_f64 v[48:49], v[6:7], v[2:3], -v[4:5]
	ds_load_b128 v[2:5], v1 offset:1680
	ds_load_b128 v[6:9], v1 offset:1696
	s_waitcnt vmcnt(0) lgkmcnt(1)
	v_mul_f64 v[54:55], v[2:3], v[12:13]
	s_delay_alu instid0(VALU_DEP_1) | instskip(SKIP_1) | instid1(VALU_DEP_1)
	v_fma_f64 v[54:55], v[4:5], v[10:11], v[54:55]
	v_mul_f64 v[4:5], v[4:5], v[12:13]
	;; [unrolled: 17-line block ×11, first 2 shown]
	v_fma_f64 v[251:252], v[2:3], v[10:11], -v[4:5]
	v_add_f64 v[2:3], v[22:23], 0
	v_add_f64 v[4:5], v[24:25], 0
	s_delay_alu instid0(VALU_DEP_2) | instskip(NEXT) | instid1(VALU_DEP_2)
	v_add_f64 v[2:3], v[2:3], v[30:31]
	v_add_f64 v[4:5], v[4:5], v[32:33]
	s_delay_alu instid0(VALU_DEP_2) | instskip(NEXT) | instid1(VALU_DEP_2)
	;; [unrolled: 3-line block ×20, first 2 shown]
	v_add_f64 v[2:3], v[2:3], v[209:210]
	v_add_f64 v[10:11], v[4:5], v[207:208]
	s_delay_alu instid0(VALU_DEP_2)
	v_add_f64 v[12:13], v[2:3], v[213:214]
	scratch_load_b128 v[2:5], off, off offset:960
	v_add_f64 v[14:15], v[10:11], v[211:212]
	v_add_f64 v[16:17], v[12:13], v[218:219]
	scratch_load_b128 v[10:13], off, off offset:976
	v_add_f64 v[18:19], v[14:15], v[215:216]
	;; [unrolled: 3-line block ×4, first 2 shown]
	v_add_f64 v[24:25], v[24:25], v[247:248]
	s_delay_alu instid0(VALU_DEP_2) | instskip(NEXT) | instid1(VALU_DEP_2)
	v_add_f64 v[22:23], v[22:23], v[245:246]
	v_add_f64 v[24:25], v[24:25], v[251:252]
	s_delay_alu instid0(VALU_DEP_2) | instskip(SKIP_3) | instid1(VALU_DEP_2)
	v_add_f64 v[22:23], v[22:23], v[249:250]
	s_waitcnt vmcnt(3) lgkmcnt(0)
	v_mul_f64 v[30:31], v[6:7], v[4:5]
	v_mul_f64 v[4:5], v[8:9], v[4:5]
	v_fma_f64 v[30:31], v[8:9], v[2:3], v[30:31]
	s_delay_alu instid0(VALU_DEP_2)
	v_fma_f64 v[32:33], v[6:7], v[2:3], -v[4:5]
	ds_load_b128 v[2:5], v1 offset:2000
	ds_load_b128 v[6:9], v1 offset:2016
	s_waitcnt vmcnt(2) lgkmcnt(1)
	v_mul_f64 v[34:35], v[2:3], v[12:13]
	v_mul_f64 v[12:13], v[4:5], v[12:13]
	s_waitcnt vmcnt(1) lgkmcnt(0)
	v_mul_f64 v[36:37], v[6:7], v[16:17]
	v_add_f64 v[22:23], v[22:23], v[30:31]
	s_delay_alu instid0(VALU_DEP_4) | instskip(NEXT) | instid1(VALU_DEP_4)
	v_fma_f64 v[34:35], v[4:5], v[10:11], v[34:35]
	v_fma_f64 v[10:11], v[2:3], v[10:11], -v[12:13]
	v_mul_f64 v[12:13], v[8:9], v[16:17]
	v_add_f64 v[16:17], v[24:25], v[32:33]
	ds_load_b128 v[2:5], v1 offset:2032
	v_fma_f64 v[8:9], v[8:9], v[14:15], v[36:37]
	s_waitcnt vmcnt(0) lgkmcnt(0)
	v_mul_f64 v[24:25], v[2:3], v[20:21]
	v_mul_f64 v[20:21], v[4:5], v[20:21]
	v_fma_f64 v[6:7], v[6:7], v[14:15], -v[12:13]
	v_add_f64 v[10:11], v[16:17], v[10:11]
	v_add_f64 v[12:13], v[22:23], v[34:35]
	v_fma_f64 v[4:5], v[4:5], v[18:19], v[24:25]
	v_fma_f64 v[2:3], v[2:3], v[18:19], -v[20:21]
	s_delay_alu instid0(VALU_DEP_4) | instskip(NEXT) | instid1(VALU_DEP_4)
	v_add_f64 v[6:7], v[10:11], v[6:7]
	v_add_f64 v[8:9], v[12:13], v[8:9]
	s_delay_alu instid0(VALU_DEP_2) | instskip(NEXT) | instid1(VALU_DEP_2)
	v_add_f64 v[2:3], v[6:7], v[2:3]
	v_add_f64 v[4:5], v[8:9], v[4:5]
	s_delay_alu instid0(VALU_DEP_2) | instskip(NEXT) | instid1(VALU_DEP_2)
	v_add_f64 v[2:3], v[26:27], -v[2:3]
	v_add_f64 v[4:5], v[28:29], -v[4:5]
	scratch_store_b128 off, v[2:5], off offset:512
	v_cmpx_lt_u32_e32 31, v178
	s_cbranch_execz .LBB63_346
; %bb.345:
	scratch_load_b32 v2, off, off offset:1148 ; 4-byte Folded Reload
	v_mov_b32_e32 v3, v1
	v_mov_b32_e32 v4, v1
	s_waitcnt vmcnt(0)
	scratch_load_b128 v[5:8], v2, off
	v_mov_b32_e32 v2, v1
	scratch_store_b128 off, v[1:4], off offset:496
	s_waitcnt vmcnt(0)
	ds_store_b128 v242, v[5:8]
.LBB63_346:
	s_or_b32 exec_lo, exec_lo, s2
	s_waitcnt lgkmcnt(0)
	s_waitcnt_vscnt null, 0x0
	s_barrier
	buffer_gl0_inv
	s_clause 0x4
	scratch_load_b128 v[2:5], off, off offset:512
	scratch_load_b128 v[6:9], off, off offset:528
	;; [unrolled: 1-line block ×5, first 2 shown]
	ds_load_b128 v[22:25], v1 offset:1536
	ds_load_b128 v[26:29], v1 offset:1552
	scratch_load_b128 v[30:33], off, off offset:496
	s_mov_b32 s2, exec_lo
	s_waitcnt vmcnt(5) lgkmcnt(1)
	v_mul_f64 v[34:35], v[24:25], v[4:5]
	v_mul_f64 v[4:5], v[22:23], v[4:5]
	s_waitcnt vmcnt(4) lgkmcnt(0)
	v_mul_f64 v[36:37], v[26:27], v[8:9]
	v_mul_f64 v[8:9], v[28:29], v[8:9]
	s_delay_alu instid0(VALU_DEP_4) | instskip(NEXT) | instid1(VALU_DEP_4)
	v_fma_f64 v[22:23], v[22:23], v[2:3], -v[34:35]
	v_fma_f64 v[24:25], v[24:25], v[2:3], v[4:5]
	ds_load_b128 v[2:5], v1 offset:1568
	v_fma_f64 v[28:29], v[28:29], v[6:7], v[36:37]
	v_fma_f64 v[26:27], v[26:27], v[6:7], -v[8:9]
	ds_load_b128 v[6:9], v1 offset:1584
	s_waitcnt vmcnt(3) lgkmcnt(1)
	v_mul_f64 v[34:35], v[2:3], v[12:13]
	v_mul_f64 v[12:13], v[4:5], v[12:13]
	s_waitcnt vmcnt(2) lgkmcnt(0)
	v_mul_f64 v[36:37], v[6:7], v[16:17]
	s_delay_alu instid0(VALU_DEP_3) | instskip(NEXT) | instid1(VALU_DEP_3)
	v_fma_f64 v[34:35], v[4:5], v[10:11], v[34:35]
	v_fma_f64 v[38:39], v[2:3], v[10:11], -v[12:13]
	v_mul_f64 v[10:11], v[8:9], v[16:17]
	ds_load_b128 v[2:5], v1 offset:1600
	v_fma_f64 v[16:17], v[8:9], v[14:15], v[36:37]
	v_fma_f64 v[14:15], v[6:7], v[14:15], -v[10:11]
	ds_load_b128 v[6:9], v1 offset:1616
	s_waitcnt vmcnt(1) lgkmcnt(1)
	v_mul_f64 v[10:11], v[2:3], v[20:21]
	v_mul_f64 v[12:13], v[4:5], v[20:21]
	s_delay_alu instid0(VALU_DEP_2) | instskip(NEXT) | instid1(VALU_DEP_2)
	v_fma_f64 v[20:21], v[4:5], v[18:19], v[10:11]
	v_fma_f64 v[18:19], v[2:3], v[18:19], -v[12:13]
	s_clause 0x1
	scratch_load_b128 v[2:5], off, off offset:592
	scratch_load_b128 v[10:13], off, off offset:608
	s_waitcnt vmcnt(1) lgkmcnt(0)
	v_mul_f64 v[36:37], v[6:7], v[4:5]
	v_mul_f64 v[4:5], v[8:9], v[4:5]
	s_delay_alu instid0(VALU_DEP_2) | instskip(NEXT) | instid1(VALU_DEP_2)
	v_fma_f64 v[36:37], v[8:9], v[2:3], v[36:37]
	v_fma_f64 v[40:41], v[6:7], v[2:3], -v[4:5]
	ds_load_b128 v[2:5], v1 offset:1632
	ds_load_b128 v[6:9], v1 offset:1648
	s_waitcnt vmcnt(0) lgkmcnt(1)
	v_mul_f64 v[42:43], v[2:3], v[12:13]
	s_delay_alu instid0(VALU_DEP_1) | instskip(SKIP_1) | instid1(VALU_DEP_1)
	v_fma_f64 v[42:43], v[4:5], v[10:11], v[42:43]
	v_mul_f64 v[4:5], v[4:5], v[12:13]
	v_fma_f64 v[44:45], v[2:3], v[10:11], -v[4:5]
	s_clause 0x1
	scratch_load_b128 v[2:5], off, off offset:624
	scratch_load_b128 v[10:13], off, off offset:640
	s_waitcnt vmcnt(1) lgkmcnt(0)
	v_mul_f64 v[46:47], v[6:7], v[4:5]
	v_mul_f64 v[4:5], v[8:9], v[4:5]
	s_delay_alu instid0(VALU_DEP_2) | instskip(NEXT) | instid1(VALU_DEP_2)
	v_fma_f64 v[46:47], v[8:9], v[2:3], v[46:47]
	v_fma_f64 v[48:49], v[6:7], v[2:3], -v[4:5]
	ds_load_b128 v[2:5], v1 offset:1664
	ds_load_b128 v[6:9], v1 offset:1680
	s_waitcnt vmcnt(0) lgkmcnt(1)
	v_mul_f64 v[54:55], v[2:3], v[12:13]
	s_delay_alu instid0(VALU_DEP_1) | instskip(SKIP_1) | instid1(VALU_DEP_1)
	v_fma_f64 v[54:55], v[4:5], v[10:11], v[54:55]
	v_mul_f64 v[4:5], v[4:5], v[12:13]
	;; [unrolled: 17-line block ×12, first 2 shown]
	v_fma_f64 v[230:231], v[2:3], v[10:11], -v[4:5]
	v_add_f64 v[2:3], v[22:23], 0
	v_add_f64 v[4:5], v[24:25], 0
	s_delay_alu instid0(VALU_DEP_2) | instskip(NEXT) | instid1(VALU_DEP_2)
	v_add_f64 v[2:3], v[2:3], v[26:27]
	v_add_f64 v[4:5], v[4:5], v[28:29]
	s_delay_alu instid0(VALU_DEP_2) | instskip(NEXT) | instid1(VALU_DEP_2)
	;; [unrolled: 3-line block ×22, first 2 shown]
	v_add_f64 v[2:3], v[2:3], v[218:219]
	v_add_f64 v[10:11], v[4:5], v[215:216]
	s_delay_alu instid0(VALU_DEP_2)
	v_add_f64 v[12:13], v[2:3], v[222:223]
	scratch_load_b128 v[2:5], off, off offset:976
	v_add_f64 v[14:15], v[10:11], v[220:221]
	v_add_f64 v[16:17], v[12:13], v[243:244]
	scratch_load_b128 v[10:13], off, off offset:992
	v_add_f64 v[18:19], v[14:15], v[224:225]
	;; [unrolled: 3-line block ×3, first 2 shown]
	v_add_f64 v[20:21], v[20:21], v[251:252]
	s_delay_alu instid0(VALU_DEP_2) | instskip(NEXT) | instid1(VALU_DEP_2)
	v_add_f64 v[18:19], v[18:19], v[249:250]
	v_add_f64 v[28:29], v[20:21], v[226:227]
	s_delay_alu instid0(VALU_DEP_2)
	v_add_f64 v[34:35], v[18:19], v[253:254]
	ds_load_b128 v[18:21], v1 offset:2016
	ds_load_b128 v[22:25], v1 offset:2032
	s_waitcnt vmcnt(2) lgkmcnt(2)
	v_mul_f64 v[26:27], v[6:7], v[4:5]
	v_mul_f64 v[4:5], v[8:9], v[4:5]
	s_waitcnt vmcnt(1) lgkmcnt(1)
	v_mul_f64 v[36:37], v[18:19], v[12:13]
	s_delay_alu instid0(VALU_DEP_3) | instskip(NEXT) | instid1(VALU_DEP_3)
	v_fma_f64 v[8:9], v[8:9], v[2:3], v[26:27]
	v_fma_f64 v[1:2], v[6:7], v[2:3], -v[4:5]
	v_mul_f64 v[3:4], v[20:21], v[12:13]
	v_add_f64 v[5:6], v[28:29], v[230:231]
	v_add_f64 v[12:13], v[34:35], v[228:229]
	s_waitcnt vmcnt(0) lgkmcnt(0)
	v_mul_f64 v[26:27], v[22:23], v[16:17]
	v_mul_f64 v[16:17], v[24:25], v[16:17]
	v_fma_f64 v[20:21], v[20:21], v[10:11], v[36:37]
	v_fma_f64 v[3:4], v[18:19], v[10:11], -v[3:4]
	v_add_f64 v[1:2], v[5:6], v[1:2]
	v_add_f64 v[5:6], v[12:13], v[8:9]
	v_fma_f64 v[7:8], v[24:25], v[14:15], v[26:27]
	v_fma_f64 v[9:10], v[22:23], v[14:15], -v[16:17]
	s_delay_alu instid0(VALU_DEP_4) | instskip(NEXT) | instid1(VALU_DEP_4)
	v_add_f64 v[1:2], v[1:2], v[3:4]
	v_add_f64 v[3:4], v[5:6], v[20:21]
	s_delay_alu instid0(VALU_DEP_2) | instskip(NEXT) | instid1(VALU_DEP_2)
	v_add_f64 v[1:2], v[1:2], v[9:10]
	v_add_f64 v[3:4], v[3:4], v[7:8]
	s_delay_alu instid0(VALU_DEP_2) | instskip(NEXT) | instid1(VALU_DEP_2)
	v_add_f64 v[1:2], v[30:31], -v[1:2]
	v_add_f64 v[3:4], v[32:33], -v[3:4]
	scratch_store_b128 off, v[1:4], off offset:496
	v_cmpx_lt_u32_e32 30, v178
	s_cbranch_execz .LBB63_348
; %bb.347:
	scratch_load_b32 v1, off, off offset:1152 ; 4-byte Folded Reload
	v_mov_b32_e32 v5, 0
	s_delay_alu instid0(VALU_DEP_1)
	v_mov_b32_e32 v6, v5
	v_mov_b32_e32 v7, v5
	;; [unrolled: 1-line block ×3, first 2 shown]
	s_waitcnt vmcnt(0)
	scratch_load_b128 v[1:4], v1, off
	scratch_store_b128 off, v[5:8], off offset:480
	s_waitcnt vmcnt(0)
	ds_store_b128 v242, v[1:4]
.LBB63_348:
	s_or_b32 exec_lo, exec_lo, s2
	s_waitcnt lgkmcnt(0)
	s_waitcnt_vscnt null, 0x0
	s_barrier
	buffer_gl0_inv
	s_clause 0x4
	scratch_load_b128 v[2:5], off, off offset:496
	scratch_load_b128 v[6:9], off, off offset:512
	;; [unrolled: 1-line block ×5, first 2 shown]
	v_mov_b32_e32 v1, 0
	scratch_load_b128 v[26:29], off, off offset:480
	s_mov_b32 s2, exec_lo
	ds_load_b128 v[22:25], v1 offset:1520
	ds_load_b128 v[30:33], v1 offset:1536
	s_waitcnt vmcnt(5) lgkmcnt(1)
	v_mul_f64 v[34:35], v[24:25], v[4:5]
	v_mul_f64 v[4:5], v[22:23], v[4:5]
	s_waitcnt vmcnt(4) lgkmcnt(0)
	v_mul_f64 v[36:37], v[30:31], v[8:9]
	v_mul_f64 v[8:9], v[32:33], v[8:9]
	s_delay_alu instid0(VALU_DEP_4) | instskip(NEXT) | instid1(VALU_DEP_4)
	v_fma_f64 v[22:23], v[22:23], v[2:3], -v[34:35]
	v_fma_f64 v[24:25], v[24:25], v[2:3], v[4:5]
	ds_load_b128 v[2:5], v1 offset:1552
	v_fma_f64 v[32:33], v[32:33], v[6:7], v[36:37]
	v_fma_f64 v[30:31], v[30:31], v[6:7], -v[8:9]
	ds_load_b128 v[6:9], v1 offset:1568
	s_waitcnt vmcnt(3) lgkmcnt(1)
	v_mul_f64 v[34:35], v[2:3], v[12:13]
	v_mul_f64 v[12:13], v[4:5], v[12:13]
	s_waitcnt vmcnt(2) lgkmcnt(0)
	v_mul_f64 v[36:37], v[6:7], v[16:17]
	s_delay_alu instid0(VALU_DEP_3) | instskip(NEXT) | instid1(VALU_DEP_3)
	v_fma_f64 v[34:35], v[4:5], v[10:11], v[34:35]
	v_fma_f64 v[38:39], v[2:3], v[10:11], -v[12:13]
	v_mul_f64 v[10:11], v[8:9], v[16:17]
	ds_load_b128 v[2:5], v1 offset:1584
	v_fma_f64 v[16:17], v[8:9], v[14:15], v[36:37]
	v_fma_f64 v[14:15], v[6:7], v[14:15], -v[10:11]
	ds_load_b128 v[6:9], v1 offset:1600
	s_waitcnt vmcnt(1) lgkmcnt(1)
	v_mul_f64 v[10:11], v[2:3], v[20:21]
	v_mul_f64 v[12:13], v[4:5], v[20:21]
	s_delay_alu instid0(VALU_DEP_2) | instskip(NEXT) | instid1(VALU_DEP_2)
	v_fma_f64 v[20:21], v[4:5], v[18:19], v[10:11]
	v_fma_f64 v[18:19], v[2:3], v[18:19], -v[12:13]
	s_clause 0x1
	scratch_load_b128 v[2:5], off, off offset:576
	scratch_load_b128 v[10:13], off, off offset:592
	s_waitcnt vmcnt(1) lgkmcnt(0)
	v_mul_f64 v[36:37], v[6:7], v[4:5]
	v_mul_f64 v[4:5], v[8:9], v[4:5]
	s_delay_alu instid0(VALU_DEP_2) | instskip(NEXT) | instid1(VALU_DEP_2)
	v_fma_f64 v[36:37], v[8:9], v[2:3], v[36:37]
	v_fma_f64 v[40:41], v[6:7], v[2:3], -v[4:5]
	ds_load_b128 v[2:5], v1 offset:1616
	ds_load_b128 v[6:9], v1 offset:1632
	s_waitcnt vmcnt(0) lgkmcnt(1)
	v_mul_f64 v[42:43], v[2:3], v[12:13]
	s_delay_alu instid0(VALU_DEP_1) | instskip(SKIP_1) | instid1(VALU_DEP_1)
	v_fma_f64 v[42:43], v[4:5], v[10:11], v[42:43]
	v_mul_f64 v[4:5], v[4:5], v[12:13]
	v_fma_f64 v[44:45], v[2:3], v[10:11], -v[4:5]
	s_clause 0x1
	scratch_load_b128 v[2:5], off, off offset:608
	scratch_load_b128 v[10:13], off, off offset:624
	s_waitcnt vmcnt(1) lgkmcnt(0)
	v_mul_f64 v[46:47], v[6:7], v[4:5]
	v_mul_f64 v[4:5], v[8:9], v[4:5]
	s_delay_alu instid0(VALU_DEP_2) | instskip(NEXT) | instid1(VALU_DEP_2)
	v_fma_f64 v[46:47], v[8:9], v[2:3], v[46:47]
	v_fma_f64 v[48:49], v[6:7], v[2:3], -v[4:5]
	ds_load_b128 v[2:5], v1 offset:1648
	ds_load_b128 v[6:9], v1 offset:1664
	s_waitcnt vmcnt(0) lgkmcnt(1)
	v_mul_f64 v[54:55], v[2:3], v[12:13]
	s_delay_alu instid0(VALU_DEP_1) | instskip(SKIP_1) | instid1(VALU_DEP_1)
	v_fma_f64 v[54:55], v[4:5], v[10:11], v[54:55]
	v_mul_f64 v[4:5], v[4:5], v[12:13]
	;; [unrolled: 17-line block ×12, first 2 shown]
	v_fma_f64 v[253:254], v[2:3], v[10:11], -v[4:5]
	v_add_f64 v[2:3], v[22:23], 0
	v_add_f64 v[4:5], v[24:25], 0
	s_delay_alu instid0(VALU_DEP_2) | instskip(NEXT) | instid1(VALU_DEP_2)
	v_add_f64 v[2:3], v[2:3], v[30:31]
	v_add_f64 v[4:5], v[4:5], v[32:33]
	s_delay_alu instid0(VALU_DEP_2) | instskip(NEXT) | instid1(VALU_DEP_2)
	;; [unrolled: 3-line block ×22, first 2 shown]
	v_add_f64 v[2:3], v[2:3], v[218:219]
	v_add_f64 v[10:11], v[4:5], v[215:216]
	s_delay_alu instid0(VALU_DEP_2)
	v_add_f64 v[12:13], v[2:3], v[222:223]
	scratch_load_b128 v[2:5], off, off offset:960
	v_add_f64 v[14:15], v[10:11], v[220:221]
	v_add_f64 v[16:17], v[12:13], v[226:227]
	scratch_load_b128 v[10:13], off, off offset:976
	v_add_f64 v[18:19], v[14:15], v[224:225]
	;; [unrolled: 3-line block ×4, first 2 shown]
	v_add_f64 v[24:25], v[24:25], v[249:250]
	s_delay_alu instid0(VALU_DEP_2) | instskip(NEXT) | instid1(VALU_DEP_2)
	v_add_f64 v[22:23], v[22:23], v[247:248]
	v_add_f64 v[24:25], v[24:25], v[253:254]
	s_delay_alu instid0(VALU_DEP_2) | instskip(SKIP_3) | instid1(VALU_DEP_2)
	v_add_f64 v[22:23], v[22:23], v[251:252]
	s_waitcnt vmcnt(3) lgkmcnt(0)
	v_mul_f64 v[30:31], v[6:7], v[4:5]
	v_mul_f64 v[4:5], v[8:9], v[4:5]
	v_fma_f64 v[30:31], v[8:9], v[2:3], v[30:31]
	s_delay_alu instid0(VALU_DEP_2)
	v_fma_f64 v[32:33], v[6:7], v[2:3], -v[4:5]
	ds_load_b128 v[2:5], v1 offset:2000
	ds_load_b128 v[6:9], v1 offset:2016
	s_waitcnt vmcnt(2) lgkmcnt(1)
	v_mul_f64 v[34:35], v[2:3], v[12:13]
	v_mul_f64 v[12:13], v[4:5], v[12:13]
	s_waitcnt vmcnt(1) lgkmcnt(0)
	v_mul_f64 v[36:37], v[6:7], v[16:17]
	v_add_f64 v[22:23], v[22:23], v[30:31]
	s_delay_alu instid0(VALU_DEP_4) | instskip(NEXT) | instid1(VALU_DEP_4)
	v_fma_f64 v[34:35], v[4:5], v[10:11], v[34:35]
	v_fma_f64 v[10:11], v[2:3], v[10:11], -v[12:13]
	v_mul_f64 v[12:13], v[8:9], v[16:17]
	v_add_f64 v[16:17], v[24:25], v[32:33]
	ds_load_b128 v[2:5], v1 offset:2032
	v_fma_f64 v[8:9], v[8:9], v[14:15], v[36:37]
	s_waitcnt vmcnt(0) lgkmcnt(0)
	v_mul_f64 v[24:25], v[2:3], v[20:21]
	v_mul_f64 v[20:21], v[4:5], v[20:21]
	v_fma_f64 v[6:7], v[6:7], v[14:15], -v[12:13]
	v_add_f64 v[10:11], v[16:17], v[10:11]
	v_add_f64 v[12:13], v[22:23], v[34:35]
	v_fma_f64 v[4:5], v[4:5], v[18:19], v[24:25]
	v_fma_f64 v[2:3], v[2:3], v[18:19], -v[20:21]
	s_delay_alu instid0(VALU_DEP_4) | instskip(NEXT) | instid1(VALU_DEP_4)
	v_add_f64 v[6:7], v[10:11], v[6:7]
	v_add_f64 v[8:9], v[12:13], v[8:9]
	s_delay_alu instid0(VALU_DEP_2) | instskip(NEXT) | instid1(VALU_DEP_2)
	v_add_f64 v[2:3], v[6:7], v[2:3]
	v_add_f64 v[4:5], v[8:9], v[4:5]
	s_delay_alu instid0(VALU_DEP_2) | instskip(NEXT) | instid1(VALU_DEP_2)
	v_add_f64 v[2:3], v[26:27], -v[2:3]
	v_add_f64 v[4:5], v[28:29], -v[4:5]
	scratch_store_b128 off, v[2:5], off offset:480
	v_cmpx_lt_u32_e32 29, v178
	s_cbranch_execz .LBB63_350
; %bb.349:
	scratch_load_b32 v2, off, off offset:1164 ; 4-byte Folded Reload
	v_mov_b32_e32 v3, v1
	v_mov_b32_e32 v4, v1
	s_waitcnt vmcnt(0)
	scratch_load_b128 v[5:8], v2, off
	v_mov_b32_e32 v2, v1
	scratch_store_b128 off, v[1:4], off offset:464
	s_waitcnt vmcnt(0)
	ds_store_b128 v242, v[5:8]
.LBB63_350:
	s_or_b32 exec_lo, exec_lo, s2
	s_waitcnt lgkmcnt(0)
	s_waitcnt_vscnt null, 0x0
	s_barrier
	buffer_gl0_inv
	s_clause 0x4
	scratch_load_b128 v[2:5], off, off offset:480
	scratch_load_b128 v[6:9], off, off offset:496
	;; [unrolled: 1-line block ×5, first 2 shown]
	ds_load_b128 v[22:25], v1 offset:1504
	ds_load_b128 v[26:29], v1 offset:1520
	scratch_load_b128 v[30:33], off, off offset:464
	s_mov_b32 s2, exec_lo
	s_waitcnt vmcnt(5) lgkmcnt(1)
	v_mul_f64 v[34:35], v[24:25], v[4:5]
	v_mul_f64 v[4:5], v[22:23], v[4:5]
	s_waitcnt vmcnt(4) lgkmcnt(0)
	v_mul_f64 v[36:37], v[26:27], v[8:9]
	v_mul_f64 v[8:9], v[28:29], v[8:9]
	s_delay_alu instid0(VALU_DEP_4) | instskip(NEXT) | instid1(VALU_DEP_4)
	v_fma_f64 v[22:23], v[22:23], v[2:3], -v[34:35]
	v_fma_f64 v[24:25], v[24:25], v[2:3], v[4:5]
	ds_load_b128 v[2:5], v1 offset:1536
	v_fma_f64 v[28:29], v[28:29], v[6:7], v[36:37]
	v_fma_f64 v[26:27], v[26:27], v[6:7], -v[8:9]
	ds_load_b128 v[6:9], v1 offset:1552
	s_waitcnt vmcnt(3) lgkmcnt(1)
	v_mul_f64 v[34:35], v[2:3], v[12:13]
	v_mul_f64 v[12:13], v[4:5], v[12:13]
	s_waitcnt vmcnt(2) lgkmcnt(0)
	v_mul_f64 v[36:37], v[6:7], v[16:17]
	s_delay_alu instid0(VALU_DEP_3) | instskip(NEXT) | instid1(VALU_DEP_3)
	v_fma_f64 v[34:35], v[4:5], v[10:11], v[34:35]
	v_fma_f64 v[38:39], v[2:3], v[10:11], -v[12:13]
	v_mul_f64 v[10:11], v[8:9], v[16:17]
	ds_load_b128 v[2:5], v1 offset:1568
	v_fma_f64 v[16:17], v[8:9], v[14:15], v[36:37]
	v_fma_f64 v[14:15], v[6:7], v[14:15], -v[10:11]
	ds_load_b128 v[6:9], v1 offset:1584
	s_waitcnt vmcnt(1) lgkmcnt(1)
	v_mul_f64 v[10:11], v[2:3], v[20:21]
	v_mul_f64 v[12:13], v[4:5], v[20:21]
	s_delay_alu instid0(VALU_DEP_2) | instskip(NEXT) | instid1(VALU_DEP_2)
	v_fma_f64 v[20:21], v[4:5], v[18:19], v[10:11]
	v_fma_f64 v[18:19], v[2:3], v[18:19], -v[12:13]
	s_clause 0x1
	scratch_load_b128 v[2:5], off, off offset:560
	scratch_load_b128 v[10:13], off, off offset:576
	s_waitcnt vmcnt(1) lgkmcnt(0)
	v_mul_f64 v[36:37], v[6:7], v[4:5]
	v_mul_f64 v[4:5], v[8:9], v[4:5]
	s_delay_alu instid0(VALU_DEP_2) | instskip(NEXT) | instid1(VALU_DEP_2)
	v_fma_f64 v[36:37], v[8:9], v[2:3], v[36:37]
	v_fma_f64 v[40:41], v[6:7], v[2:3], -v[4:5]
	ds_load_b128 v[2:5], v1 offset:1600
	ds_load_b128 v[6:9], v1 offset:1616
	s_waitcnt vmcnt(0) lgkmcnt(1)
	v_mul_f64 v[42:43], v[2:3], v[12:13]
	s_delay_alu instid0(VALU_DEP_1) | instskip(SKIP_1) | instid1(VALU_DEP_1)
	v_fma_f64 v[42:43], v[4:5], v[10:11], v[42:43]
	v_mul_f64 v[4:5], v[4:5], v[12:13]
	v_fma_f64 v[44:45], v[2:3], v[10:11], -v[4:5]
	s_clause 0x1
	scratch_load_b128 v[2:5], off, off offset:592
	scratch_load_b128 v[10:13], off, off offset:608
	s_waitcnt vmcnt(1) lgkmcnt(0)
	v_mul_f64 v[46:47], v[6:7], v[4:5]
	v_mul_f64 v[4:5], v[8:9], v[4:5]
	s_delay_alu instid0(VALU_DEP_2) | instskip(NEXT) | instid1(VALU_DEP_2)
	v_fma_f64 v[46:47], v[8:9], v[2:3], v[46:47]
	v_fma_f64 v[48:49], v[6:7], v[2:3], -v[4:5]
	ds_load_b128 v[2:5], v1 offset:1632
	ds_load_b128 v[6:9], v1 offset:1648
	s_waitcnt vmcnt(0) lgkmcnt(1)
	v_mul_f64 v[54:55], v[2:3], v[12:13]
	s_delay_alu instid0(VALU_DEP_1) | instskip(SKIP_1) | instid1(VALU_DEP_1)
	v_fma_f64 v[54:55], v[4:5], v[10:11], v[54:55]
	v_mul_f64 v[4:5], v[4:5], v[12:13]
	v_fma_f64 v[56:57], v[2:3], v[10:11], -v[4:5]
	s_clause 0x1
	scratch_load_b128 v[2:5], off, off offset:624
	scratch_load_b128 v[10:13], off, off offset:640
	s_waitcnt vmcnt(1) lgkmcnt(0)
	v_mul_f64 v[58:59], v[6:7], v[4:5]
	v_mul_f64 v[4:5], v[8:9], v[4:5]
	s_delay_alu instid0(VALU_DEP_2) | instskip(NEXT) | instid1(VALU_DEP_2)
	v_fma_f64 v[58:59], v[8:9], v[2:3], v[58:59]
	v_fma_f64 v[60:61], v[6:7], v[2:3], -v[4:5]
	ds_load_b128 v[2:5], v1 offset:1664
	ds_load_b128 v[6:9], v1 offset:1680
	s_waitcnt vmcnt(0) lgkmcnt(1)
	v_mul_f64 v[62:63], v[2:3], v[12:13]
	s_delay_alu instid0(VALU_DEP_1) | instskip(SKIP_1) | instid1(VALU_DEP_1)
	v_fma_f64 v[62:63], v[4:5], v[10:11], v[62:63]
	v_mul_f64 v[4:5], v[4:5], v[12:13]
	v_fma_f64 v[88:89], v[2:3], v[10:11], -v[4:5]
	s_clause 0x1
	scratch_load_b128 v[2:5], off, off offset:656
	scratch_load_b128 v[10:13], off, off offset:672
	s_waitcnt vmcnt(1) lgkmcnt(0)
	v_mul_f64 v[92:93], v[6:7], v[4:5]
	v_mul_f64 v[4:5], v[8:9], v[4:5]
	s_delay_alu instid0(VALU_DEP_2) | instskip(NEXT) | instid1(VALU_DEP_2)
	v_fma_f64 v[92:93], v[8:9], v[2:3], v[92:93]
	v_fma_f64 v[96:97], v[6:7], v[2:3], -v[4:5]
	ds_load_b128 v[2:5], v1 offset:1696
	ds_load_b128 v[6:9], v1 offset:1712
	s_waitcnt vmcnt(0) lgkmcnt(1)
	v_mul_f64 v[98:99], v[2:3], v[12:13]
	s_delay_alu instid0(VALU_DEP_1) | instskip(SKIP_1) | instid1(VALU_DEP_1)
	v_fma_f64 v[98:99], v[4:5], v[10:11], v[98:99]
	v_mul_f64 v[4:5], v[4:5], v[12:13]
	v_fma_f64 v[100:101], v[2:3], v[10:11], -v[4:5]
	s_clause 0x1
	scratch_load_b128 v[2:5], off, off offset:688
	scratch_load_b128 v[10:13], off, off offset:704
	s_waitcnt vmcnt(1) lgkmcnt(0)
	v_mul_f64 v[179:180], v[6:7], v[4:5]
	v_mul_f64 v[4:5], v[8:9], v[4:5]
	s_delay_alu instid0(VALU_DEP_2) | instskip(NEXT) | instid1(VALU_DEP_2)
	v_fma_f64 v[179:180], v[8:9], v[2:3], v[179:180]
	v_fma_f64 v[181:182], v[6:7], v[2:3], -v[4:5]
	ds_load_b128 v[2:5], v1 offset:1728
	ds_load_b128 v[6:9], v1 offset:1744
	s_waitcnt vmcnt(0) lgkmcnt(1)
	v_mul_f64 v[183:184], v[2:3], v[12:13]
	s_delay_alu instid0(VALU_DEP_1) | instskip(SKIP_1) | instid1(VALU_DEP_1)
	v_fma_f64 v[183:184], v[4:5], v[10:11], v[183:184]
	v_mul_f64 v[4:5], v[4:5], v[12:13]
	v_fma_f64 v[185:186], v[2:3], v[10:11], -v[4:5]
	s_clause 0x1
	scratch_load_b128 v[2:5], off, off offset:720
	scratch_load_b128 v[10:13], off, off offset:736
	s_waitcnt vmcnt(1) lgkmcnt(0)
	v_mul_f64 v[187:188], v[6:7], v[4:5]
	v_mul_f64 v[4:5], v[8:9], v[4:5]
	s_delay_alu instid0(VALU_DEP_2) | instskip(NEXT) | instid1(VALU_DEP_2)
	v_fma_f64 v[187:188], v[8:9], v[2:3], v[187:188]
	v_fma_f64 v[189:190], v[6:7], v[2:3], -v[4:5]
	ds_load_b128 v[2:5], v1 offset:1760
	ds_load_b128 v[6:9], v1 offset:1776
	s_waitcnt vmcnt(0) lgkmcnt(1)
	v_mul_f64 v[191:192], v[2:3], v[12:13]
	s_delay_alu instid0(VALU_DEP_1) | instskip(SKIP_1) | instid1(VALU_DEP_1)
	v_fma_f64 v[191:192], v[4:5], v[10:11], v[191:192]
	v_mul_f64 v[4:5], v[4:5], v[12:13]
	v_fma_f64 v[193:194], v[2:3], v[10:11], -v[4:5]
	s_clause 0x1
	scratch_load_b128 v[2:5], off, off offset:752
	scratch_load_b128 v[10:13], off, off offset:768
	s_waitcnt vmcnt(1) lgkmcnt(0)
	v_mul_f64 v[195:196], v[6:7], v[4:5]
	v_mul_f64 v[4:5], v[8:9], v[4:5]
	s_delay_alu instid0(VALU_DEP_2) | instskip(NEXT) | instid1(VALU_DEP_2)
	v_fma_f64 v[195:196], v[8:9], v[2:3], v[195:196]
	v_fma_f64 v[197:198], v[6:7], v[2:3], -v[4:5]
	ds_load_b128 v[2:5], v1 offset:1792
	ds_load_b128 v[6:9], v1 offset:1808
	s_waitcnt vmcnt(0) lgkmcnt(1)
	v_mul_f64 v[199:200], v[2:3], v[12:13]
	s_delay_alu instid0(VALU_DEP_1) | instskip(SKIP_1) | instid1(VALU_DEP_1)
	v_fma_f64 v[199:200], v[4:5], v[10:11], v[199:200]
	v_mul_f64 v[4:5], v[4:5], v[12:13]
	v_fma_f64 v[201:202], v[2:3], v[10:11], -v[4:5]
	s_clause 0x1
	scratch_load_b128 v[2:5], off, off offset:784
	scratch_load_b128 v[10:13], off, off offset:800
	s_waitcnt vmcnt(1) lgkmcnt(0)
	v_mul_f64 v[203:204], v[6:7], v[4:5]
	v_mul_f64 v[4:5], v[8:9], v[4:5]
	s_delay_alu instid0(VALU_DEP_2) | instskip(NEXT) | instid1(VALU_DEP_2)
	v_fma_f64 v[203:204], v[8:9], v[2:3], v[203:204]
	v_fma_f64 v[205:206], v[6:7], v[2:3], -v[4:5]
	ds_load_b128 v[2:5], v1 offset:1824
	ds_load_b128 v[6:9], v1 offset:1840
	s_waitcnt vmcnt(0) lgkmcnt(1)
	v_mul_f64 v[207:208], v[2:3], v[12:13]
	s_delay_alu instid0(VALU_DEP_1) | instskip(SKIP_1) | instid1(VALU_DEP_1)
	v_fma_f64 v[207:208], v[4:5], v[10:11], v[207:208]
	v_mul_f64 v[4:5], v[4:5], v[12:13]
	v_fma_f64 v[209:210], v[2:3], v[10:11], -v[4:5]
	s_clause 0x1
	scratch_load_b128 v[2:5], off, off offset:816
	scratch_load_b128 v[10:13], off, off offset:832
	s_waitcnt vmcnt(1) lgkmcnt(0)
	v_mul_f64 v[211:212], v[6:7], v[4:5]
	v_mul_f64 v[4:5], v[8:9], v[4:5]
	s_delay_alu instid0(VALU_DEP_2) | instskip(NEXT) | instid1(VALU_DEP_2)
	v_fma_f64 v[211:212], v[8:9], v[2:3], v[211:212]
	v_fma_f64 v[213:214], v[6:7], v[2:3], -v[4:5]
	ds_load_b128 v[2:5], v1 offset:1856
	ds_load_b128 v[6:9], v1 offset:1872
	s_waitcnt vmcnt(0) lgkmcnt(1)
	v_mul_f64 v[215:216], v[2:3], v[12:13]
	s_delay_alu instid0(VALU_DEP_1) | instskip(SKIP_1) | instid1(VALU_DEP_1)
	v_fma_f64 v[215:216], v[4:5], v[10:11], v[215:216]
	v_mul_f64 v[4:5], v[4:5], v[12:13]
	v_fma_f64 v[218:219], v[2:3], v[10:11], -v[4:5]
	s_clause 0x1
	scratch_load_b128 v[2:5], off, off offset:848
	scratch_load_b128 v[10:13], off, off offset:864
	s_waitcnt vmcnt(1) lgkmcnt(0)
	v_mul_f64 v[220:221], v[6:7], v[4:5]
	v_mul_f64 v[4:5], v[8:9], v[4:5]
	s_delay_alu instid0(VALU_DEP_2) | instskip(NEXT) | instid1(VALU_DEP_2)
	v_fma_f64 v[220:221], v[8:9], v[2:3], v[220:221]
	v_fma_f64 v[222:223], v[6:7], v[2:3], -v[4:5]
	ds_load_b128 v[2:5], v1 offset:1888
	ds_load_b128 v[6:9], v1 offset:1904
	s_waitcnt vmcnt(0) lgkmcnt(1)
	v_mul_f64 v[224:225], v[2:3], v[12:13]
	s_delay_alu instid0(VALU_DEP_1) | instskip(SKIP_1) | instid1(VALU_DEP_1)
	v_fma_f64 v[224:225], v[4:5], v[10:11], v[224:225]
	v_mul_f64 v[4:5], v[4:5], v[12:13]
	v_fma_f64 v[226:227], v[2:3], v[10:11], -v[4:5]
	s_clause 0x1
	scratch_load_b128 v[2:5], off, off offset:880
	scratch_load_b128 v[10:13], off, off offset:896
	s_waitcnt vmcnt(1) lgkmcnt(0)
	v_mul_f64 v[228:229], v[6:7], v[4:5]
	v_mul_f64 v[4:5], v[8:9], v[4:5]
	s_delay_alu instid0(VALU_DEP_2) | instskip(NEXT) | instid1(VALU_DEP_2)
	v_fma_f64 v[228:229], v[8:9], v[2:3], v[228:229]
	v_fma_f64 v[230:231], v[6:7], v[2:3], -v[4:5]
	ds_load_b128 v[2:5], v1 offset:1920
	ds_load_b128 v[6:9], v1 offset:1936
	s_waitcnt vmcnt(0) lgkmcnt(1)
	v_mul_f64 v[243:244], v[2:3], v[12:13]
	s_delay_alu instid0(VALU_DEP_1) | instskip(SKIP_1) | instid1(VALU_DEP_1)
	v_fma_f64 v[243:244], v[4:5], v[10:11], v[243:244]
	v_mul_f64 v[4:5], v[4:5], v[12:13]
	v_fma_f64 v[245:246], v[2:3], v[10:11], -v[4:5]
	s_clause 0x1
	scratch_load_b128 v[2:5], off, off offset:912
	scratch_load_b128 v[10:13], off, off offset:928
	s_waitcnt vmcnt(1) lgkmcnt(0)
	v_mul_f64 v[247:248], v[6:7], v[4:5]
	v_mul_f64 v[4:5], v[8:9], v[4:5]
	s_delay_alu instid0(VALU_DEP_2) | instskip(NEXT) | instid1(VALU_DEP_2)
	v_fma_f64 v[247:248], v[8:9], v[2:3], v[247:248]
	v_fma_f64 v[249:250], v[6:7], v[2:3], -v[4:5]
	ds_load_b128 v[2:5], v1 offset:1952
	ds_load_b128 v[6:9], v1 offset:1968
	s_waitcnt vmcnt(0) lgkmcnt(1)
	v_mul_f64 v[251:252], v[2:3], v[12:13]
	s_delay_alu instid0(VALU_DEP_1) | instskip(SKIP_1) | instid1(VALU_DEP_1)
	v_fma_f64 v[251:252], v[4:5], v[10:11], v[251:252]
	v_mul_f64 v[4:5], v[4:5], v[12:13]
	v_fma_f64 v[253:254], v[2:3], v[10:11], -v[4:5]
	s_clause 0x1
	scratch_load_b128 v[2:5], off, off offset:944
	scratch_load_b128 v[10:13], off, off offset:960
	s_waitcnt vmcnt(1) lgkmcnt(0)
	v_mul_f64 v[232:233], v[6:7], v[4:5]
	v_mul_f64 v[4:5], v[8:9], v[4:5]
	s_delay_alu instid0(VALU_DEP_2) | instskip(NEXT) | instid1(VALU_DEP_2)
	v_fma_f64 v[232:233], v[8:9], v[2:3], v[232:233]
	v_fma_f64 v[234:235], v[6:7], v[2:3], -v[4:5]
	ds_load_b128 v[2:5], v1 offset:1984
	ds_load_b128 v[6:9], v1 offset:2000
	s_waitcnt vmcnt(0) lgkmcnt(1)
	v_mul_f64 v[236:237], v[2:3], v[12:13]
	s_delay_alu instid0(VALU_DEP_1) | instskip(SKIP_1) | instid1(VALU_DEP_1)
	v_fma_f64 v[236:237], v[4:5], v[10:11], v[236:237]
	v_mul_f64 v[4:5], v[4:5], v[12:13]
	v_fma_f64 v[238:239], v[2:3], v[10:11], -v[4:5]
	v_add_f64 v[2:3], v[22:23], 0
	v_add_f64 v[4:5], v[24:25], 0
	s_delay_alu instid0(VALU_DEP_2) | instskip(NEXT) | instid1(VALU_DEP_2)
	v_add_f64 v[2:3], v[2:3], v[26:27]
	v_add_f64 v[4:5], v[4:5], v[28:29]
	s_delay_alu instid0(VALU_DEP_2) | instskip(NEXT) | instid1(VALU_DEP_2)
	;; [unrolled: 3-line block ×24, first 2 shown]
	v_add_f64 v[2:3], v[2:3], v[226:227]
	v_add_f64 v[10:11], v[4:5], v[224:225]
	s_delay_alu instid0(VALU_DEP_2)
	v_add_f64 v[12:13], v[2:3], v[230:231]
	scratch_load_b128 v[2:5], off, off offset:976
	v_add_f64 v[14:15], v[10:11], v[228:229]
	v_add_f64 v[16:17], v[12:13], v[245:246]
	scratch_load_b128 v[10:13], off, off offset:992
	v_add_f64 v[18:19], v[14:15], v[243:244]
	v_add_f64 v[20:21], v[16:17], v[249:250]
	scratch_load_b128 v[14:17], off, off offset:1008
	v_add_f64 v[18:19], v[18:19], v[247:248]
	v_add_f64 v[20:21], v[20:21], v[253:254]
	s_delay_alu instid0(VALU_DEP_2) | instskip(NEXT) | instid1(VALU_DEP_2)
	v_add_f64 v[18:19], v[18:19], v[251:252]
	v_add_f64 v[28:29], v[20:21], v[234:235]
	s_delay_alu instid0(VALU_DEP_2)
	v_add_f64 v[34:35], v[18:19], v[232:233]
	ds_load_b128 v[18:21], v1 offset:2016
	ds_load_b128 v[22:25], v1 offset:2032
	s_waitcnt vmcnt(2) lgkmcnt(2)
	v_mul_f64 v[26:27], v[6:7], v[4:5]
	v_mul_f64 v[4:5], v[8:9], v[4:5]
	s_waitcnt vmcnt(1) lgkmcnt(1)
	v_mul_f64 v[36:37], v[18:19], v[12:13]
	s_delay_alu instid0(VALU_DEP_3) | instskip(NEXT) | instid1(VALU_DEP_3)
	v_fma_f64 v[8:9], v[8:9], v[2:3], v[26:27]
	v_fma_f64 v[1:2], v[6:7], v[2:3], -v[4:5]
	v_mul_f64 v[3:4], v[20:21], v[12:13]
	v_add_f64 v[5:6], v[28:29], v[238:239]
	v_add_f64 v[12:13], v[34:35], v[236:237]
	s_waitcnt vmcnt(0) lgkmcnt(0)
	v_mul_f64 v[26:27], v[22:23], v[16:17]
	v_mul_f64 v[16:17], v[24:25], v[16:17]
	v_fma_f64 v[20:21], v[20:21], v[10:11], v[36:37]
	v_fma_f64 v[3:4], v[18:19], v[10:11], -v[3:4]
	v_add_f64 v[1:2], v[5:6], v[1:2]
	v_add_f64 v[5:6], v[12:13], v[8:9]
	v_fma_f64 v[7:8], v[24:25], v[14:15], v[26:27]
	v_fma_f64 v[9:10], v[22:23], v[14:15], -v[16:17]
	s_delay_alu instid0(VALU_DEP_4) | instskip(NEXT) | instid1(VALU_DEP_4)
	v_add_f64 v[1:2], v[1:2], v[3:4]
	v_add_f64 v[3:4], v[5:6], v[20:21]
	s_delay_alu instid0(VALU_DEP_2) | instskip(NEXT) | instid1(VALU_DEP_2)
	v_add_f64 v[1:2], v[1:2], v[9:10]
	v_add_f64 v[3:4], v[3:4], v[7:8]
	s_delay_alu instid0(VALU_DEP_2) | instskip(NEXT) | instid1(VALU_DEP_2)
	v_add_f64 v[1:2], v[30:31], -v[1:2]
	v_add_f64 v[3:4], v[32:33], -v[3:4]
	scratch_store_b128 off, v[1:4], off offset:464
	v_cmpx_lt_u32_e32 28, v178
	s_cbranch_execz .LBB63_352
; %bb.351:
	scratch_load_b32 v1, off, off offset:1172 ; 4-byte Folded Reload
	v_mov_b32_e32 v5, 0
	s_delay_alu instid0(VALU_DEP_1)
	v_mov_b32_e32 v6, v5
	v_mov_b32_e32 v7, v5
	;; [unrolled: 1-line block ×3, first 2 shown]
	s_waitcnt vmcnt(0)
	scratch_load_b128 v[1:4], v1, off
	scratch_store_b128 off, v[5:8], off offset:448
	s_waitcnt vmcnt(0)
	ds_store_b128 v242, v[1:4]
.LBB63_352:
	s_or_b32 exec_lo, exec_lo, s2
	s_waitcnt lgkmcnt(0)
	s_waitcnt_vscnt null, 0x0
	s_barrier
	buffer_gl0_inv
	s_clause 0x4
	scratch_load_b128 v[2:5], off, off offset:464
	scratch_load_b128 v[6:9], off, off offset:480
	scratch_load_b128 v[10:13], off, off offset:496
	scratch_load_b128 v[14:17], off, off offset:512
	scratch_load_b128 v[18:21], off, off offset:528
	v_mov_b32_e32 v1, 0
	scratch_load_b128 v[26:29], off, off offset:448
	s_mov_b32 s2, exec_lo
	ds_load_b128 v[22:25], v1 offset:1488
	ds_load_b128 v[30:33], v1 offset:1504
	s_waitcnt vmcnt(5) lgkmcnt(1)
	v_mul_f64 v[34:35], v[24:25], v[4:5]
	v_mul_f64 v[4:5], v[22:23], v[4:5]
	s_waitcnt vmcnt(4) lgkmcnt(0)
	v_mul_f64 v[36:37], v[30:31], v[8:9]
	v_mul_f64 v[8:9], v[32:33], v[8:9]
	s_delay_alu instid0(VALU_DEP_4) | instskip(NEXT) | instid1(VALU_DEP_4)
	v_fma_f64 v[22:23], v[22:23], v[2:3], -v[34:35]
	v_fma_f64 v[24:25], v[24:25], v[2:3], v[4:5]
	ds_load_b128 v[2:5], v1 offset:1520
	v_fma_f64 v[32:33], v[32:33], v[6:7], v[36:37]
	v_fma_f64 v[30:31], v[30:31], v[6:7], -v[8:9]
	ds_load_b128 v[6:9], v1 offset:1536
	s_waitcnt vmcnt(3) lgkmcnt(1)
	v_mul_f64 v[34:35], v[2:3], v[12:13]
	v_mul_f64 v[12:13], v[4:5], v[12:13]
	s_waitcnt vmcnt(2) lgkmcnt(0)
	v_mul_f64 v[36:37], v[6:7], v[16:17]
	s_delay_alu instid0(VALU_DEP_3) | instskip(NEXT) | instid1(VALU_DEP_3)
	v_fma_f64 v[34:35], v[4:5], v[10:11], v[34:35]
	v_fma_f64 v[38:39], v[2:3], v[10:11], -v[12:13]
	v_mul_f64 v[10:11], v[8:9], v[16:17]
	ds_load_b128 v[2:5], v1 offset:1552
	v_fma_f64 v[16:17], v[8:9], v[14:15], v[36:37]
	v_fma_f64 v[14:15], v[6:7], v[14:15], -v[10:11]
	ds_load_b128 v[6:9], v1 offset:1568
	s_waitcnt vmcnt(1) lgkmcnt(1)
	v_mul_f64 v[10:11], v[2:3], v[20:21]
	v_mul_f64 v[12:13], v[4:5], v[20:21]
	s_delay_alu instid0(VALU_DEP_2) | instskip(NEXT) | instid1(VALU_DEP_2)
	v_fma_f64 v[20:21], v[4:5], v[18:19], v[10:11]
	v_fma_f64 v[18:19], v[2:3], v[18:19], -v[12:13]
	s_clause 0x1
	scratch_load_b128 v[2:5], off, off offset:544
	scratch_load_b128 v[10:13], off, off offset:560
	s_waitcnt vmcnt(1) lgkmcnt(0)
	v_mul_f64 v[36:37], v[6:7], v[4:5]
	v_mul_f64 v[4:5], v[8:9], v[4:5]
	s_delay_alu instid0(VALU_DEP_2) | instskip(NEXT) | instid1(VALU_DEP_2)
	v_fma_f64 v[36:37], v[8:9], v[2:3], v[36:37]
	v_fma_f64 v[40:41], v[6:7], v[2:3], -v[4:5]
	ds_load_b128 v[2:5], v1 offset:1584
	ds_load_b128 v[6:9], v1 offset:1600
	s_waitcnt vmcnt(0) lgkmcnt(1)
	v_mul_f64 v[42:43], v[2:3], v[12:13]
	s_delay_alu instid0(VALU_DEP_1) | instskip(SKIP_1) | instid1(VALU_DEP_1)
	v_fma_f64 v[42:43], v[4:5], v[10:11], v[42:43]
	v_mul_f64 v[4:5], v[4:5], v[12:13]
	v_fma_f64 v[44:45], v[2:3], v[10:11], -v[4:5]
	s_clause 0x1
	scratch_load_b128 v[2:5], off, off offset:576
	scratch_load_b128 v[10:13], off, off offset:592
	s_waitcnt vmcnt(1) lgkmcnt(0)
	v_mul_f64 v[46:47], v[6:7], v[4:5]
	v_mul_f64 v[4:5], v[8:9], v[4:5]
	s_delay_alu instid0(VALU_DEP_2) | instskip(NEXT) | instid1(VALU_DEP_2)
	v_fma_f64 v[46:47], v[8:9], v[2:3], v[46:47]
	v_fma_f64 v[48:49], v[6:7], v[2:3], -v[4:5]
	ds_load_b128 v[2:5], v1 offset:1616
	ds_load_b128 v[6:9], v1 offset:1632
	s_waitcnt vmcnt(0) lgkmcnt(1)
	v_mul_f64 v[54:55], v[2:3], v[12:13]
	s_delay_alu instid0(VALU_DEP_1) | instskip(SKIP_1) | instid1(VALU_DEP_1)
	v_fma_f64 v[54:55], v[4:5], v[10:11], v[54:55]
	v_mul_f64 v[4:5], v[4:5], v[12:13]
	;; [unrolled: 17-line block ×13, first 2 shown]
	v_fma_f64 v[253:254], v[2:3], v[10:11], -v[4:5]
	v_add_f64 v[2:3], v[22:23], 0
	v_add_f64 v[4:5], v[24:25], 0
	s_delay_alu instid0(VALU_DEP_2) | instskip(NEXT) | instid1(VALU_DEP_2)
	v_add_f64 v[2:3], v[2:3], v[30:31]
	v_add_f64 v[4:5], v[4:5], v[32:33]
	s_delay_alu instid0(VALU_DEP_2) | instskip(NEXT) | instid1(VALU_DEP_2)
	;; [unrolled: 3-line block ×24, first 2 shown]
	v_add_f64 v[2:3], v[2:3], v[226:227]
	v_add_f64 v[10:11], v[4:5], v[224:225]
	s_delay_alu instid0(VALU_DEP_2)
	v_add_f64 v[12:13], v[2:3], v[230:231]
	scratch_load_b128 v[2:5], off, off offset:960
	v_add_f64 v[14:15], v[10:11], v[228:229]
	v_add_f64 v[16:17], v[12:13], v[234:235]
	scratch_load_b128 v[10:13], off, off offset:976
	v_add_f64 v[18:19], v[14:15], v[232:233]
	;; [unrolled: 3-line block ×4, first 2 shown]
	v_add_f64 v[24:25], v[24:25], v[249:250]
	s_delay_alu instid0(VALU_DEP_2) | instskip(NEXT) | instid1(VALU_DEP_2)
	v_add_f64 v[22:23], v[22:23], v[247:248]
	v_add_f64 v[24:25], v[24:25], v[253:254]
	s_delay_alu instid0(VALU_DEP_2) | instskip(SKIP_3) | instid1(VALU_DEP_2)
	v_add_f64 v[22:23], v[22:23], v[251:252]
	s_waitcnt vmcnt(3) lgkmcnt(0)
	v_mul_f64 v[30:31], v[6:7], v[4:5]
	v_mul_f64 v[4:5], v[8:9], v[4:5]
	v_fma_f64 v[30:31], v[8:9], v[2:3], v[30:31]
	s_delay_alu instid0(VALU_DEP_2)
	v_fma_f64 v[32:33], v[6:7], v[2:3], -v[4:5]
	ds_load_b128 v[2:5], v1 offset:2000
	ds_load_b128 v[6:9], v1 offset:2016
	s_waitcnt vmcnt(2) lgkmcnt(1)
	v_mul_f64 v[34:35], v[2:3], v[12:13]
	v_mul_f64 v[12:13], v[4:5], v[12:13]
	s_waitcnt vmcnt(1) lgkmcnt(0)
	v_mul_f64 v[36:37], v[6:7], v[16:17]
	v_add_f64 v[22:23], v[22:23], v[30:31]
	s_delay_alu instid0(VALU_DEP_4) | instskip(NEXT) | instid1(VALU_DEP_4)
	v_fma_f64 v[34:35], v[4:5], v[10:11], v[34:35]
	v_fma_f64 v[10:11], v[2:3], v[10:11], -v[12:13]
	v_mul_f64 v[12:13], v[8:9], v[16:17]
	v_add_f64 v[16:17], v[24:25], v[32:33]
	ds_load_b128 v[2:5], v1 offset:2032
	v_fma_f64 v[8:9], v[8:9], v[14:15], v[36:37]
	s_waitcnt vmcnt(0) lgkmcnt(0)
	v_mul_f64 v[24:25], v[2:3], v[20:21]
	v_mul_f64 v[20:21], v[4:5], v[20:21]
	v_fma_f64 v[6:7], v[6:7], v[14:15], -v[12:13]
	v_add_f64 v[10:11], v[16:17], v[10:11]
	v_add_f64 v[12:13], v[22:23], v[34:35]
	v_fma_f64 v[4:5], v[4:5], v[18:19], v[24:25]
	v_fma_f64 v[2:3], v[2:3], v[18:19], -v[20:21]
	s_delay_alu instid0(VALU_DEP_4) | instskip(NEXT) | instid1(VALU_DEP_4)
	v_add_f64 v[6:7], v[10:11], v[6:7]
	v_add_f64 v[8:9], v[12:13], v[8:9]
	s_delay_alu instid0(VALU_DEP_2) | instskip(NEXT) | instid1(VALU_DEP_2)
	v_add_f64 v[2:3], v[6:7], v[2:3]
	v_add_f64 v[4:5], v[8:9], v[4:5]
	s_delay_alu instid0(VALU_DEP_2) | instskip(NEXT) | instid1(VALU_DEP_2)
	v_add_f64 v[2:3], v[26:27], -v[2:3]
	v_add_f64 v[4:5], v[28:29], -v[4:5]
	scratch_store_b128 off, v[2:5], off offset:448
	v_cmpx_lt_u32_e32 27, v178
	s_cbranch_execz .LBB63_354
; %bb.353:
	scratch_load_b32 v2, off, off offset:1188 ; 4-byte Folded Reload
	v_mov_b32_e32 v3, v1
	v_mov_b32_e32 v4, v1
	s_waitcnt vmcnt(0)
	scratch_load_b128 v[5:8], v2, off
	v_mov_b32_e32 v2, v1
	scratch_store_b128 off, v[1:4], off offset:432
	s_waitcnt vmcnt(0)
	ds_store_b128 v242, v[5:8]
.LBB63_354:
	s_or_b32 exec_lo, exec_lo, s2
	s_waitcnt lgkmcnt(0)
	s_waitcnt_vscnt null, 0x0
	s_barrier
	buffer_gl0_inv
	s_clause 0x4
	scratch_load_b128 v[2:5], off, off offset:448
	scratch_load_b128 v[6:9], off, off offset:464
	;; [unrolled: 1-line block ×5, first 2 shown]
	ds_load_b128 v[22:25], v1 offset:1472
	ds_load_b128 v[26:29], v1 offset:1488
	scratch_load_b128 v[30:33], off, off offset:432
	s_mov_b32 s2, exec_lo
	s_waitcnt vmcnt(5) lgkmcnt(1)
	v_mul_f64 v[34:35], v[24:25], v[4:5]
	v_mul_f64 v[4:5], v[22:23], v[4:5]
	s_waitcnt vmcnt(4) lgkmcnt(0)
	v_mul_f64 v[36:37], v[26:27], v[8:9]
	v_mul_f64 v[8:9], v[28:29], v[8:9]
	s_delay_alu instid0(VALU_DEP_4) | instskip(NEXT) | instid1(VALU_DEP_4)
	v_fma_f64 v[22:23], v[22:23], v[2:3], -v[34:35]
	v_fma_f64 v[24:25], v[24:25], v[2:3], v[4:5]
	ds_load_b128 v[2:5], v1 offset:1504
	v_fma_f64 v[28:29], v[28:29], v[6:7], v[36:37]
	v_fma_f64 v[26:27], v[26:27], v[6:7], -v[8:9]
	ds_load_b128 v[6:9], v1 offset:1520
	s_waitcnt vmcnt(3) lgkmcnt(1)
	v_mul_f64 v[34:35], v[2:3], v[12:13]
	v_mul_f64 v[12:13], v[4:5], v[12:13]
	s_waitcnt vmcnt(2) lgkmcnt(0)
	v_mul_f64 v[36:37], v[6:7], v[16:17]
	s_delay_alu instid0(VALU_DEP_3) | instskip(NEXT) | instid1(VALU_DEP_3)
	v_fma_f64 v[34:35], v[4:5], v[10:11], v[34:35]
	v_fma_f64 v[38:39], v[2:3], v[10:11], -v[12:13]
	v_mul_f64 v[10:11], v[8:9], v[16:17]
	ds_load_b128 v[2:5], v1 offset:1536
	v_fma_f64 v[16:17], v[8:9], v[14:15], v[36:37]
	v_fma_f64 v[14:15], v[6:7], v[14:15], -v[10:11]
	ds_load_b128 v[6:9], v1 offset:1552
	s_waitcnt vmcnt(1) lgkmcnt(1)
	v_mul_f64 v[10:11], v[2:3], v[20:21]
	v_mul_f64 v[12:13], v[4:5], v[20:21]
	s_delay_alu instid0(VALU_DEP_2) | instskip(NEXT) | instid1(VALU_DEP_2)
	v_fma_f64 v[20:21], v[4:5], v[18:19], v[10:11]
	v_fma_f64 v[18:19], v[2:3], v[18:19], -v[12:13]
	s_clause 0x1
	scratch_load_b128 v[2:5], off, off offset:528
	scratch_load_b128 v[10:13], off, off offset:544
	s_waitcnt vmcnt(1) lgkmcnt(0)
	v_mul_f64 v[36:37], v[6:7], v[4:5]
	v_mul_f64 v[4:5], v[8:9], v[4:5]
	s_delay_alu instid0(VALU_DEP_2) | instskip(NEXT) | instid1(VALU_DEP_2)
	v_fma_f64 v[36:37], v[8:9], v[2:3], v[36:37]
	v_fma_f64 v[40:41], v[6:7], v[2:3], -v[4:5]
	ds_load_b128 v[2:5], v1 offset:1568
	ds_load_b128 v[6:9], v1 offset:1584
	s_waitcnt vmcnt(0) lgkmcnt(1)
	v_mul_f64 v[42:43], v[2:3], v[12:13]
	s_delay_alu instid0(VALU_DEP_1) | instskip(SKIP_1) | instid1(VALU_DEP_1)
	v_fma_f64 v[42:43], v[4:5], v[10:11], v[42:43]
	v_mul_f64 v[4:5], v[4:5], v[12:13]
	v_fma_f64 v[44:45], v[2:3], v[10:11], -v[4:5]
	s_clause 0x1
	scratch_load_b128 v[2:5], off, off offset:560
	scratch_load_b128 v[10:13], off, off offset:576
	s_waitcnt vmcnt(1) lgkmcnt(0)
	v_mul_f64 v[46:47], v[6:7], v[4:5]
	v_mul_f64 v[4:5], v[8:9], v[4:5]
	s_delay_alu instid0(VALU_DEP_2) | instskip(NEXT) | instid1(VALU_DEP_2)
	v_fma_f64 v[46:47], v[8:9], v[2:3], v[46:47]
	v_fma_f64 v[48:49], v[6:7], v[2:3], -v[4:5]
	ds_load_b128 v[2:5], v1 offset:1600
	ds_load_b128 v[6:9], v1 offset:1616
	s_waitcnt vmcnt(0) lgkmcnt(1)
	v_mul_f64 v[54:55], v[2:3], v[12:13]
	s_delay_alu instid0(VALU_DEP_1) | instskip(SKIP_1) | instid1(VALU_DEP_1)
	v_fma_f64 v[54:55], v[4:5], v[10:11], v[54:55]
	v_mul_f64 v[4:5], v[4:5], v[12:13]
	;; [unrolled: 17-line block ×14, first 2 shown]
	v_fma_f64 v[68:69], v[2:3], v[10:11], -v[4:5]
	v_add_f64 v[2:3], v[22:23], 0
	v_add_f64 v[4:5], v[24:25], 0
	s_delay_alu instid0(VALU_DEP_2) | instskip(NEXT) | instid1(VALU_DEP_2)
	v_add_f64 v[2:3], v[2:3], v[26:27]
	v_add_f64 v[4:5], v[4:5], v[28:29]
	s_delay_alu instid0(VALU_DEP_2) | instskip(NEXT) | instid1(VALU_DEP_2)
	;; [unrolled: 3-line block ×26, first 2 shown]
	v_add_f64 v[2:3], v[2:3], v[234:235]
	v_add_f64 v[10:11], v[4:5], v[232:233]
	s_delay_alu instid0(VALU_DEP_2)
	v_add_f64 v[12:13], v[2:3], v[238:239]
	scratch_load_b128 v[2:5], off, off offset:976
	v_add_f64 v[14:15], v[10:11], v[236:237]
	v_add_f64 v[16:17], v[12:13], v[245:246]
	scratch_load_b128 v[10:13], off, off offset:992
	v_add_f64 v[18:19], v[14:15], v[243:244]
	;; [unrolled: 3-line block ×3, first 2 shown]
	v_add_f64 v[20:21], v[20:21], v[253:254]
	s_delay_alu instid0(VALU_DEP_2) | instskip(NEXT) | instid1(VALU_DEP_2)
	v_add_f64 v[18:19], v[18:19], v[251:252]
	v_add_f64 v[28:29], v[20:21], v[64:65]
	s_delay_alu instid0(VALU_DEP_2)
	v_add_f64 v[34:35], v[18:19], v[240:241]
	ds_load_b128 v[18:21], v1 offset:2016
	ds_load_b128 v[22:25], v1 offset:2032
	s_waitcnt vmcnt(2) lgkmcnt(2)
	v_mul_f64 v[26:27], v[6:7], v[4:5]
	v_mul_f64 v[4:5], v[8:9], v[4:5]
	s_waitcnt vmcnt(1) lgkmcnt(1)
	v_mul_f64 v[36:37], v[18:19], v[12:13]
	s_delay_alu instid0(VALU_DEP_3) | instskip(NEXT) | instid1(VALU_DEP_3)
	v_fma_f64 v[8:9], v[8:9], v[2:3], v[26:27]
	v_fma_f64 v[1:2], v[6:7], v[2:3], -v[4:5]
	v_mul_f64 v[3:4], v[20:21], v[12:13]
	v_add_f64 v[5:6], v[28:29], v[68:69]
	v_add_f64 v[12:13], v[34:35], v[66:67]
	s_waitcnt vmcnt(0) lgkmcnt(0)
	v_mul_f64 v[26:27], v[22:23], v[16:17]
	v_mul_f64 v[16:17], v[24:25], v[16:17]
	v_fma_f64 v[20:21], v[20:21], v[10:11], v[36:37]
	v_fma_f64 v[3:4], v[18:19], v[10:11], -v[3:4]
	v_add_f64 v[1:2], v[5:6], v[1:2]
	v_add_f64 v[5:6], v[12:13], v[8:9]
	v_fma_f64 v[7:8], v[24:25], v[14:15], v[26:27]
	v_fma_f64 v[9:10], v[22:23], v[14:15], -v[16:17]
	s_delay_alu instid0(VALU_DEP_4) | instskip(NEXT) | instid1(VALU_DEP_4)
	v_add_f64 v[1:2], v[1:2], v[3:4]
	v_add_f64 v[3:4], v[5:6], v[20:21]
	s_delay_alu instid0(VALU_DEP_2) | instskip(NEXT) | instid1(VALU_DEP_2)
	v_add_f64 v[1:2], v[1:2], v[9:10]
	v_add_f64 v[3:4], v[3:4], v[7:8]
	s_delay_alu instid0(VALU_DEP_2) | instskip(NEXT) | instid1(VALU_DEP_2)
	v_add_f64 v[1:2], v[30:31], -v[1:2]
	v_add_f64 v[3:4], v[32:33], -v[3:4]
	scratch_store_b128 off, v[1:4], off offset:432
	v_cmpx_lt_u32_e32 26, v178
	s_cbranch_execz .LBB63_356
; %bb.355:
	scratch_load_b32 v1, off, off offset:1192 ; 4-byte Folded Reload
	v_mov_b32_e32 v5, 0
	s_delay_alu instid0(VALU_DEP_1)
	v_mov_b32_e32 v6, v5
	v_mov_b32_e32 v7, v5
	;; [unrolled: 1-line block ×3, first 2 shown]
	s_waitcnt vmcnt(0)
	scratch_load_b128 v[1:4], v1, off
	scratch_store_b128 off, v[5:8], off offset:416
	s_waitcnt vmcnt(0)
	ds_store_b128 v242, v[1:4]
.LBB63_356:
	s_or_b32 exec_lo, exec_lo, s2
	s_waitcnt lgkmcnt(0)
	s_waitcnt_vscnt null, 0x0
	s_barrier
	buffer_gl0_inv
	s_clause 0x4
	scratch_load_b128 v[2:5], off, off offset:432
	scratch_load_b128 v[6:9], off, off offset:448
	;; [unrolled: 1-line block ×5, first 2 shown]
	v_mov_b32_e32 v1, 0
	scratch_load_b128 v[26:29], off, off offset:416
	s_mov_b32 s2, exec_lo
	ds_load_b128 v[22:25], v1 offset:1456
	ds_load_b128 v[30:33], v1 offset:1472
	s_waitcnt vmcnt(5) lgkmcnt(1)
	v_mul_f64 v[34:35], v[24:25], v[4:5]
	v_mul_f64 v[4:5], v[22:23], v[4:5]
	s_waitcnt vmcnt(4) lgkmcnt(0)
	v_mul_f64 v[36:37], v[30:31], v[8:9]
	v_mul_f64 v[8:9], v[32:33], v[8:9]
	s_delay_alu instid0(VALU_DEP_4) | instskip(NEXT) | instid1(VALU_DEP_4)
	v_fma_f64 v[22:23], v[22:23], v[2:3], -v[34:35]
	v_fma_f64 v[24:25], v[24:25], v[2:3], v[4:5]
	ds_load_b128 v[2:5], v1 offset:1488
	v_fma_f64 v[32:33], v[32:33], v[6:7], v[36:37]
	v_fma_f64 v[30:31], v[30:31], v[6:7], -v[8:9]
	ds_load_b128 v[6:9], v1 offset:1504
	s_waitcnt vmcnt(3) lgkmcnt(1)
	v_mul_f64 v[34:35], v[2:3], v[12:13]
	v_mul_f64 v[12:13], v[4:5], v[12:13]
	s_waitcnt vmcnt(2) lgkmcnt(0)
	v_mul_f64 v[36:37], v[6:7], v[16:17]
	s_delay_alu instid0(VALU_DEP_3) | instskip(NEXT) | instid1(VALU_DEP_3)
	v_fma_f64 v[34:35], v[4:5], v[10:11], v[34:35]
	v_fma_f64 v[38:39], v[2:3], v[10:11], -v[12:13]
	v_mul_f64 v[10:11], v[8:9], v[16:17]
	ds_load_b128 v[2:5], v1 offset:1520
	v_fma_f64 v[16:17], v[8:9], v[14:15], v[36:37]
	v_fma_f64 v[14:15], v[6:7], v[14:15], -v[10:11]
	ds_load_b128 v[6:9], v1 offset:1536
	s_waitcnt vmcnt(1) lgkmcnt(1)
	v_mul_f64 v[10:11], v[2:3], v[20:21]
	v_mul_f64 v[12:13], v[4:5], v[20:21]
	s_delay_alu instid0(VALU_DEP_2) | instskip(NEXT) | instid1(VALU_DEP_2)
	v_fma_f64 v[20:21], v[4:5], v[18:19], v[10:11]
	v_fma_f64 v[18:19], v[2:3], v[18:19], -v[12:13]
	s_clause 0x1
	scratch_load_b128 v[2:5], off, off offset:512
	scratch_load_b128 v[10:13], off, off offset:528
	s_waitcnt vmcnt(1) lgkmcnt(0)
	v_mul_f64 v[36:37], v[6:7], v[4:5]
	v_mul_f64 v[4:5], v[8:9], v[4:5]
	s_delay_alu instid0(VALU_DEP_2) | instskip(NEXT) | instid1(VALU_DEP_2)
	v_fma_f64 v[36:37], v[8:9], v[2:3], v[36:37]
	v_fma_f64 v[40:41], v[6:7], v[2:3], -v[4:5]
	ds_load_b128 v[2:5], v1 offset:1552
	ds_load_b128 v[6:9], v1 offset:1568
	s_waitcnt vmcnt(0) lgkmcnt(1)
	v_mul_f64 v[42:43], v[2:3], v[12:13]
	s_delay_alu instid0(VALU_DEP_1) | instskip(SKIP_1) | instid1(VALU_DEP_1)
	v_fma_f64 v[42:43], v[4:5], v[10:11], v[42:43]
	v_mul_f64 v[4:5], v[4:5], v[12:13]
	v_fma_f64 v[44:45], v[2:3], v[10:11], -v[4:5]
	s_clause 0x1
	scratch_load_b128 v[2:5], off, off offset:544
	scratch_load_b128 v[10:13], off, off offset:560
	s_waitcnt vmcnt(1) lgkmcnt(0)
	v_mul_f64 v[46:47], v[6:7], v[4:5]
	v_mul_f64 v[4:5], v[8:9], v[4:5]
	s_delay_alu instid0(VALU_DEP_2) | instskip(NEXT) | instid1(VALU_DEP_2)
	v_fma_f64 v[46:47], v[8:9], v[2:3], v[46:47]
	v_fma_f64 v[48:49], v[6:7], v[2:3], -v[4:5]
	ds_load_b128 v[2:5], v1 offset:1584
	ds_load_b128 v[6:9], v1 offset:1600
	s_waitcnt vmcnt(0) lgkmcnt(1)
	v_mul_f64 v[54:55], v[2:3], v[12:13]
	s_delay_alu instid0(VALU_DEP_1) | instskip(SKIP_1) | instid1(VALU_DEP_1)
	v_fma_f64 v[54:55], v[4:5], v[10:11], v[54:55]
	v_mul_f64 v[4:5], v[4:5], v[12:13]
	;; [unrolled: 17-line block ×14, first 2 shown]
	v_fma_f64 v[253:254], v[2:3], v[10:11], -v[4:5]
	v_add_f64 v[2:3], v[22:23], 0
	v_add_f64 v[4:5], v[24:25], 0
	s_delay_alu instid0(VALU_DEP_2) | instskip(NEXT) | instid1(VALU_DEP_2)
	v_add_f64 v[2:3], v[2:3], v[30:31]
	v_add_f64 v[4:5], v[4:5], v[32:33]
	s_delay_alu instid0(VALU_DEP_2) | instskip(NEXT) | instid1(VALU_DEP_2)
	;; [unrolled: 3-line block ×26, first 2 shown]
	v_add_f64 v[2:3], v[2:3], v[228:229]
	v_add_f64 v[10:11], v[4:5], v[226:227]
	s_delay_alu instid0(VALU_DEP_2)
	v_add_f64 v[12:13], v[2:3], v[232:233]
	scratch_load_b128 v[2:5], off, off offset:960
	v_add_f64 v[14:15], v[10:11], v[230:231]
	v_add_f64 v[16:17], v[12:13], v[236:237]
	scratch_load_b128 v[10:13], off, off offset:976
	v_add_f64 v[18:19], v[14:15], v[234:235]
	;; [unrolled: 3-line block ×4, first 2 shown]
	v_add_f64 v[24:25], v[24:25], v[249:250]
	s_delay_alu instid0(VALU_DEP_2) | instskip(NEXT) | instid1(VALU_DEP_2)
	v_add_f64 v[22:23], v[22:23], v[247:248]
	v_add_f64 v[24:25], v[24:25], v[253:254]
	s_delay_alu instid0(VALU_DEP_2) | instskip(SKIP_3) | instid1(VALU_DEP_2)
	v_add_f64 v[22:23], v[22:23], v[251:252]
	s_waitcnt vmcnt(3) lgkmcnt(0)
	v_mul_f64 v[30:31], v[6:7], v[4:5]
	v_mul_f64 v[4:5], v[8:9], v[4:5]
	v_fma_f64 v[30:31], v[8:9], v[2:3], v[30:31]
	s_delay_alu instid0(VALU_DEP_2)
	v_fma_f64 v[32:33], v[6:7], v[2:3], -v[4:5]
	ds_load_b128 v[2:5], v1 offset:2000
	ds_load_b128 v[6:9], v1 offset:2016
	s_waitcnt vmcnt(2) lgkmcnt(1)
	v_mul_f64 v[34:35], v[2:3], v[12:13]
	v_mul_f64 v[12:13], v[4:5], v[12:13]
	s_waitcnt vmcnt(1) lgkmcnt(0)
	v_mul_f64 v[36:37], v[6:7], v[16:17]
	v_add_f64 v[22:23], v[22:23], v[30:31]
	s_delay_alu instid0(VALU_DEP_4) | instskip(NEXT) | instid1(VALU_DEP_4)
	v_fma_f64 v[34:35], v[4:5], v[10:11], v[34:35]
	v_fma_f64 v[10:11], v[2:3], v[10:11], -v[12:13]
	v_mul_f64 v[12:13], v[8:9], v[16:17]
	v_add_f64 v[16:17], v[24:25], v[32:33]
	ds_load_b128 v[2:5], v1 offset:2032
	v_fma_f64 v[8:9], v[8:9], v[14:15], v[36:37]
	s_waitcnt vmcnt(0) lgkmcnt(0)
	v_mul_f64 v[24:25], v[2:3], v[20:21]
	v_mul_f64 v[20:21], v[4:5], v[20:21]
	v_fma_f64 v[6:7], v[6:7], v[14:15], -v[12:13]
	v_add_f64 v[10:11], v[16:17], v[10:11]
	v_add_f64 v[12:13], v[22:23], v[34:35]
	v_fma_f64 v[4:5], v[4:5], v[18:19], v[24:25]
	v_fma_f64 v[2:3], v[2:3], v[18:19], -v[20:21]
	s_delay_alu instid0(VALU_DEP_4) | instskip(NEXT) | instid1(VALU_DEP_4)
	v_add_f64 v[6:7], v[10:11], v[6:7]
	v_add_f64 v[8:9], v[12:13], v[8:9]
	s_delay_alu instid0(VALU_DEP_2) | instskip(NEXT) | instid1(VALU_DEP_2)
	v_add_f64 v[2:3], v[6:7], v[2:3]
	v_add_f64 v[4:5], v[8:9], v[4:5]
	s_delay_alu instid0(VALU_DEP_2) | instskip(NEXT) | instid1(VALU_DEP_2)
	v_add_f64 v[2:3], v[26:27], -v[2:3]
	v_add_f64 v[4:5], v[28:29], -v[4:5]
	scratch_store_b128 off, v[2:5], off offset:416
	v_cmpx_lt_u32_e32 25, v178
	s_cbranch_execz .LBB63_358
; %bb.357:
	scratch_load_b32 v2, off, off offset:1196 ; 4-byte Folded Reload
	v_mov_b32_e32 v3, v1
	v_mov_b32_e32 v4, v1
	s_waitcnt vmcnt(0)
	scratch_load_b128 v[5:8], v2, off
	v_mov_b32_e32 v2, v1
	scratch_store_b128 off, v[1:4], off offset:400
	s_waitcnt vmcnt(0)
	ds_store_b128 v242, v[5:8]
.LBB63_358:
	s_or_b32 exec_lo, exec_lo, s2
	s_waitcnt lgkmcnt(0)
	s_waitcnt_vscnt null, 0x0
	s_barrier
	buffer_gl0_inv
	s_clause 0x4
	scratch_load_b128 v[2:5], off, off offset:416
	scratch_load_b128 v[6:9], off, off offset:432
	scratch_load_b128 v[10:13], off, off offset:448
	scratch_load_b128 v[14:17], off, off offset:464
	scratch_load_b128 v[18:21], off, off offset:480
	ds_load_b128 v[22:25], v1 offset:1440
	ds_load_b128 v[26:29], v1 offset:1456
	scratch_load_b128 v[30:33], off, off offset:400
	s_mov_b32 s2, exec_lo
	s_waitcnt vmcnt(5) lgkmcnt(1)
	v_mul_f64 v[34:35], v[24:25], v[4:5]
	v_mul_f64 v[4:5], v[22:23], v[4:5]
	s_waitcnt vmcnt(4) lgkmcnt(0)
	v_mul_f64 v[36:37], v[26:27], v[8:9]
	v_mul_f64 v[8:9], v[28:29], v[8:9]
	s_delay_alu instid0(VALU_DEP_4) | instskip(NEXT) | instid1(VALU_DEP_4)
	v_fma_f64 v[22:23], v[22:23], v[2:3], -v[34:35]
	v_fma_f64 v[24:25], v[24:25], v[2:3], v[4:5]
	ds_load_b128 v[2:5], v1 offset:1472
	v_fma_f64 v[28:29], v[28:29], v[6:7], v[36:37]
	v_fma_f64 v[26:27], v[26:27], v[6:7], -v[8:9]
	ds_load_b128 v[6:9], v1 offset:1488
	s_waitcnt vmcnt(3) lgkmcnt(1)
	v_mul_f64 v[34:35], v[2:3], v[12:13]
	v_mul_f64 v[12:13], v[4:5], v[12:13]
	s_waitcnt vmcnt(2) lgkmcnt(0)
	v_mul_f64 v[36:37], v[6:7], v[16:17]
	s_delay_alu instid0(VALU_DEP_3) | instskip(NEXT) | instid1(VALU_DEP_3)
	v_fma_f64 v[34:35], v[4:5], v[10:11], v[34:35]
	v_fma_f64 v[38:39], v[2:3], v[10:11], -v[12:13]
	v_mul_f64 v[10:11], v[8:9], v[16:17]
	ds_load_b128 v[2:5], v1 offset:1504
	v_fma_f64 v[16:17], v[8:9], v[14:15], v[36:37]
	v_fma_f64 v[14:15], v[6:7], v[14:15], -v[10:11]
	ds_load_b128 v[6:9], v1 offset:1520
	s_waitcnt vmcnt(1) lgkmcnt(1)
	v_mul_f64 v[10:11], v[2:3], v[20:21]
	v_mul_f64 v[12:13], v[4:5], v[20:21]
	s_delay_alu instid0(VALU_DEP_2) | instskip(NEXT) | instid1(VALU_DEP_2)
	v_fma_f64 v[20:21], v[4:5], v[18:19], v[10:11]
	v_fma_f64 v[18:19], v[2:3], v[18:19], -v[12:13]
	s_clause 0x1
	scratch_load_b128 v[2:5], off, off offset:496
	scratch_load_b128 v[10:13], off, off offset:512
	s_waitcnt vmcnt(1) lgkmcnt(0)
	v_mul_f64 v[36:37], v[6:7], v[4:5]
	v_mul_f64 v[4:5], v[8:9], v[4:5]
	s_delay_alu instid0(VALU_DEP_2) | instskip(NEXT) | instid1(VALU_DEP_2)
	v_fma_f64 v[36:37], v[8:9], v[2:3], v[36:37]
	v_fma_f64 v[40:41], v[6:7], v[2:3], -v[4:5]
	ds_load_b128 v[2:5], v1 offset:1536
	ds_load_b128 v[6:9], v1 offset:1552
	s_waitcnt vmcnt(0) lgkmcnt(1)
	v_mul_f64 v[42:43], v[2:3], v[12:13]
	s_delay_alu instid0(VALU_DEP_1) | instskip(SKIP_1) | instid1(VALU_DEP_1)
	v_fma_f64 v[42:43], v[4:5], v[10:11], v[42:43]
	v_mul_f64 v[4:5], v[4:5], v[12:13]
	v_fma_f64 v[44:45], v[2:3], v[10:11], -v[4:5]
	s_clause 0x1
	scratch_load_b128 v[2:5], off, off offset:528
	scratch_load_b128 v[10:13], off, off offset:544
	s_waitcnt vmcnt(1) lgkmcnt(0)
	v_mul_f64 v[46:47], v[6:7], v[4:5]
	v_mul_f64 v[4:5], v[8:9], v[4:5]
	s_delay_alu instid0(VALU_DEP_2) | instskip(NEXT) | instid1(VALU_DEP_2)
	v_fma_f64 v[46:47], v[8:9], v[2:3], v[46:47]
	v_fma_f64 v[48:49], v[6:7], v[2:3], -v[4:5]
	ds_load_b128 v[2:5], v1 offset:1568
	ds_load_b128 v[6:9], v1 offset:1584
	s_waitcnt vmcnt(0) lgkmcnt(1)
	v_mul_f64 v[54:55], v[2:3], v[12:13]
	s_delay_alu instid0(VALU_DEP_1) | instskip(SKIP_1) | instid1(VALU_DEP_1)
	v_fma_f64 v[54:55], v[4:5], v[10:11], v[54:55]
	v_mul_f64 v[4:5], v[4:5], v[12:13]
	;; [unrolled: 17-line block ×15, first 2 shown]
	v_fma_f64 v[76:77], v[2:3], v[10:11], -v[4:5]
	v_add_f64 v[2:3], v[22:23], 0
	v_add_f64 v[4:5], v[24:25], 0
	s_delay_alu instid0(VALU_DEP_2) | instskip(NEXT) | instid1(VALU_DEP_2)
	v_add_f64 v[2:3], v[2:3], v[26:27]
	v_add_f64 v[4:5], v[4:5], v[28:29]
	s_delay_alu instid0(VALU_DEP_2) | instskip(NEXT) | instid1(VALU_DEP_2)
	;; [unrolled: 3-line block ×28, first 2 shown]
	v_add_f64 v[2:3], v[2:3], v[236:237]
	v_add_f64 v[10:11], v[4:5], v[234:235]
	s_delay_alu instid0(VALU_DEP_2)
	v_add_f64 v[12:13], v[2:3], v[240:241]
	scratch_load_b128 v[2:5], off, off offset:976
	v_add_f64 v[14:15], v[10:11], v[238:239]
	v_add_f64 v[16:17], v[12:13], v[245:246]
	scratch_load_b128 v[10:13], off, off offset:992
	v_add_f64 v[18:19], v[14:15], v[243:244]
	;; [unrolled: 3-line block ×3, first 2 shown]
	v_add_f64 v[20:21], v[20:21], v[253:254]
	s_delay_alu instid0(VALU_DEP_2) | instskip(NEXT) | instid1(VALU_DEP_2)
	v_add_f64 v[18:19], v[18:19], v[251:252]
	v_add_f64 v[28:29], v[20:21], v[72:73]
	s_delay_alu instid0(VALU_DEP_2)
	v_add_f64 v[34:35], v[18:19], v[70:71]
	ds_load_b128 v[18:21], v1 offset:2016
	ds_load_b128 v[22:25], v1 offset:2032
	s_waitcnt vmcnt(2) lgkmcnt(2)
	v_mul_f64 v[26:27], v[6:7], v[4:5]
	v_mul_f64 v[4:5], v[8:9], v[4:5]
	s_waitcnt vmcnt(1) lgkmcnt(1)
	v_mul_f64 v[36:37], v[18:19], v[12:13]
	s_delay_alu instid0(VALU_DEP_3) | instskip(NEXT) | instid1(VALU_DEP_3)
	v_fma_f64 v[8:9], v[8:9], v[2:3], v[26:27]
	v_fma_f64 v[1:2], v[6:7], v[2:3], -v[4:5]
	v_mul_f64 v[3:4], v[20:21], v[12:13]
	v_add_f64 v[5:6], v[28:29], v[76:77]
	v_add_f64 v[12:13], v[34:35], v[74:75]
	s_waitcnt vmcnt(0) lgkmcnt(0)
	v_mul_f64 v[26:27], v[22:23], v[16:17]
	v_mul_f64 v[16:17], v[24:25], v[16:17]
	v_fma_f64 v[20:21], v[20:21], v[10:11], v[36:37]
	v_fma_f64 v[3:4], v[18:19], v[10:11], -v[3:4]
	v_add_f64 v[1:2], v[5:6], v[1:2]
	v_add_f64 v[5:6], v[12:13], v[8:9]
	v_fma_f64 v[7:8], v[24:25], v[14:15], v[26:27]
	v_fma_f64 v[9:10], v[22:23], v[14:15], -v[16:17]
	s_delay_alu instid0(VALU_DEP_4) | instskip(NEXT) | instid1(VALU_DEP_4)
	v_add_f64 v[1:2], v[1:2], v[3:4]
	v_add_f64 v[3:4], v[5:6], v[20:21]
	s_delay_alu instid0(VALU_DEP_2) | instskip(NEXT) | instid1(VALU_DEP_2)
	v_add_f64 v[1:2], v[1:2], v[9:10]
	v_add_f64 v[3:4], v[3:4], v[7:8]
	s_delay_alu instid0(VALU_DEP_2) | instskip(NEXT) | instid1(VALU_DEP_2)
	v_add_f64 v[1:2], v[30:31], -v[1:2]
	v_add_f64 v[3:4], v[32:33], -v[3:4]
	scratch_store_b128 off, v[1:4], off offset:400
	v_cmpx_lt_u32_e32 24, v178
	s_cbranch_execz .LBB63_360
; %bb.359:
	scratch_load_b32 v1, off, off offset:1200 ; 4-byte Folded Reload
	v_mov_b32_e32 v5, 0
	s_delay_alu instid0(VALU_DEP_1)
	v_mov_b32_e32 v6, v5
	v_mov_b32_e32 v7, v5
	;; [unrolled: 1-line block ×3, first 2 shown]
	s_waitcnt vmcnt(0)
	scratch_load_b128 v[1:4], v1, off
	scratch_store_b128 off, v[5:8], off offset:384
	s_waitcnt vmcnt(0)
	ds_store_b128 v242, v[1:4]
.LBB63_360:
	s_or_b32 exec_lo, exec_lo, s2
	s_waitcnt lgkmcnt(0)
	s_waitcnt_vscnt null, 0x0
	s_barrier
	buffer_gl0_inv
	s_clause 0x4
	scratch_load_b128 v[2:5], off, off offset:400
	scratch_load_b128 v[6:9], off, off offset:416
	;; [unrolled: 1-line block ×5, first 2 shown]
	v_mov_b32_e32 v1, 0
	scratch_load_b128 v[26:29], off, off offset:384
	s_mov_b32 s2, exec_lo
	ds_load_b128 v[22:25], v1 offset:1424
	ds_load_b128 v[30:33], v1 offset:1440
	s_waitcnt vmcnt(5) lgkmcnt(1)
	v_mul_f64 v[34:35], v[24:25], v[4:5]
	v_mul_f64 v[4:5], v[22:23], v[4:5]
	s_waitcnt vmcnt(4) lgkmcnt(0)
	v_mul_f64 v[36:37], v[30:31], v[8:9]
	v_mul_f64 v[8:9], v[32:33], v[8:9]
	s_delay_alu instid0(VALU_DEP_4) | instskip(NEXT) | instid1(VALU_DEP_4)
	v_fma_f64 v[22:23], v[22:23], v[2:3], -v[34:35]
	v_fma_f64 v[24:25], v[24:25], v[2:3], v[4:5]
	ds_load_b128 v[2:5], v1 offset:1456
	v_fma_f64 v[32:33], v[32:33], v[6:7], v[36:37]
	v_fma_f64 v[30:31], v[30:31], v[6:7], -v[8:9]
	ds_load_b128 v[6:9], v1 offset:1472
	s_waitcnt vmcnt(3) lgkmcnt(1)
	v_mul_f64 v[34:35], v[2:3], v[12:13]
	v_mul_f64 v[12:13], v[4:5], v[12:13]
	s_waitcnt vmcnt(2) lgkmcnt(0)
	v_mul_f64 v[36:37], v[6:7], v[16:17]
	s_delay_alu instid0(VALU_DEP_3) | instskip(NEXT) | instid1(VALU_DEP_3)
	v_fma_f64 v[34:35], v[4:5], v[10:11], v[34:35]
	v_fma_f64 v[38:39], v[2:3], v[10:11], -v[12:13]
	v_mul_f64 v[10:11], v[8:9], v[16:17]
	ds_load_b128 v[2:5], v1 offset:1488
	v_fma_f64 v[16:17], v[8:9], v[14:15], v[36:37]
	v_fma_f64 v[14:15], v[6:7], v[14:15], -v[10:11]
	ds_load_b128 v[6:9], v1 offset:1504
	s_waitcnt vmcnt(1) lgkmcnt(1)
	v_mul_f64 v[10:11], v[2:3], v[20:21]
	v_mul_f64 v[12:13], v[4:5], v[20:21]
	s_delay_alu instid0(VALU_DEP_2) | instskip(NEXT) | instid1(VALU_DEP_2)
	v_fma_f64 v[20:21], v[4:5], v[18:19], v[10:11]
	v_fma_f64 v[18:19], v[2:3], v[18:19], -v[12:13]
	s_clause 0x1
	scratch_load_b128 v[2:5], off, off offset:480
	scratch_load_b128 v[10:13], off, off offset:496
	s_waitcnt vmcnt(1) lgkmcnt(0)
	v_mul_f64 v[36:37], v[6:7], v[4:5]
	v_mul_f64 v[4:5], v[8:9], v[4:5]
	s_delay_alu instid0(VALU_DEP_2) | instskip(NEXT) | instid1(VALU_DEP_2)
	v_fma_f64 v[36:37], v[8:9], v[2:3], v[36:37]
	v_fma_f64 v[40:41], v[6:7], v[2:3], -v[4:5]
	ds_load_b128 v[2:5], v1 offset:1520
	ds_load_b128 v[6:9], v1 offset:1536
	s_waitcnt vmcnt(0) lgkmcnt(1)
	v_mul_f64 v[42:43], v[2:3], v[12:13]
	s_delay_alu instid0(VALU_DEP_1) | instskip(SKIP_1) | instid1(VALU_DEP_1)
	v_fma_f64 v[42:43], v[4:5], v[10:11], v[42:43]
	v_mul_f64 v[4:5], v[4:5], v[12:13]
	v_fma_f64 v[44:45], v[2:3], v[10:11], -v[4:5]
	s_clause 0x1
	scratch_load_b128 v[2:5], off, off offset:512
	scratch_load_b128 v[10:13], off, off offset:528
	s_waitcnt vmcnt(1) lgkmcnt(0)
	v_mul_f64 v[46:47], v[6:7], v[4:5]
	v_mul_f64 v[4:5], v[8:9], v[4:5]
	s_delay_alu instid0(VALU_DEP_2) | instskip(NEXT) | instid1(VALU_DEP_2)
	v_fma_f64 v[46:47], v[8:9], v[2:3], v[46:47]
	v_fma_f64 v[48:49], v[6:7], v[2:3], -v[4:5]
	ds_load_b128 v[2:5], v1 offset:1552
	ds_load_b128 v[6:9], v1 offset:1568
	s_waitcnt vmcnt(0) lgkmcnt(1)
	v_mul_f64 v[54:55], v[2:3], v[12:13]
	s_delay_alu instid0(VALU_DEP_1) | instskip(SKIP_1) | instid1(VALU_DEP_1)
	v_fma_f64 v[54:55], v[4:5], v[10:11], v[54:55]
	v_mul_f64 v[4:5], v[4:5], v[12:13]
	;; [unrolled: 17-line block ×15, first 2 shown]
	v_fma_f64 v[253:254], v[2:3], v[10:11], -v[4:5]
	v_add_f64 v[2:3], v[22:23], 0
	v_add_f64 v[4:5], v[24:25], 0
	s_delay_alu instid0(VALU_DEP_2) | instskip(NEXT) | instid1(VALU_DEP_2)
	v_add_f64 v[2:3], v[2:3], v[30:31]
	v_add_f64 v[4:5], v[4:5], v[32:33]
	s_delay_alu instid0(VALU_DEP_2) | instskip(NEXT) | instid1(VALU_DEP_2)
	;; [unrolled: 3-line block ×28, first 2 shown]
	v_add_f64 v[2:3], v[2:3], v[228:229]
	v_add_f64 v[10:11], v[4:5], v[226:227]
	s_delay_alu instid0(VALU_DEP_2)
	v_add_f64 v[12:13], v[2:3], v[232:233]
	scratch_load_b128 v[2:5], off, off offset:960
	v_add_f64 v[14:15], v[10:11], v[230:231]
	v_add_f64 v[16:17], v[12:13], v[236:237]
	scratch_load_b128 v[10:13], off, off offset:976
	v_add_f64 v[18:19], v[14:15], v[234:235]
	;; [unrolled: 3-line block ×4, first 2 shown]
	v_add_f64 v[24:25], v[24:25], v[249:250]
	s_delay_alu instid0(VALU_DEP_2) | instskip(NEXT) | instid1(VALU_DEP_2)
	v_add_f64 v[22:23], v[22:23], v[247:248]
	v_add_f64 v[24:25], v[24:25], v[253:254]
	s_delay_alu instid0(VALU_DEP_2) | instskip(SKIP_3) | instid1(VALU_DEP_2)
	v_add_f64 v[22:23], v[22:23], v[251:252]
	s_waitcnt vmcnt(3) lgkmcnt(0)
	v_mul_f64 v[30:31], v[6:7], v[4:5]
	v_mul_f64 v[4:5], v[8:9], v[4:5]
	v_fma_f64 v[30:31], v[8:9], v[2:3], v[30:31]
	s_delay_alu instid0(VALU_DEP_2)
	v_fma_f64 v[32:33], v[6:7], v[2:3], -v[4:5]
	ds_load_b128 v[2:5], v1 offset:2000
	ds_load_b128 v[6:9], v1 offset:2016
	s_waitcnt vmcnt(2) lgkmcnt(1)
	v_mul_f64 v[34:35], v[2:3], v[12:13]
	v_mul_f64 v[12:13], v[4:5], v[12:13]
	s_waitcnt vmcnt(1) lgkmcnt(0)
	v_mul_f64 v[36:37], v[6:7], v[16:17]
	v_add_f64 v[22:23], v[22:23], v[30:31]
	s_delay_alu instid0(VALU_DEP_4) | instskip(NEXT) | instid1(VALU_DEP_4)
	v_fma_f64 v[34:35], v[4:5], v[10:11], v[34:35]
	v_fma_f64 v[10:11], v[2:3], v[10:11], -v[12:13]
	v_mul_f64 v[12:13], v[8:9], v[16:17]
	v_add_f64 v[16:17], v[24:25], v[32:33]
	ds_load_b128 v[2:5], v1 offset:2032
	v_fma_f64 v[8:9], v[8:9], v[14:15], v[36:37]
	s_waitcnt vmcnt(0) lgkmcnt(0)
	v_mul_f64 v[24:25], v[2:3], v[20:21]
	v_mul_f64 v[20:21], v[4:5], v[20:21]
	v_fma_f64 v[6:7], v[6:7], v[14:15], -v[12:13]
	v_add_f64 v[10:11], v[16:17], v[10:11]
	v_add_f64 v[12:13], v[22:23], v[34:35]
	v_fma_f64 v[4:5], v[4:5], v[18:19], v[24:25]
	v_fma_f64 v[2:3], v[2:3], v[18:19], -v[20:21]
	s_delay_alu instid0(VALU_DEP_4) | instskip(NEXT) | instid1(VALU_DEP_4)
	v_add_f64 v[6:7], v[10:11], v[6:7]
	v_add_f64 v[8:9], v[12:13], v[8:9]
	s_delay_alu instid0(VALU_DEP_2) | instskip(NEXT) | instid1(VALU_DEP_2)
	v_add_f64 v[2:3], v[6:7], v[2:3]
	v_add_f64 v[4:5], v[8:9], v[4:5]
	s_delay_alu instid0(VALU_DEP_2) | instskip(NEXT) | instid1(VALU_DEP_2)
	v_add_f64 v[2:3], v[26:27], -v[2:3]
	v_add_f64 v[4:5], v[28:29], -v[4:5]
	scratch_store_b128 off, v[2:5], off offset:384
	v_cmpx_lt_u32_e32 23, v178
	s_cbranch_execz .LBB63_362
; %bb.361:
	scratch_load_b32 v2, off, off offset:1204 ; 4-byte Folded Reload
	v_mov_b32_e32 v3, v1
	v_mov_b32_e32 v4, v1
	s_waitcnt vmcnt(0)
	scratch_load_b128 v[5:8], v2, off
	v_mov_b32_e32 v2, v1
	scratch_store_b128 off, v[1:4], off offset:368
	s_waitcnt vmcnt(0)
	ds_store_b128 v242, v[5:8]
.LBB63_362:
	s_or_b32 exec_lo, exec_lo, s2
	s_waitcnt lgkmcnt(0)
	s_waitcnt_vscnt null, 0x0
	s_barrier
	buffer_gl0_inv
	s_clause 0x4
	scratch_load_b128 v[2:5], off, off offset:384
	scratch_load_b128 v[6:9], off, off offset:400
	scratch_load_b128 v[10:13], off, off offset:416
	scratch_load_b128 v[14:17], off, off offset:432
	scratch_load_b128 v[18:21], off, off offset:448
	ds_load_b128 v[22:25], v1 offset:1408
	ds_load_b128 v[26:29], v1 offset:1424
	scratch_load_b128 v[30:33], off, off offset:368
	s_mov_b32 s2, exec_lo
	s_waitcnt vmcnt(5) lgkmcnt(1)
	v_mul_f64 v[34:35], v[24:25], v[4:5]
	v_mul_f64 v[4:5], v[22:23], v[4:5]
	s_waitcnt vmcnt(4) lgkmcnt(0)
	v_mul_f64 v[36:37], v[26:27], v[8:9]
	v_mul_f64 v[8:9], v[28:29], v[8:9]
	s_delay_alu instid0(VALU_DEP_4) | instskip(NEXT) | instid1(VALU_DEP_4)
	v_fma_f64 v[22:23], v[22:23], v[2:3], -v[34:35]
	v_fma_f64 v[24:25], v[24:25], v[2:3], v[4:5]
	ds_load_b128 v[2:5], v1 offset:1440
	v_fma_f64 v[28:29], v[28:29], v[6:7], v[36:37]
	v_fma_f64 v[26:27], v[26:27], v[6:7], -v[8:9]
	ds_load_b128 v[6:9], v1 offset:1456
	s_waitcnt vmcnt(3) lgkmcnt(1)
	v_mul_f64 v[34:35], v[2:3], v[12:13]
	v_mul_f64 v[12:13], v[4:5], v[12:13]
	s_waitcnt vmcnt(2) lgkmcnt(0)
	v_mul_f64 v[36:37], v[6:7], v[16:17]
	s_delay_alu instid0(VALU_DEP_3) | instskip(NEXT) | instid1(VALU_DEP_3)
	v_fma_f64 v[34:35], v[4:5], v[10:11], v[34:35]
	v_fma_f64 v[38:39], v[2:3], v[10:11], -v[12:13]
	v_mul_f64 v[10:11], v[8:9], v[16:17]
	ds_load_b128 v[2:5], v1 offset:1472
	v_fma_f64 v[16:17], v[8:9], v[14:15], v[36:37]
	v_fma_f64 v[14:15], v[6:7], v[14:15], -v[10:11]
	ds_load_b128 v[6:9], v1 offset:1488
	s_waitcnt vmcnt(1) lgkmcnt(1)
	v_mul_f64 v[10:11], v[2:3], v[20:21]
	v_mul_f64 v[12:13], v[4:5], v[20:21]
	s_delay_alu instid0(VALU_DEP_2) | instskip(NEXT) | instid1(VALU_DEP_2)
	v_fma_f64 v[20:21], v[4:5], v[18:19], v[10:11]
	v_fma_f64 v[18:19], v[2:3], v[18:19], -v[12:13]
	s_clause 0x1
	scratch_load_b128 v[2:5], off, off offset:464
	scratch_load_b128 v[10:13], off, off offset:480
	s_waitcnt vmcnt(1) lgkmcnt(0)
	v_mul_f64 v[36:37], v[6:7], v[4:5]
	v_mul_f64 v[4:5], v[8:9], v[4:5]
	s_delay_alu instid0(VALU_DEP_2) | instskip(NEXT) | instid1(VALU_DEP_2)
	v_fma_f64 v[36:37], v[8:9], v[2:3], v[36:37]
	v_fma_f64 v[40:41], v[6:7], v[2:3], -v[4:5]
	ds_load_b128 v[2:5], v1 offset:1504
	ds_load_b128 v[6:9], v1 offset:1520
	s_waitcnt vmcnt(0) lgkmcnt(1)
	v_mul_f64 v[42:43], v[2:3], v[12:13]
	s_delay_alu instid0(VALU_DEP_1) | instskip(SKIP_1) | instid1(VALU_DEP_1)
	v_fma_f64 v[42:43], v[4:5], v[10:11], v[42:43]
	v_mul_f64 v[4:5], v[4:5], v[12:13]
	v_fma_f64 v[44:45], v[2:3], v[10:11], -v[4:5]
	s_clause 0x1
	scratch_load_b128 v[2:5], off, off offset:496
	scratch_load_b128 v[10:13], off, off offset:512
	s_waitcnt vmcnt(1) lgkmcnt(0)
	v_mul_f64 v[46:47], v[6:7], v[4:5]
	v_mul_f64 v[4:5], v[8:9], v[4:5]
	s_delay_alu instid0(VALU_DEP_2) | instskip(NEXT) | instid1(VALU_DEP_2)
	v_fma_f64 v[46:47], v[8:9], v[2:3], v[46:47]
	v_fma_f64 v[48:49], v[6:7], v[2:3], -v[4:5]
	ds_load_b128 v[2:5], v1 offset:1536
	ds_load_b128 v[6:9], v1 offset:1552
	s_waitcnt vmcnt(0) lgkmcnt(1)
	v_mul_f64 v[54:55], v[2:3], v[12:13]
	s_delay_alu instid0(VALU_DEP_1) | instskip(SKIP_1) | instid1(VALU_DEP_1)
	v_fma_f64 v[54:55], v[4:5], v[10:11], v[54:55]
	v_mul_f64 v[4:5], v[4:5], v[12:13]
	;; [unrolled: 17-line block ×16, first 2 shown]
	v_fma_f64 v[84:85], v[2:3], v[10:11], -v[4:5]
	v_add_f64 v[2:3], v[22:23], 0
	v_add_f64 v[4:5], v[24:25], 0
	s_delay_alu instid0(VALU_DEP_2) | instskip(NEXT) | instid1(VALU_DEP_2)
	v_add_f64 v[2:3], v[2:3], v[26:27]
	v_add_f64 v[4:5], v[4:5], v[28:29]
	s_delay_alu instid0(VALU_DEP_2) | instskip(NEXT) | instid1(VALU_DEP_2)
	;; [unrolled: 3-line block ×30, first 2 shown]
	v_add_f64 v[2:3], v[2:3], v[236:237]
	v_add_f64 v[10:11], v[4:5], v[234:235]
	s_delay_alu instid0(VALU_DEP_2)
	v_add_f64 v[12:13], v[2:3], v[240:241]
	scratch_load_b128 v[2:5], off, off offset:976
	v_add_f64 v[14:15], v[10:11], v[238:239]
	v_add_f64 v[16:17], v[12:13], v[245:246]
	scratch_load_b128 v[10:13], off, off offset:992
	v_add_f64 v[18:19], v[14:15], v[243:244]
	;; [unrolled: 3-line block ×3, first 2 shown]
	v_add_f64 v[20:21], v[20:21], v[253:254]
	s_delay_alu instid0(VALU_DEP_2) | instskip(NEXT) | instid1(VALU_DEP_2)
	v_add_f64 v[18:19], v[18:19], v[251:252]
	v_add_f64 v[28:29], v[20:21], v[80:81]
	s_delay_alu instid0(VALU_DEP_2)
	v_add_f64 v[34:35], v[18:19], v[78:79]
	ds_load_b128 v[18:21], v1 offset:2016
	ds_load_b128 v[22:25], v1 offset:2032
	s_waitcnt vmcnt(2) lgkmcnt(2)
	v_mul_f64 v[26:27], v[6:7], v[4:5]
	v_mul_f64 v[4:5], v[8:9], v[4:5]
	s_waitcnt vmcnt(1) lgkmcnt(1)
	v_mul_f64 v[36:37], v[18:19], v[12:13]
	s_delay_alu instid0(VALU_DEP_3) | instskip(NEXT) | instid1(VALU_DEP_3)
	v_fma_f64 v[8:9], v[8:9], v[2:3], v[26:27]
	v_fma_f64 v[1:2], v[6:7], v[2:3], -v[4:5]
	v_mul_f64 v[3:4], v[20:21], v[12:13]
	v_add_f64 v[5:6], v[28:29], v[84:85]
	v_add_f64 v[12:13], v[34:35], v[82:83]
	s_waitcnt vmcnt(0) lgkmcnt(0)
	v_mul_f64 v[26:27], v[22:23], v[16:17]
	v_mul_f64 v[16:17], v[24:25], v[16:17]
	v_fma_f64 v[20:21], v[20:21], v[10:11], v[36:37]
	v_fma_f64 v[3:4], v[18:19], v[10:11], -v[3:4]
	v_add_f64 v[1:2], v[5:6], v[1:2]
	v_add_f64 v[5:6], v[12:13], v[8:9]
	v_fma_f64 v[7:8], v[24:25], v[14:15], v[26:27]
	v_fma_f64 v[9:10], v[22:23], v[14:15], -v[16:17]
	s_delay_alu instid0(VALU_DEP_4) | instskip(NEXT) | instid1(VALU_DEP_4)
	v_add_f64 v[1:2], v[1:2], v[3:4]
	v_add_f64 v[3:4], v[5:6], v[20:21]
	s_delay_alu instid0(VALU_DEP_2) | instskip(NEXT) | instid1(VALU_DEP_2)
	v_add_f64 v[1:2], v[1:2], v[9:10]
	v_add_f64 v[3:4], v[3:4], v[7:8]
	s_delay_alu instid0(VALU_DEP_2) | instskip(NEXT) | instid1(VALU_DEP_2)
	v_add_f64 v[1:2], v[30:31], -v[1:2]
	v_add_f64 v[3:4], v[32:33], -v[3:4]
	scratch_store_b128 off, v[1:4], off offset:368
	v_cmpx_lt_u32_e32 22, v178
	s_cbranch_execz .LBB63_364
; %bb.363:
	scratch_load_b32 v1, off, off offset:1208 ; 4-byte Folded Reload
	v_mov_b32_e32 v5, 0
	s_delay_alu instid0(VALU_DEP_1)
	v_mov_b32_e32 v6, v5
	v_mov_b32_e32 v7, v5
	;; [unrolled: 1-line block ×3, first 2 shown]
	s_waitcnt vmcnt(0)
	scratch_load_b128 v[1:4], v1, off
	scratch_store_b128 off, v[5:8], off offset:352
	s_waitcnt vmcnt(0)
	ds_store_b128 v242, v[1:4]
.LBB63_364:
	s_or_b32 exec_lo, exec_lo, s2
	s_waitcnt lgkmcnt(0)
	s_waitcnt_vscnt null, 0x0
	s_barrier
	buffer_gl0_inv
	s_clause 0x4
	scratch_load_b128 v[2:5], off, off offset:368
	scratch_load_b128 v[6:9], off, off offset:384
	;; [unrolled: 1-line block ×5, first 2 shown]
	v_mov_b32_e32 v1, 0
	scratch_load_b128 v[26:29], off, off offset:352
	s_mov_b32 s2, exec_lo
	ds_load_b128 v[22:25], v1 offset:1392
	ds_load_b128 v[30:33], v1 offset:1408
	s_waitcnt vmcnt(5) lgkmcnt(1)
	v_mul_f64 v[34:35], v[24:25], v[4:5]
	v_mul_f64 v[4:5], v[22:23], v[4:5]
	s_waitcnt vmcnt(4) lgkmcnt(0)
	v_mul_f64 v[36:37], v[30:31], v[8:9]
	v_mul_f64 v[8:9], v[32:33], v[8:9]
	s_delay_alu instid0(VALU_DEP_4) | instskip(NEXT) | instid1(VALU_DEP_4)
	v_fma_f64 v[22:23], v[22:23], v[2:3], -v[34:35]
	v_fma_f64 v[24:25], v[24:25], v[2:3], v[4:5]
	ds_load_b128 v[2:5], v1 offset:1424
	v_fma_f64 v[32:33], v[32:33], v[6:7], v[36:37]
	v_fma_f64 v[30:31], v[30:31], v[6:7], -v[8:9]
	ds_load_b128 v[6:9], v1 offset:1440
	s_waitcnt vmcnt(3) lgkmcnt(1)
	v_mul_f64 v[34:35], v[2:3], v[12:13]
	v_mul_f64 v[12:13], v[4:5], v[12:13]
	s_waitcnt vmcnt(2) lgkmcnt(0)
	v_mul_f64 v[36:37], v[6:7], v[16:17]
	s_delay_alu instid0(VALU_DEP_3) | instskip(NEXT) | instid1(VALU_DEP_3)
	v_fma_f64 v[34:35], v[4:5], v[10:11], v[34:35]
	v_fma_f64 v[38:39], v[2:3], v[10:11], -v[12:13]
	v_mul_f64 v[10:11], v[8:9], v[16:17]
	ds_load_b128 v[2:5], v1 offset:1456
	v_fma_f64 v[16:17], v[8:9], v[14:15], v[36:37]
	v_fma_f64 v[14:15], v[6:7], v[14:15], -v[10:11]
	ds_load_b128 v[6:9], v1 offset:1472
	s_waitcnt vmcnt(1) lgkmcnt(1)
	v_mul_f64 v[10:11], v[2:3], v[20:21]
	v_mul_f64 v[12:13], v[4:5], v[20:21]
	s_delay_alu instid0(VALU_DEP_2) | instskip(NEXT) | instid1(VALU_DEP_2)
	v_fma_f64 v[20:21], v[4:5], v[18:19], v[10:11]
	v_fma_f64 v[18:19], v[2:3], v[18:19], -v[12:13]
	s_clause 0x1
	scratch_load_b128 v[2:5], off, off offset:448
	scratch_load_b128 v[10:13], off, off offset:464
	s_waitcnt vmcnt(1) lgkmcnt(0)
	v_mul_f64 v[36:37], v[6:7], v[4:5]
	v_mul_f64 v[4:5], v[8:9], v[4:5]
	s_delay_alu instid0(VALU_DEP_2) | instskip(NEXT) | instid1(VALU_DEP_2)
	v_fma_f64 v[36:37], v[8:9], v[2:3], v[36:37]
	v_fma_f64 v[40:41], v[6:7], v[2:3], -v[4:5]
	ds_load_b128 v[2:5], v1 offset:1488
	ds_load_b128 v[6:9], v1 offset:1504
	s_waitcnt vmcnt(0) lgkmcnt(1)
	v_mul_f64 v[42:43], v[2:3], v[12:13]
	s_delay_alu instid0(VALU_DEP_1) | instskip(SKIP_1) | instid1(VALU_DEP_1)
	v_fma_f64 v[42:43], v[4:5], v[10:11], v[42:43]
	v_mul_f64 v[4:5], v[4:5], v[12:13]
	v_fma_f64 v[44:45], v[2:3], v[10:11], -v[4:5]
	s_clause 0x1
	scratch_load_b128 v[2:5], off, off offset:480
	scratch_load_b128 v[10:13], off, off offset:496
	s_waitcnt vmcnt(1) lgkmcnt(0)
	v_mul_f64 v[46:47], v[6:7], v[4:5]
	v_mul_f64 v[4:5], v[8:9], v[4:5]
	s_delay_alu instid0(VALU_DEP_2) | instskip(NEXT) | instid1(VALU_DEP_2)
	v_fma_f64 v[46:47], v[8:9], v[2:3], v[46:47]
	v_fma_f64 v[48:49], v[6:7], v[2:3], -v[4:5]
	ds_load_b128 v[2:5], v1 offset:1520
	ds_load_b128 v[6:9], v1 offset:1536
	s_waitcnt vmcnt(0) lgkmcnt(1)
	v_mul_f64 v[54:55], v[2:3], v[12:13]
	s_delay_alu instid0(VALU_DEP_1) | instskip(SKIP_1) | instid1(VALU_DEP_1)
	v_fma_f64 v[54:55], v[4:5], v[10:11], v[54:55]
	v_mul_f64 v[4:5], v[4:5], v[12:13]
	;; [unrolled: 17-line block ×16, first 2 shown]
	v_fma_f64 v[253:254], v[2:3], v[10:11], -v[4:5]
	v_add_f64 v[2:3], v[22:23], 0
	v_add_f64 v[4:5], v[24:25], 0
	s_delay_alu instid0(VALU_DEP_2) | instskip(NEXT) | instid1(VALU_DEP_2)
	v_add_f64 v[2:3], v[2:3], v[30:31]
	v_add_f64 v[4:5], v[4:5], v[32:33]
	s_delay_alu instid0(VALU_DEP_2) | instskip(NEXT) | instid1(VALU_DEP_2)
	;; [unrolled: 3-line block ×30, first 2 shown]
	v_add_f64 v[2:3], v[2:3], v[228:229]
	v_add_f64 v[10:11], v[4:5], v[226:227]
	s_delay_alu instid0(VALU_DEP_2)
	v_add_f64 v[12:13], v[2:3], v[232:233]
	scratch_load_b128 v[2:5], off, off offset:960
	v_add_f64 v[14:15], v[10:11], v[230:231]
	v_add_f64 v[16:17], v[12:13], v[236:237]
	scratch_load_b128 v[10:13], off, off offset:976
	v_add_f64 v[18:19], v[14:15], v[234:235]
	;; [unrolled: 3-line block ×4, first 2 shown]
	v_add_f64 v[24:25], v[24:25], v[249:250]
	s_delay_alu instid0(VALU_DEP_2) | instskip(NEXT) | instid1(VALU_DEP_2)
	v_add_f64 v[22:23], v[22:23], v[247:248]
	v_add_f64 v[24:25], v[24:25], v[253:254]
	s_delay_alu instid0(VALU_DEP_2) | instskip(SKIP_3) | instid1(VALU_DEP_2)
	v_add_f64 v[22:23], v[22:23], v[251:252]
	s_waitcnt vmcnt(3) lgkmcnt(0)
	v_mul_f64 v[30:31], v[6:7], v[4:5]
	v_mul_f64 v[4:5], v[8:9], v[4:5]
	v_fma_f64 v[30:31], v[8:9], v[2:3], v[30:31]
	s_delay_alu instid0(VALU_DEP_2)
	v_fma_f64 v[32:33], v[6:7], v[2:3], -v[4:5]
	ds_load_b128 v[2:5], v1 offset:2000
	ds_load_b128 v[6:9], v1 offset:2016
	s_waitcnt vmcnt(2) lgkmcnt(1)
	v_mul_f64 v[34:35], v[2:3], v[12:13]
	v_mul_f64 v[12:13], v[4:5], v[12:13]
	s_waitcnt vmcnt(1) lgkmcnt(0)
	v_mul_f64 v[36:37], v[6:7], v[16:17]
	v_add_f64 v[22:23], v[22:23], v[30:31]
	s_delay_alu instid0(VALU_DEP_4) | instskip(NEXT) | instid1(VALU_DEP_4)
	v_fma_f64 v[34:35], v[4:5], v[10:11], v[34:35]
	v_fma_f64 v[10:11], v[2:3], v[10:11], -v[12:13]
	v_mul_f64 v[12:13], v[8:9], v[16:17]
	v_add_f64 v[16:17], v[24:25], v[32:33]
	ds_load_b128 v[2:5], v1 offset:2032
	v_fma_f64 v[8:9], v[8:9], v[14:15], v[36:37]
	s_waitcnt vmcnt(0) lgkmcnt(0)
	v_mul_f64 v[24:25], v[2:3], v[20:21]
	v_mul_f64 v[20:21], v[4:5], v[20:21]
	v_fma_f64 v[6:7], v[6:7], v[14:15], -v[12:13]
	v_add_f64 v[10:11], v[16:17], v[10:11]
	v_add_f64 v[12:13], v[22:23], v[34:35]
	v_fma_f64 v[4:5], v[4:5], v[18:19], v[24:25]
	v_fma_f64 v[2:3], v[2:3], v[18:19], -v[20:21]
	s_delay_alu instid0(VALU_DEP_4) | instskip(NEXT) | instid1(VALU_DEP_4)
	v_add_f64 v[6:7], v[10:11], v[6:7]
	v_add_f64 v[8:9], v[12:13], v[8:9]
	s_delay_alu instid0(VALU_DEP_2) | instskip(NEXT) | instid1(VALU_DEP_2)
	v_add_f64 v[2:3], v[6:7], v[2:3]
	v_add_f64 v[4:5], v[8:9], v[4:5]
	s_delay_alu instid0(VALU_DEP_2) | instskip(NEXT) | instid1(VALU_DEP_2)
	v_add_f64 v[2:3], v[26:27], -v[2:3]
	v_add_f64 v[4:5], v[28:29], -v[4:5]
	scratch_store_b128 off, v[2:5], off offset:352
	v_cmpx_lt_u32_e32 21, v178
	s_cbranch_execz .LBB63_366
; %bb.365:
	scratch_load_b32 v2, off, off offset:1212 ; 4-byte Folded Reload
	v_mov_b32_e32 v3, v1
	v_mov_b32_e32 v4, v1
	s_waitcnt vmcnt(0)
	scratch_load_b128 v[5:8], v2, off
	v_mov_b32_e32 v2, v1
	scratch_store_b128 off, v[1:4], off offset:336
	s_waitcnt vmcnt(0)
	ds_store_b128 v242, v[5:8]
.LBB63_366:
	s_or_b32 exec_lo, exec_lo, s2
	s_waitcnt lgkmcnt(0)
	s_waitcnt_vscnt null, 0x0
	s_barrier
	buffer_gl0_inv
	s_clause 0x4
	scratch_load_b128 v[2:5], off, off offset:352
	scratch_load_b128 v[6:9], off, off offset:368
	;; [unrolled: 1-line block ×5, first 2 shown]
	ds_load_b128 v[22:25], v1 offset:1376
	ds_load_b128 v[26:29], v1 offset:1392
	scratch_load_b128 v[30:33], off, off offset:336
	s_mov_b32 s2, exec_lo
	s_waitcnt vmcnt(5) lgkmcnt(1)
	v_mul_f64 v[34:35], v[24:25], v[4:5]
	v_mul_f64 v[4:5], v[22:23], v[4:5]
	s_waitcnt vmcnt(4) lgkmcnt(0)
	v_mul_f64 v[36:37], v[26:27], v[8:9]
	v_mul_f64 v[8:9], v[28:29], v[8:9]
	s_delay_alu instid0(VALU_DEP_4) | instskip(NEXT) | instid1(VALU_DEP_4)
	v_fma_f64 v[22:23], v[22:23], v[2:3], -v[34:35]
	v_fma_f64 v[24:25], v[24:25], v[2:3], v[4:5]
	ds_load_b128 v[2:5], v1 offset:1408
	v_fma_f64 v[28:29], v[28:29], v[6:7], v[36:37]
	v_fma_f64 v[26:27], v[26:27], v[6:7], -v[8:9]
	ds_load_b128 v[6:9], v1 offset:1424
	s_waitcnt vmcnt(3) lgkmcnt(1)
	v_mul_f64 v[34:35], v[2:3], v[12:13]
	v_mul_f64 v[12:13], v[4:5], v[12:13]
	s_waitcnt vmcnt(2) lgkmcnt(0)
	v_mul_f64 v[36:37], v[6:7], v[16:17]
	s_delay_alu instid0(VALU_DEP_3) | instskip(NEXT) | instid1(VALU_DEP_3)
	v_fma_f64 v[34:35], v[4:5], v[10:11], v[34:35]
	v_fma_f64 v[38:39], v[2:3], v[10:11], -v[12:13]
	v_mul_f64 v[10:11], v[8:9], v[16:17]
	ds_load_b128 v[2:5], v1 offset:1440
	v_fma_f64 v[16:17], v[8:9], v[14:15], v[36:37]
	v_fma_f64 v[14:15], v[6:7], v[14:15], -v[10:11]
	ds_load_b128 v[6:9], v1 offset:1456
	s_waitcnt vmcnt(1) lgkmcnt(1)
	v_mul_f64 v[10:11], v[2:3], v[20:21]
	v_mul_f64 v[12:13], v[4:5], v[20:21]
	s_delay_alu instid0(VALU_DEP_2) | instskip(NEXT) | instid1(VALU_DEP_2)
	v_fma_f64 v[20:21], v[4:5], v[18:19], v[10:11]
	v_fma_f64 v[18:19], v[2:3], v[18:19], -v[12:13]
	s_clause 0x1
	scratch_load_b128 v[2:5], off, off offset:432
	scratch_load_b128 v[10:13], off, off offset:448
	s_waitcnt vmcnt(1) lgkmcnt(0)
	v_mul_f64 v[36:37], v[6:7], v[4:5]
	v_mul_f64 v[4:5], v[8:9], v[4:5]
	s_delay_alu instid0(VALU_DEP_2) | instskip(NEXT) | instid1(VALU_DEP_2)
	v_fma_f64 v[36:37], v[8:9], v[2:3], v[36:37]
	v_fma_f64 v[40:41], v[6:7], v[2:3], -v[4:5]
	ds_load_b128 v[2:5], v1 offset:1472
	ds_load_b128 v[6:9], v1 offset:1488
	s_waitcnt vmcnt(0) lgkmcnt(1)
	v_mul_f64 v[42:43], v[2:3], v[12:13]
	s_delay_alu instid0(VALU_DEP_1) | instskip(SKIP_1) | instid1(VALU_DEP_1)
	v_fma_f64 v[42:43], v[4:5], v[10:11], v[42:43]
	v_mul_f64 v[4:5], v[4:5], v[12:13]
	v_fma_f64 v[44:45], v[2:3], v[10:11], -v[4:5]
	s_clause 0x1
	scratch_load_b128 v[2:5], off, off offset:464
	scratch_load_b128 v[10:13], off, off offset:480
	s_waitcnt vmcnt(1) lgkmcnt(0)
	v_mul_f64 v[46:47], v[6:7], v[4:5]
	v_mul_f64 v[4:5], v[8:9], v[4:5]
	s_delay_alu instid0(VALU_DEP_2) | instskip(NEXT) | instid1(VALU_DEP_2)
	v_fma_f64 v[46:47], v[8:9], v[2:3], v[46:47]
	v_fma_f64 v[48:49], v[6:7], v[2:3], -v[4:5]
	ds_load_b128 v[2:5], v1 offset:1504
	ds_load_b128 v[6:9], v1 offset:1520
	s_waitcnt vmcnt(0) lgkmcnt(1)
	v_mul_f64 v[54:55], v[2:3], v[12:13]
	s_delay_alu instid0(VALU_DEP_1) | instskip(SKIP_1) | instid1(VALU_DEP_1)
	v_fma_f64 v[54:55], v[4:5], v[10:11], v[54:55]
	v_mul_f64 v[4:5], v[4:5], v[12:13]
	;; [unrolled: 17-line block ×17, first 2 shown]
	v_fma_f64 v[52:53], v[2:3], v[10:11], -v[4:5]
	v_add_f64 v[2:3], v[22:23], 0
	v_add_f64 v[4:5], v[24:25], 0
	s_delay_alu instid0(VALU_DEP_2) | instskip(NEXT) | instid1(VALU_DEP_2)
	v_add_f64 v[2:3], v[2:3], v[26:27]
	v_add_f64 v[4:5], v[4:5], v[28:29]
	s_delay_alu instid0(VALU_DEP_2) | instskip(NEXT) | instid1(VALU_DEP_2)
	;; [unrolled: 3-line block ×32, first 2 shown]
	v_add_f64 v[2:3], v[2:3], v[236:237]
	v_add_f64 v[10:11], v[4:5], v[234:235]
	s_delay_alu instid0(VALU_DEP_2)
	v_add_f64 v[12:13], v[2:3], v[240:241]
	scratch_load_b128 v[2:5], off, off offset:976
	v_add_f64 v[14:15], v[10:11], v[238:239]
	v_add_f64 v[16:17], v[12:13], v[245:246]
	scratch_load_b128 v[10:13], off, off offset:992
	v_add_f64 v[18:19], v[14:15], v[243:244]
	;; [unrolled: 3-line block ×3, first 2 shown]
	v_add_f64 v[20:21], v[20:21], v[253:254]
	s_delay_alu instid0(VALU_DEP_2) | instskip(NEXT) | instid1(VALU_DEP_2)
	v_add_f64 v[18:19], v[18:19], v[251:252]
	v_add_f64 v[28:29], v[20:21], v[90:91]
	s_delay_alu instid0(VALU_DEP_2)
	v_add_f64 v[34:35], v[18:19], v[86:87]
	ds_load_b128 v[18:21], v1 offset:2016
	ds_load_b128 v[22:25], v1 offset:2032
	s_waitcnt vmcnt(2) lgkmcnt(2)
	v_mul_f64 v[26:27], v[6:7], v[4:5]
	v_mul_f64 v[4:5], v[8:9], v[4:5]
	s_waitcnt vmcnt(1) lgkmcnt(1)
	v_mul_f64 v[36:37], v[18:19], v[12:13]
	s_delay_alu instid0(VALU_DEP_3) | instskip(NEXT) | instid1(VALU_DEP_3)
	v_fma_f64 v[8:9], v[8:9], v[2:3], v[26:27]
	v_fma_f64 v[1:2], v[6:7], v[2:3], -v[4:5]
	v_mul_f64 v[3:4], v[20:21], v[12:13]
	v_add_f64 v[5:6], v[28:29], v[52:53]
	v_add_f64 v[12:13], v[34:35], v[94:95]
	s_waitcnt vmcnt(0) lgkmcnt(0)
	v_mul_f64 v[26:27], v[22:23], v[16:17]
	v_mul_f64 v[16:17], v[24:25], v[16:17]
	v_fma_f64 v[20:21], v[20:21], v[10:11], v[36:37]
	v_fma_f64 v[3:4], v[18:19], v[10:11], -v[3:4]
	v_add_f64 v[1:2], v[5:6], v[1:2]
	v_add_f64 v[5:6], v[12:13], v[8:9]
	v_fma_f64 v[7:8], v[24:25], v[14:15], v[26:27]
	v_fma_f64 v[9:10], v[22:23], v[14:15], -v[16:17]
	s_delay_alu instid0(VALU_DEP_4) | instskip(NEXT) | instid1(VALU_DEP_4)
	v_add_f64 v[1:2], v[1:2], v[3:4]
	v_add_f64 v[3:4], v[5:6], v[20:21]
	s_delay_alu instid0(VALU_DEP_2) | instskip(NEXT) | instid1(VALU_DEP_2)
	v_add_f64 v[1:2], v[1:2], v[9:10]
	v_add_f64 v[3:4], v[3:4], v[7:8]
	s_delay_alu instid0(VALU_DEP_2) | instskip(NEXT) | instid1(VALU_DEP_2)
	v_add_f64 v[1:2], v[30:31], -v[1:2]
	v_add_f64 v[3:4], v[32:33], -v[3:4]
	scratch_store_b128 off, v[1:4], off offset:336
	v_cmpx_lt_u32_e32 20, v178
	s_cbranch_execz .LBB63_368
; %bb.367:
	scratch_load_b32 v1, off, off offset:1216 ; 4-byte Folded Reload
	v_mov_b32_e32 v5, 0
	s_delay_alu instid0(VALU_DEP_1)
	v_mov_b32_e32 v6, v5
	v_mov_b32_e32 v7, v5
	;; [unrolled: 1-line block ×3, first 2 shown]
	s_waitcnt vmcnt(0)
	scratch_load_b128 v[1:4], v1, off
	scratch_store_b128 off, v[5:8], off offset:320
	s_waitcnt vmcnt(0)
	ds_store_b128 v242, v[1:4]
.LBB63_368:
	s_or_b32 exec_lo, exec_lo, s2
	s_waitcnt lgkmcnt(0)
	s_waitcnt_vscnt null, 0x0
	s_barrier
	buffer_gl0_inv
	s_clause 0x4
	scratch_load_b128 v[2:5], off, off offset:336
	scratch_load_b128 v[6:9], off, off offset:352
	;; [unrolled: 1-line block ×5, first 2 shown]
	v_mov_b32_e32 v1, 0
	scratch_load_b128 v[26:29], off, off offset:320
	s_mov_b32 s2, exec_lo
	ds_load_b128 v[22:25], v1 offset:1360
	ds_load_b128 v[30:33], v1 offset:1376
	s_waitcnt vmcnt(5) lgkmcnt(1)
	v_mul_f64 v[34:35], v[24:25], v[4:5]
	v_mul_f64 v[4:5], v[22:23], v[4:5]
	s_waitcnt vmcnt(4) lgkmcnt(0)
	v_mul_f64 v[36:37], v[30:31], v[8:9]
	v_mul_f64 v[8:9], v[32:33], v[8:9]
	s_delay_alu instid0(VALU_DEP_4) | instskip(NEXT) | instid1(VALU_DEP_4)
	v_fma_f64 v[22:23], v[22:23], v[2:3], -v[34:35]
	v_fma_f64 v[24:25], v[24:25], v[2:3], v[4:5]
	ds_load_b128 v[2:5], v1 offset:1392
	v_fma_f64 v[32:33], v[32:33], v[6:7], v[36:37]
	v_fma_f64 v[30:31], v[30:31], v[6:7], -v[8:9]
	ds_load_b128 v[6:9], v1 offset:1408
	s_waitcnt vmcnt(3) lgkmcnt(1)
	v_mul_f64 v[34:35], v[2:3], v[12:13]
	v_mul_f64 v[12:13], v[4:5], v[12:13]
	s_waitcnt vmcnt(2) lgkmcnt(0)
	v_mul_f64 v[36:37], v[6:7], v[16:17]
	s_delay_alu instid0(VALU_DEP_3) | instskip(NEXT) | instid1(VALU_DEP_3)
	v_fma_f64 v[34:35], v[4:5], v[10:11], v[34:35]
	v_fma_f64 v[38:39], v[2:3], v[10:11], -v[12:13]
	v_mul_f64 v[10:11], v[8:9], v[16:17]
	ds_load_b128 v[2:5], v1 offset:1424
	v_fma_f64 v[16:17], v[8:9], v[14:15], v[36:37]
	v_fma_f64 v[14:15], v[6:7], v[14:15], -v[10:11]
	ds_load_b128 v[6:9], v1 offset:1440
	s_waitcnt vmcnt(1) lgkmcnt(1)
	v_mul_f64 v[10:11], v[2:3], v[20:21]
	v_mul_f64 v[12:13], v[4:5], v[20:21]
	s_delay_alu instid0(VALU_DEP_2) | instskip(NEXT) | instid1(VALU_DEP_2)
	v_fma_f64 v[20:21], v[4:5], v[18:19], v[10:11]
	v_fma_f64 v[18:19], v[2:3], v[18:19], -v[12:13]
	s_clause 0x1
	scratch_load_b128 v[2:5], off, off offset:416
	scratch_load_b128 v[10:13], off, off offset:432
	s_waitcnt vmcnt(1) lgkmcnt(0)
	v_mul_f64 v[36:37], v[6:7], v[4:5]
	v_mul_f64 v[4:5], v[8:9], v[4:5]
	s_delay_alu instid0(VALU_DEP_2) | instskip(NEXT) | instid1(VALU_DEP_2)
	v_fma_f64 v[36:37], v[8:9], v[2:3], v[36:37]
	v_fma_f64 v[40:41], v[6:7], v[2:3], -v[4:5]
	ds_load_b128 v[2:5], v1 offset:1456
	ds_load_b128 v[6:9], v1 offset:1472
	s_waitcnt vmcnt(0) lgkmcnt(1)
	v_mul_f64 v[42:43], v[2:3], v[12:13]
	s_delay_alu instid0(VALU_DEP_1) | instskip(SKIP_1) | instid1(VALU_DEP_1)
	v_fma_f64 v[42:43], v[4:5], v[10:11], v[42:43]
	v_mul_f64 v[4:5], v[4:5], v[12:13]
	v_fma_f64 v[44:45], v[2:3], v[10:11], -v[4:5]
	s_clause 0x1
	scratch_load_b128 v[2:5], off, off offset:448
	scratch_load_b128 v[10:13], off, off offset:464
	s_waitcnt vmcnt(1) lgkmcnt(0)
	v_mul_f64 v[46:47], v[6:7], v[4:5]
	v_mul_f64 v[4:5], v[8:9], v[4:5]
	s_delay_alu instid0(VALU_DEP_2) | instskip(NEXT) | instid1(VALU_DEP_2)
	v_fma_f64 v[46:47], v[8:9], v[2:3], v[46:47]
	v_fma_f64 v[48:49], v[6:7], v[2:3], -v[4:5]
	ds_load_b128 v[2:5], v1 offset:1488
	ds_load_b128 v[6:9], v1 offset:1504
	s_waitcnt vmcnt(0) lgkmcnt(1)
	v_mul_f64 v[52:53], v[2:3], v[12:13]
	s_delay_alu instid0(VALU_DEP_1) | instskip(SKIP_1) | instid1(VALU_DEP_1)
	v_fma_f64 v[52:53], v[4:5], v[10:11], v[52:53]
	v_mul_f64 v[4:5], v[4:5], v[12:13]
	;; [unrolled: 17-line block ×17, first 2 shown]
	v_fma_f64 v[253:254], v[2:3], v[10:11], -v[4:5]
	v_add_f64 v[2:3], v[22:23], 0
	v_add_f64 v[4:5], v[24:25], 0
	s_delay_alu instid0(VALU_DEP_2) | instskip(NEXT) | instid1(VALU_DEP_2)
	v_add_f64 v[2:3], v[2:3], v[30:31]
	v_add_f64 v[4:5], v[4:5], v[32:33]
	s_delay_alu instid0(VALU_DEP_2) | instskip(NEXT) | instid1(VALU_DEP_2)
	;; [unrolled: 3-line block ×32, first 2 shown]
	v_add_f64 v[2:3], v[2:3], v[228:229]
	v_add_f64 v[10:11], v[4:5], v[226:227]
	s_delay_alu instid0(VALU_DEP_2)
	v_add_f64 v[12:13], v[2:3], v[232:233]
	scratch_load_b128 v[2:5], off, off offset:960
	v_add_f64 v[14:15], v[10:11], v[230:231]
	v_add_f64 v[16:17], v[12:13], v[236:237]
	scratch_load_b128 v[10:13], off, off offset:976
	v_add_f64 v[18:19], v[14:15], v[234:235]
	;; [unrolled: 3-line block ×4, first 2 shown]
	v_add_f64 v[24:25], v[24:25], v[249:250]
	s_delay_alu instid0(VALU_DEP_2) | instskip(NEXT) | instid1(VALU_DEP_2)
	v_add_f64 v[22:23], v[22:23], v[247:248]
	v_add_f64 v[24:25], v[24:25], v[253:254]
	s_delay_alu instid0(VALU_DEP_2) | instskip(SKIP_3) | instid1(VALU_DEP_2)
	v_add_f64 v[22:23], v[22:23], v[251:252]
	s_waitcnt vmcnt(3) lgkmcnt(0)
	v_mul_f64 v[30:31], v[6:7], v[4:5]
	v_mul_f64 v[4:5], v[8:9], v[4:5]
	v_fma_f64 v[30:31], v[8:9], v[2:3], v[30:31]
	s_delay_alu instid0(VALU_DEP_2)
	v_fma_f64 v[32:33], v[6:7], v[2:3], -v[4:5]
	ds_load_b128 v[2:5], v1 offset:2000
	ds_load_b128 v[6:9], v1 offset:2016
	s_waitcnt vmcnt(2) lgkmcnt(1)
	v_mul_f64 v[34:35], v[2:3], v[12:13]
	v_mul_f64 v[12:13], v[4:5], v[12:13]
	s_waitcnt vmcnt(1) lgkmcnt(0)
	v_mul_f64 v[36:37], v[6:7], v[16:17]
	v_add_f64 v[22:23], v[22:23], v[30:31]
	s_delay_alu instid0(VALU_DEP_4) | instskip(NEXT) | instid1(VALU_DEP_4)
	v_fma_f64 v[34:35], v[4:5], v[10:11], v[34:35]
	v_fma_f64 v[10:11], v[2:3], v[10:11], -v[12:13]
	v_mul_f64 v[12:13], v[8:9], v[16:17]
	v_add_f64 v[16:17], v[24:25], v[32:33]
	ds_load_b128 v[2:5], v1 offset:2032
	v_fma_f64 v[8:9], v[8:9], v[14:15], v[36:37]
	s_waitcnt vmcnt(0) lgkmcnt(0)
	v_mul_f64 v[24:25], v[2:3], v[20:21]
	v_mul_f64 v[20:21], v[4:5], v[20:21]
	v_fma_f64 v[6:7], v[6:7], v[14:15], -v[12:13]
	v_add_f64 v[10:11], v[16:17], v[10:11]
	v_add_f64 v[12:13], v[22:23], v[34:35]
	v_fma_f64 v[4:5], v[4:5], v[18:19], v[24:25]
	v_fma_f64 v[2:3], v[2:3], v[18:19], -v[20:21]
	s_delay_alu instid0(VALU_DEP_4) | instskip(NEXT) | instid1(VALU_DEP_4)
	v_add_f64 v[6:7], v[10:11], v[6:7]
	v_add_f64 v[8:9], v[12:13], v[8:9]
	s_delay_alu instid0(VALU_DEP_2) | instskip(NEXT) | instid1(VALU_DEP_2)
	v_add_f64 v[2:3], v[6:7], v[2:3]
	v_add_f64 v[4:5], v[8:9], v[4:5]
	s_delay_alu instid0(VALU_DEP_2) | instskip(NEXT) | instid1(VALU_DEP_2)
	v_add_f64 v[2:3], v[26:27], -v[2:3]
	v_add_f64 v[4:5], v[28:29], -v[4:5]
	scratch_store_b128 off, v[2:5], off offset:320
	v_cmpx_lt_u32_e32 19, v178
	s_cbranch_execz .LBB63_370
; %bb.369:
	scratch_load_b32 v2, off, off offset:1220 ; 4-byte Folded Reload
	v_mov_b32_e32 v3, v1
	v_mov_b32_e32 v4, v1
	s_waitcnt vmcnt(0)
	scratch_load_b128 v[5:8], v2, off
	v_mov_b32_e32 v2, v1
	scratch_store_b128 off, v[1:4], off offset:304
	s_waitcnt vmcnt(0)
	ds_store_b128 v242, v[5:8]
.LBB63_370:
	s_or_b32 exec_lo, exec_lo, s2
	s_waitcnt lgkmcnt(0)
	s_waitcnt_vscnt null, 0x0
	s_barrier
	buffer_gl0_inv
	s_clause 0x4
	scratch_load_b128 v[2:5], off, off offset:320
	scratch_load_b128 v[6:9], off, off offset:336
	;; [unrolled: 1-line block ×5, first 2 shown]
	ds_load_b128 v[22:25], v1 offset:1344
	ds_load_b128 v[26:29], v1 offset:1360
	scratch_load_b128 v[30:33], off, off offset:304
	s_mov_b32 s2, exec_lo
	s_waitcnt vmcnt(5) lgkmcnt(1)
	v_mul_f64 v[34:35], v[24:25], v[4:5]
	v_mul_f64 v[4:5], v[22:23], v[4:5]
	s_waitcnt vmcnt(4) lgkmcnt(0)
	v_mul_f64 v[36:37], v[26:27], v[8:9]
	v_mul_f64 v[8:9], v[28:29], v[8:9]
	s_delay_alu instid0(VALU_DEP_4) | instskip(NEXT) | instid1(VALU_DEP_4)
	v_fma_f64 v[22:23], v[22:23], v[2:3], -v[34:35]
	v_fma_f64 v[24:25], v[24:25], v[2:3], v[4:5]
	ds_load_b128 v[2:5], v1 offset:1376
	v_fma_f64 v[28:29], v[28:29], v[6:7], v[36:37]
	v_fma_f64 v[26:27], v[26:27], v[6:7], -v[8:9]
	ds_load_b128 v[6:9], v1 offset:1392
	s_waitcnt vmcnt(3) lgkmcnt(1)
	v_mul_f64 v[34:35], v[2:3], v[12:13]
	v_mul_f64 v[12:13], v[4:5], v[12:13]
	s_waitcnt vmcnt(2) lgkmcnt(0)
	v_mul_f64 v[36:37], v[6:7], v[16:17]
	s_delay_alu instid0(VALU_DEP_3) | instskip(NEXT) | instid1(VALU_DEP_3)
	v_fma_f64 v[34:35], v[4:5], v[10:11], v[34:35]
	v_fma_f64 v[38:39], v[2:3], v[10:11], -v[12:13]
	v_mul_f64 v[10:11], v[8:9], v[16:17]
	ds_load_b128 v[2:5], v1 offset:1408
	v_fma_f64 v[16:17], v[8:9], v[14:15], v[36:37]
	v_fma_f64 v[14:15], v[6:7], v[14:15], -v[10:11]
	ds_load_b128 v[6:9], v1 offset:1424
	s_waitcnt vmcnt(1) lgkmcnt(1)
	v_mul_f64 v[10:11], v[2:3], v[20:21]
	v_mul_f64 v[12:13], v[4:5], v[20:21]
	s_delay_alu instid0(VALU_DEP_2) | instskip(NEXT) | instid1(VALU_DEP_2)
	v_fma_f64 v[20:21], v[4:5], v[18:19], v[10:11]
	v_fma_f64 v[18:19], v[2:3], v[18:19], -v[12:13]
	s_clause 0x1
	scratch_load_b128 v[2:5], off, off offset:400
	scratch_load_b128 v[10:13], off, off offset:416
	s_waitcnt vmcnt(1) lgkmcnt(0)
	v_mul_f64 v[36:37], v[6:7], v[4:5]
	v_mul_f64 v[4:5], v[8:9], v[4:5]
	s_delay_alu instid0(VALU_DEP_2) | instskip(NEXT) | instid1(VALU_DEP_2)
	v_fma_f64 v[36:37], v[8:9], v[2:3], v[36:37]
	v_fma_f64 v[40:41], v[6:7], v[2:3], -v[4:5]
	ds_load_b128 v[2:5], v1 offset:1440
	ds_load_b128 v[6:9], v1 offset:1456
	s_waitcnt vmcnt(0) lgkmcnt(1)
	v_mul_f64 v[42:43], v[2:3], v[12:13]
	s_delay_alu instid0(VALU_DEP_1) | instskip(SKIP_1) | instid1(VALU_DEP_1)
	v_fma_f64 v[42:43], v[4:5], v[10:11], v[42:43]
	v_mul_f64 v[4:5], v[4:5], v[12:13]
	v_fma_f64 v[44:45], v[2:3], v[10:11], -v[4:5]
	s_clause 0x1
	scratch_load_b128 v[2:5], off, off offset:432
	scratch_load_b128 v[10:13], off, off offset:448
	s_waitcnt vmcnt(1) lgkmcnt(0)
	v_mul_f64 v[46:47], v[6:7], v[4:5]
	v_mul_f64 v[4:5], v[8:9], v[4:5]
	s_delay_alu instid0(VALU_DEP_2) | instskip(NEXT) | instid1(VALU_DEP_2)
	v_fma_f64 v[46:47], v[8:9], v[2:3], v[46:47]
	v_fma_f64 v[48:49], v[6:7], v[2:3], -v[4:5]
	ds_load_b128 v[2:5], v1 offset:1472
	ds_load_b128 v[6:9], v1 offset:1488
	s_waitcnt vmcnt(0) lgkmcnt(1)
	v_mul_f64 v[52:53], v[2:3], v[12:13]
	s_delay_alu instid0(VALU_DEP_1) | instskip(SKIP_1) | instid1(VALU_DEP_1)
	v_fma_f64 v[52:53], v[4:5], v[10:11], v[52:53]
	v_mul_f64 v[4:5], v[4:5], v[12:13]
	;; [unrolled: 17-line block ×18, first 2 shown]
	v_fma_f64 v[108:109], v[2:3], v[10:11], -v[4:5]
	v_add_f64 v[2:3], v[22:23], 0
	v_add_f64 v[4:5], v[24:25], 0
	s_delay_alu instid0(VALU_DEP_2) | instskip(NEXT) | instid1(VALU_DEP_2)
	v_add_f64 v[2:3], v[2:3], v[26:27]
	v_add_f64 v[4:5], v[4:5], v[28:29]
	s_delay_alu instid0(VALU_DEP_2) | instskip(NEXT) | instid1(VALU_DEP_2)
	;; [unrolled: 3-line block ×34, first 2 shown]
	v_add_f64 v[2:3], v[2:3], v[236:237]
	v_add_f64 v[10:11], v[4:5], v[234:235]
	s_delay_alu instid0(VALU_DEP_2)
	v_add_f64 v[12:13], v[2:3], v[240:241]
	scratch_load_b128 v[2:5], off, off offset:976
	v_add_f64 v[14:15], v[10:11], v[238:239]
	v_add_f64 v[16:17], v[12:13], v[245:246]
	scratch_load_b128 v[10:13], off, off offset:992
	v_add_f64 v[18:19], v[14:15], v[243:244]
	;; [unrolled: 3-line block ×3, first 2 shown]
	v_add_f64 v[20:21], v[20:21], v[253:254]
	s_delay_alu instid0(VALU_DEP_2) | instskip(NEXT) | instid1(VALU_DEP_2)
	v_add_f64 v[18:19], v[18:19], v[251:252]
	v_add_f64 v[28:29], v[20:21], v[104:105]
	s_delay_alu instid0(VALU_DEP_2)
	v_add_f64 v[34:35], v[18:19], v[102:103]
	ds_load_b128 v[18:21], v1 offset:2016
	ds_load_b128 v[22:25], v1 offset:2032
	s_waitcnt vmcnt(2) lgkmcnt(2)
	v_mul_f64 v[26:27], v[6:7], v[4:5]
	v_mul_f64 v[4:5], v[8:9], v[4:5]
	s_waitcnt vmcnt(1) lgkmcnt(1)
	v_mul_f64 v[36:37], v[18:19], v[12:13]
	s_delay_alu instid0(VALU_DEP_3) | instskip(NEXT) | instid1(VALU_DEP_3)
	v_fma_f64 v[8:9], v[8:9], v[2:3], v[26:27]
	v_fma_f64 v[1:2], v[6:7], v[2:3], -v[4:5]
	v_mul_f64 v[3:4], v[20:21], v[12:13]
	v_add_f64 v[5:6], v[28:29], v[108:109]
	v_add_f64 v[12:13], v[34:35], v[106:107]
	s_waitcnt vmcnt(0) lgkmcnt(0)
	v_mul_f64 v[26:27], v[22:23], v[16:17]
	v_mul_f64 v[16:17], v[24:25], v[16:17]
	v_fma_f64 v[20:21], v[20:21], v[10:11], v[36:37]
	v_fma_f64 v[3:4], v[18:19], v[10:11], -v[3:4]
	v_add_f64 v[1:2], v[5:6], v[1:2]
	v_add_f64 v[5:6], v[12:13], v[8:9]
	v_fma_f64 v[7:8], v[24:25], v[14:15], v[26:27]
	v_fma_f64 v[9:10], v[22:23], v[14:15], -v[16:17]
	s_delay_alu instid0(VALU_DEP_4) | instskip(NEXT) | instid1(VALU_DEP_4)
	v_add_f64 v[1:2], v[1:2], v[3:4]
	v_add_f64 v[3:4], v[5:6], v[20:21]
	s_delay_alu instid0(VALU_DEP_2) | instskip(NEXT) | instid1(VALU_DEP_2)
	v_add_f64 v[1:2], v[1:2], v[9:10]
	v_add_f64 v[3:4], v[3:4], v[7:8]
	s_delay_alu instid0(VALU_DEP_2) | instskip(NEXT) | instid1(VALU_DEP_2)
	v_add_f64 v[1:2], v[30:31], -v[1:2]
	v_add_f64 v[3:4], v[32:33], -v[3:4]
	scratch_store_b128 off, v[1:4], off offset:304
	v_cmpx_lt_u32_e32 18, v178
	s_cbranch_execz .LBB63_372
; %bb.371:
	scratch_load_b32 v1, off, off offset:1224 ; 4-byte Folded Reload
	v_mov_b32_e32 v5, 0
	s_delay_alu instid0(VALU_DEP_1)
	v_mov_b32_e32 v6, v5
	v_mov_b32_e32 v7, v5
	;; [unrolled: 1-line block ×3, first 2 shown]
	s_waitcnt vmcnt(0)
	scratch_load_b128 v[1:4], v1, off
	scratch_store_b128 off, v[5:8], off offset:288
	s_waitcnt vmcnt(0)
	ds_store_b128 v242, v[1:4]
.LBB63_372:
	s_or_b32 exec_lo, exec_lo, s2
	s_waitcnt lgkmcnt(0)
	s_waitcnt_vscnt null, 0x0
	s_barrier
	buffer_gl0_inv
	s_clause 0x4
	scratch_load_b128 v[2:5], off, off offset:304
	scratch_load_b128 v[6:9], off, off offset:320
	;; [unrolled: 1-line block ×5, first 2 shown]
	v_mov_b32_e32 v1, 0
	scratch_load_b128 v[26:29], off, off offset:288
	s_mov_b32 s2, exec_lo
	ds_load_b128 v[22:25], v1 offset:1328
	ds_load_b128 v[30:33], v1 offset:1344
	s_waitcnt vmcnt(5) lgkmcnt(1)
	v_mul_f64 v[34:35], v[24:25], v[4:5]
	v_mul_f64 v[4:5], v[22:23], v[4:5]
	s_waitcnt vmcnt(4) lgkmcnt(0)
	v_mul_f64 v[36:37], v[30:31], v[8:9]
	v_mul_f64 v[8:9], v[32:33], v[8:9]
	s_delay_alu instid0(VALU_DEP_4) | instskip(NEXT) | instid1(VALU_DEP_4)
	v_fma_f64 v[22:23], v[22:23], v[2:3], -v[34:35]
	v_fma_f64 v[24:25], v[24:25], v[2:3], v[4:5]
	ds_load_b128 v[2:5], v1 offset:1360
	v_fma_f64 v[32:33], v[32:33], v[6:7], v[36:37]
	v_fma_f64 v[30:31], v[30:31], v[6:7], -v[8:9]
	ds_load_b128 v[6:9], v1 offset:1376
	s_waitcnt vmcnt(3) lgkmcnt(1)
	v_mul_f64 v[34:35], v[2:3], v[12:13]
	v_mul_f64 v[12:13], v[4:5], v[12:13]
	s_waitcnt vmcnt(2) lgkmcnt(0)
	v_mul_f64 v[36:37], v[6:7], v[16:17]
	s_delay_alu instid0(VALU_DEP_3) | instskip(NEXT) | instid1(VALU_DEP_3)
	v_fma_f64 v[34:35], v[4:5], v[10:11], v[34:35]
	v_fma_f64 v[38:39], v[2:3], v[10:11], -v[12:13]
	v_mul_f64 v[10:11], v[8:9], v[16:17]
	ds_load_b128 v[2:5], v1 offset:1392
	v_fma_f64 v[16:17], v[8:9], v[14:15], v[36:37]
	v_fma_f64 v[14:15], v[6:7], v[14:15], -v[10:11]
	ds_load_b128 v[6:9], v1 offset:1408
	s_waitcnt vmcnt(1) lgkmcnt(1)
	v_mul_f64 v[10:11], v[2:3], v[20:21]
	v_mul_f64 v[12:13], v[4:5], v[20:21]
	s_delay_alu instid0(VALU_DEP_2) | instskip(NEXT) | instid1(VALU_DEP_2)
	v_fma_f64 v[20:21], v[4:5], v[18:19], v[10:11]
	v_fma_f64 v[18:19], v[2:3], v[18:19], -v[12:13]
	s_clause 0x1
	scratch_load_b128 v[2:5], off, off offset:384
	scratch_load_b128 v[10:13], off, off offset:400
	s_waitcnt vmcnt(1) lgkmcnt(0)
	v_mul_f64 v[36:37], v[6:7], v[4:5]
	v_mul_f64 v[4:5], v[8:9], v[4:5]
	s_delay_alu instid0(VALU_DEP_2) | instskip(NEXT) | instid1(VALU_DEP_2)
	v_fma_f64 v[36:37], v[8:9], v[2:3], v[36:37]
	v_fma_f64 v[40:41], v[6:7], v[2:3], -v[4:5]
	ds_load_b128 v[2:5], v1 offset:1424
	ds_load_b128 v[6:9], v1 offset:1440
	s_waitcnt vmcnt(0) lgkmcnt(1)
	v_mul_f64 v[42:43], v[2:3], v[12:13]
	s_delay_alu instid0(VALU_DEP_1) | instskip(SKIP_1) | instid1(VALU_DEP_1)
	v_fma_f64 v[42:43], v[4:5], v[10:11], v[42:43]
	v_mul_f64 v[4:5], v[4:5], v[12:13]
	v_fma_f64 v[44:45], v[2:3], v[10:11], -v[4:5]
	s_clause 0x1
	scratch_load_b128 v[2:5], off, off offset:416
	scratch_load_b128 v[10:13], off, off offset:432
	s_waitcnt vmcnt(1) lgkmcnt(0)
	v_mul_f64 v[46:47], v[6:7], v[4:5]
	v_mul_f64 v[4:5], v[8:9], v[4:5]
	s_delay_alu instid0(VALU_DEP_2) | instskip(NEXT) | instid1(VALU_DEP_2)
	v_fma_f64 v[46:47], v[8:9], v[2:3], v[46:47]
	v_fma_f64 v[48:49], v[6:7], v[2:3], -v[4:5]
	ds_load_b128 v[2:5], v1 offset:1456
	ds_load_b128 v[6:9], v1 offset:1472
	s_waitcnt vmcnt(0) lgkmcnt(1)
	v_mul_f64 v[52:53], v[2:3], v[12:13]
	s_delay_alu instid0(VALU_DEP_1) | instskip(SKIP_1) | instid1(VALU_DEP_1)
	v_fma_f64 v[52:53], v[4:5], v[10:11], v[52:53]
	v_mul_f64 v[4:5], v[4:5], v[12:13]
	;; [unrolled: 17-line block ×18, first 2 shown]
	v_fma_f64 v[253:254], v[2:3], v[10:11], -v[4:5]
	v_add_f64 v[2:3], v[22:23], 0
	v_add_f64 v[4:5], v[24:25], 0
	s_delay_alu instid0(VALU_DEP_2) | instskip(NEXT) | instid1(VALU_DEP_2)
	v_add_f64 v[2:3], v[2:3], v[30:31]
	v_add_f64 v[4:5], v[4:5], v[32:33]
	s_delay_alu instid0(VALU_DEP_2) | instskip(NEXT) | instid1(VALU_DEP_2)
	;; [unrolled: 3-line block ×34, first 2 shown]
	v_add_f64 v[2:3], v[2:3], v[228:229]
	v_add_f64 v[10:11], v[4:5], v[226:227]
	s_delay_alu instid0(VALU_DEP_2)
	v_add_f64 v[12:13], v[2:3], v[232:233]
	scratch_load_b128 v[2:5], off, off offset:960
	v_add_f64 v[14:15], v[10:11], v[230:231]
	v_add_f64 v[16:17], v[12:13], v[236:237]
	scratch_load_b128 v[10:13], off, off offset:976
	v_add_f64 v[18:19], v[14:15], v[234:235]
	;; [unrolled: 3-line block ×4, first 2 shown]
	v_add_f64 v[24:25], v[24:25], v[249:250]
	s_delay_alu instid0(VALU_DEP_2) | instskip(NEXT) | instid1(VALU_DEP_2)
	v_add_f64 v[22:23], v[22:23], v[247:248]
	v_add_f64 v[24:25], v[24:25], v[253:254]
	s_delay_alu instid0(VALU_DEP_2) | instskip(SKIP_3) | instid1(VALU_DEP_2)
	v_add_f64 v[22:23], v[22:23], v[251:252]
	s_waitcnt vmcnt(3) lgkmcnt(0)
	v_mul_f64 v[30:31], v[6:7], v[4:5]
	v_mul_f64 v[4:5], v[8:9], v[4:5]
	v_fma_f64 v[30:31], v[8:9], v[2:3], v[30:31]
	s_delay_alu instid0(VALU_DEP_2)
	v_fma_f64 v[32:33], v[6:7], v[2:3], -v[4:5]
	ds_load_b128 v[2:5], v1 offset:2000
	ds_load_b128 v[6:9], v1 offset:2016
	s_waitcnt vmcnt(2) lgkmcnt(1)
	v_mul_f64 v[34:35], v[2:3], v[12:13]
	v_mul_f64 v[12:13], v[4:5], v[12:13]
	s_waitcnt vmcnt(1) lgkmcnt(0)
	v_mul_f64 v[36:37], v[6:7], v[16:17]
	v_add_f64 v[22:23], v[22:23], v[30:31]
	s_delay_alu instid0(VALU_DEP_4) | instskip(NEXT) | instid1(VALU_DEP_4)
	v_fma_f64 v[34:35], v[4:5], v[10:11], v[34:35]
	v_fma_f64 v[10:11], v[2:3], v[10:11], -v[12:13]
	v_mul_f64 v[12:13], v[8:9], v[16:17]
	v_add_f64 v[16:17], v[24:25], v[32:33]
	ds_load_b128 v[2:5], v1 offset:2032
	v_fma_f64 v[8:9], v[8:9], v[14:15], v[36:37]
	s_waitcnt vmcnt(0) lgkmcnt(0)
	v_mul_f64 v[24:25], v[2:3], v[20:21]
	v_mul_f64 v[20:21], v[4:5], v[20:21]
	v_fma_f64 v[6:7], v[6:7], v[14:15], -v[12:13]
	v_add_f64 v[10:11], v[16:17], v[10:11]
	v_add_f64 v[12:13], v[22:23], v[34:35]
	v_fma_f64 v[4:5], v[4:5], v[18:19], v[24:25]
	v_fma_f64 v[2:3], v[2:3], v[18:19], -v[20:21]
	s_delay_alu instid0(VALU_DEP_4) | instskip(NEXT) | instid1(VALU_DEP_4)
	v_add_f64 v[6:7], v[10:11], v[6:7]
	v_add_f64 v[8:9], v[12:13], v[8:9]
	s_delay_alu instid0(VALU_DEP_2) | instskip(NEXT) | instid1(VALU_DEP_2)
	v_add_f64 v[2:3], v[6:7], v[2:3]
	v_add_f64 v[4:5], v[8:9], v[4:5]
	s_delay_alu instid0(VALU_DEP_2) | instskip(NEXT) | instid1(VALU_DEP_2)
	v_add_f64 v[2:3], v[26:27], -v[2:3]
	v_add_f64 v[4:5], v[28:29], -v[4:5]
	scratch_store_b128 off, v[2:5], off offset:288
	v_cmpx_lt_u32_e32 17, v178
	s_cbranch_execz .LBB63_374
; %bb.373:
	scratch_load_b32 v2, off, off offset:1228 ; 4-byte Folded Reload
	v_mov_b32_e32 v3, v1
	v_mov_b32_e32 v4, v1
	s_waitcnt vmcnt(0)
	scratch_load_b128 v[5:8], v2, off
	v_mov_b32_e32 v2, v1
	scratch_store_b128 off, v[1:4], off offset:272
	s_waitcnt vmcnt(0)
	ds_store_b128 v242, v[5:8]
.LBB63_374:
	s_or_b32 exec_lo, exec_lo, s2
	s_waitcnt lgkmcnt(0)
	s_waitcnt_vscnt null, 0x0
	s_barrier
	buffer_gl0_inv
	s_clause 0x4
	scratch_load_b128 v[2:5], off, off offset:288
	scratch_load_b128 v[6:9], off, off offset:304
	;; [unrolled: 1-line block ×5, first 2 shown]
	ds_load_b128 v[22:25], v1 offset:1312
	ds_load_b128 v[26:29], v1 offset:1328
	scratch_load_b128 v[30:33], off, off offset:272
	s_mov_b32 s2, exec_lo
	s_waitcnt vmcnt(5) lgkmcnt(1)
	v_mul_f64 v[34:35], v[24:25], v[4:5]
	v_mul_f64 v[4:5], v[22:23], v[4:5]
	s_waitcnt vmcnt(4) lgkmcnt(0)
	v_mul_f64 v[36:37], v[26:27], v[8:9]
	v_mul_f64 v[8:9], v[28:29], v[8:9]
	s_delay_alu instid0(VALU_DEP_4) | instskip(NEXT) | instid1(VALU_DEP_4)
	v_fma_f64 v[22:23], v[22:23], v[2:3], -v[34:35]
	v_fma_f64 v[24:25], v[24:25], v[2:3], v[4:5]
	ds_load_b128 v[2:5], v1 offset:1344
	v_fma_f64 v[28:29], v[28:29], v[6:7], v[36:37]
	v_fma_f64 v[26:27], v[26:27], v[6:7], -v[8:9]
	ds_load_b128 v[6:9], v1 offset:1360
	s_waitcnt vmcnt(3) lgkmcnt(1)
	v_mul_f64 v[34:35], v[2:3], v[12:13]
	v_mul_f64 v[12:13], v[4:5], v[12:13]
	s_waitcnt vmcnt(2) lgkmcnt(0)
	v_mul_f64 v[36:37], v[6:7], v[16:17]
	s_delay_alu instid0(VALU_DEP_3) | instskip(NEXT) | instid1(VALU_DEP_3)
	v_fma_f64 v[34:35], v[4:5], v[10:11], v[34:35]
	v_fma_f64 v[38:39], v[2:3], v[10:11], -v[12:13]
	v_mul_f64 v[10:11], v[8:9], v[16:17]
	ds_load_b128 v[2:5], v1 offset:1376
	v_fma_f64 v[16:17], v[8:9], v[14:15], v[36:37]
	v_fma_f64 v[14:15], v[6:7], v[14:15], -v[10:11]
	ds_load_b128 v[6:9], v1 offset:1392
	s_waitcnt vmcnt(1) lgkmcnt(1)
	v_mul_f64 v[10:11], v[2:3], v[20:21]
	v_mul_f64 v[12:13], v[4:5], v[20:21]
	s_delay_alu instid0(VALU_DEP_2) | instskip(NEXT) | instid1(VALU_DEP_2)
	v_fma_f64 v[20:21], v[4:5], v[18:19], v[10:11]
	v_fma_f64 v[18:19], v[2:3], v[18:19], -v[12:13]
	s_clause 0x1
	scratch_load_b128 v[2:5], off, off offset:368
	scratch_load_b128 v[10:13], off, off offset:384
	s_waitcnt vmcnt(1) lgkmcnt(0)
	v_mul_f64 v[36:37], v[6:7], v[4:5]
	v_mul_f64 v[4:5], v[8:9], v[4:5]
	s_delay_alu instid0(VALU_DEP_2) | instskip(NEXT) | instid1(VALU_DEP_2)
	v_fma_f64 v[36:37], v[8:9], v[2:3], v[36:37]
	v_fma_f64 v[40:41], v[6:7], v[2:3], -v[4:5]
	ds_load_b128 v[2:5], v1 offset:1408
	ds_load_b128 v[6:9], v1 offset:1424
	s_waitcnt vmcnt(0) lgkmcnt(1)
	v_mul_f64 v[42:43], v[2:3], v[12:13]
	s_delay_alu instid0(VALU_DEP_1) | instskip(SKIP_1) | instid1(VALU_DEP_1)
	v_fma_f64 v[42:43], v[4:5], v[10:11], v[42:43]
	v_mul_f64 v[4:5], v[4:5], v[12:13]
	v_fma_f64 v[44:45], v[2:3], v[10:11], -v[4:5]
	s_clause 0x1
	scratch_load_b128 v[2:5], off, off offset:400
	scratch_load_b128 v[10:13], off, off offset:416
	s_waitcnt vmcnt(1) lgkmcnt(0)
	v_mul_f64 v[46:47], v[6:7], v[4:5]
	v_mul_f64 v[4:5], v[8:9], v[4:5]
	s_delay_alu instid0(VALU_DEP_2) | instskip(NEXT) | instid1(VALU_DEP_2)
	v_fma_f64 v[46:47], v[8:9], v[2:3], v[46:47]
	v_fma_f64 v[48:49], v[6:7], v[2:3], -v[4:5]
	ds_load_b128 v[2:5], v1 offset:1440
	ds_load_b128 v[6:9], v1 offset:1456
	s_waitcnt vmcnt(0) lgkmcnt(1)
	v_mul_f64 v[52:53], v[2:3], v[12:13]
	s_delay_alu instid0(VALU_DEP_1) | instskip(SKIP_1) | instid1(VALU_DEP_1)
	v_fma_f64 v[52:53], v[4:5], v[10:11], v[52:53]
	v_mul_f64 v[4:5], v[4:5], v[12:13]
	;; [unrolled: 17-line block ×19, first 2 shown]
	v_fma_f64 v[116:117], v[2:3], v[10:11], -v[4:5]
	v_add_f64 v[2:3], v[22:23], 0
	v_add_f64 v[4:5], v[24:25], 0
	s_delay_alu instid0(VALU_DEP_2) | instskip(NEXT) | instid1(VALU_DEP_2)
	v_add_f64 v[2:3], v[2:3], v[26:27]
	v_add_f64 v[4:5], v[4:5], v[28:29]
	s_delay_alu instid0(VALU_DEP_2) | instskip(NEXT) | instid1(VALU_DEP_2)
	;; [unrolled: 3-line block ×36, first 2 shown]
	v_add_f64 v[2:3], v[2:3], v[236:237]
	v_add_f64 v[10:11], v[4:5], v[234:235]
	s_delay_alu instid0(VALU_DEP_2)
	v_add_f64 v[12:13], v[2:3], v[240:241]
	scratch_load_b128 v[2:5], off, off offset:976
	v_add_f64 v[14:15], v[10:11], v[238:239]
	v_add_f64 v[16:17], v[12:13], v[245:246]
	scratch_load_b128 v[10:13], off, off offset:992
	v_add_f64 v[18:19], v[14:15], v[243:244]
	;; [unrolled: 3-line block ×3, first 2 shown]
	v_add_f64 v[20:21], v[20:21], v[253:254]
	s_delay_alu instid0(VALU_DEP_2) | instskip(NEXT) | instid1(VALU_DEP_2)
	v_add_f64 v[18:19], v[18:19], v[251:252]
	v_add_f64 v[28:29], v[20:21], v[112:113]
	s_delay_alu instid0(VALU_DEP_2)
	v_add_f64 v[34:35], v[18:19], v[110:111]
	ds_load_b128 v[18:21], v1 offset:2016
	ds_load_b128 v[22:25], v1 offset:2032
	s_waitcnt vmcnt(2) lgkmcnt(2)
	v_mul_f64 v[26:27], v[6:7], v[4:5]
	v_mul_f64 v[4:5], v[8:9], v[4:5]
	s_waitcnt vmcnt(1) lgkmcnt(1)
	v_mul_f64 v[36:37], v[18:19], v[12:13]
	s_delay_alu instid0(VALU_DEP_3) | instskip(NEXT) | instid1(VALU_DEP_3)
	v_fma_f64 v[8:9], v[8:9], v[2:3], v[26:27]
	v_fma_f64 v[1:2], v[6:7], v[2:3], -v[4:5]
	v_mul_f64 v[3:4], v[20:21], v[12:13]
	v_add_f64 v[5:6], v[28:29], v[116:117]
	v_add_f64 v[12:13], v[34:35], v[114:115]
	s_waitcnt vmcnt(0) lgkmcnt(0)
	v_mul_f64 v[26:27], v[22:23], v[16:17]
	v_mul_f64 v[16:17], v[24:25], v[16:17]
	v_fma_f64 v[20:21], v[20:21], v[10:11], v[36:37]
	v_fma_f64 v[3:4], v[18:19], v[10:11], -v[3:4]
	v_add_f64 v[1:2], v[5:6], v[1:2]
	v_add_f64 v[5:6], v[12:13], v[8:9]
	v_fma_f64 v[7:8], v[24:25], v[14:15], v[26:27]
	v_fma_f64 v[9:10], v[22:23], v[14:15], -v[16:17]
	s_delay_alu instid0(VALU_DEP_4) | instskip(NEXT) | instid1(VALU_DEP_4)
	v_add_f64 v[1:2], v[1:2], v[3:4]
	v_add_f64 v[3:4], v[5:6], v[20:21]
	s_delay_alu instid0(VALU_DEP_2) | instskip(NEXT) | instid1(VALU_DEP_2)
	v_add_f64 v[1:2], v[1:2], v[9:10]
	v_add_f64 v[3:4], v[3:4], v[7:8]
	s_delay_alu instid0(VALU_DEP_2) | instskip(NEXT) | instid1(VALU_DEP_2)
	v_add_f64 v[1:2], v[30:31], -v[1:2]
	v_add_f64 v[3:4], v[32:33], -v[3:4]
	scratch_store_b128 off, v[1:4], off offset:272
	v_cmpx_lt_u32_e32 16, v178
	s_cbranch_execz .LBB63_376
; %bb.375:
	scratch_load_b32 v1, off, off offset:1232 ; 4-byte Folded Reload
	v_mov_b32_e32 v5, 0
	s_delay_alu instid0(VALU_DEP_1)
	v_mov_b32_e32 v6, v5
	v_mov_b32_e32 v7, v5
	v_mov_b32_e32 v8, v5
	s_waitcnt vmcnt(0)
	scratch_load_b128 v[1:4], v1, off
	scratch_store_b128 off, v[5:8], off offset:256
	s_waitcnt vmcnt(0)
	ds_store_b128 v242, v[1:4]
.LBB63_376:
	s_or_b32 exec_lo, exec_lo, s2
	s_waitcnt lgkmcnt(0)
	s_waitcnt_vscnt null, 0x0
	s_barrier
	buffer_gl0_inv
	s_clause 0x4
	scratch_load_b128 v[2:5], off, off offset:272
	scratch_load_b128 v[6:9], off, off offset:288
	;; [unrolled: 1-line block ×5, first 2 shown]
	v_mov_b32_e32 v1, 0
	scratch_load_b128 v[26:29], off, off offset:256
	s_mov_b32 s2, exec_lo
	ds_load_b128 v[22:25], v1 offset:1296
	ds_load_b128 v[30:33], v1 offset:1312
	s_waitcnt vmcnt(5) lgkmcnt(1)
	v_mul_f64 v[34:35], v[24:25], v[4:5]
	v_mul_f64 v[4:5], v[22:23], v[4:5]
	s_waitcnt vmcnt(4) lgkmcnt(0)
	v_mul_f64 v[36:37], v[30:31], v[8:9]
	v_mul_f64 v[8:9], v[32:33], v[8:9]
	s_delay_alu instid0(VALU_DEP_4) | instskip(NEXT) | instid1(VALU_DEP_4)
	v_fma_f64 v[22:23], v[22:23], v[2:3], -v[34:35]
	v_fma_f64 v[24:25], v[24:25], v[2:3], v[4:5]
	ds_load_b128 v[2:5], v1 offset:1328
	v_fma_f64 v[32:33], v[32:33], v[6:7], v[36:37]
	v_fma_f64 v[30:31], v[30:31], v[6:7], -v[8:9]
	ds_load_b128 v[6:9], v1 offset:1344
	s_waitcnt vmcnt(3) lgkmcnt(1)
	v_mul_f64 v[34:35], v[2:3], v[12:13]
	v_mul_f64 v[12:13], v[4:5], v[12:13]
	s_waitcnt vmcnt(2) lgkmcnt(0)
	v_mul_f64 v[36:37], v[6:7], v[16:17]
	s_delay_alu instid0(VALU_DEP_3) | instskip(NEXT) | instid1(VALU_DEP_3)
	v_fma_f64 v[34:35], v[4:5], v[10:11], v[34:35]
	v_fma_f64 v[38:39], v[2:3], v[10:11], -v[12:13]
	v_mul_f64 v[10:11], v[8:9], v[16:17]
	ds_load_b128 v[2:5], v1 offset:1360
	v_fma_f64 v[16:17], v[8:9], v[14:15], v[36:37]
	v_fma_f64 v[14:15], v[6:7], v[14:15], -v[10:11]
	ds_load_b128 v[6:9], v1 offset:1376
	s_waitcnt vmcnt(1) lgkmcnt(1)
	v_mul_f64 v[10:11], v[2:3], v[20:21]
	v_mul_f64 v[12:13], v[4:5], v[20:21]
	s_delay_alu instid0(VALU_DEP_2) | instskip(NEXT) | instid1(VALU_DEP_2)
	v_fma_f64 v[20:21], v[4:5], v[18:19], v[10:11]
	v_fma_f64 v[18:19], v[2:3], v[18:19], -v[12:13]
	s_clause 0x1
	scratch_load_b128 v[2:5], off, off offset:352
	scratch_load_b128 v[10:13], off, off offset:368
	s_waitcnt vmcnt(1) lgkmcnt(0)
	v_mul_f64 v[36:37], v[6:7], v[4:5]
	v_mul_f64 v[4:5], v[8:9], v[4:5]
	s_delay_alu instid0(VALU_DEP_2) | instskip(NEXT) | instid1(VALU_DEP_2)
	v_fma_f64 v[36:37], v[8:9], v[2:3], v[36:37]
	v_fma_f64 v[40:41], v[6:7], v[2:3], -v[4:5]
	ds_load_b128 v[2:5], v1 offset:1392
	ds_load_b128 v[6:9], v1 offset:1408
	s_waitcnt vmcnt(0) lgkmcnt(1)
	v_mul_f64 v[42:43], v[2:3], v[12:13]
	s_delay_alu instid0(VALU_DEP_1) | instskip(SKIP_1) | instid1(VALU_DEP_1)
	v_fma_f64 v[42:43], v[4:5], v[10:11], v[42:43]
	v_mul_f64 v[4:5], v[4:5], v[12:13]
	v_fma_f64 v[44:45], v[2:3], v[10:11], -v[4:5]
	s_clause 0x1
	scratch_load_b128 v[2:5], off, off offset:384
	scratch_load_b128 v[10:13], off, off offset:400
	s_waitcnt vmcnt(1) lgkmcnt(0)
	v_mul_f64 v[46:47], v[6:7], v[4:5]
	v_mul_f64 v[4:5], v[8:9], v[4:5]
	s_delay_alu instid0(VALU_DEP_2) | instskip(NEXT) | instid1(VALU_DEP_2)
	v_fma_f64 v[46:47], v[8:9], v[2:3], v[46:47]
	v_fma_f64 v[48:49], v[6:7], v[2:3], -v[4:5]
	ds_load_b128 v[2:5], v1 offset:1424
	ds_load_b128 v[6:9], v1 offset:1440
	s_waitcnt vmcnt(0) lgkmcnt(1)
	v_mul_f64 v[52:53], v[2:3], v[12:13]
	s_delay_alu instid0(VALU_DEP_1) | instskip(SKIP_1) | instid1(VALU_DEP_1)
	v_fma_f64 v[52:53], v[4:5], v[10:11], v[52:53]
	v_mul_f64 v[4:5], v[4:5], v[12:13]
	;; [unrolled: 17-line block ×19, first 2 shown]
	v_fma_f64 v[253:254], v[2:3], v[10:11], -v[4:5]
	v_add_f64 v[2:3], v[22:23], 0
	v_add_f64 v[4:5], v[24:25], 0
	s_delay_alu instid0(VALU_DEP_2) | instskip(NEXT) | instid1(VALU_DEP_2)
	v_add_f64 v[2:3], v[2:3], v[30:31]
	v_add_f64 v[4:5], v[4:5], v[32:33]
	s_delay_alu instid0(VALU_DEP_2) | instskip(NEXT) | instid1(VALU_DEP_2)
	;; [unrolled: 3-line block ×36, first 2 shown]
	v_add_f64 v[2:3], v[2:3], v[228:229]
	v_add_f64 v[10:11], v[4:5], v[226:227]
	s_delay_alu instid0(VALU_DEP_2)
	v_add_f64 v[12:13], v[2:3], v[232:233]
	scratch_load_b128 v[2:5], off, off offset:960
	v_add_f64 v[14:15], v[10:11], v[230:231]
	v_add_f64 v[16:17], v[12:13], v[236:237]
	scratch_load_b128 v[10:13], off, off offset:976
	v_add_f64 v[18:19], v[14:15], v[234:235]
	;; [unrolled: 3-line block ×4, first 2 shown]
	v_add_f64 v[24:25], v[24:25], v[249:250]
	s_delay_alu instid0(VALU_DEP_2) | instskip(NEXT) | instid1(VALU_DEP_2)
	v_add_f64 v[22:23], v[22:23], v[247:248]
	v_add_f64 v[24:25], v[24:25], v[253:254]
	s_delay_alu instid0(VALU_DEP_2) | instskip(SKIP_3) | instid1(VALU_DEP_2)
	v_add_f64 v[22:23], v[22:23], v[251:252]
	s_waitcnt vmcnt(3) lgkmcnt(0)
	v_mul_f64 v[30:31], v[6:7], v[4:5]
	v_mul_f64 v[4:5], v[8:9], v[4:5]
	v_fma_f64 v[30:31], v[8:9], v[2:3], v[30:31]
	s_delay_alu instid0(VALU_DEP_2)
	v_fma_f64 v[32:33], v[6:7], v[2:3], -v[4:5]
	ds_load_b128 v[2:5], v1 offset:2000
	ds_load_b128 v[6:9], v1 offset:2016
	s_waitcnt vmcnt(2) lgkmcnt(1)
	v_mul_f64 v[34:35], v[2:3], v[12:13]
	v_mul_f64 v[12:13], v[4:5], v[12:13]
	s_waitcnt vmcnt(1) lgkmcnt(0)
	v_mul_f64 v[36:37], v[6:7], v[16:17]
	v_add_f64 v[22:23], v[22:23], v[30:31]
	s_delay_alu instid0(VALU_DEP_4) | instskip(NEXT) | instid1(VALU_DEP_4)
	v_fma_f64 v[34:35], v[4:5], v[10:11], v[34:35]
	v_fma_f64 v[10:11], v[2:3], v[10:11], -v[12:13]
	v_mul_f64 v[12:13], v[8:9], v[16:17]
	v_add_f64 v[16:17], v[24:25], v[32:33]
	ds_load_b128 v[2:5], v1 offset:2032
	v_fma_f64 v[8:9], v[8:9], v[14:15], v[36:37]
	s_waitcnt vmcnt(0) lgkmcnt(0)
	v_mul_f64 v[24:25], v[2:3], v[20:21]
	v_mul_f64 v[20:21], v[4:5], v[20:21]
	v_fma_f64 v[6:7], v[6:7], v[14:15], -v[12:13]
	v_add_f64 v[10:11], v[16:17], v[10:11]
	v_add_f64 v[12:13], v[22:23], v[34:35]
	v_fma_f64 v[4:5], v[4:5], v[18:19], v[24:25]
	v_fma_f64 v[2:3], v[2:3], v[18:19], -v[20:21]
	s_delay_alu instid0(VALU_DEP_4) | instskip(NEXT) | instid1(VALU_DEP_4)
	v_add_f64 v[6:7], v[10:11], v[6:7]
	v_add_f64 v[8:9], v[12:13], v[8:9]
	s_delay_alu instid0(VALU_DEP_2) | instskip(NEXT) | instid1(VALU_DEP_2)
	v_add_f64 v[2:3], v[6:7], v[2:3]
	v_add_f64 v[4:5], v[8:9], v[4:5]
	s_delay_alu instid0(VALU_DEP_2) | instskip(NEXT) | instid1(VALU_DEP_2)
	v_add_f64 v[2:3], v[26:27], -v[2:3]
	v_add_f64 v[4:5], v[28:29], -v[4:5]
	scratch_store_b128 off, v[2:5], off offset:256
	v_cmpx_lt_u32_e32 15, v178
	s_cbranch_execz .LBB63_378
; %bb.377:
	scratch_load_b32 v2, off, off offset:1236 ; 4-byte Folded Reload
	v_mov_b32_e32 v3, v1
	v_mov_b32_e32 v4, v1
	s_waitcnt vmcnt(0)
	scratch_load_b128 v[5:8], v2, off
	v_mov_b32_e32 v2, v1
	scratch_store_b128 off, v[1:4], off offset:240
	s_waitcnt vmcnt(0)
	ds_store_b128 v242, v[5:8]
.LBB63_378:
	s_or_b32 exec_lo, exec_lo, s2
	s_waitcnt lgkmcnt(0)
	s_waitcnt_vscnt null, 0x0
	s_barrier
	buffer_gl0_inv
	s_clause 0x5
	scratch_load_b128 v[22:25], off, off offset:256
	scratch_load_b128 v[2:5], off, off offset:272
	;; [unrolled: 1-line block ×6, first 2 shown]
	ds_load_b128 v[26:29], v1 offset:1280
	s_mov_b32 s2, exec_lo
	s_waitcnt vmcnt(5) lgkmcnt(0)
	v_mul_f64 v[30:31], v[28:29], v[24:25]
	v_mul_f64 v[32:33], v[26:27], v[24:25]
	s_delay_alu instid0(VALU_DEP_2) | instskip(NEXT) | instid1(VALU_DEP_2)
	v_fma_f64 v[24:25], v[26:27], v[22:23], -v[30:31]
	v_fma_f64 v[22:23], v[28:29], v[22:23], v[32:33]
	ds_load_b128 v[26:29], v1 offset:1296
	s_waitcnt vmcnt(4) lgkmcnt(0)
	v_mul_f64 v[30:31], v[26:27], v[4:5]
	v_mul_f64 v[4:5], v[28:29], v[4:5]
	s_delay_alu instid0(VALU_DEP_2) | instskip(NEXT) | instid1(VALU_DEP_2)
	v_fma_f64 v[30:31], v[28:29], v[2:3], v[30:31]
	v_fma_f64 v[32:33], v[26:27], v[2:3], -v[4:5]
	ds_load_b128 v[2:5], v1 offset:1312
	s_waitcnt vmcnt(3) lgkmcnt(0)
	v_mul_f64 v[26:27], v[2:3], v[8:9]
	v_mul_f64 v[8:9], v[4:5], v[8:9]
	s_delay_alu instid0(VALU_DEP_2) | instskip(NEXT) | instid1(VALU_DEP_2)
	v_fma_f64 v[34:35], v[4:5], v[6:7], v[26:27]
	v_fma_f64 v[36:37], v[2:3], v[6:7], -v[8:9]
	;; [unrolled: 7-line block ×5, first 2 shown]
	scratch_load_b128 v[2:5], off, off offset:352
	ds_load_b128 v[6:9], v1 offset:1376
	s_waitcnt vmcnt(0) lgkmcnt(0)
	v_mul_f64 v[14:15], v[6:7], v[4:5]
	v_mul_f64 v[4:5], v[8:9], v[4:5]
	s_delay_alu instid0(VALU_DEP_2) | instskip(NEXT) | instid1(VALU_DEP_2)
	v_fma_f64 v[46:47], v[8:9], v[2:3], v[14:15]
	v_fma_f64 v[48:49], v[6:7], v[2:3], -v[4:5]
	scratch_load_b128 v[2:5], off, off offset:368
	ds_load_b128 v[6:9], v1 offset:1392
	s_waitcnt vmcnt(0) lgkmcnt(0)
	v_mul_f64 v[14:15], v[6:7], v[4:5]
	v_mul_f64 v[4:5], v[8:9], v[4:5]
	s_delay_alu instid0(VALU_DEP_2) | instskip(NEXT) | instid1(VALU_DEP_2)
	v_fma_f64 v[52:53], v[8:9], v[2:3], v[14:15]
	v_fma_f64 v[54:55], v[6:7], v[2:3], -v[4:5]
	;; [unrolled: 8-line block ×39, first 2 shown]
	v_add_f64 v[2:3], v[24:25], 0
	v_add_f64 v[4:5], v[22:23], 0
	scratch_load_b128 v[6:9], off, off offset:992
	v_add_f64 v[2:3], v[2:3], v[32:33]
	v_add_f64 v[4:5], v[4:5], v[30:31]
	s_delay_alu instid0(VALU_DEP_2) | instskip(NEXT) | instid1(VALU_DEP_2)
	v_add_f64 v[2:3], v[2:3], v[36:37]
	v_add_f64 v[4:5], v[4:5], v[34:35]
	s_delay_alu instid0(VALU_DEP_2) | instskip(NEXT) | instid1(VALU_DEP_2)
	v_add_f64 v[2:3], v[2:3], v[10:11]
	v_add_f64 v[4:5], v[4:5], v[12:13]
	scratch_load_b128 v[10:13], off, off offset:976
	v_add_f64 v[2:3], v[2:3], v[40:41]
	v_add_f64 v[4:5], v[4:5], v[38:39]
	s_delay_alu instid0(VALU_DEP_2) | instskip(NEXT) | instid1(VALU_DEP_2)
	v_add_f64 v[2:3], v[2:3], v[44:45]
	v_add_f64 v[4:5], v[4:5], v[42:43]
	s_delay_alu instid0(VALU_DEP_2) | instskip(NEXT) | instid1(VALU_DEP_2)
	;; [unrolled: 3-line block ×36, first 2 shown]
	v_add_f64 v[22:23], v[2:3], v[249:250]
	v_add_f64 v[30:31], v[4:5], v[247:248]
	scratch_load_b128 v[2:5], off, off offset:1008
	v_add_f64 v[24:25], v[22:23], v[253:254]
	v_add_f64 v[22:23], v[30:31], v[251:252]
	scratch_load_b128 v[30:33], off, off offset:240
	v_add_f64 v[28:29], v[24:25], v[28:29]
	v_add_f64 v[26:27], v[22:23], v[26:27]
	ds_load_b128 v[22:25], v1 offset:2000
	v_add_f64 v[20:21], v[28:29], v[20:21]
	v_add_f64 v[18:19], v[26:27], v[18:19]
	s_delay_alu instid0(VALU_DEP_2) | instskip(NEXT) | instid1(VALU_DEP_2)
	v_add_f64 v[20:21], v[20:21], v[16:17]
	v_add_f64 v[18:19], v[18:19], v[14:15]
	ds_load_b128 v[14:17], v1 offset:2032
	s_waitcnt vmcnt(2) lgkmcnt(1)
	v_mul_f64 v[28:29], v[22:23], v[12:13]
	v_mul_f64 v[12:13], v[24:25], v[12:13]
	s_delay_alu instid0(VALU_DEP_2) | instskip(NEXT) | instid1(VALU_DEP_2)
	v_fma_f64 v[24:25], v[24:25], v[10:11], v[28:29]
	v_fma_f64 v[22:23], v[22:23], v[10:11], -v[12:13]
	ds_load_b128 v[10:13], v1 offset:2016
	s_waitcnt lgkmcnt(0)
	v_mul_f64 v[26:27], v[10:11], v[8:9]
	v_mul_f64 v[8:9], v[12:13], v[8:9]
	s_delay_alu instid0(VALU_DEP_2) | instskip(NEXT) | instid1(VALU_DEP_2)
	v_fma_f64 v[12:13], v[12:13], v[6:7], v[26:27]
	v_fma_f64 v[6:7], v[10:11], v[6:7], -v[8:9]
	v_add_f64 v[8:9], v[20:21], v[22:23]
	v_add_f64 v[10:11], v[18:19], v[24:25]
	s_waitcnt vmcnt(1)
	v_mul_f64 v[28:29], v[14:15], v[4:5]
	v_mul_f64 v[4:5], v[16:17], v[4:5]
	s_delay_alu instid0(VALU_DEP_2) | instskip(NEXT) | instid1(VALU_DEP_2)
	v_fma_f64 v[16:17], v[16:17], v[2:3], v[28:29]
	v_fma_f64 v[1:2], v[14:15], v[2:3], -v[4:5]
	v_add_f64 v[3:4], v[8:9], v[6:7]
	v_add_f64 v[5:6], v[10:11], v[12:13]
	s_delay_alu instid0(VALU_DEP_2) | instskip(NEXT) | instid1(VALU_DEP_2)
	v_add_f64 v[1:2], v[3:4], v[1:2]
	v_add_f64 v[3:4], v[5:6], v[16:17]
	s_waitcnt vmcnt(0)
	s_delay_alu instid0(VALU_DEP_2) | instskip(NEXT) | instid1(VALU_DEP_2)
	v_add_f64 v[1:2], v[30:31], -v[1:2]
	v_add_f64 v[3:4], v[32:33], -v[3:4]
	scratch_store_b128 off, v[1:4], off offset:240
	v_cmpx_lt_u32_e32 14, v178
	s_cbranch_execz .LBB63_380
; %bb.379:
	scratch_load_b32 v1, off, off offset:1240 ; 4-byte Folded Reload
	v_mov_b32_e32 v5, 0
	s_delay_alu instid0(VALU_DEP_1)
	v_mov_b32_e32 v6, v5
	v_mov_b32_e32 v7, v5
	;; [unrolled: 1-line block ×3, first 2 shown]
	s_waitcnt vmcnt(0)
	scratch_load_b128 v[1:4], v1, off
	scratch_store_b128 off, v[5:8], off offset:224
	s_waitcnt vmcnt(0)
	ds_store_b128 v242, v[1:4]
.LBB63_380:
	s_or_b32 exec_lo, exec_lo, s2
	s_waitcnt lgkmcnt(0)
	s_waitcnt_vscnt null, 0x0
	s_barrier
	buffer_gl0_inv
	s_clause 0x7
	scratch_load_b128 v[34:37], off, off offset:240
	scratch_load_b128 v[38:41], off, off offset:256
	;; [unrolled: 1-line block ×8, first 2 shown]
	v_mov_b32_e32 v1, 0
	s_mov_b32 s2, exec_lo
	ds_load_b128 v[46:49], v1 offset:1264
	s_clause 0x2
	scratch_load_b128 v[14:17], off, off offset:368
	scratch_load_b128 v[2:5], off, off offset:224
	scratch_load_b128 v[243:246], off, off offset:384
	ds_load_b128 v[42:45], v1 offset:1280
	ds_load_b128 v[247:250], v1 offset:1312
	;; [unrolled: 1-line block ×3, first 2 shown]
	s_waitcnt vmcnt(10) lgkmcnt(3)
	v_mul_f64 v[52:53], v[48:49], v[36:37]
	v_mul_f64 v[36:37], v[46:47], v[36:37]
	s_delay_alu instid0(VALU_DEP_2) | instskip(NEXT) | instid1(VALU_DEP_2)
	v_fma_f64 v[52:53], v[46:47], v[34:35], -v[52:53]
	v_fma_f64 v[56:57], v[48:49], v[34:35], v[36:37]
	ds_load_b128 v[34:37], v1 offset:1296
	s_waitcnt vmcnt(9) lgkmcnt(3)
	v_mul_f64 v[54:55], v[42:43], v[40:41]
	v_mul_f64 v[40:41], v[44:45], v[40:41]
	scratch_load_b128 v[46:49], off, off offset:400
	s_waitcnt vmcnt(9) lgkmcnt(0)
	v_mul_f64 v[58:59], v[34:35], v[32:33]
	v_mul_f64 v[32:33], v[36:37], v[32:33]
	v_add_f64 v[52:53], v[52:53], 0
	v_fma_f64 v[44:45], v[44:45], v[38:39], v[54:55]
	v_fma_f64 v[42:43], v[42:43], v[38:39], -v[40:41]
	v_add_f64 v[54:55], v[56:57], 0
	scratch_load_b128 v[38:41], off, off offset:416
	v_fma_f64 v[36:37], v[36:37], v[30:31], v[58:59]
	v_fma_f64 v[58:59], v[34:35], v[30:31], -v[32:33]
	scratch_load_b128 v[32:35], off, off offset:432
	v_add_f64 v[52:53], v[52:53], v[42:43]
	v_add_f64 v[54:55], v[54:55], v[44:45]
	ds_load_b128 v[42:45], v1 offset:1344
	s_waitcnt vmcnt(10)
	v_mul_f64 v[56:57], v[247:248], v[28:29]
	v_mul_f64 v[60:61], v[249:250], v[28:29]
	ds_load_b128 v[28:31], v1 offset:1328
	v_add_f64 v[52:53], v[52:53], v[58:59]
	v_add_f64 v[36:37], v[54:55], v[36:37]
	s_waitcnt vmcnt(8) lgkmcnt(1)
	v_mul_f64 v[54:55], v[42:43], v[20:21]
	v_fma_f64 v[56:57], v[249:250], v[26:27], v[56:57]
	v_fma_f64 v[60:61], v[247:248], v[26:27], -v[60:61]
	ds_load_b128 v[247:250], v1 offset:1376
	s_waitcnt lgkmcnt(1)
	v_mul_f64 v[62:63], v[28:29], v[24:25]
	v_mul_f64 v[64:65], v[30:31], v[24:25]
	scratch_load_b128 v[24:27], off, off offset:448
	v_mul_f64 v[58:59], v[44:45], v[20:21]
	v_fma_f64 v[54:55], v[44:45], v[18:19], v[54:55]
	v_add_f64 v[36:37], v[36:37], v[56:57]
	v_add_f64 v[52:53], v[52:53], v[60:61]
	s_waitcnt vmcnt(7) lgkmcnt(0)
	v_mul_f64 v[60:61], v[249:250], v[8:9]
	v_fma_f64 v[62:63], v[30:31], v[22:23], v[62:63]
	v_fma_f64 v[64:65], v[28:29], v[22:23], -v[64:65]
	scratch_load_b128 v[28:31], off, off offset:464
	ds_load_b128 v[20:23], v1 offset:1360
	v_fma_f64 v[18:19], v[42:43], v[18:19], -v[58:59]
	v_mul_f64 v[58:59], v[247:248], v[8:9]
	scratch_load_b128 v[42:45], off, off offset:480
	s_waitcnt lgkmcnt(0)
	v_mul_f64 v[56:57], v[20:21], v[12:13]
	v_mul_f64 v[12:13], v[22:23], v[12:13]
	v_add_f64 v[36:37], v[36:37], v[62:63]
	v_add_f64 v[52:53], v[52:53], v[64:65]
	s_delay_alu instid0(VALU_DEP_4) | instskip(NEXT) | instid1(VALU_DEP_4)
	v_fma_f64 v[22:23], v[22:23], v[10:11], v[56:57]
	v_fma_f64 v[12:13], v[20:21], v[10:11], -v[12:13]
	ds_load_b128 v[8:11], v1 offset:1392
	v_fma_f64 v[56:57], v[249:250], v[6:7], v[58:59]
	v_fma_f64 v[6:7], v[247:248], v[6:7], -v[60:61]
	scratch_load_b128 v[247:250], off, off offset:512
	v_add_f64 v[36:37], v[36:37], v[54:55]
	v_add_f64 v[52:53], v[52:53], v[18:19]
	scratch_load_b128 v[18:21], off, off offset:496
	v_add_f64 v[22:23], v[36:37], v[22:23]
	v_add_f64 v[12:13], v[52:53], v[12:13]
	s_waitcnt vmcnt(8)
	v_mul_f64 v[36:37], v[179:180], v[245:246]
	v_mul_f64 v[52:53], v[181:182], v[245:246]
	s_delay_alu instid0(VALU_DEP_4) | instskip(NEXT) | instid1(VALU_DEP_4)
	v_add_f64 v[22:23], v[22:23], v[56:57]
	v_add_f64 v[60:61], v[12:13], v[6:7]
	s_delay_alu instid0(VALU_DEP_4) | instskip(NEXT) | instid1(VALU_DEP_4)
	v_fma_f64 v[36:37], v[181:182], v[243:244], v[36:37]
	v_fma_f64 v[52:53], v[179:180], v[243:244], -v[52:53]
	ds_load_b128 v[243:246], v1 offset:1472
	s_waitcnt lgkmcnt(1)
	v_mul_f64 v[54:55], v[8:9], v[16:17]
	v_mul_f64 v[16:17], v[10:11], v[16:17]
	scratch_load_b128 v[179:182], off, off offset:544
	v_fma_f64 v[54:55], v[10:11], v[14:15], v[54:55]
	v_fma_f64 v[58:59], v[8:9], v[14:15], -v[16:17]
	ds_load_b128 v[6:9], v1 offset:1424
	ds_load_b128 v[14:17], v1 offset:1440
	scratch_load_b128 v[10:13], off, off offset:528
	s_waitcnt vmcnt(9) lgkmcnt(1)
	v_mul_f64 v[56:57], v[6:7], v[48:49]
	v_mul_f64 v[48:49], v[8:9], v[48:49]
	v_add_f64 v[22:23], v[22:23], v[54:55]
	v_add_f64 v[58:59], v[60:61], v[58:59]
	s_waitcnt vmcnt(8) lgkmcnt(0)
	v_mul_f64 v[54:55], v[14:15], v[40:41]
	v_mul_f64 v[40:41], v[16:17], v[40:41]
	v_fma_f64 v[56:57], v[8:9], v[46:47], v[56:57]
	v_fma_f64 v[60:61], v[6:7], v[46:47], -v[48:49]
	ds_load_b128 v[6:9], v1 offset:1456
	scratch_load_b128 v[46:49], off, off offset:560
	v_add_f64 v[22:23], v[22:23], v[36:37]
	v_add_f64 v[52:53], v[58:59], v[52:53]
	v_fma_f64 v[54:55], v[16:17], v[38:39], v[54:55]
	v_fma_f64 v[38:39], v[14:15], v[38:39], -v[40:41]
	scratch_load_b128 v[14:17], off, off offset:576
	v_add_f64 v[22:23], v[22:23], v[56:57]
	v_add_f64 v[40:41], v[52:53], v[60:61]
	s_waitcnt vmcnt(8)
	v_mul_f64 v[52:53], v[243:244], v[26:27]
	v_mul_f64 v[26:27], v[245:246], v[26:27]
	s_delay_alu instid0(VALU_DEP_4) | instskip(NEXT) | instid1(VALU_DEP_4)
	v_add_f64 v[22:23], v[22:23], v[54:55]
	v_add_f64 v[40:41], v[40:41], v[38:39]
	s_delay_alu instid0(VALU_DEP_4) | instskip(NEXT) | instid1(VALU_DEP_4)
	v_fma_f64 v[52:53], v[245:246], v[24:25], v[52:53]
	v_fma_f64 v[26:27], v[243:244], v[24:25], -v[26:27]
	ds_load_b128 v[243:246], v1 offset:1536
	s_waitcnt lgkmcnt(1)
	v_mul_f64 v[36:37], v[6:7], v[34:35]
	v_mul_f64 v[34:35], v[8:9], v[34:35]
	s_delay_alu instid0(VALU_DEP_2) | instskip(NEXT) | instid1(VALU_DEP_2)
	v_fma_f64 v[56:57], v[8:9], v[32:33], v[36:37]
	v_fma_f64 v[58:59], v[6:7], v[32:33], -v[34:35]
	scratch_load_b128 v[32:35], off, off offset:592
	ds_load_b128 v[6:9], v1 offset:1488
	ds_load_b128 v[36:39], v1 offset:1504
	s_waitcnt vmcnt(8) lgkmcnt(1)
	v_mul_f64 v[54:55], v[6:7], v[30:31]
	v_mul_f64 v[30:31], v[8:9], v[30:31]
	v_add_f64 v[56:57], v[22:23], v[56:57]
	v_add_f64 v[40:41], v[40:41], v[58:59]
	s_waitcnt vmcnt(7) lgkmcnt(0)
	v_mul_f64 v[58:59], v[36:37], v[44:45]
	v_mul_f64 v[44:45], v[38:39], v[44:45]
	scratch_load_b128 v[22:25], off, off offset:608
	v_fma_f64 v[54:55], v[8:9], v[28:29], v[54:55]
	v_fma_f64 v[30:31], v[6:7], v[28:29], -v[30:31]
	ds_load_b128 v[6:9], v1 offset:1520
	v_add_f64 v[52:53], v[56:57], v[52:53]
	v_add_f64 v[40:41], v[40:41], v[26:27]
	v_fma_f64 v[58:59], v[38:39], v[42:43], v[58:59]
	v_fma_f64 v[42:43], v[36:37], v[42:43], -v[44:45]
	s_clause 0x1
	scratch_load_b128 v[26:29], off, off offset:624
	scratch_load_b128 v[36:39], off, off offset:640
	s_waitcnt vmcnt(9)
	v_mul_f64 v[44:45], v[243:244], v[249:250]
	v_add_f64 v[30:31], v[40:41], v[30:31]
	v_add_f64 v[40:41], v[52:53], v[54:55]
	v_mul_f64 v[52:53], v[245:246], v[249:250]
	s_delay_alu instid0(VALU_DEP_4) | instskip(NEXT) | instid1(VALU_DEP_4)
	v_fma_f64 v[44:45], v[245:246], v[247:248], v[44:45]
	v_add_f64 v[30:31], v[30:31], v[42:43]
	s_delay_alu instid0(VALU_DEP_4)
	v_add_f64 v[58:59], v[40:41], v[58:59]
	ds_load_b128 v[40:43], v1 offset:1568
	s_waitcnt vmcnt(8) lgkmcnt(1)
	v_mul_f64 v[56:57], v[6:7], v[20:21]
	v_mul_f64 v[20:21], v[8:9], v[20:21]
	v_fma_f64 v[52:53], v[243:244], v[247:248], -v[52:53]
	scratch_load_b128 v[243:246], off, off offset:672
	ds_load_b128 v[247:250], v1 offset:1600
	v_fma_f64 v[54:55], v[8:9], v[18:19], v[56:57]
	v_fma_f64 v[56:57], v[6:7], v[18:19], -v[20:21]
	ds_load_b128 v[6:9], v1 offset:1552
	scratch_load_b128 v[18:21], off, off offset:656
	s_waitcnt vmcnt(8) lgkmcnt(0)
	v_mul_f64 v[60:61], v[6:7], v[12:13]
	v_mul_f64 v[12:13], v[8:9], v[12:13]
	v_add_f64 v[54:55], v[58:59], v[54:55]
	v_add_f64 v[30:31], v[30:31], v[56:57]
	v_mul_f64 v[56:57], v[40:41], v[181:182]
	v_mul_f64 v[58:59], v[42:43], v[181:182]
	v_fma_f64 v[60:61], v[8:9], v[10:11], v[60:61]
	v_fma_f64 v[62:63], v[6:7], v[10:11], -v[12:13]
	ds_load_b128 v[6:9], v1 offset:1584
	scratch_load_b128 v[10:13], off, off offset:688
	v_add_f64 v[44:45], v[54:55], v[44:45]
	v_add_f64 v[30:31], v[30:31], v[52:53]
	v_fma_f64 v[54:55], v[42:43], v[179:180], v[56:57]
	v_fma_f64 v[56:57], v[40:41], v[179:180], -v[58:59]
	ds_load_b128 v[179:182], v1 offset:1632
	scratch_load_b128 v[40:43], off, off offset:704
	s_waitcnt vmcnt(9) lgkmcnt(1)
	v_mul_f64 v[52:53], v[6:7], v[48:49]
	v_mul_f64 v[48:49], v[8:9], v[48:49]
	s_waitcnt vmcnt(8)
	v_mul_f64 v[58:59], v[247:248], v[16:17]
	v_mul_f64 v[16:17], v[249:250], v[16:17]
	v_add_f64 v[44:45], v[44:45], v[60:61]
	v_add_f64 v[30:31], v[30:31], v[62:63]
	v_fma_f64 v[52:53], v[8:9], v[46:47], v[52:53]
	v_fma_f64 v[48:49], v[6:7], v[46:47], -v[48:49]
	ds_load_b128 v[6:9], v1 offset:1616
	v_fma_f64 v[58:59], v[249:250], v[14:15], v[58:59]
	v_fma_f64 v[60:61], v[247:248], v[14:15], -v[16:17]
	ds_load_b128 v[247:250], v1 offset:1664
	scratch_load_b128 v[14:17], off, off offset:736
	v_add_f64 v[54:55], v[44:45], v[54:55]
	v_add_f64 v[30:31], v[30:31], v[56:57]
	scratch_load_b128 v[44:47], off, off offset:720
	s_waitcnt vmcnt(9) lgkmcnt(1)
	v_mul_f64 v[56:57], v[6:7], v[34:35]
	v_mul_f64 v[34:35], v[8:9], v[34:35]
	v_add_f64 v[30:31], v[30:31], v[48:49]
	v_add_f64 v[48:49], v[54:55], v[52:53]
	s_waitcnt vmcnt(8)
	v_mul_f64 v[52:53], v[179:180], v[24:25]
	v_mul_f64 v[24:25], v[181:182], v[24:25]
	v_fma_f64 v[54:55], v[8:9], v[32:33], v[56:57]
	v_fma_f64 v[34:35], v[6:7], v[32:33], -v[34:35]
	ds_load_b128 v[6:9], v1 offset:1648
	v_add_f64 v[56:57], v[30:31], v[60:61]
	v_add_f64 v[48:49], v[48:49], v[58:59]
	scratch_load_b128 v[30:33], off, off offset:752
	v_fma_f64 v[52:53], v[181:182], v[22:23], v[52:53]
	v_fma_f64 v[60:61], v[179:180], v[22:23], -v[24:25]
	ds_load_b128 v[179:182], v1 offset:1696
	s_waitcnt vmcnt(8) lgkmcnt(1)
	v_mul_f64 v[58:59], v[6:7], v[28:29]
	v_mul_f64 v[28:29], v[8:9], v[28:29]
	scratch_load_b128 v[22:25], off, off offset:768
	v_add_f64 v[34:35], v[56:57], v[34:35]
	v_add_f64 v[48:49], v[48:49], v[54:55]
	s_waitcnt vmcnt(8)
	v_mul_f64 v[54:55], v[247:248], v[38:39]
	v_mul_f64 v[38:39], v[249:250], v[38:39]
	v_fma_f64 v[56:57], v[8:9], v[26:27], v[58:59]
	v_fma_f64 v[58:59], v[6:7], v[26:27], -v[28:29]
	scratch_load_b128 v[26:29], off, off offset:784
	ds_load_b128 v[6:9], v1 offset:1680
	v_add_f64 v[34:35], v[34:35], v[60:61]
	v_add_f64 v[48:49], v[48:49], v[52:53]
	v_fma_f64 v[54:55], v[249:250], v[36:37], v[54:55]
	v_fma_f64 v[38:39], v[247:248], v[36:37], -v[38:39]
	s_waitcnt vmcnt(8) lgkmcnt(1)
	v_mul_f64 v[60:61], v[181:182], v[245:246]
	ds_load_b128 v[249:252], v1 offset:1760
	v_add_f64 v[58:59], v[34:35], v[58:59]
	v_add_f64 v[48:49], v[48:49], v[56:57]
	v_mul_f64 v[56:57], v[179:180], v[245:246]
	ds_load_b128 v[245:248], v1 offset:1728
	s_waitcnt vmcnt(7) lgkmcnt(2)
	v_mul_f64 v[52:53], v[6:7], v[20:21]
	v_mul_f64 v[20:21], v[8:9], v[20:21]
	scratch_load_b128 v[34:37], off, off offset:800
	v_add_f64 v[38:39], v[58:59], v[38:39]
	v_add_f64 v[48:49], v[48:49], v[54:55]
	v_fma_f64 v[56:57], v[181:182], v[243:244], v[56:57]
	v_fma_f64 v[58:59], v[179:180], v[243:244], -v[60:61]
	v_fma_f64 v[52:53], v[8:9], v[18:19], v[52:53]
	v_fma_f64 v[62:63], v[6:7], v[18:19], -v[20:21]
	scratch_load_b128 v[18:21], off, off offset:816
	ds_load_b128 v[6:9], v1 offset:1712
	scratch_load_b128 v[179:182], off, off offset:832
	s_waitcnt vmcnt(9) lgkmcnt(0)
	v_mul_f64 v[54:55], v[6:7], v[12:13]
	v_mul_f64 v[12:13], v[8:9], v[12:13]
	v_add_f64 v[48:49], v[48:49], v[52:53]
	v_add_f64 v[38:39], v[38:39], v[62:63]
	s_waitcnt vmcnt(8)
	v_mul_f64 v[52:53], v[245:246], v[42:43]
	v_mul_f64 v[42:43], v[247:248], v[42:43]
	v_fma_f64 v[54:55], v[8:9], v[10:11], v[54:55]
	v_fma_f64 v[60:61], v[6:7], v[10:11], -v[12:13]
	scratch_load_b128 v[10:13], off, off offset:848
	ds_load_b128 v[6:9], v1 offset:1744
	v_add_f64 v[48:49], v[48:49], v[56:57]
	v_add_f64 v[38:39], v[38:39], v[58:59]
	v_fma_f64 v[52:53], v[247:248], v[40:41], v[52:53]
	v_fma_f64 v[42:43], v[245:246], v[40:41], -v[42:43]
	ds_load_b128 v[243:246], v1 offset:1824
	s_waitcnt vmcnt(7) lgkmcnt(1)
	v_mul_f64 v[56:57], v[6:7], v[46:47]
	v_mul_f64 v[46:47], v[8:9], v[46:47]
	v_add_f64 v[48:49], v[48:49], v[54:55]
	v_add_f64 v[58:59], v[38:39], v[60:61]
	v_mul_f64 v[54:55], v[249:250], v[16:17]
	v_mul_f64 v[16:17], v[251:252], v[16:17]
	scratch_load_b128 v[38:41], off, off offset:864
	v_fma_f64 v[56:57], v[8:9], v[44:45], v[56:57]
	v_fma_f64 v[60:61], v[6:7], v[44:45], -v[46:47]
	ds_load_b128 v[6:9], v1 offset:1776
	v_add_f64 v[52:53], v[48:49], v[52:53]
	ds_load_b128 v[46:49], v1 offset:1792
	v_add_f64 v[58:59], v[58:59], v[42:43]
	v_fma_f64 v[54:55], v[251:252], v[14:15], v[54:55]
	v_fma_f64 v[64:65], v[249:250], v[14:15], -v[16:17]
	s_clause 0x1
	scratch_load_b128 v[42:45], off, off offset:880
	scratch_load_b128 v[14:17], off, off offset:896
	s_waitcnt vmcnt(9) lgkmcnt(1)
	v_mul_f64 v[62:63], v[6:7], v[32:33]
	v_mul_f64 v[32:33], v[8:9], v[32:33]
	v_add_f64 v[52:53], v[52:53], v[56:57]
	s_waitcnt vmcnt(8) lgkmcnt(0)
	v_mul_f64 v[56:57], v[46:47], v[24:25]
	v_add_f64 v[58:59], v[58:59], v[60:61]
	v_mul_f64 v[24:25], v[48:49], v[24:25]
	v_fma_f64 v[60:61], v[8:9], v[30:31], v[62:63]
	v_fma_f64 v[62:63], v[6:7], v[30:31], -v[32:33]
	scratch_load_b128 v[30:33], off, off offset:912
	ds_load_b128 v[6:9], v1 offset:1808
	v_add_f64 v[52:53], v[52:53], v[54:55]
	v_fma_f64 v[48:49], v[48:49], v[22:23], v[56:57]
	v_add_f64 v[58:59], v[58:59], v[64:65]
	v_fma_f64 v[46:47], v[46:47], v[22:23], -v[24:25]
	scratch_load_b128 v[22:25], off, off offset:928
	v_add_f64 v[52:53], v[52:53], v[60:61]
	v_add_f64 v[56:57], v[58:59], v[62:63]
	s_waitcnt vmcnt(8)
	v_mul_f64 v[58:59], v[243:244], v[36:37]
	v_mul_f64 v[36:37], v[245:246], v[36:37]
	s_delay_alu instid0(VALU_DEP_4) | instskip(NEXT) | instid1(VALU_DEP_4)
	v_add_f64 v[52:53], v[52:53], v[48:49]
	v_add_f64 v[56:57], v[56:57], v[46:47]
	ds_load_b128 v[46:49], v1 offset:1856
	s_waitcnt lgkmcnt(1)
	v_mul_f64 v[54:55], v[6:7], v[28:29]
	v_mul_f64 v[28:29], v[8:9], v[28:29]
	v_fma_f64 v[58:59], v[245:246], v[34:35], v[58:59]
	v_fma_f64 v[64:65], v[243:244], v[34:35], -v[36:37]
	ds_load_b128 v[243:246], v1 offset:1888
	scratch_load_b128 v[34:37], off, off offset:960
	v_fma_f64 v[54:55], v[8:9], v[26:27], v[54:55]
	v_fma_f64 v[60:61], v[6:7], v[26:27], -v[28:29]
	ds_load_b128 v[6:9], v1 offset:1840
	scratch_load_b128 v[26:29], off, off offset:944
	s_waitcnt vmcnt(9) lgkmcnt(0)
	v_mul_f64 v[62:63], v[6:7], v[20:21]
	v_mul_f64 v[20:21], v[8:9], v[20:21]
	v_add_f64 v[52:53], v[52:53], v[54:55]
	v_add_f64 v[56:57], v[56:57], v[60:61]
	s_waitcnt vmcnt(8)
	v_mul_f64 v[54:55], v[46:47], v[181:182]
	v_mul_f64 v[60:61], v[48:49], v[181:182]
	v_fma_f64 v[62:63], v[8:9], v[18:19], v[62:63]
	v_fma_f64 v[66:67], v[6:7], v[18:19], -v[20:21]
	ds_load_b128 v[6:9], v1 offset:1872
	scratch_load_b128 v[18:21], off, off offset:976
	v_add_f64 v[52:53], v[52:53], v[58:59]
	v_add_f64 v[56:57], v[56:57], v[64:65]
	v_fma_f64 v[54:55], v[48:49], v[179:180], v[54:55]
	v_fma_f64 v[60:61], v[46:47], v[179:180], -v[60:61]
	ds_load_b128 v[179:182], v1 offset:1920
	scratch_load_b128 v[46:49], off, off offset:992
	s_waitcnt vmcnt(9) lgkmcnt(1)
	v_mul_f64 v[58:59], v[6:7], v[12:13]
	v_mul_f64 v[12:13], v[8:9], v[12:13]
	v_add_f64 v[52:53], v[52:53], v[62:63]
	v_add_f64 v[56:57], v[56:57], v[66:67]
	s_waitcnt vmcnt(8)
	v_mul_f64 v[62:63], v[243:244], v[40:41]
	v_mul_f64 v[40:41], v[245:246], v[40:41]
	v_fma_f64 v[58:59], v[8:9], v[10:11], v[58:59]
	v_fma_f64 v[64:65], v[6:7], v[10:11], -v[12:13]
	scratch_load_b128 v[10:13], off, off offset:1008
	ds_load_b128 v[6:9], v1 offset:1904
	v_add_f64 v[52:53], v[52:53], v[54:55]
	v_add_f64 v[56:57], v[56:57], v[60:61]
	s_waitcnt vmcnt(8) lgkmcnt(0)
	v_mul_f64 v[54:55], v[6:7], v[44:45]
	v_mul_f64 v[44:45], v[8:9], v[44:45]
	v_fma_f64 v[60:61], v[245:246], v[38:39], v[62:63]
	v_fma_f64 v[38:39], v[243:244], v[38:39], -v[40:41]
	v_add_f64 v[52:53], v[52:53], v[58:59]
	v_add_f64 v[40:41], v[56:57], v[64:65]
	s_waitcnt vmcnt(7)
	v_mul_f64 v[56:57], v[179:180], v[16:17]
	v_mul_f64 v[16:17], v[181:182], v[16:17]
	v_fma_f64 v[54:55], v[8:9], v[42:43], v[54:55]
	v_fma_f64 v[42:43], v[6:7], v[42:43], -v[44:45]
	v_add_f64 v[52:53], v[52:53], v[60:61]
	v_add_f64 v[44:45], v[40:41], v[38:39]
	ds_load_b128 v[6:9], v1 offset:1936
	ds_load_b128 v[38:41], v1 offset:1952
	v_fma_f64 v[56:57], v[181:182], v[14:15], v[56:57]
	v_fma_f64 v[14:15], v[179:180], v[14:15], -v[16:17]
	s_waitcnt vmcnt(6) lgkmcnt(1)
	v_mul_f64 v[58:59], v[6:7], v[32:33]
	v_mul_f64 v[32:33], v[8:9], v[32:33]
	v_add_f64 v[16:17], v[44:45], v[42:43]
	v_add_f64 v[42:43], v[52:53], v[54:55]
	s_waitcnt vmcnt(5) lgkmcnt(0)
	v_mul_f64 v[44:45], v[38:39], v[24:25]
	v_mul_f64 v[24:25], v[40:41], v[24:25]
	v_fma_f64 v[52:53], v[8:9], v[30:31], v[58:59]
	v_fma_f64 v[30:31], v[6:7], v[30:31], -v[32:33]
	v_add_f64 v[32:33], v[16:17], v[14:15]
	v_add_f64 v[42:43], v[42:43], v[56:57]
	ds_load_b128 v[6:9], v1 offset:1968
	ds_load_b128 v[14:17], v1 offset:1984
	v_fma_f64 v[40:41], v[40:41], v[22:23], v[44:45]
	v_fma_f64 v[22:23], v[38:39], v[22:23], -v[24:25]
	s_waitcnt vmcnt(3) lgkmcnt(1)
	v_mul_f64 v[54:55], v[6:7], v[28:29]
	v_mul_f64 v[28:29], v[8:9], v[28:29]
	v_add_f64 v[24:25], v[32:33], v[30:31]
	v_add_f64 v[30:31], v[42:43], v[52:53]
	s_waitcnt lgkmcnt(0)
	v_mul_f64 v[32:33], v[14:15], v[36:37]
	v_mul_f64 v[36:37], v[16:17], v[36:37]
	v_fma_f64 v[38:39], v[8:9], v[26:27], v[54:55]
	v_fma_f64 v[26:27], v[6:7], v[26:27], -v[28:29]
	v_add_f64 v[28:29], v[24:25], v[22:23]
	v_add_f64 v[30:31], v[30:31], v[40:41]
	ds_load_b128 v[6:9], v1 offset:2000
	ds_load_b128 v[22:25], v1 offset:2016
	v_fma_f64 v[16:17], v[16:17], v[34:35], v[32:33]
	v_fma_f64 v[14:15], v[14:15], v[34:35], -v[36:37]
	s_waitcnt vmcnt(2) lgkmcnt(1)
	v_mul_f64 v[40:41], v[6:7], v[20:21]
	v_mul_f64 v[20:21], v[8:9], v[20:21]
	s_waitcnt vmcnt(1) lgkmcnt(0)
	v_mul_f64 v[32:33], v[24:25], v[48:49]
	v_add_f64 v[26:27], v[28:29], v[26:27]
	v_add_f64 v[28:29], v[30:31], v[38:39]
	v_mul_f64 v[30:31], v[22:23], v[48:49]
	v_fma_f64 v[34:35], v[8:9], v[18:19], v[40:41]
	v_fma_f64 v[18:19], v[6:7], v[18:19], -v[20:21]
	ds_load_b128 v[6:9], v1 offset:2032
	v_fma_f64 v[22:23], v[22:23], v[46:47], -v[32:33]
	v_add_f64 v[14:15], v[26:27], v[14:15]
	v_add_f64 v[16:17], v[28:29], v[16:17]
	v_fma_f64 v[24:25], v[24:25], v[46:47], v[30:31]
	s_waitcnt vmcnt(0) lgkmcnt(0)
	v_mul_f64 v[20:21], v[6:7], v[12:13]
	v_mul_f64 v[12:13], v[8:9], v[12:13]
	v_add_f64 v[14:15], v[14:15], v[18:19]
	v_add_f64 v[16:17], v[16:17], v[34:35]
	s_delay_alu instid0(VALU_DEP_4) | instskip(NEXT) | instid1(VALU_DEP_4)
	v_fma_f64 v[8:9], v[8:9], v[10:11], v[20:21]
	v_fma_f64 v[6:7], v[6:7], v[10:11], -v[12:13]
	s_delay_alu instid0(VALU_DEP_4) | instskip(NEXT) | instid1(VALU_DEP_4)
	v_add_f64 v[10:11], v[14:15], v[22:23]
	v_add_f64 v[12:13], v[16:17], v[24:25]
	s_delay_alu instid0(VALU_DEP_2) | instskip(NEXT) | instid1(VALU_DEP_2)
	v_add_f64 v[6:7], v[10:11], v[6:7]
	v_add_f64 v[8:9], v[12:13], v[8:9]
	s_delay_alu instid0(VALU_DEP_2) | instskip(NEXT) | instid1(VALU_DEP_2)
	v_add_f64 v[2:3], v[2:3], -v[6:7]
	v_add_f64 v[4:5], v[4:5], -v[8:9]
	scratch_store_b128 off, v[2:5], off offset:224
	v_cmpx_lt_u32_e32 13, v178
	s_cbranch_execz .LBB63_382
; %bb.381:
	scratch_load_b32 v2, off, off offset:1244 ; 4-byte Folded Reload
	v_mov_b32_e32 v3, v1
	v_mov_b32_e32 v4, v1
	s_waitcnt vmcnt(0)
	scratch_load_b128 v[5:8], v2, off
	v_mov_b32_e32 v2, v1
	scratch_store_b128 off, v[1:4], off offset:208
	s_waitcnt vmcnt(0)
	ds_store_b128 v242, v[5:8]
.LBB63_382:
	s_or_b32 exec_lo, exec_lo, s2
	s_waitcnt lgkmcnt(0)
	s_waitcnt_vscnt null, 0x0
	s_barrier
	buffer_gl0_inv
	s_clause 0x8
	scratch_load_b128 v[34:37], off, off offset:224
	scratch_load_b128 v[38:41], off, off offset:240
	;; [unrolled: 1-line block ×9, first 2 shown]
	ds_load_b128 v[46:49], v1 offset:1248
	ds_load_b128 v[42:45], v1 offset:1264
	s_clause 0x1
	scratch_load_b128 v[2:5], off, off offset:208
	scratch_load_b128 v[179:182], off, off offset:368
	s_mov_b32 s2, exec_lo
	ds_load_b128 v[243:246], v1 offset:1296
	ds_load_b128 v[247:250], v1 offset:1424
	s_waitcnt vmcnt(10) lgkmcnt(3)
	v_mul_f64 v[52:53], v[48:49], v[36:37]
	v_mul_f64 v[36:37], v[46:47], v[36:37]
	s_waitcnt vmcnt(9) lgkmcnt(2)
	v_mul_f64 v[54:55], v[42:43], v[40:41]
	v_mul_f64 v[40:41], v[44:45], v[40:41]
	s_waitcnt vmcnt(7) lgkmcnt(1)
	v_mul_f64 v[60:61], v[245:246], v[28:29]
	v_fma_f64 v[52:53], v[46:47], v[34:35], -v[52:53]
	v_fma_f64 v[56:57], v[48:49], v[34:35], v[36:37]
	ds_load_b128 v[34:37], v1 offset:1280
	scratch_load_b128 v[46:49], off, off offset:384
	v_fma_f64 v[44:45], v[44:45], v[38:39], v[54:55]
	v_fma_f64 v[42:43], v[42:43], v[38:39], -v[40:41]
	scratch_load_b128 v[38:41], off, off offset:400
	v_fma_f64 v[60:61], v[243:244], v[26:27], -v[60:61]
	s_waitcnt lgkmcnt(0)
	v_mul_f64 v[58:59], v[34:35], v[32:33]
	v_mul_f64 v[32:33], v[36:37], v[32:33]
	v_add_f64 v[52:53], v[52:53], 0
	v_add_f64 v[54:55], v[56:57], 0
	v_mul_f64 v[56:57], v[243:244], v[28:29]
	v_fma_f64 v[36:37], v[36:37], v[30:31], v[58:59]
	v_fma_f64 v[58:59], v[34:35], v[30:31], -v[32:33]
	ds_load_b128 v[28:31], v1 offset:1312
	scratch_load_b128 v[32:35], off, off offset:416
	v_add_f64 v[52:53], v[52:53], v[42:43]
	v_add_f64 v[54:55], v[54:55], v[44:45]
	ds_load_b128 v[42:45], v1 offset:1328
	v_fma_f64 v[56:57], v[245:246], v[26:27], v[56:57]
	ds_load_b128 v[243:246], v1 offset:1360
	s_waitcnt vmcnt(9) lgkmcnt(2)
	v_mul_f64 v[62:63], v[28:29], v[24:25]
	v_mul_f64 v[64:65], v[30:31], v[24:25]
	scratch_load_b128 v[24:27], off, off offset:432
	v_add_f64 v[52:53], v[52:53], v[58:59]
	v_add_f64 v[36:37], v[54:55], v[36:37]
	s_waitcnt vmcnt(9) lgkmcnt(1)
	v_mul_f64 v[54:55], v[42:43], v[20:21]
	v_mul_f64 v[58:59], v[44:45], v[20:21]
	v_fma_f64 v[62:63], v[30:31], v[22:23], v[62:63]
	v_fma_f64 v[64:65], v[28:29], v[22:23], -v[64:65]
	ds_load_b128 v[20:23], v1 offset:1344
	scratch_load_b128 v[28:31], off, off offset:448
	v_add_f64 v[52:53], v[52:53], v[60:61]
	v_add_f64 v[36:37], v[36:37], v[56:57]
	s_waitcnt vmcnt(9) lgkmcnt(0)
	v_mul_f64 v[56:57], v[20:21], v[16:17]
	v_mul_f64 v[60:61], v[22:23], v[16:17]
	v_fma_f64 v[44:45], v[44:45], v[18:19], v[54:55]
	v_fma_f64 v[42:43], v[42:43], v[18:19], -v[58:59]
	scratch_load_b128 v[16:19], off, off offset:464
	s_waitcnt vmcnt(9)
	v_mul_f64 v[54:55], v[243:244], v[12:13]
	v_mul_f64 v[58:59], v[245:246], v[12:13]
	v_add_f64 v[52:53], v[52:53], v[64:65]
	v_add_f64 v[36:37], v[36:37], v[62:63]
	v_fma_f64 v[56:57], v[22:23], v[14:15], v[56:57]
	v_fma_f64 v[60:61], v[20:21], v[14:15], -v[60:61]
	ds_load_b128 v[12:15], v1 offset:1376
	scratch_load_b128 v[20:23], off, off offset:480
	v_fma_f64 v[54:55], v[245:246], v[10:11], v[54:55]
	v_fma_f64 v[58:59], v[243:244], v[10:11], -v[58:59]
	scratch_load_b128 v[243:246], off, off offset:512
	v_add_f64 v[52:53], v[52:53], v[42:43]
	v_add_f64 v[36:37], v[36:37], v[44:45]
	ds_load_b128 v[42:45], v1 offset:1392
	s_waitcnt vmcnt(10) lgkmcnt(1)
	v_mul_f64 v[62:63], v[12:13], v[8:9]
	v_mul_f64 v[64:65], v[14:15], v[8:9]
	scratch_load_b128 v[8:11], off, off offset:496
	v_add_f64 v[52:53], v[52:53], v[60:61]
	v_add_f64 v[36:37], v[36:37], v[56:57]
	s_waitcnt vmcnt(9) lgkmcnt(0)
	v_mul_f64 v[56:57], v[42:43], v[181:182]
	v_mul_f64 v[60:61], v[44:45], v[181:182]
	v_fma_f64 v[62:63], v[14:15], v[6:7], v[62:63]
	v_fma_f64 v[6:7], v[12:13], v[6:7], -v[64:65]
	ds_load_b128 v[12:15], v1 offset:1408
	v_add_f64 v[52:53], v[52:53], v[58:59]
	v_add_f64 v[36:37], v[36:37], v[54:55]
	v_fma_f64 v[56:57], v[44:45], v[179:180], v[56:57]
	v_fma_f64 v[58:59], v[42:43], v[179:180], -v[60:61]
	scratch_load_b128 v[42:45], off, off offset:528
	ds_load_b128 v[179:182], v1 offset:1456
	s_waitcnt vmcnt(9) lgkmcnt(1)
	v_mul_f64 v[54:55], v[12:13], v[48:49]
	v_mul_f64 v[48:49], v[14:15], v[48:49]
	v_add_f64 v[6:7], v[52:53], v[6:7]
	v_add_f64 v[36:37], v[36:37], v[62:63]
	s_waitcnt vmcnt(8)
	v_mul_f64 v[52:53], v[247:248], v[40:41]
	v_mul_f64 v[40:41], v[249:250], v[40:41]
	v_fma_f64 v[54:55], v[14:15], v[46:47], v[54:55]
	v_fma_f64 v[60:61], v[12:13], v[46:47], -v[48:49]
	ds_load_b128 v[12:15], v1 offset:1440
	scratch_load_b128 v[46:49], off, off offset:544
	v_add_f64 v[6:7], v[6:7], v[58:59]
	v_add_f64 v[36:37], v[36:37], v[56:57]
	v_fma_f64 v[52:53], v[249:250], v[38:39], v[52:53]
	s_waitcnt vmcnt(8) lgkmcnt(0)
	v_mul_f64 v[56:57], v[12:13], v[34:35]
	v_mul_f64 v[58:59], v[14:15], v[34:35]
	v_fma_f64 v[38:39], v[247:248], v[38:39], -v[40:41]
	ds_load_b128 v[247:250], v1 offset:1488
	v_add_f64 v[6:7], v[6:7], v[60:61]
	v_add_f64 v[40:41], v[36:37], v[54:55]
	scratch_load_b128 v[34:37], off, off offset:560
	s_waitcnt vmcnt(8)
	v_mul_f64 v[54:55], v[179:180], v[26:27]
	v_mul_f64 v[26:27], v[181:182], v[26:27]
	v_fma_f64 v[56:57], v[14:15], v[32:33], v[56:57]
	v_fma_f64 v[32:33], v[12:13], v[32:33], -v[58:59]
	ds_load_b128 v[12:15], v1 offset:1472
	s_waitcnt vmcnt(7) lgkmcnt(0)
	v_mul_f64 v[58:59], v[12:13], v[30:31]
	v_mul_f64 v[30:31], v[14:15], v[30:31]
	v_add_f64 v[6:7], v[6:7], v[38:39]
	v_add_f64 v[52:53], v[40:41], v[52:53]
	scratch_load_b128 v[38:41], off, off offset:576
	v_fma_f64 v[54:55], v[181:182], v[24:25], v[54:55]
	v_fma_f64 v[60:61], v[179:180], v[24:25], -v[26:27]
	scratch_load_b128 v[24:27], off, off offset:592
	ds_load_b128 v[179:182], v1 offset:1520
	v_add_f64 v[6:7], v[6:7], v[32:33]
	v_add_f64 v[32:33], v[52:53], v[56:57]
	s_waitcnt vmcnt(8)
	v_mul_f64 v[52:53], v[247:248], v[18:19]
	v_mul_f64 v[18:19], v[249:250], v[18:19]
	v_fma_f64 v[56:57], v[14:15], v[28:29], v[58:59]
	v_fma_f64 v[58:59], v[12:13], v[28:29], -v[30:31]
	ds_load_b128 v[12:15], v1 offset:1504
	scratch_load_b128 v[28:31], off, off offset:608
	v_add_f64 v[6:7], v[6:7], v[60:61]
	v_add_f64 v[32:33], v[32:33], v[54:55]
	s_waitcnt vmcnt(8) lgkmcnt(0)
	v_mul_f64 v[54:55], v[12:13], v[22:23]
	v_mul_f64 v[22:23], v[14:15], v[22:23]
	v_fma_f64 v[52:53], v[249:250], v[16:17], v[52:53]
	v_fma_f64 v[60:61], v[247:248], v[16:17], -v[18:19]
	scratch_load_b128 v[16:19], off, off offset:624
	ds_load_b128 v[247:250], v1 offset:1552
	v_add_f64 v[6:7], v[6:7], v[58:59]
	v_add_f64 v[32:33], v[32:33], v[56:57]
	s_waitcnt vmcnt(7)
	v_mul_f64 v[56:57], v[179:180], v[10:11]
	v_mul_f64 v[58:59], v[181:182], v[10:11]
	v_fma_f64 v[14:15], v[14:15], v[20:21], v[54:55]
	v_fma_f64 v[54:55], v[12:13], v[20:21], -v[22:23]
	ds_load_b128 v[10:13], v1 offset:1536
	scratch_load_b128 v[20:23], off, off offset:640
	v_add_f64 v[6:7], v[6:7], v[60:61]
	v_add_f64 v[32:33], v[32:33], v[52:53]
	s_waitcnt lgkmcnt(0)
	v_mul_f64 v[52:53], v[10:11], v[245:246]
	v_mul_f64 v[60:61], v[12:13], v[245:246]
	v_fma_f64 v[56:57], v[181:182], v[8:9], v[56:57]
	v_fma_f64 v[58:59], v[179:180], v[8:9], -v[58:59]
	scratch_load_b128 v[179:182], off, off offset:672
	v_add_f64 v[54:55], v[6:7], v[54:55]
	v_add_f64 v[14:15], v[32:33], v[14:15]
	scratch_load_b128 v[6:9], off, off offset:656
	s_waitcnt vmcnt(9)
	v_mul_f64 v[32:33], v[247:248], v[44:45]
	v_mul_f64 v[44:45], v[249:250], v[44:45]
	v_fma_f64 v[52:53], v[12:13], v[243:244], v[52:53]
	v_fma_f64 v[60:61], v[10:11], v[243:244], -v[60:61]
	ds_load_b128 v[10:13], v1 offset:1568
	ds_load_b128 v[243:246], v1 offset:1584
	v_add_f64 v[54:55], v[54:55], v[58:59]
	v_add_f64 v[14:15], v[14:15], v[56:57]
	s_waitcnt vmcnt(8) lgkmcnt(1)
	v_mul_f64 v[56:57], v[10:11], v[48:49]
	v_mul_f64 v[48:49], v[12:13], v[48:49]
	v_fma_f64 v[32:33], v[249:250], v[42:43], v[32:33]
	v_fma_f64 v[58:59], v[247:248], v[42:43], -v[44:45]
	scratch_load_b128 v[42:45], off, off offset:688
	ds_load_b128 v[247:250], v1 offset:1616
	v_add_f64 v[54:55], v[54:55], v[60:61]
	v_add_f64 v[14:15], v[14:15], v[52:53]
	v_fma_f64 v[56:57], v[12:13], v[46:47], v[56:57]
	v_fma_f64 v[60:61], v[10:11], v[46:47], -v[48:49]
	ds_load_b128 v[10:13], v1 offset:1600
	scratch_load_b128 v[46:49], off, off offset:704
	s_waitcnt vmcnt(9) lgkmcnt(2)
	v_mul_f64 v[52:53], v[243:244], v[36:37]
	v_mul_f64 v[36:37], v[245:246], v[36:37]
	v_add_f64 v[54:55], v[54:55], v[58:59]
	v_add_f64 v[14:15], v[14:15], v[32:33]
	s_waitcnt vmcnt(8) lgkmcnt(0)
	v_mul_f64 v[58:59], v[10:11], v[40:41]
	v_mul_f64 v[40:41], v[12:13], v[40:41]
	v_fma_f64 v[52:53], v[245:246], v[34:35], v[52:53]
	v_fma_f64 v[36:37], v[243:244], v[34:35], -v[36:37]
	scratch_load_b128 v[32:35], off, off offset:720
	ds_load_b128 v[243:246], v1 offset:1648
	v_add_f64 v[54:55], v[54:55], v[60:61]
	v_add_f64 v[14:15], v[14:15], v[56:57]
	s_waitcnt vmcnt(8)
	v_mul_f64 v[56:57], v[247:248], v[26:27]
	v_mul_f64 v[26:27], v[249:250], v[26:27]
	v_fma_f64 v[58:59], v[12:13], v[38:39], v[58:59]
	v_fma_f64 v[40:41], v[10:11], v[38:39], -v[40:41]
	ds_load_b128 v[10:13], v1 offset:1632
	v_add_f64 v[54:55], v[54:55], v[36:37]
	v_add_f64 v[14:15], v[14:15], v[52:53]
	scratch_load_b128 v[36:39], off, off offset:736
	s_waitcnt vmcnt(8) lgkmcnt(0)
	v_mul_f64 v[52:53], v[10:11], v[30:31]
	v_mul_f64 v[30:31], v[12:13], v[30:31]
	v_fma_f64 v[56:57], v[249:250], v[24:25], v[56:57]
	v_fma_f64 v[60:61], v[247:248], v[24:25], -v[26:27]
	scratch_load_b128 v[24:27], off, off offset:752
	ds_load_b128 v[247:250], v1 offset:1680
	v_add_f64 v[40:41], v[54:55], v[40:41]
	v_add_f64 v[14:15], v[14:15], v[58:59]
	s_waitcnt vmcnt(8)
	v_mul_f64 v[54:55], v[243:244], v[18:19]
	v_mul_f64 v[18:19], v[245:246], v[18:19]
	v_fma_f64 v[52:53], v[12:13], v[28:29], v[52:53]
	v_fma_f64 v[58:59], v[10:11], v[28:29], -v[30:31]
	ds_load_b128 v[10:13], v1 offset:1664
	scratch_load_b128 v[28:31], off, off offset:768
	v_add_f64 v[40:41], v[40:41], v[60:61]
	v_add_f64 v[14:15], v[14:15], v[56:57]
	s_waitcnt vmcnt(8) lgkmcnt(0)
	v_mul_f64 v[56:57], v[10:11], v[22:23]
	v_mul_f64 v[22:23], v[12:13], v[22:23]
	v_fma_f64 v[54:55], v[245:246], v[16:17], v[54:55]
	v_fma_f64 v[18:19], v[243:244], v[16:17], -v[18:19]
	ds_load_b128 v[243:246], v1 offset:1712
	v_add_f64 v[40:41], v[40:41], v[58:59]
	v_add_f64 v[52:53], v[14:15], v[52:53]
	scratch_load_b128 v[14:17], off, off offset:784
	v_fma_f64 v[12:13], v[12:13], v[20:21], v[56:57]
	v_fma_f64 v[22:23], v[10:11], v[20:21], -v[22:23]
	s_waitcnt vmcnt(7)
	v_mul_f64 v[58:59], v[247:248], v[8:9]
	v_mul_f64 v[60:61], v[249:250], v[8:9]
	ds_load_b128 v[8:11], v1 offset:1696
	v_add_f64 v[40:41], v[40:41], v[18:19]
	v_add_f64 v[52:53], v[52:53], v[54:55]
	scratch_load_b128 v[18:21], off, off offset:800
	s_waitcnt lgkmcnt(0)
	v_mul_f64 v[54:55], v[8:9], v[181:182]
	v_mul_f64 v[56:57], v[10:11], v[181:182]
	v_fma_f64 v[58:59], v[249:250], v[6:7], v[58:59]
	v_fma_f64 v[6:7], v[247:248], v[6:7], -v[60:61]
	scratch_load_b128 v[247:250], off, off offset:816
	v_add_f64 v[22:23], v[40:41], v[22:23]
	v_add_f64 v[12:13], v[52:53], v[12:13]
	s_waitcnt vmcnt(8)
	v_mul_f64 v[40:41], v[243:244], v[44:45]
	v_mul_f64 v[44:45], v[245:246], v[44:45]
	v_fma_f64 v[52:53], v[10:11], v[179:180], v[54:55]
	v_fma_f64 v[54:55], v[8:9], v[179:180], -v[56:57]
	ds_load_b128 v[179:182], v1 offset:1744
	v_add_f64 v[22:23], v[22:23], v[6:7]
	v_add_f64 v[56:57], v[12:13], v[58:59]
	ds_load_b128 v[6:9], v1 offset:1728
	scratch_load_b128 v[10:13], off, off offset:832
	v_fma_f64 v[60:61], v[245:246], v[42:43], v[40:41]
	v_fma_f64 v[44:45], v[243:244], v[42:43], -v[44:45]
	scratch_load_b128 v[40:43], off, off offset:848
	ds_load_b128 v[243:246], v1 offset:1776
	s_waitcnt vmcnt(9) lgkmcnt(1)
	v_mul_f64 v[58:59], v[6:7], v[48:49]
	v_mul_f64 v[48:49], v[8:9], v[48:49]
	v_add_f64 v[22:23], v[22:23], v[54:55]
	v_add_f64 v[52:53], v[56:57], v[52:53]
	s_waitcnt vmcnt(8)
	v_mul_f64 v[54:55], v[179:180], v[34:35]
	v_mul_f64 v[34:35], v[181:182], v[34:35]
	v_fma_f64 v[56:57], v[8:9], v[46:47], v[58:59]
	v_fma_f64 v[48:49], v[6:7], v[46:47], -v[48:49]
	ds_load_b128 v[6:9], v1 offset:1760
	v_add_f64 v[22:23], v[22:23], v[44:45]
	v_add_f64 v[52:53], v[52:53], v[60:61]
	scratch_load_b128 v[44:47], off, off offset:864
	v_fma_f64 v[54:55], v[181:182], v[32:33], v[54:55]
	v_fma_f64 v[60:61], v[179:180], v[32:33], -v[34:35]
	scratch_load_b128 v[32:35], off, off offset:880
	ds_load_b128 v[179:182], v1 offset:1808
	s_waitcnt vmcnt(9) lgkmcnt(1)
	v_mul_f64 v[58:59], v[6:7], v[38:39]
	v_mul_f64 v[38:39], v[8:9], v[38:39]
	v_add_f64 v[22:23], v[22:23], v[48:49]
	v_add_f64 v[48:49], v[52:53], v[56:57]
	s_waitcnt vmcnt(8)
	v_mul_f64 v[52:53], v[243:244], v[26:27]
	v_mul_f64 v[26:27], v[245:246], v[26:27]
	v_fma_f64 v[56:57], v[8:9], v[36:37], v[58:59]
	v_fma_f64 v[58:59], v[6:7], v[36:37], -v[38:39]
	ds_load_b128 v[6:9], v1 offset:1792
	scratch_load_b128 v[36:39], off, off offset:896
	v_add_f64 v[22:23], v[22:23], v[60:61]
	v_add_f64 v[48:49], v[48:49], v[54:55]
	s_waitcnt vmcnt(8) lgkmcnt(0)
	v_mul_f64 v[54:55], v[6:7], v[30:31]
	v_mul_f64 v[30:31], v[8:9], v[30:31]
	v_fma_f64 v[52:53], v[245:246], v[24:25], v[52:53]
	v_fma_f64 v[26:27], v[243:244], v[24:25], -v[26:27]
	ds_load_b128 v[243:246], v1 offset:1840
	v_add_f64 v[58:59], v[22:23], v[58:59]
	scratch_load_b128 v[22:25], off, off offset:912
	v_add_f64 v[48:49], v[48:49], v[56:57]
	v_fma_f64 v[54:55], v[8:9], v[28:29], v[54:55]
	v_fma_f64 v[30:31], v[6:7], v[28:29], -v[30:31]
	ds_load_b128 v[6:9], v1 offset:1824
	s_waitcnt vmcnt(8)
	v_mul_f64 v[56:57], v[179:180], v[16:17]
	v_mul_f64 v[16:17], v[181:182], v[16:17]
	v_add_f64 v[58:59], v[58:59], v[26:27]
	scratch_load_b128 v[26:29], off, off offset:928
	v_add_f64 v[48:49], v[48:49], v[52:53]
	s_waitcnt vmcnt(8) lgkmcnt(0)
	v_mul_f64 v[52:53], v[6:7], v[20:21]
	v_mul_f64 v[20:21], v[8:9], v[20:21]
	v_fma_f64 v[56:57], v[181:182], v[14:15], v[56:57]
	v_fma_f64 v[60:61], v[179:180], v[14:15], -v[16:17]
	scratch_load_b128 v[14:17], off, off offset:944
	ds_load_b128 v[179:182], v1 offset:1872
	v_add_f64 v[30:31], v[58:59], v[30:31]
	s_waitcnt vmcnt(8)
	v_mul_f64 v[58:59], v[245:246], v[249:250]
	v_add_f64 v[48:49], v[48:49], v[54:55]
	v_mul_f64 v[54:55], v[243:244], v[249:250]
	v_fma_f64 v[52:53], v[8:9], v[18:19], v[52:53]
	v_fma_f64 v[62:63], v[6:7], v[18:19], -v[20:21]
	ds_load_b128 v[6:9], v1 offset:1856
	scratch_load_b128 v[18:21], off, off offset:960
	v_add_f64 v[30:31], v[30:31], v[60:61]
	v_fma_f64 v[58:59], v[243:244], v[247:248], -v[58:59]
	v_add_f64 v[48:49], v[48:49], v[56:57]
	v_fma_f64 v[54:55], v[245:246], v[247:248], v[54:55]
	scratch_load_b128 v[243:246], off, off offset:976
	ds_load_b128 v[247:250], v1 offset:1904
	s_waitcnt vmcnt(9) lgkmcnt(1)
	v_mul_f64 v[56:57], v[6:7], v[12:13]
	v_mul_f64 v[12:13], v[8:9], v[12:13]
	v_add_f64 v[30:31], v[30:31], v[62:63]
	v_add_f64 v[48:49], v[48:49], v[52:53]
	s_waitcnt vmcnt(8)
	v_mul_f64 v[52:53], v[179:180], v[42:43]
	v_mul_f64 v[42:43], v[181:182], v[42:43]
	v_fma_f64 v[56:57], v[8:9], v[10:11], v[56:57]
	v_fma_f64 v[60:61], v[6:7], v[10:11], -v[12:13]
	ds_load_b128 v[6:9], v1 offset:1888
	scratch_load_b128 v[10:13], off, off offset:992
	v_add_f64 v[30:31], v[30:31], v[58:59]
	v_add_f64 v[48:49], v[48:49], v[54:55]
	v_fma_f64 v[52:53], v[181:182], v[40:41], v[52:53]
	v_fma_f64 v[58:59], v[179:180], v[40:41], -v[42:43]
	scratch_load_b128 v[40:43], off, off offset:1008
	s_waitcnt vmcnt(9) lgkmcnt(0)
	v_mul_f64 v[54:55], v[6:7], v[46:47]
	v_mul_f64 v[46:47], v[8:9], v[46:47]
	v_add_f64 v[30:31], v[30:31], v[60:61]
	v_add_f64 v[48:49], v[48:49], v[56:57]
	s_waitcnt vmcnt(8)
	v_mul_f64 v[56:57], v[247:248], v[34:35]
	v_mul_f64 v[34:35], v[249:250], v[34:35]
	v_fma_f64 v[54:55], v[8:9], v[44:45], v[54:55]
	v_fma_f64 v[60:61], v[6:7], v[44:45], -v[46:47]
	ds_load_b128 v[6:9], v1 offset:1920
	ds_load_b128 v[44:47], v1 offset:1936
	v_add_f64 v[30:31], v[30:31], v[58:59]
	v_add_f64 v[48:49], v[48:49], v[52:53]
	s_waitcnt vmcnt(7) lgkmcnt(1)
	v_mul_f64 v[52:53], v[6:7], v[38:39]
	v_mul_f64 v[38:39], v[8:9], v[38:39]
	v_fma_f64 v[56:57], v[249:250], v[32:33], v[56:57]
	v_fma_f64 v[32:33], v[247:248], v[32:33], -v[34:35]
	v_add_f64 v[30:31], v[30:31], v[60:61]
	v_add_f64 v[34:35], v[48:49], v[54:55]
	v_fma_f64 v[52:53], v[8:9], v[36:37], v[52:53]
	v_fma_f64 v[36:37], v[6:7], v[36:37], -v[38:39]
	s_waitcnt vmcnt(6) lgkmcnt(0)
	v_mul_f64 v[48:49], v[44:45], v[24:25]
	v_mul_f64 v[24:25], v[46:47], v[24:25]
	v_add_f64 v[38:39], v[30:31], v[32:33]
	ds_load_b128 v[6:9], v1 offset:1952
	ds_load_b128 v[30:33], v1 offset:1968
	v_add_f64 v[34:35], v[34:35], v[56:57]
	v_fma_f64 v[46:47], v[46:47], v[22:23], v[48:49]
	v_fma_f64 v[22:23], v[44:45], v[22:23], -v[24:25]
	s_waitcnt vmcnt(5) lgkmcnt(1)
	v_mul_f64 v[54:55], v[6:7], v[28:29]
	v_mul_f64 v[28:29], v[8:9], v[28:29]
	v_add_f64 v[24:25], v[38:39], v[36:37]
	s_waitcnt vmcnt(4) lgkmcnt(0)
	v_mul_f64 v[36:37], v[30:31], v[16:17]
	v_add_f64 v[34:35], v[34:35], v[52:53]
	v_mul_f64 v[16:17], v[32:33], v[16:17]
	v_fma_f64 v[38:39], v[8:9], v[26:27], v[54:55]
	v_fma_f64 v[26:27], v[6:7], v[26:27], -v[28:29]
	v_add_f64 v[28:29], v[24:25], v[22:23]
	ds_load_b128 v[6:9], v1 offset:1984
	ds_load_b128 v[22:25], v1 offset:2000
	v_add_f64 v[34:35], v[34:35], v[46:47]
	v_fma_f64 v[32:33], v[32:33], v[14:15], v[36:37]
	v_fma_f64 v[14:15], v[30:31], v[14:15], -v[16:17]
	s_waitcnt vmcnt(3) lgkmcnt(1)
	v_mul_f64 v[44:45], v[6:7], v[20:21]
	v_mul_f64 v[20:21], v[8:9], v[20:21]
	s_waitcnt vmcnt(2) lgkmcnt(0)
	v_mul_f64 v[30:31], v[24:25], v[245:246]
	v_add_f64 v[16:17], v[28:29], v[26:27]
	v_mul_f64 v[28:29], v[22:23], v[245:246]
	v_add_f64 v[26:27], v[34:35], v[38:39]
	v_fma_f64 v[34:35], v[8:9], v[18:19], v[44:45]
	v_fma_f64 v[18:19], v[6:7], v[18:19], -v[20:21]
	v_fma_f64 v[22:23], v[22:23], v[243:244], -v[30:31]
	v_add_f64 v[20:21], v[16:17], v[14:15]
	ds_load_b128 v[6:9], v1 offset:2016
	ds_load_b128 v[14:17], v1 offset:2032
	v_add_f64 v[26:27], v[26:27], v[32:33]
	v_fma_f64 v[24:25], v[24:25], v[243:244], v[28:29]
	s_waitcnt vmcnt(1) lgkmcnt(1)
	v_mul_f64 v[32:33], v[6:7], v[12:13]
	v_mul_f64 v[12:13], v[8:9], v[12:13]
	s_waitcnt vmcnt(0) lgkmcnt(0)
	v_mul_f64 v[28:29], v[16:17], v[42:43]
	v_add_f64 v[18:19], v[20:21], v[18:19]
	v_add_f64 v[20:21], v[26:27], v[34:35]
	v_mul_f64 v[26:27], v[14:15], v[42:43]
	v_fma_f64 v[8:9], v[8:9], v[10:11], v[32:33]
	v_fma_f64 v[6:7], v[6:7], v[10:11], -v[12:13]
	v_fma_f64 v[14:15], v[14:15], v[40:41], -v[28:29]
	v_add_f64 v[10:11], v[18:19], v[22:23]
	v_add_f64 v[12:13], v[20:21], v[24:25]
	v_fma_f64 v[16:17], v[16:17], v[40:41], v[26:27]
	s_delay_alu instid0(VALU_DEP_3) | instskip(NEXT) | instid1(VALU_DEP_3)
	v_add_f64 v[6:7], v[10:11], v[6:7]
	v_add_f64 v[8:9], v[12:13], v[8:9]
	s_delay_alu instid0(VALU_DEP_2) | instskip(NEXT) | instid1(VALU_DEP_2)
	v_add_f64 v[6:7], v[6:7], v[14:15]
	v_add_f64 v[8:9], v[8:9], v[16:17]
	s_delay_alu instid0(VALU_DEP_2) | instskip(NEXT) | instid1(VALU_DEP_2)
	v_add_f64 v[1:2], v[2:3], -v[6:7]
	v_add_f64 v[3:4], v[4:5], -v[8:9]
	scratch_store_b128 off, v[1:4], off offset:208
	v_cmpx_lt_u32_e32 12, v178
	s_cbranch_execz .LBB63_384
; %bb.383:
	scratch_load_b128 v[1:4], v255, off
	v_mov_b32_e32 v5, 0
	s_delay_alu instid0(VALU_DEP_1)
	v_mov_b32_e32 v6, v5
	v_mov_b32_e32 v7, v5
	;; [unrolled: 1-line block ×3, first 2 shown]
	scratch_store_b128 off, v[5:8], off offset:192
	s_waitcnt vmcnt(0)
	ds_store_b128 v242, v[1:4]
.LBB63_384:
	s_or_b32 exec_lo, exec_lo, s2
	s_waitcnt lgkmcnt(0)
	s_waitcnt_vscnt null, 0x0
	s_barrier
	buffer_gl0_inv
	s_clause 0x7
	scratch_load_b128 v[34:37], off, off offset:208
	scratch_load_b128 v[38:41], off, off offset:224
	;; [unrolled: 1-line block ×8, first 2 shown]
	v_mov_b32_e32 v1, 0
	s_mov_b32 s2, exec_lo
	ds_load_b128 v[46:49], v1 offset:1232
	s_clause 0x2
	scratch_load_b128 v[14:17], off, off offset:336
	scratch_load_b128 v[2:5], off, off offset:192
	;; [unrolled: 1-line block ×3, first 2 shown]
	ds_load_b128 v[42:45], v1 offset:1248
	ds_load_b128 v[243:246], v1 offset:1280
	;; [unrolled: 1-line block ×3, first 2 shown]
	s_waitcnt vmcnt(10) lgkmcnt(3)
	v_mul_f64 v[52:53], v[48:49], v[36:37]
	v_mul_f64 v[36:37], v[46:47], v[36:37]
	s_delay_alu instid0(VALU_DEP_2) | instskip(NEXT) | instid1(VALU_DEP_2)
	v_fma_f64 v[52:53], v[46:47], v[34:35], -v[52:53]
	v_fma_f64 v[56:57], v[48:49], v[34:35], v[36:37]
	ds_load_b128 v[34:37], v1 offset:1264
	s_waitcnt vmcnt(9) lgkmcnt(3)
	v_mul_f64 v[54:55], v[42:43], v[40:41]
	v_mul_f64 v[40:41], v[44:45], v[40:41]
	scratch_load_b128 v[46:49], off, off offset:368
	s_waitcnt vmcnt(9) lgkmcnt(0)
	v_mul_f64 v[58:59], v[34:35], v[32:33]
	v_mul_f64 v[32:33], v[36:37], v[32:33]
	v_add_f64 v[52:53], v[52:53], 0
	v_fma_f64 v[44:45], v[44:45], v[38:39], v[54:55]
	v_fma_f64 v[42:43], v[42:43], v[38:39], -v[40:41]
	v_add_f64 v[54:55], v[56:57], 0
	scratch_load_b128 v[38:41], off, off offset:384
	v_fma_f64 v[36:37], v[36:37], v[30:31], v[58:59]
	v_fma_f64 v[58:59], v[34:35], v[30:31], -v[32:33]
	scratch_load_b128 v[32:35], off, off offset:400
	v_add_f64 v[52:53], v[52:53], v[42:43]
	v_add_f64 v[54:55], v[54:55], v[44:45]
	ds_load_b128 v[42:45], v1 offset:1312
	s_waitcnt vmcnt(10)
	v_mul_f64 v[56:57], v[243:244], v[28:29]
	v_mul_f64 v[60:61], v[245:246], v[28:29]
	ds_load_b128 v[28:31], v1 offset:1296
	v_add_f64 v[52:53], v[52:53], v[58:59]
	v_add_f64 v[36:37], v[54:55], v[36:37]
	s_waitcnt vmcnt(8) lgkmcnt(1)
	v_mul_f64 v[54:55], v[42:43], v[20:21]
	v_fma_f64 v[56:57], v[245:246], v[26:27], v[56:57]
	v_fma_f64 v[60:61], v[243:244], v[26:27], -v[60:61]
	ds_load_b128 v[243:246], v1 offset:1344
	s_waitcnt lgkmcnt(1)
	v_mul_f64 v[62:63], v[28:29], v[24:25]
	v_mul_f64 v[64:65], v[30:31], v[24:25]
	scratch_load_b128 v[24:27], off, off offset:416
	v_mul_f64 v[58:59], v[44:45], v[20:21]
	v_fma_f64 v[54:55], v[44:45], v[18:19], v[54:55]
	v_add_f64 v[36:37], v[36:37], v[56:57]
	v_add_f64 v[52:53], v[52:53], v[60:61]
	s_waitcnt vmcnt(7) lgkmcnt(0)
	v_mul_f64 v[60:61], v[245:246], v[8:9]
	v_fma_f64 v[62:63], v[30:31], v[22:23], v[62:63]
	v_fma_f64 v[64:65], v[28:29], v[22:23], -v[64:65]
	scratch_load_b128 v[28:31], off, off offset:432
	ds_load_b128 v[20:23], v1 offset:1328
	v_fma_f64 v[18:19], v[42:43], v[18:19], -v[58:59]
	v_mul_f64 v[58:59], v[243:244], v[8:9]
	scratch_load_b128 v[42:45], off, off offset:448
	s_waitcnt lgkmcnt(0)
	v_mul_f64 v[56:57], v[20:21], v[12:13]
	v_mul_f64 v[12:13], v[22:23], v[12:13]
	v_add_f64 v[36:37], v[36:37], v[62:63]
	v_add_f64 v[52:53], v[52:53], v[64:65]
	s_delay_alu instid0(VALU_DEP_4) | instskip(NEXT) | instid1(VALU_DEP_4)
	v_fma_f64 v[22:23], v[22:23], v[10:11], v[56:57]
	v_fma_f64 v[12:13], v[20:21], v[10:11], -v[12:13]
	ds_load_b128 v[8:11], v1 offset:1360
	v_fma_f64 v[56:57], v[245:246], v[6:7], v[58:59]
	v_fma_f64 v[6:7], v[243:244], v[6:7], -v[60:61]
	scratch_load_b128 v[243:246], off, off offset:480
	v_add_f64 v[36:37], v[36:37], v[54:55]
	v_add_f64 v[52:53], v[52:53], v[18:19]
	scratch_load_b128 v[18:21], off, off offset:464
	v_add_f64 v[22:23], v[36:37], v[22:23]
	v_add_f64 v[12:13], v[52:53], v[12:13]
	s_waitcnt vmcnt(8)
	v_mul_f64 v[36:37], v[247:248], v[181:182]
	v_mul_f64 v[52:53], v[249:250], v[181:182]
	s_delay_alu instid0(VALU_DEP_4) | instskip(NEXT) | instid1(VALU_DEP_4)
	v_add_f64 v[22:23], v[22:23], v[56:57]
	v_add_f64 v[60:61], v[12:13], v[6:7]
	s_delay_alu instid0(VALU_DEP_4) | instskip(NEXT) | instid1(VALU_DEP_4)
	v_fma_f64 v[36:37], v[249:250], v[179:180], v[36:37]
	v_fma_f64 v[52:53], v[247:248], v[179:180], -v[52:53]
	ds_load_b128 v[247:250], v1 offset:1440
	s_waitcnt lgkmcnt(1)
	v_mul_f64 v[54:55], v[8:9], v[16:17]
	v_mul_f64 v[16:17], v[10:11], v[16:17]
	scratch_load_b128 v[179:182], off, off offset:512
	v_fma_f64 v[54:55], v[10:11], v[14:15], v[54:55]
	v_fma_f64 v[58:59], v[8:9], v[14:15], -v[16:17]
	ds_load_b128 v[6:9], v1 offset:1392
	ds_load_b128 v[14:17], v1 offset:1408
	scratch_load_b128 v[10:13], off, off offset:496
	s_waitcnt vmcnt(9) lgkmcnt(1)
	v_mul_f64 v[56:57], v[6:7], v[48:49]
	v_mul_f64 v[48:49], v[8:9], v[48:49]
	v_add_f64 v[22:23], v[22:23], v[54:55]
	v_add_f64 v[58:59], v[60:61], v[58:59]
	s_waitcnt vmcnt(8) lgkmcnt(0)
	v_mul_f64 v[54:55], v[14:15], v[40:41]
	v_mul_f64 v[40:41], v[16:17], v[40:41]
	v_fma_f64 v[56:57], v[8:9], v[46:47], v[56:57]
	v_fma_f64 v[60:61], v[6:7], v[46:47], -v[48:49]
	ds_load_b128 v[6:9], v1 offset:1424
	scratch_load_b128 v[46:49], off, off offset:528
	v_add_f64 v[22:23], v[22:23], v[36:37]
	v_add_f64 v[52:53], v[58:59], v[52:53]
	v_fma_f64 v[54:55], v[16:17], v[38:39], v[54:55]
	v_fma_f64 v[38:39], v[14:15], v[38:39], -v[40:41]
	scratch_load_b128 v[14:17], off, off offset:544
	v_add_f64 v[22:23], v[22:23], v[56:57]
	v_add_f64 v[40:41], v[52:53], v[60:61]
	s_waitcnt vmcnt(8)
	v_mul_f64 v[52:53], v[247:248], v[26:27]
	v_mul_f64 v[26:27], v[249:250], v[26:27]
	s_delay_alu instid0(VALU_DEP_4) | instskip(NEXT) | instid1(VALU_DEP_4)
	v_add_f64 v[22:23], v[22:23], v[54:55]
	v_add_f64 v[40:41], v[40:41], v[38:39]
	s_delay_alu instid0(VALU_DEP_4) | instskip(NEXT) | instid1(VALU_DEP_4)
	v_fma_f64 v[52:53], v[249:250], v[24:25], v[52:53]
	v_fma_f64 v[26:27], v[247:248], v[24:25], -v[26:27]
	ds_load_b128 v[247:250], v1 offset:1504
	s_waitcnt lgkmcnt(1)
	v_mul_f64 v[36:37], v[6:7], v[34:35]
	v_mul_f64 v[34:35], v[8:9], v[34:35]
	s_delay_alu instid0(VALU_DEP_2) | instskip(NEXT) | instid1(VALU_DEP_2)
	v_fma_f64 v[56:57], v[8:9], v[32:33], v[36:37]
	v_fma_f64 v[58:59], v[6:7], v[32:33], -v[34:35]
	scratch_load_b128 v[32:35], off, off offset:560
	ds_load_b128 v[6:9], v1 offset:1456
	ds_load_b128 v[36:39], v1 offset:1472
	s_waitcnt vmcnt(8) lgkmcnt(1)
	v_mul_f64 v[54:55], v[6:7], v[30:31]
	v_mul_f64 v[30:31], v[8:9], v[30:31]
	v_add_f64 v[56:57], v[22:23], v[56:57]
	v_add_f64 v[40:41], v[40:41], v[58:59]
	s_waitcnt vmcnt(7) lgkmcnt(0)
	v_mul_f64 v[58:59], v[36:37], v[44:45]
	v_mul_f64 v[44:45], v[38:39], v[44:45]
	scratch_load_b128 v[22:25], off, off offset:576
	v_fma_f64 v[54:55], v[8:9], v[28:29], v[54:55]
	v_fma_f64 v[30:31], v[6:7], v[28:29], -v[30:31]
	ds_load_b128 v[6:9], v1 offset:1488
	v_add_f64 v[52:53], v[56:57], v[52:53]
	v_add_f64 v[40:41], v[40:41], v[26:27]
	v_fma_f64 v[58:59], v[38:39], v[42:43], v[58:59]
	v_fma_f64 v[42:43], v[36:37], v[42:43], -v[44:45]
	s_clause 0x1
	scratch_load_b128 v[26:29], off, off offset:592
	scratch_load_b128 v[36:39], off, off offset:608
	s_waitcnt vmcnt(9)
	v_mul_f64 v[44:45], v[247:248], v[245:246]
	v_add_f64 v[30:31], v[40:41], v[30:31]
	v_add_f64 v[40:41], v[52:53], v[54:55]
	v_mul_f64 v[52:53], v[249:250], v[245:246]
	s_delay_alu instid0(VALU_DEP_4) | instskip(NEXT) | instid1(VALU_DEP_4)
	v_fma_f64 v[44:45], v[249:250], v[243:244], v[44:45]
	v_add_f64 v[30:31], v[30:31], v[42:43]
	s_delay_alu instid0(VALU_DEP_4)
	v_add_f64 v[58:59], v[40:41], v[58:59]
	ds_load_b128 v[40:43], v1 offset:1536
	s_waitcnt vmcnt(8) lgkmcnt(1)
	v_mul_f64 v[56:57], v[6:7], v[20:21]
	v_mul_f64 v[20:21], v[8:9], v[20:21]
	v_fma_f64 v[52:53], v[247:248], v[243:244], -v[52:53]
	scratch_load_b128 v[243:246], off, off offset:640
	ds_load_b128 v[247:250], v1 offset:1568
	v_fma_f64 v[54:55], v[8:9], v[18:19], v[56:57]
	v_fma_f64 v[56:57], v[6:7], v[18:19], -v[20:21]
	ds_load_b128 v[6:9], v1 offset:1520
	scratch_load_b128 v[18:21], off, off offset:624
	s_waitcnt vmcnt(8) lgkmcnt(0)
	v_mul_f64 v[60:61], v[6:7], v[12:13]
	v_mul_f64 v[12:13], v[8:9], v[12:13]
	v_add_f64 v[54:55], v[58:59], v[54:55]
	v_add_f64 v[30:31], v[30:31], v[56:57]
	v_mul_f64 v[56:57], v[40:41], v[181:182]
	v_mul_f64 v[58:59], v[42:43], v[181:182]
	v_fma_f64 v[60:61], v[8:9], v[10:11], v[60:61]
	v_fma_f64 v[62:63], v[6:7], v[10:11], -v[12:13]
	ds_load_b128 v[6:9], v1 offset:1552
	scratch_load_b128 v[10:13], off, off offset:656
	v_add_f64 v[44:45], v[54:55], v[44:45]
	v_add_f64 v[30:31], v[30:31], v[52:53]
	v_fma_f64 v[54:55], v[42:43], v[179:180], v[56:57]
	v_fma_f64 v[56:57], v[40:41], v[179:180], -v[58:59]
	ds_load_b128 v[179:182], v1 offset:1600
	scratch_load_b128 v[40:43], off, off offset:672
	s_waitcnt vmcnt(9) lgkmcnt(1)
	v_mul_f64 v[52:53], v[6:7], v[48:49]
	v_mul_f64 v[48:49], v[8:9], v[48:49]
	s_waitcnt vmcnt(8)
	v_mul_f64 v[58:59], v[247:248], v[16:17]
	v_mul_f64 v[16:17], v[249:250], v[16:17]
	v_add_f64 v[44:45], v[44:45], v[60:61]
	v_add_f64 v[30:31], v[30:31], v[62:63]
	v_fma_f64 v[52:53], v[8:9], v[46:47], v[52:53]
	v_fma_f64 v[48:49], v[6:7], v[46:47], -v[48:49]
	ds_load_b128 v[6:9], v1 offset:1584
	v_fma_f64 v[58:59], v[249:250], v[14:15], v[58:59]
	v_fma_f64 v[60:61], v[247:248], v[14:15], -v[16:17]
	ds_load_b128 v[247:250], v1 offset:1632
	scratch_load_b128 v[14:17], off, off offset:704
	v_add_f64 v[54:55], v[44:45], v[54:55]
	v_add_f64 v[30:31], v[30:31], v[56:57]
	scratch_load_b128 v[44:47], off, off offset:688
	s_waitcnt vmcnt(9) lgkmcnt(1)
	v_mul_f64 v[56:57], v[6:7], v[34:35]
	v_mul_f64 v[34:35], v[8:9], v[34:35]
	v_add_f64 v[30:31], v[30:31], v[48:49]
	v_add_f64 v[48:49], v[54:55], v[52:53]
	s_waitcnt vmcnt(8)
	v_mul_f64 v[52:53], v[179:180], v[24:25]
	v_mul_f64 v[24:25], v[181:182], v[24:25]
	v_fma_f64 v[54:55], v[8:9], v[32:33], v[56:57]
	v_fma_f64 v[34:35], v[6:7], v[32:33], -v[34:35]
	ds_load_b128 v[6:9], v1 offset:1616
	v_add_f64 v[56:57], v[30:31], v[60:61]
	v_add_f64 v[48:49], v[48:49], v[58:59]
	scratch_load_b128 v[30:33], off, off offset:720
	v_fma_f64 v[52:53], v[181:182], v[22:23], v[52:53]
	v_fma_f64 v[60:61], v[179:180], v[22:23], -v[24:25]
	ds_load_b128 v[179:182], v1 offset:1664
	s_waitcnt vmcnt(8) lgkmcnt(1)
	v_mul_f64 v[58:59], v[6:7], v[28:29]
	v_mul_f64 v[28:29], v[8:9], v[28:29]
	scratch_load_b128 v[22:25], off, off offset:736
	v_add_f64 v[34:35], v[56:57], v[34:35]
	v_add_f64 v[48:49], v[48:49], v[54:55]
	s_waitcnt vmcnt(8)
	v_mul_f64 v[54:55], v[247:248], v[38:39]
	v_mul_f64 v[38:39], v[249:250], v[38:39]
	v_fma_f64 v[56:57], v[8:9], v[26:27], v[58:59]
	v_fma_f64 v[58:59], v[6:7], v[26:27], -v[28:29]
	scratch_load_b128 v[26:29], off, off offset:752
	ds_load_b128 v[6:9], v1 offset:1648
	v_add_f64 v[34:35], v[34:35], v[60:61]
	v_add_f64 v[48:49], v[48:49], v[52:53]
	v_fma_f64 v[54:55], v[249:250], v[36:37], v[54:55]
	v_fma_f64 v[38:39], v[247:248], v[36:37], -v[38:39]
	s_waitcnt vmcnt(8) lgkmcnt(1)
	v_mul_f64 v[60:61], v[181:182], v[245:246]
	ds_load_b128 v[249:252], v1 offset:1728
	v_add_f64 v[58:59], v[34:35], v[58:59]
	v_add_f64 v[48:49], v[48:49], v[56:57]
	v_mul_f64 v[56:57], v[179:180], v[245:246]
	ds_load_b128 v[245:248], v1 offset:1696
	s_waitcnt vmcnt(7) lgkmcnt(2)
	v_mul_f64 v[52:53], v[6:7], v[20:21]
	v_mul_f64 v[20:21], v[8:9], v[20:21]
	scratch_load_b128 v[34:37], off, off offset:768
	v_add_f64 v[38:39], v[58:59], v[38:39]
	v_add_f64 v[48:49], v[48:49], v[54:55]
	v_fma_f64 v[56:57], v[181:182], v[243:244], v[56:57]
	v_fma_f64 v[58:59], v[179:180], v[243:244], -v[60:61]
	v_fma_f64 v[52:53], v[8:9], v[18:19], v[52:53]
	v_fma_f64 v[62:63], v[6:7], v[18:19], -v[20:21]
	scratch_load_b128 v[18:21], off, off offset:784
	ds_load_b128 v[6:9], v1 offset:1680
	scratch_load_b128 v[179:182], off, off offset:800
	s_waitcnt vmcnt(9) lgkmcnt(0)
	v_mul_f64 v[54:55], v[6:7], v[12:13]
	v_mul_f64 v[12:13], v[8:9], v[12:13]
	v_add_f64 v[48:49], v[48:49], v[52:53]
	v_add_f64 v[38:39], v[38:39], v[62:63]
	s_waitcnt vmcnt(8)
	v_mul_f64 v[52:53], v[245:246], v[42:43]
	v_mul_f64 v[42:43], v[247:248], v[42:43]
	v_fma_f64 v[54:55], v[8:9], v[10:11], v[54:55]
	v_fma_f64 v[60:61], v[6:7], v[10:11], -v[12:13]
	scratch_load_b128 v[10:13], off, off offset:816
	ds_load_b128 v[6:9], v1 offset:1712
	v_add_f64 v[48:49], v[48:49], v[56:57]
	v_add_f64 v[38:39], v[38:39], v[58:59]
	v_fma_f64 v[52:53], v[247:248], v[40:41], v[52:53]
	v_fma_f64 v[42:43], v[245:246], v[40:41], -v[42:43]
	ds_load_b128 v[243:246], v1 offset:1792
	s_waitcnt vmcnt(7) lgkmcnt(1)
	v_mul_f64 v[56:57], v[6:7], v[46:47]
	v_mul_f64 v[46:47], v[8:9], v[46:47]
	v_add_f64 v[48:49], v[48:49], v[54:55]
	v_add_f64 v[58:59], v[38:39], v[60:61]
	v_mul_f64 v[54:55], v[249:250], v[16:17]
	v_mul_f64 v[16:17], v[251:252], v[16:17]
	scratch_load_b128 v[38:41], off, off offset:832
	v_fma_f64 v[56:57], v[8:9], v[44:45], v[56:57]
	v_fma_f64 v[60:61], v[6:7], v[44:45], -v[46:47]
	ds_load_b128 v[6:9], v1 offset:1744
	v_add_f64 v[52:53], v[48:49], v[52:53]
	ds_load_b128 v[46:49], v1 offset:1760
	v_add_f64 v[58:59], v[58:59], v[42:43]
	v_fma_f64 v[54:55], v[251:252], v[14:15], v[54:55]
	v_fma_f64 v[64:65], v[249:250], v[14:15], -v[16:17]
	s_clause 0x1
	scratch_load_b128 v[42:45], off, off offset:848
	scratch_load_b128 v[14:17], off, off offset:864
	s_waitcnt vmcnt(9) lgkmcnt(1)
	v_mul_f64 v[62:63], v[6:7], v[32:33]
	v_mul_f64 v[32:33], v[8:9], v[32:33]
	v_add_f64 v[52:53], v[52:53], v[56:57]
	s_waitcnt vmcnt(8) lgkmcnt(0)
	v_mul_f64 v[56:57], v[46:47], v[24:25]
	v_add_f64 v[58:59], v[58:59], v[60:61]
	v_mul_f64 v[24:25], v[48:49], v[24:25]
	v_fma_f64 v[60:61], v[8:9], v[30:31], v[62:63]
	v_fma_f64 v[62:63], v[6:7], v[30:31], -v[32:33]
	scratch_load_b128 v[30:33], off, off offset:880
	ds_load_b128 v[6:9], v1 offset:1776
	v_add_f64 v[52:53], v[52:53], v[54:55]
	v_fma_f64 v[48:49], v[48:49], v[22:23], v[56:57]
	v_add_f64 v[58:59], v[58:59], v[64:65]
	v_fma_f64 v[46:47], v[46:47], v[22:23], -v[24:25]
	scratch_load_b128 v[22:25], off, off offset:896
	v_add_f64 v[52:53], v[52:53], v[60:61]
	v_add_f64 v[56:57], v[58:59], v[62:63]
	s_waitcnt vmcnt(8)
	v_mul_f64 v[58:59], v[243:244], v[36:37]
	v_mul_f64 v[36:37], v[245:246], v[36:37]
	s_delay_alu instid0(VALU_DEP_4) | instskip(NEXT) | instid1(VALU_DEP_4)
	v_add_f64 v[52:53], v[52:53], v[48:49]
	v_add_f64 v[56:57], v[56:57], v[46:47]
	ds_load_b128 v[46:49], v1 offset:1824
	s_waitcnt lgkmcnt(1)
	v_mul_f64 v[54:55], v[6:7], v[28:29]
	v_mul_f64 v[28:29], v[8:9], v[28:29]
	v_fma_f64 v[58:59], v[245:246], v[34:35], v[58:59]
	v_fma_f64 v[64:65], v[243:244], v[34:35], -v[36:37]
	ds_load_b128 v[243:246], v1 offset:1856
	scratch_load_b128 v[34:37], off, off offset:928
	v_fma_f64 v[54:55], v[8:9], v[26:27], v[54:55]
	v_fma_f64 v[60:61], v[6:7], v[26:27], -v[28:29]
	ds_load_b128 v[6:9], v1 offset:1808
	scratch_load_b128 v[26:29], off, off offset:912
	s_waitcnt vmcnt(9) lgkmcnt(0)
	v_mul_f64 v[62:63], v[6:7], v[20:21]
	v_mul_f64 v[20:21], v[8:9], v[20:21]
	v_add_f64 v[52:53], v[52:53], v[54:55]
	v_add_f64 v[56:57], v[56:57], v[60:61]
	s_waitcnt vmcnt(8)
	v_mul_f64 v[54:55], v[46:47], v[181:182]
	v_mul_f64 v[60:61], v[48:49], v[181:182]
	v_fma_f64 v[62:63], v[8:9], v[18:19], v[62:63]
	v_fma_f64 v[66:67], v[6:7], v[18:19], -v[20:21]
	ds_load_b128 v[6:9], v1 offset:1840
	scratch_load_b128 v[18:21], off, off offset:944
	v_add_f64 v[52:53], v[52:53], v[58:59]
	v_add_f64 v[56:57], v[56:57], v[64:65]
	v_fma_f64 v[54:55], v[48:49], v[179:180], v[54:55]
	v_fma_f64 v[60:61], v[46:47], v[179:180], -v[60:61]
	ds_load_b128 v[179:182], v1 offset:1888
	scratch_load_b128 v[46:49], off, off offset:960
	s_waitcnt vmcnt(9) lgkmcnt(1)
	v_mul_f64 v[58:59], v[6:7], v[12:13]
	v_mul_f64 v[12:13], v[8:9], v[12:13]
	v_add_f64 v[52:53], v[52:53], v[62:63]
	v_add_f64 v[56:57], v[56:57], v[66:67]
	s_waitcnt vmcnt(8)
	v_mul_f64 v[62:63], v[243:244], v[40:41]
	v_mul_f64 v[40:41], v[245:246], v[40:41]
	v_fma_f64 v[58:59], v[8:9], v[10:11], v[58:59]
	v_fma_f64 v[64:65], v[6:7], v[10:11], -v[12:13]
	scratch_load_b128 v[10:13], off, off offset:976
	ds_load_b128 v[6:9], v1 offset:1872
	v_add_f64 v[52:53], v[52:53], v[54:55]
	v_add_f64 v[56:57], v[56:57], v[60:61]
	v_fma_f64 v[60:61], v[245:246], v[38:39], v[62:63]
	v_fma_f64 v[62:63], v[243:244], v[38:39], -v[40:41]
	ds_load_b128 v[243:246], v1 offset:1920
	s_waitcnt vmcnt(8) lgkmcnt(1)
	v_mul_f64 v[54:55], v[6:7], v[44:45]
	v_mul_f64 v[44:45], v[8:9], v[44:45]
	scratch_load_b128 v[38:41], off, off offset:992
	v_add_f64 v[52:53], v[52:53], v[58:59]
	v_add_f64 v[56:57], v[56:57], v[64:65]
	s_waitcnt vmcnt(8)
	v_mul_f64 v[58:59], v[179:180], v[16:17]
	v_mul_f64 v[16:17], v[181:182], v[16:17]
	v_fma_f64 v[54:55], v[8:9], v[42:43], v[54:55]
	v_fma_f64 v[64:65], v[6:7], v[42:43], -v[44:45]
	scratch_load_b128 v[42:45], off, off offset:1008
	ds_load_b128 v[6:9], v1 offset:1904
	v_add_f64 v[52:53], v[52:53], v[60:61]
	v_add_f64 v[56:57], v[56:57], v[62:63]
	s_waitcnt vmcnt(8) lgkmcnt(0)
	v_mul_f64 v[60:61], v[6:7], v[32:33]
	v_mul_f64 v[32:33], v[8:9], v[32:33]
	v_fma_f64 v[58:59], v[181:182], v[14:15], v[58:59]
	v_fma_f64 v[14:15], v[179:180], v[14:15], -v[16:17]
	v_add_f64 v[52:53], v[52:53], v[54:55]
	v_add_f64 v[16:17], v[56:57], v[64:65]
	s_waitcnt vmcnt(7)
	v_mul_f64 v[54:55], v[243:244], v[24:25]
	v_mul_f64 v[24:25], v[245:246], v[24:25]
	v_fma_f64 v[56:57], v[8:9], v[30:31], v[60:61]
	v_fma_f64 v[30:31], v[6:7], v[30:31], -v[32:33]
	v_add_f64 v[52:53], v[52:53], v[58:59]
	v_add_f64 v[32:33], v[16:17], v[14:15]
	ds_load_b128 v[6:9], v1 offset:1936
	ds_load_b128 v[14:17], v1 offset:1952
	v_fma_f64 v[54:55], v[245:246], v[22:23], v[54:55]
	v_fma_f64 v[22:23], v[243:244], v[22:23], -v[24:25]
	s_waitcnt vmcnt(5) lgkmcnt(1)
	v_mul_f64 v[58:59], v[6:7], v[28:29]
	v_mul_f64 v[28:29], v[8:9], v[28:29]
	v_add_f64 v[24:25], v[32:33], v[30:31]
	v_add_f64 v[30:31], v[52:53], v[56:57]
	s_waitcnt lgkmcnt(0)
	v_mul_f64 v[32:33], v[14:15], v[36:37]
	v_mul_f64 v[36:37], v[16:17], v[36:37]
	v_fma_f64 v[52:53], v[8:9], v[26:27], v[58:59]
	v_fma_f64 v[26:27], v[6:7], v[26:27], -v[28:29]
	v_add_f64 v[28:29], v[24:25], v[22:23]
	v_add_f64 v[30:31], v[30:31], v[54:55]
	ds_load_b128 v[6:9], v1 offset:1968
	ds_load_b128 v[22:25], v1 offset:1984
	v_fma_f64 v[16:17], v[16:17], v[34:35], v[32:33]
	v_fma_f64 v[14:15], v[14:15], v[34:35], -v[36:37]
	s_waitcnt vmcnt(4) lgkmcnt(1)
	v_mul_f64 v[54:55], v[6:7], v[20:21]
	v_mul_f64 v[20:21], v[8:9], v[20:21]
	s_waitcnt vmcnt(3) lgkmcnt(0)
	v_mul_f64 v[32:33], v[24:25], v[48:49]
	v_add_f64 v[26:27], v[28:29], v[26:27]
	v_add_f64 v[28:29], v[30:31], v[52:53]
	v_mul_f64 v[30:31], v[22:23], v[48:49]
	v_fma_f64 v[34:35], v[8:9], v[18:19], v[54:55]
	v_fma_f64 v[18:19], v[6:7], v[18:19], -v[20:21]
	v_fma_f64 v[22:23], v[22:23], v[46:47], -v[32:33]
	v_add_f64 v[20:21], v[26:27], v[14:15]
	v_add_f64 v[26:27], v[28:29], v[16:17]
	ds_load_b128 v[6:9], v1 offset:2000
	ds_load_b128 v[14:17], v1 offset:2016
	v_fma_f64 v[24:25], v[24:25], v[46:47], v[30:31]
	s_waitcnt vmcnt(2) lgkmcnt(1)
	v_mul_f64 v[28:29], v[6:7], v[12:13]
	v_mul_f64 v[12:13], v[8:9], v[12:13]
	s_waitcnt vmcnt(1) lgkmcnt(0)
	v_mul_f64 v[30:31], v[16:17], v[40:41]
	v_add_f64 v[18:19], v[20:21], v[18:19]
	v_add_f64 v[20:21], v[26:27], v[34:35]
	v_mul_f64 v[26:27], v[14:15], v[40:41]
	v_fma_f64 v[28:29], v[8:9], v[10:11], v[28:29]
	v_fma_f64 v[10:11], v[6:7], v[10:11], -v[12:13]
	ds_load_b128 v[6:9], v1 offset:2032
	v_fma_f64 v[14:15], v[14:15], v[38:39], -v[30:31]
	v_add_f64 v[12:13], v[18:19], v[22:23]
	v_add_f64 v[18:19], v[20:21], v[24:25]
	v_fma_f64 v[16:17], v[16:17], v[38:39], v[26:27]
	s_waitcnt vmcnt(0) lgkmcnt(0)
	v_mul_f64 v[20:21], v[6:7], v[44:45]
	v_mul_f64 v[22:23], v[8:9], v[44:45]
	v_add_f64 v[10:11], v[12:13], v[10:11]
	v_add_f64 v[12:13], v[18:19], v[28:29]
	s_delay_alu instid0(VALU_DEP_4) | instskip(NEXT) | instid1(VALU_DEP_4)
	v_fma_f64 v[8:9], v[8:9], v[42:43], v[20:21]
	v_fma_f64 v[6:7], v[6:7], v[42:43], -v[22:23]
	s_delay_alu instid0(VALU_DEP_4) | instskip(NEXT) | instid1(VALU_DEP_4)
	v_add_f64 v[10:11], v[10:11], v[14:15]
	v_add_f64 v[12:13], v[12:13], v[16:17]
	s_delay_alu instid0(VALU_DEP_2) | instskip(NEXT) | instid1(VALU_DEP_2)
	v_add_f64 v[6:7], v[10:11], v[6:7]
	v_add_f64 v[8:9], v[12:13], v[8:9]
	s_delay_alu instid0(VALU_DEP_2) | instskip(NEXT) | instid1(VALU_DEP_2)
	v_add_f64 v[2:3], v[2:3], -v[6:7]
	v_add_f64 v[4:5], v[4:5], -v[8:9]
	scratch_store_b128 off, v[2:5], off offset:192
	v_cmpx_lt_u32_e32 11, v178
	s_cbranch_execz .LBB63_386
; %bb.385:
	scratch_load_b128 v[5:8], v217, off
	v_mov_b32_e32 v2, v1
	v_mov_b32_e32 v3, v1
	;; [unrolled: 1-line block ×3, first 2 shown]
	scratch_store_b128 off, v[1:4], off offset:176
	s_waitcnt vmcnt(0)
	ds_store_b128 v242, v[5:8]
.LBB63_386:
	s_or_b32 exec_lo, exec_lo, s2
	s_waitcnt lgkmcnt(0)
	s_waitcnt_vscnt null, 0x0
	s_barrier
	buffer_gl0_inv
	s_clause 0x8
	scratch_load_b128 v[34:37], off, off offset:192
	scratch_load_b128 v[38:41], off, off offset:208
	;; [unrolled: 1-line block ×9, first 2 shown]
	ds_load_b128 v[46:49], v1 offset:1216
	ds_load_b128 v[42:45], v1 offset:1232
	s_clause 0x1
	scratch_load_b128 v[2:5], off, off offset:176
	scratch_load_b128 v[179:182], off, off offset:336
	s_mov_b32 s2, exec_lo
	ds_load_b128 v[243:246], v1 offset:1264
	ds_load_b128 v[247:250], v1 offset:1392
	s_waitcnt vmcnt(10) lgkmcnt(3)
	v_mul_f64 v[52:53], v[48:49], v[36:37]
	v_mul_f64 v[36:37], v[46:47], v[36:37]
	s_waitcnt vmcnt(9) lgkmcnt(2)
	v_mul_f64 v[54:55], v[42:43], v[40:41]
	v_mul_f64 v[40:41], v[44:45], v[40:41]
	s_waitcnt vmcnt(7) lgkmcnt(1)
	v_mul_f64 v[60:61], v[245:246], v[28:29]
	v_fma_f64 v[52:53], v[46:47], v[34:35], -v[52:53]
	v_fma_f64 v[56:57], v[48:49], v[34:35], v[36:37]
	ds_load_b128 v[34:37], v1 offset:1248
	scratch_load_b128 v[46:49], off, off offset:352
	v_fma_f64 v[44:45], v[44:45], v[38:39], v[54:55]
	v_fma_f64 v[42:43], v[42:43], v[38:39], -v[40:41]
	scratch_load_b128 v[38:41], off, off offset:368
	v_fma_f64 v[60:61], v[243:244], v[26:27], -v[60:61]
	s_waitcnt lgkmcnt(0)
	v_mul_f64 v[58:59], v[34:35], v[32:33]
	v_mul_f64 v[32:33], v[36:37], v[32:33]
	v_add_f64 v[52:53], v[52:53], 0
	v_add_f64 v[54:55], v[56:57], 0
	v_mul_f64 v[56:57], v[243:244], v[28:29]
	v_fma_f64 v[36:37], v[36:37], v[30:31], v[58:59]
	v_fma_f64 v[58:59], v[34:35], v[30:31], -v[32:33]
	ds_load_b128 v[28:31], v1 offset:1280
	scratch_load_b128 v[32:35], off, off offset:384
	v_add_f64 v[52:53], v[52:53], v[42:43]
	v_add_f64 v[54:55], v[54:55], v[44:45]
	ds_load_b128 v[42:45], v1 offset:1296
	v_fma_f64 v[56:57], v[245:246], v[26:27], v[56:57]
	ds_load_b128 v[243:246], v1 offset:1328
	s_waitcnt vmcnt(9) lgkmcnt(2)
	v_mul_f64 v[62:63], v[28:29], v[24:25]
	v_mul_f64 v[64:65], v[30:31], v[24:25]
	scratch_load_b128 v[24:27], off, off offset:400
	v_add_f64 v[52:53], v[52:53], v[58:59]
	v_add_f64 v[36:37], v[54:55], v[36:37]
	s_waitcnt vmcnt(9) lgkmcnt(1)
	v_mul_f64 v[54:55], v[42:43], v[20:21]
	v_mul_f64 v[58:59], v[44:45], v[20:21]
	v_fma_f64 v[62:63], v[30:31], v[22:23], v[62:63]
	v_fma_f64 v[64:65], v[28:29], v[22:23], -v[64:65]
	ds_load_b128 v[20:23], v1 offset:1312
	scratch_load_b128 v[28:31], off, off offset:416
	v_add_f64 v[52:53], v[52:53], v[60:61]
	v_add_f64 v[36:37], v[36:37], v[56:57]
	s_waitcnt vmcnt(9) lgkmcnt(0)
	v_mul_f64 v[56:57], v[20:21], v[16:17]
	v_mul_f64 v[60:61], v[22:23], v[16:17]
	v_fma_f64 v[44:45], v[44:45], v[18:19], v[54:55]
	v_fma_f64 v[42:43], v[42:43], v[18:19], -v[58:59]
	scratch_load_b128 v[16:19], off, off offset:432
	s_waitcnt vmcnt(9)
	v_mul_f64 v[54:55], v[243:244], v[12:13]
	v_mul_f64 v[58:59], v[245:246], v[12:13]
	v_add_f64 v[52:53], v[52:53], v[64:65]
	v_add_f64 v[36:37], v[36:37], v[62:63]
	v_fma_f64 v[56:57], v[22:23], v[14:15], v[56:57]
	v_fma_f64 v[60:61], v[20:21], v[14:15], -v[60:61]
	ds_load_b128 v[12:15], v1 offset:1344
	scratch_load_b128 v[20:23], off, off offset:448
	v_fma_f64 v[54:55], v[245:246], v[10:11], v[54:55]
	v_fma_f64 v[58:59], v[243:244], v[10:11], -v[58:59]
	scratch_load_b128 v[243:246], off, off offset:480
	v_add_f64 v[52:53], v[52:53], v[42:43]
	v_add_f64 v[36:37], v[36:37], v[44:45]
	ds_load_b128 v[42:45], v1 offset:1360
	s_waitcnt vmcnt(10) lgkmcnt(1)
	v_mul_f64 v[62:63], v[12:13], v[8:9]
	v_mul_f64 v[64:65], v[14:15], v[8:9]
	scratch_load_b128 v[8:11], off, off offset:464
	v_add_f64 v[52:53], v[52:53], v[60:61]
	v_add_f64 v[36:37], v[36:37], v[56:57]
	s_waitcnt vmcnt(9) lgkmcnt(0)
	v_mul_f64 v[56:57], v[42:43], v[181:182]
	v_mul_f64 v[60:61], v[44:45], v[181:182]
	v_fma_f64 v[62:63], v[14:15], v[6:7], v[62:63]
	v_fma_f64 v[6:7], v[12:13], v[6:7], -v[64:65]
	ds_load_b128 v[12:15], v1 offset:1376
	v_add_f64 v[52:53], v[52:53], v[58:59]
	v_add_f64 v[36:37], v[36:37], v[54:55]
	v_fma_f64 v[56:57], v[44:45], v[179:180], v[56:57]
	v_fma_f64 v[58:59], v[42:43], v[179:180], -v[60:61]
	scratch_load_b128 v[42:45], off, off offset:496
	ds_load_b128 v[179:182], v1 offset:1424
	s_waitcnt vmcnt(9) lgkmcnt(1)
	v_mul_f64 v[54:55], v[12:13], v[48:49]
	v_mul_f64 v[48:49], v[14:15], v[48:49]
	v_add_f64 v[6:7], v[52:53], v[6:7]
	v_add_f64 v[36:37], v[36:37], v[62:63]
	s_waitcnt vmcnt(8)
	v_mul_f64 v[52:53], v[247:248], v[40:41]
	v_mul_f64 v[40:41], v[249:250], v[40:41]
	v_fma_f64 v[54:55], v[14:15], v[46:47], v[54:55]
	v_fma_f64 v[60:61], v[12:13], v[46:47], -v[48:49]
	ds_load_b128 v[12:15], v1 offset:1408
	scratch_load_b128 v[46:49], off, off offset:512
	v_add_f64 v[6:7], v[6:7], v[58:59]
	v_add_f64 v[36:37], v[36:37], v[56:57]
	v_fma_f64 v[52:53], v[249:250], v[38:39], v[52:53]
	s_waitcnt vmcnt(8) lgkmcnt(0)
	v_mul_f64 v[56:57], v[12:13], v[34:35]
	v_mul_f64 v[58:59], v[14:15], v[34:35]
	v_fma_f64 v[38:39], v[247:248], v[38:39], -v[40:41]
	ds_load_b128 v[247:250], v1 offset:1456
	v_add_f64 v[6:7], v[6:7], v[60:61]
	v_add_f64 v[40:41], v[36:37], v[54:55]
	scratch_load_b128 v[34:37], off, off offset:528
	s_waitcnt vmcnt(8)
	v_mul_f64 v[54:55], v[179:180], v[26:27]
	v_mul_f64 v[26:27], v[181:182], v[26:27]
	v_fma_f64 v[56:57], v[14:15], v[32:33], v[56:57]
	v_fma_f64 v[32:33], v[12:13], v[32:33], -v[58:59]
	ds_load_b128 v[12:15], v1 offset:1440
	s_waitcnt vmcnt(7) lgkmcnt(0)
	v_mul_f64 v[58:59], v[12:13], v[30:31]
	v_mul_f64 v[30:31], v[14:15], v[30:31]
	v_add_f64 v[6:7], v[6:7], v[38:39]
	v_add_f64 v[52:53], v[40:41], v[52:53]
	scratch_load_b128 v[38:41], off, off offset:544
	v_fma_f64 v[54:55], v[181:182], v[24:25], v[54:55]
	v_fma_f64 v[60:61], v[179:180], v[24:25], -v[26:27]
	scratch_load_b128 v[24:27], off, off offset:560
	ds_load_b128 v[179:182], v1 offset:1488
	v_add_f64 v[6:7], v[6:7], v[32:33]
	v_add_f64 v[32:33], v[52:53], v[56:57]
	s_waitcnt vmcnt(8)
	v_mul_f64 v[52:53], v[247:248], v[18:19]
	v_mul_f64 v[18:19], v[249:250], v[18:19]
	v_fma_f64 v[56:57], v[14:15], v[28:29], v[58:59]
	v_fma_f64 v[58:59], v[12:13], v[28:29], -v[30:31]
	ds_load_b128 v[12:15], v1 offset:1472
	scratch_load_b128 v[28:31], off, off offset:576
	v_add_f64 v[6:7], v[6:7], v[60:61]
	v_add_f64 v[32:33], v[32:33], v[54:55]
	s_waitcnt vmcnt(8) lgkmcnt(0)
	v_mul_f64 v[54:55], v[12:13], v[22:23]
	v_mul_f64 v[22:23], v[14:15], v[22:23]
	v_fma_f64 v[52:53], v[249:250], v[16:17], v[52:53]
	v_fma_f64 v[60:61], v[247:248], v[16:17], -v[18:19]
	scratch_load_b128 v[16:19], off, off offset:592
	ds_load_b128 v[247:250], v1 offset:1520
	v_add_f64 v[6:7], v[6:7], v[58:59]
	v_add_f64 v[32:33], v[32:33], v[56:57]
	s_waitcnt vmcnt(7)
	v_mul_f64 v[56:57], v[179:180], v[10:11]
	v_mul_f64 v[58:59], v[181:182], v[10:11]
	v_fma_f64 v[14:15], v[14:15], v[20:21], v[54:55]
	v_fma_f64 v[54:55], v[12:13], v[20:21], -v[22:23]
	ds_load_b128 v[10:13], v1 offset:1504
	scratch_load_b128 v[20:23], off, off offset:608
	v_add_f64 v[6:7], v[6:7], v[60:61]
	v_add_f64 v[32:33], v[32:33], v[52:53]
	s_waitcnt lgkmcnt(0)
	v_mul_f64 v[52:53], v[10:11], v[245:246]
	v_mul_f64 v[60:61], v[12:13], v[245:246]
	v_fma_f64 v[56:57], v[181:182], v[8:9], v[56:57]
	v_fma_f64 v[58:59], v[179:180], v[8:9], -v[58:59]
	scratch_load_b128 v[179:182], off, off offset:640
	v_add_f64 v[54:55], v[6:7], v[54:55]
	v_add_f64 v[14:15], v[32:33], v[14:15]
	scratch_load_b128 v[6:9], off, off offset:624
	s_waitcnt vmcnt(9)
	v_mul_f64 v[32:33], v[247:248], v[44:45]
	v_mul_f64 v[44:45], v[249:250], v[44:45]
	v_fma_f64 v[52:53], v[12:13], v[243:244], v[52:53]
	v_fma_f64 v[60:61], v[10:11], v[243:244], -v[60:61]
	ds_load_b128 v[10:13], v1 offset:1536
	ds_load_b128 v[243:246], v1 offset:1552
	v_add_f64 v[54:55], v[54:55], v[58:59]
	v_add_f64 v[14:15], v[14:15], v[56:57]
	s_waitcnt vmcnt(8) lgkmcnt(1)
	v_mul_f64 v[56:57], v[10:11], v[48:49]
	v_mul_f64 v[48:49], v[12:13], v[48:49]
	v_fma_f64 v[32:33], v[249:250], v[42:43], v[32:33]
	v_fma_f64 v[58:59], v[247:248], v[42:43], -v[44:45]
	scratch_load_b128 v[42:45], off, off offset:656
	ds_load_b128 v[247:250], v1 offset:1584
	v_add_f64 v[54:55], v[54:55], v[60:61]
	v_add_f64 v[14:15], v[14:15], v[52:53]
	v_fma_f64 v[56:57], v[12:13], v[46:47], v[56:57]
	v_fma_f64 v[60:61], v[10:11], v[46:47], -v[48:49]
	ds_load_b128 v[10:13], v1 offset:1568
	scratch_load_b128 v[46:49], off, off offset:672
	s_waitcnt vmcnt(9) lgkmcnt(2)
	v_mul_f64 v[52:53], v[243:244], v[36:37]
	v_mul_f64 v[36:37], v[245:246], v[36:37]
	v_add_f64 v[54:55], v[54:55], v[58:59]
	v_add_f64 v[14:15], v[14:15], v[32:33]
	s_waitcnt vmcnt(8) lgkmcnt(0)
	v_mul_f64 v[58:59], v[10:11], v[40:41]
	v_mul_f64 v[40:41], v[12:13], v[40:41]
	v_fma_f64 v[52:53], v[245:246], v[34:35], v[52:53]
	v_fma_f64 v[36:37], v[243:244], v[34:35], -v[36:37]
	scratch_load_b128 v[32:35], off, off offset:688
	ds_load_b128 v[243:246], v1 offset:1616
	v_add_f64 v[54:55], v[54:55], v[60:61]
	v_add_f64 v[14:15], v[14:15], v[56:57]
	s_waitcnt vmcnt(8)
	v_mul_f64 v[56:57], v[247:248], v[26:27]
	v_mul_f64 v[26:27], v[249:250], v[26:27]
	v_fma_f64 v[58:59], v[12:13], v[38:39], v[58:59]
	v_fma_f64 v[40:41], v[10:11], v[38:39], -v[40:41]
	ds_load_b128 v[10:13], v1 offset:1600
	v_add_f64 v[54:55], v[54:55], v[36:37]
	v_add_f64 v[14:15], v[14:15], v[52:53]
	scratch_load_b128 v[36:39], off, off offset:704
	s_waitcnt vmcnt(8) lgkmcnt(0)
	v_mul_f64 v[52:53], v[10:11], v[30:31]
	v_mul_f64 v[30:31], v[12:13], v[30:31]
	v_fma_f64 v[56:57], v[249:250], v[24:25], v[56:57]
	v_fma_f64 v[60:61], v[247:248], v[24:25], -v[26:27]
	scratch_load_b128 v[24:27], off, off offset:720
	ds_load_b128 v[247:250], v1 offset:1648
	v_add_f64 v[40:41], v[54:55], v[40:41]
	v_add_f64 v[14:15], v[14:15], v[58:59]
	s_waitcnt vmcnt(8)
	v_mul_f64 v[54:55], v[243:244], v[18:19]
	v_mul_f64 v[18:19], v[245:246], v[18:19]
	v_fma_f64 v[52:53], v[12:13], v[28:29], v[52:53]
	v_fma_f64 v[58:59], v[10:11], v[28:29], -v[30:31]
	ds_load_b128 v[10:13], v1 offset:1632
	scratch_load_b128 v[28:31], off, off offset:736
	v_add_f64 v[40:41], v[40:41], v[60:61]
	v_add_f64 v[14:15], v[14:15], v[56:57]
	s_waitcnt vmcnt(8) lgkmcnt(0)
	v_mul_f64 v[56:57], v[10:11], v[22:23]
	v_mul_f64 v[22:23], v[12:13], v[22:23]
	v_fma_f64 v[54:55], v[245:246], v[16:17], v[54:55]
	v_fma_f64 v[18:19], v[243:244], v[16:17], -v[18:19]
	ds_load_b128 v[243:246], v1 offset:1680
	v_add_f64 v[40:41], v[40:41], v[58:59]
	v_add_f64 v[52:53], v[14:15], v[52:53]
	scratch_load_b128 v[14:17], off, off offset:752
	v_fma_f64 v[12:13], v[12:13], v[20:21], v[56:57]
	v_fma_f64 v[22:23], v[10:11], v[20:21], -v[22:23]
	s_waitcnt vmcnt(7)
	v_mul_f64 v[58:59], v[247:248], v[8:9]
	v_mul_f64 v[60:61], v[249:250], v[8:9]
	ds_load_b128 v[8:11], v1 offset:1664
	v_add_f64 v[40:41], v[40:41], v[18:19]
	v_add_f64 v[52:53], v[52:53], v[54:55]
	scratch_load_b128 v[18:21], off, off offset:768
	s_waitcnt lgkmcnt(0)
	v_mul_f64 v[54:55], v[8:9], v[181:182]
	v_mul_f64 v[56:57], v[10:11], v[181:182]
	v_fma_f64 v[58:59], v[249:250], v[6:7], v[58:59]
	v_fma_f64 v[6:7], v[247:248], v[6:7], -v[60:61]
	scratch_load_b128 v[247:250], off, off offset:784
	v_add_f64 v[22:23], v[40:41], v[22:23]
	v_add_f64 v[12:13], v[52:53], v[12:13]
	s_waitcnt vmcnt(8)
	v_mul_f64 v[40:41], v[243:244], v[44:45]
	v_mul_f64 v[44:45], v[245:246], v[44:45]
	v_fma_f64 v[52:53], v[10:11], v[179:180], v[54:55]
	v_fma_f64 v[54:55], v[8:9], v[179:180], -v[56:57]
	ds_load_b128 v[179:182], v1 offset:1712
	v_add_f64 v[22:23], v[22:23], v[6:7]
	v_add_f64 v[56:57], v[12:13], v[58:59]
	ds_load_b128 v[6:9], v1 offset:1696
	scratch_load_b128 v[10:13], off, off offset:800
	v_fma_f64 v[60:61], v[245:246], v[42:43], v[40:41]
	v_fma_f64 v[44:45], v[243:244], v[42:43], -v[44:45]
	scratch_load_b128 v[40:43], off, off offset:816
	ds_load_b128 v[243:246], v1 offset:1744
	s_waitcnt vmcnt(9) lgkmcnt(1)
	v_mul_f64 v[58:59], v[6:7], v[48:49]
	v_mul_f64 v[48:49], v[8:9], v[48:49]
	v_add_f64 v[22:23], v[22:23], v[54:55]
	v_add_f64 v[52:53], v[56:57], v[52:53]
	s_waitcnt vmcnt(8)
	v_mul_f64 v[54:55], v[179:180], v[34:35]
	v_mul_f64 v[34:35], v[181:182], v[34:35]
	v_fma_f64 v[56:57], v[8:9], v[46:47], v[58:59]
	v_fma_f64 v[48:49], v[6:7], v[46:47], -v[48:49]
	ds_load_b128 v[6:9], v1 offset:1728
	v_add_f64 v[22:23], v[22:23], v[44:45]
	v_add_f64 v[52:53], v[52:53], v[60:61]
	scratch_load_b128 v[44:47], off, off offset:832
	v_fma_f64 v[54:55], v[181:182], v[32:33], v[54:55]
	v_fma_f64 v[60:61], v[179:180], v[32:33], -v[34:35]
	scratch_load_b128 v[32:35], off, off offset:848
	ds_load_b128 v[179:182], v1 offset:1776
	s_waitcnt vmcnt(9) lgkmcnt(1)
	v_mul_f64 v[58:59], v[6:7], v[38:39]
	v_mul_f64 v[38:39], v[8:9], v[38:39]
	v_add_f64 v[22:23], v[22:23], v[48:49]
	v_add_f64 v[48:49], v[52:53], v[56:57]
	s_waitcnt vmcnt(8)
	v_mul_f64 v[52:53], v[243:244], v[26:27]
	v_mul_f64 v[26:27], v[245:246], v[26:27]
	v_fma_f64 v[56:57], v[8:9], v[36:37], v[58:59]
	v_fma_f64 v[58:59], v[6:7], v[36:37], -v[38:39]
	ds_load_b128 v[6:9], v1 offset:1760
	scratch_load_b128 v[36:39], off, off offset:864
	v_add_f64 v[22:23], v[22:23], v[60:61]
	v_add_f64 v[48:49], v[48:49], v[54:55]
	s_waitcnt vmcnt(8) lgkmcnt(0)
	v_mul_f64 v[54:55], v[6:7], v[30:31]
	v_mul_f64 v[30:31], v[8:9], v[30:31]
	v_fma_f64 v[52:53], v[245:246], v[24:25], v[52:53]
	v_fma_f64 v[26:27], v[243:244], v[24:25], -v[26:27]
	ds_load_b128 v[243:246], v1 offset:1808
	v_add_f64 v[58:59], v[22:23], v[58:59]
	scratch_load_b128 v[22:25], off, off offset:880
	v_add_f64 v[48:49], v[48:49], v[56:57]
	v_fma_f64 v[54:55], v[8:9], v[28:29], v[54:55]
	v_fma_f64 v[30:31], v[6:7], v[28:29], -v[30:31]
	ds_load_b128 v[6:9], v1 offset:1792
	s_waitcnt vmcnt(8)
	v_mul_f64 v[56:57], v[179:180], v[16:17]
	v_mul_f64 v[16:17], v[181:182], v[16:17]
	v_add_f64 v[58:59], v[58:59], v[26:27]
	scratch_load_b128 v[26:29], off, off offset:896
	v_add_f64 v[48:49], v[48:49], v[52:53]
	s_waitcnt vmcnt(8) lgkmcnt(0)
	v_mul_f64 v[52:53], v[6:7], v[20:21]
	v_mul_f64 v[20:21], v[8:9], v[20:21]
	v_fma_f64 v[56:57], v[181:182], v[14:15], v[56:57]
	v_fma_f64 v[60:61], v[179:180], v[14:15], -v[16:17]
	scratch_load_b128 v[14:17], off, off offset:912
	ds_load_b128 v[179:182], v1 offset:1840
	v_add_f64 v[30:31], v[58:59], v[30:31]
	s_waitcnt vmcnt(8)
	v_mul_f64 v[58:59], v[245:246], v[249:250]
	v_add_f64 v[48:49], v[48:49], v[54:55]
	v_mul_f64 v[54:55], v[243:244], v[249:250]
	v_fma_f64 v[52:53], v[8:9], v[18:19], v[52:53]
	v_fma_f64 v[62:63], v[6:7], v[18:19], -v[20:21]
	ds_load_b128 v[6:9], v1 offset:1824
	scratch_load_b128 v[18:21], off, off offset:928
	v_add_f64 v[30:31], v[30:31], v[60:61]
	v_fma_f64 v[58:59], v[243:244], v[247:248], -v[58:59]
	v_add_f64 v[48:49], v[48:49], v[56:57]
	v_fma_f64 v[54:55], v[245:246], v[247:248], v[54:55]
	scratch_load_b128 v[243:246], off, off offset:944
	ds_load_b128 v[247:250], v1 offset:1872
	s_waitcnt vmcnt(9) lgkmcnt(1)
	v_mul_f64 v[56:57], v[6:7], v[12:13]
	v_mul_f64 v[12:13], v[8:9], v[12:13]
	v_add_f64 v[30:31], v[30:31], v[62:63]
	v_add_f64 v[48:49], v[48:49], v[52:53]
	s_waitcnt vmcnt(8)
	v_mul_f64 v[52:53], v[179:180], v[42:43]
	v_mul_f64 v[42:43], v[181:182], v[42:43]
	v_fma_f64 v[56:57], v[8:9], v[10:11], v[56:57]
	v_fma_f64 v[60:61], v[6:7], v[10:11], -v[12:13]
	ds_load_b128 v[6:9], v1 offset:1856
	scratch_load_b128 v[10:13], off, off offset:960
	v_add_f64 v[30:31], v[30:31], v[58:59]
	v_add_f64 v[48:49], v[48:49], v[54:55]
	v_fma_f64 v[52:53], v[181:182], v[40:41], v[52:53]
	v_fma_f64 v[58:59], v[179:180], v[40:41], -v[42:43]
	scratch_load_b128 v[40:43], off, off offset:976
	ds_load_b128 v[179:182], v1 offset:1904
	s_waitcnt vmcnt(9) lgkmcnt(1)
	v_mul_f64 v[54:55], v[6:7], v[46:47]
	v_mul_f64 v[46:47], v[8:9], v[46:47]
	v_add_f64 v[30:31], v[30:31], v[60:61]
	v_add_f64 v[48:49], v[48:49], v[56:57]
	s_waitcnt vmcnt(8)
	v_mul_f64 v[56:57], v[247:248], v[34:35]
	v_mul_f64 v[34:35], v[249:250], v[34:35]
	v_fma_f64 v[54:55], v[8:9], v[44:45], v[54:55]
	v_fma_f64 v[60:61], v[6:7], v[44:45], -v[46:47]
	ds_load_b128 v[6:9], v1 offset:1888
	scratch_load_b128 v[44:47], off, off offset:992
	v_add_f64 v[30:31], v[30:31], v[58:59]
	v_add_f64 v[48:49], v[48:49], v[52:53]
	s_waitcnt vmcnt(8) lgkmcnt(0)
	v_mul_f64 v[52:53], v[6:7], v[38:39]
	v_mul_f64 v[38:39], v[8:9], v[38:39]
	v_fma_f64 v[56:57], v[249:250], v[32:33], v[56:57]
	v_fma_f64 v[34:35], v[247:248], v[32:33], -v[34:35]
	v_add_f64 v[58:59], v[30:31], v[60:61]
	scratch_load_b128 v[30:33], off, off offset:1008
	v_add_f64 v[48:49], v[48:49], v[54:55]
	v_fma_f64 v[52:53], v[8:9], v[36:37], v[52:53]
	v_fma_f64 v[38:39], v[6:7], v[36:37], -v[38:39]
	s_waitcnt vmcnt(8)
	v_mul_f64 v[54:55], v[179:180], v[24:25]
	v_mul_f64 v[24:25], v[181:182], v[24:25]
	v_add_f64 v[58:59], v[58:59], v[34:35]
	ds_load_b128 v[6:9], v1 offset:1920
	ds_load_b128 v[34:37], v1 offset:1936
	v_add_f64 v[48:49], v[48:49], v[56:57]
	v_fma_f64 v[54:55], v[181:182], v[22:23], v[54:55]
	v_fma_f64 v[22:23], v[179:180], v[22:23], -v[24:25]
	s_waitcnt vmcnt(7) lgkmcnt(1)
	v_mul_f64 v[56:57], v[6:7], v[28:29]
	v_mul_f64 v[28:29], v[8:9], v[28:29]
	v_add_f64 v[24:25], v[58:59], v[38:39]
	v_add_f64 v[38:39], v[48:49], v[52:53]
	s_waitcnt vmcnt(6) lgkmcnt(0)
	v_mul_f64 v[48:49], v[34:35], v[16:17]
	v_mul_f64 v[16:17], v[36:37], v[16:17]
	v_fma_f64 v[52:53], v[8:9], v[26:27], v[56:57]
	v_fma_f64 v[26:27], v[6:7], v[26:27], -v[28:29]
	v_add_f64 v[28:29], v[24:25], v[22:23]
	ds_load_b128 v[6:9], v1 offset:1952
	ds_load_b128 v[22:25], v1 offset:1968
	v_add_f64 v[38:39], v[38:39], v[54:55]
	v_fma_f64 v[36:37], v[36:37], v[14:15], v[48:49]
	v_fma_f64 v[14:15], v[34:35], v[14:15], -v[16:17]
	s_waitcnt vmcnt(5) lgkmcnt(1)
	v_mul_f64 v[54:55], v[6:7], v[20:21]
	v_mul_f64 v[20:21], v[8:9], v[20:21]
	s_waitcnt vmcnt(4) lgkmcnt(0)
	v_mul_f64 v[34:35], v[24:25], v[245:246]
	v_add_f64 v[16:17], v[28:29], v[26:27]
	v_mul_f64 v[28:29], v[22:23], v[245:246]
	v_add_f64 v[26:27], v[38:39], v[52:53]
	v_fma_f64 v[38:39], v[8:9], v[18:19], v[54:55]
	v_fma_f64 v[18:19], v[6:7], v[18:19], -v[20:21]
	v_fma_f64 v[22:23], v[22:23], v[243:244], -v[34:35]
	v_add_f64 v[20:21], v[16:17], v[14:15]
	ds_load_b128 v[6:9], v1 offset:1984
	ds_load_b128 v[14:17], v1 offset:2000
	v_add_f64 v[26:27], v[26:27], v[36:37]
	v_fma_f64 v[24:25], v[24:25], v[243:244], v[28:29]
	s_waitcnt vmcnt(3) lgkmcnt(1)
	v_mul_f64 v[36:37], v[6:7], v[12:13]
	v_mul_f64 v[12:13], v[8:9], v[12:13]
	s_waitcnt vmcnt(2) lgkmcnt(0)
	v_mul_f64 v[28:29], v[16:17], v[42:43]
	v_add_f64 v[18:19], v[20:21], v[18:19]
	v_add_f64 v[20:21], v[26:27], v[38:39]
	v_mul_f64 v[26:27], v[14:15], v[42:43]
	v_fma_f64 v[34:35], v[8:9], v[10:11], v[36:37]
	v_fma_f64 v[36:37], v[6:7], v[10:11], -v[12:13]
	ds_load_b128 v[6:9], v1 offset:2016
	ds_load_b128 v[10:13], v1 offset:2032
	v_fma_f64 v[14:15], v[14:15], v[40:41], -v[28:29]
	v_add_f64 v[18:19], v[18:19], v[22:23]
	v_add_f64 v[20:21], v[20:21], v[24:25]
	s_waitcnt vmcnt(1) lgkmcnt(1)
	v_mul_f64 v[22:23], v[6:7], v[46:47]
	v_mul_f64 v[24:25], v[8:9], v[46:47]
	v_fma_f64 v[16:17], v[16:17], v[40:41], v[26:27]
	v_add_f64 v[18:19], v[18:19], v[36:37]
	v_add_f64 v[20:21], v[20:21], v[34:35]
	v_fma_f64 v[8:9], v[8:9], v[44:45], v[22:23]
	v_fma_f64 v[6:7], v[6:7], v[44:45], -v[24:25]
	s_waitcnt vmcnt(0) lgkmcnt(0)
	v_mul_f64 v[26:27], v[10:11], v[32:33]
	v_mul_f64 v[28:29], v[12:13], v[32:33]
	v_add_f64 v[14:15], v[18:19], v[14:15]
	v_add_f64 v[16:17], v[20:21], v[16:17]
	s_delay_alu instid0(VALU_DEP_4) | instskip(NEXT) | instid1(VALU_DEP_4)
	v_fma_f64 v[12:13], v[12:13], v[30:31], v[26:27]
	v_fma_f64 v[10:11], v[10:11], v[30:31], -v[28:29]
	s_delay_alu instid0(VALU_DEP_4) | instskip(NEXT) | instid1(VALU_DEP_4)
	v_add_f64 v[6:7], v[14:15], v[6:7]
	v_add_f64 v[8:9], v[16:17], v[8:9]
	s_delay_alu instid0(VALU_DEP_2) | instskip(NEXT) | instid1(VALU_DEP_2)
	v_add_f64 v[6:7], v[6:7], v[10:11]
	v_add_f64 v[8:9], v[8:9], v[12:13]
	s_delay_alu instid0(VALU_DEP_2) | instskip(NEXT) | instid1(VALU_DEP_2)
	v_add_f64 v[1:2], v[2:3], -v[6:7]
	v_add_f64 v[3:4], v[4:5], -v[8:9]
	scratch_store_b128 off, v[1:4], off offset:176
	v_cmpx_lt_u32_e32 10, v178
	s_cbranch_execz .LBB63_388
; %bb.387:
	scratch_load_b32 v1, off, off offset:1156 ; 4-byte Folded Reload
	v_mov_b32_e32 v5, 0
	s_delay_alu instid0(VALU_DEP_1)
	v_mov_b32_e32 v6, v5
	v_mov_b32_e32 v7, v5
	;; [unrolled: 1-line block ×3, first 2 shown]
	s_waitcnt vmcnt(0)
	scratch_load_b128 v[1:4], v1, off
	scratch_store_b128 off, v[5:8], off offset:160
	s_waitcnt vmcnt(0)
	ds_store_b128 v242, v[1:4]
.LBB63_388:
	s_or_b32 exec_lo, exec_lo, s2
	s_waitcnt lgkmcnt(0)
	s_waitcnt_vscnt null, 0x0
	s_barrier
	buffer_gl0_inv
	s_clause 0x7
	scratch_load_b128 v[34:37], off, off offset:176
	scratch_load_b128 v[38:41], off, off offset:192
	scratch_load_b128 v[30:33], off, off offset:208
	scratch_load_b128 v[26:29], off, off offset:224
	scratch_load_b128 v[22:25], off, off offset:240
	scratch_load_b128 v[18:21], off, off offset:256
	scratch_load_b128 v[10:13], off, off offset:272
	scratch_load_b128 v[6:9], off, off offset:288
	v_mov_b32_e32 v1, 0
	s_mov_b32 s2, exec_lo
	ds_load_b128 v[46:49], v1 offset:1200
	s_clause 0x2
	scratch_load_b128 v[14:17], off, off offset:304
	scratch_load_b128 v[2:5], off, off offset:160
	;; [unrolled: 1-line block ×3, first 2 shown]
	ds_load_b128 v[42:45], v1 offset:1216
	ds_load_b128 v[243:246], v1 offset:1248
	;; [unrolled: 1-line block ×3, first 2 shown]
	s_waitcnt vmcnt(10) lgkmcnt(3)
	v_mul_f64 v[52:53], v[48:49], v[36:37]
	v_mul_f64 v[36:37], v[46:47], v[36:37]
	s_delay_alu instid0(VALU_DEP_2) | instskip(NEXT) | instid1(VALU_DEP_2)
	v_fma_f64 v[52:53], v[46:47], v[34:35], -v[52:53]
	v_fma_f64 v[56:57], v[48:49], v[34:35], v[36:37]
	ds_load_b128 v[34:37], v1 offset:1232
	s_waitcnt vmcnt(9) lgkmcnt(3)
	v_mul_f64 v[54:55], v[42:43], v[40:41]
	v_mul_f64 v[40:41], v[44:45], v[40:41]
	scratch_load_b128 v[46:49], off, off offset:336
	s_waitcnt vmcnt(9) lgkmcnt(0)
	v_mul_f64 v[58:59], v[34:35], v[32:33]
	v_mul_f64 v[32:33], v[36:37], v[32:33]
	v_add_f64 v[52:53], v[52:53], 0
	v_fma_f64 v[44:45], v[44:45], v[38:39], v[54:55]
	v_fma_f64 v[42:43], v[42:43], v[38:39], -v[40:41]
	v_add_f64 v[54:55], v[56:57], 0
	scratch_load_b128 v[38:41], off, off offset:352
	v_fma_f64 v[36:37], v[36:37], v[30:31], v[58:59]
	v_fma_f64 v[58:59], v[34:35], v[30:31], -v[32:33]
	scratch_load_b128 v[32:35], off, off offset:368
	v_add_f64 v[52:53], v[52:53], v[42:43]
	v_add_f64 v[54:55], v[54:55], v[44:45]
	ds_load_b128 v[42:45], v1 offset:1280
	s_waitcnt vmcnt(10)
	v_mul_f64 v[56:57], v[243:244], v[28:29]
	v_mul_f64 v[60:61], v[245:246], v[28:29]
	ds_load_b128 v[28:31], v1 offset:1264
	v_add_f64 v[52:53], v[52:53], v[58:59]
	v_add_f64 v[36:37], v[54:55], v[36:37]
	s_waitcnt vmcnt(8) lgkmcnt(1)
	v_mul_f64 v[54:55], v[42:43], v[20:21]
	v_fma_f64 v[56:57], v[245:246], v[26:27], v[56:57]
	v_fma_f64 v[60:61], v[243:244], v[26:27], -v[60:61]
	ds_load_b128 v[243:246], v1 offset:1312
	s_waitcnt lgkmcnt(1)
	v_mul_f64 v[62:63], v[28:29], v[24:25]
	v_mul_f64 v[64:65], v[30:31], v[24:25]
	scratch_load_b128 v[24:27], off, off offset:384
	v_mul_f64 v[58:59], v[44:45], v[20:21]
	v_fma_f64 v[54:55], v[44:45], v[18:19], v[54:55]
	v_add_f64 v[36:37], v[36:37], v[56:57]
	v_add_f64 v[52:53], v[52:53], v[60:61]
	s_waitcnt vmcnt(7) lgkmcnt(0)
	v_mul_f64 v[60:61], v[245:246], v[8:9]
	v_fma_f64 v[62:63], v[30:31], v[22:23], v[62:63]
	v_fma_f64 v[64:65], v[28:29], v[22:23], -v[64:65]
	scratch_load_b128 v[28:31], off, off offset:400
	ds_load_b128 v[20:23], v1 offset:1296
	v_fma_f64 v[18:19], v[42:43], v[18:19], -v[58:59]
	v_mul_f64 v[58:59], v[243:244], v[8:9]
	scratch_load_b128 v[42:45], off, off offset:416
	s_waitcnt lgkmcnt(0)
	v_mul_f64 v[56:57], v[20:21], v[12:13]
	v_mul_f64 v[12:13], v[22:23], v[12:13]
	v_add_f64 v[36:37], v[36:37], v[62:63]
	v_add_f64 v[52:53], v[52:53], v[64:65]
	s_delay_alu instid0(VALU_DEP_4) | instskip(NEXT) | instid1(VALU_DEP_4)
	v_fma_f64 v[22:23], v[22:23], v[10:11], v[56:57]
	v_fma_f64 v[12:13], v[20:21], v[10:11], -v[12:13]
	ds_load_b128 v[8:11], v1 offset:1328
	v_fma_f64 v[56:57], v[245:246], v[6:7], v[58:59]
	v_fma_f64 v[6:7], v[243:244], v[6:7], -v[60:61]
	scratch_load_b128 v[243:246], off, off offset:448
	v_add_f64 v[36:37], v[36:37], v[54:55]
	v_add_f64 v[52:53], v[52:53], v[18:19]
	scratch_load_b128 v[18:21], off, off offset:432
	v_add_f64 v[22:23], v[36:37], v[22:23]
	v_add_f64 v[12:13], v[52:53], v[12:13]
	s_waitcnt vmcnt(8)
	v_mul_f64 v[36:37], v[247:248], v[181:182]
	v_mul_f64 v[52:53], v[249:250], v[181:182]
	s_delay_alu instid0(VALU_DEP_4) | instskip(NEXT) | instid1(VALU_DEP_4)
	v_add_f64 v[22:23], v[22:23], v[56:57]
	v_add_f64 v[60:61], v[12:13], v[6:7]
	s_delay_alu instid0(VALU_DEP_4) | instskip(NEXT) | instid1(VALU_DEP_4)
	v_fma_f64 v[36:37], v[249:250], v[179:180], v[36:37]
	v_fma_f64 v[52:53], v[247:248], v[179:180], -v[52:53]
	ds_load_b128 v[247:250], v1 offset:1408
	s_waitcnt lgkmcnt(1)
	v_mul_f64 v[54:55], v[8:9], v[16:17]
	v_mul_f64 v[16:17], v[10:11], v[16:17]
	scratch_load_b128 v[179:182], off, off offset:480
	v_fma_f64 v[54:55], v[10:11], v[14:15], v[54:55]
	v_fma_f64 v[58:59], v[8:9], v[14:15], -v[16:17]
	ds_load_b128 v[6:9], v1 offset:1360
	ds_load_b128 v[14:17], v1 offset:1376
	scratch_load_b128 v[10:13], off, off offset:464
	s_waitcnt vmcnt(9) lgkmcnt(1)
	v_mul_f64 v[56:57], v[6:7], v[48:49]
	v_mul_f64 v[48:49], v[8:9], v[48:49]
	v_add_f64 v[22:23], v[22:23], v[54:55]
	v_add_f64 v[58:59], v[60:61], v[58:59]
	s_waitcnt vmcnt(8) lgkmcnt(0)
	v_mul_f64 v[54:55], v[14:15], v[40:41]
	v_mul_f64 v[40:41], v[16:17], v[40:41]
	v_fma_f64 v[56:57], v[8:9], v[46:47], v[56:57]
	v_fma_f64 v[60:61], v[6:7], v[46:47], -v[48:49]
	ds_load_b128 v[6:9], v1 offset:1392
	scratch_load_b128 v[46:49], off, off offset:496
	v_add_f64 v[22:23], v[22:23], v[36:37]
	v_add_f64 v[52:53], v[58:59], v[52:53]
	v_fma_f64 v[54:55], v[16:17], v[38:39], v[54:55]
	v_fma_f64 v[38:39], v[14:15], v[38:39], -v[40:41]
	scratch_load_b128 v[14:17], off, off offset:512
	v_add_f64 v[22:23], v[22:23], v[56:57]
	v_add_f64 v[40:41], v[52:53], v[60:61]
	s_waitcnt vmcnt(8)
	v_mul_f64 v[52:53], v[247:248], v[26:27]
	v_mul_f64 v[26:27], v[249:250], v[26:27]
	s_delay_alu instid0(VALU_DEP_4) | instskip(NEXT) | instid1(VALU_DEP_4)
	v_add_f64 v[22:23], v[22:23], v[54:55]
	v_add_f64 v[40:41], v[40:41], v[38:39]
	s_delay_alu instid0(VALU_DEP_4) | instskip(NEXT) | instid1(VALU_DEP_4)
	v_fma_f64 v[52:53], v[249:250], v[24:25], v[52:53]
	v_fma_f64 v[26:27], v[247:248], v[24:25], -v[26:27]
	ds_load_b128 v[247:250], v1 offset:1472
	s_waitcnt lgkmcnt(1)
	v_mul_f64 v[36:37], v[6:7], v[34:35]
	v_mul_f64 v[34:35], v[8:9], v[34:35]
	s_delay_alu instid0(VALU_DEP_2) | instskip(NEXT) | instid1(VALU_DEP_2)
	v_fma_f64 v[56:57], v[8:9], v[32:33], v[36:37]
	v_fma_f64 v[58:59], v[6:7], v[32:33], -v[34:35]
	scratch_load_b128 v[32:35], off, off offset:528
	ds_load_b128 v[6:9], v1 offset:1424
	ds_load_b128 v[36:39], v1 offset:1440
	s_waitcnt vmcnt(8) lgkmcnt(1)
	v_mul_f64 v[54:55], v[6:7], v[30:31]
	v_mul_f64 v[30:31], v[8:9], v[30:31]
	v_add_f64 v[56:57], v[22:23], v[56:57]
	v_add_f64 v[40:41], v[40:41], v[58:59]
	s_waitcnt vmcnt(7) lgkmcnt(0)
	v_mul_f64 v[58:59], v[36:37], v[44:45]
	v_mul_f64 v[44:45], v[38:39], v[44:45]
	scratch_load_b128 v[22:25], off, off offset:544
	v_fma_f64 v[54:55], v[8:9], v[28:29], v[54:55]
	v_fma_f64 v[30:31], v[6:7], v[28:29], -v[30:31]
	ds_load_b128 v[6:9], v1 offset:1456
	v_add_f64 v[52:53], v[56:57], v[52:53]
	v_add_f64 v[40:41], v[40:41], v[26:27]
	v_fma_f64 v[58:59], v[38:39], v[42:43], v[58:59]
	v_fma_f64 v[42:43], v[36:37], v[42:43], -v[44:45]
	s_clause 0x1
	scratch_load_b128 v[26:29], off, off offset:560
	scratch_load_b128 v[36:39], off, off offset:576
	s_waitcnt vmcnt(9)
	v_mul_f64 v[44:45], v[247:248], v[245:246]
	v_add_f64 v[30:31], v[40:41], v[30:31]
	v_add_f64 v[40:41], v[52:53], v[54:55]
	v_mul_f64 v[52:53], v[249:250], v[245:246]
	s_delay_alu instid0(VALU_DEP_4) | instskip(NEXT) | instid1(VALU_DEP_4)
	v_fma_f64 v[44:45], v[249:250], v[243:244], v[44:45]
	v_add_f64 v[30:31], v[30:31], v[42:43]
	s_delay_alu instid0(VALU_DEP_4)
	v_add_f64 v[58:59], v[40:41], v[58:59]
	ds_load_b128 v[40:43], v1 offset:1504
	s_waitcnt vmcnt(8) lgkmcnt(1)
	v_mul_f64 v[56:57], v[6:7], v[20:21]
	v_mul_f64 v[20:21], v[8:9], v[20:21]
	v_fma_f64 v[52:53], v[247:248], v[243:244], -v[52:53]
	scratch_load_b128 v[243:246], off, off offset:608
	ds_load_b128 v[247:250], v1 offset:1536
	v_fma_f64 v[54:55], v[8:9], v[18:19], v[56:57]
	v_fma_f64 v[56:57], v[6:7], v[18:19], -v[20:21]
	ds_load_b128 v[6:9], v1 offset:1488
	scratch_load_b128 v[18:21], off, off offset:592
	s_waitcnt vmcnt(8) lgkmcnt(0)
	v_mul_f64 v[60:61], v[6:7], v[12:13]
	v_mul_f64 v[12:13], v[8:9], v[12:13]
	v_add_f64 v[54:55], v[58:59], v[54:55]
	v_add_f64 v[30:31], v[30:31], v[56:57]
	v_mul_f64 v[56:57], v[40:41], v[181:182]
	v_mul_f64 v[58:59], v[42:43], v[181:182]
	v_fma_f64 v[60:61], v[8:9], v[10:11], v[60:61]
	v_fma_f64 v[62:63], v[6:7], v[10:11], -v[12:13]
	ds_load_b128 v[6:9], v1 offset:1520
	scratch_load_b128 v[10:13], off, off offset:624
	v_add_f64 v[44:45], v[54:55], v[44:45]
	v_add_f64 v[30:31], v[30:31], v[52:53]
	v_fma_f64 v[54:55], v[42:43], v[179:180], v[56:57]
	v_fma_f64 v[56:57], v[40:41], v[179:180], -v[58:59]
	ds_load_b128 v[179:182], v1 offset:1568
	scratch_load_b128 v[40:43], off, off offset:640
	s_waitcnt vmcnt(9) lgkmcnt(1)
	v_mul_f64 v[52:53], v[6:7], v[48:49]
	v_mul_f64 v[48:49], v[8:9], v[48:49]
	s_waitcnt vmcnt(8)
	v_mul_f64 v[58:59], v[247:248], v[16:17]
	v_mul_f64 v[16:17], v[249:250], v[16:17]
	v_add_f64 v[44:45], v[44:45], v[60:61]
	v_add_f64 v[30:31], v[30:31], v[62:63]
	v_fma_f64 v[52:53], v[8:9], v[46:47], v[52:53]
	v_fma_f64 v[48:49], v[6:7], v[46:47], -v[48:49]
	ds_load_b128 v[6:9], v1 offset:1552
	v_fma_f64 v[58:59], v[249:250], v[14:15], v[58:59]
	v_fma_f64 v[60:61], v[247:248], v[14:15], -v[16:17]
	ds_load_b128 v[247:250], v1 offset:1600
	scratch_load_b128 v[14:17], off, off offset:672
	v_add_f64 v[54:55], v[44:45], v[54:55]
	v_add_f64 v[30:31], v[30:31], v[56:57]
	scratch_load_b128 v[44:47], off, off offset:656
	s_waitcnt vmcnt(9) lgkmcnt(1)
	v_mul_f64 v[56:57], v[6:7], v[34:35]
	v_mul_f64 v[34:35], v[8:9], v[34:35]
	v_add_f64 v[30:31], v[30:31], v[48:49]
	v_add_f64 v[48:49], v[54:55], v[52:53]
	s_waitcnt vmcnt(8)
	v_mul_f64 v[52:53], v[179:180], v[24:25]
	v_mul_f64 v[24:25], v[181:182], v[24:25]
	v_fma_f64 v[54:55], v[8:9], v[32:33], v[56:57]
	v_fma_f64 v[34:35], v[6:7], v[32:33], -v[34:35]
	ds_load_b128 v[6:9], v1 offset:1584
	v_add_f64 v[56:57], v[30:31], v[60:61]
	v_add_f64 v[48:49], v[48:49], v[58:59]
	scratch_load_b128 v[30:33], off, off offset:688
	v_fma_f64 v[52:53], v[181:182], v[22:23], v[52:53]
	v_fma_f64 v[60:61], v[179:180], v[22:23], -v[24:25]
	ds_load_b128 v[179:182], v1 offset:1632
	s_waitcnt vmcnt(8) lgkmcnt(1)
	v_mul_f64 v[58:59], v[6:7], v[28:29]
	v_mul_f64 v[28:29], v[8:9], v[28:29]
	scratch_load_b128 v[22:25], off, off offset:704
	v_add_f64 v[34:35], v[56:57], v[34:35]
	v_add_f64 v[48:49], v[48:49], v[54:55]
	s_waitcnt vmcnt(8)
	v_mul_f64 v[54:55], v[247:248], v[38:39]
	v_mul_f64 v[38:39], v[249:250], v[38:39]
	v_fma_f64 v[56:57], v[8:9], v[26:27], v[58:59]
	v_fma_f64 v[58:59], v[6:7], v[26:27], -v[28:29]
	scratch_load_b128 v[26:29], off, off offset:720
	ds_load_b128 v[6:9], v1 offset:1616
	v_add_f64 v[34:35], v[34:35], v[60:61]
	v_add_f64 v[48:49], v[48:49], v[52:53]
	v_fma_f64 v[54:55], v[249:250], v[36:37], v[54:55]
	v_fma_f64 v[38:39], v[247:248], v[36:37], -v[38:39]
	s_waitcnt vmcnt(8) lgkmcnt(1)
	v_mul_f64 v[60:61], v[181:182], v[245:246]
	ds_load_b128 v[249:252], v1 offset:1696
	v_add_f64 v[58:59], v[34:35], v[58:59]
	v_add_f64 v[48:49], v[48:49], v[56:57]
	v_mul_f64 v[56:57], v[179:180], v[245:246]
	ds_load_b128 v[245:248], v1 offset:1664
	s_waitcnt vmcnt(7) lgkmcnt(2)
	v_mul_f64 v[52:53], v[6:7], v[20:21]
	v_mul_f64 v[20:21], v[8:9], v[20:21]
	scratch_load_b128 v[34:37], off, off offset:736
	v_add_f64 v[38:39], v[58:59], v[38:39]
	v_add_f64 v[48:49], v[48:49], v[54:55]
	v_fma_f64 v[56:57], v[181:182], v[243:244], v[56:57]
	v_fma_f64 v[58:59], v[179:180], v[243:244], -v[60:61]
	v_fma_f64 v[52:53], v[8:9], v[18:19], v[52:53]
	v_fma_f64 v[62:63], v[6:7], v[18:19], -v[20:21]
	scratch_load_b128 v[18:21], off, off offset:752
	ds_load_b128 v[6:9], v1 offset:1648
	scratch_load_b128 v[179:182], off, off offset:768
	s_waitcnt vmcnt(9) lgkmcnt(0)
	v_mul_f64 v[54:55], v[6:7], v[12:13]
	v_mul_f64 v[12:13], v[8:9], v[12:13]
	v_add_f64 v[48:49], v[48:49], v[52:53]
	v_add_f64 v[38:39], v[38:39], v[62:63]
	s_waitcnt vmcnt(8)
	v_mul_f64 v[52:53], v[245:246], v[42:43]
	v_mul_f64 v[42:43], v[247:248], v[42:43]
	v_fma_f64 v[54:55], v[8:9], v[10:11], v[54:55]
	v_fma_f64 v[60:61], v[6:7], v[10:11], -v[12:13]
	scratch_load_b128 v[10:13], off, off offset:784
	ds_load_b128 v[6:9], v1 offset:1680
	v_add_f64 v[48:49], v[48:49], v[56:57]
	v_add_f64 v[38:39], v[38:39], v[58:59]
	v_fma_f64 v[52:53], v[247:248], v[40:41], v[52:53]
	v_fma_f64 v[42:43], v[245:246], v[40:41], -v[42:43]
	ds_load_b128 v[243:246], v1 offset:1760
	s_waitcnt vmcnt(7) lgkmcnt(1)
	v_mul_f64 v[56:57], v[6:7], v[46:47]
	v_mul_f64 v[46:47], v[8:9], v[46:47]
	v_add_f64 v[48:49], v[48:49], v[54:55]
	v_add_f64 v[58:59], v[38:39], v[60:61]
	v_mul_f64 v[54:55], v[249:250], v[16:17]
	v_mul_f64 v[16:17], v[251:252], v[16:17]
	scratch_load_b128 v[38:41], off, off offset:800
	v_fma_f64 v[56:57], v[8:9], v[44:45], v[56:57]
	v_fma_f64 v[60:61], v[6:7], v[44:45], -v[46:47]
	ds_load_b128 v[6:9], v1 offset:1712
	v_add_f64 v[52:53], v[48:49], v[52:53]
	ds_load_b128 v[46:49], v1 offset:1728
	v_add_f64 v[58:59], v[58:59], v[42:43]
	v_fma_f64 v[54:55], v[251:252], v[14:15], v[54:55]
	v_fma_f64 v[64:65], v[249:250], v[14:15], -v[16:17]
	s_clause 0x1
	scratch_load_b128 v[42:45], off, off offset:816
	scratch_load_b128 v[14:17], off, off offset:832
	s_waitcnt vmcnt(9) lgkmcnt(1)
	v_mul_f64 v[62:63], v[6:7], v[32:33]
	v_mul_f64 v[32:33], v[8:9], v[32:33]
	v_add_f64 v[52:53], v[52:53], v[56:57]
	s_waitcnt vmcnt(8) lgkmcnt(0)
	v_mul_f64 v[56:57], v[46:47], v[24:25]
	v_add_f64 v[58:59], v[58:59], v[60:61]
	v_mul_f64 v[24:25], v[48:49], v[24:25]
	v_fma_f64 v[60:61], v[8:9], v[30:31], v[62:63]
	v_fma_f64 v[62:63], v[6:7], v[30:31], -v[32:33]
	scratch_load_b128 v[30:33], off, off offset:848
	ds_load_b128 v[6:9], v1 offset:1744
	v_add_f64 v[52:53], v[52:53], v[54:55]
	v_fma_f64 v[48:49], v[48:49], v[22:23], v[56:57]
	v_add_f64 v[58:59], v[58:59], v[64:65]
	v_fma_f64 v[46:47], v[46:47], v[22:23], -v[24:25]
	scratch_load_b128 v[22:25], off, off offset:864
	v_add_f64 v[52:53], v[52:53], v[60:61]
	v_add_f64 v[56:57], v[58:59], v[62:63]
	s_waitcnt vmcnt(8)
	v_mul_f64 v[58:59], v[243:244], v[36:37]
	v_mul_f64 v[36:37], v[245:246], v[36:37]
	s_delay_alu instid0(VALU_DEP_4) | instskip(NEXT) | instid1(VALU_DEP_4)
	v_add_f64 v[52:53], v[52:53], v[48:49]
	v_add_f64 v[56:57], v[56:57], v[46:47]
	ds_load_b128 v[46:49], v1 offset:1792
	s_waitcnt lgkmcnt(1)
	v_mul_f64 v[54:55], v[6:7], v[28:29]
	v_mul_f64 v[28:29], v[8:9], v[28:29]
	v_fma_f64 v[58:59], v[245:246], v[34:35], v[58:59]
	v_fma_f64 v[64:65], v[243:244], v[34:35], -v[36:37]
	ds_load_b128 v[243:246], v1 offset:1824
	scratch_load_b128 v[34:37], off, off offset:896
	v_fma_f64 v[54:55], v[8:9], v[26:27], v[54:55]
	v_fma_f64 v[60:61], v[6:7], v[26:27], -v[28:29]
	ds_load_b128 v[6:9], v1 offset:1776
	scratch_load_b128 v[26:29], off, off offset:880
	s_waitcnt vmcnt(9) lgkmcnt(0)
	v_mul_f64 v[62:63], v[6:7], v[20:21]
	v_mul_f64 v[20:21], v[8:9], v[20:21]
	v_add_f64 v[52:53], v[52:53], v[54:55]
	v_add_f64 v[56:57], v[56:57], v[60:61]
	s_waitcnt vmcnt(8)
	v_mul_f64 v[54:55], v[46:47], v[181:182]
	v_mul_f64 v[60:61], v[48:49], v[181:182]
	v_fma_f64 v[62:63], v[8:9], v[18:19], v[62:63]
	v_fma_f64 v[66:67], v[6:7], v[18:19], -v[20:21]
	ds_load_b128 v[6:9], v1 offset:1808
	scratch_load_b128 v[18:21], off, off offset:912
	v_add_f64 v[52:53], v[52:53], v[58:59]
	v_add_f64 v[56:57], v[56:57], v[64:65]
	v_fma_f64 v[54:55], v[48:49], v[179:180], v[54:55]
	v_fma_f64 v[60:61], v[46:47], v[179:180], -v[60:61]
	ds_load_b128 v[179:182], v1 offset:1856
	scratch_load_b128 v[46:49], off, off offset:928
	s_waitcnt vmcnt(9) lgkmcnt(1)
	v_mul_f64 v[58:59], v[6:7], v[12:13]
	v_mul_f64 v[12:13], v[8:9], v[12:13]
	v_add_f64 v[52:53], v[52:53], v[62:63]
	v_add_f64 v[56:57], v[56:57], v[66:67]
	s_waitcnt vmcnt(8)
	v_mul_f64 v[62:63], v[243:244], v[40:41]
	v_mul_f64 v[40:41], v[245:246], v[40:41]
	v_fma_f64 v[58:59], v[8:9], v[10:11], v[58:59]
	v_fma_f64 v[64:65], v[6:7], v[10:11], -v[12:13]
	scratch_load_b128 v[10:13], off, off offset:944
	ds_load_b128 v[6:9], v1 offset:1840
	v_add_f64 v[52:53], v[52:53], v[54:55]
	v_add_f64 v[56:57], v[56:57], v[60:61]
	v_fma_f64 v[60:61], v[245:246], v[38:39], v[62:63]
	v_fma_f64 v[62:63], v[243:244], v[38:39], -v[40:41]
	ds_load_b128 v[243:246], v1 offset:1888
	s_waitcnt vmcnt(8) lgkmcnt(1)
	v_mul_f64 v[54:55], v[6:7], v[44:45]
	v_mul_f64 v[44:45], v[8:9], v[44:45]
	scratch_load_b128 v[38:41], off, off offset:960
	v_add_f64 v[52:53], v[52:53], v[58:59]
	v_add_f64 v[56:57], v[56:57], v[64:65]
	s_waitcnt vmcnt(8)
	v_mul_f64 v[58:59], v[179:180], v[16:17]
	v_mul_f64 v[16:17], v[181:182], v[16:17]
	v_fma_f64 v[54:55], v[8:9], v[42:43], v[54:55]
	v_fma_f64 v[64:65], v[6:7], v[42:43], -v[44:45]
	scratch_load_b128 v[42:45], off, off offset:976
	ds_load_b128 v[6:9], v1 offset:1872
	v_add_f64 v[52:53], v[52:53], v[60:61]
	v_add_f64 v[56:57], v[56:57], v[62:63]
	v_fma_f64 v[58:59], v[181:182], v[14:15], v[58:59]
	v_fma_f64 v[62:63], v[179:180], v[14:15], -v[16:17]
	ds_load_b128 v[179:182], v1 offset:1920
	s_waitcnt vmcnt(8) lgkmcnt(1)
	v_mul_f64 v[60:61], v[6:7], v[32:33]
	v_mul_f64 v[32:33], v[8:9], v[32:33]
	scratch_load_b128 v[14:17], off, off offset:992
	v_add_f64 v[52:53], v[52:53], v[54:55]
	v_add_f64 v[56:57], v[56:57], v[64:65]
	s_waitcnt vmcnt(8)
	v_mul_f64 v[54:55], v[243:244], v[24:25]
	v_mul_f64 v[24:25], v[245:246], v[24:25]
	v_fma_f64 v[60:61], v[8:9], v[30:31], v[60:61]
	v_fma_f64 v[64:65], v[6:7], v[30:31], -v[32:33]
	scratch_load_b128 v[30:33], off, off offset:1008
	ds_load_b128 v[6:9], v1 offset:1904
	v_add_f64 v[52:53], v[52:53], v[58:59]
	v_add_f64 v[56:57], v[56:57], v[62:63]
	v_fma_f64 v[54:55], v[245:246], v[22:23], v[54:55]
	v_fma_f64 v[22:23], v[243:244], v[22:23], -v[24:25]
	s_waitcnt vmcnt(7) lgkmcnt(0)
	v_mul_f64 v[58:59], v[6:7], v[28:29]
	v_mul_f64 v[28:29], v[8:9], v[28:29]
	v_add_f64 v[52:53], v[52:53], v[60:61]
	v_add_f64 v[24:25], v[56:57], v[64:65]
	v_mul_f64 v[56:57], v[179:180], v[36:37]
	v_mul_f64 v[36:37], v[181:182], v[36:37]
	v_fma_f64 v[58:59], v[8:9], v[26:27], v[58:59]
	v_fma_f64 v[26:27], v[6:7], v[26:27], -v[28:29]
	v_add_f64 v[52:53], v[52:53], v[54:55]
	v_add_f64 v[28:29], v[24:25], v[22:23]
	ds_load_b128 v[6:9], v1 offset:1936
	ds_load_b128 v[22:25], v1 offset:1952
	v_fma_f64 v[56:57], v[181:182], v[34:35], v[56:57]
	v_fma_f64 v[34:35], v[179:180], v[34:35], -v[36:37]
	s_waitcnt vmcnt(6) lgkmcnt(1)
	v_mul_f64 v[54:55], v[6:7], v[20:21]
	v_mul_f64 v[20:21], v[8:9], v[20:21]
	s_waitcnt vmcnt(5) lgkmcnt(0)
	v_mul_f64 v[36:37], v[22:23], v[48:49]
	v_mul_f64 v[48:49], v[24:25], v[48:49]
	v_add_f64 v[26:27], v[28:29], v[26:27]
	v_add_f64 v[28:29], v[52:53], v[58:59]
	v_fma_f64 v[52:53], v[8:9], v[18:19], v[54:55]
	v_fma_f64 v[54:55], v[6:7], v[18:19], -v[20:21]
	ds_load_b128 v[6:9], v1 offset:1968
	ds_load_b128 v[18:21], v1 offset:1984
	v_fma_f64 v[24:25], v[24:25], v[46:47], v[36:37]
	v_fma_f64 v[22:23], v[22:23], v[46:47], -v[48:49]
	v_add_f64 v[26:27], v[26:27], v[34:35]
	v_add_f64 v[28:29], v[28:29], v[56:57]
	s_waitcnt vmcnt(4) lgkmcnt(1)
	v_mul_f64 v[34:35], v[6:7], v[12:13]
	v_mul_f64 v[12:13], v[8:9], v[12:13]
	s_waitcnt vmcnt(3) lgkmcnt(0)
	v_mul_f64 v[36:37], v[18:19], v[40:41]
	v_mul_f64 v[40:41], v[20:21], v[40:41]
	v_add_f64 v[26:27], v[26:27], v[54:55]
	v_add_f64 v[28:29], v[28:29], v[52:53]
	v_fma_f64 v[34:35], v[8:9], v[10:11], v[34:35]
	v_fma_f64 v[46:47], v[6:7], v[10:11], -v[12:13]
	ds_load_b128 v[6:9], v1 offset:2000
	ds_load_b128 v[10:13], v1 offset:2016
	v_fma_f64 v[20:21], v[20:21], v[38:39], v[36:37]
	v_fma_f64 v[18:19], v[18:19], v[38:39], -v[40:41]
	v_add_f64 v[22:23], v[26:27], v[22:23]
	v_add_f64 v[24:25], v[28:29], v[24:25]
	s_waitcnt vmcnt(2) lgkmcnt(1)
	v_mul_f64 v[26:27], v[6:7], v[44:45]
	v_mul_f64 v[28:29], v[8:9], v[44:45]
	s_delay_alu instid0(VALU_DEP_4) | instskip(NEXT) | instid1(VALU_DEP_4)
	v_add_f64 v[22:23], v[22:23], v[46:47]
	v_add_f64 v[24:25], v[24:25], v[34:35]
	s_waitcnt vmcnt(1) lgkmcnt(0)
	v_mul_f64 v[34:35], v[10:11], v[16:17]
	v_mul_f64 v[16:17], v[12:13], v[16:17]
	v_fma_f64 v[26:27], v[8:9], v[42:43], v[26:27]
	v_fma_f64 v[28:29], v[6:7], v[42:43], -v[28:29]
	ds_load_b128 v[6:9], v1 offset:2032
	v_add_f64 v[18:19], v[22:23], v[18:19]
	v_add_f64 v[20:21], v[24:25], v[20:21]
	s_waitcnt vmcnt(0) lgkmcnt(0)
	v_mul_f64 v[22:23], v[6:7], v[32:33]
	v_mul_f64 v[24:25], v[8:9], v[32:33]
	v_fma_f64 v[12:13], v[12:13], v[14:15], v[34:35]
	v_fma_f64 v[10:11], v[10:11], v[14:15], -v[16:17]
	v_add_f64 v[14:15], v[18:19], v[28:29]
	v_add_f64 v[16:17], v[20:21], v[26:27]
	v_fma_f64 v[8:9], v[8:9], v[30:31], v[22:23]
	v_fma_f64 v[6:7], v[6:7], v[30:31], -v[24:25]
	s_delay_alu instid0(VALU_DEP_4) | instskip(NEXT) | instid1(VALU_DEP_4)
	v_add_f64 v[10:11], v[14:15], v[10:11]
	v_add_f64 v[12:13], v[16:17], v[12:13]
	s_delay_alu instid0(VALU_DEP_2) | instskip(NEXT) | instid1(VALU_DEP_2)
	v_add_f64 v[6:7], v[10:11], v[6:7]
	v_add_f64 v[8:9], v[12:13], v[8:9]
	s_delay_alu instid0(VALU_DEP_2) | instskip(NEXT) | instid1(VALU_DEP_2)
	v_add_f64 v[2:3], v[2:3], -v[6:7]
	v_add_f64 v[4:5], v[4:5], -v[8:9]
	scratch_store_b128 off, v[2:5], off offset:160
	v_cmpx_lt_u32_e32 9, v178
	s_cbranch_execz .LBB63_390
; %bb.389:
	scratch_load_b32 v2, off, off offset:1160 ; 4-byte Folded Reload
	v_mov_b32_e32 v3, v1
	v_mov_b32_e32 v4, v1
	s_waitcnt vmcnt(0)
	scratch_load_b128 v[5:8], v2, off
	v_mov_b32_e32 v2, v1
	scratch_store_b128 off, v[1:4], off offset:144
	s_waitcnt vmcnt(0)
	ds_store_b128 v242, v[5:8]
.LBB63_390:
	s_or_b32 exec_lo, exec_lo, s2
	s_waitcnt lgkmcnt(0)
	s_waitcnt_vscnt null, 0x0
	s_barrier
	buffer_gl0_inv
	s_clause 0x8
	scratch_load_b128 v[34:37], off, off offset:160
	scratch_load_b128 v[38:41], off, off offset:176
	;; [unrolled: 1-line block ×9, first 2 shown]
	ds_load_b128 v[46:49], v1 offset:1184
	ds_load_b128 v[42:45], v1 offset:1200
	s_clause 0x1
	scratch_load_b128 v[2:5], off, off offset:144
	scratch_load_b128 v[179:182], off, off offset:304
	s_mov_b32 s2, exec_lo
	ds_load_b128 v[243:246], v1 offset:1232
	ds_load_b128 v[247:250], v1 offset:1360
	s_waitcnt vmcnt(10) lgkmcnt(3)
	v_mul_f64 v[52:53], v[48:49], v[36:37]
	v_mul_f64 v[36:37], v[46:47], v[36:37]
	s_waitcnt vmcnt(9) lgkmcnt(2)
	v_mul_f64 v[54:55], v[42:43], v[40:41]
	v_mul_f64 v[40:41], v[44:45], v[40:41]
	s_waitcnt vmcnt(7) lgkmcnt(1)
	v_mul_f64 v[60:61], v[245:246], v[28:29]
	v_fma_f64 v[52:53], v[46:47], v[34:35], -v[52:53]
	v_fma_f64 v[56:57], v[48:49], v[34:35], v[36:37]
	ds_load_b128 v[34:37], v1 offset:1216
	scratch_load_b128 v[46:49], off, off offset:320
	v_fma_f64 v[44:45], v[44:45], v[38:39], v[54:55]
	v_fma_f64 v[42:43], v[42:43], v[38:39], -v[40:41]
	scratch_load_b128 v[38:41], off, off offset:336
	v_fma_f64 v[60:61], v[243:244], v[26:27], -v[60:61]
	s_waitcnt lgkmcnt(0)
	v_mul_f64 v[58:59], v[34:35], v[32:33]
	v_mul_f64 v[32:33], v[36:37], v[32:33]
	v_add_f64 v[52:53], v[52:53], 0
	v_add_f64 v[54:55], v[56:57], 0
	v_mul_f64 v[56:57], v[243:244], v[28:29]
	v_fma_f64 v[36:37], v[36:37], v[30:31], v[58:59]
	v_fma_f64 v[58:59], v[34:35], v[30:31], -v[32:33]
	ds_load_b128 v[28:31], v1 offset:1248
	scratch_load_b128 v[32:35], off, off offset:352
	v_add_f64 v[52:53], v[52:53], v[42:43]
	v_add_f64 v[54:55], v[54:55], v[44:45]
	ds_load_b128 v[42:45], v1 offset:1264
	v_fma_f64 v[56:57], v[245:246], v[26:27], v[56:57]
	ds_load_b128 v[243:246], v1 offset:1296
	s_waitcnt vmcnt(9) lgkmcnt(2)
	v_mul_f64 v[62:63], v[28:29], v[24:25]
	v_mul_f64 v[64:65], v[30:31], v[24:25]
	scratch_load_b128 v[24:27], off, off offset:368
	v_add_f64 v[52:53], v[52:53], v[58:59]
	v_add_f64 v[36:37], v[54:55], v[36:37]
	s_waitcnt vmcnt(9) lgkmcnt(1)
	v_mul_f64 v[54:55], v[42:43], v[20:21]
	v_mul_f64 v[58:59], v[44:45], v[20:21]
	v_fma_f64 v[62:63], v[30:31], v[22:23], v[62:63]
	v_fma_f64 v[64:65], v[28:29], v[22:23], -v[64:65]
	ds_load_b128 v[20:23], v1 offset:1280
	scratch_load_b128 v[28:31], off, off offset:384
	v_add_f64 v[52:53], v[52:53], v[60:61]
	v_add_f64 v[36:37], v[36:37], v[56:57]
	s_waitcnt vmcnt(9) lgkmcnt(0)
	v_mul_f64 v[56:57], v[20:21], v[16:17]
	v_mul_f64 v[60:61], v[22:23], v[16:17]
	v_fma_f64 v[44:45], v[44:45], v[18:19], v[54:55]
	v_fma_f64 v[42:43], v[42:43], v[18:19], -v[58:59]
	scratch_load_b128 v[16:19], off, off offset:400
	s_waitcnt vmcnt(9)
	v_mul_f64 v[54:55], v[243:244], v[12:13]
	v_mul_f64 v[58:59], v[245:246], v[12:13]
	v_add_f64 v[52:53], v[52:53], v[64:65]
	v_add_f64 v[36:37], v[36:37], v[62:63]
	v_fma_f64 v[56:57], v[22:23], v[14:15], v[56:57]
	v_fma_f64 v[60:61], v[20:21], v[14:15], -v[60:61]
	ds_load_b128 v[12:15], v1 offset:1312
	scratch_load_b128 v[20:23], off, off offset:416
	v_fma_f64 v[54:55], v[245:246], v[10:11], v[54:55]
	v_fma_f64 v[58:59], v[243:244], v[10:11], -v[58:59]
	scratch_load_b128 v[243:246], off, off offset:448
	v_add_f64 v[52:53], v[52:53], v[42:43]
	v_add_f64 v[36:37], v[36:37], v[44:45]
	ds_load_b128 v[42:45], v1 offset:1328
	s_waitcnt vmcnt(10) lgkmcnt(1)
	v_mul_f64 v[62:63], v[12:13], v[8:9]
	v_mul_f64 v[64:65], v[14:15], v[8:9]
	scratch_load_b128 v[8:11], off, off offset:432
	v_add_f64 v[52:53], v[52:53], v[60:61]
	v_add_f64 v[36:37], v[36:37], v[56:57]
	s_waitcnt vmcnt(9) lgkmcnt(0)
	v_mul_f64 v[56:57], v[42:43], v[181:182]
	v_mul_f64 v[60:61], v[44:45], v[181:182]
	v_fma_f64 v[62:63], v[14:15], v[6:7], v[62:63]
	v_fma_f64 v[6:7], v[12:13], v[6:7], -v[64:65]
	ds_load_b128 v[12:15], v1 offset:1344
	v_add_f64 v[52:53], v[52:53], v[58:59]
	v_add_f64 v[36:37], v[36:37], v[54:55]
	v_fma_f64 v[56:57], v[44:45], v[179:180], v[56:57]
	v_fma_f64 v[58:59], v[42:43], v[179:180], -v[60:61]
	scratch_load_b128 v[42:45], off, off offset:464
	ds_load_b128 v[179:182], v1 offset:1392
	s_waitcnt vmcnt(9) lgkmcnt(1)
	v_mul_f64 v[54:55], v[12:13], v[48:49]
	v_mul_f64 v[48:49], v[14:15], v[48:49]
	v_add_f64 v[6:7], v[52:53], v[6:7]
	v_add_f64 v[36:37], v[36:37], v[62:63]
	s_waitcnt vmcnt(8)
	v_mul_f64 v[52:53], v[247:248], v[40:41]
	v_mul_f64 v[40:41], v[249:250], v[40:41]
	v_fma_f64 v[54:55], v[14:15], v[46:47], v[54:55]
	v_fma_f64 v[60:61], v[12:13], v[46:47], -v[48:49]
	ds_load_b128 v[12:15], v1 offset:1376
	scratch_load_b128 v[46:49], off, off offset:480
	v_add_f64 v[6:7], v[6:7], v[58:59]
	v_add_f64 v[36:37], v[36:37], v[56:57]
	v_fma_f64 v[52:53], v[249:250], v[38:39], v[52:53]
	s_waitcnt vmcnt(8) lgkmcnt(0)
	v_mul_f64 v[56:57], v[12:13], v[34:35]
	v_mul_f64 v[58:59], v[14:15], v[34:35]
	v_fma_f64 v[38:39], v[247:248], v[38:39], -v[40:41]
	ds_load_b128 v[247:250], v1 offset:1424
	v_add_f64 v[6:7], v[6:7], v[60:61]
	v_add_f64 v[40:41], v[36:37], v[54:55]
	scratch_load_b128 v[34:37], off, off offset:496
	s_waitcnt vmcnt(8)
	v_mul_f64 v[54:55], v[179:180], v[26:27]
	v_mul_f64 v[26:27], v[181:182], v[26:27]
	v_fma_f64 v[56:57], v[14:15], v[32:33], v[56:57]
	v_fma_f64 v[32:33], v[12:13], v[32:33], -v[58:59]
	ds_load_b128 v[12:15], v1 offset:1408
	s_waitcnt vmcnt(7) lgkmcnt(0)
	v_mul_f64 v[58:59], v[12:13], v[30:31]
	v_mul_f64 v[30:31], v[14:15], v[30:31]
	v_add_f64 v[6:7], v[6:7], v[38:39]
	v_add_f64 v[52:53], v[40:41], v[52:53]
	scratch_load_b128 v[38:41], off, off offset:512
	v_fma_f64 v[54:55], v[181:182], v[24:25], v[54:55]
	v_fma_f64 v[60:61], v[179:180], v[24:25], -v[26:27]
	scratch_load_b128 v[24:27], off, off offset:528
	ds_load_b128 v[179:182], v1 offset:1456
	v_add_f64 v[6:7], v[6:7], v[32:33]
	v_add_f64 v[32:33], v[52:53], v[56:57]
	s_waitcnt vmcnt(8)
	v_mul_f64 v[52:53], v[247:248], v[18:19]
	v_mul_f64 v[18:19], v[249:250], v[18:19]
	v_fma_f64 v[56:57], v[14:15], v[28:29], v[58:59]
	v_fma_f64 v[58:59], v[12:13], v[28:29], -v[30:31]
	ds_load_b128 v[12:15], v1 offset:1440
	scratch_load_b128 v[28:31], off, off offset:544
	v_add_f64 v[6:7], v[6:7], v[60:61]
	v_add_f64 v[32:33], v[32:33], v[54:55]
	s_waitcnt vmcnt(8) lgkmcnt(0)
	v_mul_f64 v[54:55], v[12:13], v[22:23]
	v_mul_f64 v[22:23], v[14:15], v[22:23]
	v_fma_f64 v[52:53], v[249:250], v[16:17], v[52:53]
	v_fma_f64 v[60:61], v[247:248], v[16:17], -v[18:19]
	scratch_load_b128 v[16:19], off, off offset:560
	ds_load_b128 v[247:250], v1 offset:1488
	v_add_f64 v[6:7], v[6:7], v[58:59]
	v_add_f64 v[32:33], v[32:33], v[56:57]
	s_waitcnt vmcnt(7)
	v_mul_f64 v[56:57], v[179:180], v[10:11]
	v_mul_f64 v[58:59], v[181:182], v[10:11]
	v_fma_f64 v[14:15], v[14:15], v[20:21], v[54:55]
	v_fma_f64 v[54:55], v[12:13], v[20:21], -v[22:23]
	ds_load_b128 v[10:13], v1 offset:1472
	scratch_load_b128 v[20:23], off, off offset:576
	v_add_f64 v[6:7], v[6:7], v[60:61]
	v_add_f64 v[32:33], v[32:33], v[52:53]
	s_waitcnt lgkmcnt(0)
	v_mul_f64 v[52:53], v[10:11], v[245:246]
	v_mul_f64 v[60:61], v[12:13], v[245:246]
	v_fma_f64 v[56:57], v[181:182], v[8:9], v[56:57]
	v_fma_f64 v[58:59], v[179:180], v[8:9], -v[58:59]
	scratch_load_b128 v[179:182], off, off offset:608
	v_add_f64 v[54:55], v[6:7], v[54:55]
	v_add_f64 v[14:15], v[32:33], v[14:15]
	scratch_load_b128 v[6:9], off, off offset:592
	s_waitcnt vmcnt(9)
	v_mul_f64 v[32:33], v[247:248], v[44:45]
	v_mul_f64 v[44:45], v[249:250], v[44:45]
	v_fma_f64 v[52:53], v[12:13], v[243:244], v[52:53]
	v_fma_f64 v[60:61], v[10:11], v[243:244], -v[60:61]
	ds_load_b128 v[10:13], v1 offset:1504
	ds_load_b128 v[243:246], v1 offset:1520
	v_add_f64 v[54:55], v[54:55], v[58:59]
	v_add_f64 v[14:15], v[14:15], v[56:57]
	s_waitcnt vmcnt(8) lgkmcnt(1)
	v_mul_f64 v[56:57], v[10:11], v[48:49]
	v_mul_f64 v[48:49], v[12:13], v[48:49]
	v_fma_f64 v[32:33], v[249:250], v[42:43], v[32:33]
	v_fma_f64 v[58:59], v[247:248], v[42:43], -v[44:45]
	scratch_load_b128 v[42:45], off, off offset:624
	ds_load_b128 v[247:250], v1 offset:1552
	v_add_f64 v[54:55], v[54:55], v[60:61]
	v_add_f64 v[14:15], v[14:15], v[52:53]
	v_fma_f64 v[56:57], v[12:13], v[46:47], v[56:57]
	v_fma_f64 v[60:61], v[10:11], v[46:47], -v[48:49]
	ds_load_b128 v[10:13], v1 offset:1536
	scratch_load_b128 v[46:49], off, off offset:640
	s_waitcnt vmcnt(9) lgkmcnt(2)
	v_mul_f64 v[52:53], v[243:244], v[36:37]
	v_mul_f64 v[36:37], v[245:246], v[36:37]
	v_add_f64 v[54:55], v[54:55], v[58:59]
	v_add_f64 v[14:15], v[14:15], v[32:33]
	s_waitcnt vmcnt(8) lgkmcnt(0)
	v_mul_f64 v[58:59], v[10:11], v[40:41]
	v_mul_f64 v[40:41], v[12:13], v[40:41]
	v_fma_f64 v[52:53], v[245:246], v[34:35], v[52:53]
	v_fma_f64 v[36:37], v[243:244], v[34:35], -v[36:37]
	scratch_load_b128 v[32:35], off, off offset:656
	ds_load_b128 v[243:246], v1 offset:1584
	v_add_f64 v[54:55], v[54:55], v[60:61]
	v_add_f64 v[14:15], v[14:15], v[56:57]
	s_waitcnt vmcnt(8)
	v_mul_f64 v[56:57], v[247:248], v[26:27]
	v_mul_f64 v[26:27], v[249:250], v[26:27]
	v_fma_f64 v[58:59], v[12:13], v[38:39], v[58:59]
	v_fma_f64 v[40:41], v[10:11], v[38:39], -v[40:41]
	ds_load_b128 v[10:13], v1 offset:1568
	v_add_f64 v[54:55], v[54:55], v[36:37]
	v_add_f64 v[14:15], v[14:15], v[52:53]
	scratch_load_b128 v[36:39], off, off offset:672
	s_waitcnt vmcnt(8) lgkmcnt(0)
	v_mul_f64 v[52:53], v[10:11], v[30:31]
	v_mul_f64 v[30:31], v[12:13], v[30:31]
	v_fma_f64 v[56:57], v[249:250], v[24:25], v[56:57]
	v_fma_f64 v[60:61], v[247:248], v[24:25], -v[26:27]
	scratch_load_b128 v[24:27], off, off offset:688
	ds_load_b128 v[247:250], v1 offset:1616
	v_add_f64 v[40:41], v[54:55], v[40:41]
	v_add_f64 v[14:15], v[14:15], v[58:59]
	s_waitcnt vmcnt(8)
	v_mul_f64 v[54:55], v[243:244], v[18:19]
	v_mul_f64 v[18:19], v[245:246], v[18:19]
	v_fma_f64 v[52:53], v[12:13], v[28:29], v[52:53]
	v_fma_f64 v[58:59], v[10:11], v[28:29], -v[30:31]
	ds_load_b128 v[10:13], v1 offset:1600
	scratch_load_b128 v[28:31], off, off offset:704
	v_add_f64 v[40:41], v[40:41], v[60:61]
	v_add_f64 v[14:15], v[14:15], v[56:57]
	s_waitcnt vmcnt(8) lgkmcnt(0)
	v_mul_f64 v[56:57], v[10:11], v[22:23]
	v_mul_f64 v[22:23], v[12:13], v[22:23]
	v_fma_f64 v[54:55], v[245:246], v[16:17], v[54:55]
	v_fma_f64 v[18:19], v[243:244], v[16:17], -v[18:19]
	ds_load_b128 v[243:246], v1 offset:1648
	v_add_f64 v[40:41], v[40:41], v[58:59]
	v_add_f64 v[52:53], v[14:15], v[52:53]
	scratch_load_b128 v[14:17], off, off offset:720
	v_fma_f64 v[12:13], v[12:13], v[20:21], v[56:57]
	v_fma_f64 v[22:23], v[10:11], v[20:21], -v[22:23]
	s_waitcnt vmcnt(7)
	v_mul_f64 v[58:59], v[247:248], v[8:9]
	v_mul_f64 v[60:61], v[249:250], v[8:9]
	ds_load_b128 v[8:11], v1 offset:1632
	v_add_f64 v[40:41], v[40:41], v[18:19]
	v_add_f64 v[52:53], v[52:53], v[54:55]
	scratch_load_b128 v[18:21], off, off offset:736
	s_waitcnt lgkmcnt(0)
	v_mul_f64 v[54:55], v[8:9], v[181:182]
	v_mul_f64 v[56:57], v[10:11], v[181:182]
	v_fma_f64 v[58:59], v[249:250], v[6:7], v[58:59]
	v_fma_f64 v[6:7], v[247:248], v[6:7], -v[60:61]
	scratch_load_b128 v[247:250], off, off offset:752
	v_add_f64 v[22:23], v[40:41], v[22:23]
	v_add_f64 v[12:13], v[52:53], v[12:13]
	s_waitcnt vmcnt(8)
	v_mul_f64 v[40:41], v[243:244], v[44:45]
	v_mul_f64 v[44:45], v[245:246], v[44:45]
	v_fma_f64 v[52:53], v[10:11], v[179:180], v[54:55]
	v_fma_f64 v[54:55], v[8:9], v[179:180], -v[56:57]
	ds_load_b128 v[179:182], v1 offset:1680
	v_add_f64 v[22:23], v[22:23], v[6:7]
	v_add_f64 v[56:57], v[12:13], v[58:59]
	ds_load_b128 v[6:9], v1 offset:1664
	scratch_load_b128 v[10:13], off, off offset:768
	v_fma_f64 v[60:61], v[245:246], v[42:43], v[40:41]
	v_fma_f64 v[44:45], v[243:244], v[42:43], -v[44:45]
	scratch_load_b128 v[40:43], off, off offset:784
	ds_load_b128 v[243:246], v1 offset:1712
	s_waitcnt vmcnt(9) lgkmcnt(1)
	v_mul_f64 v[58:59], v[6:7], v[48:49]
	v_mul_f64 v[48:49], v[8:9], v[48:49]
	v_add_f64 v[22:23], v[22:23], v[54:55]
	v_add_f64 v[52:53], v[56:57], v[52:53]
	s_waitcnt vmcnt(8)
	v_mul_f64 v[54:55], v[179:180], v[34:35]
	v_mul_f64 v[34:35], v[181:182], v[34:35]
	v_fma_f64 v[56:57], v[8:9], v[46:47], v[58:59]
	v_fma_f64 v[48:49], v[6:7], v[46:47], -v[48:49]
	ds_load_b128 v[6:9], v1 offset:1696
	v_add_f64 v[22:23], v[22:23], v[44:45]
	v_add_f64 v[52:53], v[52:53], v[60:61]
	scratch_load_b128 v[44:47], off, off offset:800
	v_fma_f64 v[54:55], v[181:182], v[32:33], v[54:55]
	v_fma_f64 v[60:61], v[179:180], v[32:33], -v[34:35]
	scratch_load_b128 v[32:35], off, off offset:816
	ds_load_b128 v[179:182], v1 offset:1744
	s_waitcnt vmcnt(9) lgkmcnt(1)
	v_mul_f64 v[58:59], v[6:7], v[38:39]
	v_mul_f64 v[38:39], v[8:9], v[38:39]
	v_add_f64 v[22:23], v[22:23], v[48:49]
	v_add_f64 v[48:49], v[52:53], v[56:57]
	s_waitcnt vmcnt(8)
	v_mul_f64 v[52:53], v[243:244], v[26:27]
	v_mul_f64 v[26:27], v[245:246], v[26:27]
	v_fma_f64 v[56:57], v[8:9], v[36:37], v[58:59]
	v_fma_f64 v[58:59], v[6:7], v[36:37], -v[38:39]
	ds_load_b128 v[6:9], v1 offset:1728
	scratch_load_b128 v[36:39], off, off offset:832
	v_add_f64 v[22:23], v[22:23], v[60:61]
	v_add_f64 v[48:49], v[48:49], v[54:55]
	s_waitcnt vmcnt(8) lgkmcnt(0)
	v_mul_f64 v[54:55], v[6:7], v[30:31]
	v_mul_f64 v[30:31], v[8:9], v[30:31]
	v_fma_f64 v[52:53], v[245:246], v[24:25], v[52:53]
	v_fma_f64 v[26:27], v[243:244], v[24:25], -v[26:27]
	ds_load_b128 v[243:246], v1 offset:1776
	v_add_f64 v[58:59], v[22:23], v[58:59]
	scratch_load_b128 v[22:25], off, off offset:848
	v_add_f64 v[48:49], v[48:49], v[56:57]
	v_fma_f64 v[54:55], v[8:9], v[28:29], v[54:55]
	v_fma_f64 v[30:31], v[6:7], v[28:29], -v[30:31]
	ds_load_b128 v[6:9], v1 offset:1760
	s_waitcnt vmcnt(8)
	v_mul_f64 v[56:57], v[179:180], v[16:17]
	v_mul_f64 v[16:17], v[181:182], v[16:17]
	v_add_f64 v[58:59], v[58:59], v[26:27]
	scratch_load_b128 v[26:29], off, off offset:864
	v_add_f64 v[48:49], v[48:49], v[52:53]
	s_waitcnt vmcnt(8) lgkmcnt(0)
	v_mul_f64 v[52:53], v[6:7], v[20:21]
	v_mul_f64 v[20:21], v[8:9], v[20:21]
	v_fma_f64 v[56:57], v[181:182], v[14:15], v[56:57]
	v_fma_f64 v[60:61], v[179:180], v[14:15], -v[16:17]
	scratch_load_b128 v[14:17], off, off offset:880
	ds_load_b128 v[179:182], v1 offset:1808
	v_add_f64 v[30:31], v[58:59], v[30:31]
	s_waitcnt vmcnt(8)
	v_mul_f64 v[58:59], v[245:246], v[249:250]
	v_add_f64 v[48:49], v[48:49], v[54:55]
	v_mul_f64 v[54:55], v[243:244], v[249:250]
	v_fma_f64 v[52:53], v[8:9], v[18:19], v[52:53]
	v_fma_f64 v[62:63], v[6:7], v[18:19], -v[20:21]
	ds_load_b128 v[6:9], v1 offset:1792
	scratch_load_b128 v[18:21], off, off offset:896
	v_add_f64 v[30:31], v[30:31], v[60:61]
	v_fma_f64 v[58:59], v[243:244], v[247:248], -v[58:59]
	v_add_f64 v[48:49], v[48:49], v[56:57]
	v_fma_f64 v[54:55], v[245:246], v[247:248], v[54:55]
	scratch_load_b128 v[243:246], off, off offset:912
	ds_load_b128 v[247:250], v1 offset:1840
	s_waitcnt vmcnt(9) lgkmcnt(1)
	v_mul_f64 v[56:57], v[6:7], v[12:13]
	v_mul_f64 v[12:13], v[8:9], v[12:13]
	v_add_f64 v[30:31], v[30:31], v[62:63]
	v_add_f64 v[48:49], v[48:49], v[52:53]
	s_waitcnt vmcnt(8)
	v_mul_f64 v[52:53], v[179:180], v[42:43]
	v_mul_f64 v[42:43], v[181:182], v[42:43]
	v_fma_f64 v[56:57], v[8:9], v[10:11], v[56:57]
	v_fma_f64 v[60:61], v[6:7], v[10:11], -v[12:13]
	ds_load_b128 v[6:9], v1 offset:1824
	scratch_load_b128 v[10:13], off, off offset:928
	v_add_f64 v[30:31], v[30:31], v[58:59]
	v_add_f64 v[48:49], v[48:49], v[54:55]
	v_fma_f64 v[52:53], v[181:182], v[40:41], v[52:53]
	v_fma_f64 v[58:59], v[179:180], v[40:41], -v[42:43]
	scratch_load_b128 v[40:43], off, off offset:944
	ds_load_b128 v[179:182], v1 offset:1872
	s_waitcnt vmcnt(9) lgkmcnt(1)
	v_mul_f64 v[54:55], v[6:7], v[46:47]
	v_mul_f64 v[46:47], v[8:9], v[46:47]
	v_add_f64 v[30:31], v[30:31], v[60:61]
	v_add_f64 v[48:49], v[48:49], v[56:57]
	s_waitcnt vmcnt(8)
	v_mul_f64 v[56:57], v[247:248], v[34:35]
	v_mul_f64 v[34:35], v[249:250], v[34:35]
	v_fma_f64 v[54:55], v[8:9], v[44:45], v[54:55]
	v_fma_f64 v[60:61], v[6:7], v[44:45], -v[46:47]
	ds_load_b128 v[6:9], v1 offset:1856
	scratch_load_b128 v[44:47], off, off offset:960
	v_add_f64 v[30:31], v[30:31], v[58:59]
	v_add_f64 v[48:49], v[48:49], v[52:53]
	s_waitcnt vmcnt(8) lgkmcnt(0)
	v_mul_f64 v[52:53], v[6:7], v[38:39]
	v_mul_f64 v[38:39], v[8:9], v[38:39]
	v_fma_f64 v[56:57], v[249:250], v[32:33], v[56:57]
	v_fma_f64 v[34:35], v[247:248], v[32:33], -v[34:35]
	ds_load_b128 v[247:250], v1 offset:1904
	v_add_f64 v[58:59], v[30:31], v[60:61]
	scratch_load_b128 v[30:33], off, off offset:976
	v_add_f64 v[48:49], v[48:49], v[54:55]
	v_fma_f64 v[52:53], v[8:9], v[36:37], v[52:53]
	v_fma_f64 v[38:39], v[6:7], v[36:37], -v[38:39]
	ds_load_b128 v[6:9], v1 offset:1888
	s_waitcnt vmcnt(8)
	v_mul_f64 v[54:55], v[179:180], v[24:25]
	v_mul_f64 v[24:25], v[181:182], v[24:25]
	v_add_f64 v[58:59], v[58:59], v[34:35]
	scratch_load_b128 v[34:37], off, off offset:992
	v_add_f64 v[48:49], v[48:49], v[56:57]
	s_waitcnt vmcnt(8) lgkmcnt(0)
	v_mul_f64 v[56:57], v[6:7], v[28:29]
	v_mul_f64 v[28:29], v[8:9], v[28:29]
	v_fma_f64 v[54:55], v[181:182], v[22:23], v[54:55]
	v_fma_f64 v[60:61], v[179:180], v[22:23], -v[24:25]
	scratch_load_b128 v[22:25], off, off offset:1008
	v_add_f64 v[38:39], v[58:59], v[38:39]
	v_add_f64 v[48:49], v[48:49], v[52:53]
	s_waitcnt vmcnt(8)
	v_mul_f64 v[52:53], v[247:248], v[16:17]
	v_mul_f64 v[16:17], v[249:250], v[16:17]
	v_fma_f64 v[56:57], v[8:9], v[26:27], v[56:57]
	v_fma_f64 v[58:59], v[6:7], v[26:27], -v[28:29]
	ds_load_b128 v[6:9], v1 offset:1920
	ds_load_b128 v[26:29], v1 offset:1936
	v_add_f64 v[38:39], v[38:39], v[60:61]
	v_add_f64 v[48:49], v[48:49], v[54:55]
	s_waitcnt vmcnt(7) lgkmcnt(1)
	v_mul_f64 v[54:55], v[6:7], v[20:21]
	v_mul_f64 v[20:21], v[8:9], v[20:21]
	v_fma_f64 v[52:53], v[249:250], v[14:15], v[52:53]
	v_fma_f64 v[14:15], v[247:248], v[14:15], -v[16:17]
	v_add_f64 v[16:17], v[38:39], v[58:59]
	v_add_f64 v[38:39], v[48:49], v[56:57]
	s_waitcnt vmcnt(6) lgkmcnt(0)
	v_mul_f64 v[48:49], v[26:27], v[245:246]
	v_mul_f64 v[56:57], v[28:29], v[245:246]
	v_fma_f64 v[54:55], v[8:9], v[18:19], v[54:55]
	v_fma_f64 v[18:19], v[6:7], v[18:19], -v[20:21]
	v_add_f64 v[20:21], v[16:17], v[14:15]
	ds_load_b128 v[6:9], v1 offset:1952
	ds_load_b128 v[14:17], v1 offset:1968
	v_add_f64 v[38:39], v[38:39], v[52:53]
	v_fma_f64 v[28:29], v[28:29], v[243:244], v[48:49]
	v_fma_f64 v[26:27], v[26:27], v[243:244], -v[56:57]
	s_waitcnt vmcnt(5) lgkmcnt(1)
	v_mul_f64 v[52:53], v[6:7], v[12:13]
	v_mul_f64 v[12:13], v[8:9], v[12:13]
	v_add_f64 v[18:19], v[20:21], v[18:19]
	v_add_f64 v[20:21], v[38:39], v[54:55]
	s_waitcnt vmcnt(4) lgkmcnt(0)
	v_mul_f64 v[38:39], v[14:15], v[42:43]
	v_mul_f64 v[42:43], v[16:17], v[42:43]
	v_fma_f64 v[48:49], v[8:9], v[10:11], v[52:53]
	v_fma_f64 v[52:53], v[6:7], v[10:11], -v[12:13]
	ds_load_b128 v[6:9], v1 offset:1984
	ds_load_b128 v[10:13], v1 offset:2000
	v_add_f64 v[18:19], v[18:19], v[26:27]
	v_add_f64 v[20:21], v[20:21], v[28:29]
	s_waitcnt vmcnt(3) lgkmcnt(1)
	v_mul_f64 v[26:27], v[6:7], v[46:47]
	v_mul_f64 v[28:29], v[8:9], v[46:47]
	v_fma_f64 v[16:17], v[16:17], v[40:41], v[38:39]
	v_fma_f64 v[14:15], v[14:15], v[40:41], -v[42:43]
	v_add_f64 v[18:19], v[18:19], v[52:53]
	v_add_f64 v[20:21], v[20:21], v[48:49]
	v_fma_f64 v[26:27], v[8:9], v[44:45], v[26:27]
	v_fma_f64 v[28:29], v[6:7], v[44:45], -v[28:29]
	s_waitcnt vmcnt(2) lgkmcnt(0)
	v_mul_f64 v[38:39], v[10:11], v[32:33]
	v_mul_f64 v[32:33], v[12:13], v[32:33]
	v_add_f64 v[18:19], v[18:19], v[14:15]
	v_add_f64 v[20:21], v[20:21], v[16:17]
	ds_load_b128 v[6:9], v1 offset:2016
	ds_load_b128 v[14:17], v1 offset:2032
	v_fma_f64 v[12:13], v[12:13], v[30:31], v[38:39]
	v_fma_f64 v[10:11], v[10:11], v[30:31], -v[32:33]
	s_waitcnt vmcnt(1) lgkmcnt(1)
	v_mul_f64 v[40:41], v[6:7], v[36:37]
	v_mul_f64 v[36:37], v[8:9], v[36:37]
	v_add_f64 v[18:19], v[18:19], v[28:29]
	v_add_f64 v[20:21], v[20:21], v[26:27]
	s_waitcnt vmcnt(0) lgkmcnt(0)
	v_mul_f64 v[26:27], v[14:15], v[24:25]
	v_mul_f64 v[24:25], v[16:17], v[24:25]
	v_fma_f64 v[8:9], v[8:9], v[34:35], v[40:41]
	v_fma_f64 v[6:7], v[6:7], v[34:35], -v[36:37]
	v_add_f64 v[10:11], v[18:19], v[10:11]
	v_add_f64 v[12:13], v[20:21], v[12:13]
	v_fma_f64 v[16:17], v[16:17], v[22:23], v[26:27]
	v_fma_f64 v[14:15], v[14:15], v[22:23], -v[24:25]
	s_delay_alu instid0(VALU_DEP_4) | instskip(NEXT) | instid1(VALU_DEP_4)
	v_add_f64 v[6:7], v[10:11], v[6:7]
	v_add_f64 v[8:9], v[12:13], v[8:9]
	s_delay_alu instid0(VALU_DEP_2) | instskip(NEXT) | instid1(VALU_DEP_2)
	v_add_f64 v[6:7], v[6:7], v[14:15]
	v_add_f64 v[8:9], v[8:9], v[16:17]
	s_delay_alu instid0(VALU_DEP_2) | instskip(NEXT) | instid1(VALU_DEP_2)
	v_add_f64 v[1:2], v[2:3], -v[6:7]
	v_add_f64 v[3:4], v[4:5], -v[8:9]
	scratch_store_b128 off, v[1:4], off offset:144
	v_cmpx_lt_u32_e32 8, v178
	s_cbranch_execz .LBB63_392
; %bb.391:
	scratch_load_b32 v1, off, off offset:1168 ; 4-byte Folded Reload
	v_mov_b32_e32 v5, 0
	s_delay_alu instid0(VALU_DEP_1)
	v_mov_b32_e32 v6, v5
	v_mov_b32_e32 v7, v5
	;; [unrolled: 1-line block ×3, first 2 shown]
	s_waitcnt vmcnt(0)
	scratch_load_b128 v[1:4], v1, off
	scratch_store_b128 off, v[5:8], off offset:128
	s_waitcnt vmcnt(0)
	ds_store_b128 v242, v[1:4]
.LBB63_392:
	s_or_b32 exec_lo, exec_lo, s2
	s_waitcnt lgkmcnt(0)
	s_waitcnt_vscnt null, 0x0
	s_barrier
	buffer_gl0_inv
	s_clause 0x7
	scratch_load_b128 v[34:37], off, off offset:144
	scratch_load_b128 v[38:41], off, off offset:160
	;; [unrolled: 1-line block ×8, first 2 shown]
	v_mov_b32_e32 v1, 0
	s_mov_b32 s2, exec_lo
	ds_load_b128 v[46:49], v1 offset:1168
	s_clause 0x2
	scratch_load_b128 v[14:17], off, off offset:272
	scratch_load_b128 v[2:5], off, off offset:128
	;; [unrolled: 1-line block ×3, first 2 shown]
	ds_load_b128 v[42:45], v1 offset:1184
	ds_load_b128 v[243:246], v1 offset:1216
	;; [unrolled: 1-line block ×3, first 2 shown]
	s_waitcnt vmcnt(10) lgkmcnt(3)
	v_mul_f64 v[52:53], v[48:49], v[36:37]
	v_mul_f64 v[36:37], v[46:47], v[36:37]
	s_delay_alu instid0(VALU_DEP_2) | instskip(NEXT) | instid1(VALU_DEP_2)
	v_fma_f64 v[52:53], v[46:47], v[34:35], -v[52:53]
	v_fma_f64 v[56:57], v[48:49], v[34:35], v[36:37]
	ds_load_b128 v[34:37], v1 offset:1200
	s_waitcnt vmcnt(9) lgkmcnt(3)
	v_mul_f64 v[54:55], v[42:43], v[40:41]
	v_mul_f64 v[40:41], v[44:45], v[40:41]
	scratch_load_b128 v[46:49], off, off offset:304
	s_waitcnt vmcnt(9) lgkmcnt(0)
	v_mul_f64 v[58:59], v[34:35], v[32:33]
	v_mul_f64 v[32:33], v[36:37], v[32:33]
	v_add_f64 v[52:53], v[52:53], 0
	v_fma_f64 v[44:45], v[44:45], v[38:39], v[54:55]
	v_fma_f64 v[42:43], v[42:43], v[38:39], -v[40:41]
	v_add_f64 v[54:55], v[56:57], 0
	scratch_load_b128 v[38:41], off, off offset:320
	v_fma_f64 v[36:37], v[36:37], v[30:31], v[58:59]
	v_fma_f64 v[58:59], v[34:35], v[30:31], -v[32:33]
	scratch_load_b128 v[32:35], off, off offset:336
	v_add_f64 v[52:53], v[52:53], v[42:43]
	v_add_f64 v[54:55], v[54:55], v[44:45]
	ds_load_b128 v[42:45], v1 offset:1248
	s_waitcnt vmcnt(10)
	v_mul_f64 v[56:57], v[243:244], v[28:29]
	v_mul_f64 v[60:61], v[245:246], v[28:29]
	ds_load_b128 v[28:31], v1 offset:1232
	v_add_f64 v[52:53], v[52:53], v[58:59]
	v_add_f64 v[36:37], v[54:55], v[36:37]
	s_waitcnt vmcnt(8) lgkmcnt(1)
	v_mul_f64 v[54:55], v[42:43], v[20:21]
	v_fma_f64 v[56:57], v[245:246], v[26:27], v[56:57]
	v_fma_f64 v[60:61], v[243:244], v[26:27], -v[60:61]
	ds_load_b128 v[243:246], v1 offset:1280
	s_waitcnt lgkmcnt(1)
	v_mul_f64 v[62:63], v[28:29], v[24:25]
	v_mul_f64 v[64:65], v[30:31], v[24:25]
	scratch_load_b128 v[24:27], off, off offset:352
	v_mul_f64 v[58:59], v[44:45], v[20:21]
	v_fma_f64 v[54:55], v[44:45], v[18:19], v[54:55]
	v_add_f64 v[36:37], v[36:37], v[56:57]
	v_add_f64 v[52:53], v[52:53], v[60:61]
	s_waitcnt vmcnt(7) lgkmcnt(0)
	v_mul_f64 v[60:61], v[245:246], v[8:9]
	v_fma_f64 v[62:63], v[30:31], v[22:23], v[62:63]
	v_fma_f64 v[64:65], v[28:29], v[22:23], -v[64:65]
	scratch_load_b128 v[28:31], off, off offset:368
	ds_load_b128 v[20:23], v1 offset:1264
	v_fma_f64 v[18:19], v[42:43], v[18:19], -v[58:59]
	v_mul_f64 v[58:59], v[243:244], v[8:9]
	scratch_load_b128 v[42:45], off, off offset:384
	s_waitcnt lgkmcnt(0)
	v_mul_f64 v[56:57], v[20:21], v[12:13]
	v_mul_f64 v[12:13], v[22:23], v[12:13]
	v_add_f64 v[36:37], v[36:37], v[62:63]
	v_add_f64 v[52:53], v[52:53], v[64:65]
	s_delay_alu instid0(VALU_DEP_4) | instskip(NEXT) | instid1(VALU_DEP_4)
	v_fma_f64 v[22:23], v[22:23], v[10:11], v[56:57]
	v_fma_f64 v[12:13], v[20:21], v[10:11], -v[12:13]
	ds_load_b128 v[8:11], v1 offset:1296
	v_fma_f64 v[56:57], v[245:246], v[6:7], v[58:59]
	v_fma_f64 v[6:7], v[243:244], v[6:7], -v[60:61]
	scratch_load_b128 v[243:246], off, off offset:416
	v_add_f64 v[36:37], v[36:37], v[54:55]
	v_add_f64 v[52:53], v[52:53], v[18:19]
	scratch_load_b128 v[18:21], off, off offset:400
	v_add_f64 v[22:23], v[36:37], v[22:23]
	v_add_f64 v[12:13], v[52:53], v[12:13]
	s_waitcnt vmcnt(8)
	v_mul_f64 v[36:37], v[247:248], v[181:182]
	v_mul_f64 v[52:53], v[249:250], v[181:182]
	s_delay_alu instid0(VALU_DEP_4) | instskip(NEXT) | instid1(VALU_DEP_4)
	v_add_f64 v[22:23], v[22:23], v[56:57]
	v_add_f64 v[60:61], v[12:13], v[6:7]
	s_delay_alu instid0(VALU_DEP_4) | instskip(NEXT) | instid1(VALU_DEP_4)
	v_fma_f64 v[36:37], v[249:250], v[179:180], v[36:37]
	v_fma_f64 v[52:53], v[247:248], v[179:180], -v[52:53]
	ds_load_b128 v[247:250], v1 offset:1376
	s_waitcnt lgkmcnt(1)
	v_mul_f64 v[54:55], v[8:9], v[16:17]
	v_mul_f64 v[16:17], v[10:11], v[16:17]
	scratch_load_b128 v[179:182], off, off offset:448
	v_fma_f64 v[54:55], v[10:11], v[14:15], v[54:55]
	v_fma_f64 v[58:59], v[8:9], v[14:15], -v[16:17]
	ds_load_b128 v[6:9], v1 offset:1328
	ds_load_b128 v[14:17], v1 offset:1344
	scratch_load_b128 v[10:13], off, off offset:432
	s_waitcnt vmcnt(9) lgkmcnt(1)
	v_mul_f64 v[56:57], v[6:7], v[48:49]
	v_mul_f64 v[48:49], v[8:9], v[48:49]
	v_add_f64 v[22:23], v[22:23], v[54:55]
	v_add_f64 v[58:59], v[60:61], v[58:59]
	s_waitcnt vmcnt(8) lgkmcnt(0)
	v_mul_f64 v[54:55], v[14:15], v[40:41]
	v_mul_f64 v[40:41], v[16:17], v[40:41]
	v_fma_f64 v[56:57], v[8:9], v[46:47], v[56:57]
	v_fma_f64 v[60:61], v[6:7], v[46:47], -v[48:49]
	ds_load_b128 v[6:9], v1 offset:1360
	scratch_load_b128 v[46:49], off, off offset:464
	v_add_f64 v[22:23], v[22:23], v[36:37]
	v_add_f64 v[52:53], v[58:59], v[52:53]
	v_fma_f64 v[54:55], v[16:17], v[38:39], v[54:55]
	v_fma_f64 v[38:39], v[14:15], v[38:39], -v[40:41]
	scratch_load_b128 v[14:17], off, off offset:480
	v_add_f64 v[22:23], v[22:23], v[56:57]
	v_add_f64 v[40:41], v[52:53], v[60:61]
	s_waitcnt vmcnt(8)
	v_mul_f64 v[52:53], v[247:248], v[26:27]
	v_mul_f64 v[26:27], v[249:250], v[26:27]
	s_delay_alu instid0(VALU_DEP_4) | instskip(NEXT) | instid1(VALU_DEP_4)
	v_add_f64 v[22:23], v[22:23], v[54:55]
	v_add_f64 v[40:41], v[40:41], v[38:39]
	s_delay_alu instid0(VALU_DEP_4) | instskip(NEXT) | instid1(VALU_DEP_4)
	v_fma_f64 v[52:53], v[249:250], v[24:25], v[52:53]
	v_fma_f64 v[26:27], v[247:248], v[24:25], -v[26:27]
	ds_load_b128 v[247:250], v1 offset:1440
	s_waitcnt lgkmcnt(1)
	v_mul_f64 v[36:37], v[6:7], v[34:35]
	v_mul_f64 v[34:35], v[8:9], v[34:35]
	s_delay_alu instid0(VALU_DEP_2) | instskip(NEXT) | instid1(VALU_DEP_2)
	v_fma_f64 v[56:57], v[8:9], v[32:33], v[36:37]
	v_fma_f64 v[58:59], v[6:7], v[32:33], -v[34:35]
	scratch_load_b128 v[32:35], off, off offset:496
	ds_load_b128 v[6:9], v1 offset:1392
	ds_load_b128 v[36:39], v1 offset:1408
	s_waitcnt vmcnt(8) lgkmcnt(1)
	v_mul_f64 v[54:55], v[6:7], v[30:31]
	v_mul_f64 v[30:31], v[8:9], v[30:31]
	v_add_f64 v[56:57], v[22:23], v[56:57]
	v_add_f64 v[40:41], v[40:41], v[58:59]
	s_waitcnt vmcnt(7) lgkmcnt(0)
	v_mul_f64 v[58:59], v[36:37], v[44:45]
	v_mul_f64 v[44:45], v[38:39], v[44:45]
	scratch_load_b128 v[22:25], off, off offset:512
	v_fma_f64 v[54:55], v[8:9], v[28:29], v[54:55]
	v_fma_f64 v[30:31], v[6:7], v[28:29], -v[30:31]
	ds_load_b128 v[6:9], v1 offset:1424
	v_add_f64 v[52:53], v[56:57], v[52:53]
	v_add_f64 v[40:41], v[40:41], v[26:27]
	v_fma_f64 v[58:59], v[38:39], v[42:43], v[58:59]
	v_fma_f64 v[42:43], v[36:37], v[42:43], -v[44:45]
	s_clause 0x1
	scratch_load_b128 v[26:29], off, off offset:528
	scratch_load_b128 v[36:39], off, off offset:544
	s_waitcnt vmcnt(9)
	v_mul_f64 v[44:45], v[247:248], v[245:246]
	v_add_f64 v[30:31], v[40:41], v[30:31]
	v_add_f64 v[40:41], v[52:53], v[54:55]
	v_mul_f64 v[52:53], v[249:250], v[245:246]
	s_delay_alu instid0(VALU_DEP_4) | instskip(NEXT) | instid1(VALU_DEP_4)
	v_fma_f64 v[44:45], v[249:250], v[243:244], v[44:45]
	v_add_f64 v[30:31], v[30:31], v[42:43]
	s_delay_alu instid0(VALU_DEP_4)
	v_add_f64 v[58:59], v[40:41], v[58:59]
	ds_load_b128 v[40:43], v1 offset:1472
	s_waitcnt vmcnt(8) lgkmcnt(1)
	v_mul_f64 v[56:57], v[6:7], v[20:21]
	v_mul_f64 v[20:21], v[8:9], v[20:21]
	v_fma_f64 v[52:53], v[247:248], v[243:244], -v[52:53]
	scratch_load_b128 v[243:246], off, off offset:576
	ds_load_b128 v[247:250], v1 offset:1504
	v_fma_f64 v[54:55], v[8:9], v[18:19], v[56:57]
	v_fma_f64 v[56:57], v[6:7], v[18:19], -v[20:21]
	ds_load_b128 v[6:9], v1 offset:1456
	scratch_load_b128 v[18:21], off, off offset:560
	s_waitcnt vmcnt(8) lgkmcnt(0)
	v_mul_f64 v[60:61], v[6:7], v[12:13]
	v_mul_f64 v[12:13], v[8:9], v[12:13]
	v_add_f64 v[54:55], v[58:59], v[54:55]
	v_add_f64 v[30:31], v[30:31], v[56:57]
	v_mul_f64 v[56:57], v[40:41], v[181:182]
	v_mul_f64 v[58:59], v[42:43], v[181:182]
	v_fma_f64 v[60:61], v[8:9], v[10:11], v[60:61]
	v_fma_f64 v[62:63], v[6:7], v[10:11], -v[12:13]
	ds_load_b128 v[6:9], v1 offset:1488
	scratch_load_b128 v[10:13], off, off offset:592
	v_add_f64 v[44:45], v[54:55], v[44:45]
	v_add_f64 v[30:31], v[30:31], v[52:53]
	v_fma_f64 v[54:55], v[42:43], v[179:180], v[56:57]
	v_fma_f64 v[56:57], v[40:41], v[179:180], -v[58:59]
	ds_load_b128 v[179:182], v1 offset:1536
	scratch_load_b128 v[40:43], off, off offset:608
	s_waitcnt vmcnt(9) lgkmcnt(1)
	v_mul_f64 v[52:53], v[6:7], v[48:49]
	v_mul_f64 v[48:49], v[8:9], v[48:49]
	s_waitcnt vmcnt(8)
	v_mul_f64 v[58:59], v[247:248], v[16:17]
	v_mul_f64 v[16:17], v[249:250], v[16:17]
	v_add_f64 v[44:45], v[44:45], v[60:61]
	v_add_f64 v[30:31], v[30:31], v[62:63]
	v_fma_f64 v[52:53], v[8:9], v[46:47], v[52:53]
	v_fma_f64 v[48:49], v[6:7], v[46:47], -v[48:49]
	ds_load_b128 v[6:9], v1 offset:1520
	v_fma_f64 v[58:59], v[249:250], v[14:15], v[58:59]
	v_fma_f64 v[60:61], v[247:248], v[14:15], -v[16:17]
	ds_load_b128 v[247:250], v1 offset:1568
	scratch_load_b128 v[14:17], off, off offset:640
	v_add_f64 v[54:55], v[44:45], v[54:55]
	v_add_f64 v[30:31], v[30:31], v[56:57]
	scratch_load_b128 v[44:47], off, off offset:624
	s_waitcnt vmcnt(9) lgkmcnt(1)
	v_mul_f64 v[56:57], v[6:7], v[34:35]
	v_mul_f64 v[34:35], v[8:9], v[34:35]
	v_add_f64 v[30:31], v[30:31], v[48:49]
	v_add_f64 v[48:49], v[54:55], v[52:53]
	s_waitcnt vmcnt(8)
	v_mul_f64 v[52:53], v[179:180], v[24:25]
	v_mul_f64 v[24:25], v[181:182], v[24:25]
	v_fma_f64 v[54:55], v[8:9], v[32:33], v[56:57]
	v_fma_f64 v[34:35], v[6:7], v[32:33], -v[34:35]
	ds_load_b128 v[6:9], v1 offset:1552
	v_add_f64 v[56:57], v[30:31], v[60:61]
	v_add_f64 v[48:49], v[48:49], v[58:59]
	scratch_load_b128 v[30:33], off, off offset:656
	v_fma_f64 v[52:53], v[181:182], v[22:23], v[52:53]
	v_fma_f64 v[60:61], v[179:180], v[22:23], -v[24:25]
	ds_load_b128 v[179:182], v1 offset:1600
	s_waitcnt vmcnt(8) lgkmcnt(1)
	v_mul_f64 v[58:59], v[6:7], v[28:29]
	v_mul_f64 v[28:29], v[8:9], v[28:29]
	scratch_load_b128 v[22:25], off, off offset:672
	v_add_f64 v[34:35], v[56:57], v[34:35]
	v_add_f64 v[48:49], v[48:49], v[54:55]
	s_waitcnt vmcnt(8)
	v_mul_f64 v[54:55], v[247:248], v[38:39]
	v_mul_f64 v[38:39], v[249:250], v[38:39]
	v_fma_f64 v[56:57], v[8:9], v[26:27], v[58:59]
	v_fma_f64 v[58:59], v[6:7], v[26:27], -v[28:29]
	scratch_load_b128 v[26:29], off, off offset:688
	ds_load_b128 v[6:9], v1 offset:1584
	v_add_f64 v[34:35], v[34:35], v[60:61]
	v_add_f64 v[48:49], v[48:49], v[52:53]
	v_fma_f64 v[54:55], v[249:250], v[36:37], v[54:55]
	v_fma_f64 v[38:39], v[247:248], v[36:37], -v[38:39]
	s_waitcnt vmcnt(8) lgkmcnt(1)
	v_mul_f64 v[60:61], v[181:182], v[245:246]
	ds_load_b128 v[249:252], v1 offset:1664
	v_add_f64 v[58:59], v[34:35], v[58:59]
	v_add_f64 v[48:49], v[48:49], v[56:57]
	v_mul_f64 v[56:57], v[179:180], v[245:246]
	ds_load_b128 v[245:248], v1 offset:1632
	s_waitcnt vmcnt(7) lgkmcnt(2)
	v_mul_f64 v[52:53], v[6:7], v[20:21]
	v_mul_f64 v[20:21], v[8:9], v[20:21]
	scratch_load_b128 v[34:37], off, off offset:704
	v_add_f64 v[38:39], v[58:59], v[38:39]
	v_add_f64 v[48:49], v[48:49], v[54:55]
	v_fma_f64 v[56:57], v[181:182], v[243:244], v[56:57]
	v_fma_f64 v[58:59], v[179:180], v[243:244], -v[60:61]
	v_fma_f64 v[52:53], v[8:9], v[18:19], v[52:53]
	v_fma_f64 v[62:63], v[6:7], v[18:19], -v[20:21]
	scratch_load_b128 v[18:21], off, off offset:720
	ds_load_b128 v[6:9], v1 offset:1616
	scratch_load_b128 v[179:182], off, off offset:736
	s_waitcnt vmcnt(9) lgkmcnt(0)
	v_mul_f64 v[54:55], v[6:7], v[12:13]
	v_mul_f64 v[12:13], v[8:9], v[12:13]
	v_add_f64 v[48:49], v[48:49], v[52:53]
	v_add_f64 v[38:39], v[38:39], v[62:63]
	s_waitcnt vmcnt(8)
	v_mul_f64 v[52:53], v[245:246], v[42:43]
	v_mul_f64 v[42:43], v[247:248], v[42:43]
	v_fma_f64 v[54:55], v[8:9], v[10:11], v[54:55]
	v_fma_f64 v[60:61], v[6:7], v[10:11], -v[12:13]
	scratch_load_b128 v[10:13], off, off offset:752
	ds_load_b128 v[6:9], v1 offset:1648
	v_add_f64 v[48:49], v[48:49], v[56:57]
	v_add_f64 v[38:39], v[38:39], v[58:59]
	v_fma_f64 v[52:53], v[247:248], v[40:41], v[52:53]
	v_fma_f64 v[42:43], v[245:246], v[40:41], -v[42:43]
	ds_load_b128 v[243:246], v1 offset:1728
	s_waitcnt vmcnt(7) lgkmcnt(1)
	v_mul_f64 v[56:57], v[6:7], v[46:47]
	v_mul_f64 v[46:47], v[8:9], v[46:47]
	v_add_f64 v[48:49], v[48:49], v[54:55]
	v_add_f64 v[58:59], v[38:39], v[60:61]
	v_mul_f64 v[54:55], v[249:250], v[16:17]
	v_mul_f64 v[16:17], v[251:252], v[16:17]
	scratch_load_b128 v[38:41], off, off offset:768
	v_fma_f64 v[56:57], v[8:9], v[44:45], v[56:57]
	v_fma_f64 v[60:61], v[6:7], v[44:45], -v[46:47]
	ds_load_b128 v[6:9], v1 offset:1680
	v_add_f64 v[52:53], v[48:49], v[52:53]
	ds_load_b128 v[46:49], v1 offset:1696
	v_add_f64 v[58:59], v[58:59], v[42:43]
	v_fma_f64 v[54:55], v[251:252], v[14:15], v[54:55]
	v_fma_f64 v[64:65], v[249:250], v[14:15], -v[16:17]
	s_clause 0x1
	scratch_load_b128 v[42:45], off, off offset:784
	scratch_load_b128 v[14:17], off, off offset:800
	s_waitcnt vmcnt(9) lgkmcnt(1)
	v_mul_f64 v[62:63], v[6:7], v[32:33]
	v_mul_f64 v[32:33], v[8:9], v[32:33]
	v_add_f64 v[52:53], v[52:53], v[56:57]
	s_waitcnt vmcnt(8) lgkmcnt(0)
	v_mul_f64 v[56:57], v[46:47], v[24:25]
	v_add_f64 v[58:59], v[58:59], v[60:61]
	v_mul_f64 v[24:25], v[48:49], v[24:25]
	v_fma_f64 v[60:61], v[8:9], v[30:31], v[62:63]
	v_fma_f64 v[62:63], v[6:7], v[30:31], -v[32:33]
	scratch_load_b128 v[30:33], off, off offset:816
	ds_load_b128 v[6:9], v1 offset:1712
	v_add_f64 v[52:53], v[52:53], v[54:55]
	v_fma_f64 v[48:49], v[48:49], v[22:23], v[56:57]
	v_add_f64 v[58:59], v[58:59], v[64:65]
	v_fma_f64 v[46:47], v[46:47], v[22:23], -v[24:25]
	scratch_load_b128 v[22:25], off, off offset:832
	v_add_f64 v[52:53], v[52:53], v[60:61]
	v_add_f64 v[56:57], v[58:59], v[62:63]
	s_waitcnt vmcnt(8)
	v_mul_f64 v[58:59], v[243:244], v[36:37]
	v_mul_f64 v[36:37], v[245:246], v[36:37]
	s_delay_alu instid0(VALU_DEP_4) | instskip(NEXT) | instid1(VALU_DEP_4)
	v_add_f64 v[52:53], v[52:53], v[48:49]
	v_add_f64 v[56:57], v[56:57], v[46:47]
	ds_load_b128 v[46:49], v1 offset:1760
	s_waitcnt lgkmcnt(1)
	v_mul_f64 v[54:55], v[6:7], v[28:29]
	v_mul_f64 v[28:29], v[8:9], v[28:29]
	v_fma_f64 v[58:59], v[245:246], v[34:35], v[58:59]
	v_fma_f64 v[64:65], v[243:244], v[34:35], -v[36:37]
	ds_load_b128 v[243:246], v1 offset:1792
	scratch_load_b128 v[34:37], off, off offset:864
	v_fma_f64 v[54:55], v[8:9], v[26:27], v[54:55]
	v_fma_f64 v[60:61], v[6:7], v[26:27], -v[28:29]
	ds_load_b128 v[6:9], v1 offset:1744
	scratch_load_b128 v[26:29], off, off offset:848
	s_waitcnt vmcnt(9) lgkmcnt(0)
	v_mul_f64 v[62:63], v[6:7], v[20:21]
	v_mul_f64 v[20:21], v[8:9], v[20:21]
	v_add_f64 v[52:53], v[52:53], v[54:55]
	v_add_f64 v[56:57], v[56:57], v[60:61]
	s_waitcnt vmcnt(8)
	v_mul_f64 v[54:55], v[46:47], v[181:182]
	v_mul_f64 v[60:61], v[48:49], v[181:182]
	v_fma_f64 v[62:63], v[8:9], v[18:19], v[62:63]
	v_fma_f64 v[66:67], v[6:7], v[18:19], -v[20:21]
	ds_load_b128 v[6:9], v1 offset:1776
	scratch_load_b128 v[18:21], off, off offset:880
	v_add_f64 v[52:53], v[52:53], v[58:59]
	v_add_f64 v[56:57], v[56:57], v[64:65]
	v_fma_f64 v[54:55], v[48:49], v[179:180], v[54:55]
	v_fma_f64 v[60:61], v[46:47], v[179:180], -v[60:61]
	ds_load_b128 v[179:182], v1 offset:1824
	scratch_load_b128 v[46:49], off, off offset:896
	s_waitcnt vmcnt(9) lgkmcnt(1)
	v_mul_f64 v[58:59], v[6:7], v[12:13]
	v_mul_f64 v[12:13], v[8:9], v[12:13]
	v_add_f64 v[52:53], v[52:53], v[62:63]
	v_add_f64 v[56:57], v[56:57], v[66:67]
	s_waitcnt vmcnt(8)
	v_mul_f64 v[62:63], v[243:244], v[40:41]
	v_mul_f64 v[40:41], v[245:246], v[40:41]
	v_fma_f64 v[58:59], v[8:9], v[10:11], v[58:59]
	v_fma_f64 v[64:65], v[6:7], v[10:11], -v[12:13]
	scratch_load_b128 v[10:13], off, off offset:912
	ds_load_b128 v[6:9], v1 offset:1808
	v_add_f64 v[52:53], v[52:53], v[54:55]
	v_add_f64 v[56:57], v[56:57], v[60:61]
	v_fma_f64 v[60:61], v[245:246], v[38:39], v[62:63]
	v_fma_f64 v[62:63], v[243:244], v[38:39], -v[40:41]
	ds_load_b128 v[243:246], v1 offset:1856
	s_waitcnt vmcnt(8) lgkmcnt(1)
	v_mul_f64 v[54:55], v[6:7], v[44:45]
	v_mul_f64 v[44:45], v[8:9], v[44:45]
	scratch_load_b128 v[38:41], off, off offset:928
	v_add_f64 v[52:53], v[52:53], v[58:59]
	v_add_f64 v[56:57], v[56:57], v[64:65]
	s_waitcnt vmcnt(8)
	v_mul_f64 v[58:59], v[179:180], v[16:17]
	v_mul_f64 v[16:17], v[181:182], v[16:17]
	v_fma_f64 v[54:55], v[8:9], v[42:43], v[54:55]
	v_fma_f64 v[64:65], v[6:7], v[42:43], -v[44:45]
	scratch_load_b128 v[42:45], off, off offset:944
	ds_load_b128 v[6:9], v1 offset:1840
	v_add_f64 v[52:53], v[52:53], v[60:61]
	v_add_f64 v[56:57], v[56:57], v[62:63]
	v_fma_f64 v[58:59], v[181:182], v[14:15], v[58:59]
	v_fma_f64 v[62:63], v[179:180], v[14:15], -v[16:17]
	ds_load_b128 v[179:182], v1 offset:1888
	s_waitcnt vmcnt(8) lgkmcnt(1)
	v_mul_f64 v[60:61], v[6:7], v[32:33]
	v_mul_f64 v[32:33], v[8:9], v[32:33]
	scratch_load_b128 v[14:17], off, off offset:960
	v_add_f64 v[52:53], v[52:53], v[54:55]
	v_add_f64 v[56:57], v[56:57], v[64:65]
	s_waitcnt vmcnt(8)
	v_mul_f64 v[54:55], v[243:244], v[24:25]
	v_mul_f64 v[24:25], v[245:246], v[24:25]
	v_fma_f64 v[60:61], v[8:9], v[30:31], v[60:61]
	v_fma_f64 v[64:65], v[6:7], v[30:31], -v[32:33]
	scratch_load_b128 v[30:33], off, off offset:976
	ds_load_b128 v[6:9], v1 offset:1872
	v_add_f64 v[52:53], v[52:53], v[58:59]
	v_add_f64 v[56:57], v[56:57], v[62:63]
	v_fma_f64 v[54:55], v[245:246], v[22:23], v[54:55]
	v_fma_f64 v[62:63], v[243:244], v[22:23], -v[24:25]
	ds_load_b128 v[243:246], v1 offset:1920
	scratch_load_b128 v[22:25], off, off offset:992
	s_waitcnt vmcnt(8) lgkmcnt(1)
	v_mul_f64 v[58:59], v[6:7], v[28:29]
	v_mul_f64 v[28:29], v[8:9], v[28:29]
	v_add_f64 v[52:53], v[52:53], v[60:61]
	v_add_f64 v[56:57], v[56:57], v[64:65]
	v_mul_f64 v[60:61], v[179:180], v[36:37]
	v_mul_f64 v[36:37], v[181:182], v[36:37]
	v_fma_f64 v[58:59], v[8:9], v[26:27], v[58:59]
	v_fma_f64 v[64:65], v[6:7], v[26:27], -v[28:29]
	scratch_load_b128 v[26:29], off, off offset:1008
	ds_load_b128 v[6:9], v1 offset:1904
	v_add_f64 v[52:53], v[52:53], v[54:55]
	v_add_f64 v[56:57], v[56:57], v[62:63]
	v_fma_f64 v[60:61], v[181:182], v[34:35], v[60:61]
	v_fma_f64 v[34:35], v[179:180], v[34:35], -v[36:37]
	s_waitcnt vmcnt(8) lgkmcnt(0)
	v_mul_f64 v[54:55], v[6:7], v[20:21]
	v_mul_f64 v[20:21], v[8:9], v[20:21]
	v_add_f64 v[52:53], v[52:53], v[58:59]
	v_add_f64 v[36:37], v[56:57], v[64:65]
	s_waitcnt vmcnt(7)
	v_mul_f64 v[56:57], v[243:244], v[48:49]
	v_mul_f64 v[48:49], v[245:246], v[48:49]
	v_fma_f64 v[54:55], v[8:9], v[18:19], v[54:55]
	v_fma_f64 v[58:59], v[6:7], v[18:19], -v[20:21]
	ds_load_b128 v[6:9], v1 offset:1936
	ds_load_b128 v[18:21], v1 offset:1952
	v_add_f64 v[34:35], v[36:37], v[34:35]
	v_add_f64 v[36:37], v[52:53], v[60:61]
	s_waitcnt vmcnt(6) lgkmcnt(1)
	v_mul_f64 v[52:53], v[6:7], v[12:13]
	v_mul_f64 v[12:13], v[8:9], v[12:13]
	v_fma_f64 v[56:57], v[245:246], v[46:47], v[56:57]
	v_fma_f64 v[46:47], v[243:244], v[46:47], -v[48:49]
	s_waitcnt vmcnt(5) lgkmcnt(0)
	v_mul_f64 v[48:49], v[18:19], v[40:41]
	v_mul_f64 v[40:41], v[20:21], v[40:41]
	v_add_f64 v[34:35], v[34:35], v[58:59]
	v_add_f64 v[36:37], v[36:37], v[54:55]
	v_fma_f64 v[52:53], v[8:9], v[10:11], v[52:53]
	v_fma_f64 v[54:55], v[6:7], v[10:11], -v[12:13]
	ds_load_b128 v[6:9], v1 offset:1968
	ds_load_b128 v[10:13], v1 offset:1984
	v_fma_f64 v[20:21], v[20:21], v[38:39], v[48:49]
	v_fma_f64 v[18:19], v[18:19], v[38:39], -v[40:41]
	v_add_f64 v[34:35], v[34:35], v[46:47]
	v_add_f64 v[36:37], v[36:37], v[56:57]
	s_waitcnt vmcnt(4) lgkmcnt(1)
	v_mul_f64 v[46:47], v[6:7], v[44:45]
	v_mul_f64 v[44:45], v[8:9], v[44:45]
	s_waitcnt vmcnt(3) lgkmcnt(0)
	v_mul_f64 v[38:39], v[10:11], v[16:17]
	v_mul_f64 v[40:41], v[12:13], v[16:17]
	v_add_f64 v[34:35], v[34:35], v[54:55]
	v_add_f64 v[36:37], v[36:37], v[52:53]
	v_fma_f64 v[46:47], v[8:9], v[42:43], v[46:47]
	v_fma_f64 v[42:43], v[6:7], v[42:43], -v[44:45]
	v_fma_f64 v[12:13], v[12:13], v[14:15], v[38:39]
	v_fma_f64 v[10:11], v[10:11], v[14:15], -v[40:41]
	v_add_f64 v[34:35], v[34:35], v[18:19]
	v_add_f64 v[20:21], v[36:37], v[20:21]
	ds_load_b128 v[6:9], v1 offset:2000
	ds_load_b128 v[16:19], v1 offset:2016
	s_waitcnt vmcnt(2) lgkmcnt(1)
	v_mul_f64 v[36:37], v[6:7], v[32:33]
	v_mul_f64 v[32:33], v[8:9], v[32:33]
	v_add_f64 v[14:15], v[34:35], v[42:43]
	v_add_f64 v[20:21], v[20:21], v[46:47]
	s_waitcnt vmcnt(1) lgkmcnt(0)
	v_mul_f64 v[34:35], v[16:17], v[24:25]
	v_mul_f64 v[24:25], v[18:19], v[24:25]
	v_fma_f64 v[36:37], v[8:9], v[30:31], v[36:37]
	v_fma_f64 v[30:31], v[6:7], v[30:31], -v[32:33]
	ds_load_b128 v[6:9], v1 offset:2032
	v_add_f64 v[10:11], v[14:15], v[10:11]
	v_add_f64 v[12:13], v[20:21], v[12:13]
	v_fma_f64 v[18:19], v[18:19], v[22:23], v[34:35]
	v_fma_f64 v[16:17], v[16:17], v[22:23], -v[24:25]
	s_waitcnt vmcnt(0) lgkmcnt(0)
	v_mul_f64 v[14:15], v[6:7], v[28:29]
	v_mul_f64 v[20:21], v[8:9], v[28:29]
	v_add_f64 v[10:11], v[10:11], v[30:31]
	v_add_f64 v[12:13], v[12:13], v[36:37]
	s_delay_alu instid0(VALU_DEP_4) | instskip(NEXT) | instid1(VALU_DEP_4)
	v_fma_f64 v[8:9], v[8:9], v[26:27], v[14:15]
	v_fma_f64 v[6:7], v[6:7], v[26:27], -v[20:21]
	s_delay_alu instid0(VALU_DEP_4) | instskip(NEXT) | instid1(VALU_DEP_4)
	v_add_f64 v[10:11], v[10:11], v[16:17]
	v_add_f64 v[12:13], v[12:13], v[18:19]
	s_delay_alu instid0(VALU_DEP_2) | instskip(NEXT) | instid1(VALU_DEP_2)
	v_add_f64 v[6:7], v[10:11], v[6:7]
	v_add_f64 v[8:9], v[12:13], v[8:9]
	s_delay_alu instid0(VALU_DEP_2) | instskip(NEXT) | instid1(VALU_DEP_2)
	v_add_f64 v[2:3], v[2:3], -v[6:7]
	v_add_f64 v[4:5], v[4:5], -v[8:9]
	scratch_store_b128 off, v[2:5], off offset:128
	v_cmpx_lt_u32_e32 7, v178
	s_cbranch_execz .LBB63_394
; %bb.393:
	scratch_load_b32 v2, off, off offset:1176 ; 4-byte Folded Reload
	v_mov_b32_e32 v3, v1
	v_mov_b32_e32 v4, v1
	s_waitcnt vmcnt(0)
	scratch_load_b128 v[5:8], v2, off
	v_mov_b32_e32 v2, v1
	scratch_store_b128 off, v[1:4], off offset:112
	s_waitcnt vmcnt(0)
	ds_store_b128 v242, v[5:8]
.LBB63_394:
	s_or_b32 exec_lo, exec_lo, s2
	s_waitcnt lgkmcnt(0)
	s_waitcnt_vscnt null, 0x0
	s_barrier
	buffer_gl0_inv
	s_clause 0x8
	scratch_load_b128 v[34:37], off, off offset:128
	scratch_load_b128 v[38:41], off, off offset:144
	;; [unrolled: 1-line block ×9, first 2 shown]
	ds_load_b128 v[46:49], v1 offset:1152
	ds_load_b128 v[42:45], v1 offset:1168
	s_clause 0x1
	scratch_load_b128 v[2:5], off, off offset:112
	scratch_load_b128 v[179:182], off, off offset:272
	s_mov_b32 s2, exec_lo
	ds_load_b128 v[243:246], v1 offset:1200
	ds_load_b128 v[247:250], v1 offset:1328
	s_waitcnt vmcnt(10) lgkmcnt(3)
	v_mul_f64 v[52:53], v[48:49], v[36:37]
	v_mul_f64 v[36:37], v[46:47], v[36:37]
	s_waitcnt vmcnt(9) lgkmcnt(2)
	v_mul_f64 v[54:55], v[42:43], v[40:41]
	v_mul_f64 v[40:41], v[44:45], v[40:41]
	s_waitcnt vmcnt(7) lgkmcnt(1)
	v_mul_f64 v[60:61], v[245:246], v[28:29]
	v_fma_f64 v[52:53], v[46:47], v[34:35], -v[52:53]
	v_fma_f64 v[56:57], v[48:49], v[34:35], v[36:37]
	ds_load_b128 v[34:37], v1 offset:1184
	scratch_load_b128 v[46:49], off, off offset:288
	v_fma_f64 v[44:45], v[44:45], v[38:39], v[54:55]
	v_fma_f64 v[42:43], v[42:43], v[38:39], -v[40:41]
	scratch_load_b128 v[38:41], off, off offset:304
	v_fma_f64 v[60:61], v[243:244], v[26:27], -v[60:61]
	s_waitcnt lgkmcnt(0)
	v_mul_f64 v[58:59], v[34:35], v[32:33]
	v_mul_f64 v[32:33], v[36:37], v[32:33]
	v_add_f64 v[52:53], v[52:53], 0
	v_add_f64 v[54:55], v[56:57], 0
	v_mul_f64 v[56:57], v[243:244], v[28:29]
	v_fma_f64 v[36:37], v[36:37], v[30:31], v[58:59]
	v_fma_f64 v[58:59], v[34:35], v[30:31], -v[32:33]
	ds_load_b128 v[28:31], v1 offset:1216
	scratch_load_b128 v[32:35], off, off offset:320
	v_add_f64 v[52:53], v[52:53], v[42:43]
	v_add_f64 v[54:55], v[54:55], v[44:45]
	ds_load_b128 v[42:45], v1 offset:1232
	v_fma_f64 v[56:57], v[245:246], v[26:27], v[56:57]
	ds_load_b128 v[243:246], v1 offset:1264
	s_waitcnt vmcnt(9) lgkmcnt(2)
	v_mul_f64 v[62:63], v[28:29], v[24:25]
	v_mul_f64 v[64:65], v[30:31], v[24:25]
	scratch_load_b128 v[24:27], off, off offset:336
	v_add_f64 v[52:53], v[52:53], v[58:59]
	v_add_f64 v[36:37], v[54:55], v[36:37]
	s_waitcnt vmcnt(9) lgkmcnt(1)
	v_mul_f64 v[54:55], v[42:43], v[20:21]
	v_mul_f64 v[58:59], v[44:45], v[20:21]
	v_fma_f64 v[62:63], v[30:31], v[22:23], v[62:63]
	v_fma_f64 v[64:65], v[28:29], v[22:23], -v[64:65]
	ds_load_b128 v[20:23], v1 offset:1248
	scratch_load_b128 v[28:31], off, off offset:352
	v_add_f64 v[52:53], v[52:53], v[60:61]
	v_add_f64 v[36:37], v[36:37], v[56:57]
	s_waitcnt vmcnt(9) lgkmcnt(0)
	v_mul_f64 v[56:57], v[20:21], v[16:17]
	v_mul_f64 v[60:61], v[22:23], v[16:17]
	v_fma_f64 v[44:45], v[44:45], v[18:19], v[54:55]
	v_fma_f64 v[42:43], v[42:43], v[18:19], -v[58:59]
	scratch_load_b128 v[16:19], off, off offset:368
	s_waitcnt vmcnt(9)
	v_mul_f64 v[54:55], v[243:244], v[12:13]
	v_mul_f64 v[58:59], v[245:246], v[12:13]
	v_add_f64 v[52:53], v[52:53], v[64:65]
	v_add_f64 v[36:37], v[36:37], v[62:63]
	v_fma_f64 v[56:57], v[22:23], v[14:15], v[56:57]
	v_fma_f64 v[60:61], v[20:21], v[14:15], -v[60:61]
	ds_load_b128 v[12:15], v1 offset:1280
	scratch_load_b128 v[20:23], off, off offset:384
	v_fma_f64 v[54:55], v[245:246], v[10:11], v[54:55]
	v_fma_f64 v[58:59], v[243:244], v[10:11], -v[58:59]
	scratch_load_b128 v[243:246], off, off offset:416
	v_add_f64 v[52:53], v[52:53], v[42:43]
	v_add_f64 v[36:37], v[36:37], v[44:45]
	ds_load_b128 v[42:45], v1 offset:1296
	s_waitcnt vmcnt(10) lgkmcnt(1)
	v_mul_f64 v[62:63], v[12:13], v[8:9]
	v_mul_f64 v[64:65], v[14:15], v[8:9]
	scratch_load_b128 v[8:11], off, off offset:400
	v_add_f64 v[52:53], v[52:53], v[60:61]
	v_add_f64 v[36:37], v[36:37], v[56:57]
	s_waitcnt vmcnt(9) lgkmcnt(0)
	v_mul_f64 v[56:57], v[42:43], v[181:182]
	v_mul_f64 v[60:61], v[44:45], v[181:182]
	v_fma_f64 v[62:63], v[14:15], v[6:7], v[62:63]
	v_fma_f64 v[6:7], v[12:13], v[6:7], -v[64:65]
	ds_load_b128 v[12:15], v1 offset:1312
	v_add_f64 v[52:53], v[52:53], v[58:59]
	v_add_f64 v[36:37], v[36:37], v[54:55]
	v_fma_f64 v[56:57], v[44:45], v[179:180], v[56:57]
	v_fma_f64 v[58:59], v[42:43], v[179:180], -v[60:61]
	scratch_load_b128 v[42:45], off, off offset:432
	ds_load_b128 v[179:182], v1 offset:1360
	s_waitcnt vmcnt(9) lgkmcnt(1)
	v_mul_f64 v[54:55], v[12:13], v[48:49]
	v_mul_f64 v[48:49], v[14:15], v[48:49]
	v_add_f64 v[6:7], v[52:53], v[6:7]
	v_add_f64 v[36:37], v[36:37], v[62:63]
	s_waitcnt vmcnt(8)
	v_mul_f64 v[52:53], v[247:248], v[40:41]
	v_mul_f64 v[40:41], v[249:250], v[40:41]
	v_fma_f64 v[54:55], v[14:15], v[46:47], v[54:55]
	v_fma_f64 v[60:61], v[12:13], v[46:47], -v[48:49]
	ds_load_b128 v[12:15], v1 offset:1344
	scratch_load_b128 v[46:49], off, off offset:448
	v_add_f64 v[6:7], v[6:7], v[58:59]
	v_add_f64 v[36:37], v[36:37], v[56:57]
	v_fma_f64 v[52:53], v[249:250], v[38:39], v[52:53]
	s_waitcnt vmcnt(8) lgkmcnt(0)
	v_mul_f64 v[56:57], v[12:13], v[34:35]
	v_mul_f64 v[58:59], v[14:15], v[34:35]
	v_fma_f64 v[38:39], v[247:248], v[38:39], -v[40:41]
	ds_load_b128 v[247:250], v1 offset:1392
	v_add_f64 v[6:7], v[6:7], v[60:61]
	v_add_f64 v[40:41], v[36:37], v[54:55]
	scratch_load_b128 v[34:37], off, off offset:464
	s_waitcnt vmcnt(8)
	v_mul_f64 v[54:55], v[179:180], v[26:27]
	v_mul_f64 v[26:27], v[181:182], v[26:27]
	v_fma_f64 v[56:57], v[14:15], v[32:33], v[56:57]
	v_fma_f64 v[32:33], v[12:13], v[32:33], -v[58:59]
	ds_load_b128 v[12:15], v1 offset:1376
	s_waitcnt vmcnt(7) lgkmcnt(0)
	v_mul_f64 v[58:59], v[12:13], v[30:31]
	v_mul_f64 v[30:31], v[14:15], v[30:31]
	v_add_f64 v[6:7], v[6:7], v[38:39]
	v_add_f64 v[52:53], v[40:41], v[52:53]
	scratch_load_b128 v[38:41], off, off offset:480
	v_fma_f64 v[54:55], v[181:182], v[24:25], v[54:55]
	v_fma_f64 v[60:61], v[179:180], v[24:25], -v[26:27]
	scratch_load_b128 v[24:27], off, off offset:496
	ds_load_b128 v[179:182], v1 offset:1424
	v_add_f64 v[6:7], v[6:7], v[32:33]
	v_add_f64 v[32:33], v[52:53], v[56:57]
	s_waitcnt vmcnt(8)
	v_mul_f64 v[52:53], v[247:248], v[18:19]
	v_mul_f64 v[18:19], v[249:250], v[18:19]
	v_fma_f64 v[56:57], v[14:15], v[28:29], v[58:59]
	v_fma_f64 v[58:59], v[12:13], v[28:29], -v[30:31]
	ds_load_b128 v[12:15], v1 offset:1408
	scratch_load_b128 v[28:31], off, off offset:512
	v_add_f64 v[6:7], v[6:7], v[60:61]
	v_add_f64 v[32:33], v[32:33], v[54:55]
	s_waitcnt vmcnt(8) lgkmcnt(0)
	v_mul_f64 v[54:55], v[12:13], v[22:23]
	v_mul_f64 v[22:23], v[14:15], v[22:23]
	v_fma_f64 v[52:53], v[249:250], v[16:17], v[52:53]
	v_fma_f64 v[60:61], v[247:248], v[16:17], -v[18:19]
	scratch_load_b128 v[16:19], off, off offset:528
	ds_load_b128 v[247:250], v1 offset:1456
	v_add_f64 v[6:7], v[6:7], v[58:59]
	v_add_f64 v[32:33], v[32:33], v[56:57]
	s_waitcnt vmcnt(7)
	v_mul_f64 v[56:57], v[179:180], v[10:11]
	v_mul_f64 v[58:59], v[181:182], v[10:11]
	v_fma_f64 v[14:15], v[14:15], v[20:21], v[54:55]
	v_fma_f64 v[54:55], v[12:13], v[20:21], -v[22:23]
	ds_load_b128 v[10:13], v1 offset:1440
	scratch_load_b128 v[20:23], off, off offset:544
	v_add_f64 v[6:7], v[6:7], v[60:61]
	v_add_f64 v[32:33], v[32:33], v[52:53]
	s_waitcnt lgkmcnt(0)
	v_mul_f64 v[52:53], v[10:11], v[245:246]
	v_mul_f64 v[60:61], v[12:13], v[245:246]
	v_fma_f64 v[56:57], v[181:182], v[8:9], v[56:57]
	v_fma_f64 v[58:59], v[179:180], v[8:9], -v[58:59]
	scratch_load_b128 v[179:182], off, off offset:576
	v_add_f64 v[54:55], v[6:7], v[54:55]
	v_add_f64 v[14:15], v[32:33], v[14:15]
	scratch_load_b128 v[6:9], off, off offset:560
	s_waitcnt vmcnt(9)
	v_mul_f64 v[32:33], v[247:248], v[44:45]
	v_mul_f64 v[44:45], v[249:250], v[44:45]
	v_fma_f64 v[52:53], v[12:13], v[243:244], v[52:53]
	v_fma_f64 v[60:61], v[10:11], v[243:244], -v[60:61]
	ds_load_b128 v[10:13], v1 offset:1472
	ds_load_b128 v[243:246], v1 offset:1488
	v_add_f64 v[54:55], v[54:55], v[58:59]
	v_add_f64 v[14:15], v[14:15], v[56:57]
	s_waitcnt vmcnt(8) lgkmcnt(1)
	v_mul_f64 v[56:57], v[10:11], v[48:49]
	v_mul_f64 v[48:49], v[12:13], v[48:49]
	v_fma_f64 v[32:33], v[249:250], v[42:43], v[32:33]
	v_fma_f64 v[58:59], v[247:248], v[42:43], -v[44:45]
	scratch_load_b128 v[42:45], off, off offset:592
	ds_load_b128 v[247:250], v1 offset:1520
	v_add_f64 v[54:55], v[54:55], v[60:61]
	v_add_f64 v[14:15], v[14:15], v[52:53]
	v_fma_f64 v[56:57], v[12:13], v[46:47], v[56:57]
	v_fma_f64 v[60:61], v[10:11], v[46:47], -v[48:49]
	ds_load_b128 v[10:13], v1 offset:1504
	scratch_load_b128 v[46:49], off, off offset:608
	s_waitcnt vmcnt(9) lgkmcnt(2)
	v_mul_f64 v[52:53], v[243:244], v[36:37]
	v_mul_f64 v[36:37], v[245:246], v[36:37]
	v_add_f64 v[54:55], v[54:55], v[58:59]
	v_add_f64 v[14:15], v[14:15], v[32:33]
	s_waitcnt vmcnt(8) lgkmcnt(0)
	v_mul_f64 v[58:59], v[10:11], v[40:41]
	v_mul_f64 v[40:41], v[12:13], v[40:41]
	v_fma_f64 v[52:53], v[245:246], v[34:35], v[52:53]
	v_fma_f64 v[36:37], v[243:244], v[34:35], -v[36:37]
	scratch_load_b128 v[32:35], off, off offset:624
	ds_load_b128 v[243:246], v1 offset:1552
	v_add_f64 v[54:55], v[54:55], v[60:61]
	v_add_f64 v[14:15], v[14:15], v[56:57]
	s_waitcnt vmcnt(8)
	v_mul_f64 v[56:57], v[247:248], v[26:27]
	v_mul_f64 v[26:27], v[249:250], v[26:27]
	v_fma_f64 v[58:59], v[12:13], v[38:39], v[58:59]
	v_fma_f64 v[40:41], v[10:11], v[38:39], -v[40:41]
	ds_load_b128 v[10:13], v1 offset:1536
	v_add_f64 v[54:55], v[54:55], v[36:37]
	v_add_f64 v[14:15], v[14:15], v[52:53]
	scratch_load_b128 v[36:39], off, off offset:640
	s_waitcnt vmcnt(8) lgkmcnt(0)
	v_mul_f64 v[52:53], v[10:11], v[30:31]
	v_mul_f64 v[30:31], v[12:13], v[30:31]
	v_fma_f64 v[56:57], v[249:250], v[24:25], v[56:57]
	v_fma_f64 v[60:61], v[247:248], v[24:25], -v[26:27]
	scratch_load_b128 v[24:27], off, off offset:656
	ds_load_b128 v[247:250], v1 offset:1584
	v_add_f64 v[40:41], v[54:55], v[40:41]
	v_add_f64 v[14:15], v[14:15], v[58:59]
	s_waitcnt vmcnt(8)
	v_mul_f64 v[54:55], v[243:244], v[18:19]
	v_mul_f64 v[18:19], v[245:246], v[18:19]
	v_fma_f64 v[52:53], v[12:13], v[28:29], v[52:53]
	v_fma_f64 v[58:59], v[10:11], v[28:29], -v[30:31]
	ds_load_b128 v[10:13], v1 offset:1568
	scratch_load_b128 v[28:31], off, off offset:672
	v_add_f64 v[40:41], v[40:41], v[60:61]
	v_add_f64 v[14:15], v[14:15], v[56:57]
	s_waitcnt vmcnt(8) lgkmcnt(0)
	v_mul_f64 v[56:57], v[10:11], v[22:23]
	v_mul_f64 v[22:23], v[12:13], v[22:23]
	v_fma_f64 v[54:55], v[245:246], v[16:17], v[54:55]
	v_fma_f64 v[18:19], v[243:244], v[16:17], -v[18:19]
	ds_load_b128 v[243:246], v1 offset:1616
	v_add_f64 v[40:41], v[40:41], v[58:59]
	v_add_f64 v[52:53], v[14:15], v[52:53]
	scratch_load_b128 v[14:17], off, off offset:688
	v_fma_f64 v[12:13], v[12:13], v[20:21], v[56:57]
	v_fma_f64 v[22:23], v[10:11], v[20:21], -v[22:23]
	s_waitcnt vmcnt(7)
	v_mul_f64 v[58:59], v[247:248], v[8:9]
	v_mul_f64 v[60:61], v[249:250], v[8:9]
	ds_load_b128 v[8:11], v1 offset:1600
	v_add_f64 v[40:41], v[40:41], v[18:19]
	v_add_f64 v[52:53], v[52:53], v[54:55]
	scratch_load_b128 v[18:21], off, off offset:704
	s_waitcnt lgkmcnt(0)
	v_mul_f64 v[54:55], v[8:9], v[181:182]
	v_mul_f64 v[56:57], v[10:11], v[181:182]
	v_fma_f64 v[58:59], v[249:250], v[6:7], v[58:59]
	v_fma_f64 v[6:7], v[247:248], v[6:7], -v[60:61]
	scratch_load_b128 v[247:250], off, off offset:720
	v_add_f64 v[22:23], v[40:41], v[22:23]
	v_add_f64 v[12:13], v[52:53], v[12:13]
	s_waitcnt vmcnt(8)
	v_mul_f64 v[40:41], v[243:244], v[44:45]
	v_mul_f64 v[44:45], v[245:246], v[44:45]
	v_fma_f64 v[52:53], v[10:11], v[179:180], v[54:55]
	v_fma_f64 v[54:55], v[8:9], v[179:180], -v[56:57]
	ds_load_b128 v[179:182], v1 offset:1648
	v_add_f64 v[22:23], v[22:23], v[6:7]
	v_add_f64 v[56:57], v[12:13], v[58:59]
	ds_load_b128 v[6:9], v1 offset:1632
	scratch_load_b128 v[10:13], off, off offset:736
	v_fma_f64 v[60:61], v[245:246], v[42:43], v[40:41]
	v_fma_f64 v[44:45], v[243:244], v[42:43], -v[44:45]
	scratch_load_b128 v[40:43], off, off offset:752
	ds_load_b128 v[243:246], v1 offset:1680
	s_waitcnt vmcnt(9) lgkmcnt(1)
	v_mul_f64 v[58:59], v[6:7], v[48:49]
	v_mul_f64 v[48:49], v[8:9], v[48:49]
	v_add_f64 v[22:23], v[22:23], v[54:55]
	v_add_f64 v[52:53], v[56:57], v[52:53]
	s_waitcnt vmcnt(8)
	v_mul_f64 v[54:55], v[179:180], v[34:35]
	v_mul_f64 v[34:35], v[181:182], v[34:35]
	v_fma_f64 v[56:57], v[8:9], v[46:47], v[58:59]
	v_fma_f64 v[48:49], v[6:7], v[46:47], -v[48:49]
	ds_load_b128 v[6:9], v1 offset:1664
	v_add_f64 v[22:23], v[22:23], v[44:45]
	v_add_f64 v[52:53], v[52:53], v[60:61]
	scratch_load_b128 v[44:47], off, off offset:768
	v_fma_f64 v[54:55], v[181:182], v[32:33], v[54:55]
	v_fma_f64 v[60:61], v[179:180], v[32:33], -v[34:35]
	scratch_load_b128 v[32:35], off, off offset:784
	ds_load_b128 v[179:182], v1 offset:1712
	s_waitcnt vmcnt(9) lgkmcnt(1)
	v_mul_f64 v[58:59], v[6:7], v[38:39]
	v_mul_f64 v[38:39], v[8:9], v[38:39]
	v_add_f64 v[22:23], v[22:23], v[48:49]
	v_add_f64 v[48:49], v[52:53], v[56:57]
	s_waitcnt vmcnt(8)
	v_mul_f64 v[52:53], v[243:244], v[26:27]
	v_mul_f64 v[26:27], v[245:246], v[26:27]
	v_fma_f64 v[56:57], v[8:9], v[36:37], v[58:59]
	v_fma_f64 v[58:59], v[6:7], v[36:37], -v[38:39]
	ds_load_b128 v[6:9], v1 offset:1696
	scratch_load_b128 v[36:39], off, off offset:800
	v_add_f64 v[22:23], v[22:23], v[60:61]
	v_add_f64 v[48:49], v[48:49], v[54:55]
	s_waitcnt vmcnt(8) lgkmcnt(0)
	v_mul_f64 v[54:55], v[6:7], v[30:31]
	v_mul_f64 v[30:31], v[8:9], v[30:31]
	v_fma_f64 v[52:53], v[245:246], v[24:25], v[52:53]
	v_fma_f64 v[26:27], v[243:244], v[24:25], -v[26:27]
	ds_load_b128 v[243:246], v1 offset:1744
	v_add_f64 v[58:59], v[22:23], v[58:59]
	scratch_load_b128 v[22:25], off, off offset:816
	v_add_f64 v[48:49], v[48:49], v[56:57]
	v_fma_f64 v[54:55], v[8:9], v[28:29], v[54:55]
	v_fma_f64 v[30:31], v[6:7], v[28:29], -v[30:31]
	ds_load_b128 v[6:9], v1 offset:1728
	s_waitcnt vmcnt(8)
	v_mul_f64 v[56:57], v[179:180], v[16:17]
	v_mul_f64 v[16:17], v[181:182], v[16:17]
	v_add_f64 v[58:59], v[58:59], v[26:27]
	scratch_load_b128 v[26:29], off, off offset:832
	v_add_f64 v[48:49], v[48:49], v[52:53]
	s_waitcnt vmcnt(8) lgkmcnt(0)
	v_mul_f64 v[52:53], v[6:7], v[20:21]
	v_mul_f64 v[20:21], v[8:9], v[20:21]
	v_fma_f64 v[56:57], v[181:182], v[14:15], v[56:57]
	v_fma_f64 v[60:61], v[179:180], v[14:15], -v[16:17]
	scratch_load_b128 v[14:17], off, off offset:848
	ds_load_b128 v[179:182], v1 offset:1776
	v_add_f64 v[30:31], v[58:59], v[30:31]
	s_waitcnt vmcnt(8)
	v_mul_f64 v[58:59], v[245:246], v[249:250]
	v_add_f64 v[48:49], v[48:49], v[54:55]
	v_mul_f64 v[54:55], v[243:244], v[249:250]
	v_fma_f64 v[52:53], v[8:9], v[18:19], v[52:53]
	v_fma_f64 v[62:63], v[6:7], v[18:19], -v[20:21]
	ds_load_b128 v[6:9], v1 offset:1760
	scratch_load_b128 v[18:21], off, off offset:864
	v_add_f64 v[30:31], v[30:31], v[60:61]
	v_fma_f64 v[58:59], v[243:244], v[247:248], -v[58:59]
	v_add_f64 v[48:49], v[48:49], v[56:57]
	v_fma_f64 v[54:55], v[245:246], v[247:248], v[54:55]
	scratch_load_b128 v[243:246], off, off offset:880
	ds_load_b128 v[247:250], v1 offset:1808
	s_waitcnt vmcnt(9) lgkmcnt(1)
	v_mul_f64 v[56:57], v[6:7], v[12:13]
	v_mul_f64 v[12:13], v[8:9], v[12:13]
	v_add_f64 v[30:31], v[30:31], v[62:63]
	v_add_f64 v[48:49], v[48:49], v[52:53]
	s_waitcnt vmcnt(8)
	v_mul_f64 v[52:53], v[179:180], v[42:43]
	v_mul_f64 v[42:43], v[181:182], v[42:43]
	v_fma_f64 v[56:57], v[8:9], v[10:11], v[56:57]
	v_fma_f64 v[60:61], v[6:7], v[10:11], -v[12:13]
	ds_load_b128 v[6:9], v1 offset:1792
	scratch_load_b128 v[10:13], off, off offset:896
	v_add_f64 v[30:31], v[30:31], v[58:59]
	v_add_f64 v[48:49], v[48:49], v[54:55]
	v_fma_f64 v[52:53], v[181:182], v[40:41], v[52:53]
	v_fma_f64 v[58:59], v[179:180], v[40:41], -v[42:43]
	scratch_load_b128 v[40:43], off, off offset:912
	ds_load_b128 v[179:182], v1 offset:1840
	s_waitcnt vmcnt(9) lgkmcnt(1)
	v_mul_f64 v[54:55], v[6:7], v[46:47]
	v_mul_f64 v[46:47], v[8:9], v[46:47]
	v_add_f64 v[30:31], v[30:31], v[60:61]
	v_add_f64 v[48:49], v[48:49], v[56:57]
	s_waitcnt vmcnt(8)
	v_mul_f64 v[56:57], v[247:248], v[34:35]
	v_mul_f64 v[34:35], v[249:250], v[34:35]
	v_fma_f64 v[54:55], v[8:9], v[44:45], v[54:55]
	v_fma_f64 v[60:61], v[6:7], v[44:45], -v[46:47]
	ds_load_b128 v[6:9], v1 offset:1824
	scratch_load_b128 v[44:47], off, off offset:928
	v_add_f64 v[30:31], v[30:31], v[58:59]
	v_add_f64 v[48:49], v[48:49], v[52:53]
	s_waitcnt vmcnt(8) lgkmcnt(0)
	v_mul_f64 v[52:53], v[6:7], v[38:39]
	v_mul_f64 v[38:39], v[8:9], v[38:39]
	v_fma_f64 v[56:57], v[249:250], v[32:33], v[56:57]
	v_fma_f64 v[34:35], v[247:248], v[32:33], -v[34:35]
	ds_load_b128 v[247:250], v1 offset:1872
	v_add_f64 v[58:59], v[30:31], v[60:61]
	scratch_load_b128 v[30:33], off, off offset:944
	v_add_f64 v[48:49], v[48:49], v[54:55]
	v_fma_f64 v[52:53], v[8:9], v[36:37], v[52:53]
	v_fma_f64 v[38:39], v[6:7], v[36:37], -v[38:39]
	ds_load_b128 v[6:9], v1 offset:1856
	s_waitcnt vmcnt(8)
	v_mul_f64 v[54:55], v[179:180], v[24:25]
	v_mul_f64 v[24:25], v[181:182], v[24:25]
	v_add_f64 v[58:59], v[58:59], v[34:35]
	scratch_load_b128 v[34:37], off, off offset:960
	v_add_f64 v[48:49], v[48:49], v[56:57]
	s_waitcnt vmcnt(8) lgkmcnt(0)
	v_mul_f64 v[56:57], v[6:7], v[28:29]
	v_mul_f64 v[28:29], v[8:9], v[28:29]
	v_fma_f64 v[54:55], v[181:182], v[22:23], v[54:55]
	v_fma_f64 v[60:61], v[179:180], v[22:23], -v[24:25]
	scratch_load_b128 v[22:25], off, off offset:976
	ds_load_b128 v[179:182], v1 offset:1904
	v_add_f64 v[38:39], v[58:59], v[38:39]
	v_add_f64 v[48:49], v[48:49], v[52:53]
	s_waitcnt vmcnt(8)
	v_mul_f64 v[52:53], v[247:248], v[16:17]
	v_mul_f64 v[16:17], v[249:250], v[16:17]
	v_fma_f64 v[56:57], v[8:9], v[26:27], v[56:57]
	v_fma_f64 v[58:59], v[6:7], v[26:27], -v[28:29]
	ds_load_b128 v[6:9], v1 offset:1888
	scratch_load_b128 v[26:29], off, off offset:992
	v_add_f64 v[38:39], v[38:39], v[60:61]
	v_add_f64 v[48:49], v[48:49], v[54:55]
	s_waitcnt vmcnt(8) lgkmcnt(0)
	v_mul_f64 v[54:55], v[6:7], v[20:21]
	v_mul_f64 v[20:21], v[8:9], v[20:21]
	v_fma_f64 v[52:53], v[249:250], v[14:15], v[52:53]
	v_fma_f64 v[60:61], v[247:248], v[14:15], -v[16:17]
	scratch_load_b128 v[14:17], off, off offset:1008
	v_add_f64 v[38:39], v[38:39], v[58:59]
	s_waitcnt vmcnt(8)
	v_mul_f64 v[58:59], v[181:182], v[245:246]
	v_add_f64 v[48:49], v[48:49], v[56:57]
	v_mul_f64 v[56:57], v[179:180], v[245:246]
	v_fma_f64 v[54:55], v[8:9], v[18:19], v[54:55]
	v_fma_f64 v[62:63], v[6:7], v[18:19], -v[20:21]
	ds_load_b128 v[6:9], v1 offset:1920
	ds_load_b128 v[18:21], v1 offset:1936
	v_add_f64 v[38:39], v[38:39], v[60:61]
	v_fma_f64 v[58:59], v[179:180], v[243:244], -v[58:59]
	v_add_f64 v[48:49], v[48:49], v[52:53]
	s_waitcnt vmcnt(7) lgkmcnt(1)
	v_mul_f64 v[52:53], v[6:7], v[12:13]
	v_mul_f64 v[12:13], v[8:9], v[12:13]
	v_fma_f64 v[56:57], v[181:182], v[243:244], v[56:57]
	v_add_f64 v[38:39], v[38:39], v[62:63]
	v_add_f64 v[48:49], v[48:49], v[54:55]
	s_waitcnt vmcnt(6) lgkmcnt(0)
	v_mul_f64 v[54:55], v[18:19], v[42:43]
	v_mul_f64 v[42:43], v[20:21], v[42:43]
	v_fma_f64 v[52:53], v[8:9], v[10:11], v[52:53]
	v_fma_f64 v[60:61], v[6:7], v[10:11], -v[12:13]
	ds_load_b128 v[6:9], v1 offset:1952
	ds_load_b128 v[10:13], v1 offset:1968
	v_add_f64 v[38:39], v[38:39], v[58:59]
	v_add_f64 v[48:49], v[48:49], v[56:57]
	s_waitcnt vmcnt(5) lgkmcnt(1)
	v_mul_f64 v[56:57], v[6:7], v[46:47]
	v_mul_f64 v[46:47], v[8:9], v[46:47]
	v_fma_f64 v[20:21], v[20:21], v[40:41], v[54:55]
	v_fma_f64 v[18:19], v[18:19], v[40:41], -v[42:43]
	v_add_f64 v[38:39], v[38:39], v[60:61]
	v_add_f64 v[40:41], v[48:49], v[52:53]
	v_fma_f64 v[48:49], v[8:9], v[44:45], v[56:57]
	v_fma_f64 v[44:45], v[6:7], v[44:45], -v[46:47]
	s_waitcnt vmcnt(4) lgkmcnt(0)
	v_mul_f64 v[42:43], v[10:11], v[32:33]
	v_mul_f64 v[32:33], v[12:13], v[32:33]
	v_add_f64 v[38:39], v[38:39], v[18:19]
	v_add_f64 v[40:41], v[40:41], v[20:21]
	ds_load_b128 v[6:9], v1 offset:1984
	ds_load_b128 v[18:21], v1 offset:2000
	v_fma_f64 v[12:13], v[12:13], v[30:31], v[42:43]
	v_fma_f64 v[10:11], v[10:11], v[30:31], -v[32:33]
	s_waitcnt vmcnt(3) lgkmcnt(1)
	v_mul_f64 v[46:47], v[6:7], v[36:37]
	v_mul_f64 v[36:37], v[8:9], v[36:37]
	v_add_f64 v[30:31], v[38:39], v[44:45]
	s_waitcnt vmcnt(2) lgkmcnt(0)
	v_mul_f64 v[38:39], v[18:19], v[24:25]
	v_add_f64 v[32:33], v[40:41], v[48:49]
	v_mul_f64 v[24:25], v[20:21], v[24:25]
	v_fma_f64 v[40:41], v[8:9], v[34:35], v[46:47]
	v_fma_f64 v[34:35], v[6:7], v[34:35], -v[36:37]
	v_add_f64 v[30:31], v[30:31], v[10:11]
	v_fma_f64 v[20:21], v[20:21], v[22:23], v[38:39]
	v_add_f64 v[32:33], v[32:33], v[12:13]
	ds_load_b128 v[6:9], v1 offset:2016
	ds_load_b128 v[10:13], v1 offset:2032
	v_fma_f64 v[18:19], v[18:19], v[22:23], -v[24:25]
	s_waitcnt vmcnt(1) lgkmcnt(1)
	v_mul_f64 v[36:37], v[6:7], v[28:29]
	v_mul_f64 v[28:29], v[8:9], v[28:29]
	v_add_f64 v[22:23], v[30:31], v[34:35]
	s_waitcnt vmcnt(0) lgkmcnt(0)
	v_mul_f64 v[30:31], v[10:11], v[16:17]
	v_add_f64 v[24:25], v[32:33], v[40:41]
	v_mul_f64 v[16:17], v[12:13], v[16:17]
	v_fma_f64 v[8:9], v[8:9], v[26:27], v[36:37]
	v_fma_f64 v[6:7], v[6:7], v[26:27], -v[28:29]
	v_add_f64 v[18:19], v[22:23], v[18:19]
	v_fma_f64 v[12:13], v[12:13], v[14:15], v[30:31]
	v_add_f64 v[20:21], v[24:25], v[20:21]
	v_fma_f64 v[10:11], v[10:11], v[14:15], -v[16:17]
	s_delay_alu instid0(VALU_DEP_4) | instskip(NEXT) | instid1(VALU_DEP_3)
	v_add_f64 v[6:7], v[18:19], v[6:7]
	v_add_f64 v[8:9], v[20:21], v[8:9]
	s_delay_alu instid0(VALU_DEP_2) | instskip(NEXT) | instid1(VALU_DEP_2)
	v_add_f64 v[6:7], v[6:7], v[10:11]
	v_add_f64 v[8:9], v[8:9], v[12:13]
	s_delay_alu instid0(VALU_DEP_2) | instskip(NEXT) | instid1(VALU_DEP_2)
	v_add_f64 v[1:2], v[2:3], -v[6:7]
	v_add_f64 v[3:4], v[4:5], -v[8:9]
	scratch_store_b128 off, v[1:4], off offset:112
	v_cmpx_lt_u32_e32 6, v178
	s_cbranch_execz .LBB63_396
; %bb.395:
	scratch_load_b32 v1, off, off offset:1180 ; 4-byte Folded Reload
	v_mov_b32_e32 v5, 0
	s_delay_alu instid0(VALU_DEP_1)
	v_mov_b32_e32 v6, v5
	v_mov_b32_e32 v7, v5
	;; [unrolled: 1-line block ×3, first 2 shown]
	s_waitcnt vmcnt(0)
	scratch_load_b128 v[1:4], v1, off
	scratch_store_b128 off, v[5:8], off offset:96
	s_waitcnt vmcnt(0)
	ds_store_b128 v242, v[1:4]
.LBB63_396:
	s_or_b32 exec_lo, exec_lo, s2
	s_waitcnt lgkmcnt(0)
	s_waitcnt_vscnt null, 0x0
	s_barrier
	buffer_gl0_inv
	s_clause 0x7
	scratch_load_b128 v[34:37], off, off offset:112
	scratch_load_b128 v[38:41], off, off offset:128
	;; [unrolled: 1-line block ×8, first 2 shown]
	v_mov_b32_e32 v1, 0
	s_mov_b32 s2, exec_lo
	ds_load_b128 v[46:49], v1 offset:1136
	s_clause 0x2
	scratch_load_b128 v[14:17], off, off offset:240
	scratch_load_b128 v[2:5], off, off offset:96
	;; [unrolled: 1-line block ×3, first 2 shown]
	ds_load_b128 v[42:45], v1 offset:1152
	ds_load_b128 v[243:246], v1 offset:1184
	;; [unrolled: 1-line block ×3, first 2 shown]
	s_waitcnt vmcnt(10) lgkmcnt(3)
	v_mul_f64 v[52:53], v[48:49], v[36:37]
	v_mul_f64 v[36:37], v[46:47], v[36:37]
	s_delay_alu instid0(VALU_DEP_2) | instskip(NEXT) | instid1(VALU_DEP_2)
	v_fma_f64 v[52:53], v[46:47], v[34:35], -v[52:53]
	v_fma_f64 v[56:57], v[48:49], v[34:35], v[36:37]
	ds_load_b128 v[34:37], v1 offset:1168
	s_waitcnt vmcnt(9) lgkmcnt(3)
	v_mul_f64 v[54:55], v[42:43], v[40:41]
	v_mul_f64 v[40:41], v[44:45], v[40:41]
	scratch_load_b128 v[46:49], off, off offset:272
	s_waitcnt vmcnt(9) lgkmcnt(0)
	v_mul_f64 v[58:59], v[34:35], v[32:33]
	v_mul_f64 v[32:33], v[36:37], v[32:33]
	v_add_f64 v[52:53], v[52:53], 0
	v_fma_f64 v[44:45], v[44:45], v[38:39], v[54:55]
	v_fma_f64 v[42:43], v[42:43], v[38:39], -v[40:41]
	v_add_f64 v[54:55], v[56:57], 0
	scratch_load_b128 v[38:41], off, off offset:288
	v_fma_f64 v[36:37], v[36:37], v[30:31], v[58:59]
	v_fma_f64 v[58:59], v[34:35], v[30:31], -v[32:33]
	scratch_load_b128 v[32:35], off, off offset:304
	v_add_f64 v[52:53], v[52:53], v[42:43]
	v_add_f64 v[54:55], v[54:55], v[44:45]
	ds_load_b128 v[42:45], v1 offset:1216
	s_waitcnt vmcnt(10)
	v_mul_f64 v[56:57], v[243:244], v[28:29]
	v_mul_f64 v[60:61], v[245:246], v[28:29]
	ds_load_b128 v[28:31], v1 offset:1200
	v_add_f64 v[52:53], v[52:53], v[58:59]
	v_add_f64 v[36:37], v[54:55], v[36:37]
	s_waitcnt vmcnt(8) lgkmcnt(1)
	v_mul_f64 v[54:55], v[42:43], v[20:21]
	v_fma_f64 v[56:57], v[245:246], v[26:27], v[56:57]
	v_fma_f64 v[60:61], v[243:244], v[26:27], -v[60:61]
	ds_load_b128 v[243:246], v1 offset:1248
	s_waitcnt lgkmcnt(1)
	v_mul_f64 v[62:63], v[28:29], v[24:25]
	v_mul_f64 v[64:65], v[30:31], v[24:25]
	scratch_load_b128 v[24:27], off, off offset:320
	v_mul_f64 v[58:59], v[44:45], v[20:21]
	v_fma_f64 v[54:55], v[44:45], v[18:19], v[54:55]
	v_add_f64 v[36:37], v[36:37], v[56:57]
	v_add_f64 v[52:53], v[52:53], v[60:61]
	s_waitcnt vmcnt(7) lgkmcnt(0)
	v_mul_f64 v[60:61], v[245:246], v[8:9]
	v_fma_f64 v[62:63], v[30:31], v[22:23], v[62:63]
	v_fma_f64 v[64:65], v[28:29], v[22:23], -v[64:65]
	scratch_load_b128 v[28:31], off, off offset:336
	ds_load_b128 v[20:23], v1 offset:1232
	v_fma_f64 v[18:19], v[42:43], v[18:19], -v[58:59]
	v_mul_f64 v[58:59], v[243:244], v[8:9]
	scratch_load_b128 v[42:45], off, off offset:352
	s_waitcnt lgkmcnt(0)
	v_mul_f64 v[56:57], v[20:21], v[12:13]
	v_mul_f64 v[12:13], v[22:23], v[12:13]
	v_add_f64 v[36:37], v[36:37], v[62:63]
	v_add_f64 v[52:53], v[52:53], v[64:65]
	s_delay_alu instid0(VALU_DEP_4) | instskip(NEXT) | instid1(VALU_DEP_4)
	v_fma_f64 v[22:23], v[22:23], v[10:11], v[56:57]
	v_fma_f64 v[12:13], v[20:21], v[10:11], -v[12:13]
	ds_load_b128 v[8:11], v1 offset:1264
	v_fma_f64 v[56:57], v[245:246], v[6:7], v[58:59]
	v_fma_f64 v[6:7], v[243:244], v[6:7], -v[60:61]
	scratch_load_b128 v[243:246], off, off offset:384
	v_add_f64 v[36:37], v[36:37], v[54:55]
	v_add_f64 v[52:53], v[52:53], v[18:19]
	scratch_load_b128 v[18:21], off, off offset:368
	v_add_f64 v[22:23], v[36:37], v[22:23]
	v_add_f64 v[12:13], v[52:53], v[12:13]
	s_waitcnt vmcnt(8)
	v_mul_f64 v[36:37], v[247:248], v[181:182]
	v_mul_f64 v[52:53], v[249:250], v[181:182]
	s_delay_alu instid0(VALU_DEP_4) | instskip(NEXT) | instid1(VALU_DEP_4)
	v_add_f64 v[22:23], v[22:23], v[56:57]
	v_add_f64 v[60:61], v[12:13], v[6:7]
	s_delay_alu instid0(VALU_DEP_4) | instskip(NEXT) | instid1(VALU_DEP_4)
	v_fma_f64 v[36:37], v[249:250], v[179:180], v[36:37]
	v_fma_f64 v[52:53], v[247:248], v[179:180], -v[52:53]
	ds_load_b128 v[247:250], v1 offset:1344
	s_waitcnt lgkmcnt(1)
	v_mul_f64 v[54:55], v[8:9], v[16:17]
	v_mul_f64 v[16:17], v[10:11], v[16:17]
	scratch_load_b128 v[179:182], off, off offset:416
	v_fma_f64 v[54:55], v[10:11], v[14:15], v[54:55]
	v_fma_f64 v[58:59], v[8:9], v[14:15], -v[16:17]
	ds_load_b128 v[6:9], v1 offset:1296
	ds_load_b128 v[14:17], v1 offset:1312
	scratch_load_b128 v[10:13], off, off offset:400
	s_waitcnt vmcnt(9) lgkmcnt(1)
	v_mul_f64 v[56:57], v[6:7], v[48:49]
	v_mul_f64 v[48:49], v[8:9], v[48:49]
	v_add_f64 v[22:23], v[22:23], v[54:55]
	v_add_f64 v[58:59], v[60:61], v[58:59]
	s_waitcnt vmcnt(8) lgkmcnt(0)
	v_mul_f64 v[54:55], v[14:15], v[40:41]
	v_mul_f64 v[40:41], v[16:17], v[40:41]
	v_fma_f64 v[56:57], v[8:9], v[46:47], v[56:57]
	v_fma_f64 v[60:61], v[6:7], v[46:47], -v[48:49]
	ds_load_b128 v[6:9], v1 offset:1328
	scratch_load_b128 v[46:49], off, off offset:432
	v_add_f64 v[22:23], v[22:23], v[36:37]
	v_add_f64 v[52:53], v[58:59], v[52:53]
	v_fma_f64 v[54:55], v[16:17], v[38:39], v[54:55]
	v_fma_f64 v[38:39], v[14:15], v[38:39], -v[40:41]
	scratch_load_b128 v[14:17], off, off offset:448
	v_add_f64 v[22:23], v[22:23], v[56:57]
	v_add_f64 v[40:41], v[52:53], v[60:61]
	s_waitcnt vmcnt(8)
	v_mul_f64 v[52:53], v[247:248], v[26:27]
	v_mul_f64 v[26:27], v[249:250], v[26:27]
	s_delay_alu instid0(VALU_DEP_4) | instskip(NEXT) | instid1(VALU_DEP_4)
	v_add_f64 v[22:23], v[22:23], v[54:55]
	v_add_f64 v[40:41], v[40:41], v[38:39]
	s_delay_alu instid0(VALU_DEP_4) | instskip(NEXT) | instid1(VALU_DEP_4)
	v_fma_f64 v[52:53], v[249:250], v[24:25], v[52:53]
	v_fma_f64 v[26:27], v[247:248], v[24:25], -v[26:27]
	ds_load_b128 v[247:250], v1 offset:1408
	s_waitcnt lgkmcnt(1)
	v_mul_f64 v[36:37], v[6:7], v[34:35]
	v_mul_f64 v[34:35], v[8:9], v[34:35]
	s_delay_alu instid0(VALU_DEP_2) | instskip(NEXT) | instid1(VALU_DEP_2)
	v_fma_f64 v[56:57], v[8:9], v[32:33], v[36:37]
	v_fma_f64 v[58:59], v[6:7], v[32:33], -v[34:35]
	scratch_load_b128 v[32:35], off, off offset:464
	ds_load_b128 v[6:9], v1 offset:1360
	ds_load_b128 v[36:39], v1 offset:1376
	s_waitcnt vmcnt(8) lgkmcnt(1)
	v_mul_f64 v[54:55], v[6:7], v[30:31]
	v_mul_f64 v[30:31], v[8:9], v[30:31]
	v_add_f64 v[56:57], v[22:23], v[56:57]
	v_add_f64 v[40:41], v[40:41], v[58:59]
	s_waitcnt vmcnt(7) lgkmcnt(0)
	v_mul_f64 v[58:59], v[36:37], v[44:45]
	v_mul_f64 v[44:45], v[38:39], v[44:45]
	scratch_load_b128 v[22:25], off, off offset:480
	v_fma_f64 v[54:55], v[8:9], v[28:29], v[54:55]
	v_fma_f64 v[30:31], v[6:7], v[28:29], -v[30:31]
	ds_load_b128 v[6:9], v1 offset:1392
	v_add_f64 v[52:53], v[56:57], v[52:53]
	v_add_f64 v[40:41], v[40:41], v[26:27]
	v_fma_f64 v[58:59], v[38:39], v[42:43], v[58:59]
	v_fma_f64 v[42:43], v[36:37], v[42:43], -v[44:45]
	s_clause 0x1
	scratch_load_b128 v[26:29], off, off offset:496
	scratch_load_b128 v[36:39], off, off offset:512
	s_waitcnt vmcnt(9)
	v_mul_f64 v[44:45], v[247:248], v[245:246]
	v_add_f64 v[30:31], v[40:41], v[30:31]
	v_add_f64 v[40:41], v[52:53], v[54:55]
	v_mul_f64 v[52:53], v[249:250], v[245:246]
	s_delay_alu instid0(VALU_DEP_4) | instskip(NEXT) | instid1(VALU_DEP_4)
	v_fma_f64 v[44:45], v[249:250], v[243:244], v[44:45]
	v_add_f64 v[30:31], v[30:31], v[42:43]
	s_delay_alu instid0(VALU_DEP_4)
	v_add_f64 v[58:59], v[40:41], v[58:59]
	ds_load_b128 v[40:43], v1 offset:1440
	s_waitcnt vmcnt(8) lgkmcnt(1)
	v_mul_f64 v[56:57], v[6:7], v[20:21]
	v_mul_f64 v[20:21], v[8:9], v[20:21]
	v_fma_f64 v[52:53], v[247:248], v[243:244], -v[52:53]
	scratch_load_b128 v[243:246], off, off offset:544
	ds_load_b128 v[247:250], v1 offset:1472
	v_fma_f64 v[54:55], v[8:9], v[18:19], v[56:57]
	v_fma_f64 v[56:57], v[6:7], v[18:19], -v[20:21]
	ds_load_b128 v[6:9], v1 offset:1424
	scratch_load_b128 v[18:21], off, off offset:528
	s_waitcnt vmcnt(8) lgkmcnt(0)
	v_mul_f64 v[60:61], v[6:7], v[12:13]
	v_mul_f64 v[12:13], v[8:9], v[12:13]
	v_add_f64 v[54:55], v[58:59], v[54:55]
	v_add_f64 v[30:31], v[30:31], v[56:57]
	v_mul_f64 v[56:57], v[40:41], v[181:182]
	v_mul_f64 v[58:59], v[42:43], v[181:182]
	v_fma_f64 v[60:61], v[8:9], v[10:11], v[60:61]
	v_fma_f64 v[62:63], v[6:7], v[10:11], -v[12:13]
	ds_load_b128 v[6:9], v1 offset:1456
	scratch_load_b128 v[10:13], off, off offset:560
	v_add_f64 v[44:45], v[54:55], v[44:45]
	v_add_f64 v[30:31], v[30:31], v[52:53]
	v_fma_f64 v[54:55], v[42:43], v[179:180], v[56:57]
	v_fma_f64 v[56:57], v[40:41], v[179:180], -v[58:59]
	ds_load_b128 v[179:182], v1 offset:1504
	scratch_load_b128 v[40:43], off, off offset:576
	s_waitcnt vmcnt(9) lgkmcnt(1)
	v_mul_f64 v[52:53], v[6:7], v[48:49]
	v_mul_f64 v[48:49], v[8:9], v[48:49]
	s_waitcnt vmcnt(8)
	v_mul_f64 v[58:59], v[247:248], v[16:17]
	v_mul_f64 v[16:17], v[249:250], v[16:17]
	v_add_f64 v[44:45], v[44:45], v[60:61]
	v_add_f64 v[30:31], v[30:31], v[62:63]
	v_fma_f64 v[52:53], v[8:9], v[46:47], v[52:53]
	v_fma_f64 v[48:49], v[6:7], v[46:47], -v[48:49]
	ds_load_b128 v[6:9], v1 offset:1488
	v_fma_f64 v[58:59], v[249:250], v[14:15], v[58:59]
	v_fma_f64 v[60:61], v[247:248], v[14:15], -v[16:17]
	ds_load_b128 v[247:250], v1 offset:1536
	scratch_load_b128 v[14:17], off, off offset:608
	v_add_f64 v[54:55], v[44:45], v[54:55]
	v_add_f64 v[30:31], v[30:31], v[56:57]
	scratch_load_b128 v[44:47], off, off offset:592
	s_waitcnt vmcnt(9) lgkmcnt(1)
	v_mul_f64 v[56:57], v[6:7], v[34:35]
	v_mul_f64 v[34:35], v[8:9], v[34:35]
	v_add_f64 v[30:31], v[30:31], v[48:49]
	v_add_f64 v[48:49], v[54:55], v[52:53]
	s_waitcnt vmcnt(8)
	v_mul_f64 v[52:53], v[179:180], v[24:25]
	v_mul_f64 v[24:25], v[181:182], v[24:25]
	v_fma_f64 v[54:55], v[8:9], v[32:33], v[56:57]
	v_fma_f64 v[34:35], v[6:7], v[32:33], -v[34:35]
	ds_load_b128 v[6:9], v1 offset:1520
	v_add_f64 v[56:57], v[30:31], v[60:61]
	v_add_f64 v[48:49], v[48:49], v[58:59]
	scratch_load_b128 v[30:33], off, off offset:624
	v_fma_f64 v[52:53], v[181:182], v[22:23], v[52:53]
	v_fma_f64 v[60:61], v[179:180], v[22:23], -v[24:25]
	ds_load_b128 v[179:182], v1 offset:1568
	s_waitcnt vmcnt(8) lgkmcnt(1)
	v_mul_f64 v[58:59], v[6:7], v[28:29]
	v_mul_f64 v[28:29], v[8:9], v[28:29]
	scratch_load_b128 v[22:25], off, off offset:640
	v_add_f64 v[34:35], v[56:57], v[34:35]
	v_add_f64 v[48:49], v[48:49], v[54:55]
	s_waitcnt vmcnt(8)
	v_mul_f64 v[54:55], v[247:248], v[38:39]
	v_mul_f64 v[38:39], v[249:250], v[38:39]
	v_fma_f64 v[56:57], v[8:9], v[26:27], v[58:59]
	v_fma_f64 v[58:59], v[6:7], v[26:27], -v[28:29]
	scratch_load_b128 v[26:29], off, off offset:656
	ds_load_b128 v[6:9], v1 offset:1552
	v_add_f64 v[34:35], v[34:35], v[60:61]
	v_add_f64 v[48:49], v[48:49], v[52:53]
	v_fma_f64 v[54:55], v[249:250], v[36:37], v[54:55]
	v_fma_f64 v[38:39], v[247:248], v[36:37], -v[38:39]
	s_waitcnt vmcnt(8) lgkmcnt(1)
	v_mul_f64 v[60:61], v[181:182], v[245:246]
	ds_load_b128 v[249:252], v1 offset:1632
	v_add_f64 v[58:59], v[34:35], v[58:59]
	v_add_f64 v[48:49], v[48:49], v[56:57]
	v_mul_f64 v[56:57], v[179:180], v[245:246]
	ds_load_b128 v[245:248], v1 offset:1600
	s_waitcnt vmcnt(7) lgkmcnt(2)
	v_mul_f64 v[52:53], v[6:7], v[20:21]
	v_mul_f64 v[20:21], v[8:9], v[20:21]
	scratch_load_b128 v[34:37], off, off offset:672
	v_add_f64 v[38:39], v[58:59], v[38:39]
	v_add_f64 v[48:49], v[48:49], v[54:55]
	v_fma_f64 v[56:57], v[181:182], v[243:244], v[56:57]
	v_fma_f64 v[58:59], v[179:180], v[243:244], -v[60:61]
	v_fma_f64 v[52:53], v[8:9], v[18:19], v[52:53]
	v_fma_f64 v[62:63], v[6:7], v[18:19], -v[20:21]
	scratch_load_b128 v[18:21], off, off offset:688
	ds_load_b128 v[6:9], v1 offset:1584
	scratch_load_b128 v[179:182], off, off offset:704
	s_waitcnt vmcnt(9) lgkmcnt(0)
	v_mul_f64 v[54:55], v[6:7], v[12:13]
	v_mul_f64 v[12:13], v[8:9], v[12:13]
	v_add_f64 v[48:49], v[48:49], v[52:53]
	v_add_f64 v[38:39], v[38:39], v[62:63]
	s_waitcnt vmcnt(8)
	v_mul_f64 v[52:53], v[245:246], v[42:43]
	v_mul_f64 v[42:43], v[247:248], v[42:43]
	v_fma_f64 v[54:55], v[8:9], v[10:11], v[54:55]
	v_fma_f64 v[60:61], v[6:7], v[10:11], -v[12:13]
	scratch_load_b128 v[10:13], off, off offset:720
	ds_load_b128 v[6:9], v1 offset:1616
	v_add_f64 v[48:49], v[48:49], v[56:57]
	v_add_f64 v[38:39], v[38:39], v[58:59]
	v_fma_f64 v[52:53], v[247:248], v[40:41], v[52:53]
	v_fma_f64 v[42:43], v[245:246], v[40:41], -v[42:43]
	ds_load_b128 v[243:246], v1 offset:1696
	s_waitcnt vmcnt(7) lgkmcnt(1)
	v_mul_f64 v[56:57], v[6:7], v[46:47]
	v_mul_f64 v[46:47], v[8:9], v[46:47]
	v_add_f64 v[48:49], v[48:49], v[54:55]
	v_add_f64 v[58:59], v[38:39], v[60:61]
	v_mul_f64 v[54:55], v[249:250], v[16:17]
	v_mul_f64 v[16:17], v[251:252], v[16:17]
	scratch_load_b128 v[38:41], off, off offset:736
	v_fma_f64 v[56:57], v[8:9], v[44:45], v[56:57]
	v_fma_f64 v[60:61], v[6:7], v[44:45], -v[46:47]
	ds_load_b128 v[6:9], v1 offset:1648
	v_add_f64 v[52:53], v[48:49], v[52:53]
	ds_load_b128 v[46:49], v1 offset:1664
	v_add_f64 v[58:59], v[58:59], v[42:43]
	v_fma_f64 v[54:55], v[251:252], v[14:15], v[54:55]
	v_fma_f64 v[64:65], v[249:250], v[14:15], -v[16:17]
	s_clause 0x1
	scratch_load_b128 v[42:45], off, off offset:752
	scratch_load_b128 v[14:17], off, off offset:768
	s_waitcnt vmcnt(9) lgkmcnt(1)
	v_mul_f64 v[62:63], v[6:7], v[32:33]
	v_mul_f64 v[32:33], v[8:9], v[32:33]
	v_add_f64 v[52:53], v[52:53], v[56:57]
	s_waitcnt vmcnt(8) lgkmcnt(0)
	v_mul_f64 v[56:57], v[46:47], v[24:25]
	v_add_f64 v[58:59], v[58:59], v[60:61]
	v_mul_f64 v[24:25], v[48:49], v[24:25]
	v_fma_f64 v[60:61], v[8:9], v[30:31], v[62:63]
	v_fma_f64 v[62:63], v[6:7], v[30:31], -v[32:33]
	scratch_load_b128 v[30:33], off, off offset:784
	ds_load_b128 v[6:9], v1 offset:1680
	v_add_f64 v[52:53], v[52:53], v[54:55]
	v_fma_f64 v[48:49], v[48:49], v[22:23], v[56:57]
	v_add_f64 v[58:59], v[58:59], v[64:65]
	v_fma_f64 v[46:47], v[46:47], v[22:23], -v[24:25]
	scratch_load_b128 v[22:25], off, off offset:800
	v_add_f64 v[52:53], v[52:53], v[60:61]
	v_add_f64 v[56:57], v[58:59], v[62:63]
	s_waitcnt vmcnt(8)
	v_mul_f64 v[58:59], v[243:244], v[36:37]
	v_mul_f64 v[36:37], v[245:246], v[36:37]
	s_delay_alu instid0(VALU_DEP_4) | instskip(NEXT) | instid1(VALU_DEP_4)
	v_add_f64 v[52:53], v[52:53], v[48:49]
	v_add_f64 v[56:57], v[56:57], v[46:47]
	ds_load_b128 v[46:49], v1 offset:1728
	s_waitcnt lgkmcnt(1)
	v_mul_f64 v[54:55], v[6:7], v[28:29]
	v_mul_f64 v[28:29], v[8:9], v[28:29]
	v_fma_f64 v[58:59], v[245:246], v[34:35], v[58:59]
	v_fma_f64 v[64:65], v[243:244], v[34:35], -v[36:37]
	ds_load_b128 v[243:246], v1 offset:1760
	scratch_load_b128 v[34:37], off, off offset:832
	v_fma_f64 v[54:55], v[8:9], v[26:27], v[54:55]
	v_fma_f64 v[60:61], v[6:7], v[26:27], -v[28:29]
	ds_load_b128 v[6:9], v1 offset:1712
	scratch_load_b128 v[26:29], off, off offset:816
	s_waitcnt vmcnt(9) lgkmcnt(0)
	v_mul_f64 v[62:63], v[6:7], v[20:21]
	v_mul_f64 v[20:21], v[8:9], v[20:21]
	v_add_f64 v[52:53], v[52:53], v[54:55]
	v_add_f64 v[56:57], v[56:57], v[60:61]
	s_waitcnt vmcnt(8)
	v_mul_f64 v[54:55], v[46:47], v[181:182]
	v_mul_f64 v[60:61], v[48:49], v[181:182]
	v_fma_f64 v[62:63], v[8:9], v[18:19], v[62:63]
	v_fma_f64 v[66:67], v[6:7], v[18:19], -v[20:21]
	ds_load_b128 v[6:9], v1 offset:1744
	scratch_load_b128 v[18:21], off, off offset:848
	v_add_f64 v[52:53], v[52:53], v[58:59]
	v_add_f64 v[56:57], v[56:57], v[64:65]
	v_fma_f64 v[54:55], v[48:49], v[179:180], v[54:55]
	v_fma_f64 v[60:61], v[46:47], v[179:180], -v[60:61]
	ds_load_b128 v[179:182], v1 offset:1792
	scratch_load_b128 v[46:49], off, off offset:864
	s_waitcnt vmcnt(9) lgkmcnt(1)
	v_mul_f64 v[58:59], v[6:7], v[12:13]
	v_mul_f64 v[12:13], v[8:9], v[12:13]
	v_add_f64 v[52:53], v[52:53], v[62:63]
	v_add_f64 v[56:57], v[56:57], v[66:67]
	s_waitcnt vmcnt(8)
	v_mul_f64 v[62:63], v[243:244], v[40:41]
	v_mul_f64 v[40:41], v[245:246], v[40:41]
	v_fma_f64 v[58:59], v[8:9], v[10:11], v[58:59]
	v_fma_f64 v[64:65], v[6:7], v[10:11], -v[12:13]
	scratch_load_b128 v[10:13], off, off offset:880
	ds_load_b128 v[6:9], v1 offset:1776
	v_add_f64 v[52:53], v[52:53], v[54:55]
	v_add_f64 v[56:57], v[56:57], v[60:61]
	v_fma_f64 v[60:61], v[245:246], v[38:39], v[62:63]
	v_fma_f64 v[62:63], v[243:244], v[38:39], -v[40:41]
	ds_load_b128 v[243:246], v1 offset:1824
	s_waitcnt vmcnt(8) lgkmcnt(1)
	v_mul_f64 v[54:55], v[6:7], v[44:45]
	v_mul_f64 v[44:45], v[8:9], v[44:45]
	scratch_load_b128 v[38:41], off, off offset:896
	v_add_f64 v[52:53], v[52:53], v[58:59]
	v_add_f64 v[56:57], v[56:57], v[64:65]
	s_waitcnt vmcnt(8)
	v_mul_f64 v[58:59], v[179:180], v[16:17]
	v_mul_f64 v[16:17], v[181:182], v[16:17]
	v_fma_f64 v[54:55], v[8:9], v[42:43], v[54:55]
	v_fma_f64 v[64:65], v[6:7], v[42:43], -v[44:45]
	scratch_load_b128 v[42:45], off, off offset:912
	ds_load_b128 v[6:9], v1 offset:1808
	v_add_f64 v[52:53], v[52:53], v[60:61]
	v_add_f64 v[56:57], v[56:57], v[62:63]
	v_fma_f64 v[58:59], v[181:182], v[14:15], v[58:59]
	v_fma_f64 v[62:63], v[179:180], v[14:15], -v[16:17]
	ds_load_b128 v[179:182], v1 offset:1856
	s_waitcnt vmcnt(8) lgkmcnt(1)
	v_mul_f64 v[60:61], v[6:7], v[32:33]
	v_mul_f64 v[32:33], v[8:9], v[32:33]
	scratch_load_b128 v[14:17], off, off offset:928
	v_add_f64 v[52:53], v[52:53], v[54:55]
	v_add_f64 v[56:57], v[56:57], v[64:65]
	s_waitcnt vmcnt(8)
	v_mul_f64 v[54:55], v[243:244], v[24:25]
	v_mul_f64 v[24:25], v[245:246], v[24:25]
	v_fma_f64 v[60:61], v[8:9], v[30:31], v[60:61]
	v_fma_f64 v[64:65], v[6:7], v[30:31], -v[32:33]
	scratch_load_b128 v[30:33], off, off offset:944
	ds_load_b128 v[6:9], v1 offset:1840
	v_add_f64 v[52:53], v[52:53], v[58:59]
	v_add_f64 v[56:57], v[56:57], v[62:63]
	v_fma_f64 v[54:55], v[245:246], v[22:23], v[54:55]
	v_fma_f64 v[62:63], v[243:244], v[22:23], -v[24:25]
	ds_load_b128 v[243:246], v1 offset:1888
	scratch_load_b128 v[22:25], off, off offset:960
	s_waitcnt vmcnt(8) lgkmcnt(1)
	v_mul_f64 v[58:59], v[6:7], v[28:29]
	v_mul_f64 v[28:29], v[8:9], v[28:29]
	v_add_f64 v[52:53], v[52:53], v[60:61]
	v_add_f64 v[56:57], v[56:57], v[64:65]
	v_mul_f64 v[60:61], v[179:180], v[36:37]
	v_mul_f64 v[36:37], v[181:182], v[36:37]
	v_fma_f64 v[58:59], v[8:9], v[26:27], v[58:59]
	v_fma_f64 v[64:65], v[6:7], v[26:27], -v[28:29]
	scratch_load_b128 v[26:29], off, off offset:976
	ds_load_b128 v[6:9], v1 offset:1872
	v_add_f64 v[52:53], v[52:53], v[54:55]
	v_add_f64 v[56:57], v[56:57], v[62:63]
	v_fma_f64 v[60:61], v[181:182], v[34:35], v[60:61]
	v_fma_f64 v[62:63], v[179:180], v[34:35], -v[36:37]
	ds_load_b128 v[179:182], v1 offset:1920
	s_waitcnt vmcnt(8) lgkmcnt(1)
	v_mul_f64 v[54:55], v[6:7], v[20:21]
	v_mul_f64 v[20:21], v[8:9], v[20:21]
	scratch_load_b128 v[34:37], off, off offset:992
	v_add_f64 v[52:53], v[52:53], v[58:59]
	v_add_f64 v[56:57], v[56:57], v[64:65]
	s_waitcnt vmcnt(8)
	v_mul_f64 v[58:59], v[243:244], v[48:49]
	v_mul_f64 v[48:49], v[245:246], v[48:49]
	v_fma_f64 v[54:55], v[8:9], v[18:19], v[54:55]
	v_fma_f64 v[64:65], v[6:7], v[18:19], -v[20:21]
	scratch_load_b128 v[18:21], off, off offset:1008
	ds_load_b128 v[6:9], v1 offset:1904
	v_add_f64 v[52:53], v[52:53], v[60:61]
	v_add_f64 v[56:57], v[56:57], v[62:63]
	s_waitcnt vmcnt(8) lgkmcnt(0)
	v_mul_f64 v[60:61], v[6:7], v[12:13]
	v_mul_f64 v[12:13], v[8:9], v[12:13]
	v_fma_f64 v[58:59], v[245:246], v[46:47], v[58:59]
	v_fma_f64 v[46:47], v[243:244], v[46:47], -v[48:49]
	v_add_f64 v[52:53], v[52:53], v[54:55]
	v_add_f64 v[48:49], v[56:57], v[64:65]
	s_waitcnt vmcnt(7)
	v_mul_f64 v[54:55], v[179:180], v[40:41]
	v_mul_f64 v[40:41], v[181:182], v[40:41]
	v_fma_f64 v[56:57], v[8:9], v[10:11], v[60:61]
	v_fma_f64 v[60:61], v[6:7], v[10:11], -v[12:13]
	ds_load_b128 v[6:9], v1 offset:1936
	ds_load_b128 v[10:13], v1 offset:1952
	v_add_f64 v[46:47], v[48:49], v[46:47]
	v_add_f64 v[48:49], v[52:53], v[58:59]
	s_waitcnt vmcnt(6) lgkmcnt(1)
	v_mul_f64 v[52:53], v[6:7], v[44:45]
	v_mul_f64 v[44:45], v[8:9], v[44:45]
	v_fma_f64 v[54:55], v[181:182], v[38:39], v[54:55]
	v_fma_f64 v[38:39], v[179:180], v[38:39], -v[40:41]
	v_add_f64 v[40:41], v[46:47], v[60:61]
	v_add_f64 v[46:47], v[48:49], v[56:57]
	s_waitcnt vmcnt(5) lgkmcnt(0)
	v_mul_f64 v[48:49], v[10:11], v[16:17]
	v_mul_f64 v[16:17], v[12:13], v[16:17]
	v_fma_f64 v[52:53], v[8:9], v[42:43], v[52:53]
	v_fma_f64 v[42:43], v[6:7], v[42:43], -v[44:45]
	v_add_f64 v[44:45], v[40:41], v[38:39]
	v_add_f64 v[46:47], v[46:47], v[54:55]
	ds_load_b128 v[6:9], v1 offset:1968
	ds_load_b128 v[38:41], v1 offset:1984
	v_fma_f64 v[12:13], v[12:13], v[14:15], v[48:49]
	v_fma_f64 v[10:11], v[10:11], v[14:15], -v[16:17]
	s_waitcnt vmcnt(4) lgkmcnt(1)
	v_mul_f64 v[54:55], v[6:7], v[32:33]
	v_mul_f64 v[32:33], v[8:9], v[32:33]
	v_add_f64 v[14:15], v[44:45], v[42:43]
	v_add_f64 v[16:17], v[46:47], v[52:53]
	s_waitcnt vmcnt(3) lgkmcnt(0)
	v_mul_f64 v[42:43], v[38:39], v[24:25]
	v_mul_f64 v[24:25], v[40:41], v[24:25]
	v_fma_f64 v[44:45], v[8:9], v[30:31], v[54:55]
	v_fma_f64 v[30:31], v[6:7], v[30:31], -v[32:33]
	v_add_f64 v[14:15], v[14:15], v[10:11]
	v_add_f64 v[16:17], v[16:17], v[12:13]
	ds_load_b128 v[6:9], v1 offset:2000
	ds_load_b128 v[10:13], v1 offset:2016
	v_fma_f64 v[40:41], v[40:41], v[22:23], v[42:43]
	v_fma_f64 v[22:23], v[38:39], v[22:23], -v[24:25]
	s_waitcnt vmcnt(2) lgkmcnt(1)
	v_mul_f64 v[32:33], v[6:7], v[28:29]
	v_mul_f64 v[28:29], v[8:9], v[28:29]
	s_waitcnt vmcnt(1) lgkmcnt(0)
	v_mul_f64 v[24:25], v[10:11], v[36:37]
	v_add_f64 v[14:15], v[14:15], v[30:31]
	v_add_f64 v[16:17], v[16:17], v[44:45]
	v_mul_f64 v[30:31], v[12:13], v[36:37]
	v_fma_f64 v[32:33], v[8:9], v[26:27], v[32:33]
	v_fma_f64 v[26:27], v[6:7], v[26:27], -v[28:29]
	ds_load_b128 v[6:9], v1 offset:2032
	v_fma_f64 v[12:13], v[12:13], v[34:35], v[24:25]
	v_add_f64 v[14:15], v[14:15], v[22:23]
	v_add_f64 v[16:17], v[16:17], v[40:41]
	v_fma_f64 v[10:11], v[10:11], v[34:35], -v[30:31]
	s_waitcnt vmcnt(0) lgkmcnt(0)
	v_mul_f64 v[22:23], v[6:7], v[20:21]
	v_mul_f64 v[20:21], v[8:9], v[20:21]
	v_add_f64 v[14:15], v[14:15], v[26:27]
	v_add_f64 v[16:17], v[16:17], v[32:33]
	s_delay_alu instid0(VALU_DEP_4) | instskip(NEXT) | instid1(VALU_DEP_4)
	v_fma_f64 v[8:9], v[8:9], v[18:19], v[22:23]
	v_fma_f64 v[6:7], v[6:7], v[18:19], -v[20:21]
	s_delay_alu instid0(VALU_DEP_4) | instskip(NEXT) | instid1(VALU_DEP_4)
	v_add_f64 v[10:11], v[14:15], v[10:11]
	v_add_f64 v[12:13], v[16:17], v[12:13]
	s_delay_alu instid0(VALU_DEP_2) | instskip(NEXT) | instid1(VALU_DEP_2)
	v_add_f64 v[6:7], v[10:11], v[6:7]
	v_add_f64 v[8:9], v[12:13], v[8:9]
	s_delay_alu instid0(VALU_DEP_2) | instskip(NEXT) | instid1(VALU_DEP_2)
	v_add_f64 v[2:3], v[2:3], -v[6:7]
	v_add_f64 v[4:5], v[4:5], -v[8:9]
	scratch_store_b128 off, v[2:5], off offset:96
	v_cmpx_lt_u32_e32 5, v178
	s_cbranch_execz .LBB63_398
; %bb.397:
	scratch_load_b32 v2, off, off offset:1184 ; 4-byte Folded Reload
	v_mov_b32_e32 v3, v1
	v_mov_b32_e32 v4, v1
	s_waitcnt vmcnt(0)
	scratch_load_b128 v[5:8], v2, off
	v_mov_b32_e32 v2, v1
	scratch_store_b128 off, v[1:4], off offset:80
	s_waitcnt vmcnt(0)
	ds_store_b128 v242, v[5:8]
.LBB63_398:
	s_or_b32 exec_lo, exec_lo, s2
	s_waitcnt lgkmcnt(0)
	s_waitcnt_vscnt null, 0x0
	s_barrier
	buffer_gl0_inv
	s_clause 0x8
	scratch_load_b128 v[34:37], off, off offset:96
	scratch_load_b128 v[38:41], off, off offset:112
	;; [unrolled: 1-line block ×9, first 2 shown]
	ds_load_b128 v[46:49], v1 offset:1120
	ds_load_b128 v[42:45], v1 offset:1136
	s_clause 0x1
	scratch_load_b128 v[2:5], off, off offset:80
	scratch_load_b128 v[179:182], off, off offset:240
	s_mov_b32 s2, exec_lo
	ds_load_b128 v[243:246], v1 offset:1168
	ds_load_b128 v[247:250], v1 offset:1296
	s_waitcnt vmcnt(10) lgkmcnt(3)
	v_mul_f64 v[52:53], v[48:49], v[36:37]
	v_mul_f64 v[36:37], v[46:47], v[36:37]
	s_waitcnt vmcnt(9) lgkmcnt(2)
	v_mul_f64 v[54:55], v[42:43], v[40:41]
	v_mul_f64 v[40:41], v[44:45], v[40:41]
	s_waitcnt vmcnt(7) lgkmcnt(1)
	v_mul_f64 v[60:61], v[245:246], v[28:29]
	v_fma_f64 v[52:53], v[46:47], v[34:35], -v[52:53]
	v_fma_f64 v[56:57], v[48:49], v[34:35], v[36:37]
	ds_load_b128 v[34:37], v1 offset:1152
	scratch_load_b128 v[46:49], off, off offset:256
	v_fma_f64 v[44:45], v[44:45], v[38:39], v[54:55]
	v_fma_f64 v[42:43], v[42:43], v[38:39], -v[40:41]
	scratch_load_b128 v[38:41], off, off offset:272
	v_fma_f64 v[60:61], v[243:244], v[26:27], -v[60:61]
	s_waitcnt lgkmcnt(0)
	v_mul_f64 v[58:59], v[34:35], v[32:33]
	v_mul_f64 v[32:33], v[36:37], v[32:33]
	v_add_f64 v[52:53], v[52:53], 0
	v_add_f64 v[54:55], v[56:57], 0
	v_mul_f64 v[56:57], v[243:244], v[28:29]
	v_fma_f64 v[36:37], v[36:37], v[30:31], v[58:59]
	v_fma_f64 v[58:59], v[34:35], v[30:31], -v[32:33]
	ds_load_b128 v[28:31], v1 offset:1184
	scratch_load_b128 v[32:35], off, off offset:288
	v_add_f64 v[52:53], v[52:53], v[42:43]
	v_add_f64 v[54:55], v[54:55], v[44:45]
	ds_load_b128 v[42:45], v1 offset:1200
	v_fma_f64 v[56:57], v[245:246], v[26:27], v[56:57]
	ds_load_b128 v[243:246], v1 offset:1232
	s_waitcnt vmcnt(9) lgkmcnt(2)
	v_mul_f64 v[62:63], v[28:29], v[24:25]
	v_mul_f64 v[64:65], v[30:31], v[24:25]
	scratch_load_b128 v[24:27], off, off offset:304
	v_add_f64 v[52:53], v[52:53], v[58:59]
	v_add_f64 v[36:37], v[54:55], v[36:37]
	s_waitcnt vmcnt(9) lgkmcnt(1)
	v_mul_f64 v[54:55], v[42:43], v[20:21]
	v_mul_f64 v[58:59], v[44:45], v[20:21]
	v_fma_f64 v[62:63], v[30:31], v[22:23], v[62:63]
	v_fma_f64 v[64:65], v[28:29], v[22:23], -v[64:65]
	ds_load_b128 v[20:23], v1 offset:1216
	scratch_load_b128 v[28:31], off, off offset:320
	v_add_f64 v[52:53], v[52:53], v[60:61]
	v_add_f64 v[36:37], v[36:37], v[56:57]
	s_waitcnt vmcnt(9) lgkmcnt(0)
	v_mul_f64 v[56:57], v[20:21], v[16:17]
	v_mul_f64 v[60:61], v[22:23], v[16:17]
	v_fma_f64 v[44:45], v[44:45], v[18:19], v[54:55]
	v_fma_f64 v[42:43], v[42:43], v[18:19], -v[58:59]
	scratch_load_b128 v[16:19], off, off offset:336
	s_waitcnt vmcnt(9)
	v_mul_f64 v[54:55], v[243:244], v[12:13]
	v_mul_f64 v[58:59], v[245:246], v[12:13]
	v_add_f64 v[52:53], v[52:53], v[64:65]
	v_add_f64 v[36:37], v[36:37], v[62:63]
	v_fma_f64 v[56:57], v[22:23], v[14:15], v[56:57]
	v_fma_f64 v[60:61], v[20:21], v[14:15], -v[60:61]
	ds_load_b128 v[12:15], v1 offset:1248
	scratch_load_b128 v[20:23], off, off offset:352
	v_fma_f64 v[54:55], v[245:246], v[10:11], v[54:55]
	v_fma_f64 v[58:59], v[243:244], v[10:11], -v[58:59]
	scratch_load_b128 v[243:246], off, off offset:384
	v_add_f64 v[52:53], v[52:53], v[42:43]
	v_add_f64 v[36:37], v[36:37], v[44:45]
	ds_load_b128 v[42:45], v1 offset:1264
	s_waitcnt vmcnt(10) lgkmcnt(1)
	v_mul_f64 v[62:63], v[12:13], v[8:9]
	v_mul_f64 v[64:65], v[14:15], v[8:9]
	scratch_load_b128 v[8:11], off, off offset:368
	v_add_f64 v[52:53], v[52:53], v[60:61]
	v_add_f64 v[36:37], v[36:37], v[56:57]
	s_waitcnt vmcnt(9) lgkmcnt(0)
	v_mul_f64 v[56:57], v[42:43], v[181:182]
	v_mul_f64 v[60:61], v[44:45], v[181:182]
	v_fma_f64 v[62:63], v[14:15], v[6:7], v[62:63]
	v_fma_f64 v[6:7], v[12:13], v[6:7], -v[64:65]
	ds_load_b128 v[12:15], v1 offset:1280
	v_add_f64 v[52:53], v[52:53], v[58:59]
	v_add_f64 v[36:37], v[36:37], v[54:55]
	v_fma_f64 v[56:57], v[44:45], v[179:180], v[56:57]
	v_fma_f64 v[58:59], v[42:43], v[179:180], -v[60:61]
	scratch_load_b128 v[42:45], off, off offset:400
	ds_load_b128 v[179:182], v1 offset:1328
	s_waitcnt vmcnt(9) lgkmcnt(1)
	v_mul_f64 v[54:55], v[12:13], v[48:49]
	v_mul_f64 v[48:49], v[14:15], v[48:49]
	v_add_f64 v[6:7], v[52:53], v[6:7]
	v_add_f64 v[36:37], v[36:37], v[62:63]
	s_waitcnt vmcnt(8)
	v_mul_f64 v[52:53], v[247:248], v[40:41]
	v_mul_f64 v[40:41], v[249:250], v[40:41]
	v_fma_f64 v[54:55], v[14:15], v[46:47], v[54:55]
	v_fma_f64 v[60:61], v[12:13], v[46:47], -v[48:49]
	ds_load_b128 v[12:15], v1 offset:1312
	scratch_load_b128 v[46:49], off, off offset:416
	v_add_f64 v[6:7], v[6:7], v[58:59]
	v_add_f64 v[36:37], v[36:37], v[56:57]
	v_fma_f64 v[52:53], v[249:250], v[38:39], v[52:53]
	s_waitcnt vmcnt(8) lgkmcnt(0)
	v_mul_f64 v[56:57], v[12:13], v[34:35]
	v_mul_f64 v[58:59], v[14:15], v[34:35]
	v_fma_f64 v[38:39], v[247:248], v[38:39], -v[40:41]
	ds_load_b128 v[247:250], v1 offset:1360
	v_add_f64 v[6:7], v[6:7], v[60:61]
	v_add_f64 v[40:41], v[36:37], v[54:55]
	scratch_load_b128 v[34:37], off, off offset:432
	s_waitcnt vmcnt(8)
	v_mul_f64 v[54:55], v[179:180], v[26:27]
	v_mul_f64 v[26:27], v[181:182], v[26:27]
	v_fma_f64 v[56:57], v[14:15], v[32:33], v[56:57]
	v_fma_f64 v[32:33], v[12:13], v[32:33], -v[58:59]
	ds_load_b128 v[12:15], v1 offset:1344
	s_waitcnt vmcnt(7) lgkmcnt(0)
	v_mul_f64 v[58:59], v[12:13], v[30:31]
	v_mul_f64 v[30:31], v[14:15], v[30:31]
	v_add_f64 v[6:7], v[6:7], v[38:39]
	v_add_f64 v[52:53], v[40:41], v[52:53]
	scratch_load_b128 v[38:41], off, off offset:448
	v_fma_f64 v[54:55], v[181:182], v[24:25], v[54:55]
	v_fma_f64 v[60:61], v[179:180], v[24:25], -v[26:27]
	scratch_load_b128 v[24:27], off, off offset:464
	ds_load_b128 v[179:182], v1 offset:1392
	v_add_f64 v[6:7], v[6:7], v[32:33]
	v_add_f64 v[32:33], v[52:53], v[56:57]
	s_waitcnt vmcnt(8)
	v_mul_f64 v[52:53], v[247:248], v[18:19]
	v_mul_f64 v[18:19], v[249:250], v[18:19]
	v_fma_f64 v[56:57], v[14:15], v[28:29], v[58:59]
	v_fma_f64 v[58:59], v[12:13], v[28:29], -v[30:31]
	ds_load_b128 v[12:15], v1 offset:1376
	scratch_load_b128 v[28:31], off, off offset:480
	v_add_f64 v[6:7], v[6:7], v[60:61]
	v_add_f64 v[32:33], v[32:33], v[54:55]
	s_waitcnt vmcnt(8) lgkmcnt(0)
	v_mul_f64 v[54:55], v[12:13], v[22:23]
	v_mul_f64 v[22:23], v[14:15], v[22:23]
	v_fma_f64 v[52:53], v[249:250], v[16:17], v[52:53]
	v_fma_f64 v[60:61], v[247:248], v[16:17], -v[18:19]
	scratch_load_b128 v[16:19], off, off offset:496
	ds_load_b128 v[247:250], v1 offset:1424
	v_add_f64 v[6:7], v[6:7], v[58:59]
	v_add_f64 v[32:33], v[32:33], v[56:57]
	s_waitcnt vmcnt(7)
	v_mul_f64 v[56:57], v[179:180], v[10:11]
	v_mul_f64 v[58:59], v[181:182], v[10:11]
	v_fma_f64 v[14:15], v[14:15], v[20:21], v[54:55]
	v_fma_f64 v[54:55], v[12:13], v[20:21], -v[22:23]
	ds_load_b128 v[10:13], v1 offset:1408
	scratch_load_b128 v[20:23], off, off offset:512
	v_add_f64 v[6:7], v[6:7], v[60:61]
	v_add_f64 v[32:33], v[32:33], v[52:53]
	s_waitcnt lgkmcnt(0)
	v_mul_f64 v[52:53], v[10:11], v[245:246]
	v_mul_f64 v[60:61], v[12:13], v[245:246]
	v_fma_f64 v[56:57], v[181:182], v[8:9], v[56:57]
	v_fma_f64 v[58:59], v[179:180], v[8:9], -v[58:59]
	scratch_load_b128 v[179:182], off, off offset:544
	v_add_f64 v[54:55], v[6:7], v[54:55]
	v_add_f64 v[14:15], v[32:33], v[14:15]
	scratch_load_b128 v[6:9], off, off offset:528
	s_waitcnt vmcnt(9)
	v_mul_f64 v[32:33], v[247:248], v[44:45]
	v_mul_f64 v[44:45], v[249:250], v[44:45]
	v_fma_f64 v[52:53], v[12:13], v[243:244], v[52:53]
	v_fma_f64 v[60:61], v[10:11], v[243:244], -v[60:61]
	ds_load_b128 v[10:13], v1 offset:1440
	ds_load_b128 v[243:246], v1 offset:1456
	v_add_f64 v[54:55], v[54:55], v[58:59]
	v_add_f64 v[14:15], v[14:15], v[56:57]
	s_waitcnt vmcnt(8) lgkmcnt(1)
	v_mul_f64 v[56:57], v[10:11], v[48:49]
	v_mul_f64 v[48:49], v[12:13], v[48:49]
	v_fma_f64 v[32:33], v[249:250], v[42:43], v[32:33]
	v_fma_f64 v[58:59], v[247:248], v[42:43], -v[44:45]
	scratch_load_b128 v[42:45], off, off offset:560
	ds_load_b128 v[247:250], v1 offset:1488
	v_add_f64 v[54:55], v[54:55], v[60:61]
	v_add_f64 v[14:15], v[14:15], v[52:53]
	v_fma_f64 v[56:57], v[12:13], v[46:47], v[56:57]
	v_fma_f64 v[60:61], v[10:11], v[46:47], -v[48:49]
	ds_load_b128 v[10:13], v1 offset:1472
	scratch_load_b128 v[46:49], off, off offset:576
	s_waitcnt vmcnt(9) lgkmcnt(2)
	v_mul_f64 v[52:53], v[243:244], v[36:37]
	v_mul_f64 v[36:37], v[245:246], v[36:37]
	v_add_f64 v[54:55], v[54:55], v[58:59]
	v_add_f64 v[14:15], v[14:15], v[32:33]
	s_waitcnt vmcnt(8) lgkmcnt(0)
	v_mul_f64 v[58:59], v[10:11], v[40:41]
	v_mul_f64 v[40:41], v[12:13], v[40:41]
	v_fma_f64 v[52:53], v[245:246], v[34:35], v[52:53]
	v_fma_f64 v[36:37], v[243:244], v[34:35], -v[36:37]
	scratch_load_b128 v[32:35], off, off offset:592
	ds_load_b128 v[243:246], v1 offset:1520
	v_add_f64 v[54:55], v[54:55], v[60:61]
	v_add_f64 v[14:15], v[14:15], v[56:57]
	s_waitcnt vmcnt(8)
	v_mul_f64 v[56:57], v[247:248], v[26:27]
	v_mul_f64 v[26:27], v[249:250], v[26:27]
	v_fma_f64 v[58:59], v[12:13], v[38:39], v[58:59]
	v_fma_f64 v[40:41], v[10:11], v[38:39], -v[40:41]
	ds_load_b128 v[10:13], v1 offset:1504
	v_add_f64 v[54:55], v[54:55], v[36:37]
	v_add_f64 v[14:15], v[14:15], v[52:53]
	scratch_load_b128 v[36:39], off, off offset:608
	s_waitcnt vmcnt(8) lgkmcnt(0)
	v_mul_f64 v[52:53], v[10:11], v[30:31]
	v_mul_f64 v[30:31], v[12:13], v[30:31]
	v_fma_f64 v[56:57], v[249:250], v[24:25], v[56:57]
	v_fma_f64 v[60:61], v[247:248], v[24:25], -v[26:27]
	scratch_load_b128 v[24:27], off, off offset:624
	ds_load_b128 v[247:250], v1 offset:1552
	v_add_f64 v[40:41], v[54:55], v[40:41]
	v_add_f64 v[14:15], v[14:15], v[58:59]
	s_waitcnt vmcnt(8)
	v_mul_f64 v[54:55], v[243:244], v[18:19]
	v_mul_f64 v[18:19], v[245:246], v[18:19]
	v_fma_f64 v[52:53], v[12:13], v[28:29], v[52:53]
	v_fma_f64 v[58:59], v[10:11], v[28:29], -v[30:31]
	ds_load_b128 v[10:13], v1 offset:1536
	scratch_load_b128 v[28:31], off, off offset:640
	v_add_f64 v[40:41], v[40:41], v[60:61]
	v_add_f64 v[14:15], v[14:15], v[56:57]
	s_waitcnt vmcnt(8) lgkmcnt(0)
	v_mul_f64 v[56:57], v[10:11], v[22:23]
	v_mul_f64 v[22:23], v[12:13], v[22:23]
	v_fma_f64 v[54:55], v[245:246], v[16:17], v[54:55]
	v_fma_f64 v[18:19], v[243:244], v[16:17], -v[18:19]
	ds_load_b128 v[243:246], v1 offset:1584
	v_add_f64 v[40:41], v[40:41], v[58:59]
	v_add_f64 v[52:53], v[14:15], v[52:53]
	scratch_load_b128 v[14:17], off, off offset:656
	v_fma_f64 v[12:13], v[12:13], v[20:21], v[56:57]
	v_fma_f64 v[22:23], v[10:11], v[20:21], -v[22:23]
	s_waitcnt vmcnt(7)
	v_mul_f64 v[58:59], v[247:248], v[8:9]
	v_mul_f64 v[60:61], v[249:250], v[8:9]
	ds_load_b128 v[8:11], v1 offset:1568
	v_add_f64 v[40:41], v[40:41], v[18:19]
	v_add_f64 v[52:53], v[52:53], v[54:55]
	scratch_load_b128 v[18:21], off, off offset:672
	s_waitcnt lgkmcnt(0)
	v_mul_f64 v[54:55], v[8:9], v[181:182]
	v_mul_f64 v[56:57], v[10:11], v[181:182]
	v_fma_f64 v[58:59], v[249:250], v[6:7], v[58:59]
	v_fma_f64 v[6:7], v[247:248], v[6:7], -v[60:61]
	scratch_load_b128 v[247:250], off, off offset:688
	v_add_f64 v[22:23], v[40:41], v[22:23]
	v_add_f64 v[12:13], v[52:53], v[12:13]
	s_waitcnt vmcnt(8)
	v_mul_f64 v[40:41], v[243:244], v[44:45]
	v_mul_f64 v[44:45], v[245:246], v[44:45]
	v_fma_f64 v[52:53], v[10:11], v[179:180], v[54:55]
	v_fma_f64 v[54:55], v[8:9], v[179:180], -v[56:57]
	ds_load_b128 v[179:182], v1 offset:1616
	v_add_f64 v[22:23], v[22:23], v[6:7]
	v_add_f64 v[56:57], v[12:13], v[58:59]
	ds_load_b128 v[6:9], v1 offset:1600
	scratch_load_b128 v[10:13], off, off offset:704
	v_fma_f64 v[60:61], v[245:246], v[42:43], v[40:41]
	v_fma_f64 v[44:45], v[243:244], v[42:43], -v[44:45]
	scratch_load_b128 v[40:43], off, off offset:720
	ds_load_b128 v[243:246], v1 offset:1648
	s_waitcnt vmcnt(9) lgkmcnt(1)
	v_mul_f64 v[58:59], v[6:7], v[48:49]
	v_mul_f64 v[48:49], v[8:9], v[48:49]
	v_add_f64 v[22:23], v[22:23], v[54:55]
	v_add_f64 v[52:53], v[56:57], v[52:53]
	s_waitcnt vmcnt(8)
	v_mul_f64 v[54:55], v[179:180], v[34:35]
	v_mul_f64 v[34:35], v[181:182], v[34:35]
	v_fma_f64 v[56:57], v[8:9], v[46:47], v[58:59]
	v_fma_f64 v[48:49], v[6:7], v[46:47], -v[48:49]
	ds_load_b128 v[6:9], v1 offset:1632
	v_add_f64 v[22:23], v[22:23], v[44:45]
	v_add_f64 v[52:53], v[52:53], v[60:61]
	scratch_load_b128 v[44:47], off, off offset:736
	v_fma_f64 v[54:55], v[181:182], v[32:33], v[54:55]
	v_fma_f64 v[60:61], v[179:180], v[32:33], -v[34:35]
	scratch_load_b128 v[32:35], off, off offset:752
	ds_load_b128 v[179:182], v1 offset:1680
	s_waitcnt vmcnt(9) lgkmcnt(1)
	v_mul_f64 v[58:59], v[6:7], v[38:39]
	v_mul_f64 v[38:39], v[8:9], v[38:39]
	v_add_f64 v[22:23], v[22:23], v[48:49]
	v_add_f64 v[48:49], v[52:53], v[56:57]
	s_waitcnt vmcnt(8)
	v_mul_f64 v[52:53], v[243:244], v[26:27]
	v_mul_f64 v[26:27], v[245:246], v[26:27]
	v_fma_f64 v[56:57], v[8:9], v[36:37], v[58:59]
	v_fma_f64 v[58:59], v[6:7], v[36:37], -v[38:39]
	ds_load_b128 v[6:9], v1 offset:1664
	scratch_load_b128 v[36:39], off, off offset:768
	v_add_f64 v[22:23], v[22:23], v[60:61]
	v_add_f64 v[48:49], v[48:49], v[54:55]
	s_waitcnt vmcnt(8) lgkmcnt(0)
	v_mul_f64 v[54:55], v[6:7], v[30:31]
	v_mul_f64 v[30:31], v[8:9], v[30:31]
	v_fma_f64 v[52:53], v[245:246], v[24:25], v[52:53]
	v_fma_f64 v[26:27], v[243:244], v[24:25], -v[26:27]
	ds_load_b128 v[243:246], v1 offset:1712
	v_add_f64 v[58:59], v[22:23], v[58:59]
	scratch_load_b128 v[22:25], off, off offset:784
	v_add_f64 v[48:49], v[48:49], v[56:57]
	v_fma_f64 v[54:55], v[8:9], v[28:29], v[54:55]
	v_fma_f64 v[30:31], v[6:7], v[28:29], -v[30:31]
	ds_load_b128 v[6:9], v1 offset:1696
	s_waitcnt vmcnt(8)
	v_mul_f64 v[56:57], v[179:180], v[16:17]
	v_mul_f64 v[16:17], v[181:182], v[16:17]
	v_add_f64 v[58:59], v[58:59], v[26:27]
	scratch_load_b128 v[26:29], off, off offset:800
	v_add_f64 v[48:49], v[48:49], v[52:53]
	s_waitcnt vmcnt(8) lgkmcnt(0)
	v_mul_f64 v[52:53], v[6:7], v[20:21]
	v_mul_f64 v[20:21], v[8:9], v[20:21]
	v_fma_f64 v[56:57], v[181:182], v[14:15], v[56:57]
	v_fma_f64 v[60:61], v[179:180], v[14:15], -v[16:17]
	scratch_load_b128 v[14:17], off, off offset:816
	ds_load_b128 v[179:182], v1 offset:1744
	v_add_f64 v[30:31], v[58:59], v[30:31]
	s_waitcnt vmcnt(8)
	v_mul_f64 v[58:59], v[245:246], v[249:250]
	v_add_f64 v[48:49], v[48:49], v[54:55]
	v_mul_f64 v[54:55], v[243:244], v[249:250]
	v_fma_f64 v[52:53], v[8:9], v[18:19], v[52:53]
	v_fma_f64 v[62:63], v[6:7], v[18:19], -v[20:21]
	ds_load_b128 v[6:9], v1 offset:1728
	scratch_load_b128 v[18:21], off, off offset:832
	v_add_f64 v[30:31], v[30:31], v[60:61]
	v_fma_f64 v[58:59], v[243:244], v[247:248], -v[58:59]
	v_add_f64 v[48:49], v[48:49], v[56:57]
	v_fma_f64 v[54:55], v[245:246], v[247:248], v[54:55]
	scratch_load_b128 v[243:246], off, off offset:848
	ds_load_b128 v[247:250], v1 offset:1776
	s_waitcnt vmcnt(9) lgkmcnt(1)
	v_mul_f64 v[56:57], v[6:7], v[12:13]
	v_mul_f64 v[12:13], v[8:9], v[12:13]
	v_add_f64 v[30:31], v[30:31], v[62:63]
	v_add_f64 v[48:49], v[48:49], v[52:53]
	s_waitcnt vmcnt(8)
	v_mul_f64 v[52:53], v[179:180], v[42:43]
	v_mul_f64 v[42:43], v[181:182], v[42:43]
	v_fma_f64 v[56:57], v[8:9], v[10:11], v[56:57]
	v_fma_f64 v[60:61], v[6:7], v[10:11], -v[12:13]
	ds_load_b128 v[6:9], v1 offset:1760
	scratch_load_b128 v[10:13], off, off offset:864
	v_add_f64 v[30:31], v[30:31], v[58:59]
	v_add_f64 v[48:49], v[48:49], v[54:55]
	v_fma_f64 v[52:53], v[181:182], v[40:41], v[52:53]
	v_fma_f64 v[58:59], v[179:180], v[40:41], -v[42:43]
	scratch_load_b128 v[40:43], off, off offset:880
	ds_load_b128 v[179:182], v1 offset:1808
	s_waitcnt vmcnt(9) lgkmcnt(1)
	v_mul_f64 v[54:55], v[6:7], v[46:47]
	v_mul_f64 v[46:47], v[8:9], v[46:47]
	v_add_f64 v[30:31], v[30:31], v[60:61]
	v_add_f64 v[48:49], v[48:49], v[56:57]
	s_waitcnt vmcnt(8)
	v_mul_f64 v[56:57], v[247:248], v[34:35]
	v_mul_f64 v[34:35], v[249:250], v[34:35]
	v_fma_f64 v[54:55], v[8:9], v[44:45], v[54:55]
	v_fma_f64 v[60:61], v[6:7], v[44:45], -v[46:47]
	ds_load_b128 v[6:9], v1 offset:1792
	scratch_load_b128 v[44:47], off, off offset:896
	v_add_f64 v[30:31], v[30:31], v[58:59]
	v_add_f64 v[48:49], v[48:49], v[52:53]
	s_waitcnt vmcnt(8) lgkmcnt(0)
	v_mul_f64 v[52:53], v[6:7], v[38:39]
	v_mul_f64 v[38:39], v[8:9], v[38:39]
	v_fma_f64 v[56:57], v[249:250], v[32:33], v[56:57]
	v_fma_f64 v[34:35], v[247:248], v[32:33], -v[34:35]
	ds_load_b128 v[247:250], v1 offset:1840
	v_add_f64 v[58:59], v[30:31], v[60:61]
	scratch_load_b128 v[30:33], off, off offset:912
	v_add_f64 v[48:49], v[48:49], v[54:55]
	v_fma_f64 v[52:53], v[8:9], v[36:37], v[52:53]
	v_fma_f64 v[38:39], v[6:7], v[36:37], -v[38:39]
	ds_load_b128 v[6:9], v1 offset:1824
	s_waitcnt vmcnt(8)
	v_mul_f64 v[54:55], v[179:180], v[24:25]
	v_mul_f64 v[24:25], v[181:182], v[24:25]
	v_add_f64 v[58:59], v[58:59], v[34:35]
	scratch_load_b128 v[34:37], off, off offset:928
	v_add_f64 v[48:49], v[48:49], v[56:57]
	s_waitcnt vmcnt(8) lgkmcnt(0)
	v_mul_f64 v[56:57], v[6:7], v[28:29]
	v_mul_f64 v[28:29], v[8:9], v[28:29]
	v_fma_f64 v[54:55], v[181:182], v[22:23], v[54:55]
	v_fma_f64 v[60:61], v[179:180], v[22:23], -v[24:25]
	scratch_load_b128 v[22:25], off, off offset:944
	ds_load_b128 v[179:182], v1 offset:1872
	v_add_f64 v[38:39], v[58:59], v[38:39]
	v_add_f64 v[48:49], v[48:49], v[52:53]
	s_waitcnt vmcnt(8)
	v_mul_f64 v[52:53], v[247:248], v[16:17]
	v_mul_f64 v[16:17], v[249:250], v[16:17]
	v_fma_f64 v[56:57], v[8:9], v[26:27], v[56:57]
	v_fma_f64 v[58:59], v[6:7], v[26:27], -v[28:29]
	ds_load_b128 v[6:9], v1 offset:1856
	scratch_load_b128 v[26:29], off, off offset:960
	v_add_f64 v[38:39], v[38:39], v[60:61]
	v_add_f64 v[48:49], v[48:49], v[54:55]
	s_waitcnt vmcnt(8) lgkmcnt(0)
	v_mul_f64 v[54:55], v[6:7], v[20:21]
	v_mul_f64 v[20:21], v[8:9], v[20:21]
	v_fma_f64 v[52:53], v[249:250], v[14:15], v[52:53]
	v_fma_f64 v[60:61], v[247:248], v[14:15], -v[16:17]
	scratch_load_b128 v[14:17], off, off offset:976
	v_add_f64 v[38:39], v[38:39], v[58:59]
	s_waitcnt vmcnt(8)
	v_mul_f64 v[58:59], v[181:182], v[245:246]
	v_add_f64 v[48:49], v[48:49], v[56:57]
	v_mul_f64 v[56:57], v[179:180], v[245:246]
	v_fma_f64 v[54:55], v[8:9], v[18:19], v[54:55]
	v_fma_f64 v[62:63], v[6:7], v[18:19], -v[20:21]
	ds_load_b128 v[6:9], v1 offset:1888
	ds_load_b128 v[245:248], v1 offset:1904
	scratch_load_b128 v[18:21], off, off offset:992
	v_add_f64 v[38:39], v[38:39], v[60:61]
	v_fma_f64 v[58:59], v[179:180], v[243:244], -v[58:59]
	v_add_f64 v[48:49], v[48:49], v[52:53]
	s_waitcnt vmcnt(8) lgkmcnt(1)
	v_mul_f64 v[52:53], v[6:7], v[12:13]
	v_mul_f64 v[12:13], v[8:9], v[12:13]
	v_fma_f64 v[56:57], v[181:182], v[243:244], v[56:57]
	scratch_load_b128 v[179:182], off, off offset:1008
	v_add_f64 v[38:39], v[38:39], v[62:63]
	v_add_f64 v[48:49], v[48:49], v[54:55]
	s_waitcnt vmcnt(8) lgkmcnt(0)
	v_mul_f64 v[54:55], v[245:246], v[42:43]
	v_mul_f64 v[42:43], v[247:248], v[42:43]
	v_fma_f64 v[52:53], v[8:9], v[10:11], v[52:53]
	v_fma_f64 v[60:61], v[6:7], v[10:11], -v[12:13]
	ds_load_b128 v[6:9], v1 offset:1920
	ds_load_b128 v[10:13], v1 offset:1936
	v_add_f64 v[38:39], v[38:39], v[58:59]
	v_add_f64 v[48:49], v[48:49], v[56:57]
	s_waitcnt vmcnt(7) lgkmcnt(1)
	v_mul_f64 v[56:57], v[6:7], v[46:47]
	v_mul_f64 v[46:47], v[8:9], v[46:47]
	v_fma_f64 v[54:55], v[247:248], v[40:41], v[54:55]
	v_fma_f64 v[40:41], v[245:246], v[40:41], -v[42:43]
	v_add_f64 v[38:39], v[38:39], v[60:61]
	v_add_f64 v[42:43], v[48:49], v[52:53]
	v_fma_f64 v[52:53], v[8:9], v[44:45], v[56:57]
	v_fma_f64 v[44:45], v[6:7], v[44:45], -v[46:47]
	s_waitcnt vmcnt(6) lgkmcnt(0)
	v_mul_f64 v[48:49], v[10:11], v[32:33]
	v_mul_f64 v[32:33], v[12:13], v[32:33]
	v_add_f64 v[46:47], v[38:39], v[40:41]
	ds_load_b128 v[6:9], v1 offset:1952
	ds_load_b128 v[38:41], v1 offset:1968
	v_add_f64 v[42:43], v[42:43], v[54:55]
	v_fma_f64 v[12:13], v[12:13], v[30:31], v[48:49]
	v_fma_f64 v[10:11], v[10:11], v[30:31], -v[32:33]
	s_waitcnt vmcnt(5) lgkmcnt(1)
	v_mul_f64 v[54:55], v[6:7], v[36:37]
	v_mul_f64 v[36:37], v[8:9], v[36:37]
	v_add_f64 v[30:31], v[46:47], v[44:45]
	v_add_f64 v[32:33], v[42:43], v[52:53]
	s_waitcnt vmcnt(4) lgkmcnt(0)
	v_mul_f64 v[42:43], v[38:39], v[24:25]
	v_mul_f64 v[24:25], v[40:41], v[24:25]
	v_fma_f64 v[44:45], v[8:9], v[34:35], v[54:55]
	v_fma_f64 v[34:35], v[6:7], v[34:35], -v[36:37]
	v_add_f64 v[30:31], v[30:31], v[10:11]
	v_add_f64 v[32:33], v[32:33], v[12:13]
	ds_load_b128 v[6:9], v1 offset:1984
	ds_load_b128 v[10:13], v1 offset:2000
	v_fma_f64 v[40:41], v[40:41], v[22:23], v[42:43]
	v_fma_f64 v[22:23], v[38:39], v[22:23], -v[24:25]
	s_waitcnt vmcnt(3) lgkmcnt(1)
	v_mul_f64 v[36:37], v[6:7], v[28:29]
	v_mul_f64 v[28:29], v[8:9], v[28:29]
	v_add_f64 v[24:25], v[30:31], v[34:35]
	v_add_f64 v[30:31], v[32:33], v[44:45]
	s_waitcnt vmcnt(2) lgkmcnt(0)
	v_mul_f64 v[32:33], v[10:11], v[16:17]
	v_mul_f64 v[16:17], v[12:13], v[16:17]
	v_fma_f64 v[34:35], v[8:9], v[26:27], v[36:37]
	v_fma_f64 v[26:27], v[6:7], v[26:27], -v[28:29]
	v_add_f64 v[28:29], v[24:25], v[22:23]
	ds_load_b128 v[6:9], v1 offset:2016
	ds_load_b128 v[22:25], v1 offset:2032
	v_add_f64 v[30:31], v[30:31], v[40:41]
	v_fma_f64 v[12:13], v[12:13], v[14:15], v[32:33]
	v_fma_f64 v[10:11], v[10:11], v[14:15], -v[16:17]
	s_waitcnt vmcnt(1) lgkmcnt(1)
	v_mul_f64 v[36:37], v[6:7], v[20:21]
	v_mul_f64 v[20:21], v[8:9], v[20:21]
	v_add_f64 v[14:15], v[28:29], v[26:27]
	s_waitcnt vmcnt(0) lgkmcnt(0)
	v_mul_f64 v[26:27], v[22:23], v[181:182]
	v_add_f64 v[16:17], v[30:31], v[34:35]
	v_mul_f64 v[28:29], v[24:25], v[181:182]
	v_fma_f64 v[8:9], v[8:9], v[18:19], v[36:37]
	v_fma_f64 v[6:7], v[6:7], v[18:19], -v[20:21]
	v_add_f64 v[10:11], v[14:15], v[10:11]
	v_fma_f64 v[14:15], v[24:25], v[179:180], v[26:27]
	v_add_f64 v[12:13], v[16:17], v[12:13]
	v_fma_f64 v[16:17], v[22:23], v[179:180], -v[28:29]
	s_delay_alu instid0(VALU_DEP_4) | instskip(NEXT) | instid1(VALU_DEP_3)
	v_add_f64 v[6:7], v[10:11], v[6:7]
	v_add_f64 v[8:9], v[12:13], v[8:9]
	s_delay_alu instid0(VALU_DEP_2) | instskip(NEXT) | instid1(VALU_DEP_2)
	v_add_f64 v[6:7], v[6:7], v[16:17]
	v_add_f64 v[8:9], v[8:9], v[14:15]
	s_delay_alu instid0(VALU_DEP_2) | instskip(NEXT) | instid1(VALU_DEP_2)
	v_add_f64 v[1:2], v[2:3], -v[6:7]
	v_add_f64 v[3:4], v[4:5], -v[8:9]
	scratch_store_b128 off, v[1:4], off offset:80
	v_cmpx_lt_u32_e32 4, v178
	s_cbranch_execz .LBB63_400
; %bb.399:
	v_add_nc_u32_e64 v1, 0, 64
	v_mov_b32_e32 v5, 0
	scratch_load_b128 v[1:4], v1, off
	v_mov_b32_e32 v6, v5
	v_mov_b32_e32 v7, v5
	;; [unrolled: 1-line block ×3, first 2 shown]
	scratch_store_b128 off, v[5:8], off offset:64
	s_waitcnt vmcnt(0)
	ds_store_b128 v242, v[1:4]
.LBB63_400:
	s_or_b32 exec_lo, exec_lo, s2
	s_waitcnt lgkmcnt(0)
	s_waitcnt_vscnt null, 0x0
	s_barrier
	buffer_gl0_inv
	s_clause 0x7
	scratch_load_b128 v[34:37], off, off offset:80
	scratch_load_b128 v[38:41], off, off offset:96
	;; [unrolled: 1-line block ×8, first 2 shown]
	v_mov_b32_e32 v1, 0
	s_mov_b32 s2, exec_lo
	ds_load_b128 v[46:49], v1 offset:1104
	s_clause 0x2
	scratch_load_b128 v[14:17], off, off offset:208
	scratch_load_b128 v[2:5], off, off offset:64
	;; [unrolled: 1-line block ×3, first 2 shown]
	ds_load_b128 v[42:45], v1 offset:1120
	ds_load_b128 v[243:246], v1 offset:1152
	;; [unrolled: 1-line block ×3, first 2 shown]
	s_waitcnt vmcnt(10) lgkmcnt(3)
	v_mul_f64 v[52:53], v[48:49], v[36:37]
	v_mul_f64 v[36:37], v[46:47], v[36:37]
	s_delay_alu instid0(VALU_DEP_2) | instskip(NEXT) | instid1(VALU_DEP_2)
	v_fma_f64 v[52:53], v[46:47], v[34:35], -v[52:53]
	v_fma_f64 v[56:57], v[48:49], v[34:35], v[36:37]
	ds_load_b128 v[34:37], v1 offset:1136
	s_waitcnt vmcnt(9) lgkmcnt(3)
	v_mul_f64 v[54:55], v[42:43], v[40:41]
	v_mul_f64 v[40:41], v[44:45], v[40:41]
	scratch_load_b128 v[46:49], off, off offset:240
	s_waitcnt vmcnt(9) lgkmcnt(0)
	v_mul_f64 v[58:59], v[34:35], v[32:33]
	v_mul_f64 v[32:33], v[36:37], v[32:33]
	v_add_f64 v[52:53], v[52:53], 0
	v_fma_f64 v[44:45], v[44:45], v[38:39], v[54:55]
	v_fma_f64 v[42:43], v[42:43], v[38:39], -v[40:41]
	v_add_f64 v[54:55], v[56:57], 0
	scratch_load_b128 v[38:41], off, off offset:256
	v_fma_f64 v[36:37], v[36:37], v[30:31], v[58:59]
	v_fma_f64 v[58:59], v[34:35], v[30:31], -v[32:33]
	scratch_load_b128 v[32:35], off, off offset:272
	v_add_f64 v[52:53], v[52:53], v[42:43]
	v_add_f64 v[54:55], v[54:55], v[44:45]
	ds_load_b128 v[42:45], v1 offset:1184
	s_waitcnt vmcnt(10)
	v_mul_f64 v[56:57], v[243:244], v[28:29]
	v_mul_f64 v[60:61], v[245:246], v[28:29]
	ds_load_b128 v[28:31], v1 offset:1168
	v_add_f64 v[52:53], v[52:53], v[58:59]
	v_add_f64 v[36:37], v[54:55], v[36:37]
	s_waitcnt vmcnt(8) lgkmcnt(1)
	v_mul_f64 v[54:55], v[42:43], v[20:21]
	v_fma_f64 v[56:57], v[245:246], v[26:27], v[56:57]
	v_fma_f64 v[60:61], v[243:244], v[26:27], -v[60:61]
	ds_load_b128 v[243:246], v1 offset:1216
	s_waitcnt lgkmcnt(1)
	v_mul_f64 v[62:63], v[28:29], v[24:25]
	v_mul_f64 v[64:65], v[30:31], v[24:25]
	scratch_load_b128 v[24:27], off, off offset:288
	v_mul_f64 v[58:59], v[44:45], v[20:21]
	v_fma_f64 v[54:55], v[44:45], v[18:19], v[54:55]
	v_add_f64 v[36:37], v[36:37], v[56:57]
	v_add_f64 v[52:53], v[52:53], v[60:61]
	s_waitcnt vmcnt(7) lgkmcnt(0)
	v_mul_f64 v[60:61], v[245:246], v[8:9]
	v_fma_f64 v[62:63], v[30:31], v[22:23], v[62:63]
	v_fma_f64 v[64:65], v[28:29], v[22:23], -v[64:65]
	scratch_load_b128 v[28:31], off, off offset:304
	ds_load_b128 v[20:23], v1 offset:1200
	v_fma_f64 v[18:19], v[42:43], v[18:19], -v[58:59]
	v_mul_f64 v[58:59], v[243:244], v[8:9]
	scratch_load_b128 v[42:45], off, off offset:320
	s_waitcnt lgkmcnt(0)
	v_mul_f64 v[56:57], v[20:21], v[12:13]
	v_mul_f64 v[12:13], v[22:23], v[12:13]
	v_add_f64 v[36:37], v[36:37], v[62:63]
	v_add_f64 v[52:53], v[52:53], v[64:65]
	s_delay_alu instid0(VALU_DEP_4) | instskip(NEXT) | instid1(VALU_DEP_4)
	v_fma_f64 v[22:23], v[22:23], v[10:11], v[56:57]
	v_fma_f64 v[12:13], v[20:21], v[10:11], -v[12:13]
	ds_load_b128 v[8:11], v1 offset:1232
	v_fma_f64 v[56:57], v[245:246], v[6:7], v[58:59]
	v_fma_f64 v[6:7], v[243:244], v[6:7], -v[60:61]
	scratch_load_b128 v[243:246], off, off offset:352
	v_add_f64 v[36:37], v[36:37], v[54:55]
	v_add_f64 v[52:53], v[52:53], v[18:19]
	scratch_load_b128 v[18:21], off, off offset:336
	v_add_f64 v[22:23], v[36:37], v[22:23]
	v_add_f64 v[12:13], v[52:53], v[12:13]
	s_waitcnt vmcnt(8)
	v_mul_f64 v[36:37], v[247:248], v[181:182]
	v_mul_f64 v[52:53], v[249:250], v[181:182]
	s_delay_alu instid0(VALU_DEP_4) | instskip(NEXT) | instid1(VALU_DEP_4)
	v_add_f64 v[22:23], v[22:23], v[56:57]
	v_add_f64 v[60:61], v[12:13], v[6:7]
	s_delay_alu instid0(VALU_DEP_4) | instskip(NEXT) | instid1(VALU_DEP_4)
	v_fma_f64 v[36:37], v[249:250], v[179:180], v[36:37]
	v_fma_f64 v[52:53], v[247:248], v[179:180], -v[52:53]
	ds_load_b128 v[247:250], v1 offset:1312
	s_waitcnt lgkmcnt(1)
	v_mul_f64 v[54:55], v[8:9], v[16:17]
	v_mul_f64 v[16:17], v[10:11], v[16:17]
	scratch_load_b128 v[179:182], off, off offset:384
	v_fma_f64 v[54:55], v[10:11], v[14:15], v[54:55]
	v_fma_f64 v[58:59], v[8:9], v[14:15], -v[16:17]
	ds_load_b128 v[6:9], v1 offset:1264
	ds_load_b128 v[14:17], v1 offset:1280
	scratch_load_b128 v[10:13], off, off offset:368
	s_waitcnt vmcnt(9) lgkmcnt(1)
	v_mul_f64 v[56:57], v[6:7], v[48:49]
	v_mul_f64 v[48:49], v[8:9], v[48:49]
	v_add_f64 v[22:23], v[22:23], v[54:55]
	v_add_f64 v[58:59], v[60:61], v[58:59]
	s_waitcnt vmcnt(8) lgkmcnt(0)
	v_mul_f64 v[54:55], v[14:15], v[40:41]
	v_mul_f64 v[40:41], v[16:17], v[40:41]
	v_fma_f64 v[56:57], v[8:9], v[46:47], v[56:57]
	v_fma_f64 v[60:61], v[6:7], v[46:47], -v[48:49]
	ds_load_b128 v[6:9], v1 offset:1296
	scratch_load_b128 v[46:49], off, off offset:400
	v_add_f64 v[22:23], v[22:23], v[36:37]
	v_add_f64 v[52:53], v[58:59], v[52:53]
	v_fma_f64 v[54:55], v[16:17], v[38:39], v[54:55]
	v_fma_f64 v[38:39], v[14:15], v[38:39], -v[40:41]
	scratch_load_b128 v[14:17], off, off offset:416
	v_add_f64 v[22:23], v[22:23], v[56:57]
	v_add_f64 v[40:41], v[52:53], v[60:61]
	s_waitcnt vmcnt(8)
	v_mul_f64 v[52:53], v[247:248], v[26:27]
	v_mul_f64 v[26:27], v[249:250], v[26:27]
	s_delay_alu instid0(VALU_DEP_4) | instskip(NEXT) | instid1(VALU_DEP_4)
	v_add_f64 v[22:23], v[22:23], v[54:55]
	v_add_f64 v[40:41], v[40:41], v[38:39]
	s_delay_alu instid0(VALU_DEP_4) | instskip(NEXT) | instid1(VALU_DEP_4)
	v_fma_f64 v[52:53], v[249:250], v[24:25], v[52:53]
	v_fma_f64 v[26:27], v[247:248], v[24:25], -v[26:27]
	ds_load_b128 v[247:250], v1 offset:1376
	s_waitcnt lgkmcnt(1)
	v_mul_f64 v[36:37], v[6:7], v[34:35]
	v_mul_f64 v[34:35], v[8:9], v[34:35]
	s_delay_alu instid0(VALU_DEP_2) | instskip(NEXT) | instid1(VALU_DEP_2)
	v_fma_f64 v[56:57], v[8:9], v[32:33], v[36:37]
	v_fma_f64 v[58:59], v[6:7], v[32:33], -v[34:35]
	scratch_load_b128 v[32:35], off, off offset:432
	ds_load_b128 v[6:9], v1 offset:1328
	ds_load_b128 v[36:39], v1 offset:1344
	s_waitcnt vmcnt(8) lgkmcnt(1)
	v_mul_f64 v[54:55], v[6:7], v[30:31]
	v_mul_f64 v[30:31], v[8:9], v[30:31]
	v_add_f64 v[56:57], v[22:23], v[56:57]
	v_add_f64 v[40:41], v[40:41], v[58:59]
	s_waitcnt vmcnt(7) lgkmcnt(0)
	v_mul_f64 v[58:59], v[36:37], v[44:45]
	v_mul_f64 v[44:45], v[38:39], v[44:45]
	scratch_load_b128 v[22:25], off, off offset:448
	v_fma_f64 v[54:55], v[8:9], v[28:29], v[54:55]
	v_fma_f64 v[30:31], v[6:7], v[28:29], -v[30:31]
	ds_load_b128 v[6:9], v1 offset:1360
	v_add_f64 v[52:53], v[56:57], v[52:53]
	v_add_f64 v[40:41], v[40:41], v[26:27]
	v_fma_f64 v[58:59], v[38:39], v[42:43], v[58:59]
	v_fma_f64 v[42:43], v[36:37], v[42:43], -v[44:45]
	s_clause 0x1
	scratch_load_b128 v[26:29], off, off offset:464
	scratch_load_b128 v[36:39], off, off offset:480
	s_waitcnt vmcnt(9)
	v_mul_f64 v[44:45], v[247:248], v[245:246]
	v_add_f64 v[30:31], v[40:41], v[30:31]
	v_add_f64 v[40:41], v[52:53], v[54:55]
	v_mul_f64 v[52:53], v[249:250], v[245:246]
	s_delay_alu instid0(VALU_DEP_4) | instskip(NEXT) | instid1(VALU_DEP_4)
	v_fma_f64 v[44:45], v[249:250], v[243:244], v[44:45]
	v_add_f64 v[30:31], v[30:31], v[42:43]
	s_delay_alu instid0(VALU_DEP_4)
	v_add_f64 v[58:59], v[40:41], v[58:59]
	ds_load_b128 v[40:43], v1 offset:1408
	s_waitcnt vmcnt(8) lgkmcnt(1)
	v_mul_f64 v[56:57], v[6:7], v[20:21]
	v_mul_f64 v[20:21], v[8:9], v[20:21]
	v_fma_f64 v[52:53], v[247:248], v[243:244], -v[52:53]
	scratch_load_b128 v[243:246], off, off offset:512
	ds_load_b128 v[247:250], v1 offset:1440
	v_fma_f64 v[54:55], v[8:9], v[18:19], v[56:57]
	v_fma_f64 v[56:57], v[6:7], v[18:19], -v[20:21]
	ds_load_b128 v[6:9], v1 offset:1392
	scratch_load_b128 v[18:21], off, off offset:496
	s_waitcnt vmcnt(8) lgkmcnt(0)
	v_mul_f64 v[60:61], v[6:7], v[12:13]
	v_mul_f64 v[12:13], v[8:9], v[12:13]
	v_add_f64 v[54:55], v[58:59], v[54:55]
	v_add_f64 v[30:31], v[30:31], v[56:57]
	v_mul_f64 v[56:57], v[40:41], v[181:182]
	v_mul_f64 v[58:59], v[42:43], v[181:182]
	v_fma_f64 v[60:61], v[8:9], v[10:11], v[60:61]
	v_fma_f64 v[62:63], v[6:7], v[10:11], -v[12:13]
	ds_load_b128 v[6:9], v1 offset:1424
	scratch_load_b128 v[10:13], off, off offset:528
	v_add_f64 v[44:45], v[54:55], v[44:45]
	v_add_f64 v[30:31], v[30:31], v[52:53]
	v_fma_f64 v[54:55], v[42:43], v[179:180], v[56:57]
	v_fma_f64 v[56:57], v[40:41], v[179:180], -v[58:59]
	ds_load_b128 v[179:182], v1 offset:1472
	scratch_load_b128 v[40:43], off, off offset:544
	s_waitcnt vmcnt(9) lgkmcnt(1)
	v_mul_f64 v[52:53], v[6:7], v[48:49]
	v_mul_f64 v[48:49], v[8:9], v[48:49]
	s_waitcnt vmcnt(8)
	v_mul_f64 v[58:59], v[247:248], v[16:17]
	v_mul_f64 v[16:17], v[249:250], v[16:17]
	v_add_f64 v[44:45], v[44:45], v[60:61]
	v_add_f64 v[30:31], v[30:31], v[62:63]
	v_fma_f64 v[52:53], v[8:9], v[46:47], v[52:53]
	v_fma_f64 v[48:49], v[6:7], v[46:47], -v[48:49]
	ds_load_b128 v[6:9], v1 offset:1456
	v_fma_f64 v[58:59], v[249:250], v[14:15], v[58:59]
	v_fma_f64 v[60:61], v[247:248], v[14:15], -v[16:17]
	ds_load_b128 v[247:250], v1 offset:1504
	scratch_load_b128 v[14:17], off, off offset:576
	v_add_f64 v[54:55], v[44:45], v[54:55]
	v_add_f64 v[30:31], v[30:31], v[56:57]
	scratch_load_b128 v[44:47], off, off offset:560
	s_waitcnt vmcnt(9) lgkmcnt(1)
	v_mul_f64 v[56:57], v[6:7], v[34:35]
	v_mul_f64 v[34:35], v[8:9], v[34:35]
	v_add_f64 v[30:31], v[30:31], v[48:49]
	v_add_f64 v[48:49], v[54:55], v[52:53]
	s_waitcnt vmcnt(8)
	v_mul_f64 v[52:53], v[179:180], v[24:25]
	v_mul_f64 v[24:25], v[181:182], v[24:25]
	v_fma_f64 v[54:55], v[8:9], v[32:33], v[56:57]
	v_fma_f64 v[34:35], v[6:7], v[32:33], -v[34:35]
	ds_load_b128 v[6:9], v1 offset:1488
	v_add_f64 v[56:57], v[30:31], v[60:61]
	v_add_f64 v[48:49], v[48:49], v[58:59]
	scratch_load_b128 v[30:33], off, off offset:592
	v_fma_f64 v[52:53], v[181:182], v[22:23], v[52:53]
	v_fma_f64 v[60:61], v[179:180], v[22:23], -v[24:25]
	ds_load_b128 v[179:182], v1 offset:1536
	s_waitcnt vmcnt(8) lgkmcnt(1)
	v_mul_f64 v[58:59], v[6:7], v[28:29]
	v_mul_f64 v[28:29], v[8:9], v[28:29]
	scratch_load_b128 v[22:25], off, off offset:608
	v_add_f64 v[34:35], v[56:57], v[34:35]
	v_add_f64 v[48:49], v[48:49], v[54:55]
	s_waitcnt vmcnt(8)
	v_mul_f64 v[54:55], v[247:248], v[38:39]
	v_mul_f64 v[38:39], v[249:250], v[38:39]
	v_fma_f64 v[56:57], v[8:9], v[26:27], v[58:59]
	v_fma_f64 v[58:59], v[6:7], v[26:27], -v[28:29]
	scratch_load_b128 v[26:29], off, off offset:624
	ds_load_b128 v[6:9], v1 offset:1520
	v_add_f64 v[34:35], v[34:35], v[60:61]
	v_add_f64 v[48:49], v[48:49], v[52:53]
	v_fma_f64 v[54:55], v[249:250], v[36:37], v[54:55]
	v_fma_f64 v[38:39], v[247:248], v[36:37], -v[38:39]
	s_waitcnt vmcnt(8) lgkmcnt(1)
	v_mul_f64 v[60:61], v[181:182], v[245:246]
	ds_load_b128 v[249:252], v1 offset:1600
	v_add_f64 v[58:59], v[34:35], v[58:59]
	v_add_f64 v[48:49], v[48:49], v[56:57]
	v_mul_f64 v[56:57], v[179:180], v[245:246]
	ds_load_b128 v[245:248], v1 offset:1568
	s_waitcnt vmcnt(7) lgkmcnt(2)
	v_mul_f64 v[52:53], v[6:7], v[20:21]
	v_mul_f64 v[20:21], v[8:9], v[20:21]
	scratch_load_b128 v[34:37], off, off offset:640
	v_add_f64 v[38:39], v[58:59], v[38:39]
	v_add_f64 v[48:49], v[48:49], v[54:55]
	v_fma_f64 v[56:57], v[181:182], v[243:244], v[56:57]
	v_fma_f64 v[58:59], v[179:180], v[243:244], -v[60:61]
	v_fma_f64 v[52:53], v[8:9], v[18:19], v[52:53]
	v_fma_f64 v[62:63], v[6:7], v[18:19], -v[20:21]
	scratch_load_b128 v[18:21], off, off offset:656
	ds_load_b128 v[6:9], v1 offset:1552
	scratch_load_b128 v[179:182], off, off offset:672
	s_waitcnt vmcnt(9) lgkmcnt(0)
	v_mul_f64 v[54:55], v[6:7], v[12:13]
	v_mul_f64 v[12:13], v[8:9], v[12:13]
	v_add_f64 v[48:49], v[48:49], v[52:53]
	v_add_f64 v[38:39], v[38:39], v[62:63]
	s_waitcnt vmcnt(8)
	v_mul_f64 v[52:53], v[245:246], v[42:43]
	v_mul_f64 v[42:43], v[247:248], v[42:43]
	v_fma_f64 v[54:55], v[8:9], v[10:11], v[54:55]
	v_fma_f64 v[60:61], v[6:7], v[10:11], -v[12:13]
	scratch_load_b128 v[10:13], off, off offset:688
	ds_load_b128 v[6:9], v1 offset:1584
	v_add_f64 v[48:49], v[48:49], v[56:57]
	v_add_f64 v[38:39], v[38:39], v[58:59]
	v_fma_f64 v[52:53], v[247:248], v[40:41], v[52:53]
	v_fma_f64 v[42:43], v[245:246], v[40:41], -v[42:43]
	ds_load_b128 v[243:246], v1 offset:1664
	s_waitcnt vmcnt(7) lgkmcnt(1)
	v_mul_f64 v[56:57], v[6:7], v[46:47]
	v_mul_f64 v[46:47], v[8:9], v[46:47]
	v_add_f64 v[48:49], v[48:49], v[54:55]
	v_add_f64 v[58:59], v[38:39], v[60:61]
	v_mul_f64 v[54:55], v[249:250], v[16:17]
	v_mul_f64 v[16:17], v[251:252], v[16:17]
	scratch_load_b128 v[38:41], off, off offset:704
	v_fma_f64 v[56:57], v[8:9], v[44:45], v[56:57]
	v_fma_f64 v[60:61], v[6:7], v[44:45], -v[46:47]
	ds_load_b128 v[6:9], v1 offset:1616
	v_add_f64 v[52:53], v[48:49], v[52:53]
	ds_load_b128 v[46:49], v1 offset:1632
	v_add_f64 v[58:59], v[58:59], v[42:43]
	v_fma_f64 v[54:55], v[251:252], v[14:15], v[54:55]
	v_fma_f64 v[64:65], v[249:250], v[14:15], -v[16:17]
	s_clause 0x1
	scratch_load_b128 v[42:45], off, off offset:720
	scratch_load_b128 v[14:17], off, off offset:736
	s_waitcnt vmcnt(9) lgkmcnt(1)
	v_mul_f64 v[62:63], v[6:7], v[32:33]
	v_mul_f64 v[32:33], v[8:9], v[32:33]
	v_add_f64 v[52:53], v[52:53], v[56:57]
	s_waitcnt vmcnt(8) lgkmcnt(0)
	v_mul_f64 v[56:57], v[46:47], v[24:25]
	v_add_f64 v[58:59], v[58:59], v[60:61]
	v_mul_f64 v[24:25], v[48:49], v[24:25]
	v_fma_f64 v[60:61], v[8:9], v[30:31], v[62:63]
	v_fma_f64 v[62:63], v[6:7], v[30:31], -v[32:33]
	scratch_load_b128 v[30:33], off, off offset:752
	ds_load_b128 v[6:9], v1 offset:1648
	v_add_f64 v[52:53], v[52:53], v[54:55]
	v_fma_f64 v[48:49], v[48:49], v[22:23], v[56:57]
	v_add_f64 v[58:59], v[58:59], v[64:65]
	v_fma_f64 v[46:47], v[46:47], v[22:23], -v[24:25]
	scratch_load_b128 v[22:25], off, off offset:768
	v_add_f64 v[52:53], v[52:53], v[60:61]
	v_add_f64 v[56:57], v[58:59], v[62:63]
	s_waitcnt vmcnt(8)
	v_mul_f64 v[58:59], v[243:244], v[36:37]
	v_mul_f64 v[36:37], v[245:246], v[36:37]
	s_delay_alu instid0(VALU_DEP_4) | instskip(NEXT) | instid1(VALU_DEP_4)
	v_add_f64 v[52:53], v[52:53], v[48:49]
	v_add_f64 v[56:57], v[56:57], v[46:47]
	ds_load_b128 v[46:49], v1 offset:1696
	s_waitcnt lgkmcnt(1)
	v_mul_f64 v[54:55], v[6:7], v[28:29]
	v_mul_f64 v[28:29], v[8:9], v[28:29]
	v_fma_f64 v[58:59], v[245:246], v[34:35], v[58:59]
	v_fma_f64 v[64:65], v[243:244], v[34:35], -v[36:37]
	ds_load_b128 v[243:246], v1 offset:1728
	scratch_load_b128 v[34:37], off, off offset:800
	v_fma_f64 v[54:55], v[8:9], v[26:27], v[54:55]
	v_fma_f64 v[60:61], v[6:7], v[26:27], -v[28:29]
	ds_load_b128 v[6:9], v1 offset:1680
	scratch_load_b128 v[26:29], off, off offset:784
	s_waitcnt vmcnt(9) lgkmcnt(0)
	v_mul_f64 v[62:63], v[6:7], v[20:21]
	v_mul_f64 v[20:21], v[8:9], v[20:21]
	v_add_f64 v[52:53], v[52:53], v[54:55]
	v_add_f64 v[56:57], v[56:57], v[60:61]
	s_waitcnt vmcnt(8)
	v_mul_f64 v[54:55], v[46:47], v[181:182]
	v_mul_f64 v[60:61], v[48:49], v[181:182]
	v_fma_f64 v[62:63], v[8:9], v[18:19], v[62:63]
	v_fma_f64 v[66:67], v[6:7], v[18:19], -v[20:21]
	ds_load_b128 v[6:9], v1 offset:1712
	scratch_load_b128 v[18:21], off, off offset:816
	v_add_f64 v[52:53], v[52:53], v[58:59]
	v_add_f64 v[56:57], v[56:57], v[64:65]
	v_fma_f64 v[54:55], v[48:49], v[179:180], v[54:55]
	v_fma_f64 v[60:61], v[46:47], v[179:180], -v[60:61]
	ds_load_b128 v[179:182], v1 offset:1760
	scratch_load_b128 v[46:49], off, off offset:832
	s_waitcnt vmcnt(9) lgkmcnt(1)
	v_mul_f64 v[58:59], v[6:7], v[12:13]
	v_mul_f64 v[12:13], v[8:9], v[12:13]
	v_add_f64 v[52:53], v[52:53], v[62:63]
	v_add_f64 v[56:57], v[56:57], v[66:67]
	s_waitcnt vmcnt(8)
	v_mul_f64 v[62:63], v[243:244], v[40:41]
	v_mul_f64 v[40:41], v[245:246], v[40:41]
	v_fma_f64 v[58:59], v[8:9], v[10:11], v[58:59]
	v_fma_f64 v[64:65], v[6:7], v[10:11], -v[12:13]
	scratch_load_b128 v[10:13], off, off offset:848
	ds_load_b128 v[6:9], v1 offset:1744
	v_add_f64 v[52:53], v[52:53], v[54:55]
	v_add_f64 v[56:57], v[56:57], v[60:61]
	v_fma_f64 v[60:61], v[245:246], v[38:39], v[62:63]
	v_fma_f64 v[62:63], v[243:244], v[38:39], -v[40:41]
	ds_load_b128 v[243:246], v1 offset:1792
	s_waitcnt vmcnt(8) lgkmcnt(1)
	v_mul_f64 v[54:55], v[6:7], v[44:45]
	v_mul_f64 v[44:45], v[8:9], v[44:45]
	scratch_load_b128 v[38:41], off, off offset:864
	v_add_f64 v[52:53], v[52:53], v[58:59]
	v_add_f64 v[56:57], v[56:57], v[64:65]
	s_waitcnt vmcnt(8)
	v_mul_f64 v[58:59], v[179:180], v[16:17]
	v_mul_f64 v[16:17], v[181:182], v[16:17]
	v_fma_f64 v[54:55], v[8:9], v[42:43], v[54:55]
	v_fma_f64 v[64:65], v[6:7], v[42:43], -v[44:45]
	scratch_load_b128 v[42:45], off, off offset:880
	ds_load_b128 v[6:9], v1 offset:1776
	v_add_f64 v[52:53], v[52:53], v[60:61]
	v_add_f64 v[56:57], v[56:57], v[62:63]
	v_fma_f64 v[58:59], v[181:182], v[14:15], v[58:59]
	v_fma_f64 v[62:63], v[179:180], v[14:15], -v[16:17]
	ds_load_b128 v[179:182], v1 offset:1824
	s_waitcnt vmcnt(8) lgkmcnt(1)
	v_mul_f64 v[60:61], v[6:7], v[32:33]
	v_mul_f64 v[32:33], v[8:9], v[32:33]
	scratch_load_b128 v[14:17], off, off offset:896
	v_add_f64 v[52:53], v[52:53], v[54:55]
	v_add_f64 v[56:57], v[56:57], v[64:65]
	s_waitcnt vmcnt(8)
	v_mul_f64 v[54:55], v[243:244], v[24:25]
	v_mul_f64 v[24:25], v[245:246], v[24:25]
	v_fma_f64 v[60:61], v[8:9], v[30:31], v[60:61]
	v_fma_f64 v[64:65], v[6:7], v[30:31], -v[32:33]
	scratch_load_b128 v[30:33], off, off offset:912
	ds_load_b128 v[6:9], v1 offset:1808
	v_add_f64 v[52:53], v[52:53], v[58:59]
	v_add_f64 v[56:57], v[56:57], v[62:63]
	v_fma_f64 v[54:55], v[245:246], v[22:23], v[54:55]
	v_fma_f64 v[62:63], v[243:244], v[22:23], -v[24:25]
	ds_load_b128 v[243:246], v1 offset:1856
	scratch_load_b128 v[22:25], off, off offset:928
	s_waitcnt vmcnt(8) lgkmcnt(1)
	v_mul_f64 v[58:59], v[6:7], v[28:29]
	v_mul_f64 v[28:29], v[8:9], v[28:29]
	v_add_f64 v[52:53], v[52:53], v[60:61]
	v_add_f64 v[56:57], v[56:57], v[64:65]
	v_mul_f64 v[60:61], v[179:180], v[36:37]
	v_mul_f64 v[36:37], v[181:182], v[36:37]
	v_fma_f64 v[58:59], v[8:9], v[26:27], v[58:59]
	v_fma_f64 v[64:65], v[6:7], v[26:27], -v[28:29]
	scratch_load_b128 v[26:29], off, off offset:944
	ds_load_b128 v[6:9], v1 offset:1840
	v_add_f64 v[52:53], v[52:53], v[54:55]
	v_add_f64 v[56:57], v[56:57], v[62:63]
	v_fma_f64 v[60:61], v[181:182], v[34:35], v[60:61]
	v_fma_f64 v[62:63], v[179:180], v[34:35], -v[36:37]
	ds_load_b128 v[179:182], v1 offset:1888
	s_waitcnt vmcnt(8) lgkmcnt(1)
	v_mul_f64 v[54:55], v[6:7], v[20:21]
	v_mul_f64 v[20:21], v[8:9], v[20:21]
	scratch_load_b128 v[34:37], off, off offset:960
	v_add_f64 v[52:53], v[52:53], v[58:59]
	v_add_f64 v[56:57], v[56:57], v[64:65]
	s_waitcnt vmcnt(8)
	v_mul_f64 v[58:59], v[243:244], v[48:49]
	v_mul_f64 v[48:49], v[245:246], v[48:49]
	v_fma_f64 v[54:55], v[8:9], v[18:19], v[54:55]
	v_fma_f64 v[64:65], v[6:7], v[18:19], -v[20:21]
	scratch_load_b128 v[18:21], off, off offset:976
	ds_load_b128 v[6:9], v1 offset:1872
	v_add_f64 v[52:53], v[52:53], v[60:61]
	v_add_f64 v[56:57], v[56:57], v[62:63]
	v_fma_f64 v[58:59], v[245:246], v[46:47], v[58:59]
	v_fma_f64 v[62:63], v[243:244], v[46:47], -v[48:49]
	ds_load_b128 v[243:246], v1 offset:1920
	s_waitcnt vmcnt(8) lgkmcnt(1)
	v_mul_f64 v[60:61], v[6:7], v[12:13]
	v_mul_f64 v[12:13], v[8:9], v[12:13]
	scratch_load_b128 v[46:49], off, off offset:992
	v_add_f64 v[52:53], v[52:53], v[54:55]
	v_add_f64 v[56:57], v[56:57], v[64:65]
	s_waitcnt vmcnt(8)
	v_mul_f64 v[54:55], v[179:180], v[40:41]
	v_mul_f64 v[40:41], v[181:182], v[40:41]
	v_fma_f64 v[60:61], v[8:9], v[10:11], v[60:61]
	v_fma_f64 v[64:65], v[6:7], v[10:11], -v[12:13]
	scratch_load_b128 v[10:13], off, off offset:1008
	ds_load_b128 v[6:9], v1 offset:1904
	v_add_f64 v[52:53], v[52:53], v[58:59]
	v_add_f64 v[56:57], v[56:57], v[62:63]
	s_waitcnt vmcnt(8) lgkmcnt(0)
	v_mul_f64 v[58:59], v[6:7], v[44:45]
	v_mul_f64 v[44:45], v[8:9], v[44:45]
	v_fma_f64 v[54:55], v[181:182], v[38:39], v[54:55]
	v_fma_f64 v[38:39], v[179:180], v[38:39], -v[40:41]
	v_add_f64 v[52:53], v[52:53], v[60:61]
	v_add_f64 v[40:41], v[56:57], v[64:65]
	s_waitcnt vmcnt(7)
	v_mul_f64 v[56:57], v[243:244], v[16:17]
	v_mul_f64 v[16:17], v[245:246], v[16:17]
	v_fma_f64 v[58:59], v[8:9], v[42:43], v[58:59]
	v_fma_f64 v[42:43], v[6:7], v[42:43], -v[44:45]
	v_add_f64 v[52:53], v[52:53], v[54:55]
	v_add_f64 v[44:45], v[40:41], v[38:39]
	ds_load_b128 v[6:9], v1 offset:1936
	ds_load_b128 v[38:41], v1 offset:1952
	v_fma_f64 v[56:57], v[245:246], v[14:15], v[56:57]
	v_fma_f64 v[14:15], v[243:244], v[14:15], -v[16:17]
	s_waitcnt vmcnt(6) lgkmcnt(1)
	v_mul_f64 v[54:55], v[6:7], v[32:33]
	v_mul_f64 v[32:33], v[8:9], v[32:33]
	v_add_f64 v[16:17], v[44:45], v[42:43]
	v_add_f64 v[42:43], v[52:53], v[58:59]
	s_waitcnt vmcnt(5) lgkmcnt(0)
	v_mul_f64 v[44:45], v[38:39], v[24:25]
	v_mul_f64 v[24:25], v[40:41], v[24:25]
	v_fma_f64 v[52:53], v[8:9], v[30:31], v[54:55]
	v_fma_f64 v[30:31], v[6:7], v[30:31], -v[32:33]
	v_add_f64 v[32:33], v[16:17], v[14:15]
	v_add_f64 v[42:43], v[42:43], v[56:57]
	ds_load_b128 v[6:9], v1 offset:1968
	ds_load_b128 v[14:17], v1 offset:1984
	v_fma_f64 v[40:41], v[40:41], v[22:23], v[44:45]
	v_fma_f64 v[22:23], v[38:39], v[22:23], -v[24:25]
	s_waitcnt vmcnt(4) lgkmcnt(1)
	v_mul_f64 v[54:55], v[6:7], v[28:29]
	v_mul_f64 v[28:29], v[8:9], v[28:29]
	v_add_f64 v[24:25], v[32:33], v[30:31]
	v_add_f64 v[30:31], v[42:43], v[52:53]
	s_waitcnt vmcnt(3) lgkmcnt(0)
	v_mul_f64 v[32:33], v[14:15], v[36:37]
	v_mul_f64 v[36:37], v[16:17], v[36:37]
	v_fma_f64 v[38:39], v[8:9], v[26:27], v[54:55]
	v_fma_f64 v[26:27], v[6:7], v[26:27], -v[28:29]
	v_add_f64 v[28:29], v[24:25], v[22:23]
	v_add_f64 v[30:31], v[30:31], v[40:41]
	ds_load_b128 v[6:9], v1 offset:2000
	ds_load_b128 v[22:25], v1 offset:2016
	v_fma_f64 v[16:17], v[16:17], v[34:35], v[32:33]
	v_fma_f64 v[14:15], v[14:15], v[34:35], -v[36:37]
	s_waitcnt vmcnt(2) lgkmcnt(1)
	v_mul_f64 v[40:41], v[6:7], v[20:21]
	v_mul_f64 v[20:21], v[8:9], v[20:21]
	s_waitcnt vmcnt(1) lgkmcnt(0)
	v_mul_f64 v[32:33], v[24:25], v[48:49]
	v_add_f64 v[26:27], v[28:29], v[26:27]
	v_add_f64 v[28:29], v[30:31], v[38:39]
	v_mul_f64 v[30:31], v[22:23], v[48:49]
	v_fma_f64 v[34:35], v[8:9], v[18:19], v[40:41]
	v_fma_f64 v[18:19], v[6:7], v[18:19], -v[20:21]
	ds_load_b128 v[6:9], v1 offset:2032
	v_fma_f64 v[22:23], v[22:23], v[46:47], -v[32:33]
	v_add_f64 v[14:15], v[26:27], v[14:15]
	v_add_f64 v[16:17], v[28:29], v[16:17]
	v_fma_f64 v[24:25], v[24:25], v[46:47], v[30:31]
	s_waitcnt vmcnt(0) lgkmcnt(0)
	v_mul_f64 v[20:21], v[6:7], v[12:13]
	v_mul_f64 v[12:13], v[8:9], v[12:13]
	v_add_f64 v[14:15], v[14:15], v[18:19]
	v_add_f64 v[16:17], v[16:17], v[34:35]
	s_delay_alu instid0(VALU_DEP_4) | instskip(NEXT) | instid1(VALU_DEP_4)
	v_fma_f64 v[8:9], v[8:9], v[10:11], v[20:21]
	v_fma_f64 v[6:7], v[6:7], v[10:11], -v[12:13]
	s_delay_alu instid0(VALU_DEP_4) | instskip(NEXT) | instid1(VALU_DEP_4)
	v_add_f64 v[10:11], v[14:15], v[22:23]
	v_add_f64 v[12:13], v[16:17], v[24:25]
	s_delay_alu instid0(VALU_DEP_2) | instskip(NEXT) | instid1(VALU_DEP_2)
	v_add_f64 v[6:7], v[10:11], v[6:7]
	v_add_f64 v[8:9], v[12:13], v[8:9]
	s_delay_alu instid0(VALU_DEP_2) | instskip(NEXT) | instid1(VALU_DEP_2)
	v_add_f64 v[2:3], v[2:3], -v[6:7]
	v_add_f64 v[4:5], v[4:5], -v[8:9]
	scratch_store_b128 off, v[2:5], off offset:64
	v_cmpx_lt_u32_e32 3, v178
	s_cbranch_execz .LBB63_402
; %bb.401:
	v_add_nc_u32_e64 v2, 0, 48
	v_mov_b32_e32 v3, v1
	v_mov_b32_e32 v4, v1
	scratch_load_b128 v[5:8], v2, off
	v_mov_b32_e32 v2, v1
	scratch_store_b128 off, v[1:4], off offset:48
	s_waitcnt vmcnt(0)
	ds_store_b128 v242, v[5:8]
.LBB63_402:
	s_or_b32 exec_lo, exec_lo, s2
	s_waitcnt lgkmcnt(0)
	s_waitcnt_vscnt null, 0x0
	s_barrier
	buffer_gl0_inv
	s_clause 0x8
	scratch_load_b128 v[34:37], off, off offset:64
	scratch_load_b128 v[38:41], off, off offset:80
	;; [unrolled: 1-line block ×9, first 2 shown]
	ds_load_b128 v[46:49], v1 offset:1088
	ds_load_b128 v[42:45], v1 offset:1104
	s_clause 0x1
	scratch_load_b128 v[2:5], off, off offset:48
	scratch_load_b128 v[179:182], off, off offset:208
	s_mov_b32 s2, exec_lo
	ds_load_b128 v[243:246], v1 offset:1136
	ds_load_b128 v[247:250], v1 offset:1264
	s_waitcnt vmcnt(10) lgkmcnt(3)
	v_mul_f64 v[52:53], v[48:49], v[36:37]
	v_mul_f64 v[36:37], v[46:47], v[36:37]
	s_waitcnt vmcnt(9) lgkmcnt(2)
	v_mul_f64 v[54:55], v[42:43], v[40:41]
	v_mul_f64 v[40:41], v[44:45], v[40:41]
	s_waitcnt vmcnt(7) lgkmcnt(1)
	v_mul_f64 v[60:61], v[245:246], v[28:29]
	v_fma_f64 v[52:53], v[46:47], v[34:35], -v[52:53]
	v_fma_f64 v[56:57], v[48:49], v[34:35], v[36:37]
	ds_load_b128 v[34:37], v1 offset:1120
	scratch_load_b128 v[46:49], off, off offset:224
	v_fma_f64 v[44:45], v[44:45], v[38:39], v[54:55]
	v_fma_f64 v[42:43], v[42:43], v[38:39], -v[40:41]
	scratch_load_b128 v[38:41], off, off offset:240
	v_fma_f64 v[60:61], v[243:244], v[26:27], -v[60:61]
	s_waitcnt lgkmcnt(0)
	v_mul_f64 v[58:59], v[34:35], v[32:33]
	v_mul_f64 v[32:33], v[36:37], v[32:33]
	v_add_f64 v[52:53], v[52:53], 0
	v_add_f64 v[54:55], v[56:57], 0
	v_mul_f64 v[56:57], v[243:244], v[28:29]
	v_fma_f64 v[36:37], v[36:37], v[30:31], v[58:59]
	v_fma_f64 v[58:59], v[34:35], v[30:31], -v[32:33]
	ds_load_b128 v[28:31], v1 offset:1152
	scratch_load_b128 v[32:35], off, off offset:256
	v_add_f64 v[52:53], v[52:53], v[42:43]
	v_add_f64 v[54:55], v[54:55], v[44:45]
	ds_load_b128 v[42:45], v1 offset:1168
	v_fma_f64 v[56:57], v[245:246], v[26:27], v[56:57]
	ds_load_b128 v[243:246], v1 offset:1200
	s_waitcnt vmcnt(9) lgkmcnt(2)
	v_mul_f64 v[62:63], v[28:29], v[24:25]
	v_mul_f64 v[64:65], v[30:31], v[24:25]
	scratch_load_b128 v[24:27], off, off offset:272
	v_add_f64 v[52:53], v[52:53], v[58:59]
	v_add_f64 v[36:37], v[54:55], v[36:37]
	s_waitcnt vmcnt(9) lgkmcnt(1)
	v_mul_f64 v[54:55], v[42:43], v[20:21]
	v_mul_f64 v[58:59], v[44:45], v[20:21]
	v_fma_f64 v[62:63], v[30:31], v[22:23], v[62:63]
	v_fma_f64 v[64:65], v[28:29], v[22:23], -v[64:65]
	ds_load_b128 v[20:23], v1 offset:1184
	scratch_load_b128 v[28:31], off, off offset:288
	v_add_f64 v[52:53], v[52:53], v[60:61]
	v_add_f64 v[36:37], v[36:37], v[56:57]
	s_waitcnt vmcnt(9) lgkmcnt(0)
	v_mul_f64 v[56:57], v[20:21], v[16:17]
	v_mul_f64 v[60:61], v[22:23], v[16:17]
	v_fma_f64 v[44:45], v[44:45], v[18:19], v[54:55]
	v_fma_f64 v[42:43], v[42:43], v[18:19], -v[58:59]
	scratch_load_b128 v[16:19], off, off offset:304
	s_waitcnt vmcnt(9)
	v_mul_f64 v[54:55], v[243:244], v[12:13]
	v_mul_f64 v[58:59], v[245:246], v[12:13]
	v_add_f64 v[52:53], v[52:53], v[64:65]
	v_add_f64 v[36:37], v[36:37], v[62:63]
	v_fma_f64 v[56:57], v[22:23], v[14:15], v[56:57]
	v_fma_f64 v[60:61], v[20:21], v[14:15], -v[60:61]
	ds_load_b128 v[12:15], v1 offset:1216
	scratch_load_b128 v[20:23], off, off offset:320
	v_fma_f64 v[54:55], v[245:246], v[10:11], v[54:55]
	v_fma_f64 v[58:59], v[243:244], v[10:11], -v[58:59]
	scratch_load_b128 v[243:246], off, off offset:352
	v_add_f64 v[52:53], v[52:53], v[42:43]
	v_add_f64 v[36:37], v[36:37], v[44:45]
	ds_load_b128 v[42:45], v1 offset:1232
	s_waitcnt vmcnt(10) lgkmcnt(1)
	v_mul_f64 v[62:63], v[12:13], v[8:9]
	v_mul_f64 v[64:65], v[14:15], v[8:9]
	scratch_load_b128 v[8:11], off, off offset:336
	v_add_f64 v[52:53], v[52:53], v[60:61]
	v_add_f64 v[36:37], v[36:37], v[56:57]
	s_waitcnt vmcnt(9) lgkmcnt(0)
	v_mul_f64 v[56:57], v[42:43], v[181:182]
	v_mul_f64 v[60:61], v[44:45], v[181:182]
	v_fma_f64 v[62:63], v[14:15], v[6:7], v[62:63]
	v_fma_f64 v[6:7], v[12:13], v[6:7], -v[64:65]
	ds_load_b128 v[12:15], v1 offset:1248
	v_add_f64 v[52:53], v[52:53], v[58:59]
	v_add_f64 v[36:37], v[36:37], v[54:55]
	v_fma_f64 v[56:57], v[44:45], v[179:180], v[56:57]
	v_fma_f64 v[58:59], v[42:43], v[179:180], -v[60:61]
	scratch_load_b128 v[42:45], off, off offset:368
	ds_load_b128 v[179:182], v1 offset:1296
	s_waitcnt vmcnt(9) lgkmcnt(1)
	v_mul_f64 v[54:55], v[12:13], v[48:49]
	v_mul_f64 v[48:49], v[14:15], v[48:49]
	v_add_f64 v[6:7], v[52:53], v[6:7]
	v_add_f64 v[36:37], v[36:37], v[62:63]
	s_waitcnt vmcnt(8)
	v_mul_f64 v[52:53], v[247:248], v[40:41]
	v_mul_f64 v[40:41], v[249:250], v[40:41]
	v_fma_f64 v[54:55], v[14:15], v[46:47], v[54:55]
	v_fma_f64 v[60:61], v[12:13], v[46:47], -v[48:49]
	ds_load_b128 v[12:15], v1 offset:1280
	scratch_load_b128 v[46:49], off, off offset:384
	v_add_f64 v[6:7], v[6:7], v[58:59]
	v_add_f64 v[36:37], v[36:37], v[56:57]
	v_fma_f64 v[52:53], v[249:250], v[38:39], v[52:53]
	s_waitcnt vmcnt(8) lgkmcnt(0)
	v_mul_f64 v[56:57], v[12:13], v[34:35]
	v_mul_f64 v[58:59], v[14:15], v[34:35]
	v_fma_f64 v[38:39], v[247:248], v[38:39], -v[40:41]
	ds_load_b128 v[247:250], v1 offset:1328
	v_add_f64 v[6:7], v[6:7], v[60:61]
	v_add_f64 v[40:41], v[36:37], v[54:55]
	scratch_load_b128 v[34:37], off, off offset:400
	s_waitcnt vmcnt(8)
	v_mul_f64 v[54:55], v[179:180], v[26:27]
	v_mul_f64 v[26:27], v[181:182], v[26:27]
	v_fma_f64 v[56:57], v[14:15], v[32:33], v[56:57]
	v_fma_f64 v[32:33], v[12:13], v[32:33], -v[58:59]
	ds_load_b128 v[12:15], v1 offset:1312
	s_waitcnt vmcnt(7) lgkmcnt(0)
	v_mul_f64 v[58:59], v[12:13], v[30:31]
	v_mul_f64 v[30:31], v[14:15], v[30:31]
	v_add_f64 v[6:7], v[6:7], v[38:39]
	v_add_f64 v[52:53], v[40:41], v[52:53]
	scratch_load_b128 v[38:41], off, off offset:416
	v_fma_f64 v[54:55], v[181:182], v[24:25], v[54:55]
	v_fma_f64 v[60:61], v[179:180], v[24:25], -v[26:27]
	scratch_load_b128 v[24:27], off, off offset:432
	ds_load_b128 v[179:182], v1 offset:1360
	v_add_f64 v[6:7], v[6:7], v[32:33]
	v_add_f64 v[32:33], v[52:53], v[56:57]
	s_waitcnt vmcnt(8)
	v_mul_f64 v[52:53], v[247:248], v[18:19]
	v_mul_f64 v[18:19], v[249:250], v[18:19]
	v_fma_f64 v[56:57], v[14:15], v[28:29], v[58:59]
	v_fma_f64 v[58:59], v[12:13], v[28:29], -v[30:31]
	ds_load_b128 v[12:15], v1 offset:1344
	scratch_load_b128 v[28:31], off, off offset:448
	v_add_f64 v[6:7], v[6:7], v[60:61]
	v_add_f64 v[32:33], v[32:33], v[54:55]
	s_waitcnt vmcnt(8) lgkmcnt(0)
	v_mul_f64 v[54:55], v[12:13], v[22:23]
	v_mul_f64 v[22:23], v[14:15], v[22:23]
	v_fma_f64 v[52:53], v[249:250], v[16:17], v[52:53]
	v_fma_f64 v[60:61], v[247:248], v[16:17], -v[18:19]
	scratch_load_b128 v[16:19], off, off offset:464
	ds_load_b128 v[247:250], v1 offset:1392
	v_add_f64 v[6:7], v[6:7], v[58:59]
	v_add_f64 v[32:33], v[32:33], v[56:57]
	s_waitcnt vmcnt(7)
	v_mul_f64 v[56:57], v[179:180], v[10:11]
	v_mul_f64 v[58:59], v[181:182], v[10:11]
	v_fma_f64 v[14:15], v[14:15], v[20:21], v[54:55]
	v_fma_f64 v[54:55], v[12:13], v[20:21], -v[22:23]
	ds_load_b128 v[10:13], v1 offset:1376
	scratch_load_b128 v[20:23], off, off offset:480
	v_add_f64 v[6:7], v[6:7], v[60:61]
	v_add_f64 v[32:33], v[32:33], v[52:53]
	s_waitcnt lgkmcnt(0)
	v_mul_f64 v[52:53], v[10:11], v[245:246]
	v_mul_f64 v[60:61], v[12:13], v[245:246]
	v_fma_f64 v[56:57], v[181:182], v[8:9], v[56:57]
	v_fma_f64 v[58:59], v[179:180], v[8:9], -v[58:59]
	scratch_load_b128 v[179:182], off, off offset:512
	v_add_f64 v[54:55], v[6:7], v[54:55]
	v_add_f64 v[14:15], v[32:33], v[14:15]
	scratch_load_b128 v[6:9], off, off offset:496
	s_waitcnt vmcnt(9)
	v_mul_f64 v[32:33], v[247:248], v[44:45]
	v_mul_f64 v[44:45], v[249:250], v[44:45]
	v_fma_f64 v[52:53], v[12:13], v[243:244], v[52:53]
	v_fma_f64 v[60:61], v[10:11], v[243:244], -v[60:61]
	ds_load_b128 v[10:13], v1 offset:1408
	ds_load_b128 v[243:246], v1 offset:1424
	v_add_f64 v[54:55], v[54:55], v[58:59]
	v_add_f64 v[14:15], v[14:15], v[56:57]
	s_waitcnt vmcnt(8) lgkmcnt(1)
	v_mul_f64 v[56:57], v[10:11], v[48:49]
	v_mul_f64 v[48:49], v[12:13], v[48:49]
	v_fma_f64 v[32:33], v[249:250], v[42:43], v[32:33]
	v_fma_f64 v[58:59], v[247:248], v[42:43], -v[44:45]
	scratch_load_b128 v[42:45], off, off offset:528
	ds_load_b128 v[247:250], v1 offset:1456
	v_add_f64 v[54:55], v[54:55], v[60:61]
	v_add_f64 v[14:15], v[14:15], v[52:53]
	v_fma_f64 v[56:57], v[12:13], v[46:47], v[56:57]
	v_fma_f64 v[60:61], v[10:11], v[46:47], -v[48:49]
	ds_load_b128 v[10:13], v1 offset:1440
	scratch_load_b128 v[46:49], off, off offset:544
	s_waitcnt vmcnt(9) lgkmcnt(2)
	v_mul_f64 v[52:53], v[243:244], v[36:37]
	v_mul_f64 v[36:37], v[245:246], v[36:37]
	v_add_f64 v[54:55], v[54:55], v[58:59]
	v_add_f64 v[14:15], v[14:15], v[32:33]
	s_waitcnt vmcnt(8) lgkmcnt(0)
	v_mul_f64 v[58:59], v[10:11], v[40:41]
	v_mul_f64 v[40:41], v[12:13], v[40:41]
	v_fma_f64 v[52:53], v[245:246], v[34:35], v[52:53]
	v_fma_f64 v[36:37], v[243:244], v[34:35], -v[36:37]
	scratch_load_b128 v[32:35], off, off offset:560
	ds_load_b128 v[243:246], v1 offset:1488
	v_add_f64 v[54:55], v[54:55], v[60:61]
	v_add_f64 v[14:15], v[14:15], v[56:57]
	s_waitcnt vmcnt(8)
	v_mul_f64 v[56:57], v[247:248], v[26:27]
	v_mul_f64 v[26:27], v[249:250], v[26:27]
	v_fma_f64 v[58:59], v[12:13], v[38:39], v[58:59]
	v_fma_f64 v[40:41], v[10:11], v[38:39], -v[40:41]
	ds_load_b128 v[10:13], v1 offset:1472
	v_add_f64 v[54:55], v[54:55], v[36:37]
	v_add_f64 v[14:15], v[14:15], v[52:53]
	scratch_load_b128 v[36:39], off, off offset:576
	s_waitcnt vmcnt(8) lgkmcnt(0)
	v_mul_f64 v[52:53], v[10:11], v[30:31]
	v_mul_f64 v[30:31], v[12:13], v[30:31]
	v_fma_f64 v[56:57], v[249:250], v[24:25], v[56:57]
	v_fma_f64 v[60:61], v[247:248], v[24:25], -v[26:27]
	scratch_load_b128 v[24:27], off, off offset:592
	ds_load_b128 v[247:250], v1 offset:1520
	v_add_f64 v[40:41], v[54:55], v[40:41]
	v_add_f64 v[14:15], v[14:15], v[58:59]
	s_waitcnt vmcnt(8)
	v_mul_f64 v[54:55], v[243:244], v[18:19]
	v_mul_f64 v[18:19], v[245:246], v[18:19]
	v_fma_f64 v[52:53], v[12:13], v[28:29], v[52:53]
	v_fma_f64 v[58:59], v[10:11], v[28:29], -v[30:31]
	ds_load_b128 v[10:13], v1 offset:1504
	scratch_load_b128 v[28:31], off, off offset:608
	v_add_f64 v[40:41], v[40:41], v[60:61]
	v_add_f64 v[14:15], v[14:15], v[56:57]
	s_waitcnt vmcnt(8) lgkmcnt(0)
	v_mul_f64 v[56:57], v[10:11], v[22:23]
	v_mul_f64 v[22:23], v[12:13], v[22:23]
	v_fma_f64 v[54:55], v[245:246], v[16:17], v[54:55]
	v_fma_f64 v[18:19], v[243:244], v[16:17], -v[18:19]
	ds_load_b128 v[243:246], v1 offset:1552
	v_add_f64 v[40:41], v[40:41], v[58:59]
	v_add_f64 v[52:53], v[14:15], v[52:53]
	scratch_load_b128 v[14:17], off, off offset:624
	v_fma_f64 v[12:13], v[12:13], v[20:21], v[56:57]
	v_fma_f64 v[22:23], v[10:11], v[20:21], -v[22:23]
	s_waitcnt vmcnt(7)
	v_mul_f64 v[58:59], v[247:248], v[8:9]
	v_mul_f64 v[60:61], v[249:250], v[8:9]
	ds_load_b128 v[8:11], v1 offset:1536
	v_add_f64 v[40:41], v[40:41], v[18:19]
	v_add_f64 v[52:53], v[52:53], v[54:55]
	scratch_load_b128 v[18:21], off, off offset:640
	s_waitcnt lgkmcnt(0)
	v_mul_f64 v[54:55], v[8:9], v[181:182]
	v_mul_f64 v[56:57], v[10:11], v[181:182]
	v_fma_f64 v[58:59], v[249:250], v[6:7], v[58:59]
	v_fma_f64 v[6:7], v[247:248], v[6:7], -v[60:61]
	scratch_load_b128 v[247:250], off, off offset:656
	v_add_f64 v[22:23], v[40:41], v[22:23]
	v_add_f64 v[12:13], v[52:53], v[12:13]
	s_waitcnt vmcnt(8)
	v_mul_f64 v[40:41], v[243:244], v[44:45]
	v_mul_f64 v[44:45], v[245:246], v[44:45]
	v_fma_f64 v[52:53], v[10:11], v[179:180], v[54:55]
	v_fma_f64 v[54:55], v[8:9], v[179:180], -v[56:57]
	ds_load_b128 v[179:182], v1 offset:1584
	v_add_f64 v[22:23], v[22:23], v[6:7]
	v_add_f64 v[56:57], v[12:13], v[58:59]
	ds_load_b128 v[6:9], v1 offset:1568
	scratch_load_b128 v[10:13], off, off offset:672
	v_fma_f64 v[60:61], v[245:246], v[42:43], v[40:41]
	v_fma_f64 v[44:45], v[243:244], v[42:43], -v[44:45]
	scratch_load_b128 v[40:43], off, off offset:688
	ds_load_b128 v[243:246], v1 offset:1616
	s_waitcnt vmcnt(9) lgkmcnt(1)
	v_mul_f64 v[58:59], v[6:7], v[48:49]
	v_mul_f64 v[48:49], v[8:9], v[48:49]
	v_add_f64 v[22:23], v[22:23], v[54:55]
	v_add_f64 v[52:53], v[56:57], v[52:53]
	s_waitcnt vmcnt(8)
	v_mul_f64 v[54:55], v[179:180], v[34:35]
	v_mul_f64 v[34:35], v[181:182], v[34:35]
	v_fma_f64 v[56:57], v[8:9], v[46:47], v[58:59]
	v_fma_f64 v[48:49], v[6:7], v[46:47], -v[48:49]
	ds_load_b128 v[6:9], v1 offset:1600
	v_add_f64 v[22:23], v[22:23], v[44:45]
	v_add_f64 v[52:53], v[52:53], v[60:61]
	scratch_load_b128 v[44:47], off, off offset:704
	v_fma_f64 v[54:55], v[181:182], v[32:33], v[54:55]
	v_fma_f64 v[60:61], v[179:180], v[32:33], -v[34:35]
	scratch_load_b128 v[32:35], off, off offset:720
	ds_load_b128 v[179:182], v1 offset:1648
	s_waitcnt vmcnt(9) lgkmcnt(1)
	v_mul_f64 v[58:59], v[6:7], v[38:39]
	v_mul_f64 v[38:39], v[8:9], v[38:39]
	v_add_f64 v[22:23], v[22:23], v[48:49]
	v_add_f64 v[48:49], v[52:53], v[56:57]
	s_waitcnt vmcnt(8)
	v_mul_f64 v[52:53], v[243:244], v[26:27]
	v_mul_f64 v[26:27], v[245:246], v[26:27]
	v_fma_f64 v[56:57], v[8:9], v[36:37], v[58:59]
	v_fma_f64 v[58:59], v[6:7], v[36:37], -v[38:39]
	ds_load_b128 v[6:9], v1 offset:1632
	scratch_load_b128 v[36:39], off, off offset:736
	v_add_f64 v[22:23], v[22:23], v[60:61]
	v_add_f64 v[48:49], v[48:49], v[54:55]
	s_waitcnt vmcnt(8) lgkmcnt(0)
	v_mul_f64 v[54:55], v[6:7], v[30:31]
	v_mul_f64 v[30:31], v[8:9], v[30:31]
	v_fma_f64 v[52:53], v[245:246], v[24:25], v[52:53]
	v_fma_f64 v[26:27], v[243:244], v[24:25], -v[26:27]
	ds_load_b128 v[243:246], v1 offset:1680
	v_add_f64 v[58:59], v[22:23], v[58:59]
	scratch_load_b128 v[22:25], off, off offset:752
	v_add_f64 v[48:49], v[48:49], v[56:57]
	v_fma_f64 v[54:55], v[8:9], v[28:29], v[54:55]
	v_fma_f64 v[30:31], v[6:7], v[28:29], -v[30:31]
	ds_load_b128 v[6:9], v1 offset:1664
	s_waitcnt vmcnt(8)
	v_mul_f64 v[56:57], v[179:180], v[16:17]
	v_mul_f64 v[16:17], v[181:182], v[16:17]
	v_add_f64 v[58:59], v[58:59], v[26:27]
	scratch_load_b128 v[26:29], off, off offset:768
	v_add_f64 v[48:49], v[48:49], v[52:53]
	s_waitcnt vmcnt(8) lgkmcnt(0)
	v_mul_f64 v[52:53], v[6:7], v[20:21]
	v_mul_f64 v[20:21], v[8:9], v[20:21]
	v_fma_f64 v[56:57], v[181:182], v[14:15], v[56:57]
	v_fma_f64 v[60:61], v[179:180], v[14:15], -v[16:17]
	scratch_load_b128 v[14:17], off, off offset:784
	ds_load_b128 v[179:182], v1 offset:1712
	v_add_f64 v[30:31], v[58:59], v[30:31]
	s_waitcnt vmcnt(8)
	v_mul_f64 v[58:59], v[245:246], v[249:250]
	v_add_f64 v[48:49], v[48:49], v[54:55]
	v_mul_f64 v[54:55], v[243:244], v[249:250]
	v_fma_f64 v[52:53], v[8:9], v[18:19], v[52:53]
	v_fma_f64 v[62:63], v[6:7], v[18:19], -v[20:21]
	ds_load_b128 v[6:9], v1 offset:1696
	scratch_load_b128 v[18:21], off, off offset:800
	v_add_f64 v[30:31], v[30:31], v[60:61]
	v_fma_f64 v[58:59], v[243:244], v[247:248], -v[58:59]
	v_add_f64 v[48:49], v[48:49], v[56:57]
	v_fma_f64 v[54:55], v[245:246], v[247:248], v[54:55]
	scratch_load_b128 v[243:246], off, off offset:816
	ds_load_b128 v[247:250], v1 offset:1744
	s_waitcnt vmcnt(9) lgkmcnt(1)
	v_mul_f64 v[56:57], v[6:7], v[12:13]
	v_mul_f64 v[12:13], v[8:9], v[12:13]
	v_add_f64 v[30:31], v[30:31], v[62:63]
	v_add_f64 v[48:49], v[48:49], v[52:53]
	s_waitcnt vmcnt(8)
	v_mul_f64 v[52:53], v[179:180], v[42:43]
	v_mul_f64 v[42:43], v[181:182], v[42:43]
	v_fma_f64 v[56:57], v[8:9], v[10:11], v[56:57]
	v_fma_f64 v[60:61], v[6:7], v[10:11], -v[12:13]
	ds_load_b128 v[6:9], v1 offset:1728
	scratch_load_b128 v[10:13], off, off offset:832
	v_add_f64 v[30:31], v[30:31], v[58:59]
	v_add_f64 v[48:49], v[48:49], v[54:55]
	v_fma_f64 v[52:53], v[181:182], v[40:41], v[52:53]
	v_fma_f64 v[58:59], v[179:180], v[40:41], -v[42:43]
	scratch_load_b128 v[40:43], off, off offset:848
	ds_load_b128 v[179:182], v1 offset:1776
	s_waitcnt vmcnt(9) lgkmcnt(1)
	v_mul_f64 v[54:55], v[6:7], v[46:47]
	v_mul_f64 v[46:47], v[8:9], v[46:47]
	v_add_f64 v[30:31], v[30:31], v[60:61]
	v_add_f64 v[48:49], v[48:49], v[56:57]
	s_waitcnt vmcnt(8)
	v_mul_f64 v[56:57], v[247:248], v[34:35]
	v_mul_f64 v[34:35], v[249:250], v[34:35]
	v_fma_f64 v[54:55], v[8:9], v[44:45], v[54:55]
	v_fma_f64 v[60:61], v[6:7], v[44:45], -v[46:47]
	ds_load_b128 v[6:9], v1 offset:1760
	scratch_load_b128 v[44:47], off, off offset:864
	v_add_f64 v[30:31], v[30:31], v[58:59]
	v_add_f64 v[48:49], v[48:49], v[52:53]
	s_waitcnt vmcnt(8) lgkmcnt(0)
	v_mul_f64 v[52:53], v[6:7], v[38:39]
	v_mul_f64 v[38:39], v[8:9], v[38:39]
	v_fma_f64 v[56:57], v[249:250], v[32:33], v[56:57]
	v_fma_f64 v[34:35], v[247:248], v[32:33], -v[34:35]
	ds_load_b128 v[247:250], v1 offset:1808
	v_add_f64 v[58:59], v[30:31], v[60:61]
	scratch_load_b128 v[30:33], off, off offset:880
	v_add_f64 v[48:49], v[48:49], v[54:55]
	v_fma_f64 v[52:53], v[8:9], v[36:37], v[52:53]
	v_fma_f64 v[38:39], v[6:7], v[36:37], -v[38:39]
	ds_load_b128 v[6:9], v1 offset:1792
	s_waitcnt vmcnt(8)
	v_mul_f64 v[54:55], v[179:180], v[24:25]
	v_mul_f64 v[24:25], v[181:182], v[24:25]
	v_add_f64 v[58:59], v[58:59], v[34:35]
	scratch_load_b128 v[34:37], off, off offset:896
	v_add_f64 v[48:49], v[48:49], v[56:57]
	s_waitcnt vmcnt(8) lgkmcnt(0)
	v_mul_f64 v[56:57], v[6:7], v[28:29]
	v_mul_f64 v[28:29], v[8:9], v[28:29]
	v_fma_f64 v[54:55], v[181:182], v[22:23], v[54:55]
	v_fma_f64 v[60:61], v[179:180], v[22:23], -v[24:25]
	scratch_load_b128 v[22:25], off, off offset:912
	ds_load_b128 v[179:182], v1 offset:1840
	v_add_f64 v[38:39], v[58:59], v[38:39]
	v_add_f64 v[48:49], v[48:49], v[52:53]
	s_waitcnt vmcnt(8)
	v_mul_f64 v[52:53], v[247:248], v[16:17]
	v_mul_f64 v[16:17], v[249:250], v[16:17]
	v_fma_f64 v[56:57], v[8:9], v[26:27], v[56:57]
	v_fma_f64 v[58:59], v[6:7], v[26:27], -v[28:29]
	ds_load_b128 v[6:9], v1 offset:1824
	scratch_load_b128 v[26:29], off, off offset:928
	v_add_f64 v[38:39], v[38:39], v[60:61]
	v_add_f64 v[48:49], v[48:49], v[54:55]
	s_waitcnt vmcnt(8) lgkmcnt(0)
	v_mul_f64 v[54:55], v[6:7], v[20:21]
	v_mul_f64 v[20:21], v[8:9], v[20:21]
	v_fma_f64 v[52:53], v[249:250], v[14:15], v[52:53]
	v_fma_f64 v[60:61], v[247:248], v[14:15], -v[16:17]
	scratch_load_b128 v[14:17], off, off offset:944
	ds_load_b128 v[249:252], v1 offset:1904
	v_add_f64 v[38:39], v[38:39], v[58:59]
	s_waitcnt vmcnt(8)
	v_mul_f64 v[58:59], v[181:182], v[245:246]
	v_add_f64 v[48:49], v[48:49], v[56:57]
	v_mul_f64 v[56:57], v[179:180], v[245:246]
	v_fma_f64 v[54:55], v[8:9], v[18:19], v[54:55]
	v_fma_f64 v[62:63], v[6:7], v[18:19], -v[20:21]
	ds_load_b128 v[6:9], v1 offset:1856
	ds_load_b128 v[245:248], v1 offset:1872
	scratch_load_b128 v[18:21], off, off offset:960
	v_add_f64 v[38:39], v[38:39], v[60:61]
	v_fma_f64 v[58:59], v[179:180], v[243:244], -v[58:59]
	v_add_f64 v[48:49], v[48:49], v[52:53]
	s_waitcnt vmcnt(8) lgkmcnt(1)
	v_mul_f64 v[52:53], v[6:7], v[12:13]
	v_mul_f64 v[12:13], v[8:9], v[12:13]
	v_fma_f64 v[56:57], v[181:182], v[243:244], v[56:57]
	scratch_load_b128 v[179:182], off, off offset:976
	v_add_f64 v[38:39], v[38:39], v[62:63]
	v_add_f64 v[48:49], v[48:49], v[54:55]
	s_waitcnt vmcnt(8) lgkmcnt(0)
	v_mul_f64 v[54:55], v[245:246], v[42:43]
	v_mul_f64 v[42:43], v[247:248], v[42:43]
	v_fma_f64 v[52:53], v[8:9], v[10:11], v[52:53]
	v_fma_f64 v[60:61], v[6:7], v[10:11], -v[12:13]
	ds_load_b128 v[6:9], v1 offset:1888
	scratch_load_b128 v[10:13], off, off offset:992
	v_add_f64 v[38:39], v[38:39], v[58:59]
	v_add_f64 v[48:49], v[48:49], v[56:57]
	s_waitcnt vmcnt(8) lgkmcnt(0)
	v_mul_f64 v[56:57], v[6:7], v[46:47]
	v_mul_f64 v[46:47], v[8:9], v[46:47]
	v_fma_f64 v[54:55], v[247:248], v[40:41], v[54:55]
	v_fma_f64 v[42:43], v[245:246], v[40:41], -v[42:43]
	v_add_f64 v[58:59], v[38:39], v[60:61]
	scratch_load_b128 v[38:41], off, off offset:1008
	v_add_f64 v[48:49], v[48:49], v[52:53]
	v_fma_f64 v[56:57], v[8:9], v[44:45], v[56:57]
	v_fma_f64 v[46:47], v[6:7], v[44:45], -v[46:47]
	s_waitcnt vmcnt(8)
	v_mul_f64 v[52:53], v[249:250], v[32:33]
	v_mul_f64 v[32:33], v[251:252], v[32:33]
	v_add_f64 v[58:59], v[58:59], v[42:43]
	ds_load_b128 v[6:9], v1 offset:1920
	ds_load_b128 v[42:45], v1 offset:1936
	v_add_f64 v[48:49], v[48:49], v[54:55]
	v_fma_f64 v[52:53], v[251:252], v[30:31], v[52:53]
	v_fma_f64 v[30:31], v[249:250], v[30:31], -v[32:33]
	s_waitcnt vmcnt(7) lgkmcnt(1)
	v_mul_f64 v[54:55], v[6:7], v[36:37]
	v_mul_f64 v[36:37], v[8:9], v[36:37]
	v_add_f64 v[32:33], v[58:59], v[46:47]
	v_add_f64 v[46:47], v[48:49], v[56:57]
	s_waitcnt vmcnt(6) lgkmcnt(0)
	v_mul_f64 v[48:49], v[42:43], v[24:25]
	v_mul_f64 v[24:25], v[44:45], v[24:25]
	v_fma_f64 v[54:55], v[8:9], v[34:35], v[54:55]
	v_fma_f64 v[34:35], v[6:7], v[34:35], -v[36:37]
	v_add_f64 v[36:37], v[32:33], v[30:31]
	ds_load_b128 v[6:9], v1 offset:1952
	ds_load_b128 v[30:33], v1 offset:1968
	v_add_f64 v[46:47], v[46:47], v[52:53]
	v_fma_f64 v[44:45], v[44:45], v[22:23], v[48:49]
	v_fma_f64 v[22:23], v[42:43], v[22:23], -v[24:25]
	s_waitcnt vmcnt(5) lgkmcnt(1)
	v_mul_f64 v[52:53], v[6:7], v[28:29]
	v_mul_f64 v[28:29], v[8:9], v[28:29]
	v_add_f64 v[24:25], v[36:37], v[34:35]
	s_waitcnt vmcnt(4) lgkmcnt(0)
	v_mul_f64 v[36:37], v[30:31], v[16:17]
	v_add_f64 v[34:35], v[46:47], v[54:55]
	v_mul_f64 v[16:17], v[32:33], v[16:17]
	v_fma_f64 v[42:43], v[8:9], v[26:27], v[52:53]
	v_fma_f64 v[26:27], v[6:7], v[26:27], -v[28:29]
	v_add_f64 v[28:29], v[24:25], v[22:23]
	ds_load_b128 v[6:9], v1 offset:1984
	ds_load_b128 v[22:25], v1 offset:2000
	v_add_f64 v[34:35], v[34:35], v[44:45]
	v_fma_f64 v[32:33], v[32:33], v[14:15], v[36:37]
	v_fma_f64 v[14:15], v[30:31], v[14:15], -v[16:17]
	s_waitcnt vmcnt(3) lgkmcnt(1)
	v_mul_f64 v[44:45], v[6:7], v[20:21]
	v_mul_f64 v[20:21], v[8:9], v[20:21]
	s_waitcnt vmcnt(2) lgkmcnt(0)
	v_mul_f64 v[30:31], v[24:25], v[181:182]
	v_add_f64 v[16:17], v[28:29], v[26:27]
	v_mul_f64 v[28:29], v[22:23], v[181:182]
	v_add_f64 v[26:27], v[34:35], v[42:43]
	v_fma_f64 v[34:35], v[8:9], v[18:19], v[44:45]
	v_fma_f64 v[18:19], v[6:7], v[18:19], -v[20:21]
	v_fma_f64 v[22:23], v[22:23], v[179:180], -v[30:31]
	v_add_f64 v[20:21], v[16:17], v[14:15]
	ds_load_b128 v[6:9], v1 offset:2016
	ds_load_b128 v[14:17], v1 offset:2032
	v_add_f64 v[26:27], v[26:27], v[32:33]
	v_fma_f64 v[24:25], v[24:25], v[179:180], v[28:29]
	s_waitcnt vmcnt(1) lgkmcnt(1)
	v_mul_f64 v[32:33], v[6:7], v[12:13]
	v_mul_f64 v[12:13], v[8:9], v[12:13]
	v_add_f64 v[18:19], v[20:21], v[18:19]
	v_add_f64 v[20:21], v[26:27], v[34:35]
	s_waitcnt vmcnt(0) lgkmcnt(0)
	v_mul_f64 v[26:27], v[14:15], v[40:41]
	v_mul_f64 v[28:29], v[16:17], v[40:41]
	v_fma_f64 v[8:9], v[8:9], v[10:11], v[32:33]
	v_fma_f64 v[6:7], v[6:7], v[10:11], -v[12:13]
	v_add_f64 v[10:11], v[18:19], v[22:23]
	v_add_f64 v[12:13], v[20:21], v[24:25]
	v_fma_f64 v[16:17], v[16:17], v[38:39], v[26:27]
	v_fma_f64 v[14:15], v[14:15], v[38:39], -v[28:29]
	s_delay_alu instid0(VALU_DEP_4) | instskip(NEXT) | instid1(VALU_DEP_4)
	v_add_f64 v[6:7], v[10:11], v[6:7]
	v_add_f64 v[8:9], v[12:13], v[8:9]
	s_delay_alu instid0(VALU_DEP_2) | instskip(NEXT) | instid1(VALU_DEP_2)
	v_add_f64 v[6:7], v[6:7], v[14:15]
	v_add_f64 v[8:9], v[8:9], v[16:17]
	s_delay_alu instid0(VALU_DEP_2) | instskip(NEXT) | instid1(VALU_DEP_2)
	v_add_f64 v[1:2], v[2:3], -v[6:7]
	v_add_f64 v[3:4], v[4:5], -v[8:9]
	scratch_store_b128 off, v[1:4], off offset:48
	v_cmpx_lt_u32_e32 2, v178
	s_cbranch_execz .LBB63_404
; %bb.403:
	v_add_nc_u32_e64 v1, 0, 32
	v_mov_b32_e32 v5, 0
	scratch_load_b128 v[1:4], v1, off
	v_mov_b32_e32 v6, v5
	v_mov_b32_e32 v7, v5
	;; [unrolled: 1-line block ×3, first 2 shown]
	scratch_store_b128 off, v[5:8], off offset:32
	s_waitcnt vmcnt(0)
	ds_store_b128 v242, v[1:4]
.LBB63_404:
	s_or_b32 exec_lo, exec_lo, s2
	s_waitcnt lgkmcnt(0)
	s_waitcnt_vscnt null, 0x0
	s_barrier
	buffer_gl0_inv
	s_clause 0x7
	scratch_load_b128 v[34:37], off, off offset:48
	scratch_load_b128 v[38:41], off, off offset:64
	;; [unrolled: 1-line block ×8, first 2 shown]
	v_mov_b32_e32 v1, 0
	s_mov_b32 s2, exec_lo
	ds_load_b128 v[46:49], v1 offset:1072
	s_clause 0x2
	scratch_load_b128 v[14:17], off, off offset:176
	scratch_load_b128 v[2:5], off, off offset:32
	;; [unrolled: 1-line block ×3, first 2 shown]
	ds_load_b128 v[42:45], v1 offset:1088
	ds_load_b128 v[243:246], v1 offset:1120
	;; [unrolled: 1-line block ×3, first 2 shown]
	s_waitcnt vmcnt(10) lgkmcnt(3)
	v_mul_f64 v[52:53], v[48:49], v[36:37]
	v_mul_f64 v[36:37], v[46:47], v[36:37]
	s_delay_alu instid0(VALU_DEP_2) | instskip(NEXT) | instid1(VALU_DEP_2)
	v_fma_f64 v[52:53], v[46:47], v[34:35], -v[52:53]
	v_fma_f64 v[56:57], v[48:49], v[34:35], v[36:37]
	ds_load_b128 v[34:37], v1 offset:1104
	s_waitcnt vmcnt(9) lgkmcnt(3)
	v_mul_f64 v[54:55], v[42:43], v[40:41]
	v_mul_f64 v[40:41], v[44:45], v[40:41]
	scratch_load_b128 v[46:49], off, off offset:208
	s_waitcnt vmcnt(9) lgkmcnt(0)
	v_mul_f64 v[58:59], v[34:35], v[32:33]
	v_mul_f64 v[32:33], v[36:37], v[32:33]
	v_add_f64 v[52:53], v[52:53], 0
	v_fma_f64 v[44:45], v[44:45], v[38:39], v[54:55]
	v_fma_f64 v[42:43], v[42:43], v[38:39], -v[40:41]
	v_add_f64 v[54:55], v[56:57], 0
	scratch_load_b128 v[38:41], off, off offset:224
	v_fma_f64 v[36:37], v[36:37], v[30:31], v[58:59]
	v_fma_f64 v[58:59], v[34:35], v[30:31], -v[32:33]
	scratch_load_b128 v[32:35], off, off offset:240
	v_add_f64 v[52:53], v[52:53], v[42:43]
	v_add_f64 v[54:55], v[54:55], v[44:45]
	ds_load_b128 v[42:45], v1 offset:1152
	s_waitcnt vmcnt(10)
	v_mul_f64 v[56:57], v[243:244], v[28:29]
	v_mul_f64 v[60:61], v[245:246], v[28:29]
	ds_load_b128 v[28:31], v1 offset:1136
	v_add_f64 v[52:53], v[52:53], v[58:59]
	v_add_f64 v[36:37], v[54:55], v[36:37]
	s_waitcnt vmcnt(8) lgkmcnt(1)
	v_mul_f64 v[54:55], v[42:43], v[20:21]
	v_fma_f64 v[56:57], v[245:246], v[26:27], v[56:57]
	v_fma_f64 v[60:61], v[243:244], v[26:27], -v[60:61]
	ds_load_b128 v[243:246], v1 offset:1184
	s_waitcnt lgkmcnt(1)
	v_mul_f64 v[62:63], v[28:29], v[24:25]
	v_mul_f64 v[64:65], v[30:31], v[24:25]
	scratch_load_b128 v[24:27], off, off offset:256
	v_mul_f64 v[58:59], v[44:45], v[20:21]
	v_fma_f64 v[54:55], v[44:45], v[18:19], v[54:55]
	v_add_f64 v[36:37], v[36:37], v[56:57]
	v_add_f64 v[52:53], v[52:53], v[60:61]
	s_waitcnt vmcnt(7) lgkmcnt(0)
	v_mul_f64 v[60:61], v[245:246], v[8:9]
	v_fma_f64 v[62:63], v[30:31], v[22:23], v[62:63]
	v_fma_f64 v[64:65], v[28:29], v[22:23], -v[64:65]
	scratch_load_b128 v[28:31], off, off offset:272
	ds_load_b128 v[20:23], v1 offset:1168
	v_fma_f64 v[18:19], v[42:43], v[18:19], -v[58:59]
	v_mul_f64 v[58:59], v[243:244], v[8:9]
	scratch_load_b128 v[42:45], off, off offset:288
	s_waitcnt lgkmcnt(0)
	v_mul_f64 v[56:57], v[20:21], v[12:13]
	v_mul_f64 v[12:13], v[22:23], v[12:13]
	v_add_f64 v[36:37], v[36:37], v[62:63]
	v_add_f64 v[52:53], v[52:53], v[64:65]
	s_delay_alu instid0(VALU_DEP_4) | instskip(NEXT) | instid1(VALU_DEP_4)
	v_fma_f64 v[22:23], v[22:23], v[10:11], v[56:57]
	v_fma_f64 v[12:13], v[20:21], v[10:11], -v[12:13]
	ds_load_b128 v[8:11], v1 offset:1200
	v_fma_f64 v[56:57], v[245:246], v[6:7], v[58:59]
	v_fma_f64 v[6:7], v[243:244], v[6:7], -v[60:61]
	scratch_load_b128 v[243:246], off, off offset:320
	v_add_f64 v[36:37], v[36:37], v[54:55]
	v_add_f64 v[52:53], v[52:53], v[18:19]
	scratch_load_b128 v[18:21], off, off offset:304
	v_add_f64 v[22:23], v[36:37], v[22:23]
	v_add_f64 v[12:13], v[52:53], v[12:13]
	s_waitcnt vmcnt(8)
	v_mul_f64 v[36:37], v[247:248], v[181:182]
	v_mul_f64 v[52:53], v[249:250], v[181:182]
	s_delay_alu instid0(VALU_DEP_4) | instskip(NEXT) | instid1(VALU_DEP_4)
	v_add_f64 v[22:23], v[22:23], v[56:57]
	v_add_f64 v[60:61], v[12:13], v[6:7]
	s_delay_alu instid0(VALU_DEP_4) | instskip(NEXT) | instid1(VALU_DEP_4)
	v_fma_f64 v[36:37], v[249:250], v[179:180], v[36:37]
	v_fma_f64 v[52:53], v[247:248], v[179:180], -v[52:53]
	ds_load_b128 v[247:250], v1 offset:1280
	s_waitcnt lgkmcnt(1)
	v_mul_f64 v[54:55], v[8:9], v[16:17]
	v_mul_f64 v[16:17], v[10:11], v[16:17]
	scratch_load_b128 v[179:182], off, off offset:352
	v_fma_f64 v[54:55], v[10:11], v[14:15], v[54:55]
	v_fma_f64 v[58:59], v[8:9], v[14:15], -v[16:17]
	ds_load_b128 v[6:9], v1 offset:1232
	ds_load_b128 v[14:17], v1 offset:1248
	scratch_load_b128 v[10:13], off, off offset:336
	s_waitcnt vmcnt(9) lgkmcnt(1)
	v_mul_f64 v[56:57], v[6:7], v[48:49]
	v_mul_f64 v[48:49], v[8:9], v[48:49]
	v_add_f64 v[22:23], v[22:23], v[54:55]
	v_add_f64 v[58:59], v[60:61], v[58:59]
	s_waitcnt vmcnt(8) lgkmcnt(0)
	v_mul_f64 v[54:55], v[14:15], v[40:41]
	v_mul_f64 v[40:41], v[16:17], v[40:41]
	v_fma_f64 v[56:57], v[8:9], v[46:47], v[56:57]
	v_fma_f64 v[60:61], v[6:7], v[46:47], -v[48:49]
	ds_load_b128 v[6:9], v1 offset:1264
	scratch_load_b128 v[46:49], off, off offset:368
	v_add_f64 v[22:23], v[22:23], v[36:37]
	v_add_f64 v[52:53], v[58:59], v[52:53]
	v_fma_f64 v[54:55], v[16:17], v[38:39], v[54:55]
	v_fma_f64 v[38:39], v[14:15], v[38:39], -v[40:41]
	scratch_load_b128 v[14:17], off, off offset:384
	v_add_f64 v[22:23], v[22:23], v[56:57]
	v_add_f64 v[40:41], v[52:53], v[60:61]
	s_waitcnt vmcnt(8)
	v_mul_f64 v[52:53], v[247:248], v[26:27]
	v_mul_f64 v[26:27], v[249:250], v[26:27]
	s_delay_alu instid0(VALU_DEP_4) | instskip(NEXT) | instid1(VALU_DEP_4)
	v_add_f64 v[22:23], v[22:23], v[54:55]
	v_add_f64 v[40:41], v[40:41], v[38:39]
	s_delay_alu instid0(VALU_DEP_4) | instskip(NEXT) | instid1(VALU_DEP_4)
	v_fma_f64 v[52:53], v[249:250], v[24:25], v[52:53]
	v_fma_f64 v[26:27], v[247:248], v[24:25], -v[26:27]
	ds_load_b128 v[247:250], v1 offset:1344
	s_waitcnt lgkmcnt(1)
	v_mul_f64 v[36:37], v[6:7], v[34:35]
	v_mul_f64 v[34:35], v[8:9], v[34:35]
	s_delay_alu instid0(VALU_DEP_2) | instskip(NEXT) | instid1(VALU_DEP_2)
	v_fma_f64 v[56:57], v[8:9], v[32:33], v[36:37]
	v_fma_f64 v[58:59], v[6:7], v[32:33], -v[34:35]
	scratch_load_b128 v[32:35], off, off offset:400
	ds_load_b128 v[6:9], v1 offset:1296
	ds_load_b128 v[36:39], v1 offset:1312
	s_waitcnt vmcnt(8) lgkmcnt(1)
	v_mul_f64 v[54:55], v[6:7], v[30:31]
	v_mul_f64 v[30:31], v[8:9], v[30:31]
	v_add_f64 v[56:57], v[22:23], v[56:57]
	v_add_f64 v[40:41], v[40:41], v[58:59]
	s_waitcnt vmcnt(7) lgkmcnt(0)
	v_mul_f64 v[58:59], v[36:37], v[44:45]
	v_mul_f64 v[44:45], v[38:39], v[44:45]
	scratch_load_b128 v[22:25], off, off offset:416
	v_fma_f64 v[54:55], v[8:9], v[28:29], v[54:55]
	v_fma_f64 v[30:31], v[6:7], v[28:29], -v[30:31]
	ds_load_b128 v[6:9], v1 offset:1328
	v_add_f64 v[52:53], v[56:57], v[52:53]
	v_add_f64 v[40:41], v[40:41], v[26:27]
	v_fma_f64 v[58:59], v[38:39], v[42:43], v[58:59]
	v_fma_f64 v[42:43], v[36:37], v[42:43], -v[44:45]
	s_clause 0x1
	scratch_load_b128 v[26:29], off, off offset:432
	scratch_load_b128 v[36:39], off, off offset:448
	s_waitcnt vmcnt(9)
	v_mul_f64 v[44:45], v[247:248], v[245:246]
	v_add_f64 v[30:31], v[40:41], v[30:31]
	v_add_f64 v[40:41], v[52:53], v[54:55]
	v_mul_f64 v[52:53], v[249:250], v[245:246]
	s_delay_alu instid0(VALU_DEP_4) | instskip(NEXT) | instid1(VALU_DEP_4)
	v_fma_f64 v[44:45], v[249:250], v[243:244], v[44:45]
	v_add_f64 v[30:31], v[30:31], v[42:43]
	s_delay_alu instid0(VALU_DEP_4)
	v_add_f64 v[58:59], v[40:41], v[58:59]
	ds_load_b128 v[40:43], v1 offset:1376
	s_waitcnt vmcnt(8) lgkmcnt(1)
	v_mul_f64 v[56:57], v[6:7], v[20:21]
	v_mul_f64 v[20:21], v[8:9], v[20:21]
	v_fma_f64 v[52:53], v[247:248], v[243:244], -v[52:53]
	scratch_load_b128 v[243:246], off, off offset:480
	ds_load_b128 v[247:250], v1 offset:1408
	v_fma_f64 v[54:55], v[8:9], v[18:19], v[56:57]
	v_fma_f64 v[56:57], v[6:7], v[18:19], -v[20:21]
	ds_load_b128 v[6:9], v1 offset:1360
	scratch_load_b128 v[18:21], off, off offset:464
	s_waitcnt vmcnt(8) lgkmcnt(0)
	v_mul_f64 v[60:61], v[6:7], v[12:13]
	v_mul_f64 v[12:13], v[8:9], v[12:13]
	v_add_f64 v[54:55], v[58:59], v[54:55]
	v_add_f64 v[30:31], v[30:31], v[56:57]
	v_mul_f64 v[56:57], v[40:41], v[181:182]
	v_mul_f64 v[58:59], v[42:43], v[181:182]
	v_fma_f64 v[60:61], v[8:9], v[10:11], v[60:61]
	v_fma_f64 v[62:63], v[6:7], v[10:11], -v[12:13]
	ds_load_b128 v[6:9], v1 offset:1392
	scratch_load_b128 v[10:13], off, off offset:496
	v_add_f64 v[44:45], v[54:55], v[44:45]
	v_add_f64 v[30:31], v[30:31], v[52:53]
	v_fma_f64 v[54:55], v[42:43], v[179:180], v[56:57]
	v_fma_f64 v[56:57], v[40:41], v[179:180], -v[58:59]
	ds_load_b128 v[179:182], v1 offset:1440
	scratch_load_b128 v[40:43], off, off offset:512
	s_waitcnt vmcnt(9) lgkmcnt(1)
	v_mul_f64 v[52:53], v[6:7], v[48:49]
	v_mul_f64 v[48:49], v[8:9], v[48:49]
	s_waitcnt vmcnt(8)
	v_mul_f64 v[58:59], v[247:248], v[16:17]
	v_mul_f64 v[16:17], v[249:250], v[16:17]
	v_add_f64 v[44:45], v[44:45], v[60:61]
	v_add_f64 v[30:31], v[30:31], v[62:63]
	v_fma_f64 v[52:53], v[8:9], v[46:47], v[52:53]
	v_fma_f64 v[48:49], v[6:7], v[46:47], -v[48:49]
	ds_load_b128 v[6:9], v1 offset:1424
	v_fma_f64 v[58:59], v[249:250], v[14:15], v[58:59]
	v_fma_f64 v[60:61], v[247:248], v[14:15], -v[16:17]
	ds_load_b128 v[247:250], v1 offset:1472
	scratch_load_b128 v[14:17], off, off offset:544
	v_add_f64 v[54:55], v[44:45], v[54:55]
	v_add_f64 v[30:31], v[30:31], v[56:57]
	scratch_load_b128 v[44:47], off, off offset:528
	s_waitcnt vmcnt(9) lgkmcnt(1)
	v_mul_f64 v[56:57], v[6:7], v[34:35]
	v_mul_f64 v[34:35], v[8:9], v[34:35]
	v_add_f64 v[30:31], v[30:31], v[48:49]
	v_add_f64 v[48:49], v[54:55], v[52:53]
	s_waitcnt vmcnt(8)
	v_mul_f64 v[52:53], v[179:180], v[24:25]
	v_mul_f64 v[24:25], v[181:182], v[24:25]
	v_fma_f64 v[54:55], v[8:9], v[32:33], v[56:57]
	v_fma_f64 v[34:35], v[6:7], v[32:33], -v[34:35]
	ds_load_b128 v[6:9], v1 offset:1456
	v_add_f64 v[56:57], v[30:31], v[60:61]
	v_add_f64 v[48:49], v[48:49], v[58:59]
	scratch_load_b128 v[30:33], off, off offset:560
	v_fma_f64 v[52:53], v[181:182], v[22:23], v[52:53]
	v_fma_f64 v[60:61], v[179:180], v[22:23], -v[24:25]
	ds_load_b128 v[179:182], v1 offset:1504
	s_waitcnt vmcnt(8) lgkmcnt(1)
	v_mul_f64 v[58:59], v[6:7], v[28:29]
	v_mul_f64 v[28:29], v[8:9], v[28:29]
	scratch_load_b128 v[22:25], off, off offset:576
	v_add_f64 v[34:35], v[56:57], v[34:35]
	v_add_f64 v[48:49], v[48:49], v[54:55]
	s_waitcnt vmcnt(8)
	v_mul_f64 v[54:55], v[247:248], v[38:39]
	v_mul_f64 v[38:39], v[249:250], v[38:39]
	v_fma_f64 v[56:57], v[8:9], v[26:27], v[58:59]
	v_fma_f64 v[58:59], v[6:7], v[26:27], -v[28:29]
	scratch_load_b128 v[26:29], off, off offset:592
	ds_load_b128 v[6:9], v1 offset:1488
	v_add_f64 v[34:35], v[34:35], v[60:61]
	v_add_f64 v[48:49], v[48:49], v[52:53]
	v_fma_f64 v[54:55], v[249:250], v[36:37], v[54:55]
	v_fma_f64 v[38:39], v[247:248], v[36:37], -v[38:39]
	s_waitcnt vmcnt(8) lgkmcnt(1)
	v_mul_f64 v[60:61], v[181:182], v[245:246]
	ds_load_b128 v[249:252], v1 offset:1568
	v_add_f64 v[58:59], v[34:35], v[58:59]
	v_add_f64 v[48:49], v[48:49], v[56:57]
	v_mul_f64 v[56:57], v[179:180], v[245:246]
	ds_load_b128 v[245:248], v1 offset:1536
	s_waitcnt vmcnt(7) lgkmcnt(2)
	v_mul_f64 v[52:53], v[6:7], v[20:21]
	v_mul_f64 v[20:21], v[8:9], v[20:21]
	scratch_load_b128 v[34:37], off, off offset:608
	v_add_f64 v[38:39], v[58:59], v[38:39]
	v_add_f64 v[48:49], v[48:49], v[54:55]
	v_fma_f64 v[56:57], v[181:182], v[243:244], v[56:57]
	v_fma_f64 v[58:59], v[179:180], v[243:244], -v[60:61]
	v_fma_f64 v[52:53], v[8:9], v[18:19], v[52:53]
	v_fma_f64 v[62:63], v[6:7], v[18:19], -v[20:21]
	scratch_load_b128 v[18:21], off, off offset:624
	ds_load_b128 v[6:9], v1 offset:1520
	scratch_load_b128 v[179:182], off, off offset:640
	s_waitcnt vmcnt(9) lgkmcnt(0)
	v_mul_f64 v[54:55], v[6:7], v[12:13]
	v_mul_f64 v[12:13], v[8:9], v[12:13]
	v_add_f64 v[48:49], v[48:49], v[52:53]
	v_add_f64 v[38:39], v[38:39], v[62:63]
	s_waitcnt vmcnt(8)
	v_mul_f64 v[52:53], v[245:246], v[42:43]
	v_mul_f64 v[42:43], v[247:248], v[42:43]
	v_fma_f64 v[54:55], v[8:9], v[10:11], v[54:55]
	v_fma_f64 v[60:61], v[6:7], v[10:11], -v[12:13]
	scratch_load_b128 v[10:13], off, off offset:656
	ds_load_b128 v[6:9], v1 offset:1552
	v_add_f64 v[48:49], v[48:49], v[56:57]
	v_add_f64 v[38:39], v[38:39], v[58:59]
	v_fma_f64 v[52:53], v[247:248], v[40:41], v[52:53]
	v_fma_f64 v[42:43], v[245:246], v[40:41], -v[42:43]
	ds_load_b128 v[243:246], v1 offset:1632
	s_waitcnt vmcnt(7) lgkmcnt(1)
	v_mul_f64 v[56:57], v[6:7], v[46:47]
	v_mul_f64 v[46:47], v[8:9], v[46:47]
	v_add_f64 v[48:49], v[48:49], v[54:55]
	v_add_f64 v[58:59], v[38:39], v[60:61]
	v_mul_f64 v[54:55], v[249:250], v[16:17]
	v_mul_f64 v[16:17], v[251:252], v[16:17]
	scratch_load_b128 v[38:41], off, off offset:672
	v_fma_f64 v[56:57], v[8:9], v[44:45], v[56:57]
	v_fma_f64 v[60:61], v[6:7], v[44:45], -v[46:47]
	ds_load_b128 v[6:9], v1 offset:1584
	v_add_f64 v[52:53], v[48:49], v[52:53]
	ds_load_b128 v[46:49], v1 offset:1600
	v_add_f64 v[58:59], v[58:59], v[42:43]
	v_fma_f64 v[54:55], v[251:252], v[14:15], v[54:55]
	v_fma_f64 v[64:65], v[249:250], v[14:15], -v[16:17]
	s_clause 0x1
	scratch_load_b128 v[42:45], off, off offset:688
	scratch_load_b128 v[14:17], off, off offset:704
	s_waitcnt vmcnt(9) lgkmcnt(1)
	v_mul_f64 v[62:63], v[6:7], v[32:33]
	v_mul_f64 v[32:33], v[8:9], v[32:33]
	v_add_f64 v[52:53], v[52:53], v[56:57]
	s_waitcnt vmcnt(8) lgkmcnt(0)
	v_mul_f64 v[56:57], v[46:47], v[24:25]
	v_add_f64 v[58:59], v[58:59], v[60:61]
	v_mul_f64 v[24:25], v[48:49], v[24:25]
	v_fma_f64 v[60:61], v[8:9], v[30:31], v[62:63]
	v_fma_f64 v[62:63], v[6:7], v[30:31], -v[32:33]
	scratch_load_b128 v[30:33], off, off offset:720
	ds_load_b128 v[6:9], v1 offset:1616
	v_add_f64 v[52:53], v[52:53], v[54:55]
	v_fma_f64 v[48:49], v[48:49], v[22:23], v[56:57]
	v_add_f64 v[58:59], v[58:59], v[64:65]
	v_fma_f64 v[46:47], v[46:47], v[22:23], -v[24:25]
	scratch_load_b128 v[22:25], off, off offset:736
	v_add_f64 v[52:53], v[52:53], v[60:61]
	v_add_f64 v[56:57], v[58:59], v[62:63]
	s_waitcnt vmcnt(8)
	v_mul_f64 v[58:59], v[243:244], v[36:37]
	v_mul_f64 v[36:37], v[245:246], v[36:37]
	s_delay_alu instid0(VALU_DEP_4) | instskip(NEXT) | instid1(VALU_DEP_4)
	v_add_f64 v[52:53], v[52:53], v[48:49]
	v_add_f64 v[56:57], v[56:57], v[46:47]
	ds_load_b128 v[46:49], v1 offset:1664
	s_waitcnt lgkmcnt(1)
	v_mul_f64 v[54:55], v[6:7], v[28:29]
	v_mul_f64 v[28:29], v[8:9], v[28:29]
	v_fma_f64 v[58:59], v[245:246], v[34:35], v[58:59]
	v_fma_f64 v[64:65], v[243:244], v[34:35], -v[36:37]
	ds_load_b128 v[243:246], v1 offset:1696
	scratch_load_b128 v[34:37], off, off offset:768
	v_fma_f64 v[54:55], v[8:9], v[26:27], v[54:55]
	v_fma_f64 v[60:61], v[6:7], v[26:27], -v[28:29]
	ds_load_b128 v[6:9], v1 offset:1648
	scratch_load_b128 v[26:29], off, off offset:752
	s_waitcnt vmcnt(9) lgkmcnt(0)
	v_mul_f64 v[62:63], v[6:7], v[20:21]
	v_mul_f64 v[20:21], v[8:9], v[20:21]
	v_add_f64 v[52:53], v[52:53], v[54:55]
	v_add_f64 v[56:57], v[56:57], v[60:61]
	s_waitcnt vmcnt(8)
	v_mul_f64 v[54:55], v[46:47], v[181:182]
	v_mul_f64 v[60:61], v[48:49], v[181:182]
	v_fma_f64 v[62:63], v[8:9], v[18:19], v[62:63]
	v_fma_f64 v[66:67], v[6:7], v[18:19], -v[20:21]
	ds_load_b128 v[6:9], v1 offset:1680
	scratch_load_b128 v[18:21], off, off offset:784
	v_add_f64 v[52:53], v[52:53], v[58:59]
	v_add_f64 v[56:57], v[56:57], v[64:65]
	v_fma_f64 v[54:55], v[48:49], v[179:180], v[54:55]
	v_fma_f64 v[60:61], v[46:47], v[179:180], -v[60:61]
	ds_load_b128 v[179:182], v1 offset:1728
	scratch_load_b128 v[46:49], off, off offset:800
	s_waitcnt vmcnt(9) lgkmcnt(1)
	v_mul_f64 v[58:59], v[6:7], v[12:13]
	v_mul_f64 v[12:13], v[8:9], v[12:13]
	v_add_f64 v[52:53], v[52:53], v[62:63]
	v_add_f64 v[56:57], v[56:57], v[66:67]
	s_waitcnt vmcnt(8)
	v_mul_f64 v[62:63], v[243:244], v[40:41]
	v_mul_f64 v[40:41], v[245:246], v[40:41]
	v_fma_f64 v[58:59], v[8:9], v[10:11], v[58:59]
	v_fma_f64 v[64:65], v[6:7], v[10:11], -v[12:13]
	scratch_load_b128 v[10:13], off, off offset:816
	ds_load_b128 v[6:9], v1 offset:1712
	v_add_f64 v[52:53], v[52:53], v[54:55]
	v_add_f64 v[56:57], v[56:57], v[60:61]
	v_fma_f64 v[60:61], v[245:246], v[38:39], v[62:63]
	v_fma_f64 v[62:63], v[243:244], v[38:39], -v[40:41]
	ds_load_b128 v[243:246], v1 offset:1760
	s_waitcnt vmcnt(8) lgkmcnt(1)
	v_mul_f64 v[54:55], v[6:7], v[44:45]
	v_mul_f64 v[44:45], v[8:9], v[44:45]
	scratch_load_b128 v[38:41], off, off offset:832
	v_add_f64 v[52:53], v[52:53], v[58:59]
	v_add_f64 v[56:57], v[56:57], v[64:65]
	s_waitcnt vmcnt(8)
	v_mul_f64 v[58:59], v[179:180], v[16:17]
	v_mul_f64 v[16:17], v[181:182], v[16:17]
	v_fma_f64 v[54:55], v[8:9], v[42:43], v[54:55]
	v_fma_f64 v[64:65], v[6:7], v[42:43], -v[44:45]
	scratch_load_b128 v[42:45], off, off offset:848
	ds_load_b128 v[6:9], v1 offset:1744
	v_add_f64 v[52:53], v[52:53], v[60:61]
	v_add_f64 v[56:57], v[56:57], v[62:63]
	v_fma_f64 v[58:59], v[181:182], v[14:15], v[58:59]
	v_fma_f64 v[62:63], v[179:180], v[14:15], -v[16:17]
	ds_load_b128 v[179:182], v1 offset:1792
	s_waitcnt vmcnt(8) lgkmcnt(1)
	v_mul_f64 v[60:61], v[6:7], v[32:33]
	v_mul_f64 v[32:33], v[8:9], v[32:33]
	scratch_load_b128 v[14:17], off, off offset:864
	v_add_f64 v[52:53], v[52:53], v[54:55]
	v_add_f64 v[56:57], v[56:57], v[64:65]
	s_waitcnt vmcnt(8)
	v_mul_f64 v[54:55], v[243:244], v[24:25]
	v_mul_f64 v[24:25], v[245:246], v[24:25]
	v_fma_f64 v[60:61], v[8:9], v[30:31], v[60:61]
	v_fma_f64 v[64:65], v[6:7], v[30:31], -v[32:33]
	scratch_load_b128 v[30:33], off, off offset:880
	ds_load_b128 v[6:9], v1 offset:1776
	v_add_f64 v[52:53], v[52:53], v[58:59]
	v_add_f64 v[56:57], v[56:57], v[62:63]
	v_fma_f64 v[54:55], v[245:246], v[22:23], v[54:55]
	v_fma_f64 v[62:63], v[243:244], v[22:23], -v[24:25]
	ds_load_b128 v[243:246], v1 offset:1824
	scratch_load_b128 v[22:25], off, off offset:896
	s_waitcnt vmcnt(8) lgkmcnt(1)
	v_mul_f64 v[58:59], v[6:7], v[28:29]
	v_mul_f64 v[28:29], v[8:9], v[28:29]
	v_add_f64 v[52:53], v[52:53], v[60:61]
	v_add_f64 v[56:57], v[56:57], v[64:65]
	v_mul_f64 v[60:61], v[179:180], v[36:37]
	v_mul_f64 v[36:37], v[181:182], v[36:37]
	v_fma_f64 v[58:59], v[8:9], v[26:27], v[58:59]
	v_fma_f64 v[64:65], v[6:7], v[26:27], -v[28:29]
	scratch_load_b128 v[26:29], off, off offset:912
	ds_load_b128 v[6:9], v1 offset:1808
	v_add_f64 v[52:53], v[52:53], v[54:55]
	v_add_f64 v[56:57], v[56:57], v[62:63]
	v_fma_f64 v[60:61], v[181:182], v[34:35], v[60:61]
	v_fma_f64 v[62:63], v[179:180], v[34:35], -v[36:37]
	ds_load_b128 v[179:182], v1 offset:1856
	s_waitcnt vmcnt(8) lgkmcnt(1)
	v_mul_f64 v[54:55], v[6:7], v[20:21]
	v_mul_f64 v[20:21], v[8:9], v[20:21]
	scratch_load_b128 v[34:37], off, off offset:928
	v_add_f64 v[52:53], v[52:53], v[58:59]
	v_add_f64 v[56:57], v[56:57], v[64:65]
	s_waitcnt vmcnt(8)
	v_mul_f64 v[58:59], v[243:244], v[48:49]
	v_mul_f64 v[48:49], v[245:246], v[48:49]
	v_fma_f64 v[54:55], v[8:9], v[18:19], v[54:55]
	v_fma_f64 v[64:65], v[6:7], v[18:19], -v[20:21]
	scratch_load_b128 v[18:21], off, off offset:944
	ds_load_b128 v[6:9], v1 offset:1840
	v_add_f64 v[52:53], v[52:53], v[60:61]
	v_add_f64 v[56:57], v[56:57], v[62:63]
	v_fma_f64 v[58:59], v[245:246], v[46:47], v[58:59]
	v_fma_f64 v[62:63], v[243:244], v[46:47], -v[48:49]
	ds_load_b128 v[243:246], v1 offset:1888
	s_waitcnt vmcnt(8) lgkmcnt(1)
	v_mul_f64 v[60:61], v[6:7], v[12:13]
	v_mul_f64 v[12:13], v[8:9], v[12:13]
	scratch_load_b128 v[46:49], off, off offset:960
	v_add_f64 v[52:53], v[52:53], v[54:55]
	v_add_f64 v[56:57], v[56:57], v[64:65]
	s_waitcnt vmcnt(8)
	;; [unrolled: 18-line block ×3, first 2 shown]
	v_mul_f64 v[60:61], v[243:244], v[16:17]
	v_mul_f64 v[16:17], v[245:246], v[16:17]
	v_fma_f64 v[58:59], v[8:9], v[42:43], v[58:59]
	v_fma_f64 v[64:65], v[6:7], v[42:43], -v[44:45]
	scratch_load_b128 v[42:45], off, off offset:1008
	ds_load_b128 v[6:9], v1 offset:1904
	v_add_f64 v[52:53], v[52:53], v[54:55]
	v_add_f64 v[56:57], v[56:57], v[62:63]
	s_waitcnt vmcnt(8) lgkmcnt(0)
	v_mul_f64 v[54:55], v[6:7], v[32:33]
	v_mul_f64 v[32:33], v[8:9], v[32:33]
	v_fma_f64 v[60:61], v[245:246], v[14:15], v[60:61]
	v_fma_f64 v[14:15], v[243:244], v[14:15], -v[16:17]
	v_add_f64 v[52:53], v[52:53], v[58:59]
	v_add_f64 v[16:17], v[56:57], v[64:65]
	s_waitcnt vmcnt(7)
	v_mul_f64 v[56:57], v[179:180], v[24:25]
	v_mul_f64 v[24:25], v[181:182], v[24:25]
	v_fma_f64 v[54:55], v[8:9], v[30:31], v[54:55]
	v_fma_f64 v[30:31], v[6:7], v[30:31], -v[32:33]
	v_add_f64 v[52:53], v[52:53], v[60:61]
	v_add_f64 v[32:33], v[16:17], v[14:15]
	ds_load_b128 v[6:9], v1 offset:1936
	ds_load_b128 v[14:17], v1 offset:1952
	v_fma_f64 v[56:57], v[181:182], v[22:23], v[56:57]
	v_fma_f64 v[22:23], v[179:180], v[22:23], -v[24:25]
	s_waitcnt vmcnt(6) lgkmcnt(1)
	v_mul_f64 v[58:59], v[6:7], v[28:29]
	v_mul_f64 v[28:29], v[8:9], v[28:29]
	v_add_f64 v[24:25], v[32:33], v[30:31]
	v_add_f64 v[30:31], v[52:53], v[54:55]
	s_waitcnt vmcnt(5) lgkmcnt(0)
	v_mul_f64 v[32:33], v[14:15], v[36:37]
	v_mul_f64 v[36:37], v[16:17], v[36:37]
	v_fma_f64 v[52:53], v[8:9], v[26:27], v[58:59]
	v_fma_f64 v[26:27], v[6:7], v[26:27], -v[28:29]
	v_add_f64 v[28:29], v[24:25], v[22:23]
	v_add_f64 v[30:31], v[30:31], v[56:57]
	ds_load_b128 v[6:9], v1 offset:1968
	ds_load_b128 v[22:25], v1 offset:1984
	v_fma_f64 v[16:17], v[16:17], v[34:35], v[32:33]
	v_fma_f64 v[14:15], v[14:15], v[34:35], -v[36:37]
	s_waitcnt vmcnt(4) lgkmcnt(1)
	v_mul_f64 v[54:55], v[6:7], v[20:21]
	v_mul_f64 v[20:21], v[8:9], v[20:21]
	s_waitcnt vmcnt(3) lgkmcnt(0)
	v_mul_f64 v[32:33], v[24:25], v[48:49]
	v_add_f64 v[26:27], v[28:29], v[26:27]
	v_add_f64 v[28:29], v[30:31], v[52:53]
	v_mul_f64 v[30:31], v[22:23], v[48:49]
	v_fma_f64 v[34:35], v[8:9], v[18:19], v[54:55]
	v_fma_f64 v[18:19], v[6:7], v[18:19], -v[20:21]
	v_fma_f64 v[22:23], v[22:23], v[46:47], -v[32:33]
	v_add_f64 v[20:21], v[26:27], v[14:15]
	v_add_f64 v[26:27], v[28:29], v[16:17]
	ds_load_b128 v[6:9], v1 offset:2000
	ds_load_b128 v[14:17], v1 offset:2016
	v_fma_f64 v[24:25], v[24:25], v[46:47], v[30:31]
	s_waitcnt vmcnt(2) lgkmcnt(1)
	v_mul_f64 v[28:29], v[6:7], v[12:13]
	v_mul_f64 v[12:13], v[8:9], v[12:13]
	s_waitcnt vmcnt(1) lgkmcnt(0)
	v_mul_f64 v[30:31], v[16:17], v[40:41]
	v_add_f64 v[18:19], v[20:21], v[18:19]
	v_add_f64 v[20:21], v[26:27], v[34:35]
	v_mul_f64 v[26:27], v[14:15], v[40:41]
	v_fma_f64 v[28:29], v[8:9], v[10:11], v[28:29]
	v_fma_f64 v[10:11], v[6:7], v[10:11], -v[12:13]
	ds_load_b128 v[6:9], v1 offset:2032
	v_fma_f64 v[14:15], v[14:15], v[38:39], -v[30:31]
	v_add_f64 v[12:13], v[18:19], v[22:23]
	v_add_f64 v[18:19], v[20:21], v[24:25]
	v_fma_f64 v[16:17], v[16:17], v[38:39], v[26:27]
	s_waitcnt vmcnt(0) lgkmcnt(0)
	v_mul_f64 v[20:21], v[6:7], v[44:45]
	v_mul_f64 v[22:23], v[8:9], v[44:45]
	v_add_f64 v[10:11], v[12:13], v[10:11]
	v_add_f64 v[12:13], v[18:19], v[28:29]
	s_delay_alu instid0(VALU_DEP_4) | instskip(NEXT) | instid1(VALU_DEP_4)
	v_fma_f64 v[8:9], v[8:9], v[42:43], v[20:21]
	v_fma_f64 v[6:7], v[6:7], v[42:43], -v[22:23]
	s_delay_alu instid0(VALU_DEP_4) | instskip(NEXT) | instid1(VALU_DEP_4)
	v_add_f64 v[10:11], v[10:11], v[14:15]
	v_add_f64 v[12:13], v[12:13], v[16:17]
	s_delay_alu instid0(VALU_DEP_2) | instskip(NEXT) | instid1(VALU_DEP_2)
	v_add_f64 v[6:7], v[10:11], v[6:7]
	v_add_f64 v[8:9], v[12:13], v[8:9]
	s_delay_alu instid0(VALU_DEP_2) | instskip(NEXT) | instid1(VALU_DEP_2)
	v_add_f64 v[2:3], v[2:3], -v[6:7]
	v_add_f64 v[4:5], v[4:5], -v[8:9]
	scratch_store_b128 off, v[2:5], off offset:32
	v_cmpx_lt_u32_e32 1, v178
	s_cbranch_execz .LBB63_406
; %bb.405:
	v_add_nc_u32_e64 v2, 0, 16
	v_mov_b32_e32 v3, v1
	v_mov_b32_e32 v4, v1
	scratch_load_b128 v[5:8], v2, off
	v_mov_b32_e32 v2, v1
	scratch_store_b128 off, v[1:4], off offset:16
	s_waitcnt vmcnt(0)
	ds_store_b128 v242, v[5:8]
.LBB63_406:
	s_or_b32 exec_lo, exec_lo, s2
	s_waitcnt lgkmcnt(0)
	s_waitcnt_vscnt null, 0x0
	s_barrier
	buffer_gl0_inv
	s_clause 0x8
	scratch_load_b128 v[34:37], off, off offset:32
	scratch_load_b128 v[38:41], off, off offset:48
	;; [unrolled: 1-line block ×9, first 2 shown]
	ds_load_b128 v[46:49], v1 offset:1056
	ds_load_b128 v[42:45], v1 offset:1072
	s_clause 0x1
	scratch_load_b128 v[2:5], off, off offset:16
	scratch_load_b128 v[179:182], off, off offset:176
	s_mov_b32 s2, exec_lo
	ds_load_b128 v[243:246], v1 offset:1104
	ds_load_b128 v[247:250], v1 offset:1232
	s_waitcnt vmcnt(10) lgkmcnt(3)
	v_mul_f64 v[52:53], v[48:49], v[36:37]
	v_mul_f64 v[36:37], v[46:47], v[36:37]
	s_waitcnt vmcnt(9) lgkmcnt(2)
	v_mul_f64 v[54:55], v[42:43], v[40:41]
	v_mul_f64 v[40:41], v[44:45], v[40:41]
	s_waitcnt vmcnt(7) lgkmcnt(1)
	v_mul_f64 v[60:61], v[245:246], v[28:29]
	v_fma_f64 v[52:53], v[46:47], v[34:35], -v[52:53]
	v_fma_f64 v[56:57], v[48:49], v[34:35], v[36:37]
	ds_load_b128 v[34:37], v1 offset:1088
	scratch_load_b128 v[46:49], off, off offset:192
	v_fma_f64 v[44:45], v[44:45], v[38:39], v[54:55]
	v_fma_f64 v[42:43], v[42:43], v[38:39], -v[40:41]
	scratch_load_b128 v[38:41], off, off offset:208
	v_fma_f64 v[60:61], v[243:244], v[26:27], -v[60:61]
	s_waitcnt lgkmcnt(0)
	v_mul_f64 v[58:59], v[34:35], v[32:33]
	v_mul_f64 v[32:33], v[36:37], v[32:33]
	v_add_f64 v[52:53], v[52:53], 0
	v_add_f64 v[54:55], v[56:57], 0
	v_mul_f64 v[56:57], v[243:244], v[28:29]
	v_fma_f64 v[36:37], v[36:37], v[30:31], v[58:59]
	v_fma_f64 v[58:59], v[34:35], v[30:31], -v[32:33]
	ds_load_b128 v[28:31], v1 offset:1120
	scratch_load_b128 v[32:35], off, off offset:224
	v_add_f64 v[52:53], v[52:53], v[42:43]
	v_add_f64 v[54:55], v[54:55], v[44:45]
	ds_load_b128 v[42:45], v1 offset:1136
	v_fma_f64 v[56:57], v[245:246], v[26:27], v[56:57]
	ds_load_b128 v[243:246], v1 offset:1168
	s_waitcnt vmcnt(9) lgkmcnt(2)
	v_mul_f64 v[62:63], v[28:29], v[24:25]
	v_mul_f64 v[64:65], v[30:31], v[24:25]
	scratch_load_b128 v[24:27], off, off offset:240
	v_add_f64 v[52:53], v[52:53], v[58:59]
	v_add_f64 v[36:37], v[54:55], v[36:37]
	s_waitcnt vmcnt(9) lgkmcnt(1)
	v_mul_f64 v[54:55], v[42:43], v[20:21]
	v_mul_f64 v[58:59], v[44:45], v[20:21]
	v_fma_f64 v[62:63], v[30:31], v[22:23], v[62:63]
	v_fma_f64 v[64:65], v[28:29], v[22:23], -v[64:65]
	ds_load_b128 v[20:23], v1 offset:1152
	scratch_load_b128 v[28:31], off, off offset:256
	v_add_f64 v[52:53], v[52:53], v[60:61]
	v_add_f64 v[36:37], v[36:37], v[56:57]
	s_waitcnt vmcnt(9) lgkmcnt(0)
	v_mul_f64 v[56:57], v[20:21], v[16:17]
	v_mul_f64 v[60:61], v[22:23], v[16:17]
	v_fma_f64 v[44:45], v[44:45], v[18:19], v[54:55]
	v_fma_f64 v[42:43], v[42:43], v[18:19], -v[58:59]
	scratch_load_b128 v[16:19], off, off offset:272
	s_waitcnt vmcnt(9)
	v_mul_f64 v[54:55], v[243:244], v[12:13]
	v_mul_f64 v[58:59], v[245:246], v[12:13]
	v_add_f64 v[52:53], v[52:53], v[64:65]
	v_add_f64 v[36:37], v[36:37], v[62:63]
	v_fma_f64 v[56:57], v[22:23], v[14:15], v[56:57]
	v_fma_f64 v[60:61], v[20:21], v[14:15], -v[60:61]
	ds_load_b128 v[12:15], v1 offset:1184
	scratch_load_b128 v[20:23], off, off offset:288
	v_fma_f64 v[54:55], v[245:246], v[10:11], v[54:55]
	v_fma_f64 v[58:59], v[243:244], v[10:11], -v[58:59]
	scratch_load_b128 v[243:246], off, off offset:320
	v_add_f64 v[52:53], v[52:53], v[42:43]
	v_add_f64 v[36:37], v[36:37], v[44:45]
	ds_load_b128 v[42:45], v1 offset:1200
	s_waitcnt vmcnt(10) lgkmcnt(1)
	v_mul_f64 v[62:63], v[12:13], v[8:9]
	v_mul_f64 v[64:65], v[14:15], v[8:9]
	scratch_load_b128 v[8:11], off, off offset:304
	v_add_f64 v[52:53], v[52:53], v[60:61]
	v_add_f64 v[36:37], v[36:37], v[56:57]
	s_waitcnt vmcnt(9) lgkmcnt(0)
	v_mul_f64 v[56:57], v[42:43], v[181:182]
	v_mul_f64 v[60:61], v[44:45], v[181:182]
	v_fma_f64 v[62:63], v[14:15], v[6:7], v[62:63]
	v_fma_f64 v[6:7], v[12:13], v[6:7], -v[64:65]
	ds_load_b128 v[12:15], v1 offset:1216
	v_add_f64 v[52:53], v[52:53], v[58:59]
	v_add_f64 v[36:37], v[36:37], v[54:55]
	v_fma_f64 v[56:57], v[44:45], v[179:180], v[56:57]
	v_fma_f64 v[58:59], v[42:43], v[179:180], -v[60:61]
	scratch_load_b128 v[42:45], off, off offset:336
	ds_load_b128 v[179:182], v1 offset:1264
	s_waitcnt vmcnt(9) lgkmcnt(1)
	v_mul_f64 v[54:55], v[12:13], v[48:49]
	v_mul_f64 v[48:49], v[14:15], v[48:49]
	v_add_f64 v[6:7], v[52:53], v[6:7]
	v_add_f64 v[36:37], v[36:37], v[62:63]
	s_waitcnt vmcnt(8)
	v_mul_f64 v[52:53], v[247:248], v[40:41]
	v_mul_f64 v[40:41], v[249:250], v[40:41]
	v_fma_f64 v[54:55], v[14:15], v[46:47], v[54:55]
	v_fma_f64 v[60:61], v[12:13], v[46:47], -v[48:49]
	ds_load_b128 v[12:15], v1 offset:1248
	scratch_load_b128 v[46:49], off, off offset:352
	v_add_f64 v[6:7], v[6:7], v[58:59]
	v_add_f64 v[36:37], v[36:37], v[56:57]
	v_fma_f64 v[52:53], v[249:250], v[38:39], v[52:53]
	s_waitcnt vmcnt(8) lgkmcnt(0)
	v_mul_f64 v[56:57], v[12:13], v[34:35]
	v_mul_f64 v[58:59], v[14:15], v[34:35]
	v_fma_f64 v[38:39], v[247:248], v[38:39], -v[40:41]
	ds_load_b128 v[247:250], v1 offset:1296
	v_add_f64 v[6:7], v[6:7], v[60:61]
	v_add_f64 v[40:41], v[36:37], v[54:55]
	scratch_load_b128 v[34:37], off, off offset:368
	s_waitcnt vmcnt(8)
	v_mul_f64 v[54:55], v[179:180], v[26:27]
	v_mul_f64 v[26:27], v[181:182], v[26:27]
	v_fma_f64 v[56:57], v[14:15], v[32:33], v[56:57]
	v_fma_f64 v[32:33], v[12:13], v[32:33], -v[58:59]
	ds_load_b128 v[12:15], v1 offset:1280
	s_waitcnt vmcnt(7) lgkmcnt(0)
	v_mul_f64 v[58:59], v[12:13], v[30:31]
	v_mul_f64 v[30:31], v[14:15], v[30:31]
	v_add_f64 v[6:7], v[6:7], v[38:39]
	v_add_f64 v[52:53], v[40:41], v[52:53]
	scratch_load_b128 v[38:41], off, off offset:384
	v_fma_f64 v[54:55], v[181:182], v[24:25], v[54:55]
	v_fma_f64 v[60:61], v[179:180], v[24:25], -v[26:27]
	scratch_load_b128 v[24:27], off, off offset:400
	ds_load_b128 v[179:182], v1 offset:1328
	v_add_f64 v[6:7], v[6:7], v[32:33]
	v_add_f64 v[32:33], v[52:53], v[56:57]
	s_waitcnt vmcnt(8)
	v_mul_f64 v[52:53], v[247:248], v[18:19]
	v_mul_f64 v[18:19], v[249:250], v[18:19]
	v_fma_f64 v[56:57], v[14:15], v[28:29], v[58:59]
	v_fma_f64 v[58:59], v[12:13], v[28:29], -v[30:31]
	ds_load_b128 v[12:15], v1 offset:1312
	scratch_load_b128 v[28:31], off, off offset:416
	v_add_f64 v[6:7], v[6:7], v[60:61]
	v_add_f64 v[32:33], v[32:33], v[54:55]
	s_waitcnt vmcnt(8) lgkmcnt(0)
	v_mul_f64 v[54:55], v[12:13], v[22:23]
	v_mul_f64 v[22:23], v[14:15], v[22:23]
	v_fma_f64 v[52:53], v[249:250], v[16:17], v[52:53]
	v_fma_f64 v[60:61], v[247:248], v[16:17], -v[18:19]
	scratch_load_b128 v[16:19], off, off offset:432
	ds_load_b128 v[247:250], v1 offset:1360
	v_add_f64 v[6:7], v[6:7], v[58:59]
	v_add_f64 v[32:33], v[32:33], v[56:57]
	s_waitcnt vmcnt(7)
	v_mul_f64 v[56:57], v[179:180], v[10:11]
	v_mul_f64 v[58:59], v[181:182], v[10:11]
	v_fma_f64 v[14:15], v[14:15], v[20:21], v[54:55]
	v_fma_f64 v[54:55], v[12:13], v[20:21], -v[22:23]
	ds_load_b128 v[10:13], v1 offset:1344
	scratch_load_b128 v[20:23], off, off offset:448
	v_add_f64 v[6:7], v[6:7], v[60:61]
	v_add_f64 v[32:33], v[32:33], v[52:53]
	s_waitcnt lgkmcnt(0)
	v_mul_f64 v[52:53], v[10:11], v[245:246]
	v_mul_f64 v[60:61], v[12:13], v[245:246]
	v_fma_f64 v[56:57], v[181:182], v[8:9], v[56:57]
	v_fma_f64 v[58:59], v[179:180], v[8:9], -v[58:59]
	scratch_load_b128 v[179:182], off, off offset:480
	v_add_f64 v[54:55], v[6:7], v[54:55]
	v_add_f64 v[14:15], v[32:33], v[14:15]
	scratch_load_b128 v[6:9], off, off offset:464
	s_waitcnt vmcnt(9)
	v_mul_f64 v[32:33], v[247:248], v[44:45]
	v_mul_f64 v[44:45], v[249:250], v[44:45]
	v_fma_f64 v[52:53], v[12:13], v[243:244], v[52:53]
	v_fma_f64 v[60:61], v[10:11], v[243:244], -v[60:61]
	ds_load_b128 v[10:13], v1 offset:1376
	ds_load_b128 v[243:246], v1 offset:1392
	v_add_f64 v[54:55], v[54:55], v[58:59]
	v_add_f64 v[14:15], v[14:15], v[56:57]
	s_waitcnt vmcnt(8) lgkmcnt(1)
	v_mul_f64 v[56:57], v[10:11], v[48:49]
	v_mul_f64 v[48:49], v[12:13], v[48:49]
	v_fma_f64 v[32:33], v[249:250], v[42:43], v[32:33]
	v_fma_f64 v[58:59], v[247:248], v[42:43], -v[44:45]
	scratch_load_b128 v[42:45], off, off offset:496
	ds_load_b128 v[247:250], v1 offset:1424
	v_add_f64 v[54:55], v[54:55], v[60:61]
	v_add_f64 v[14:15], v[14:15], v[52:53]
	v_fma_f64 v[56:57], v[12:13], v[46:47], v[56:57]
	v_fma_f64 v[60:61], v[10:11], v[46:47], -v[48:49]
	ds_load_b128 v[10:13], v1 offset:1408
	scratch_load_b128 v[46:49], off, off offset:512
	s_waitcnt vmcnt(9) lgkmcnt(2)
	v_mul_f64 v[52:53], v[243:244], v[36:37]
	v_mul_f64 v[36:37], v[245:246], v[36:37]
	v_add_f64 v[54:55], v[54:55], v[58:59]
	v_add_f64 v[14:15], v[14:15], v[32:33]
	s_waitcnt vmcnt(8) lgkmcnt(0)
	v_mul_f64 v[58:59], v[10:11], v[40:41]
	v_mul_f64 v[40:41], v[12:13], v[40:41]
	v_fma_f64 v[52:53], v[245:246], v[34:35], v[52:53]
	v_fma_f64 v[36:37], v[243:244], v[34:35], -v[36:37]
	scratch_load_b128 v[32:35], off, off offset:528
	ds_load_b128 v[243:246], v1 offset:1456
	v_add_f64 v[54:55], v[54:55], v[60:61]
	v_add_f64 v[14:15], v[14:15], v[56:57]
	s_waitcnt vmcnt(8)
	v_mul_f64 v[56:57], v[247:248], v[26:27]
	v_mul_f64 v[26:27], v[249:250], v[26:27]
	v_fma_f64 v[58:59], v[12:13], v[38:39], v[58:59]
	v_fma_f64 v[40:41], v[10:11], v[38:39], -v[40:41]
	ds_load_b128 v[10:13], v1 offset:1440
	v_add_f64 v[54:55], v[54:55], v[36:37]
	v_add_f64 v[14:15], v[14:15], v[52:53]
	scratch_load_b128 v[36:39], off, off offset:544
	s_waitcnt vmcnt(8) lgkmcnt(0)
	v_mul_f64 v[52:53], v[10:11], v[30:31]
	v_mul_f64 v[30:31], v[12:13], v[30:31]
	v_fma_f64 v[56:57], v[249:250], v[24:25], v[56:57]
	v_fma_f64 v[60:61], v[247:248], v[24:25], -v[26:27]
	scratch_load_b128 v[24:27], off, off offset:560
	ds_load_b128 v[247:250], v1 offset:1488
	v_add_f64 v[40:41], v[54:55], v[40:41]
	v_add_f64 v[14:15], v[14:15], v[58:59]
	s_waitcnt vmcnt(8)
	v_mul_f64 v[54:55], v[243:244], v[18:19]
	v_mul_f64 v[18:19], v[245:246], v[18:19]
	v_fma_f64 v[52:53], v[12:13], v[28:29], v[52:53]
	v_fma_f64 v[58:59], v[10:11], v[28:29], -v[30:31]
	ds_load_b128 v[10:13], v1 offset:1472
	scratch_load_b128 v[28:31], off, off offset:576
	v_add_f64 v[40:41], v[40:41], v[60:61]
	v_add_f64 v[14:15], v[14:15], v[56:57]
	s_waitcnt vmcnt(8) lgkmcnt(0)
	v_mul_f64 v[56:57], v[10:11], v[22:23]
	v_mul_f64 v[22:23], v[12:13], v[22:23]
	v_fma_f64 v[54:55], v[245:246], v[16:17], v[54:55]
	v_fma_f64 v[18:19], v[243:244], v[16:17], -v[18:19]
	ds_load_b128 v[243:246], v1 offset:1520
	v_add_f64 v[40:41], v[40:41], v[58:59]
	v_add_f64 v[52:53], v[14:15], v[52:53]
	scratch_load_b128 v[14:17], off, off offset:592
	v_fma_f64 v[12:13], v[12:13], v[20:21], v[56:57]
	v_fma_f64 v[22:23], v[10:11], v[20:21], -v[22:23]
	s_waitcnt vmcnt(7)
	v_mul_f64 v[58:59], v[247:248], v[8:9]
	v_mul_f64 v[60:61], v[249:250], v[8:9]
	ds_load_b128 v[8:11], v1 offset:1504
	v_add_f64 v[40:41], v[40:41], v[18:19]
	v_add_f64 v[52:53], v[52:53], v[54:55]
	scratch_load_b128 v[18:21], off, off offset:608
	s_waitcnt lgkmcnt(0)
	v_mul_f64 v[54:55], v[8:9], v[181:182]
	v_mul_f64 v[56:57], v[10:11], v[181:182]
	v_fma_f64 v[58:59], v[249:250], v[6:7], v[58:59]
	v_fma_f64 v[6:7], v[247:248], v[6:7], -v[60:61]
	scratch_load_b128 v[247:250], off, off offset:624
	v_add_f64 v[22:23], v[40:41], v[22:23]
	v_add_f64 v[12:13], v[52:53], v[12:13]
	s_waitcnt vmcnt(8)
	v_mul_f64 v[40:41], v[243:244], v[44:45]
	v_mul_f64 v[44:45], v[245:246], v[44:45]
	v_fma_f64 v[52:53], v[10:11], v[179:180], v[54:55]
	v_fma_f64 v[54:55], v[8:9], v[179:180], -v[56:57]
	ds_load_b128 v[179:182], v1 offset:1552
	v_add_f64 v[22:23], v[22:23], v[6:7]
	v_add_f64 v[56:57], v[12:13], v[58:59]
	ds_load_b128 v[6:9], v1 offset:1536
	scratch_load_b128 v[10:13], off, off offset:640
	v_fma_f64 v[60:61], v[245:246], v[42:43], v[40:41]
	v_fma_f64 v[44:45], v[243:244], v[42:43], -v[44:45]
	scratch_load_b128 v[40:43], off, off offset:656
	ds_load_b128 v[243:246], v1 offset:1584
	s_waitcnt vmcnt(9) lgkmcnt(1)
	v_mul_f64 v[58:59], v[6:7], v[48:49]
	v_mul_f64 v[48:49], v[8:9], v[48:49]
	v_add_f64 v[22:23], v[22:23], v[54:55]
	v_add_f64 v[52:53], v[56:57], v[52:53]
	s_waitcnt vmcnt(8)
	v_mul_f64 v[54:55], v[179:180], v[34:35]
	v_mul_f64 v[34:35], v[181:182], v[34:35]
	v_fma_f64 v[56:57], v[8:9], v[46:47], v[58:59]
	v_fma_f64 v[48:49], v[6:7], v[46:47], -v[48:49]
	ds_load_b128 v[6:9], v1 offset:1568
	v_add_f64 v[22:23], v[22:23], v[44:45]
	v_add_f64 v[52:53], v[52:53], v[60:61]
	scratch_load_b128 v[44:47], off, off offset:672
	v_fma_f64 v[54:55], v[181:182], v[32:33], v[54:55]
	v_fma_f64 v[60:61], v[179:180], v[32:33], -v[34:35]
	scratch_load_b128 v[32:35], off, off offset:688
	ds_load_b128 v[179:182], v1 offset:1616
	s_waitcnt vmcnt(9) lgkmcnt(1)
	v_mul_f64 v[58:59], v[6:7], v[38:39]
	v_mul_f64 v[38:39], v[8:9], v[38:39]
	v_add_f64 v[22:23], v[22:23], v[48:49]
	v_add_f64 v[48:49], v[52:53], v[56:57]
	s_waitcnt vmcnt(8)
	v_mul_f64 v[52:53], v[243:244], v[26:27]
	v_mul_f64 v[26:27], v[245:246], v[26:27]
	v_fma_f64 v[56:57], v[8:9], v[36:37], v[58:59]
	v_fma_f64 v[58:59], v[6:7], v[36:37], -v[38:39]
	ds_load_b128 v[6:9], v1 offset:1600
	scratch_load_b128 v[36:39], off, off offset:704
	v_add_f64 v[22:23], v[22:23], v[60:61]
	v_add_f64 v[48:49], v[48:49], v[54:55]
	s_waitcnt vmcnt(8) lgkmcnt(0)
	v_mul_f64 v[54:55], v[6:7], v[30:31]
	v_mul_f64 v[30:31], v[8:9], v[30:31]
	v_fma_f64 v[52:53], v[245:246], v[24:25], v[52:53]
	v_fma_f64 v[26:27], v[243:244], v[24:25], -v[26:27]
	ds_load_b128 v[243:246], v1 offset:1648
	v_add_f64 v[58:59], v[22:23], v[58:59]
	scratch_load_b128 v[22:25], off, off offset:720
	v_add_f64 v[48:49], v[48:49], v[56:57]
	v_fma_f64 v[54:55], v[8:9], v[28:29], v[54:55]
	v_fma_f64 v[30:31], v[6:7], v[28:29], -v[30:31]
	ds_load_b128 v[6:9], v1 offset:1632
	s_waitcnt vmcnt(8)
	v_mul_f64 v[56:57], v[179:180], v[16:17]
	v_mul_f64 v[16:17], v[181:182], v[16:17]
	v_add_f64 v[58:59], v[58:59], v[26:27]
	scratch_load_b128 v[26:29], off, off offset:736
	v_add_f64 v[48:49], v[48:49], v[52:53]
	s_waitcnt vmcnt(8) lgkmcnt(0)
	v_mul_f64 v[52:53], v[6:7], v[20:21]
	v_mul_f64 v[20:21], v[8:9], v[20:21]
	v_fma_f64 v[56:57], v[181:182], v[14:15], v[56:57]
	v_fma_f64 v[60:61], v[179:180], v[14:15], -v[16:17]
	scratch_load_b128 v[14:17], off, off offset:752
	ds_load_b128 v[179:182], v1 offset:1680
	v_add_f64 v[30:31], v[58:59], v[30:31]
	s_waitcnt vmcnt(8)
	v_mul_f64 v[58:59], v[245:246], v[249:250]
	v_add_f64 v[48:49], v[48:49], v[54:55]
	v_mul_f64 v[54:55], v[243:244], v[249:250]
	v_fma_f64 v[52:53], v[8:9], v[18:19], v[52:53]
	v_fma_f64 v[62:63], v[6:7], v[18:19], -v[20:21]
	ds_load_b128 v[6:9], v1 offset:1664
	scratch_load_b128 v[18:21], off, off offset:768
	v_add_f64 v[30:31], v[30:31], v[60:61]
	v_fma_f64 v[58:59], v[243:244], v[247:248], -v[58:59]
	v_add_f64 v[48:49], v[48:49], v[56:57]
	v_fma_f64 v[54:55], v[245:246], v[247:248], v[54:55]
	scratch_load_b128 v[243:246], off, off offset:784
	ds_load_b128 v[247:250], v1 offset:1712
	s_waitcnt vmcnt(9) lgkmcnt(1)
	v_mul_f64 v[56:57], v[6:7], v[12:13]
	v_mul_f64 v[12:13], v[8:9], v[12:13]
	v_add_f64 v[30:31], v[30:31], v[62:63]
	v_add_f64 v[48:49], v[48:49], v[52:53]
	s_waitcnt vmcnt(8)
	v_mul_f64 v[52:53], v[179:180], v[42:43]
	v_mul_f64 v[42:43], v[181:182], v[42:43]
	v_fma_f64 v[56:57], v[8:9], v[10:11], v[56:57]
	v_fma_f64 v[60:61], v[6:7], v[10:11], -v[12:13]
	ds_load_b128 v[6:9], v1 offset:1696
	scratch_load_b128 v[10:13], off, off offset:800
	v_add_f64 v[30:31], v[30:31], v[58:59]
	v_add_f64 v[48:49], v[48:49], v[54:55]
	v_fma_f64 v[52:53], v[181:182], v[40:41], v[52:53]
	v_fma_f64 v[58:59], v[179:180], v[40:41], -v[42:43]
	scratch_load_b128 v[40:43], off, off offset:816
	ds_load_b128 v[179:182], v1 offset:1744
	s_waitcnt vmcnt(9) lgkmcnt(1)
	v_mul_f64 v[54:55], v[6:7], v[46:47]
	v_mul_f64 v[46:47], v[8:9], v[46:47]
	v_add_f64 v[30:31], v[30:31], v[60:61]
	v_add_f64 v[48:49], v[48:49], v[56:57]
	s_waitcnt vmcnt(8)
	v_mul_f64 v[56:57], v[247:248], v[34:35]
	v_mul_f64 v[34:35], v[249:250], v[34:35]
	v_fma_f64 v[54:55], v[8:9], v[44:45], v[54:55]
	v_fma_f64 v[60:61], v[6:7], v[44:45], -v[46:47]
	ds_load_b128 v[6:9], v1 offset:1728
	scratch_load_b128 v[44:47], off, off offset:832
	v_add_f64 v[30:31], v[30:31], v[58:59]
	v_add_f64 v[48:49], v[48:49], v[52:53]
	s_waitcnt vmcnt(8) lgkmcnt(0)
	v_mul_f64 v[52:53], v[6:7], v[38:39]
	v_mul_f64 v[38:39], v[8:9], v[38:39]
	v_fma_f64 v[56:57], v[249:250], v[32:33], v[56:57]
	v_fma_f64 v[34:35], v[247:248], v[32:33], -v[34:35]
	ds_load_b128 v[247:250], v1 offset:1776
	v_add_f64 v[58:59], v[30:31], v[60:61]
	scratch_load_b128 v[30:33], off, off offset:848
	v_add_f64 v[48:49], v[48:49], v[54:55]
	v_fma_f64 v[52:53], v[8:9], v[36:37], v[52:53]
	v_fma_f64 v[38:39], v[6:7], v[36:37], -v[38:39]
	ds_load_b128 v[6:9], v1 offset:1760
	s_waitcnt vmcnt(8)
	v_mul_f64 v[54:55], v[179:180], v[24:25]
	v_mul_f64 v[24:25], v[181:182], v[24:25]
	v_add_f64 v[58:59], v[58:59], v[34:35]
	scratch_load_b128 v[34:37], off, off offset:864
	v_add_f64 v[48:49], v[48:49], v[56:57]
	s_waitcnt vmcnt(8) lgkmcnt(0)
	v_mul_f64 v[56:57], v[6:7], v[28:29]
	v_mul_f64 v[28:29], v[8:9], v[28:29]
	v_fma_f64 v[54:55], v[181:182], v[22:23], v[54:55]
	v_fma_f64 v[60:61], v[179:180], v[22:23], -v[24:25]
	scratch_load_b128 v[22:25], off, off offset:880
	ds_load_b128 v[179:182], v1 offset:1808
	v_add_f64 v[38:39], v[58:59], v[38:39]
	v_add_f64 v[48:49], v[48:49], v[52:53]
	s_waitcnt vmcnt(8)
	v_mul_f64 v[52:53], v[247:248], v[16:17]
	v_mul_f64 v[16:17], v[249:250], v[16:17]
	v_fma_f64 v[56:57], v[8:9], v[26:27], v[56:57]
	v_fma_f64 v[58:59], v[6:7], v[26:27], -v[28:29]
	ds_load_b128 v[6:9], v1 offset:1792
	scratch_load_b128 v[26:29], off, off offset:896
	v_add_f64 v[38:39], v[38:39], v[60:61]
	v_add_f64 v[48:49], v[48:49], v[54:55]
	s_waitcnt vmcnt(8) lgkmcnt(0)
	v_mul_f64 v[54:55], v[6:7], v[20:21]
	v_mul_f64 v[20:21], v[8:9], v[20:21]
	v_fma_f64 v[52:53], v[249:250], v[14:15], v[52:53]
	v_fma_f64 v[60:61], v[247:248], v[14:15], -v[16:17]
	scratch_load_b128 v[14:17], off, off offset:912
	ds_load_b128 v[249:252], v1 offset:1872
	v_add_f64 v[38:39], v[38:39], v[58:59]
	s_waitcnt vmcnt(8)
	v_mul_f64 v[58:59], v[181:182], v[245:246]
	v_add_f64 v[48:49], v[48:49], v[56:57]
	v_mul_f64 v[56:57], v[179:180], v[245:246]
	v_fma_f64 v[54:55], v[8:9], v[18:19], v[54:55]
	v_fma_f64 v[62:63], v[6:7], v[18:19], -v[20:21]
	ds_load_b128 v[6:9], v1 offset:1824
	ds_load_b128 v[245:248], v1 offset:1840
	scratch_load_b128 v[18:21], off, off offset:928
	v_add_f64 v[38:39], v[38:39], v[60:61]
	v_fma_f64 v[58:59], v[179:180], v[243:244], -v[58:59]
	v_add_f64 v[48:49], v[48:49], v[52:53]
	s_waitcnt vmcnt(8) lgkmcnt(1)
	v_mul_f64 v[52:53], v[6:7], v[12:13]
	v_mul_f64 v[12:13], v[8:9], v[12:13]
	v_fma_f64 v[56:57], v[181:182], v[243:244], v[56:57]
	scratch_load_b128 v[179:182], off, off offset:944
	v_add_f64 v[38:39], v[38:39], v[62:63]
	v_add_f64 v[48:49], v[48:49], v[54:55]
	s_waitcnt vmcnt(8) lgkmcnt(0)
	v_mul_f64 v[54:55], v[245:246], v[42:43]
	v_mul_f64 v[42:43], v[247:248], v[42:43]
	v_fma_f64 v[52:53], v[8:9], v[10:11], v[52:53]
	v_fma_f64 v[60:61], v[6:7], v[10:11], -v[12:13]
	ds_load_b128 v[6:9], v1 offset:1856
	scratch_load_b128 v[10:13], off, off offset:960
	v_add_f64 v[38:39], v[38:39], v[58:59]
	v_add_f64 v[48:49], v[48:49], v[56:57]
	s_waitcnt vmcnt(8) lgkmcnt(0)
	v_mul_f64 v[56:57], v[6:7], v[46:47]
	v_mul_f64 v[46:47], v[8:9], v[46:47]
	v_fma_f64 v[54:55], v[247:248], v[40:41], v[54:55]
	v_fma_f64 v[42:43], v[245:246], v[40:41], -v[42:43]
	v_add_f64 v[58:59], v[38:39], v[60:61]
	scratch_load_b128 v[38:41], off, off offset:976
	v_add_f64 v[48:49], v[48:49], v[52:53]
	v_fma_f64 v[56:57], v[8:9], v[44:45], v[56:57]
	v_fma_f64 v[60:61], v[6:7], v[44:45], -v[46:47]
	ds_load_b128 v[6:9], v1 offset:1888
	s_waitcnt vmcnt(8)
	v_mul_f64 v[52:53], v[249:250], v[32:33]
	v_mul_f64 v[32:33], v[251:252], v[32:33]
	v_add_f64 v[58:59], v[58:59], v[42:43]
	scratch_load_b128 v[42:45], off, off offset:992
	v_add_f64 v[54:55], v[48:49], v[54:55]
	ds_load_b128 v[46:49], v1 offset:1904
	s_waitcnt vmcnt(8) lgkmcnt(1)
	v_mul_f64 v[62:63], v[6:7], v[36:37]
	v_mul_f64 v[36:37], v[8:9], v[36:37]
	v_fma_f64 v[52:53], v[251:252], v[30:31], v[52:53]
	v_fma_f64 v[64:65], v[249:250], v[30:31], -v[32:33]
	scratch_load_b128 v[30:33], off, off offset:1008
	v_add_f64 v[58:59], v[58:59], v[60:61]
	v_add_f64 v[54:55], v[54:55], v[56:57]
	s_waitcnt vmcnt(8) lgkmcnt(0)
	v_mul_f64 v[56:57], v[46:47], v[24:25]
	v_mul_f64 v[24:25], v[48:49], v[24:25]
	v_fma_f64 v[60:61], v[8:9], v[34:35], v[62:63]
	v_fma_f64 v[62:63], v[6:7], v[34:35], -v[36:37]
	ds_load_b128 v[6:9], v1 offset:1920
	ds_load_b128 v[34:37], v1 offset:1936
	v_add_f64 v[58:59], v[58:59], v[64:65]
	v_add_f64 v[52:53], v[54:55], v[52:53]
	s_waitcnt vmcnt(7) lgkmcnt(1)
	v_mul_f64 v[54:55], v[6:7], v[28:29]
	v_mul_f64 v[28:29], v[8:9], v[28:29]
	v_fma_f64 v[48:49], v[48:49], v[22:23], v[56:57]
	v_fma_f64 v[22:23], v[46:47], v[22:23], -v[24:25]
	v_add_f64 v[24:25], v[58:59], v[62:63]
	v_add_f64 v[46:47], v[52:53], v[60:61]
	s_waitcnt vmcnt(6) lgkmcnt(0)
	v_mul_f64 v[52:53], v[34:35], v[16:17]
	v_mul_f64 v[16:17], v[36:37], v[16:17]
	v_fma_f64 v[54:55], v[8:9], v[26:27], v[54:55]
	v_fma_f64 v[26:27], v[6:7], v[26:27], -v[28:29]
	v_add_f64 v[28:29], v[24:25], v[22:23]
	ds_load_b128 v[6:9], v1 offset:1952
	ds_load_b128 v[22:25], v1 offset:1968
	v_add_f64 v[46:47], v[46:47], v[48:49]
	v_fma_f64 v[36:37], v[36:37], v[14:15], v[52:53]
	v_fma_f64 v[14:15], v[34:35], v[14:15], -v[16:17]
	s_waitcnt vmcnt(5) lgkmcnt(1)
	v_mul_f64 v[48:49], v[6:7], v[20:21]
	v_mul_f64 v[20:21], v[8:9], v[20:21]
	s_waitcnt vmcnt(4) lgkmcnt(0)
	v_mul_f64 v[34:35], v[24:25], v[181:182]
	v_add_f64 v[16:17], v[28:29], v[26:27]
	v_mul_f64 v[28:29], v[22:23], v[181:182]
	v_add_f64 v[26:27], v[46:47], v[54:55]
	v_fma_f64 v[46:47], v[8:9], v[18:19], v[48:49]
	v_fma_f64 v[18:19], v[6:7], v[18:19], -v[20:21]
	v_fma_f64 v[22:23], v[22:23], v[179:180], -v[34:35]
	v_add_f64 v[20:21], v[16:17], v[14:15]
	ds_load_b128 v[6:9], v1 offset:1984
	ds_load_b128 v[14:17], v1 offset:2000
	v_add_f64 v[26:27], v[26:27], v[36:37]
	v_fma_f64 v[24:25], v[24:25], v[179:180], v[28:29]
	s_waitcnt vmcnt(3) lgkmcnt(1)
	v_mul_f64 v[36:37], v[6:7], v[12:13]
	v_mul_f64 v[12:13], v[8:9], v[12:13]
	v_add_f64 v[18:19], v[20:21], v[18:19]
	v_add_f64 v[20:21], v[26:27], v[46:47]
	s_waitcnt vmcnt(2) lgkmcnt(0)
	v_mul_f64 v[26:27], v[14:15], v[40:41]
	v_mul_f64 v[28:29], v[16:17], v[40:41]
	v_fma_f64 v[34:35], v[8:9], v[10:11], v[36:37]
	v_fma_f64 v[36:37], v[6:7], v[10:11], -v[12:13]
	ds_load_b128 v[6:9], v1 offset:2016
	ds_load_b128 v[10:13], v1 offset:2032
	v_add_f64 v[18:19], v[18:19], v[22:23]
	v_add_f64 v[20:21], v[20:21], v[24:25]
	s_waitcnt vmcnt(1) lgkmcnt(1)
	v_mul_f64 v[22:23], v[6:7], v[44:45]
	v_mul_f64 v[24:25], v[8:9], v[44:45]
	v_fma_f64 v[16:17], v[16:17], v[38:39], v[26:27]
	v_fma_f64 v[14:15], v[14:15], v[38:39], -v[28:29]
	s_waitcnt vmcnt(0) lgkmcnt(0)
	v_mul_f64 v[26:27], v[10:11], v[32:33]
	v_add_f64 v[18:19], v[18:19], v[36:37]
	v_mul_f64 v[28:29], v[12:13], v[32:33]
	v_add_f64 v[20:21], v[20:21], v[34:35]
	v_fma_f64 v[8:9], v[8:9], v[42:43], v[22:23]
	v_fma_f64 v[6:7], v[6:7], v[42:43], -v[24:25]
	v_fma_f64 v[12:13], v[12:13], v[30:31], v[26:27]
	v_add_f64 v[14:15], v[18:19], v[14:15]
	v_fma_f64 v[10:11], v[10:11], v[30:31], -v[28:29]
	v_add_f64 v[16:17], v[20:21], v[16:17]
	s_delay_alu instid0(VALU_DEP_3) | instskip(NEXT) | instid1(VALU_DEP_2)
	v_add_f64 v[6:7], v[14:15], v[6:7]
	v_add_f64 v[8:9], v[16:17], v[8:9]
	s_delay_alu instid0(VALU_DEP_2) | instskip(NEXT) | instid1(VALU_DEP_2)
	v_add_f64 v[6:7], v[6:7], v[10:11]
	v_add_f64 v[8:9], v[8:9], v[12:13]
	s_delay_alu instid0(VALU_DEP_2) | instskip(NEXT) | instid1(VALU_DEP_2)
	v_add_f64 v[1:2], v[2:3], -v[6:7]
	v_add_f64 v[3:4], v[4:5], -v[8:9]
	scratch_store_b128 off, v[1:4], off offset:16
	v_cmpx_ne_u32_e32 0, v178
	s_cbranch_execz .LBB63_408
; %bb.407:
	scratch_load_b128 v[1:4], off, off
	v_mov_b32_e32 v5, 0
	s_delay_alu instid0(VALU_DEP_1)
	v_mov_b32_e32 v6, v5
	v_mov_b32_e32 v7, v5
	;; [unrolled: 1-line block ×3, first 2 shown]
	scratch_store_b128 off, v[5:8], off
	s_waitcnt vmcnt(0)
	ds_store_b128 v242, v[1:4]
.LBB63_408:
	s_or_b32 exec_lo, exec_lo, s2
	v_mov_b32_e32 v1, 0
	v_dual_mov_b32 v2, 0 :: v_dual_mov_b32 v5, 0
	s_movk_i32 s2, 0xfc10
	s_waitcnt lgkmcnt(0)
	s_waitcnt_vscnt null, 0x0
	s_barrier
	v_dual_mov_b32 v4, v2 :: v_dual_mov_b32 v3, v1
	buffer_gl0_inv
.LBB63_409:                             ; =>This Inner Loop Header: Depth=1
	v_readfirstlane_b32 s3, v5
	v_mov_b32_e32 v60, s2
	s_delay_alu instid0(VALU_DEP_2)
	s_add_i32 s3, s3, s2
	ds_load_b128 v[38:41], v60 offset:2048
	ds_load_b128 v[46:49], v60 offset:2064
	s_add_i32 s4, s3, 0x400
	s_addk_i32 s2, 0x90
	scratch_load_b128 v[6:9], off, s4
	s_add_i32 s4, s3, 0x410
	scratch_load_b128 v[10:13], off, s4
	s_add_i32 s4, s3, 0x420
	;; [unrolled: 2-line block ×7, first 2 shown]
	s_addk_i32 s3, 0x480
	s_clause 0x1
	scratch_load_b128 v[34:37], off, s4
	scratch_load_b128 v[42:45], off, s3
	s_cmp_lg_u32 s2, 0
	s_waitcnt vmcnt(8) lgkmcnt(1)
	v_mul_f64 v[52:53], v[40:41], v[8:9]
	v_mul_f64 v[8:9], v[38:39], v[8:9]
	s_waitcnt vmcnt(7) lgkmcnt(0)
	v_mul_f64 v[54:55], v[48:49], v[12:13]
	v_mul_f64 v[12:13], v[46:47], v[12:13]
	s_delay_alu instid0(VALU_DEP_4) | instskip(NEXT) | instid1(VALU_DEP_4)
	v_fma_f64 v[52:53], v[38:39], v[6:7], -v[52:53]
	v_fma_f64 v[56:57], v[40:41], v[6:7], v[8:9]
	ds_load_b128 v[6:9], v60 offset:2080
	ds_load_b128 v[38:41], v60 offset:2096
	v_fma_f64 v[46:47], v[46:47], v[10:11], -v[54:55]
	v_fma_f64 v[10:11], v[48:49], v[10:11], v[12:13]
	s_waitcnt vmcnt(6) lgkmcnt(1)
	v_mul_f64 v[58:59], v[8:9], v[16:17]
	v_mul_f64 v[16:17], v[6:7], v[16:17]
	s_waitcnt vmcnt(5) lgkmcnt(0)
	v_mul_f64 v[12:13], v[40:41], v[20:21]
	v_mul_f64 v[20:21], v[38:39], v[20:21]
	v_add_f64 v[3:4], v[3:4], v[52:53]
	v_add_f64 v[1:2], v[1:2], v[56:57]
	v_fma_f64 v[48:49], v[6:7], v[14:15], -v[58:59]
	v_fma_f64 v[14:15], v[8:9], v[14:15], v[16:17]
	v_fma_f64 v[12:13], v[38:39], v[18:19], -v[12:13]
	v_fma_f64 v[18:19], v[40:41], v[18:19], v[20:21]
	v_add_f64 v[16:17], v[3:4], v[46:47]
	v_add_f64 v[10:11], v[1:2], v[10:11]
	ds_load_b128 v[1:4], v60 offset:2112
	ds_load_b128 v[6:9], v60 offset:2128
	s_waitcnt vmcnt(4) lgkmcnt(1)
	v_mul_f64 v[46:47], v[3:4], v[24:25]
	v_mul_f64 v[24:25], v[1:2], v[24:25]
	s_waitcnt vmcnt(3) lgkmcnt(0)
	v_mul_f64 v[20:21], v[6:7], v[28:29]
	v_add_f64 v[16:17], v[16:17], v[48:49]
	v_add_f64 v[10:11], v[10:11], v[14:15]
	v_mul_f64 v[14:15], v[8:9], v[28:29]
	v_fma_f64 v[28:29], v[1:2], v[22:23], -v[46:47]
	v_fma_f64 v[22:23], v[3:4], v[22:23], v[24:25]
	v_fma_f64 v[8:9], v[8:9], v[26:27], v[20:21]
	v_add_f64 v[16:17], v[16:17], v[12:13]
	v_add_f64 v[18:19], v[10:11], v[18:19]
	ds_load_b128 v[1:4], v60 offset:2144
	ds_load_b128 v[10:13], v60 offset:2160
	v_fma_f64 v[6:7], v[6:7], v[26:27], -v[14:15]
	s_waitcnt vmcnt(2) lgkmcnt(1)
	v_mul_f64 v[24:25], v[3:4], v[32:33]
	v_mul_f64 v[32:33], v[1:2], v[32:33]
	s_waitcnt vmcnt(1) lgkmcnt(0)
	v_mul_f64 v[20:21], v[10:11], v[36:37]
	v_add_f64 v[14:15], v[16:17], v[28:29]
	v_add_f64 v[16:17], v[18:19], v[22:23]
	v_mul_f64 v[18:19], v[12:13], v[36:37]
	v_fma_f64 v[22:23], v[1:2], v[30:31], -v[24:25]
	v_fma_f64 v[24:25], v[3:4], v[30:31], v[32:33]
	ds_load_b128 v[1:4], v60 offset:2176
	v_fma_f64 v[12:13], v[12:13], v[34:35], v[20:21]
	v_add_f64 v[6:7], v[14:15], v[6:7]
	v_add_f64 v[8:9], v[16:17], v[8:9]
	v_fma_f64 v[10:11], v[10:11], v[34:35], -v[18:19]
	s_waitcnt vmcnt(0) lgkmcnt(0)
	v_mul_f64 v[14:15], v[3:4], v[44:45]
	v_mul_f64 v[16:17], v[1:2], v[44:45]
	v_add_f64 v[6:7], v[6:7], v[22:23]
	v_add_f64 v[8:9], v[8:9], v[24:25]
	s_delay_alu instid0(VALU_DEP_4) | instskip(NEXT) | instid1(VALU_DEP_4)
	v_fma_f64 v[1:2], v[1:2], v[42:43], -v[14:15]
	v_fma_f64 v[14:15], v[3:4], v[42:43], v[16:17]
	s_delay_alu instid0(VALU_DEP_4) | instskip(NEXT) | instid1(VALU_DEP_4)
	v_add_f64 v[3:4], v[6:7], v[10:11]
	v_add_f64 v[6:7], v[8:9], v[12:13]
	s_delay_alu instid0(VALU_DEP_2) | instskip(NEXT) | instid1(VALU_DEP_2)
	v_add_f64 v[3:4], v[3:4], v[1:2]
	v_add_f64 v[1:2], v[6:7], v[14:15]
	s_cbranch_scc1 .LBB63_409
; %bb.410:
	scratch_load_b128 v[5:8], off, off
	s_and_b32 vcc_lo, exec_lo, s20
	s_waitcnt vmcnt(0)
	v_add_f64 v[3:4], v[5:6], -v[3:4]
	v_add_f64 v[5:6], v[7:8], -v[1:2]
	scratch_store_b128 off, v[3:6], off
	s_cbranch_vccz .LBB63_538
; %bb.411:
	v_dual_mov_b32 v1, s16 :: v_dual_mov_b32 v2, s17
	s_load_b64 s[0:1], s[0:1], 0x4
	flat_load_b32 v1, v[1:2] offset:248
	v_bfe_u32 v2, v0, 10, 10
	v_bfe_u32 v0, v0, 20, 10
	s_waitcnt lgkmcnt(0)
	s_lshr_b32 s0, s0, 16
	s_delay_alu instid0(VALU_DEP_2) | instskip(SKIP_1) | instid1(SALU_CYCLE_1)
	v_mul_u32_u24_e32 v2, s1, v2
	s_mul_i32 s0, s0, s1
	v_mul_u32_u24_e32 v3, s0, v178
	s_mov_b32 s0, exec_lo
	s_delay_alu instid0(VALU_DEP_1) | instskip(NEXT) | instid1(VALU_DEP_1)
	v_add3_u32 v0, v3, v2, v0
	v_lshl_add_u32 v0, v0, 4, 0x808
	s_waitcnt vmcnt(0)
	v_cmpx_ne_u32_e32 63, v1
	s_cbranch_execz .LBB63_413
; %bb.412:
	scratch_load_b32 v10, off, off offset:1024 ; 4-byte Folded Reload
	v_lshl_add_u32 v9, v1, 4, 0
	s_waitcnt vmcnt(0)
	s_clause 0x1
	scratch_load_b128 v[1:4], v10, off
	scratch_load_b128 v[5:8], v9, off offset:-16
	s_waitcnt vmcnt(1)
	ds_store_2addr_b64 v0, v[1:2], v[3:4] offset1:1
	s_waitcnt vmcnt(0)
	s_clause 0x1
	scratch_store_b128 v10, v[5:8], off
	scratch_store_b128 v9, v[1:4], off offset:-16
.LBB63_413:
	s_or_b32 exec_lo, exec_lo, s0
	v_dual_mov_b32 v1, s16 :: v_dual_mov_b32 v2, s17
	s_mov_b32 s0, exec_lo
	flat_load_b32 v1, v[1:2] offset:244
	s_waitcnt vmcnt(0) lgkmcnt(0)
	v_cmpx_ne_u32_e32 62, v1
	s_cbranch_execz .LBB63_415
; %bb.414:
	scratch_load_b32 v10, off, off offset:1028 ; 4-byte Folded Reload
	v_lshl_add_u32 v9, v1, 4, 0
	s_waitcnt vmcnt(0)
	s_clause 0x1
	scratch_load_b128 v[1:4], v10, off
	scratch_load_b128 v[5:8], v9, off offset:-16
	s_waitcnt vmcnt(1)
	ds_store_2addr_b64 v0, v[1:2], v[3:4] offset1:1
	s_waitcnt vmcnt(0)
	s_clause 0x1
	scratch_store_b128 v10, v[5:8], off
	scratch_store_b128 v9, v[1:4], off offset:-16
.LBB63_415:
	s_or_b32 exec_lo, exec_lo, s0
	v_dual_mov_b32 v1, s16 :: v_dual_mov_b32 v2, s17
	s_mov_b32 s0, exec_lo
	flat_load_b32 v1, v[1:2] offset:240
	s_waitcnt vmcnt(0) lgkmcnt(0)
	;; [unrolled: 21-line block ×50, first 2 shown]
	v_cmpx_ne_u32_e32 13, v1
	s_cbranch_execz .LBB63_513
; %bb.512:
	v_lshl_add_u32 v9, v1, 4, 0
	s_clause 0x1
	scratch_load_b128 v[1:4], v255, off
	scratch_load_b128 v[5:8], v9, off offset:-16
	s_waitcnt vmcnt(1)
	ds_store_2addr_b64 v0, v[1:2], v[3:4] offset1:1
	s_waitcnt vmcnt(0)
	s_clause 0x1
	scratch_store_b128 v255, v[5:8], off
	scratch_store_b128 v9, v[1:4], off offset:-16
.LBB63_513:
	s_or_b32 exec_lo, exec_lo, s0
	v_dual_mov_b32 v1, s16 :: v_dual_mov_b32 v2, s17
	s_mov_b32 s0, exec_lo
	flat_load_b32 v1, v[1:2] offset:44
	s_waitcnt vmcnt(0) lgkmcnt(0)
	v_cmpx_ne_u32_e32 12, v1
	s_cbranch_execz .LBB63_515
; %bb.514:
	v_lshl_add_u32 v9, v1, 4, 0
	s_clause 0x1
	scratch_load_b128 v[1:4], v217, off
	scratch_load_b128 v[5:8], v9, off offset:-16
	s_waitcnt vmcnt(1)
	ds_store_2addr_b64 v0, v[1:2], v[3:4] offset1:1
	s_waitcnt vmcnt(0)
	s_clause 0x1
	scratch_store_b128 v217, v[5:8], off
	scratch_store_b128 v9, v[1:4], off offset:-16
.LBB63_515:
	s_or_b32 exec_lo, exec_lo, s0
	v_dual_mov_b32 v1, s16 :: v_dual_mov_b32 v2, s17
	s_mov_b32 s0, exec_lo
	flat_load_b32 v1, v[1:2] offset:40
	s_waitcnt vmcnt(0) lgkmcnt(0)
	v_cmpx_ne_u32_e32 11, v1
	s_cbranch_execz .LBB63_517
; %bb.516:
	scratch_load_b32 v10, off, off offset:1156 ; 4-byte Folded Reload
	v_lshl_add_u32 v9, v1, 4, 0
	s_waitcnt vmcnt(0)
	s_clause 0x1
	scratch_load_b128 v[1:4], v10, off
	scratch_load_b128 v[5:8], v9, off offset:-16
	s_waitcnt vmcnt(1)
	ds_store_2addr_b64 v0, v[1:2], v[3:4] offset1:1
	s_waitcnt vmcnt(0)
	s_clause 0x1
	scratch_store_b128 v10, v[5:8], off
	scratch_store_b128 v9, v[1:4], off offset:-16
.LBB63_517:
	s_or_b32 exec_lo, exec_lo, s0
	v_dual_mov_b32 v1, s16 :: v_dual_mov_b32 v2, s17
	s_mov_b32 s0, exec_lo
	flat_load_b32 v1, v[1:2] offset:36
	s_waitcnt vmcnt(0) lgkmcnt(0)
	v_cmpx_ne_u32_e32 10, v1
	s_cbranch_execz .LBB63_519
; %bb.518:
	scratch_load_b32 v10, off, off offset:1160 ; 4-byte Folded Reload
	v_lshl_add_u32 v9, v1, 4, 0
	s_waitcnt vmcnt(0)
	s_clause 0x1
	scratch_load_b128 v[1:4], v10, off
	scratch_load_b128 v[5:8], v9, off offset:-16
	s_waitcnt vmcnt(1)
	ds_store_2addr_b64 v0, v[1:2], v[3:4] offset1:1
	s_waitcnt vmcnt(0)
	s_clause 0x1
	scratch_store_b128 v10, v[5:8], off
	scratch_store_b128 v9, v[1:4], off offset:-16
.LBB63_519:
	;; [unrolled: 21-line block ×6, first 2 shown]
	s_or_b32 exec_lo, exec_lo, s0
	v_dual_mov_b32 v1, s16 :: v_dual_mov_b32 v2, s17
	s_mov_b32 s0, exec_lo
	flat_load_b32 v1, v[1:2] offset:16
	s_waitcnt vmcnt(0) lgkmcnt(0)
	v_cmpx_ne_u32_e32 5, v1
	s_cbranch_execz .LBB63_529
; %bb.528:
	v_add_nc_u32_e64 v10, 0, 64
	v_lshl_add_u32 v9, v1, 4, 0
	s_clause 0x1
	scratch_load_b128 v[1:4], v10, off
	scratch_load_b128 v[5:8], v9, off offset:-16
	s_waitcnt vmcnt(1)
	ds_store_2addr_b64 v0, v[1:2], v[3:4] offset1:1
	s_waitcnt vmcnt(0)
	s_clause 0x1
	scratch_store_b128 v10, v[5:8], off
	scratch_store_b128 v9, v[1:4], off offset:-16
.LBB63_529:
	s_or_b32 exec_lo, exec_lo, s0
	v_dual_mov_b32 v1, s16 :: v_dual_mov_b32 v2, s17
	s_mov_b32 s0, exec_lo
	flat_load_b32 v1, v[1:2] offset:12
	s_waitcnt vmcnt(0) lgkmcnt(0)
	v_cmpx_ne_u32_e32 4, v1
	s_cbranch_execz .LBB63_531
; %bb.530:
	v_add_nc_u32_e64 v10, 0, 48
	v_lshl_add_u32 v9, v1, 4, 0
	s_clause 0x1
	scratch_load_b128 v[1:4], v10, off
	scratch_load_b128 v[5:8], v9, off offset:-16
	s_waitcnt vmcnt(1)
	ds_store_2addr_b64 v0, v[1:2], v[3:4] offset1:1
	s_waitcnt vmcnt(0)
	s_clause 0x1
	scratch_store_b128 v10, v[5:8], off
	scratch_store_b128 v9, v[1:4], off offset:-16
.LBB63_531:
	;; [unrolled: 20-line block ×4, first 2 shown]
	s_or_b32 exec_lo, exec_lo, s0
	v_dual_mov_b32 v1, s16 :: v_dual_mov_b32 v2, s17
	s_mov_b32 s0, exec_lo
	flat_load_b32 v1, v[1:2]
	s_waitcnt vmcnt(0) lgkmcnt(0)
	v_cmpx_ne_u32_e32 1, v1
	s_cbranch_execz .LBB63_537
; %bb.536:
	v_lshl_add_u32 v9, v1, 4, 0
	scratch_load_b128 v[1:4], off, off
	scratch_load_b128 v[5:8], v9, off offset:-16
	s_waitcnt vmcnt(1)
	ds_store_2addr_b64 v0, v[1:2], v[3:4] offset1:1
	s_waitcnt vmcnt(0)
	scratch_store_b128 off, v[5:8], off
	scratch_store_b128 v9, v[1:4], off offset:-16
.LBB63_537:
	s_or_b32 exec_lo, exec_lo, s0
.LBB63_538:
	v_add_nc_u32_e64 v4, 0, 16
	v_add_nc_u32_e64 v8, 0, 32
	;; [unrolled: 1-line block ×4, first 2 shown]
	scratch_load_b128 v[0:3], off, off
	s_clause 0x3
	scratch_load_b128 v[4:7], v4, off
	scratch_load_b128 v[8:11], v8, off
	scratch_load_b128 v[12:15], v12, off
	scratch_load_b128 v[16:19], v16, off
	scratch_load_b32 v20, off, off offset:1184 ; 4-byte Folded Reload
	s_waitcnt vmcnt(0)
	scratch_load_b128 v[20:23], v20, off
	scratch_load_b32 v24, off, off offset:1180 ; 4-byte Folded Reload
	s_waitcnt vmcnt(0)
	scratch_load_b128 v[24:27], v24, off
	scratch_load_b32 v28, off, off offset:1176 ; 4-byte Folded Reload
	s_waitcnt vmcnt(0)
	scratch_load_b128 v[28:31], v28, off
	scratch_load_b32 v32, off, off offset:1168 ; 4-byte Folded Reload
	s_waitcnt vmcnt(0)
	scratch_load_b128 v[32:35], v32, off
	scratch_load_b32 v36, off, off offset:1160 ; 4-byte Folded Reload
	s_waitcnt vmcnt(0)
	scratch_load_b128 v[36:39], v36, off
	scratch_load_b32 v40, off, off offset:1156 ; 4-byte Folded Reload
	s_waitcnt vmcnt(0)
	s_clause 0x2
	scratch_load_b128 v[40:43], v40, off
	scratch_load_b128 v[44:47], v217, off
	;; [unrolled: 1-line block ×3, first 2 shown]
	scratch_load_b32 v48, off, off offset:1244 ; 4-byte Folded Reload
	s_waitcnt vmcnt(0)
	scratch_load_b128 v[239:242], v48, off
	scratch_load_b32 v48, off, off offset:1240 ; 4-byte Folded Reload
	s_waitcnt vmcnt(0)
	scratch_load_b128 v[243:246], v48, off
	;; [unrolled: 3-line block ×6, first 2 shown]
	scratch_load_b32 v48, off, off offset:1220 ; 4-byte Folded Reload
	global_store_b128 v[50:51], v[0:3], off
	scratch_load_b32 v0, off, off offset:1216 ; 4-byte Folded Reload
	s_waitcnt vmcnt(1)
	scratch_load_b128 v[186:189], v48, off
	s_waitcnt vmcnt(1)
	scratch_load_b128 v[0:3], v0, off
	scratch_load_b32 v48, off, off offset:1212 ; 4-byte Folded Reload
	s_waitcnt vmcnt(0)
	scratch_load_b128 v[48:51], v48, off
	scratch_load_b64 v[52:53], off, off offset:1268 ; 8-byte Folded Reload
	s_waitcnt vmcnt(0)
	global_store_b128 v[52:53], v[4:7], off
	scratch_load_b32 v4, off, off offset:1208 ; 4-byte Folded Reload
	s_waitcnt vmcnt(0)
	scratch_load_b128 v[4:7], v4, off
	scratch_load_b32 v52, off, off offset:1204 ; 4-byte Folded Reload
	s_waitcnt vmcnt(0)
	scratch_load_b128 v[229:232], v52, off
	scratch_load_b64 v[52:53], off, off offset:1260 ; 8-byte Folded Reload
	s_waitcnt vmcnt(0)
	global_store_b128 v[52:53], v[8:11], off
	scratch_load_b32 v8, off, off offset:1200 ; 4-byte Folded Reload
	;; [unrolled: 9-line block ×21, first 2 shown]
	s_waitcnt vmcnt(0)
	scratch_load_b128 v[48:51], v48, off
	scratch_load_b32 v52, off, off offset:1248 ; 4-byte Folded Reload
	s_waitcnt vmcnt(0)
	scratch_load_b128 v[98:101], v52, off
	scratch_load_b64 v[52:53], off, off offset:1420 ; 8-byte Folded Reload
	s_waitcnt vmcnt(0)
	global_store_b128 v[52:53], v[4:7], off
	scratch_load_b64 v[4:5], off, off offset:1428 ; 8-byte Folded Reload
	s_waitcnt vmcnt(0)
	global_store_b128 v[4:5], v[229:232], off
	;; [unrolled: 3-line block ×11, first 2 shown]
	scratch_load_b64 v[4:5], off, off offset:1508 ; 8-byte Folded Reload
	s_waitcnt vmcnt(0)
	s_clause 0x1e
	global_store_b128 v[4:5], v[209:212], off
	global_store_b128 v[118:119], v[28:31], off
	;; [unrolled: 1-line block ×31, first 2 shown]
	s_endpgm
	.section	.rodata,"a",@progbits
	.p2align	6, 0x0
	.amdhsa_kernel _ZN9rocsolver6v33100L18getri_kernel_smallILi64E19rocblas_complex_numIdEPS3_EEvT1_iilPiilS6_bb
		.amdhsa_group_segment_fixed_size 3080
		.amdhsa_private_segment_fixed_size 1520
		.amdhsa_kernarg_size 60
		.amdhsa_user_sgpr_count 15
		.amdhsa_user_sgpr_dispatch_ptr 1
		.amdhsa_user_sgpr_queue_ptr 0
		.amdhsa_user_sgpr_kernarg_segment_ptr 1
		.amdhsa_user_sgpr_dispatch_id 0
		.amdhsa_user_sgpr_private_segment_size 0
		.amdhsa_wavefront_size32 1
		.amdhsa_uses_dynamic_stack 0
		.amdhsa_enable_private_segment 1
		.amdhsa_system_sgpr_workgroup_id_x 1
		.amdhsa_system_sgpr_workgroup_id_y 0
		.amdhsa_system_sgpr_workgroup_id_z 0
		.amdhsa_system_sgpr_workgroup_info 0
		.amdhsa_system_vgpr_workitem_id 2
		.amdhsa_next_free_vgpr 256
		.amdhsa_next_free_sgpr 70
		.amdhsa_reserve_vcc 1
		.amdhsa_float_round_mode_32 0
		.amdhsa_float_round_mode_16_64 0
		.amdhsa_float_denorm_mode_32 3
		.amdhsa_float_denorm_mode_16_64 3
		.amdhsa_dx10_clamp 1
		.amdhsa_ieee_mode 1
		.amdhsa_fp16_overflow 0
		.amdhsa_workgroup_processor_mode 1
		.amdhsa_memory_ordered 1
		.amdhsa_forward_progress 0
		.amdhsa_shared_vgpr_count 0
		.amdhsa_exception_fp_ieee_invalid_op 0
		.amdhsa_exception_fp_denorm_src 0
		.amdhsa_exception_fp_ieee_div_zero 0
		.amdhsa_exception_fp_ieee_overflow 0
		.amdhsa_exception_fp_ieee_underflow 0
		.amdhsa_exception_fp_ieee_inexact 0
		.amdhsa_exception_int_div_zero 0
	.end_amdhsa_kernel
	.section	.text._ZN9rocsolver6v33100L18getri_kernel_smallILi64E19rocblas_complex_numIdEPS3_EEvT1_iilPiilS6_bb,"axG",@progbits,_ZN9rocsolver6v33100L18getri_kernel_smallILi64E19rocblas_complex_numIdEPS3_EEvT1_iilPiilS6_bb,comdat
.Lfunc_end63:
	.size	_ZN9rocsolver6v33100L18getri_kernel_smallILi64E19rocblas_complex_numIdEPS3_EEvT1_iilPiilS6_bb, .Lfunc_end63-_ZN9rocsolver6v33100L18getri_kernel_smallILi64E19rocblas_complex_numIdEPS3_EEvT1_iilPiilS6_bb
                                        ; -- End function
	.section	.AMDGPU.csdata,"",@progbits
; Kernel info:
; codeLenInByte = 185688
; NumSgprs: 72
; NumVgprs: 256
; ScratchSize: 1520
; MemoryBound: 0
; FloatMode: 240
; IeeeMode: 1
; LDSByteSize: 3080 bytes/workgroup (compile time only)
; SGPRBlocks: 8
; VGPRBlocks: 31
; NumSGPRsForWavesPerEU: 72
; NumVGPRsForWavesPerEU: 256
; Occupancy: 5
; WaveLimiterHint : 1
; COMPUTE_PGM_RSRC2:SCRATCH_EN: 1
; COMPUTE_PGM_RSRC2:USER_SGPR: 15
; COMPUTE_PGM_RSRC2:TRAP_HANDLER: 0
; COMPUTE_PGM_RSRC2:TGID_X_EN: 1
; COMPUTE_PGM_RSRC2:TGID_Y_EN: 0
; COMPUTE_PGM_RSRC2:TGID_Z_EN: 0
; COMPUTE_PGM_RSRC2:TIDIG_COMP_CNT: 2
	.section	.text._ZN9rocsolver6v33100L18getri_kernel_smallILi1E19rocblas_complex_numIdEPKPS3_EEvT1_iilPiilS8_bb,"axG",@progbits,_ZN9rocsolver6v33100L18getri_kernel_smallILi1E19rocblas_complex_numIdEPKPS3_EEvT1_iilPiilS8_bb,comdat
	.globl	_ZN9rocsolver6v33100L18getri_kernel_smallILi1E19rocblas_complex_numIdEPKPS3_EEvT1_iilPiilS8_bb ; -- Begin function _ZN9rocsolver6v33100L18getri_kernel_smallILi1E19rocblas_complex_numIdEPKPS3_EEvT1_iilPiilS8_bb
	.p2align	8
	.type	_ZN9rocsolver6v33100L18getri_kernel_smallILi1E19rocblas_complex_numIdEPKPS3_EEvT1_iilPiilS8_bb,@function
_ZN9rocsolver6v33100L18getri_kernel_smallILi1E19rocblas_complex_numIdEPKPS3_EEvT1_iilPiilS8_bb: ; @_ZN9rocsolver6v33100L18getri_kernel_smallILi1E19rocblas_complex_numIdEPKPS3_EEvT1_iilPiilS8_bb
; %bb.0:
	s_mov_b32 s12, 0
	s_mov_b32 s2, exec_lo
	v_cmpx_eq_u32_e32 0, v0
	s_cbranch_execz .LBB64_13
; %bb.1:
	s_clause 0x3
	s_load_b32 s2, s[0:1], 0x8
	s_load_b32 s6, s[0:1], 0x38
	s_load_b64 s[4:5], s[0:1], 0x0
	s_load_b64 s[10:11], s[0:1], 0x30
	s_mov_b32 s8, s15
	s_waitcnt lgkmcnt(0)
	s_ashr_i32 s3, s2, 31
	s_bitcmp1_b32 s6, 0
	s_cselect_b32 s13, -1, 0
	s_ashr_i32 s9, s15, 31
	s_delay_alu instid0(SALU_CYCLE_1) | instskip(NEXT) | instid1(SALU_CYCLE_1)
	s_lshl_b64 s[0:1], s[8:9], 3
	s_add_u32 s0, s4, s0
	s_addc_u32 s1, s5, s1
	s_lshl_b64 s[2:3], s[2:3], 4
	s_load_b64 s[0:1], s[0:1], 0x0
	s_waitcnt lgkmcnt(0)
	s_add_u32 s2, s0, s2
	s_addc_u32 s3, s1, s3
	s_and_b32 vcc_lo, exec_lo, s13
	s_load_b128 s[4:7], s[2:3], 0x0
	s_cbranch_vccnz .LBB64_4
; %bb.2:
	s_lshl_b64 s[0:1], s[8:9], 2
	s_delay_alu instid0(SALU_CYCLE_1)
	s_add_u32 s0, s10, s0
	s_addc_u32 s1, s11, s1
	s_load_b32 s0, s[0:1], 0x0
	s_waitcnt lgkmcnt(0)
	s_cmp_eq_u32 s0, 0
	s_cselect_b32 s12, -1, 0
	s_cbranch_execz .LBB64_5
; %bb.3:
	s_waitcnt lgkmcnt(0)
	v_dual_mov_b32 v2, s6 :: v_dual_mov_b32 v3, s7
	v_dual_mov_b32 v0, s4 :: v_dual_mov_b32 v1, s5
	s_and_b32 vcc_lo, exec_lo, s12
	s_cbranch_vccnz .LBB64_12
	s_branch .LBB64_13
.LBB64_4:
.LBB64_5:
	s_waitcnt lgkmcnt(0)
	v_cmp_eq_f64_e64 s0, s[4:5], 0
	v_cmp_eq_f64_e64 s1, s[6:7], 0
	v_mov_b32_e32 v0, 0
	ds_store_b32 v0, v0
	s_waitcnt lgkmcnt(0)
	s_barrier
	buffer_gl0_inv
	s_and_b32 s0, s0, s1
	s_delay_alu instid0(SALU_CYCLE_1)
	s_and_not1_b32 vcc_lo, exec_lo, s0
	s_cbranch_vccnz .LBB64_10
; %bb.6:
	ds_load_b32 v1, v0
	s_mov_b32 s1, 0
	s_waitcnt lgkmcnt(0)
	v_cmp_ne_u32_e32 vcc_lo, 0, v1
	v_cmp_gt_i32_e64 s0, 2, v1
	s_delay_alu instid0(VALU_DEP_1) | instskip(NEXT) | instid1(SALU_CYCLE_1)
	s_and_b32 s0, vcc_lo, s0
	s_and_b32 vcc_lo, exec_lo, s0
	s_cbranch_vccnz .LBB64_10
; %bb.7:
	v_dual_mov_b32 v2, 1 :: v_dual_mov_b32 v3, 0
.LBB64_8:                               ; =>This Inner Loop Header: Depth=1
	ds_cmpstore_rtn_b32 v1, v3, v2, v1
	s_waitcnt lgkmcnt(0)
	v_cmp_ne_u32_e32 vcc_lo, 0, v1
	v_cmp_gt_i32_e64 s0, 2, v1
	s_delay_alu instid0(VALU_DEP_1) | instskip(NEXT) | instid1(SALU_CYCLE_1)
	s_and_b32 s0, vcc_lo, s0
	s_and_b32 s0, exec_lo, s0
	s_delay_alu instid0(SALU_CYCLE_1) | instskip(NEXT) | instid1(SALU_CYCLE_1)
	s_or_b32 s1, s0, s1
	s_and_not1_b32 exec_lo, exec_lo, s1
	s_cbranch_execnz .LBB64_8
; %bb.9:
	s_or_b32 exec_lo, exec_lo, s1
.LBB64_10:
	s_barrier
	buffer_gl0_inv
	ds_load_b32 v1, v0
	s_lshl_b64 s[0:1], s[8:9], 2
	s_delay_alu instid0(SALU_CYCLE_1)
	s_add_u32 s0, s10, s0
	s_addc_u32 s1, s11, s1
	s_waitcnt lgkmcnt(0)
	v_cmp_ne_u32_e32 vcc_lo, 0, v1
	global_store_b32 v0, v1, s[0:1]
	s_cbranch_vccz .LBB64_14
; %bb.11:
                                        ; implicit-def: $vgpr0_vgpr1
	s_and_b32 vcc_lo, exec_lo, s12
	s_cbranch_vccz .LBB64_13
.LBB64_12:
	v_mov_b32_e32 v4, 0
	global_store_b128 v4, v[0:3], s[2:3]
.LBB64_13:
	s_nop 0
	s_sendmsg sendmsg(MSG_DEALLOC_VGPRS)
	s_endpgm
.LBB64_14:
	v_cmp_lt_f64_e64 s0, s[4:5], 0
	v_cmp_lt_f64_e64 s8, s[6:7], 0
	s_xor_b32 s1, s5, 0x80000000
	s_delay_alu instid0(VALU_DEP_2) | instskip(SKIP_3) | instid1(VALU_DEP_1)
	s_and_b32 s0, s0, exec_lo
	s_cselect_b32 s1, s1, s5
	s_cselect_b32 s0, s4, s4
	s_xor_b32 s9, s7, 0x80000000
	s_and_b32 s8, s8, exec_lo
	s_cselect_b32 s9, s9, s7
	s_cselect_b32 s8, s6, s6
	s_delay_alu instid0(SALU_CYCLE_1) | instskip(NEXT) | instid1(VALU_DEP_1)
	v_cmp_ngt_f64_e64 s0, s[0:1], s[8:9]
	s_and_b32 vcc_lo, exec_lo, s0
	s_cbranch_vccz .LBB64_16
; %bb.15:
	v_div_scale_f64 v[0:1], null, s[6:7], s[6:7], s[4:5]
	v_div_scale_f64 v[6:7], vcc_lo, s[4:5], s[6:7], s[4:5]
	s_delay_alu instid0(VALU_DEP_2) | instskip(SKIP_2) | instid1(VALU_DEP_1)
	v_rcp_f64_e32 v[2:3], v[0:1]
	s_waitcnt_depctr 0xfff
	v_fma_f64 v[4:5], -v[0:1], v[2:3], 1.0
	v_fma_f64 v[2:3], v[2:3], v[4:5], v[2:3]
	s_delay_alu instid0(VALU_DEP_1) | instskip(NEXT) | instid1(VALU_DEP_1)
	v_fma_f64 v[4:5], -v[0:1], v[2:3], 1.0
	v_fma_f64 v[2:3], v[2:3], v[4:5], v[2:3]
	s_delay_alu instid0(VALU_DEP_1) | instskip(NEXT) | instid1(VALU_DEP_1)
	v_mul_f64 v[4:5], v[6:7], v[2:3]
	v_fma_f64 v[0:1], -v[0:1], v[4:5], v[6:7]
	s_delay_alu instid0(VALU_DEP_1) | instskip(NEXT) | instid1(VALU_DEP_1)
	v_div_fmas_f64 v[0:1], v[0:1], v[2:3], v[4:5]
	v_div_fixup_f64 v[0:1], v[0:1], s[6:7], s[4:5]
	s_delay_alu instid0(VALU_DEP_1) | instskip(NEXT) | instid1(VALU_DEP_1)
	v_fma_f64 v[2:3], s[4:5], v[0:1], s[6:7]
	v_div_scale_f64 v[4:5], null, v[2:3], v[2:3], 1.0
	s_delay_alu instid0(VALU_DEP_1) | instskip(SKIP_2) | instid1(VALU_DEP_1)
	v_rcp_f64_e32 v[6:7], v[4:5]
	s_waitcnt_depctr 0xfff
	v_fma_f64 v[8:9], -v[4:5], v[6:7], 1.0
	v_fma_f64 v[6:7], v[6:7], v[8:9], v[6:7]
	s_delay_alu instid0(VALU_DEP_1) | instskip(NEXT) | instid1(VALU_DEP_1)
	v_fma_f64 v[8:9], -v[4:5], v[6:7], 1.0
	v_fma_f64 v[6:7], v[6:7], v[8:9], v[6:7]
	v_div_scale_f64 v[8:9], vcc_lo, 1.0, v[2:3], 1.0
	s_delay_alu instid0(VALU_DEP_1) | instskip(NEXT) | instid1(VALU_DEP_1)
	v_mul_f64 v[10:11], v[8:9], v[6:7]
	v_fma_f64 v[4:5], -v[4:5], v[10:11], v[8:9]
	s_delay_alu instid0(VALU_DEP_1) | instskip(NEXT) | instid1(VALU_DEP_1)
	v_div_fmas_f64 v[4:5], v[4:5], v[6:7], v[10:11]
	v_div_fixup_f64 v[2:3], v[4:5], v[2:3], 1.0
	s_delay_alu instid0(VALU_DEP_1)
	v_mul_f64 v[0:1], v[0:1], v[2:3]
	v_xor_b32_e32 v3, 0x80000000, v3
	s_cbranch_execz .LBB64_17
	s_branch .LBB64_18
.LBB64_16:
                                        ; implicit-def: $vgpr0_vgpr1
.LBB64_17:
	v_div_scale_f64 v[0:1], null, s[4:5], s[4:5], s[6:7]
	v_div_scale_f64 v[6:7], vcc_lo, s[6:7], s[4:5], s[6:7]
	s_delay_alu instid0(VALU_DEP_2) | instskip(SKIP_2) | instid1(VALU_DEP_1)
	v_rcp_f64_e32 v[2:3], v[0:1]
	s_waitcnt_depctr 0xfff
	v_fma_f64 v[4:5], -v[0:1], v[2:3], 1.0
	v_fma_f64 v[2:3], v[2:3], v[4:5], v[2:3]
	s_delay_alu instid0(VALU_DEP_1) | instskip(NEXT) | instid1(VALU_DEP_1)
	v_fma_f64 v[4:5], -v[0:1], v[2:3], 1.0
	v_fma_f64 v[2:3], v[2:3], v[4:5], v[2:3]
	s_delay_alu instid0(VALU_DEP_1) | instskip(NEXT) | instid1(VALU_DEP_1)
	v_mul_f64 v[4:5], v[6:7], v[2:3]
	v_fma_f64 v[0:1], -v[0:1], v[4:5], v[6:7]
	s_delay_alu instid0(VALU_DEP_1) | instskip(NEXT) | instid1(VALU_DEP_1)
	v_div_fmas_f64 v[0:1], v[0:1], v[2:3], v[4:5]
	v_div_fixup_f64 v[2:3], v[0:1], s[4:5], s[6:7]
	s_delay_alu instid0(VALU_DEP_1) | instskip(NEXT) | instid1(VALU_DEP_1)
	v_fma_f64 v[0:1], s[6:7], v[2:3], s[4:5]
	v_div_scale_f64 v[4:5], null, v[0:1], v[0:1], 1.0
	s_delay_alu instid0(VALU_DEP_1) | instskip(SKIP_2) | instid1(VALU_DEP_1)
	v_rcp_f64_e32 v[6:7], v[4:5]
	s_waitcnt_depctr 0xfff
	v_fma_f64 v[8:9], -v[4:5], v[6:7], 1.0
	v_fma_f64 v[6:7], v[6:7], v[8:9], v[6:7]
	s_delay_alu instid0(VALU_DEP_1) | instskip(NEXT) | instid1(VALU_DEP_1)
	v_fma_f64 v[8:9], -v[4:5], v[6:7], 1.0
	v_fma_f64 v[6:7], v[6:7], v[8:9], v[6:7]
	v_div_scale_f64 v[8:9], vcc_lo, 1.0, v[0:1], 1.0
	s_delay_alu instid0(VALU_DEP_1) | instskip(NEXT) | instid1(VALU_DEP_1)
	v_mul_f64 v[10:11], v[8:9], v[6:7]
	v_fma_f64 v[4:5], -v[4:5], v[10:11], v[8:9]
	s_delay_alu instid0(VALU_DEP_1) | instskip(NEXT) | instid1(VALU_DEP_1)
	v_div_fmas_f64 v[4:5], v[4:5], v[6:7], v[10:11]
	v_div_fixup_f64 v[0:1], v[4:5], v[0:1], 1.0
	s_delay_alu instid0(VALU_DEP_1)
	v_mul_f64 v[2:3], v[2:3], -v[0:1]
.LBB64_18:
	s_cbranch_execnz .LBB64_12
	s_branch .LBB64_13
	.section	.rodata,"a",@progbits
	.p2align	6, 0x0
	.amdhsa_kernel _ZN9rocsolver6v33100L18getri_kernel_smallILi1E19rocblas_complex_numIdEPKPS3_EEvT1_iilPiilS8_bb
		.amdhsa_group_segment_fixed_size 4
		.amdhsa_private_segment_fixed_size 0
		.amdhsa_kernarg_size 60
		.amdhsa_user_sgpr_count 15
		.amdhsa_user_sgpr_dispatch_ptr 0
		.amdhsa_user_sgpr_queue_ptr 0
		.amdhsa_user_sgpr_kernarg_segment_ptr 1
		.amdhsa_user_sgpr_dispatch_id 0
		.amdhsa_user_sgpr_private_segment_size 0
		.amdhsa_wavefront_size32 1
		.amdhsa_uses_dynamic_stack 0
		.amdhsa_enable_private_segment 0
		.amdhsa_system_sgpr_workgroup_id_x 1
		.amdhsa_system_sgpr_workgroup_id_y 0
		.amdhsa_system_sgpr_workgroup_id_z 0
		.amdhsa_system_sgpr_workgroup_info 0
		.amdhsa_system_vgpr_workitem_id 0
		.amdhsa_next_free_vgpr 12
		.amdhsa_next_free_sgpr 16
		.amdhsa_reserve_vcc 1
		.amdhsa_float_round_mode_32 0
		.amdhsa_float_round_mode_16_64 0
		.amdhsa_float_denorm_mode_32 3
		.amdhsa_float_denorm_mode_16_64 3
		.amdhsa_dx10_clamp 1
		.amdhsa_ieee_mode 1
		.amdhsa_fp16_overflow 0
		.amdhsa_workgroup_processor_mode 1
		.amdhsa_memory_ordered 1
		.amdhsa_forward_progress 0
		.amdhsa_shared_vgpr_count 0
		.amdhsa_exception_fp_ieee_invalid_op 0
		.amdhsa_exception_fp_denorm_src 0
		.amdhsa_exception_fp_ieee_div_zero 0
		.amdhsa_exception_fp_ieee_overflow 0
		.amdhsa_exception_fp_ieee_underflow 0
		.amdhsa_exception_fp_ieee_inexact 0
		.amdhsa_exception_int_div_zero 0
	.end_amdhsa_kernel
	.section	.text._ZN9rocsolver6v33100L18getri_kernel_smallILi1E19rocblas_complex_numIdEPKPS3_EEvT1_iilPiilS8_bb,"axG",@progbits,_ZN9rocsolver6v33100L18getri_kernel_smallILi1E19rocblas_complex_numIdEPKPS3_EEvT1_iilPiilS8_bb,comdat
.Lfunc_end64:
	.size	_ZN9rocsolver6v33100L18getri_kernel_smallILi1E19rocblas_complex_numIdEPKPS3_EEvT1_iilPiilS8_bb, .Lfunc_end64-_ZN9rocsolver6v33100L18getri_kernel_smallILi1E19rocblas_complex_numIdEPKPS3_EEvT1_iilPiilS8_bb
                                        ; -- End function
	.section	.AMDGPU.csdata,"",@progbits
; Kernel info:
; codeLenInByte = 1032
; NumSgprs: 18
; NumVgprs: 12
; ScratchSize: 0
; MemoryBound: 0
; FloatMode: 240
; IeeeMode: 1
; LDSByteSize: 4 bytes/workgroup (compile time only)
; SGPRBlocks: 2
; VGPRBlocks: 1
; NumSGPRsForWavesPerEU: 18
; NumVGPRsForWavesPerEU: 12
; Occupancy: 16
; WaveLimiterHint : 1
; COMPUTE_PGM_RSRC2:SCRATCH_EN: 0
; COMPUTE_PGM_RSRC2:USER_SGPR: 15
; COMPUTE_PGM_RSRC2:TRAP_HANDLER: 0
; COMPUTE_PGM_RSRC2:TGID_X_EN: 1
; COMPUTE_PGM_RSRC2:TGID_Y_EN: 0
; COMPUTE_PGM_RSRC2:TGID_Z_EN: 0
; COMPUTE_PGM_RSRC2:TIDIG_COMP_CNT: 0
	.section	.text._ZN9rocsolver6v33100L18getri_kernel_smallILi2E19rocblas_complex_numIdEPKPS3_EEvT1_iilPiilS8_bb,"axG",@progbits,_ZN9rocsolver6v33100L18getri_kernel_smallILi2E19rocblas_complex_numIdEPKPS3_EEvT1_iilPiilS8_bb,comdat
	.globl	_ZN9rocsolver6v33100L18getri_kernel_smallILi2E19rocblas_complex_numIdEPKPS3_EEvT1_iilPiilS8_bb ; -- Begin function _ZN9rocsolver6v33100L18getri_kernel_smallILi2E19rocblas_complex_numIdEPKPS3_EEvT1_iilPiilS8_bb
	.p2align	8
	.type	_ZN9rocsolver6v33100L18getri_kernel_smallILi2E19rocblas_complex_numIdEPKPS3_EEvT1_iilPiilS8_bb,@function
_ZN9rocsolver6v33100L18getri_kernel_smallILi2E19rocblas_complex_numIdEPKPS3_EEvT1_iilPiilS8_bb: ; @_ZN9rocsolver6v33100L18getri_kernel_smallILi2E19rocblas_complex_numIdEPKPS3_EEvT1_iilPiilS8_bb
; %bb.0:
	v_and_b32_e32 v17, 0x3ff, v0
	s_mov_b32 s4, exec_lo
	s_delay_alu instid0(VALU_DEP_1)
	v_cmpx_gt_u32_e32 2, v17
	s_cbranch_execz .LBB65_22
; %bb.1:
	s_mov_b32 s10, s15
	s_clause 0x2
	s_load_b32 s15, s[2:3], 0x38
	s_load_b64 s[8:9], s[2:3], 0x0
	s_load_b128 s[4:7], s[2:3], 0x28
	s_waitcnt lgkmcnt(0)
	s_bitcmp1_b32 s15, 8
	s_cselect_b32 s14, -1, 0
	s_ashr_i32 s11, s10, 31
	s_delay_alu instid0(SALU_CYCLE_1) | instskip(NEXT) | instid1(SALU_CYCLE_1)
	s_lshl_b64 s[12:13], s[10:11], 3
	s_add_u32 s8, s8, s12
	s_addc_u32 s9, s9, s13
	s_load_b64 s[12:13], s[8:9], 0x0
	s_bfe_u32 s8, s15, 0x10008
	s_delay_alu instid0(SALU_CYCLE_1)
	s_cmp_eq_u32 s8, 0
                                        ; implicit-def: $sgpr8_sgpr9
	s_cbranch_scc1 .LBB65_3
; %bb.2:
	s_clause 0x1
	s_load_b32 s8, s[2:3], 0x20
	s_load_b64 s[16:17], s[2:3], 0x18
	s_mul_i32 s5, s10, s5
	s_mul_hi_u32 s9, s10, s4
	s_mul_i32 s18, s11, s4
	s_add_i32 s5, s9, s5
	s_mul_i32 s4, s10, s4
	s_add_i32 s5, s5, s18
	s_delay_alu instid0(SALU_CYCLE_1)
	s_lshl_b64 s[4:5], s[4:5], 2
	s_waitcnt lgkmcnt(0)
	s_ashr_i32 s9, s8, 31
	s_add_u32 s16, s16, s4
	s_addc_u32 s17, s17, s5
	s_lshl_b64 s[4:5], s[8:9], 2
	s_delay_alu instid0(SALU_CYCLE_1)
	s_add_u32 s8, s16, s4
	s_addc_u32 s9, s17, s5
.LBB65_3:
	s_load_b64 s[2:3], s[2:3], 0x8
	v_lshlrev_b32_e32 v19, 4, v17
	v_add_nc_u32_e64 v18, 0, 16
	s_waitcnt lgkmcnt(0)
	s_ashr_i32 s5, s2, 31
	s_mov_b32 s4, s2
	s_mov_b32 s2, s3
	s_lshl_b64 s[4:5], s[4:5], 4
	s_delay_alu instid0(SALU_CYCLE_1)
	s_add_u32 s4, s12, s4
	s_addc_u32 s5, s13, s5
	v_add_co_u32 v13, s12, s4, v19
	s_ashr_i32 s3, s3, 31
	v_add_co_ci_u32_e64 v14, null, s5, 0, s12
	s_lshl_b64 s[2:3], s[2:3], 4
	s_bitcmp0_b32 s15, 0
	v_add_co_u32 v15, vcc_lo, v13, s2
	s_delay_alu instid0(VALU_DEP_2)
	v_add_co_ci_u32_e32 v16, vcc_lo, s3, v14, vcc_lo
	s_clause 0x1
	global_load_b128 v[1:4], v19, s[4:5]
	global_load_b128 v[5:8], v[15:16], off
	s_mov_b32 s3, -1
	s_waitcnt vmcnt(1)
	scratch_store_b128 off, v[1:4], off
	s_waitcnt vmcnt(0)
	scratch_store_b128 off, v[5:8], off offset:16
	s_cbranch_scc1 .LBB65_20
; %bb.4:
	v_cmp_eq_u32_e64 s2, 0, v17
	s_delay_alu instid0(VALU_DEP_1)
	s_and_saveexec_b32 s3, s2
	s_cbranch_execz .LBB65_6
; %bb.5:
	v_mov_b32_e32 v1, 0
	ds_store_b32 v1, v1 offset:64
.LBB65_6:
	s_or_b32 exec_lo, exec_lo, s3
	s_waitcnt lgkmcnt(0)
	s_waitcnt_vscnt null, 0x0
	s_barrier
	buffer_gl0_inv
	scratch_load_b128 v[1:4], v19, off
	s_waitcnt vmcnt(0)
	v_cmp_eq_f64_e32 vcc_lo, 0, v[1:2]
	v_cmp_eq_f64_e64 s3, 0, v[3:4]
	s_delay_alu instid0(VALU_DEP_1) | instskip(NEXT) | instid1(SALU_CYCLE_1)
	s_and_b32 s3, vcc_lo, s3
	s_and_saveexec_b32 s4, s3
	s_cbranch_execz .LBB65_10
; %bb.7:
	v_mov_b32_e32 v1, 0
	s_mov_b32 s5, 0
	ds_load_b32 v2, v1 offset:64
	s_waitcnt lgkmcnt(0)
	v_readfirstlane_b32 s3, v2
	v_add_nc_u32_e32 v2, 1, v17
	s_delay_alu instid0(VALU_DEP_2) | instskip(NEXT) | instid1(VALU_DEP_1)
	s_cmp_eq_u32 s3, 0
	v_cmp_gt_i32_e32 vcc_lo, s3, v2
	s_cselect_b32 s12, -1, 0
	s_delay_alu instid0(SALU_CYCLE_1) | instskip(NEXT) | instid1(SALU_CYCLE_1)
	s_or_b32 s12, s12, vcc_lo
	s_and_b32 exec_lo, exec_lo, s12
	s_cbranch_execz .LBB65_10
; %bb.8:
	v_mov_b32_e32 v3, s3
.LBB65_9:                               ; =>This Inner Loop Header: Depth=1
	ds_cmpstore_rtn_b32 v3, v1, v2, v3 offset:64
	s_waitcnt lgkmcnt(0)
	v_cmp_ne_u32_e32 vcc_lo, 0, v3
	v_cmp_le_i32_e64 s3, v3, v2
	s_delay_alu instid0(VALU_DEP_1) | instskip(NEXT) | instid1(SALU_CYCLE_1)
	s_and_b32 s3, vcc_lo, s3
	s_and_b32 s3, exec_lo, s3
	s_delay_alu instid0(SALU_CYCLE_1) | instskip(NEXT) | instid1(SALU_CYCLE_1)
	s_or_b32 s5, s3, s5
	s_and_not1_b32 exec_lo, exec_lo, s5
	s_cbranch_execnz .LBB65_9
.LBB65_10:
	s_or_b32 exec_lo, exec_lo, s4
	v_mov_b32_e32 v1, 0
	s_barrier
	buffer_gl0_inv
	ds_load_b32 v2, v1 offset:64
	s_and_saveexec_b32 s3, s2
	s_cbranch_execz .LBB65_12
; %bb.11:
	s_lshl_b64 s[4:5], s[10:11], 2
	s_delay_alu instid0(SALU_CYCLE_1)
	s_add_u32 s4, s6, s4
	s_addc_u32 s5, s7, s5
	s_waitcnt lgkmcnt(0)
	global_store_b32 v1, v2, s[4:5]
.LBB65_12:
	s_or_b32 exec_lo, exec_lo, s3
	s_waitcnt lgkmcnt(0)
	v_cmp_ne_u32_e32 vcc_lo, 0, v2
	s_mov_b32 s3, 0
	s_cbranch_vccnz .LBB65_20
; %bb.13:
	v_add_nc_u32_e32 v11, 0, v19
                                        ; implicit-def: $vgpr9_vgpr10
	scratch_load_b128 v[1:4], v11, off
	s_waitcnt vmcnt(0)
	v_cmp_gt_f64_e32 vcc_lo, 0, v[1:2]
	v_xor_b32_e32 v6, 0x80000000, v2
	v_xor_b32_e32 v7, 0x80000000, v4
	s_delay_alu instid0(VALU_DEP_2) | instskip(SKIP_1) | instid1(VALU_DEP_3)
	v_cndmask_b32_e32 v6, v2, v6, vcc_lo
	v_cmp_gt_f64_e32 vcc_lo, 0, v[3:4]
	v_dual_mov_b32 v5, v1 :: v_dual_cndmask_b32 v8, v4, v7
	v_mov_b32_e32 v7, v3
	s_delay_alu instid0(VALU_DEP_1) | instskip(SKIP_1) | instid1(SALU_CYCLE_1)
	v_cmp_ngt_f64_e32 vcc_lo, v[5:6], v[7:8]
                                        ; implicit-def: $vgpr5_vgpr6
	s_and_saveexec_b32 s3, vcc_lo
	s_xor_b32 s3, exec_lo, s3
	s_cbranch_execz .LBB65_15
; %bb.14:
	v_div_scale_f64 v[5:6], null, v[3:4], v[3:4], v[1:2]
	v_div_scale_f64 v[20:21], vcc_lo, v[1:2], v[3:4], v[1:2]
	s_delay_alu instid0(VALU_DEP_2) | instskip(SKIP_2) | instid1(VALU_DEP_1)
	v_rcp_f64_e32 v[7:8], v[5:6]
	s_waitcnt_depctr 0xfff
	v_fma_f64 v[9:10], -v[5:6], v[7:8], 1.0
	v_fma_f64 v[7:8], v[7:8], v[9:10], v[7:8]
	s_delay_alu instid0(VALU_DEP_1) | instskip(NEXT) | instid1(VALU_DEP_1)
	v_fma_f64 v[9:10], -v[5:6], v[7:8], 1.0
	v_fma_f64 v[7:8], v[7:8], v[9:10], v[7:8]
	s_delay_alu instid0(VALU_DEP_1) | instskip(NEXT) | instid1(VALU_DEP_1)
	v_mul_f64 v[9:10], v[20:21], v[7:8]
	v_fma_f64 v[5:6], -v[5:6], v[9:10], v[20:21]
	s_delay_alu instid0(VALU_DEP_1) | instskip(NEXT) | instid1(VALU_DEP_1)
	v_div_fmas_f64 v[5:6], v[5:6], v[7:8], v[9:10]
	v_div_fixup_f64 v[5:6], v[5:6], v[3:4], v[1:2]
	s_delay_alu instid0(VALU_DEP_1) | instskip(NEXT) | instid1(VALU_DEP_1)
	v_fma_f64 v[1:2], v[1:2], v[5:6], v[3:4]
	v_div_scale_f64 v[3:4], null, v[1:2], v[1:2], 1.0
	v_div_scale_f64 v[20:21], vcc_lo, 1.0, v[1:2], 1.0
	s_delay_alu instid0(VALU_DEP_2) | instskip(SKIP_2) | instid1(VALU_DEP_1)
	v_rcp_f64_e32 v[7:8], v[3:4]
	s_waitcnt_depctr 0xfff
	v_fma_f64 v[9:10], -v[3:4], v[7:8], 1.0
	v_fma_f64 v[7:8], v[7:8], v[9:10], v[7:8]
	s_delay_alu instid0(VALU_DEP_1) | instskip(NEXT) | instid1(VALU_DEP_1)
	v_fma_f64 v[9:10], -v[3:4], v[7:8], 1.0
	v_fma_f64 v[7:8], v[7:8], v[9:10], v[7:8]
	s_delay_alu instid0(VALU_DEP_1) | instskip(NEXT) | instid1(VALU_DEP_1)
	v_mul_f64 v[9:10], v[20:21], v[7:8]
	v_fma_f64 v[3:4], -v[3:4], v[9:10], v[20:21]
	s_delay_alu instid0(VALU_DEP_1) | instskip(NEXT) | instid1(VALU_DEP_1)
	v_div_fmas_f64 v[3:4], v[3:4], v[7:8], v[9:10]
	v_div_fixup_f64 v[7:8], v[3:4], v[1:2], 1.0
                                        ; implicit-def: $vgpr1_vgpr2
	s_delay_alu instid0(VALU_DEP_1) | instskip(SKIP_1) | instid1(VALU_DEP_2)
	v_mul_f64 v[5:6], v[5:6], v[7:8]
	v_xor_b32_e32 v8, 0x80000000, v8
	v_xor_b32_e32 v10, 0x80000000, v6
	s_delay_alu instid0(VALU_DEP_3)
	v_mov_b32_e32 v9, v5
.LBB65_15:
	s_and_not1_saveexec_b32 s3, s3
	s_cbranch_execz .LBB65_17
; %bb.16:
	v_div_scale_f64 v[5:6], null, v[1:2], v[1:2], v[3:4]
	v_div_scale_f64 v[20:21], vcc_lo, v[3:4], v[1:2], v[3:4]
	s_delay_alu instid0(VALU_DEP_2) | instskip(SKIP_2) | instid1(VALU_DEP_1)
	v_rcp_f64_e32 v[7:8], v[5:6]
	s_waitcnt_depctr 0xfff
	v_fma_f64 v[9:10], -v[5:6], v[7:8], 1.0
	v_fma_f64 v[7:8], v[7:8], v[9:10], v[7:8]
	s_delay_alu instid0(VALU_DEP_1) | instskip(NEXT) | instid1(VALU_DEP_1)
	v_fma_f64 v[9:10], -v[5:6], v[7:8], 1.0
	v_fma_f64 v[7:8], v[7:8], v[9:10], v[7:8]
	s_delay_alu instid0(VALU_DEP_1) | instskip(NEXT) | instid1(VALU_DEP_1)
	v_mul_f64 v[9:10], v[20:21], v[7:8]
	v_fma_f64 v[5:6], -v[5:6], v[9:10], v[20:21]
	s_delay_alu instid0(VALU_DEP_1) | instskip(NEXT) | instid1(VALU_DEP_1)
	v_div_fmas_f64 v[5:6], v[5:6], v[7:8], v[9:10]
	v_div_fixup_f64 v[7:8], v[5:6], v[1:2], v[3:4]
	s_delay_alu instid0(VALU_DEP_1) | instskip(NEXT) | instid1(VALU_DEP_1)
	v_fma_f64 v[1:2], v[3:4], v[7:8], v[1:2]
	v_div_scale_f64 v[3:4], null, v[1:2], v[1:2], 1.0
	s_delay_alu instid0(VALU_DEP_1) | instskip(SKIP_2) | instid1(VALU_DEP_1)
	v_rcp_f64_e32 v[5:6], v[3:4]
	s_waitcnt_depctr 0xfff
	v_fma_f64 v[9:10], -v[3:4], v[5:6], 1.0
	v_fma_f64 v[5:6], v[5:6], v[9:10], v[5:6]
	s_delay_alu instid0(VALU_DEP_1) | instskip(NEXT) | instid1(VALU_DEP_1)
	v_fma_f64 v[9:10], -v[3:4], v[5:6], 1.0
	v_fma_f64 v[5:6], v[5:6], v[9:10], v[5:6]
	v_div_scale_f64 v[9:10], vcc_lo, 1.0, v[1:2], 1.0
	s_delay_alu instid0(VALU_DEP_1) | instskip(NEXT) | instid1(VALU_DEP_1)
	v_mul_f64 v[20:21], v[9:10], v[5:6]
	v_fma_f64 v[3:4], -v[3:4], v[20:21], v[9:10]
	s_delay_alu instid0(VALU_DEP_1) | instskip(NEXT) | instid1(VALU_DEP_1)
	v_div_fmas_f64 v[3:4], v[3:4], v[5:6], v[20:21]
	v_div_fixup_f64 v[5:6], v[3:4], v[1:2], 1.0
	s_delay_alu instid0(VALU_DEP_1)
	v_mul_f64 v[7:8], v[7:8], -v[5:6]
	v_xor_b32_e32 v10, 0x80000000, v6
	v_mov_b32_e32 v9, v5
.LBB65_17:
	s_or_b32 exec_lo, exec_lo, s3
	scratch_store_b128 v11, v[5:8], off
	scratch_load_b128 v[1:4], v18, off
	v_xor_b32_e32 v12, 0x80000000, v8
	v_mov_b32_e32 v11, v7
	ds_store_b128 v19, v[9:12]
	s_waitcnt vmcnt(0)
	ds_store_b128 v19, v[1:4] offset:32
	s_waitcnt lgkmcnt(0)
	s_waitcnt_vscnt null, 0x0
	s_barrier
	buffer_gl0_inv
	s_and_saveexec_b32 s3, s2
	s_cbranch_execz .LBB65_19
; %bb.18:
	scratch_load_b128 v[1:4], off, off
	v_mov_b32_e32 v11, 0
	ds_load_b128 v[5:8], v11 offset:32
	s_waitcnt vmcnt(0) lgkmcnt(0)
	v_mul_f64 v[9:10], v[5:6], v[3:4]
	v_mul_f64 v[3:4], v[7:8], v[3:4]
	s_delay_alu instid0(VALU_DEP_2) | instskip(NEXT) | instid1(VALU_DEP_2)
	v_fma_f64 v[7:8], v[7:8], v[1:2], v[9:10]
	v_fma_f64 v[1:2], v[5:6], v[1:2], -v[3:4]
	s_delay_alu instid0(VALU_DEP_2) | instskip(NEXT) | instid1(VALU_DEP_2)
	v_add_f64 v[5:6], v[7:8], 0
	v_add_f64 v[7:8], v[1:2], 0
	ds_load_b128 v[1:4], v11 offset:16
	s_waitcnt lgkmcnt(0)
	v_mul_f64 v[9:10], v[5:6], v[3:4]
	v_mul_f64 v[11:12], v[7:8], v[3:4]
	s_delay_alu instid0(VALU_DEP_2) | instskip(NEXT) | instid1(VALU_DEP_2)
	v_fma_f64 v[3:4], v[7:8], v[1:2], -v[9:10]
	v_fma_f64 v[5:6], v[5:6], v[1:2], v[11:12]
	scratch_store_b128 off, v[3:6], off offset:16
.LBB65_19:
	s_or_b32 exec_lo, exec_lo, s3
	s_mov_b32 s3, -1
	s_waitcnt_vscnt null, 0x0
	s_barrier
	buffer_gl0_inv
.LBB65_20:
	s_and_b32 vcc_lo, exec_lo, s3
	s_cbranch_vccz .LBB65_22
; %bb.21:
	s_lshl_b64 s[2:3], s[10:11], 2
	v_mov_b32_e32 v1, 0
	s_add_u32 s2, s6, s2
	s_addc_u32 s3, s7, s3
	global_load_b32 v1, v1, s[2:3]
	s_waitcnt vmcnt(0)
	v_cmp_ne_u32_e32 vcc_lo, 0, v1
	s_cbranch_vccz .LBB65_23
.LBB65_22:
	s_endpgm
.LBB65_23:
	s_mov_b32 s2, exec_lo
	v_cmpx_eq_u32_e32 1, v17
	s_cbranch_execz .LBB65_25
; %bb.24:
	scratch_load_b128 v[1:4], off, off
	v_mov_b32_e32 v5, 0
	s_delay_alu instid0(VALU_DEP_1)
	v_mov_b32_e32 v6, v5
	v_mov_b32_e32 v7, v5
	;; [unrolled: 1-line block ×3, first 2 shown]
	scratch_store_b128 off, v[5:8], off
	s_waitcnt vmcnt(0)
	ds_store_b128 v5, v[1:4] offset:48
.LBB65_25:
	s_or_b32 exec_lo, exec_lo, s2
	s_waitcnt lgkmcnt(0)
	s_waitcnt_vscnt null, 0x0
	s_barrier
	buffer_gl0_inv
	s_clause 0x1
	scratch_load_b128 v[1:4], off, off offset:16
	scratch_load_b128 v[5:8], off, off
	v_mov_b32_e32 v9, 0
	s_and_not1_b32 vcc_lo, exec_lo, s14
	ds_load_b128 v[9:12], v9 offset:48
	s_waitcnt vmcnt(1) lgkmcnt(0)
	v_mul_f64 v[19:20], v[11:12], v[3:4]
	v_mul_f64 v[3:4], v[9:10], v[3:4]
	s_delay_alu instid0(VALU_DEP_2) | instskip(NEXT) | instid1(VALU_DEP_2)
	v_fma_f64 v[9:10], v[9:10], v[1:2], -v[19:20]
	v_fma_f64 v[1:2], v[11:12], v[1:2], v[3:4]
	s_delay_alu instid0(VALU_DEP_2) | instskip(NEXT) | instid1(VALU_DEP_2)
	v_add_f64 v[3:4], v[9:10], 0
	v_add_f64 v[9:10], v[1:2], 0
	s_waitcnt vmcnt(0)
	s_delay_alu instid0(VALU_DEP_2) | instskip(NEXT) | instid1(VALU_DEP_2)
	v_add_f64 v[1:2], v[5:6], -v[3:4]
	v_add_f64 v[3:4], v[7:8], -v[9:10]
	scratch_store_b128 off, v[1:4], off
	s_cbranch_vccnz .LBB65_29
; %bb.26:
	v_dual_mov_b32 v1, s8 :: v_dual_mov_b32 v2, s9
	s_mov_b32 s2, exec_lo
	flat_load_b32 v1, v[1:2]
	s_waitcnt vmcnt(0) lgkmcnt(0)
	v_cmpx_ne_u32_e32 1, v1
	s_cbranch_execz .LBB65_28
; %bb.27:
	v_lshl_add_u32 v9, v1, 4, 0
	s_load_b64 s[0:1], s[0:1], 0x4
	v_bfe_u32 v10, v0, 10, 10
	v_bfe_u32 v0, v0, 20, 10
	scratch_load_b128 v[1:4], off, off
	scratch_load_b128 v[5:8], v9, off offset:-16
	s_waitcnt lgkmcnt(0)
	v_mul_u32_u24_e32 v10, s1, v10
	s_lshr_b32 s0, s0, 16
	s_delay_alu instid0(SALU_CYCLE_1)
	s_mul_i32 s0, s0, s1
	s_delay_alu instid0(VALU_DEP_1) | instid1(SALU_CYCLE_1)
	v_mad_u32_u24 v10, s0, v17, v10
	s_delay_alu instid0(VALU_DEP_1)
	v_add_lshl_u32 v0, v10, v0, 4
	s_waitcnt vmcnt(1)
	ds_store_2addr_b64 v0, v[1:2], v[3:4] offset0:9 offset1:10
	s_waitcnt vmcnt(0)
	scratch_store_b128 off, v[5:8], off
	scratch_store_b128 v9, v[1:4], off offset:-16
.LBB65_28:
	s_or_b32 exec_lo, exec_lo, s2
.LBB65_29:
	scratch_load_b128 v[0:3], off, off
	scratch_load_b128 v[4:7], v18, off
	s_waitcnt vmcnt(1)
	global_store_b128 v[13:14], v[0:3], off
	s_waitcnt vmcnt(0)
	global_store_b128 v[15:16], v[4:7], off
	s_endpgm
	.section	.rodata,"a",@progbits
	.p2align	6, 0x0
	.amdhsa_kernel _ZN9rocsolver6v33100L18getri_kernel_smallILi2E19rocblas_complex_numIdEPKPS3_EEvT1_iilPiilS8_bb
		.amdhsa_group_segment_fixed_size 1096
		.amdhsa_private_segment_fixed_size 48
		.amdhsa_kernarg_size 60
		.amdhsa_user_sgpr_count 15
		.amdhsa_user_sgpr_dispatch_ptr 1
		.amdhsa_user_sgpr_queue_ptr 0
		.amdhsa_user_sgpr_kernarg_segment_ptr 1
		.amdhsa_user_sgpr_dispatch_id 0
		.amdhsa_user_sgpr_private_segment_size 0
		.amdhsa_wavefront_size32 1
		.amdhsa_uses_dynamic_stack 0
		.amdhsa_enable_private_segment 1
		.amdhsa_system_sgpr_workgroup_id_x 1
		.amdhsa_system_sgpr_workgroup_id_y 0
		.amdhsa_system_sgpr_workgroup_id_z 0
		.amdhsa_system_sgpr_workgroup_info 0
		.amdhsa_system_vgpr_workitem_id 2
		.amdhsa_next_free_vgpr 22
		.amdhsa_next_free_sgpr 19
		.amdhsa_reserve_vcc 1
		.amdhsa_float_round_mode_32 0
		.amdhsa_float_round_mode_16_64 0
		.amdhsa_float_denorm_mode_32 3
		.amdhsa_float_denorm_mode_16_64 3
		.amdhsa_dx10_clamp 1
		.amdhsa_ieee_mode 1
		.amdhsa_fp16_overflow 0
		.amdhsa_workgroup_processor_mode 1
		.amdhsa_memory_ordered 1
		.amdhsa_forward_progress 0
		.amdhsa_shared_vgpr_count 0
		.amdhsa_exception_fp_ieee_invalid_op 0
		.amdhsa_exception_fp_denorm_src 0
		.amdhsa_exception_fp_ieee_div_zero 0
		.amdhsa_exception_fp_ieee_overflow 0
		.amdhsa_exception_fp_ieee_underflow 0
		.amdhsa_exception_fp_ieee_inexact 0
		.amdhsa_exception_int_div_zero 0
	.end_amdhsa_kernel
	.section	.text._ZN9rocsolver6v33100L18getri_kernel_smallILi2E19rocblas_complex_numIdEPKPS3_EEvT1_iilPiilS8_bb,"axG",@progbits,_ZN9rocsolver6v33100L18getri_kernel_smallILi2E19rocblas_complex_numIdEPKPS3_EEvT1_iilPiilS8_bb,comdat
.Lfunc_end65:
	.size	_ZN9rocsolver6v33100L18getri_kernel_smallILi2E19rocblas_complex_numIdEPKPS3_EEvT1_iilPiilS8_bb, .Lfunc_end65-_ZN9rocsolver6v33100L18getri_kernel_smallILi2E19rocblas_complex_numIdEPKPS3_EEvT1_iilPiilS8_bb
                                        ; -- End function
	.section	.AMDGPU.csdata,"",@progbits
; Kernel info:
; codeLenInByte = 1940
; NumSgprs: 21
; NumVgprs: 22
; ScratchSize: 48
; MemoryBound: 0
; FloatMode: 240
; IeeeMode: 1
; LDSByteSize: 1096 bytes/workgroup (compile time only)
; SGPRBlocks: 2
; VGPRBlocks: 2
; NumSGPRsForWavesPerEU: 21
; NumVGPRsForWavesPerEU: 22
; Occupancy: 16
; WaveLimiterHint : 1
; COMPUTE_PGM_RSRC2:SCRATCH_EN: 1
; COMPUTE_PGM_RSRC2:USER_SGPR: 15
; COMPUTE_PGM_RSRC2:TRAP_HANDLER: 0
; COMPUTE_PGM_RSRC2:TGID_X_EN: 1
; COMPUTE_PGM_RSRC2:TGID_Y_EN: 0
; COMPUTE_PGM_RSRC2:TGID_Z_EN: 0
; COMPUTE_PGM_RSRC2:TIDIG_COMP_CNT: 2
	.section	.text._ZN9rocsolver6v33100L18getri_kernel_smallILi3E19rocblas_complex_numIdEPKPS3_EEvT1_iilPiilS8_bb,"axG",@progbits,_ZN9rocsolver6v33100L18getri_kernel_smallILi3E19rocblas_complex_numIdEPKPS3_EEvT1_iilPiilS8_bb,comdat
	.globl	_ZN9rocsolver6v33100L18getri_kernel_smallILi3E19rocblas_complex_numIdEPKPS3_EEvT1_iilPiilS8_bb ; -- Begin function _ZN9rocsolver6v33100L18getri_kernel_smallILi3E19rocblas_complex_numIdEPKPS3_EEvT1_iilPiilS8_bb
	.p2align	8
	.type	_ZN9rocsolver6v33100L18getri_kernel_smallILi3E19rocblas_complex_numIdEPKPS3_EEvT1_iilPiilS8_bb,@function
_ZN9rocsolver6v33100L18getri_kernel_smallILi3E19rocblas_complex_numIdEPKPS3_EEvT1_iilPiilS8_bb: ; @_ZN9rocsolver6v33100L18getri_kernel_smallILi3E19rocblas_complex_numIdEPKPS3_EEvT1_iilPiilS8_bb
; %bb.0:
	s_mov_b32 s2, exec_lo
	v_cmpx_gt_u32_e32 3, v0
	s_cbranch_execz .LBB66_26
; %bb.1:
	s_clause 0x1
	s_load_b32 s13, s[0:1], 0x38
	s_load_b64 s[2:3], s[0:1], 0x0
	s_mov_b32 s8, s15
	s_load_b128 s[4:7], s[0:1], 0x28
	s_waitcnt lgkmcnt(0)
	s_bitcmp1_b32 s13, 8
	s_cselect_b32 s12, -1, 0
	s_ashr_i32 s9, s15, 31
	s_delay_alu instid0(SALU_CYCLE_1) | instskip(NEXT) | instid1(SALU_CYCLE_1)
	s_lshl_b64 s[10:11], s[8:9], 3
	s_add_u32 s2, s2, s10
	s_addc_u32 s3, s3, s11
	s_load_b64 s[10:11], s[2:3], 0x0
	s_bfe_u32 s2, s13, 0x10008
	s_delay_alu instid0(SALU_CYCLE_1)
	s_cmp_eq_u32 s2, 0
                                        ; implicit-def: $sgpr2_sgpr3
	s_cbranch_scc1 .LBB66_3
; %bb.2:
	s_clause 0x1
	s_load_b32 s2, s[0:1], 0x20
	s_load_b64 s[14:15], s[0:1], 0x18
	s_mul_i32 s3, s8, s5
	s_mul_hi_u32 s5, s8, s4
	s_mul_i32 s16, s9, s4
	s_add_i32 s3, s5, s3
	s_mul_i32 s4, s8, s4
	s_add_i32 s5, s3, s16
	s_delay_alu instid0(SALU_CYCLE_1)
	s_lshl_b64 s[4:5], s[4:5], 2
	s_waitcnt lgkmcnt(0)
	s_ashr_i32 s3, s2, 31
	s_add_u32 s4, s14, s4
	s_addc_u32 s5, s15, s5
	s_lshl_b64 s[2:3], s[2:3], 2
	s_delay_alu instid0(SALU_CYCLE_1)
	s_add_u32 s2, s4, s2
	s_addc_u32 s3, s5, s3
.LBB66_3:
	s_load_b64 s[0:1], s[0:1], 0x8
	v_lshlrev_b32_e32 v21, 4, v0
	v_add_nc_u32_e64 v20, 16, 16
	v_add_nc_u32_e64 v19, 16, 32
	s_waitcnt lgkmcnt(0)
	v_add3_u32 v1, s1, s1, v0
	s_ashr_i32 s5, s0, 31
	s_mov_b32 s4, s0
	s_mov_b32 s0, s1
	s_lshl_b64 s[4:5], s[4:5], 4
	v_ashrrev_i32_e32 v2, 31, v1
	s_add_u32 s4, s10, s4
	s_addc_u32 s5, s11, s5
	v_add_co_u32 v13, s10, s4, v21
	s_ashr_i32 s1, s1, 31
	v_add_co_ci_u32_e64 v14, null, s5, 0, s10
	v_lshlrev_b64 v[1:2], 4, v[1:2]
	s_lshl_b64 s[0:1], s[0:1], 4
	s_bitcmp0_b32 s13, 0
	v_add_co_u32 v15, vcc_lo, v13, s0
	v_add_co_ci_u32_e32 v16, vcc_lo, s1, v14, vcc_lo
	s_delay_alu instid0(VALU_DEP_3)
	v_add_co_u32 v17, vcc_lo, s4, v1
	v_add_co_ci_u32_e32 v18, vcc_lo, s5, v2, vcc_lo
	s_clause 0x2
	global_load_b128 v[1:4], v21, s[4:5]
	global_load_b128 v[5:8], v[15:16], off
	global_load_b128 v[9:12], v[17:18], off
	s_mov_b32 s1, -1
	s_waitcnt vmcnt(2)
	scratch_store_b128 off, v[1:4], off offset:16
	s_waitcnt vmcnt(1)
	scratch_store_b128 off, v[5:8], off offset:32
	;; [unrolled: 2-line block ×3, first 2 shown]
	s_cbranch_scc1 .LBB66_24
; %bb.4:
	v_cmp_eq_u32_e64 s0, 0, v0
	s_delay_alu instid0(VALU_DEP_1)
	s_and_saveexec_b32 s1, s0
	s_cbranch_execz .LBB66_6
; %bb.5:
	v_mov_b32_e32 v1, 0
	ds_store_b32 v1, v1 offset:96
.LBB66_6:
	s_or_b32 exec_lo, exec_lo, s1
	s_waitcnt lgkmcnt(0)
	s_waitcnt_vscnt null, 0x0
	s_barrier
	buffer_gl0_inv
	scratch_load_b128 v[1:4], v21, off offset:16
	s_waitcnt vmcnt(0)
	v_cmp_eq_f64_e32 vcc_lo, 0, v[1:2]
	v_cmp_eq_f64_e64 s1, 0, v[3:4]
	s_delay_alu instid0(VALU_DEP_1) | instskip(NEXT) | instid1(SALU_CYCLE_1)
	s_and_b32 s1, vcc_lo, s1
	s_and_saveexec_b32 s4, s1
	s_cbranch_execz .LBB66_10
; %bb.7:
	v_mov_b32_e32 v1, 0
	s_mov_b32 s5, 0
	ds_load_b32 v2, v1 offset:96
	s_waitcnt lgkmcnt(0)
	v_readfirstlane_b32 s1, v2
	v_add_nc_u32_e32 v2, 1, v0
	s_delay_alu instid0(VALU_DEP_2) | instskip(NEXT) | instid1(VALU_DEP_1)
	s_cmp_eq_u32 s1, 0
	v_cmp_gt_i32_e32 vcc_lo, s1, v2
	s_cselect_b32 s10, -1, 0
	s_delay_alu instid0(SALU_CYCLE_1) | instskip(NEXT) | instid1(SALU_CYCLE_1)
	s_or_b32 s10, s10, vcc_lo
	s_and_b32 exec_lo, exec_lo, s10
	s_cbranch_execz .LBB66_10
; %bb.8:
	v_mov_b32_e32 v3, s1
.LBB66_9:                               ; =>This Inner Loop Header: Depth=1
	ds_cmpstore_rtn_b32 v3, v1, v2, v3 offset:96
	s_waitcnt lgkmcnt(0)
	v_cmp_ne_u32_e32 vcc_lo, 0, v3
	v_cmp_le_i32_e64 s1, v3, v2
	s_delay_alu instid0(VALU_DEP_1) | instskip(NEXT) | instid1(SALU_CYCLE_1)
	s_and_b32 s1, vcc_lo, s1
	s_and_b32 s1, exec_lo, s1
	s_delay_alu instid0(SALU_CYCLE_1) | instskip(NEXT) | instid1(SALU_CYCLE_1)
	s_or_b32 s5, s1, s5
	s_and_not1_b32 exec_lo, exec_lo, s5
	s_cbranch_execnz .LBB66_9
.LBB66_10:
	s_or_b32 exec_lo, exec_lo, s4
	v_mov_b32_e32 v1, 0
	s_barrier
	buffer_gl0_inv
	ds_load_b32 v2, v1 offset:96
	s_and_saveexec_b32 s1, s0
	s_cbranch_execz .LBB66_12
; %bb.11:
	s_lshl_b64 s[4:5], s[8:9], 2
	s_delay_alu instid0(SALU_CYCLE_1)
	s_add_u32 s4, s6, s4
	s_addc_u32 s5, s7, s5
	s_waitcnt lgkmcnt(0)
	global_store_b32 v1, v2, s[4:5]
.LBB66_12:
	s_or_b32 exec_lo, exec_lo, s1
	s_waitcnt lgkmcnt(0)
	v_cmp_ne_u32_e32 vcc_lo, 0, v2
	s_mov_b32 s1, 0
	s_cbranch_vccnz .LBB66_24
; %bb.13:
	v_add_nc_u32_e32 v22, 16, v21
                                        ; implicit-def: $vgpr9_vgpr10
	scratch_load_b128 v[1:4], v22, off
	s_waitcnt vmcnt(0)
	v_mov_b32_e32 v5, v1
	v_cmp_gt_f64_e32 vcc_lo, 0, v[1:2]
	v_xor_b32_e32 v6, 0x80000000, v2
	v_xor_b32_e32 v7, 0x80000000, v4
	s_delay_alu instid0(VALU_DEP_2) | instskip(SKIP_1) | instid1(VALU_DEP_3)
	v_cndmask_b32_e32 v6, v2, v6, vcc_lo
	v_cmp_gt_f64_e32 vcc_lo, 0, v[3:4]
	v_dual_cndmask_b32 v8, v4, v7 :: v_dual_mov_b32 v7, v3
	s_delay_alu instid0(VALU_DEP_1) | instskip(SKIP_1) | instid1(SALU_CYCLE_1)
	v_cmp_ngt_f64_e32 vcc_lo, v[5:6], v[7:8]
                                        ; implicit-def: $vgpr5_vgpr6
	s_and_saveexec_b32 s1, vcc_lo
	s_xor_b32 s1, exec_lo, s1
	s_cbranch_execz .LBB66_15
; %bb.14:
	v_div_scale_f64 v[5:6], null, v[3:4], v[3:4], v[1:2]
	v_div_scale_f64 v[11:12], vcc_lo, v[1:2], v[3:4], v[1:2]
	s_delay_alu instid0(VALU_DEP_2) | instskip(SKIP_2) | instid1(VALU_DEP_1)
	v_rcp_f64_e32 v[7:8], v[5:6]
	s_waitcnt_depctr 0xfff
	v_fma_f64 v[9:10], -v[5:6], v[7:8], 1.0
	v_fma_f64 v[7:8], v[7:8], v[9:10], v[7:8]
	s_delay_alu instid0(VALU_DEP_1) | instskip(NEXT) | instid1(VALU_DEP_1)
	v_fma_f64 v[9:10], -v[5:6], v[7:8], 1.0
	v_fma_f64 v[7:8], v[7:8], v[9:10], v[7:8]
	s_delay_alu instid0(VALU_DEP_1) | instskip(NEXT) | instid1(VALU_DEP_1)
	v_mul_f64 v[9:10], v[11:12], v[7:8]
	v_fma_f64 v[5:6], -v[5:6], v[9:10], v[11:12]
	s_delay_alu instid0(VALU_DEP_1) | instskip(NEXT) | instid1(VALU_DEP_1)
	v_div_fmas_f64 v[5:6], v[5:6], v[7:8], v[9:10]
	v_div_fixup_f64 v[5:6], v[5:6], v[3:4], v[1:2]
	s_delay_alu instid0(VALU_DEP_1) | instskip(NEXT) | instid1(VALU_DEP_1)
	v_fma_f64 v[1:2], v[1:2], v[5:6], v[3:4]
	v_div_scale_f64 v[3:4], null, v[1:2], v[1:2], 1.0
	v_div_scale_f64 v[11:12], vcc_lo, 1.0, v[1:2], 1.0
	s_delay_alu instid0(VALU_DEP_2) | instskip(SKIP_2) | instid1(VALU_DEP_1)
	v_rcp_f64_e32 v[7:8], v[3:4]
	s_waitcnt_depctr 0xfff
	v_fma_f64 v[9:10], -v[3:4], v[7:8], 1.0
	v_fma_f64 v[7:8], v[7:8], v[9:10], v[7:8]
	s_delay_alu instid0(VALU_DEP_1) | instskip(NEXT) | instid1(VALU_DEP_1)
	v_fma_f64 v[9:10], -v[3:4], v[7:8], 1.0
	v_fma_f64 v[7:8], v[7:8], v[9:10], v[7:8]
	s_delay_alu instid0(VALU_DEP_1) | instskip(NEXT) | instid1(VALU_DEP_1)
	v_mul_f64 v[9:10], v[11:12], v[7:8]
	v_fma_f64 v[3:4], -v[3:4], v[9:10], v[11:12]
	s_delay_alu instid0(VALU_DEP_1) | instskip(NEXT) | instid1(VALU_DEP_1)
	v_div_fmas_f64 v[3:4], v[3:4], v[7:8], v[9:10]
	v_div_fixup_f64 v[7:8], v[3:4], v[1:2], 1.0
                                        ; implicit-def: $vgpr1_vgpr2
	s_delay_alu instid0(VALU_DEP_1) | instskip(SKIP_1) | instid1(VALU_DEP_2)
	v_mul_f64 v[5:6], v[5:6], v[7:8]
	v_xor_b32_e32 v8, 0x80000000, v8
	v_xor_b32_e32 v10, 0x80000000, v6
	s_delay_alu instid0(VALU_DEP_3)
	v_mov_b32_e32 v9, v5
.LBB66_15:
	s_and_not1_saveexec_b32 s1, s1
	s_cbranch_execz .LBB66_17
; %bb.16:
	v_div_scale_f64 v[5:6], null, v[1:2], v[1:2], v[3:4]
	v_div_scale_f64 v[11:12], vcc_lo, v[3:4], v[1:2], v[3:4]
	s_delay_alu instid0(VALU_DEP_2) | instskip(SKIP_2) | instid1(VALU_DEP_1)
	v_rcp_f64_e32 v[7:8], v[5:6]
	s_waitcnt_depctr 0xfff
	v_fma_f64 v[9:10], -v[5:6], v[7:8], 1.0
	v_fma_f64 v[7:8], v[7:8], v[9:10], v[7:8]
	s_delay_alu instid0(VALU_DEP_1) | instskip(NEXT) | instid1(VALU_DEP_1)
	v_fma_f64 v[9:10], -v[5:6], v[7:8], 1.0
	v_fma_f64 v[7:8], v[7:8], v[9:10], v[7:8]
	s_delay_alu instid0(VALU_DEP_1) | instskip(NEXT) | instid1(VALU_DEP_1)
	v_mul_f64 v[9:10], v[11:12], v[7:8]
	v_fma_f64 v[5:6], -v[5:6], v[9:10], v[11:12]
	s_delay_alu instid0(VALU_DEP_1) | instskip(NEXT) | instid1(VALU_DEP_1)
	v_div_fmas_f64 v[5:6], v[5:6], v[7:8], v[9:10]
	v_div_fixup_f64 v[7:8], v[5:6], v[1:2], v[3:4]
	s_delay_alu instid0(VALU_DEP_1) | instskip(NEXT) | instid1(VALU_DEP_1)
	v_fma_f64 v[1:2], v[3:4], v[7:8], v[1:2]
	v_div_scale_f64 v[3:4], null, v[1:2], v[1:2], 1.0
	s_delay_alu instid0(VALU_DEP_1) | instskip(SKIP_2) | instid1(VALU_DEP_1)
	v_rcp_f64_e32 v[5:6], v[3:4]
	s_waitcnt_depctr 0xfff
	v_fma_f64 v[9:10], -v[3:4], v[5:6], 1.0
	v_fma_f64 v[5:6], v[5:6], v[9:10], v[5:6]
	s_delay_alu instid0(VALU_DEP_1) | instskip(NEXT) | instid1(VALU_DEP_1)
	v_fma_f64 v[9:10], -v[3:4], v[5:6], 1.0
	v_fma_f64 v[5:6], v[5:6], v[9:10], v[5:6]
	v_div_scale_f64 v[9:10], vcc_lo, 1.0, v[1:2], 1.0
	s_delay_alu instid0(VALU_DEP_1) | instskip(NEXT) | instid1(VALU_DEP_1)
	v_mul_f64 v[11:12], v[9:10], v[5:6]
	v_fma_f64 v[3:4], -v[3:4], v[11:12], v[9:10]
	s_delay_alu instid0(VALU_DEP_1) | instskip(NEXT) | instid1(VALU_DEP_1)
	v_div_fmas_f64 v[3:4], v[3:4], v[5:6], v[11:12]
	v_div_fixup_f64 v[5:6], v[3:4], v[1:2], 1.0
	s_delay_alu instid0(VALU_DEP_1)
	v_mul_f64 v[7:8], v[7:8], -v[5:6]
	v_xor_b32_e32 v10, 0x80000000, v6
	v_mov_b32_e32 v9, v5
.LBB66_17:
	s_or_b32 exec_lo, exec_lo, s1
	scratch_store_b128 v22, v[5:8], off
	scratch_load_b128 v[2:5], v20, off
	v_xor_b32_e32 v12, 0x80000000, v8
	v_mov_b32_e32 v11, v7
	v_add_nc_u32_e32 v1, 48, v21
	ds_store_b128 v21, v[9:12]
	s_waitcnt vmcnt(0)
	ds_store_b128 v21, v[2:5] offset:48
	s_waitcnt lgkmcnt(0)
	s_waitcnt_vscnt null, 0x0
	s_barrier
	buffer_gl0_inv
	s_and_saveexec_b32 s1, s0
	s_cbranch_execz .LBB66_19
; %bb.18:
	scratch_load_b128 v[2:5], v22, off
	ds_load_b128 v[6:9], v1
	v_mov_b32_e32 v10, 0
	ds_load_b128 v[23:26], v10 offset:16
	s_waitcnt vmcnt(0) lgkmcnt(1)
	v_mul_f64 v[10:11], v[6:7], v[4:5]
	v_mul_f64 v[4:5], v[8:9], v[4:5]
	s_delay_alu instid0(VALU_DEP_2) | instskip(NEXT) | instid1(VALU_DEP_2)
	v_fma_f64 v[8:9], v[8:9], v[2:3], v[10:11]
	v_fma_f64 v[2:3], v[6:7], v[2:3], -v[4:5]
	s_delay_alu instid0(VALU_DEP_2) | instskip(NEXT) | instid1(VALU_DEP_2)
	v_add_f64 v[4:5], v[8:9], 0
	v_add_f64 v[2:3], v[2:3], 0
	s_waitcnt lgkmcnt(0)
	s_delay_alu instid0(VALU_DEP_2) | instskip(NEXT) | instid1(VALU_DEP_2)
	v_mul_f64 v[6:7], v[4:5], v[25:26]
	v_mul_f64 v[8:9], v[2:3], v[25:26]
	s_delay_alu instid0(VALU_DEP_2) | instskip(NEXT) | instid1(VALU_DEP_2)
	v_fma_f64 v[2:3], v[2:3], v[23:24], -v[6:7]
	v_fma_f64 v[4:5], v[4:5], v[23:24], v[8:9]
	scratch_store_b128 off, v[2:5], off offset:32
.LBB66_19:
	s_or_b32 exec_lo, exec_lo, s1
	s_waitcnt_vscnt null, 0x0
	s_barrier
	buffer_gl0_inv
	scratch_load_b128 v[2:5], v19, off
	s_mov_b32 s1, exec_lo
	s_waitcnt vmcnt(0)
	ds_store_b128 v1, v[2:5]
	s_waitcnt lgkmcnt(0)
	s_barrier
	buffer_gl0_inv
	v_cmpx_ne_u32_e32 2, v0
	s_cbranch_execz .LBB66_23
; %bb.20:
	scratch_load_b128 v[2:5], v22, off
	ds_load_b128 v[6:9], v1
	s_waitcnt vmcnt(0) lgkmcnt(0)
	v_mul_f64 v[10:11], v[8:9], v[4:5]
	v_mul_f64 v[4:5], v[6:7], v[4:5]
	s_delay_alu instid0(VALU_DEP_2) | instskip(NEXT) | instid1(VALU_DEP_2)
	v_fma_f64 v[6:7], v[6:7], v[2:3], -v[10:11]
	v_fma_f64 v[3:4], v[8:9], v[2:3], v[4:5]
	s_delay_alu instid0(VALU_DEP_2) | instskip(NEXT) | instid1(VALU_DEP_2)
	v_add_f64 v[1:2], v[6:7], 0
	v_add_f64 v[3:4], v[3:4], 0
	s_and_saveexec_b32 s4, s0
	s_cbranch_execz .LBB66_22
; %bb.21:
	scratch_load_b128 v[5:8], off, off offset:32
	v_mov_b32_e32 v9, 0
	ds_load_b128 v[9:12], v9 offset:64
	s_waitcnt vmcnt(0) lgkmcnt(0)
	v_mul_f64 v[21:22], v[9:10], v[7:8]
	v_mul_f64 v[7:8], v[11:12], v[7:8]
	s_delay_alu instid0(VALU_DEP_2) | instskip(NEXT) | instid1(VALU_DEP_2)
	v_fma_f64 v[11:12], v[11:12], v[5:6], v[21:22]
	v_fma_f64 v[5:6], v[9:10], v[5:6], -v[7:8]
	s_delay_alu instid0(VALU_DEP_2) | instskip(NEXT) | instid1(VALU_DEP_2)
	v_add_f64 v[3:4], v[3:4], v[11:12]
	v_add_f64 v[1:2], v[1:2], v[5:6]
.LBB66_22:
	s_or_b32 exec_lo, exec_lo, s4
	v_mov_b32_e32 v5, 0
	ds_load_b128 v[5:8], v5 offset:32
	s_waitcnt lgkmcnt(0)
	v_mul_f64 v[9:10], v[3:4], v[7:8]
	v_mul_f64 v[7:8], v[1:2], v[7:8]
	s_delay_alu instid0(VALU_DEP_2) | instskip(NEXT) | instid1(VALU_DEP_2)
	v_fma_f64 v[1:2], v[1:2], v[5:6], -v[9:10]
	v_fma_f64 v[3:4], v[3:4], v[5:6], v[7:8]
	scratch_store_b128 off, v[1:4], off offset:48
.LBB66_23:
	s_or_b32 exec_lo, exec_lo, s1
	s_mov_b32 s1, -1
	s_waitcnt_vscnt null, 0x0
	s_barrier
	buffer_gl0_inv
.LBB66_24:
	s_and_b32 vcc_lo, exec_lo, s1
	s_cbranch_vccz .LBB66_26
; %bb.25:
	s_lshl_b64 s[0:1], s[8:9], 2
	v_mov_b32_e32 v1, 0
	s_add_u32 s0, s6, s0
	s_addc_u32 s1, s7, s1
	global_load_b32 v1, v1, s[0:1]
	s_waitcnt vmcnt(0)
	v_cmp_ne_u32_e32 vcc_lo, 0, v1
	s_cbranch_vccz .LBB66_27
.LBB66_26:
	s_endpgm
.LBB66_27:
	v_lshl_add_u32 v5, v0, 4, 48
	s_mov_b32 s0, exec_lo
	v_cmpx_eq_u32_e32 2, v0
	s_cbranch_execz .LBB66_29
; %bb.28:
	scratch_load_b128 v[1:4], v20, off
	v_mov_b32_e32 v6, 0
	s_delay_alu instid0(VALU_DEP_1)
	v_mov_b32_e32 v7, v6
	v_mov_b32_e32 v8, v6
	;; [unrolled: 1-line block ×3, first 2 shown]
	scratch_store_b128 off, v[6:9], off offset:32
	s_waitcnt vmcnt(0)
	ds_store_b128 v5, v[1:4]
.LBB66_29:
	s_or_b32 exec_lo, exec_lo, s0
	s_waitcnt lgkmcnt(0)
	s_waitcnt_vscnt null, 0x0
	s_barrier
	buffer_gl0_inv
	s_clause 0x1
	scratch_load_b128 v[6:9], off, off offset:48
	scratch_load_b128 v[21:24], off, off offset:32
	v_mov_b32_e32 v1, 0
	s_mov_b32 s0, exec_lo
	ds_load_b128 v[25:28], v1 offset:80
	s_waitcnt vmcnt(1) lgkmcnt(0)
	v_mul_f64 v[2:3], v[27:28], v[8:9]
	v_mul_f64 v[8:9], v[25:26], v[8:9]
	s_delay_alu instid0(VALU_DEP_2) | instskip(NEXT) | instid1(VALU_DEP_2)
	v_fma_f64 v[2:3], v[25:26], v[6:7], -v[2:3]
	v_fma_f64 v[6:7], v[27:28], v[6:7], v[8:9]
	s_delay_alu instid0(VALU_DEP_2) | instskip(NEXT) | instid1(VALU_DEP_2)
	v_add_f64 v[2:3], v[2:3], 0
	v_add_f64 v[8:9], v[6:7], 0
	s_waitcnt vmcnt(0)
	s_delay_alu instid0(VALU_DEP_2) | instskip(NEXT) | instid1(VALU_DEP_2)
	v_add_f64 v[6:7], v[21:22], -v[2:3]
	v_add_f64 v[8:9], v[23:24], -v[8:9]
	scratch_store_b128 off, v[6:9], off offset:32
	v_cmpx_ne_u32_e32 0, v0
	s_cbranch_execz .LBB66_31
; %bb.30:
	scratch_load_b128 v[6:9], off, off offset:16
	v_mov_b32_e32 v2, v1
	v_mov_b32_e32 v3, v1
	;; [unrolled: 1-line block ×3, first 2 shown]
	scratch_store_b128 off, v[1:4], off offset:16
	s_waitcnt vmcnt(0)
	ds_store_b128 v5, v[6:9]
.LBB66_31:
	s_or_b32 exec_lo, exec_lo, s0
	s_waitcnt lgkmcnt(0)
	s_waitcnt_vscnt null, 0x0
	s_barrier
	buffer_gl0_inv
	s_clause 0x2
	scratch_load_b128 v[2:5], off, off offset:32
	scratch_load_b128 v[6:9], off, off offset:48
	;; [unrolled: 1-line block ×3, first 2 shown]
	ds_load_b128 v[25:28], v1 offset:64
	ds_load_b128 v[29:32], v1 offset:80
	s_and_b32 vcc_lo, exec_lo, s12
	s_waitcnt vmcnt(2) lgkmcnt(1)
	v_mul_f64 v[0:1], v[27:28], v[4:5]
	v_mul_f64 v[4:5], v[25:26], v[4:5]
	s_waitcnt vmcnt(1) lgkmcnt(0)
	v_mul_f64 v[10:11], v[29:30], v[8:9]
	v_mul_f64 v[8:9], v[31:32], v[8:9]
	s_delay_alu instid0(VALU_DEP_4) | instskip(NEXT) | instid1(VALU_DEP_4)
	v_fma_f64 v[0:1], v[25:26], v[2:3], -v[0:1]
	v_fma_f64 v[2:3], v[27:28], v[2:3], v[4:5]
	s_delay_alu instid0(VALU_DEP_4) | instskip(NEXT) | instid1(VALU_DEP_4)
	v_fma_f64 v[4:5], v[31:32], v[6:7], v[10:11]
	v_fma_f64 v[6:7], v[29:30], v[6:7], -v[8:9]
	s_delay_alu instid0(VALU_DEP_4) | instskip(NEXT) | instid1(VALU_DEP_4)
	v_add_f64 v[0:1], v[0:1], 0
	v_add_f64 v[2:3], v[2:3], 0
	s_delay_alu instid0(VALU_DEP_2) | instskip(NEXT) | instid1(VALU_DEP_2)
	v_add_f64 v[0:1], v[0:1], v[6:7]
	v_add_f64 v[2:3], v[2:3], v[4:5]
	s_waitcnt vmcnt(0)
	s_delay_alu instid0(VALU_DEP_2) | instskip(NEXT) | instid1(VALU_DEP_2)
	v_add_f64 v[0:1], v[21:22], -v[0:1]
	v_add_f64 v[2:3], v[23:24], -v[2:3]
	scratch_store_b128 off, v[0:3], off offset:16
	s_cbranch_vccz .LBB66_37
; %bb.32:
	v_dual_mov_b32 v0, s2 :: v_dual_mov_b32 v1, s3
	s_mov_b32 s0, exec_lo
	flat_load_b32 v0, v[0:1] offset:4
	s_waitcnt vmcnt(0) lgkmcnt(0)
	v_cmpx_ne_u32_e32 2, v0
	s_cbranch_execz .LBB66_34
; %bb.33:
	v_lshl_add_u32 v8, v0, 4, 16
	s_clause 0x1
	scratch_load_b128 v[0:3], v8, off offset:-16
	scratch_load_b128 v[4:7], v20, off
	s_waitcnt vmcnt(1)
	scratch_store_b128 v20, v[0:3], off
	s_waitcnt vmcnt(0)
	scratch_store_b128 v8, v[4:7], off offset:-16
.LBB66_34:
	s_or_b32 exec_lo, exec_lo, s0
	v_dual_mov_b32 v0, s2 :: v_dual_mov_b32 v1, s3
	s_mov_b32 s0, exec_lo
	flat_load_b32 v0, v[0:1]
	s_waitcnt vmcnt(0) lgkmcnt(0)
	v_cmpx_ne_u32_e32 1, v0
	s_cbranch_execz .LBB66_36
; %bb.35:
	v_lshl_add_u32 v8, v0, 4, 16
	scratch_load_b128 v[0:3], v8, off offset:-16
	scratch_load_b128 v[4:7], off, off offset:16
	s_waitcnt vmcnt(1)
	scratch_store_b128 off, v[0:3], off offset:16
	s_waitcnt vmcnt(0)
	scratch_store_b128 v8, v[4:7], off offset:-16
.LBB66_36:
	s_or_b32 exec_lo, exec_lo, s0
.LBB66_37:
	scratch_load_b128 v[0:3], off, off offset:16
	s_clause 0x1
	scratch_load_b128 v[4:7], v20, off
	scratch_load_b128 v[8:11], v19, off
	s_waitcnt vmcnt(2)
	global_store_b128 v[13:14], v[0:3], off
	s_waitcnt vmcnt(1)
	global_store_b128 v[15:16], v[4:7], off
	;; [unrolled: 2-line block ×3, first 2 shown]
	s_endpgm
	.section	.rodata,"a",@progbits
	.p2align	6, 0x0
	.amdhsa_kernel _ZN9rocsolver6v33100L18getri_kernel_smallILi3E19rocblas_complex_numIdEPKPS3_EEvT1_iilPiilS8_bb
		.amdhsa_group_segment_fixed_size 104
		.amdhsa_private_segment_fixed_size 80
		.amdhsa_kernarg_size 60
		.amdhsa_user_sgpr_count 15
		.amdhsa_user_sgpr_dispatch_ptr 0
		.amdhsa_user_sgpr_queue_ptr 0
		.amdhsa_user_sgpr_kernarg_segment_ptr 1
		.amdhsa_user_sgpr_dispatch_id 0
		.amdhsa_user_sgpr_private_segment_size 0
		.amdhsa_wavefront_size32 1
		.amdhsa_uses_dynamic_stack 0
		.amdhsa_enable_private_segment 1
		.amdhsa_system_sgpr_workgroup_id_x 1
		.amdhsa_system_sgpr_workgroup_id_y 0
		.amdhsa_system_sgpr_workgroup_id_z 0
		.amdhsa_system_sgpr_workgroup_info 0
		.amdhsa_system_vgpr_workitem_id 0
		.amdhsa_next_free_vgpr 33
		.amdhsa_next_free_sgpr 17
		.amdhsa_reserve_vcc 1
		.amdhsa_float_round_mode_32 0
		.amdhsa_float_round_mode_16_64 0
		.amdhsa_float_denorm_mode_32 3
		.amdhsa_float_denorm_mode_16_64 3
		.amdhsa_dx10_clamp 1
		.amdhsa_ieee_mode 1
		.amdhsa_fp16_overflow 0
		.amdhsa_workgroup_processor_mode 1
		.amdhsa_memory_ordered 1
		.amdhsa_forward_progress 0
		.amdhsa_shared_vgpr_count 0
		.amdhsa_exception_fp_ieee_invalid_op 0
		.amdhsa_exception_fp_denorm_src 0
		.amdhsa_exception_fp_ieee_div_zero 0
		.amdhsa_exception_fp_ieee_overflow 0
		.amdhsa_exception_fp_ieee_underflow 0
		.amdhsa_exception_fp_ieee_inexact 0
		.amdhsa_exception_int_div_zero 0
	.end_amdhsa_kernel
	.section	.text._ZN9rocsolver6v33100L18getri_kernel_smallILi3E19rocblas_complex_numIdEPKPS3_EEvT1_iilPiilS8_bb,"axG",@progbits,_ZN9rocsolver6v33100L18getri_kernel_smallILi3E19rocblas_complex_numIdEPKPS3_EEvT1_iilPiilS8_bb,comdat
.Lfunc_end66:
	.size	_ZN9rocsolver6v33100L18getri_kernel_smallILi3E19rocblas_complex_numIdEPKPS3_EEvT1_iilPiilS8_bb, .Lfunc_end66-_ZN9rocsolver6v33100L18getri_kernel_smallILi3E19rocblas_complex_numIdEPKPS3_EEvT1_iilPiilS8_bb
                                        ; -- End function
	.section	.AMDGPU.csdata,"",@progbits
; Kernel info:
; codeLenInByte = 2604
; NumSgprs: 19
; NumVgprs: 33
; ScratchSize: 80
; MemoryBound: 0
; FloatMode: 240
; IeeeMode: 1
; LDSByteSize: 104 bytes/workgroup (compile time only)
; SGPRBlocks: 2
; VGPRBlocks: 4
; NumSGPRsForWavesPerEU: 19
; NumVGPRsForWavesPerEU: 33
; Occupancy: 16
; WaveLimiterHint : 1
; COMPUTE_PGM_RSRC2:SCRATCH_EN: 1
; COMPUTE_PGM_RSRC2:USER_SGPR: 15
; COMPUTE_PGM_RSRC2:TRAP_HANDLER: 0
; COMPUTE_PGM_RSRC2:TGID_X_EN: 1
; COMPUTE_PGM_RSRC2:TGID_Y_EN: 0
; COMPUTE_PGM_RSRC2:TGID_Z_EN: 0
; COMPUTE_PGM_RSRC2:TIDIG_COMP_CNT: 0
	.section	.text._ZN9rocsolver6v33100L18getri_kernel_smallILi4E19rocblas_complex_numIdEPKPS3_EEvT1_iilPiilS8_bb,"axG",@progbits,_ZN9rocsolver6v33100L18getri_kernel_smallILi4E19rocblas_complex_numIdEPKPS3_EEvT1_iilPiilS8_bb,comdat
	.globl	_ZN9rocsolver6v33100L18getri_kernel_smallILi4E19rocblas_complex_numIdEPKPS3_EEvT1_iilPiilS8_bb ; -- Begin function _ZN9rocsolver6v33100L18getri_kernel_smallILi4E19rocblas_complex_numIdEPKPS3_EEvT1_iilPiilS8_bb
	.p2align	8
	.type	_ZN9rocsolver6v33100L18getri_kernel_smallILi4E19rocblas_complex_numIdEPKPS3_EEvT1_iilPiilS8_bb,@function
_ZN9rocsolver6v33100L18getri_kernel_smallILi4E19rocblas_complex_numIdEPKPS3_EEvT1_iilPiilS8_bb: ; @_ZN9rocsolver6v33100L18getri_kernel_smallILi4E19rocblas_complex_numIdEPKPS3_EEvT1_iilPiilS8_bb
; %bb.0:
	v_and_b32_e32 v21, 0x3ff, v0
	s_mov_b32 s4, exec_lo
	s_delay_alu instid0(VALU_DEP_1)
	v_cmpx_gt_u32_e32 4, v21
	s_cbranch_execz .LBB67_30
; %bb.1:
	s_mov_b32 s10, s15
	s_clause 0x2
	s_load_b32 s15, s[2:3], 0x38
	s_load_b64 s[8:9], s[2:3], 0x0
	s_load_b128 s[4:7], s[2:3], 0x28
	s_waitcnt lgkmcnt(0)
	s_bitcmp1_b32 s15, 8
	s_cselect_b32 s14, -1, 0
	s_ashr_i32 s11, s10, 31
	s_delay_alu instid0(SALU_CYCLE_1) | instskip(NEXT) | instid1(SALU_CYCLE_1)
	s_lshl_b64 s[12:13], s[10:11], 3
	s_add_u32 s8, s8, s12
	s_addc_u32 s9, s9, s13
	s_load_b64 s[12:13], s[8:9], 0x0
	s_bfe_u32 s8, s15, 0x10008
	s_delay_alu instid0(SALU_CYCLE_1)
	s_cmp_eq_u32 s8, 0
                                        ; implicit-def: $sgpr8_sgpr9
	s_cbranch_scc1 .LBB67_3
; %bb.2:
	s_clause 0x1
	s_load_b32 s8, s[2:3], 0x20
	s_load_b64 s[16:17], s[2:3], 0x18
	s_mul_i32 s5, s10, s5
	s_mul_hi_u32 s9, s10, s4
	s_mul_i32 s18, s11, s4
	s_add_i32 s5, s9, s5
	s_mul_i32 s4, s10, s4
	s_add_i32 s5, s5, s18
	s_delay_alu instid0(SALU_CYCLE_1)
	s_lshl_b64 s[4:5], s[4:5], 2
	s_waitcnt lgkmcnt(0)
	s_ashr_i32 s9, s8, 31
	s_add_u32 s16, s16, s4
	s_addc_u32 s17, s17, s5
	s_lshl_b64 s[4:5], s[8:9], 2
	s_delay_alu instid0(SALU_CYCLE_1)
	s_add_u32 s8, s16, s4
	s_addc_u32 s9, s17, s5
.LBB67_3:
	s_load_b64 s[2:3], s[2:3], 0x8
	v_lshlrev_b32_e32 v26, 4, v21
	v_add_nc_u32_e64 v23, 0, 16
	v_add_nc_u32_e64 v24, 0, 32
	;; [unrolled: 1-line block ×3, first 2 shown]
	s_waitcnt lgkmcnt(0)
	v_add3_u32 v5, s3, s3, v21
	s_ashr_i32 s5, s2, 31
	s_mov_b32 s4, s2
	s_mov_b32 s16, s3
	s_lshl_b64 s[4:5], s[4:5], 4
	v_add_nc_u32_e32 v7, s3, v5
	v_ashrrev_i32_e32 v6, 31, v5
	s_add_u32 s4, s12, s4
	s_addc_u32 s5, s13, s5
	v_add_co_u32 v13, s2, s4, v26
	v_ashrrev_i32_e32 v8, 31, v7
	s_ashr_i32 s17, s3, 31
	v_add_co_ci_u32_e64 v14, null, s5, 0, s2
	v_lshlrev_b64 v[5:6], 4, v[5:6]
	s_lshl_b64 s[2:3], s[16:17], 4
	v_lshlrev_b64 v[9:10], 4, v[7:8]
	v_add_co_u32 v15, vcc_lo, v13, s2
	v_add_co_ci_u32_e32 v16, vcc_lo, s3, v14, vcc_lo
	s_delay_alu instid0(VALU_DEP_4)
	v_add_co_u32 v17, vcc_lo, s4, v5
	v_add_co_ci_u32_e32 v18, vcc_lo, s5, v6, vcc_lo
	v_add_co_u32 v19, vcc_lo, s4, v9
	v_add_co_ci_u32_e32 v20, vcc_lo, s5, v10, vcc_lo
	s_clause 0x3
	global_load_b128 v[1:4], v26, s[4:5]
	global_load_b128 v[5:8], v[15:16], off
	global_load_b128 v[9:12], v[17:18], off
	;; [unrolled: 1-line block ×3, first 2 shown]
	s_mov_b32 s3, -1
	s_bitcmp0_b32 s15, 0
	s_waitcnt vmcnt(3)
	scratch_store_b128 off, v[1:4], off
	s_waitcnt vmcnt(2)
	scratch_store_b128 off, v[5:8], off offset:16
	s_waitcnt vmcnt(1)
	scratch_store_b128 off, v[9:12], off offset:32
	s_waitcnt vmcnt(0)
	scratch_store_b128 off, v[27:30], off offset:48
	s_cbranch_scc1 .LBB67_28
; %bb.4:
	v_cmp_eq_u32_e64 s2, 0, v21
	s_delay_alu instid0(VALU_DEP_1)
	s_and_saveexec_b32 s3, s2
	s_cbranch_execz .LBB67_6
; %bb.5:
	v_mov_b32_e32 v1, 0
	ds_store_b32 v1, v1 offset:128
.LBB67_6:
	s_or_b32 exec_lo, exec_lo, s3
	s_waitcnt lgkmcnt(0)
	s_waitcnt_vscnt null, 0x0
	s_barrier
	buffer_gl0_inv
	scratch_load_b128 v[1:4], v26, off
	s_waitcnt vmcnt(0)
	v_cmp_eq_f64_e32 vcc_lo, 0, v[1:2]
	v_cmp_eq_f64_e64 s3, 0, v[3:4]
	s_delay_alu instid0(VALU_DEP_1) | instskip(NEXT) | instid1(SALU_CYCLE_1)
	s_and_b32 s3, vcc_lo, s3
	s_and_saveexec_b32 s4, s3
	s_cbranch_execz .LBB67_10
; %bb.7:
	v_mov_b32_e32 v1, 0
	s_mov_b32 s5, 0
	ds_load_b32 v2, v1 offset:128
	s_waitcnt lgkmcnt(0)
	v_readfirstlane_b32 s3, v2
	v_add_nc_u32_e32 v2, 1, v21
	s_delay_alu instid0(VALU_DEP_2) | instskip(NEXT) | instid1(VALU_DEP_1)
	s_cmp_eq_u32 s3, 0
	v_cmp_gt_i32_e32 vcc_lo, s3, v2
	s_cselect_b32 s12, -1, 0
	s_delay_alu instid0(SALU_CYCLE_1) | instskip(NEXT) | instid1(SALU_CYCLE_1)
	s_or_b32 s12, s12, vcc_lo
	s_and_b32 exec_lo, exec_lo, s12
	s_cbranch_execz .LBB67_10
; %bb.8:
	v_mov_b32_e32 v3, s3
.LBB67_9:                               ; =>This Inner Loop Header: Depth=1
	ds_cmpstore_rtn_b32 v3, v1, v2, v3 offset:128
	s_waitcnt lgkmcnt(0)
	v_cmp_ne_u32_e32 vcc_lo, 0, v3
	v_cmp_le_i32_e64 s3, v3, v2
	s_delay_alu instid0(VALU_DEP_1) | instskip(NEXT) | instid1(SALU_CYCLE_1)
	s_and_b32 s3, vcc_lo, s3
	s_and_b32 s3, exec_lo, s3
	s_delay_alu instid0(SALU_CYCLE_1) | instskip(NEXT) | instid1(SALU_CYCLE_1)
	s_or_b32 s5, s3, s5
	s_and_not1_b32 exec_lo, exec_lo, s5
	s_cbranch_execnz .LBB67_9
.LBB67_10:
	s_or_b32 exec_lo, exec_lo, s4
	v_mov_b32_e32 v1, 0
	s_barrier
	buffer_gl0_inv
	ds_load_b32 v2, v1 offset:128
	s_and_saveexec_b32 s3, s2
	s_cbranch_execz .LBB67_12
; %bb.11:
	s_lshl_b64 s[4:5], s[10:11], 2
	s_delay_alu instid0(SALU_CYCLE_1)
	s_add_u32 s4, s6, s4
	s_addc_u32 s5, s7, s5
	s_waitcnt lgkmcnt(0)
	global_store_b32 v1, v2, s[4:5]
.LBB67_12:
	s_or_b32 exec_lo, exec_lo, s3
	s_waitcnt lgkmcnt(0)
	v_cmp_ne_u32_e32 vcc_lo, 0, v2
	s_mov_b32 s3, 0
	s_cbranch_vccnz .LBB67_28
; %bb.13:
	v_add_nc_u32_e32 v25, 0, v26
                                        ; implicit-def: $vgpr9_vgpr10
	scratch_load_b128 v[1:4], v25, off
	s_waitcnt vmcnt(0)
	v_cmp_gt_f64_e32 vcc_lo, 0, v[1:2]
	v_xor_b32_e32 v6, 0x80000000, v2
	v_mov_b32_e32 v5, v1
	v_xor_b32_e32 v7, 0x80000000, v4
	s_delay_alu instid0(VALU_DEP_3) | instskip(SKIP_1) | instid1(VALU_DEP_3)
	v_cndmask_b32_e32 v6, v2, v6, vcc_lo
	v_cmp_gt_f64_e32 vcc_lo, 0, v[3:4]
	v_dual_cndmask_b32 v8, v4, v7 :: v_dual_mov_b32 v7, v3
	s_delay_alu instid0(VALU_DEP_1) | instskip(SKIP_1) | instid1(SALU_CYCLE_1)
	v_cmp_ngt_f64_e32 vcc_lo, v[5:6], v[7:8]
                                        ; implicit-def: $vgpr5_vgpr6
	s_and_saveexec_b32 s3, vcc_lo
	s_xor_b32 s3, exec_lo, s3
	s_cbranch_execz .LBB67_15
; %bb.14:
	v_div_scale_f64 v[5:6], null, v[3:4], v[3:4], v[1:2]
	v_div_scale_f64 v[11:12], vcc_lo, v[1:2], v[3:4], v[1:2]
	s_delay_alu instid0(VALU_DEP_2) | instskip(SKIP_2) | instid1(VALU_DEP_1)
	v_rcp_f64_e32 v[7:8], v[5:6]
	s_waitcnt_depctr 0xfff
	v_fma_f64 v[9:10], -v[5:6], v[7:8], 1.0
	v_fma_f64 v[7:8], v[7:8], v[9:10], v[7:8]
	s_delay_alu instid0(VALU_DEP_1) | instskip(NEXT) | instid1(VALU_DEP_1)
	v_fma_f64 v[9:10], -v[5:6], v[7:8], 1.0
	v_fma_f64 v[7:8], v[7:8], v[9:10], v[7:8]
	s_delay_alu instid0(VALU_DEP_1) | instskip(NEXT) | instid1(VALU_DEP_1)
	v_mul_f64 v[9:10], v[11:12], v[7:8]
	v_fma_f64 v[5:6], -v[5:6], v[9:10], v[11:12]
	s_delay_alu instid0(VALU_DEP_1) | instskip(NEXT) | instid1(VALU_DEP_1)
	v_div_fmas_f64 v[5:6], v[5:6], v[7:8], v[9:10]
	v_div_fixup_f64 v[5:6], v[5:6], v[3:4], v[1:2]
	s_delay_alu instid0(VALU_DEP_1) | instskip(NEXT) | instid1(VALU_DEP_1)
	v_fma_f64 v[1:2], v[1:2], v[5:6], v[3:4]
	v_div_scale_f64 v[3:4], null, v[1:2], v[1:2], 1.0
	v_div_scale_f64 v[11:12], vcc_lo, 1.0, v[1:2], 1.0
	s_delay_alu instid0(VALU_DEP_2) | instskip(SKIP_2) | instid1(VALU_DEP_1)
	v_rcp_f64_e32 v[7:8], v[3:4]
	s_waitcnt_depctr 0xfff
	v_fma_f64 v[9:10], -v[3:4], v[7:8], 1.0
	v_fma_f64 v[7:8], v[7:8], v[9:10], v[7:8]
	s_delay_alu instid0(VALU_DEP_1) | instskip(NEXT) | instid1(VALU_DEP_1)
	v_fma_f64 v[9:10], -v[3:4], v[7:8], 1.0
	v_fma_f64 v[7:8], v[7:8], v[9:10], v[7:8]
	s_delay_alu instid0(VALU_DEP_1) | instskip(NEXT) | instid1(VALU_DEP_1)
	v_mul_f64 v[9:10], v[11:12], v[7:8]
	v_fma_f64 v[3:4], -v[3:4], v[9:10], v[11:12]
	s_delay_alu instid0(VALU_DEP_1) | instskip(NEXT) | instid1(VALU_DEP_1)
	v_div_fmas_f64 v[3:4], v[3:4], v[7:8], v[9:10]
	v_div_fixup_f64 v[7:8], v[3:4], v[1:2], 1.0
                                        ; implicit-def: $vgpr1_vgpr2
	s_delay_alu instid0(VALU_DEP_1) | instskip(SKIP_1) | instid1(VALU_DEP_2)
	v_mul_f64 v[5:6], v[5:6], v[7:8]
	v_xor_b32_e32 v8, 0x80000000, v8
	v_xor_b32_e32 v10, 0x80000000, v6
	s_delay_alu instid0(VALU_DEP_3)
	v_mov_b32_e32 v9, v5
.LBB67_15:
	s_and_not1_saveexec_b32 s3, s3
	s_cbranch_execz .LBB67_17
; %bb.16:
	v_div_scale_f64 v[5:6], null, v[1:2], v[1:2], v[3:4]
	v_div_scale_f64 v[11:12], vcc_lo, v[3:4], v[1:2], v[3:4]
	s_delay_alu instid0(VALU_DEP_2) | instskip(SKIP_2) | instid1(VALU_DEP_1)
	v_rcp_f64_e32 v[7:8], v[5:6]
	s_waitcnt_depctr 0xfff
	v_fma_f64 v[9:10], -v[5:6], v[7:8], 1.0
	v_fma_f64 v[7:8], v[7:8], v[9:10], v[7:8]
	s_delay_alu instid0(VALU_DEP_1) | instskip(NEXT) | instid1(VALU_DEP_1)
	v_fma_f64 v[9:10], -v[5:6], v[7:8], 1.0
	v_fma_f64 v[7:8], v[7:8], v[9:10], v[7:8]
	s_delay_alu instid0(VALU_DEP_1) | instskip(NEXT) | instid1(VALU_DEP_1)
	v_mul_f64 v[9:10], v[11:12], v[7:8]
	v_fma_f64 v[5:6], -v[5:6], v[9:10], v[11:12]
	s_delay_alu instid0(VALU_DEP_1) | instskip(NEXT) | instid1(VALU_DEP_1)
	v_div_fmas_f64 v[5:6], v[5:6], v[7:8], v[9:10]
	v_div_fixup_f64 v[7:8], v[5:6], v[1:2], v[3:4]
	s_delay_alu instid0(VALU_DEP_1) | instskip(NEXT) | instid1(VALU_DEP_1)
	v_fma_f64 v[1:2], v[3:4], v[7:8], v[1:2]
	v_div_scale_f64 v[3:4], null, v[1:2], v[1:2], 1.0
	s_delay_alu instid0(VALU_DEP_1) | instskip(SKIP_2) | instid1(VALU_DEP_1)
	v_rcp_f64_e32 v[5:6], v[3:4]
	s_waitcnt_depctr 0xfff
	v_fma_f64 v[9:10], -v[3:4], v[5:6], 1.0
	v_fma_f64 v[5:6], v[5:6], v[9:10], v[5:6]
	s_delay_alu instid0(VALU_DEP_1) | instskip(NEXT) | instid1(VALU_DEP_1)
	v_fma_f64 v[9:10], -v[3:4], v[5:6], 1.0
	v_fma_f64 v[5:6], v[5:6], v[9:10], v[5:6]
	v_div_scale_f64 v[9:10], vcc_lo, 1.0, v[1:2], 1.0
	s_delay_alu instid0(VALU_DEP_1) | instskip(NEXT) | instid1(VALU_DEP_1)
	v_mul_f64 v[11:12], v[9:10], v[5:6]
	v_fma_f64 v[3:4], -v[3:4], v[11:12], v[9:10]
	s_delay_alu instid0(VALU_DEP_1) | instskip(NEXT) | instid1(VALU_DEP_1)
	v_div_fmas_f64 v[3:4], v[3:4], v[5:6], v[11:12]
	v_div_fixup_f64 v[5:6], v[3:4], v[1:2], 1.0
	s_delay_alu instid0(VALU_DEP_1)
	v_mul_f64 v[7:8], v[7:8], -v[5:6]
	v_xor_b32_e32 v10, 0x80000000, v6
	v_mov_b32_e32 v9, v5
.LBB67_17:
	s_or_b32 exec_lo, exec_lo, s3
	scratch_store_b128 v25, v[5:8], off
	scratch_load_b128 v[1:4], v23, off
	v_xor_b32_e32 v12, 0x80000000, v8
	v_mov_b32_e32 v11, v7
	v_add_nc_u32_e32 v5, 64, v26
	ds_store_b128 v26, v[9:12]
	s_waitcnt vmcnt(0)
	ds_store_b128 v26, v[1:4] offset:64
	s_waitcnt lgkmcnt(0)
	s_waitcnt_vscnt null, 0x0
	s_barrier
	buffer_gl0_inv
	s_and_saveexec_b32 s3, s2
	s_cbranch_execz .LBB67_19
; %bb.18:
	scratch_load_b128 v[1:4], v25, off
	ds_load_b128 v[6:9], v5
	v_mov_b32_e32 v10, 0
	ds_load_b128 v[26:29], v10 offset:16
	s_waitcnt vmcnt(0) lgkmcnt(1)
	v_mul_f64 v[10:11], v[6:7], v[3:4]
	v_mul_f64 v[3:4], v[8:9], v[3:4]
	s_delay_alu instid0(VALU_DEP_2) | instskip(NEXT) | instid1(VALU_DEP_2)
	v_fma_f64 v[8:9], v[8:9], v[1:2], v[10:11]
	v_fma_f64 v[1:2], v[6:7], v[1:2], -v[3:4]
	s_delay_alu instid0(VALU_DEP_2) | instskip(NEXT) | instid1(VALU_DEP_2)
	v_add_f64 v[3:4], v[8:9], 0
	v_add_f64 v[1:2], v[1:2], 0
	s_waitcnt lgkmcnt(0)
	s_delay_alu instid0(VALU_DEP_2) | instskip(NEXT) | instid1(VALU_DEP_2)
	v_mul_f64 v[6:7], v[3:4], v[28:29]
	v_mul_f64 v[8:9], v[1:2], v[28:29]
	s_delay_alu instid0(VALU_DEP_2) | instskip(NEXT) | instid1(VALU_DEP_2)
	v_fma_f64 v[1:2], v[1:2], v[26:27], -v[6:7]
	v_fma_f64 v[3:4], v[3:4], v[26:27], v[8:9]
	scratch_store_b128 off, v[1:4], off offset:16
.LBB67_19:
	s_or_b32 exec_lo, exec_lo, s3
	s_waitcnt_vscnt null, 0x0
	s_barrier
	buffer_gl0_inv
	scratch_load_b128 v[1:4], v24, off
	s_mov_b32 s3, exec_lo
	s_waitcnt vmcnt(0)
	ds_store_b128 v5, v[1:4]
	s_waitcnt lgkmcnt(0)
	s_barrier
	buffer_gl0_inv
	v_cmpx_gt_u32_e32 2, v21
	s_cbranch_execz .LBB67_23
; %bb.20:
	scratch_load_b128 v[1:4], v25, off
	ds_load_b128 v[6:9], v5
	s_waitcnt vmcnt(0) lgkmcnt(0)
	v_mul_f64 v[10:11], v[8:9], v[3:4]
	v_mul_f64 v[3:4], v[6:7], v[3:4]
	s_delay_alu instid0(VALU_DEP_2) | instskip(NEXT) | instid1(VALU_DEP_2)
	v_fma_f64 v[6:7], v[6:7], v[1:2], -v[10:11]
	v_fma_f64 v[3:4], v[8:9], v[1:2], v[3:4]
	s_delay_alu instid0(VALU_DEP_2) | instskip(NEXT) | instid1(VALU_DEP_2)
	v_add_f64 v[1:2], v[6:7], 0
	v_add_f64 v[3:4], v[3:4], 0
	s_and_saveexec_b32 s4, s2
	s_cbranch_execz .LBB67_22
; %bb.21:
	scratch_load_b128 v[6:9], off, off offset:16
	v_mov_b32_e32 v10, 0
	ds_load_b128 v[26:29], v10 offset:80
	s_waitcnt vmcnt(0) lgkmcnt(0)
	v_mul_f64 v[10:11], v[26:27], v[8:9]
	v_mul_f64 v[8:9], v[28:29], v[8:9]
	s_delay_alu instid0(VALU_DEP_2) | instskip(NEXT) | instid1(VALU_DEP_2)
	v_fma_f64 v[10:11], v[28:29], v[6:7], v[10:11]
	v_fma_f64 v[6:7], v[26:27], v[6:7], -v[8:9]
	s_delay_alu instid0(VALU_DEP_2) | instskip(NEXT) | instid1(VALU_DEP_2)
	v_add_f64 v[3:4], v[3:4], v[10:11]
	v_add_f64 v[1:2], v[1:2], v[6:7]
.LBB67_22:
	s_or_b32 exec_lo, exec_lo, s4
	v_mov_b32_e32 v6, 0
	ds_load_b128 v[6:9], v6 offset:32
	s_waitcnt lgkmcnt(0)
	v_mul_f64 v[10:11], v[3:4], v[8:9]
	v_mul_f64 v[8:9], v[1:2], v[8:9]
	s_delay_alu instid0(VALU_DEP_2) | instskip(NEXT) | instid1(VALU_DEP_2)
	v_fma_f64 v[1:2], v[1:2], v[6:7], -v[10:11]
	v_fma_f64 v[3:4], v[3:4], v[6:7], v[8:9]
	scratch_store_b128 off, v[1:4], off offset:32
.LBB67_23:
	s_or_b32 exec_lo, exec_lo, s3
	s_waitcnt_vscnt null, 0x0
	s_barrier
	buffer_gl0_inv
	scratch_load_b128 v[1:4], v22, off
	s_mov_b32 s2, exec_lo
	s_waitcnt vmcnt(0)
	ds_store_b128 v5, v[1:4]
	s_waitcnt lgkmcnt(0)
	s_barrier
	buffer_gl0_inv
	v_cmpx_ne_u32_e32 3, v21
	s_cbranch_execz .LBB67_27
; %bb.24:
	v_dual_mov_b32 v1, 0 :: v_dual_add_nc_u32 v6, -1, v21
	v_mov_b32_e32 v2, 0
	v_or_b32_e32 v7, 8, v25
	s_mov_b32 s3, 0
	s_delay_alu instid0(VALU_DEP_2)
	v_dual_mov_b32 v4, v2 :: v_dual_mov_b32 v3, v1
	.p2align	6
.LBB67_25:                              ; =>This Inner Loop Header: Depth=1
	scratch_load_b128 v[8:11], v7, off offset:-8
	ds_load_b128 v[25:28], v5
	v_add_nc_u32_e32 v6, 1, v6
	v_add_nc_u32_e32 v5, 16, v5
	;; [unrolled: 1-line block ×3, first 2 shown]
	s_delay_alu instid0(VALU_DEP_3) | instskip(SKIP_4) | instid1(VALU_DEP_2)
	v_cmp_lt_u32_e32 vcc_lo, 1, v6
	s_or_b32 s3, vcc_lo, s3
	s_waitcnt vmcnt(0) lgkmcnt(0)
	v_mul_f64 v[29:30], v[27:28], v[10:11]
	v_mul_f64 v[10:11], v[25:26], v[10:11]
	v_fma_f64 v[25:26], v[25:26], v[8:9], -v[29:30]
	s_delay_alu instid0(VALU_DEP_2) | instskip(NEXT) | instid1(VALU_DEP_2)
	v_fma_f64 v[8:9], v[27:28], v[8:9], v[10:11]
	v_add_f64 v[3:4], v[3:4], v[25:26]
	s_delay_alu instid0(VALU_DEP_2)
	v_add_f64 v[1:2], v[1:2], v[8:9]
	s_and_not1_b32 exec_lo, exec_lo, s3
	s_cbranch_execnz .LBB67_25
; %bb.26:
	s_or_b32 exec_lo, exec_lo, s3
	v_mov_b32_e32 v5, 0
	ds_load_b128 v[5:8], v5 offset:48
	s_waitcnt lgkmcnt(0)
	v_mul_f64 v[9:10], v[1:2], v[7:8]
	v_mul_f64 v[7:8], v[3:4], v[7:8]
	s_delay_alu instid0(VALU_DEP_2) | instskip(NEXT) | instid1(VALU_DEP_2)
	v_fma_f64 v[3:4], v[3:4], v[5:6], -v[9:10]
	v_fma_f64 v[5:6], v[1:2], v[5:6], v[7:8]
	scratch_store_b128 off, v[3:6], off offset:48
.LBB67_27:
	s_or_b32 exec_lo, exec_lo, s2
	s_mov_b32 s3, -1
	s_waitcnt_vscnt null, 0x0
	s_barrier
	buffer_gl0_inv
.LBB67_28:
	s_and_b32 vcc_lo, exec_lo, s3
	s_cbranch_vccz .LBB67_30
; %bb.29:
	s_lshl_b64 s[2:3], s[10:11], 2
	v_mov_b32_e32 v1, 0
	s_add_u32 s2, s6, s2
	s_addc_u32 s3, s7, s3
	global_load_b32 v1, v1, s[2:3]
	s_waitcnt vmcnt(0)
	v_cmp_ne_u32_e32 vcc_lo, 0, v1
	s_cbranch_vccz .LBB67_31
.LBB67_30:
	s_endpgm
.LBB67_31:
	v_lshl_add_u32 v5, v21, 4, 64
	s_mov_b32 s2, exec_lo
	v_cmpx_eq_u32_e32 3, v21
	s_cbranch_execz .LBB67_33
; %bb.32:
	scratch_load_b128 v[1:4], v24, off
	v_mov_b32_e32 v6, 0
	s_delay_alu instid0(VALU_DEP_1)
	v_mov_b32_e32 v7, v6
	v_mov_b32_e32 v8, v6
	;; [unrolled: 1-line block ×3, first 2 shown]
	scratch_store_b128 off, v[6:9], off offset:32
	s_waitcnt vmcnt(0)
	ds_store_b128 v5, v[1:4]
.LBB67_33:
	s_or_b32 exec_lo, exec_lo, s2
	s_waitcnt lgkmcnt(0)
	s_waitcnt_vscnt null, 0x0
	s_barrier
	buffer_gl0_inv
	s_clause 0x1
	scratch_load_b128 v[6:9], off, off offset:48
	scratch_load_b128 v[25:28], off, off offset:32
	v_mov_b32_e32 v1, 0
	s_mov_b32 s2, exec_lo
	ds_load_b128 v[29:32], v1 offset:112
	s_waitcnt vmcnt(1) lgkmcnt(0)
	v_mul_f64 v[2:3], v[31:32], v[8:9]
	v_mul_f64 v[8:9], v[29:30], v[8:9]
	s_delay_alu instid0(VALU_DEP_2) | instskip(NEXT) | instid1(VALU_DEP_2)
	v_fma_f64 v[2:3], v[29:30], v[6:7], -v[2:3]
	v_fma_f64 v[6:7], v[31:32], v[6:7], v[8:9]
	s_delay_alu instid0(VALU_DEP_2) | instskip(NEXT) | instid1(VALU_DEP_2)
	v_add_f64 v[2:3], v[2:3], 0
	v_add_f64 v[8:9], v[6:7], 0
	s_waitcnt vmcnt(0)
	s_delay_alu instid0(VALU_DEP_2) | instskip(NEXT) | instid1(VALU_DEP_2)
	v_add_f64 v[6:7], v[25:26], -v[2:3]
	v_add_f64 v[8:9], v[27:28], -v[8:9]
	scratch_store_b128 off, v[6:9], off offset:32
	v_cmpx_lt_u32_e32 1, v21
	s_cbranch_execz .LBB67_35
; %bb.34:
	scratch_load_b128 v[6:9], v23, off
	v_mov_b32_e32 v2, v1
	v_mov_b32_e32 v3, v1
	;; [unrolled: 1-line block ×3, first 2 shown]
	scratch_store_b128 off, v[1:4], off offset:16
	s_waitcnt vmcnt(0)
	ds_store_b128 v5, v[6:9]
.LBB67_35:
	s_or_b32 exec_lo, exec_lo, s2
	s_waitcnt lgkmcnt(0)
	s_waitcnt_vscnt null, 0x0
	s_barrier
	buffer_gl0_inv
	s_clause 0x2
	scratch_load_b128 v[6:9], off, off offset:32
	scratch_load_b128 v[25:28], off, off offset:48
	;; [unrolled: 1-line block ×3, first 2 shown]
	ds_load_b128 v[33:36], v1 offset:96
	ds_load_b128 v[1:4], v1 offset:112
	s_mov_b32 s2, exec_lo
	s_waitcnt vmcnt(2) lgkmcnt(1)
	v_mul_f64 v[10:11], v[35:36], v[8:9]
	v_mul_f64 v[8:9], v[33:34], v[8:9]
	s_waitcnt vmcnt(1) lgkmcnt(0)
	v_mul_f64 v[37:38], v[1:2], v[27:28]
	v_mul_f64 v[27:28], v[3:4], v[27:28]
	s_delay_alu instid0(VALU_DEP_4) | instskip(NEXT) | instid1(VALU_DEP_4)
	v_fma_f64 v[10:11], v[33:34], v[6:7], -v[10:11]
	v_fma_f64 v[6:7], v[35:36], v[6:7], v[8:9]
	s_delay_alu instid0(VALU_DEP_4) | instskip(NEXT) | instid1(VALU_DEP_4)
	v_fma_f64 v[3:4], v[3:4], v[25:26], v[37:38]
	v_fma_f64 v[1:2], v[1:2], v[25:26], -v[27:28]
	s_delay_alu instid0(VALU_DEP_4) | instskip(NEXT) | instid1(VALU_DEP_4)
	v_add_f64 v[8:9], v[10:11], 0
	v_add_f64 v[6:7], v[6:7], 0
	s_delay_alu instid0(VALU_DEP_2) | instskip(NEXT) | instid1(VALU_DEP_2)
	v_add_f64 v[1:2], v[8:9], v[1:2]
	v_add_f64 v[3:4], v[6:7], v[3:4]
	s_waitcnt vmcnt(0)
	s_delay_alu instid0(VALU_DEP_2) | instskip(NEXT) | instid1(VALU_DEP_2)
	v_add_f64 v[1:2], v[29:30], -v[1:2]
	v_add_f64 v[3:4], v[31:32], -v[3:4]
	scratch_store_b128 off, v[1:4], off offset:16
	v_cmpx_ne_u32_e32 0, v21
	s_cbranch_execz .LBB67_37
; %bb.36:
	scratch_load_b128 v[1:4], off, off
	v_mov_b32_e32 v6, 0
	s_delay_alu instid0(VALU_DEP_1)
	v_mov_b32_e32 v7, v6
	v_mov_b32_e32 v8, v6
	;; [unrolled: 1-line block ×3, first 2 shown]
	scratch_store_b128 off, v[6:9], off
	s_waitcnt vmcnt(0)
	ds_store_b128 v5, v[1:4]
.LBB67_37:
	s_or_b32 exec_lo, exec_lo, s2
	s_waitcnt lgkmcnt(0)
	s_waitcnt_vscnt null, 0x0
	s_barrier
	buffer_gl0_inv
	s_clause 0x3
	scratch_load_b128 v[1:4], off, off offset:16
	scratch_load_b128 v[5:8], off, off offset:32
	;; [unrolled: 1-line block ×3, first 2 shown]
	scratch_load_b128 v[25:28], off, off
	v_mov_b32_e32 v41, 0
	ds_load_b128 v[29:32], v41 offset:80
	ds_load_b128 v[33:36], v41 offset:96
	s_and_b32 vcc_lo, exec_lo, s14
	s_waitcnt vmcnt(3) lgkmcnt(1)
	v_mul_f64 v[37:38], v[31:32], v[3:4]
	v_mul_f64 v[3:4], v[29:30], v[3:4]
	s_waitcnt vmcnt(2) lgkmcnt(0)
	v_mul_f64 v[39:40], v[33:34], v[7:8]
	v_mul_f64 v[7:8], v[35:36], v[7:8]
	s_delay_alu instid0(VALU_DEP_4) | instskip(NEXT) | instid1(VALU_DEP_4)
	v_fma_f64 v[29:30], v[29:30], v[1:2], -v[37:38]
	v_fma_f64 v[31:32], v[31:32], v[1:2], v[3:4]
	ds_load_b128 v[1:4], v41 offset:112
	v_fma_f64 v[35:36], v[35:36], v[5:6], v[39:40]
	v_fma_f64 v[5:6], v[33:34], v[5:6], -v[7:8]
	s_waitcnt vmcnt(1) lgkmcnt(0)
	v_mul_f64 v[37:38], v[1:2], v[11:12]
	v_mul_f64 v[11:12], v[3:4], v[11:12]
	v_add_f64 v[7:8], v[29:30], 0
	v_add_f64 v[29:30], v[31:32], 0
	s_delay_alu instid0(VALU_DEP_4) | instskip(NEXT) | instid1(VALU_DEP_4)
	v_fma_f64 v[3:4], v[3:4], v[9:10], v[37:38]
	v_fma_f64 v[1:2], v[1:2], v[9:10], -v[11:12]
	s_delay_alu instid0(VALU_DEP_4) | instskip(NEXT) | instid1(VALU_DEP_4)
	v_add_f64 v[5:6], v[7:8], v[5:6]
	v_add_f64 v[7:8], v[29:30], v[35:36]
	s_delay_alu instid0(VALU_DEP_2) | instskip(NEXT) | instid1(VALU_DEP_2)
	v_add_f64 v[1:2], v[5:6], v[1:2]
	v_add_f64 v[3:4], v[7:8], v[3:4]
	s_waitcnt vmcnt(0)
	s_delay_alu instid0(VALU_DEP_2) | instskip(NEXT) | instid1(VALU_DEP_2)
	v_add_f64 v[1:2], v[25:26], -v[1:2]
	v_add_f64 v[3:4], v[27:28], -v[3:4]
	scratch_store_b128 off, v[1:4], off
	s_cbranch_vccz .LBB67_45
; %bb.38:
	v_dual_mov_b32 v1, s8 :: v_dual_mov_b32 v2, s9
	s_load_b64 s[0:1], s[0:1], 0x4
	flat_load_b32 v1, v[1:2] offset:8
	v_bfe_u32 v2, v0, 10, 10
	v_bfe_u32 v0, v0, 20, 10
	s_waitcnt lgkmcnt(0)
	s_lshr_b32 s0, s0, 16
	s_delay_alu instid0(VALU_DEP_2) | instskip(SKIP_1) | instid1(SALU_CYCLE_1)
	v_mul_u32_u24_e32 v2, s1, v2
	s_mul_i32 s0, s0, s1
	v_mul_u32_u24_e32 v3, s0, v21
	s_mov_b32 s0, exec_lo
	s_delay_alu instid0(VALU_DEP_1) | instskip(NEXT) | instid1(VALU_DEP_1)
	v_add3_u32 v0, v3, v2, v0
	v_lshl_add_u32 v0, v0, 4, 0x88
	s_waitcnt vmcnt(0)
	v_cmpx_ne_u32_e32 3, v1
	s_cbranch_execz .LBB67_40
; %bb.39:
	v_lshl_add_u32 v9, v1, 4, 0
	s_clause 0x1
	scratch_load_b128 v[1:4], v24, off
	scratch_load_b128 v[5:8], v9, off offset:-16
	s_waitcnt vmcnt(1)
	ds_store_2addr_b64 v0, v[1:2], v[3:4] offset1:1
	s_waitcnt vmcnt(0)
	s_clause 0x1
	scratch_store_b128 v24, v[5:8], off
	scratch_store_b128 v9, v[1:4], off offset:-16
.LBB67_40:
	s_or_b32 exec_lo, exec_lo, s0
	v_dual_mov_b32 v1, s8 :: v_dual_mov_b32 v2, s9
	s_mov_b32 s0, exec_lo
	flat_load_b32 v1, v[1:2] offset:4
	s_waitcnt vmcnt(0) lgkmcnt(0)
	v_cmpx_ne_u32_e32 2, v1
	s_cbranch_execz .LBB67_42
; %bb.41:
	v_lshl_add_u32 v9, v1, 4, 0
	s_clause 0x1
	scratch_load_b128 v[1:4], v23, off
	scratch_load_b128 v[5:8], v9, off offset:-16
	s_waitcnt vmcnt(1)
	ds_store_2addr_b64 v0, v[1:2], v[3:4] offset1:1
	s_waitcnt vmcnt(0)
	s_clause 0x1
	scratch_store_b128 v23, v[5:8], off
	scratch_store_b128 v9, v[1:4], off offset:-16
.LBB67_42:
	s_or_b32 exec_lo, exec_lo, s0
	v_dual_mov_b32 v1, s8 :: v_dual_mov_b32 v2, s9
	s_mov_b32 s0, exec_lo
	flat_load_b32 v1, v[1:2]
	s_waitcnt vmcnt(0) lgkmcnt(0)
	v_cmpx_ne_u32_e32 1, v1
	s_cbranch_execz .LBB67_44
; %bb.43:
	v_lshl_add_u32 v9, v1, 4, 0
	scratch_load_b128 v[1:4], off, off
	scratch_load_b128 v[5:8], v9, off offset:-16
	s_waitcnt vmcnt(1)
	ds_store_2addr_b64 v0, v[1:2], v[3:4] offset1:1
	s_waitcnt vmcnt(0)
	scratch_store_b128 off, v[5:8], off
	scratch_store_b128 v9, v[1:4], off offset:-16
.LBB67_44:
	s_or_b32 exec_lo, exec_lo, s0
.LBB67_45:
	scratch_load_b128 v[0:3], off, off
	s_clause 0x2
	scratch_load_b128 v[4:7], v23, off
	scratch_load_b128 v[8:11], v24, off
	;; [unrolled: 1-line block ×3, first 2 shown]
	s_waitcnt vmcnt(3)
	global_store_b128 v[13:14], v[0:3], off
	s_waitcnt vmcnt(2)
	global_store_b128 v[15:16], v[4:7], off
	s_waitcnt vmcnt(1)
	global_store_b128 v[17:18], v[8:11], off
	s_waitcnt vmcnt(0)
	global_store_b128 v[19:20], v[21:24], off
	s_endpgm
	.section	.rodata,"a",@progbits
	.p2align	6, 0x0
	.amdhsa_kernel _ZN9rocsolver6v33100L18getri_kernel_smallILi4E19rocblas_complex_numIdEPKPS3_EEvT1_iilPiilS8_bb
		.amdhsa_group_segment_fixed_size 1160
		.amdhsa_private_segment_fixed_size 80
		.amdhsa_kernarg_size 60
		.amdhsa_user_sgpr_count 15
		.amdhsa_user_sgpr_dispatch_ptr 1
		.amdhsa_user_sgpr_queue_ptr 0
		.amdhsa_user_sgpr_kernarg_segment_ptr 1
		.amdhsa_user_sgpr_dispatch_id 0
		.amdhsa_user_sgpr_private_segment_size 0
		.amdhsa_wavefront_size32 1
		.amdhsa_uses_dynamic_stack 0
		.amdhsa_enable_private_segment 1
		.amdhsa_system_sgpr_workgroup_id_x 1
		.amdhsa_system_sgpr_workgroup_id_y 0
		.amdhsa_system_sgpr_workgroup_id_z 0
		.amdhsa_system_sgpr_workgroup_info 0
		.amdhsa_system_vgpr_workitem_id 2
		.amdhsa_next_free_vgpr 42
		.amdhsa_next_free_sgpr 19
		.amdhsa_reserve_vcc 1
		.amdhsa_float_round_mode_32 0
		.amdhsa_float_round_mode_16_64 0
		.amdhsa_float_denorm_mode_32 3
		.amdhsa_float_denorm_mode_16_64 3
		.amdhsa_dx10_clamp 1
		.amdhsa_ieee_mode 1
		.amdhsa_fp16_overflow 0
		.amdhsa_workgroup_processor_mode 1
		.amdhsa_memory_ordered 1
		.amdhsa_forward_progress 0
		.amdhsa_shared_vgpr_count 0
		.amdhsa_exception_fp_ieee_invalid_op 0
		.amdhsa_exception_fp_denorm_src 0
		.amdhsa_exception_fp_ieee_div_zero 0
		.amdhsa_exception_fp_ieee_overflow 0
		.amdhsa_exception_fp_ieee_underflow 0
		.amdhsa_exception_fp_ieee_inexact 0
		.amdhsa_exception_int_div_zero 0
	.end_amdhsa_kernel
	.section	.text._ZN9rocsolver6v33100L18getri_kernel_smallILi4E19rocblas_complex_numIdEPKPS3_EEvT1_iilPiilS8_bb,"axG",@progbits,_ZN9rocsolver6v33100L18getri_kernel_smallILi4E19rocblas_complex_numIdEPKPS3_EEvT1_iilPiilS8_bb,comdat
.Lfunc_end67:
	.size	_ZN9rocsolver6v33100L18getri_kernel_smallILi4E19rocblas_complex_numIdEPKPS3_EEvT1_iilPiilS8_bb, .Lfunc_end67-_ZN9rocsolver6v33100L18getri_kernel_smallILi4E19rocblas_complex_numIdEPKPS3_EEvT1_iilPiilS8_bb
                                        ; -- End function
	.section	.AMDGPU.csdata,"",@progbits
; Kernel info:
; codeLenInByte = 3508
; NumSgprs: 21
; NumVgprs: 42
; ScratchSize: 80
; MemoryBound: 0
; FloatMode: 240
; IeeeMode: 1
; LDSByteSize: 1160 bytes/workgroup (compile time only)
; SGPRBlocks: 2
; VGPRBlocks: 5
; NumSGPRsForWavesPerEU: 21
; NumVGPRsForWavesPerEU: 42
; Occupancy: 16
; WaveLimiterHint : 1
; COMPUTE_PGM_RSRC2:SCRATCH_EN: 1
; COMPUTE_PGM_RSRC2:USER_SGPR: 15
; COMPUTE_PGM_RSRC2:TRAP_HANDLER: 0
; COMPUTE_PGM_RSRC2:TGID_X_EN: 1
; COMPUTE_PGM_RSRC2:TGID_Y_EN: 0
; COMPUTE_PGM_RSRC2:TGID_Z_EN: 0
; COMPUTE_PGM_RSRC2:TIDIG_COMP_CNT: 2
	.section	.text._ZN9rocsolver6v33100L18getri_kernel_smallILi5E19rocblas_complex_numIdEPKPS3_EEvT1_iilPiilS8_bb,"axG",@progbits,_ZN9rocsolver6v33100L18getri_kernel_smallILi5E19rocblas_complex_numIdEPKPS3_EEvT1_iilPiilS8_bb,comdat
	.globl	_ZN9rocsolver6v33100L18getri_kernel_smallILi5E19rocblas_complex_numIdEPKPS3_EEvT1_iilPiilS8_bb ; -- Begin function _ZN9rocsolver6v33100L18getri_kernel_smallILi5E19rocblas_complex_numIdEPKPS3_EEvT1_iilPiilS8_bb
	.p2align	8
	.type	_ZN9rocsolver6v33100L18getri_kernel_smallILi5E19rocblas_complex_numIdEPKPS3_EEvT1_iilPiilS8_bb,@function
_ZN9rocsolver6v33100L18getri_kernel_smallILi5E19rocblas_complex_numIdEPKPS3_EEvT1_iilPiilS8_bb: ; @_ZN9rocsolver6v33100L18getri_kernel_smallILi5E19rocblas_complex_numIdEPKPS3_EEvT1_iilPiilS8_bb
; %bb.0:
	v_and_b32_e32 v23, 0x3ff, v0
	s_mov_b32 s4, exec_lo
	s_delay_alu instid0(VALU_DEP_1)
	v_cmpx_gt_u32_e32 5, v23
	s_cbranch_execz .LBB68_34
; %bb.1:
	s_mov_b32 s10, s15
	s_clause 0x2
	s_load_b32 s15, s[2:3], 0x38
	s_load_b64 s[8:9], s[2:3], 0x0
	s_load_b128 s[4:7], s[2:3], 0x28
	s_waitcnt lgkmcnt(0)
	s_bitcmp1_b32 s15, 8
	s_cselect_b32 s14, -1, 0
	s_ashr_i32 s11, s10, 31
	s_delay_alu instid0(SALU_CYCLE_1) | instskip(NEXT) | instid1(SALU_CYCLE_1)
	s_lshl_b64 s[12:13], s[10:11], 3
	s_add_u32 s8, s8, s12
	s_addc_u32 s9, s9, s13
	s_load_b64 s[12:13], s[8:9], 0x0
	s_bfe_u32 s8, s15, 0x10008
	s_delay_alu instid0(SALU_CYCLE_1)
	s_cmp_eq_u32 s8, 0
                                        ; implicit-def: $sgpr8_sgpr9
	s_cbranch_scc1 .LBB68_3
; %bb.2:
	s_clause 0x1
	s_load_b32 s8, s[2:3], 0x20
	s_load_b64 s[16:17], s[2:3], 0x18
	s_mul_i32 s5, s10, s5
	s_mul_hi_u32 s9, s10, s4
	s_mul_i32 s18, s11, s4
	s_add_i32 s5, s9, s5
	s_mul_i32 s4, s10, s4
	s_add_i32 s5, s5, s18
	s_delay_alu instid0(SALU_CYCLE_1)
	s_lshl_b64 s[4:5], s[4:5], 2
	s_waitcnt lgkmcnt(0)
	s_ashr_i32 s9, s8, 31
	s_add_u32 s16, s16, s4
	s_addc_u32 s17, s17, s5
	s_lshl_b64 s[4:5], s[8:9], 2
	s_delay_alu instid0(SALU_CYCLE_1)
	s_add_u32 s8, s16, s4
	s_addc_u32 s9, s17, s5
.LBB68_3:
	s_load_b64 s[2:3], s[2:3], 0x8
	v_lshlrev_b32_e32 v28, 4, v23
	v_add_nc_u32_e64 v26, 0, 16
	v_add_nc_u32_e64 v27, 0, 32
	;; [unrolled: 1-line block ×4, first 2 shown]
	s_waitcnt lgkmcnt(0)
	v_add3_u32 v5, s3, s3, v23
	s_ashr_i32 s5, s2, 31
	s_mov_b32 s4, s2
	s_mov_b32 s16, s3
	s_lshl_b64 s[4:5], s[4:5], 4
	v_add_nc_u32_e32 v7, s3, v5
	v_ashrrev_i32_e32 v6, 31, v5
	s_add_u32 s4, s12, s4
	s_addc_u32 s5, s13, s5
	v_add_co_u32 v13, s2, s4, v28
	v_add_nc_u32_e32 v9, s3, v7
	v_ashrrev_i32_e32 v8, 31, v7
	s_ashr_i32 s17, s3, 31
	v_add_co_ci_u32_e64 v14, null, s5, 0, s2
	v_lshlrev_b64 v[5:6], 4, v[5:6]
	s_lshl_b64 s[12:13], s[16:17], 4
	v_ashrrev_i32_e32 v10, 31, v9
	v_add_co_u32 v15, vcc_lo, v13, s12
	v_lshlrev_b64 v[11:12], 4, v[7:8]
	v_add_co_ci_u32_e32 v16, vcc_lo, s13, v14, vcc_lo
	v_add_co_u32 v17, vcc_lo, s4, v5
	v_lshlrev_b64 v[9:10], 4, v[9:10]
	v_add_co_ci_u32_e32 v18, vcc_lo, s5, v6, vcc_lo
	v_add_co_u32 v19, vcc_lo, s4, v11
	v_add_co_ci_u32_e32 v20, vcc_lo, s5, v12, vcc_lo
	s_delay_alu instid0(VALU_DEP_4)
	v_add_co_u32 v21, vcc_lo, s4, v9
	v_add_co_ci_u32_e32 v22, vcc_lo, s5, v10, vcc_lo
	s_clause 0x4
	global_load_b128 v[1:4], v28, s[4:5]
	global_load_b128 v[5:8], v[15:16], off
	global_load_b128 v[9:12], v[17:18], off
	;; [unrolled: 1-line block ×4, first 2 shown]
	s_bitcmp0_b32 s15, 0
	s_mov_b32 s3, -1
	s_waitcnt vmcnt(4)
	scratch_store_b128 off, v[1:4], off
	s_waitcnt vmcnt(3)
	scratch_store_b128 off, v[5:8], off offset:16
	s_waitcnt vmcnt(2)
	scratch_store_b128 off, v[9:12], off offset:32
	;; [unrolled: 2-line block ×4, first 2 shown]
	s_cbranch_scc1 .LBB68_32
; %bb.4:
	v_cmp_eq_u32_e64 s2, 0, v23
	s_delay_alu instid0(VALU_DEP_1)
	s_and_saveexec_b32 s3, s2
	s_cbranch_execz .LBB68_6
; %bb.5:
	v_mov_b32_e32 v1, 0
	ds_store_b32 v1, v1 offset:160
.LBB68_6:
	s_or_b32 exec_lo, exec_lo, s3
	s_waitcnt lgkmcnt(0)
	s_waitcnt_vscnt null, 0x0
	s_barrier
	buffer_gl0_inv
	scratch_load_b128 v[1:4], v28, off
	s_waitcnt vmcnt(0)
	v_cmp_eq_f64_e32 vcc_lo, 0, v[1:2]
	v_cmp_eq_f64_e64 s3, 0, v[3:4]
	s_delay_alu instid0(VALU_DEP_1) | instskip(NEXT) | instid1(SALU_CYCLE_1)
	s_and_b32 s3, vcc_lo, s3
	s_and_saveexec_b32 s4, s3
	s_cbranch_execz .LBB68_10
; %bb.7:
	v_mov_b32_e32 v1, 0
	s_mov_b32 s5, 0
	ds_load_b32 v2, v1 offset:160
	s_waitcnt lgkmcnt(0)
	v_readfirstlane_b32 s3, v2
	v_add_nc_u32_e32 v2, 1, v23
	s_delay_alu instid0(VALU_DEP_2) | instskip(NEXT) | instid1(VALU_DEP_1)
	s_cmp_eq_u32 s3, 0
	v_cmp_gt_i32_e32 vcc_lo, s3, v2
	s_cselect_b32 s12, -1, 0
	s_delay_alu instid0(SALU_CYCLE_1) | instskip(NEXT) | instid1(SALU_CYCLE_1)
	s_or_b32 s12, s12, vcc_lo
	s_and_b32 exec_lo, exec_lo, s12
	s_cbranch_execz .LBB68_10
; %bb.8:
	v_mov_b32_e32 v3, s3
.LBB68_9:                               ; =>This Inner Loop Header: Depth=1
	ds_cmpstore_rtn_b32 v3, v1, v2, v3 offset:160
	s_waitcnt lgkmcnt(0)
	v_cmp_ne_u32_e32 vcc_lo, 0, v3
	v_cmp_le_i32_e64 s3, v3, v2
	s_delay_alu instid0(VALU_DEP_1) | instskip(NEXT) | instid1(SALU_CYCLE_1)
	s_and_b32 s3, vcc_lo, s3
	s_and_b32 s3, exec_lo, s3
	s_delay_alu instid0(SALU_CYCLE_1) | instskip(NEXT) | instid1(SALU_CYCLE_1)
	s_or_b32 s5, s3, s5
	s_and_not1_b32 exec_lo, exec_lo, s5
	s_cbranch_execnz .LBB68_9
.LBB68_10:
	s_or_b32 exec_lo, exec_lo, s4
	v_mov_b32_e32 v1, 0
	s_barrier
	buffer_gl0_inv
	ds_load_b32 v2, v1 offset:160
	s_and_saveexec_b32 s3, s2
	s_cbranch_execz .LBB68_12
; %bb.11:
	s_lshl_b64 s[4:5], s[10:11], 2
	s_delay_alu instid0(SALU_CYCLE_1)
	s_add_u32 s4, s6, s4
	s_addc_u32 s5, s7, s5
	s_waitcnt lgkmcnt(0)
	global_store_b32 v1, v2, s[4:5]
.LBB68_12:
	s_or_b32 exec_lo, exec_lo, s3
	s_waitcnt lgkmcnt(0)
	v_cmp_ne_u32_e32 vcc_lo, 0, v2
	s_mov_b32 s3, 0
	s_cbranch_vccnz .LBB68_32
; %bb.13:
	v_add_nc_u32_e32 v29, 0, v28
                                        ; implicit-def: $vgpr9_vgpr10
	scratch_load_b128 v[1:4], v29, off
	s_waitcnt vmcnt(0)
	v_cmp_gt_f64_e32 vcc_lo, 0, v[1:2]
	v_xor_b32_e32 v6, 0x80000000, v2
	v_xor_b32_e32 v7, 0x80000000, v4
	s_delay_alu instid0(VALU_DEP_2) | instskip(SKIP_1) | instid1(VALU_DEP_3)
	v_cndmask_b32_e32 v6, v2, v6, vcc_lo
	v_cmp_gt_f64_e32 vcc_lo, 0, v[3:4]
	v_dual_mov_b32 v5, v1 :: v_dual_cndmask_b32 v8, v4, v7
	v_mov_b32_e32 v7, v3
	s_delay_alu instid0(VALU_DEP_1) | instskip(SKIP_1) | instid1(SALU_CYCLE_1)
	v_cmp_ngt_f64_e32 vcc_lo, v[5:6], v[7:8]
                                        ; implicit-def: $vgpr5_vgpr6
	s_and_saveexec_b32 s3, vcc_lo
	s_xor_b32 s3, exec_lo, s3
	s_cbranch_execz .LBB68_15
; %bb.14:
	v_div_scale_f64 v[5:6], null, v[3:4], v[3:4], v[1:2]
	v_div_scale_f64 v[11:12], vcc_lo, v[1:2], v[3:4], v[1:2]
	s_delay_alu instid0(VALU_DEP_2) | instskip(SKIP_2) | instid1(VALU_DEP_1)
	v_rcp_f64_e32 v[7:8], v[5:6]
	s_waitcnt_depctr 0xfff
	v_fma_f64 v[9:10], -v[5:6], v[7:8], 1.0
	v_fma_f64 v[7:8], v[7:8], v[9:10], v[7:8]
	s_delay_alu instid0(VALU_DEP_1) | instskip(NEXT) | instid1(VALU_DEP_1)
	v_fma_f64 v[9:10], -v[5:6], v[7:8], 1.0
	v_fma_f64 v[7:8], v[7:8], v[9:10], v[7:8]
	s_delay_alu instid0(VALU_DEP_1) | instskip(NEXT) | instid1(VALU_DEP_1)
	v_mul_f64 v[9:10], v[11:12], v[7:8]
	v_fma_f64 v[5:6], -v[5:6], v[9:10], v[11:12]
	s_delay_alu instid0(VALU_DEP_1) | instskip(NEXT) | instid1(VALU_DEP_1)
	v_div_fmas_f64 v[5:6], v[5:6], v[7:8], v[9:10]
	v_div_fixup_f64 v[5:6], v[5:6], v[3:4], v[1:2]
	s_delay_alu instid0(VALU_DEP_1) | instskip(NEXT) | instid1(VALU_DEP_1)
	v_fma_f64 v[1:2], v[1:2], v[5:6], v[3:4]
	v_div_scale_f64 v[3:4], null, v[1:2], v[1:2], 1.0
	v_div_scale_f64 v[11:12], vcc_lo, 1.0, v[1:2], 1.0
	s_delay_alu instid0(VALU_DEP_2) | instskip(SKIP_2) | instid1(VALU_DEP_1)
	v_rcp_f64_e32 v[7:8], v[3:4]
	s_waitcnt_depctr 0xfff
	v_fma_f64 v[9:10], -v[3:4], v[7:8], 1.0
	v_fma_f64 v[7:8], v[7:8], v[9:10], v[7:8]
	s_delay_alu instid0(VALU_DEP_1) | instskip(NEXT) | instid1(VALU_DEP_1)
	v_fma_f64 v[9:10], -v[3:4], v[7:8], 1.0
	v_fma_f64 v[7:8], v[7:8], v[9:10], v[7:8]
	s_delay_alu instid0(VALU_DEP_1) | instskip(NEXT) | instid1(VALU_DEP_1)
	v_mul_f64 v[9:10], v[11:12], v[7:8]
	v_fma_f64 v[3:4], -v[3:4], v[9:10], v[11:12]
	s_delay_alu instid0(VALU_DEP_1) | instskip(NEXT) | instid1(VALU_DEP_1)
	v_div_fmas_f64 v[3:4], v[3:4], v[7:8], v[9:10]
	v_div_fixup_f64 v[7:8], v[3:4], v[1:2], 1.0
                                        ; implicit-def: $vgpr1_vgpr2
	s_delay_alu instid0(VALU_DEP_1) | instskip(SKIP_1) | instid1(VALU_DEP_2)
	v_mul_f64 v[5:6], v[5:6], v[7:8]
	v_xor_b32_e32 v8, 0x80000000, v8
	v_xor_b32_e32 v10, 0x80000000, v6
	s_delay_alu instid0(VALU_DEP_3)
	v_mov_b32_e32 v9, v5
.LBB68_15:
	s_and_not1_saveexec_b32 s3, s3
	s_cbranch_execz .LBB68_17
; %bb.16:
	v_div_scale_f64 v[5:6], null, v[1:2], v[1:2], v[3:4]
	v_div_scale_f64 v[11:12], vcc_lo, v[3:4], v[1:2], v[3:4]
	s_delay_alu instid0(VALU_DEP_2) | instskip(SKIP_2) | instid1(VALU_DEP_1)
	v_rcp_f64_e32 v[7:8], v[5:6]
	s_waitcnt_depctr 0xfff
	v_fma_f64 v[9:10], -v[5:6], v[7:8], 1.0
	v_fma_f64 v[7:8], v[7:8], v[9:10], v[7:8]
	s_delay_alu instid0(VALU_DEP_1) | instskip(NEXT) | instid1(VALU_DEP_1)
	v_fma_f64 v[9:10], -v[5:6], v[7:8], 1.0
	v_fma_f64 v[7:8], v[7:8], v[9:10], v[7:8]
	s_delay_alu instid0(VALU_DEP_1) | instskip(NEXT) | instid1(VALU_DEP_1)
	v_mul_f64 v[9:10], v[11:12], v[7:8]
	v_fma_f64 v[5:6], -v[5:6], v[9:10], v[11:12]
	s_delay_alu instid0(VALU_DEP_1) | instskip(NEXT) | instid1(VALU_DEP_1)
	v_div_fmas_f64 v[5:6], v[5:6], v[7:8], v[9:10]
	v_div_fixup_f64 v[7:8], v[5:6], v[1:2], v[3:4]
	s_delay_alu instid0(VALU_DEP_1) | instskip(NEXT) | instid1(VALU_DEP_1)
	v_fma_f64 v[1:2], v[3:4], v[7:8], v[1:2]
	v_div_scale_f64 v[3:4], null, v[1:2], v[1:2], 1.0
	s_delay_alu instid0(VALU_DEP_1) | instskip(SKIP_2) | instid1(VALU_DEP_1)
	v_rcp_f64_e32 v[5:6], v[3:4]
	s_waitcnt_depctr 0xfff
	v_fma_f64 v[9:10], -v[3:4], v[5:6], 1.0
	v_fma_f64 v[5:6], v[5:6], v[9:10], v[5:6]
	s_delay_alu instid0(VALU_DEP_1) | instskip(NEXT) | instid1(VALU_DEP_1)
	v_fma_f64 v[9:10], -v[3:4], v[5:6], 1.0
	v_fma_f64 v[5:6], v[5:6], v[9:10], v[5:6]
	v_div_scale_f64 v[9:10], vcc_lo, 1.0, v[1:2], 1.0
	s_delay_alu instid0(VALU_DEP_1) | instskip(NEXT) | instid1(VALU_DEP_1)
	v_mul_f64 v[11:12], v[9:10], v[5:6]
	v_fma_f64 v[3:4], -v[3:4], v[11:12], v[9:10]
	s_delay_alu instid0(VALU_DEP_1) | instskip(NEXT) | instid1(VALU_DEP_1)
	v_div_fmas_f64 v[3:4], v[3:4], v[5:6], v[11:12]
	v_div_fixup_f64 v[5:6], v[3:4], v[1:2], 1.0
	s_delay_alu instid0(VALU_DEP_1)
	v_mul_f64 v[7:8], v[7:8], -v[5:6]
	v_xor_b32_e32 v10, 0x80000000, v6
	v_mov_b32_e32 v9, v5
.LBB68_17:
	s_or_b32 exec_lo, exec_lo, s3
	scratch_store_b128 v29, v[5:8], off
	scratch_load_b128 v[1:4], v26, off
	v_xor_b32_e32 v12, 0x80000000, v8
	v_mov_b32_e32 v11, v7
	v_add_nc_u32_e32 v5, 0x50, v28
	ds_store_b128 v28, v[9:12]
	s_waitcnt vmcnt(0)
	ds_store_b128 v28, v[1:4] offset:80
	s_waitcnt lgkmcnt(0)
	s_waitcnt_vscnt null, 0x0
	s_barrier
	buffer_gl0_inv
	s_and_saveexec_b32 s3, s2
	s_cbranch_execz .LBB68_19
; %bb.18:
	scratch_load_b128 v[1:4], v29, off
	ds_load_b128 v[6:9], v5
	v_mov_b32_e32 v10, 0
	ds_load_b128 v[30:33], v10 offset:16
	s_waitcnt vmcnt(0) lgkmcnt(1)
	v_mul_f64 v[10:11], v[6:7], v[3:4]
	v_mul_f64 v[3:4], v[8:9], v[3:4]
	s_delay_alu instid0(VALU_DEP_2) | instskip(NEXT) | instid1(VALU_DEP_2)
	v_fma_f64 v[8:9], v[8:9], v[1:2], v[10:11]
	v_fma_f64 v[1:2], v[6:7], v[1:2], -v[3:4]
	s_delay_alu instid0(VALU_DEP_2) | instskip(NEXT) | instid1(VALU_DEP_2)
	v_add_f64 v[3:4], v[8:9], 0
	v_add_f64 v[1:2], v[1:2], 0
	s_waitcnt lgkmcnt(0)
	s_delay_alu instid0(VALU_DEP_2) | instskip(NEXT) | instid1(VALU_DEP_2)
	v_mul_f64 v[6:7], v[3:4], v[32:33]
	v_mul_f64 v[8:9], v[1:2], v[32:33]
	s_delay_alu instid0(VALU_DEP_2) | instskip(NEXT) | instid1(VALU_DEP_2)
	v_fma_f64 v[1:2], v[1:2], v[30:31], -v[6:7]
	v_fma_f64 v[3:4], v[3:4], v[30:31], v[8:9]
	scratch_store_b128 off, v[1:4], off offset:16
.LBB68_19:
	s_or_b32 exec_lo, exec_lo, s3
	s_waitcnt_vscnt null, 0x0
	s_barrier
	buffer_gl0_inv
	scratch_load_b128 v[1:4], v27, off
	s_mov_b32 s3, exec_lo
	s_waitcnt vmcnt(0)
	ds_store_b128 v5, v[1:4]
	s_waitcnt lgkmcnt(0)
	s_barrier
	buffer_gl0_inv
	v_cmpx_gt_u32_e32 2, v23
	s_cbranch_execz .LBB68_23
; %bb.20:
	scratch_load_b128 v[1:4], v29, off
	ds_load_b128 v[6:9], v5
	s_waitcnt vmcnt(0) lgkmcnt(0)
	v_mul_f64 v[10:11], v[8:9], v[3:4]
	v_mul_f64 v[3:4], v[6:7], v[3:4]
	s_delay_alu instid0(VALU_DEP_2) | instskip(NEXT) | instid1(VALU_DEP_2)
	v_fma_f64 v[6:7], v[6:7], v[1:2], -v[10:11]
	v_fma_f64 v[3:4], v[8:9], v[1:2], v[3:4]
	s_delay_alu instid0(VALU_DEP_2) | instskip(NEXT) | instid1(VALU_DEP_2)
	v_add_f64 v[1:2], v[6:7], 0
	v_add_f64 v[3:4], v[3:4], 0
	s_and_saveexec_b32 s4, s2
	s_cbranch_execz .LBB68_22
; %bb.21:
	scratch_load_b128 v[6:9], off, off offset:16
	v_mov_b32_e32 v10, 0
	ds_load_b128 v[30:33], v10 offset:96
	s_waitcnt vmcnt(0) lgkmcnt(0)
	v_mul_f64 v[10:11], v[30:31], v[8:9]
	v_mul_f64 v[8:9], v[32:33], v[8:9]
	s_delay_alu instid0(VALU_DEP_2) | instskip(NEXT) | instid1(VALU_DEP_2)
	v_fma_f64 v[10:11], v[32:33], v[6:7], v[10:11]
	v_fma_f64 v[6:7], v[30:31], v[6:7], -v[8:9]
	s_delay_alu instid0(VALU_DEP_2) | instskip(NEXT) | instid1(VALU_DEP_2)
	v_add_f64 v[3:4], v[3:4], v[10:11]
	v_add_f64 v[1:2], v[1:2], v[6:7]
.LBB68_22:
	s_or_b32 exec_lo, exec_lo, s4
	v_mov_b32_e32 v6, 0
	ds_load_b128 v[6:9], v6 offset:32
	s_waitcnt lgkmcnt(0)
	v_mul_f64 v[10:11], v[3:4], v[8:9]
	v_mul_f64 v[8:9], v[1:2], v[8:9]
	s_delay_alu instid0(VALU_DEP_2) | instskip(NEXT) | instid1(VALU_DEP_2)
	v_fma_f64 v[1:2], v[1:2], v[6:7], -v[10:11]
	v_fma_f64 v[3:4], v[3:4], v[6:7], v[8:9]
	scratch_store_b128 off, v[1:4], off offset:32
.LBB68_23:
	s_or_b32 exec_lo, exec_lo, s3
	s_waitcnt_vscnt null, 0x0
	s_barrier
	buffer_gl0_inv
	scratch_load_b128 v[1:4], v25, off
	v_add_nc_u32_e32 v6, -1, v23
	s_mov_b32 s2, exec_lo
	s_waitcnt vmcnt(0)
	ds_store_b128 v5, v[1:4]
	s_waitcnt lgkmcnt(0)
	s_barrier
	buffer_gl0_inv
	v_cmpx_gt_u32_e32 3, v23
	s_cbranch_execz .LBB68_27
; %bb.24:
	v_dual_mov_b32 v1, 0 :: v_dual_add_nc_u32 v8, 0x50, v28
	v_dual_mov_b32 v2, 0 :: v_dual_add_nc_u32 v7, -1, v23
	v_or_b32_e32 v9, 8, v29
	s_mov_b32 s3, 0
	s_delay_alu instid0(VALU_DEP_2)
	v_dual_mov_b32 v4, v2 :: v_dual_mov_b32 v3, v1
	.p2align	6
.LBB68_25:                              ; =>This Inner Loop Header: Depth=1
	scratch_load_b128 v[30:33], v9, off offset:-8
	ds_load_b128 v[34:37], v8
	v_add_nc_u32_e32 v7, 1, v7
	v_add_nc_u32_e32 v8, 16, v8
	;; [unrolled: 1-line block ×3, first 2 shown]
	s_delay_alu instid0(VALU_DEP_3) | instskip(SKIP_4) | instid1(VALU_DEP_2)
	v_cmp_lt_u32_e32 vcc_lo, 1, v7
	s_or_b32 s3, vcc_lo, s3
	s_waitcnt vmcnt(0) lgkmcnt(0)
	v_mul_f64 v[10:11], v[36:37], v[32:33]
	v_mul_f64 v[32:33], v[34:35], v[32:33]
	v_fma_f64 v[10:11], v[34:35], v[30:31], -v[10:11]
	s_delay_alu instid0(VALU_DEP_2) | instskip(NEXT) | instid1(VALU_DEP_2)
	v_fma_f64 v[30:31], v[36:37], v[30:31], v[32:33]
	v_add_f64 v[3:4], v[3:4], v[10:11]
	s_delay_alu instid0(VALU_DEP_2)
	v_add_f64 v[1:2], v[1:2], v[30:31]
	s_and_not1_b32 exec_lo, exec_lo, s3
	s_cbranch_execnz .LBB68_25
; %bb.26:
	s_or_b32 exec_lo, exec_lo, s3
	v_mov_b32_e32 v7, 0
	ds_load_b128 v[7:10], v7 offset:48
	s_waitcnt lgkmcnt(0)
	v_mul_f64 v[11:12], v[1:2], v[9:10]
	v_mul_f64 v[30:31], v[3:4], v[9:10]
	s_delay_alu instid0(VALU_DEP_2) | instskip(NEXT) | instid1(VALU_DEP_2)
	v_fma_f64 v[9:10], v[3:4], v[7:8], -v[11:12]
	v_fma_f64 v[11:12], v[1:2], v[7:8], v[30:31]
	scratch_store_b128 off, v[9:12], off offset:48
.LBB68_27:
	s_or_b32 exec_lo, exec_lo, s2
	s_waitcnt_vscnt null, 0x0
	s_barrier
	buffer_gl0_inv
	scratch_load_b128 v[1:4], v24, off
	s_mov_b32 s2, exec_lo
	s_waitcnt vmcnt(0)
	ds_store_b128 v5, v[1:4]
	s_waitcnt lgkmcnt(0)
	s_barrier
	buffer_gl0_inv
	v_cmpx_ne_u32_e32 4, v23
	s_cbranch_execz .LBB68_31
; %bb.28:
	v_mov_b32_e32 v1, 0
	v_mov_b32_e32 v2, 0
	v_or_b32_e32 v7, 8, v29
	s_mov_b32 s3, 0
	s_delay_alu instid0(VALU_DEP_2)
	v_dual_mov_b32 v4, v2 :: v_dual_mov_b32 v3, v1
	.p2align	6
.LBB68_29:                              ; =>This Inner Loop Header: Depth=1
	scratch_load_b128 v[8:11], v7, off offset:-8
	ds_load_b128 v[28:31], v5
	v_add_nc_u32_e32 v6, 1, v6
	v_add_nc_u32_e32 v5, 16, v5
	;; [unrolled: 1-line block ×3, first 2 shown]
	s_delay_alu instid0(VALU_DEP_3) | instskip(SKIP_4) | instid1(VALU_DEP_2)
	v_cmp_lt_u32_e32 vcc_lo, 2, v6
	s_or_b32 s3, vcc_lo, s3
	s_waitcnt vmcnt(0) lgkmcnt(0)
	v_mul_f64 v[32:33], v[30:31], v[10:11]
	v_mul_f64 v[10:11], v[28:29], v[10:11]
	v_fma_f64 v[28:29], v[28:29], v[8:9], -v[32:33]
	s_delay_alu instid0(VALU_DEP_2) | instskip(NEXT) | instid1(VALU_DEP_2)
	v_fma_f64 v[8:9], v[30:31], v[8:9], v[10:11]
	v_add_f64 v[3:4], v[3:4], v[28:29]
	s_delay_alu instid0(VALU_DEP_2)
	v_add_f64 v[1:2], v[1:2], v[8:9]
	s_and_not1_b32 exec_lo, exec_lo, s3
	s_cbranch_execnz .LBB68_29
; %bb.30:
	s_or_b32 exec_lo, exec_lo, s3
	v_mov_b32_e32 v5, 0
	ds_load_b128 v[5:8], v5 offset:64
	s_waitcnt lgkmcnt(0)
	v_mul_f64 v[9:10], v[1:2], v[7:8]
	v_mul_f64 v[7:8], v[3:4], v[7:8]
	s_delay_alu instid0(VALU_DEP_2) | instskip(NEXT) | instid1(VALU_DEP_2)
	v_fma_f64 v[3:4], v[3:4], v[5:6], -v[9:10]
	v_fma_f64 v[5:6], v[1:2], v[5:6], v[7:8]
	scratch_store_b128 off, v[3:6], off offset:64
.LBB68_31:
	s_or_b32 exec_lo, exec_lo, s2
	s_mov_b32 s3, -1
	s_waitcnt_vscnt null, 0x0
	s_barrier
	buffer_gl0_inv
.LBB68_32:
	s_and_b32 vcc_lo, exec_lo, s3
	s_cbranch_vccz .LBB68_34
; %bb.33:
	s_lshl_b64 s[2:3], s[10:11], 2
	v_mov_b32_e32 v1, 0
	s_add_u32 s2, s6, s2
	s_addc_u32 s3, s7, s3
	global_load_b32 v1, v1, s[2:3]
	s_waitcnt vmcnt(0)
	v_cmp_ne_u32_e32 vcc_lo, 0, v1
	s_cbranch_vccz .LBB68_35
.LBB68_34:
	s_endpgm
.LBB68_35:
	v_lshl_add_u32 v5, v23, 4, 0x50
	s_mov_b32 s2, exec_lo
	v_cmpx_eq_u32_e32 4, v23
	s_cbranch_execz .LBB68_37
; %bb.36:
	scratch_load_b128 v[1:4], v25, off
	v_mov_b32_e32 v6, 0
	s_delay_alu instid0(VALU_DEP_1)
	v_mov_b32_e32 v7, v6
	v_mov_b32_e32 v8, v6
	;; [unrolled: 1-line block ×3, first 2 shown]
	scratch_store_b128 off, v[6:9], off offset:48
	s_waitcnt vmcnt(0)
	ds_store_b128 v5, v[1:4]
.LBB68_37:
	s_or_b32 exec_lo, exec_lo, s2
	s_waitcnt lgkmcnt(0)
	s_waitcnt_vscnt null, 0x0
	s_barrier
	buffer_gl0_inv
	s_clause 0x1
	scratch_load_b128 v[6:9], off, off offset:64
	scratch_load_b128 v[28:31], off, off offset:48
	v_mov_b32_e32 v1, 0
	s_mov_b32 s2, exec_lo
	ds_load_b128 v[32:35], v1 offset:144
	s_waitcnt vmcnt(1) lgkmcnt(0)
	v_mul_f64 v[2:3], v[34:35], v[8:9]
	v_mul_f64 v[8:9], v[32:33], v[8:9]
	s_delay_alu instid0(VALU_DEP_2) | instskip(NEXT) | instid1(VALU_DEP_2)
	v_fma_f64 v[2:3], v[32:33], v[6:7], -v[2:3]
	v_fma_f64 v[6:7], v[34:35], v[6:7], v[8:9]
	s_delay_alu instid0(VALU_DEP_2) | instskip(NEXT) | instid1(VALU_DEP_2)
	v_add_f64 v[2:3], v[2:3], 0
	v_add_f64 v[8:9], v[6:7], 0
	s_waitcnt vmcnt(0)
	s_delay_alu instid0(VALU_DEP_2) | instskip(NEXT) | instid1(VALU_DEP_2)
	v_add_f64 v[6:7], v[28:29], -v[2:3]
	v_add_f64 v[8:9], v[30:31], -v[8:9]
	scratch_store_b128 off, v[6:9], off offset:48
	v_cmpx_lt_u32_e32 2, v23
	s_cbranch_execz .LBB68_39
; %bb.38:
	scratch_load_b128 v[6:9], v27, off
	v_mov_b32_e32 v2, v1
	v_mov_b32_e32 v3, v1
	v_mov_b32_e32 v4, v1
	scratch_store_b128 off, v[1:4], off offset:32
	s_waitcnt vmcnt(0)
	ds_store_b128 v5, v[6:9]
.LBB68_39:
	s_or_b32 exec_lo, exec_lo, s2
	s_waitcnt lgkmcnt(0)
	s_waitcnt_vscnt null, 0x0
	s_barrier
	buffer_gl0_inv
	s_clause 0x2
	scratch_load_b128 v[6:9], off, off offset:48
	scratch_load_b128 v[28:31], off, off offset:64
	;; [unrolled: 1-line block ×3, first 2 shown]
	ds_load_b128 v[36:39], v1 offset:128
	ds_load_b128 v[1:4], v1 offset:144
	s_mov_b32 s2, exec_lo
	s_waitcnt vmcnt(2) lgkmcnt(1)
	v_mul_f64 v[10:11], v[38:39], v[8:9]
	v_mul_f64 v[8:9], v[36:37], v[8:9]
	s_waitcnt vmcnt(1) lgkmcnt(0)
	v_mul_f64 v[40:41], v[1:2], v[30:31]
	v_mul_f64 v[30:31], v[3:4], v[30:31]
	s_delay_alu instid0(VALU_DEP_4) | instskip(NEXT) | instid1(VALU_DEP_4)
	v_fma_f64 v[10:11], v[36:37], v[6:7], -v[10:11]
	v_fma_f64 v[6:7], v[38:39], v[6:7], v[8:9]
	s_delay_alu instid0(VALU_DEP_4) | instskip(NEXT) | instid1(VALU_DEP_4)
	v_fma_f64 v[3:4], v[3:4], v[28:29], v[40:41]
	v_fma_f64 v[1:2], v[1:2], v[28:29], -v[30:31]
	s_delay_alu instid0(VALU_DEP_4) | instskip(NEXT) | instid1(VALU_DEP_4)
	v_add_f64 v[8:9], v[10:11], 0
	v_add_f64 v[6:7], v[6:7], 0
	s_delay_alu instid0(VALU_DEP_2) | instskip(NEXT) | instid1(VALU_DEP_2)
	v_add_f64 v[1:2], v[8:9], v[1:2]
	v_add_f64 v[3:4], v[6:7], v[3:4]
	s_waitcnt vmcnt(0)
	s_delay_alu instid0(VALU_DEP_2) | instskip(NEXT) | instid1(VALU_DEP_2)
	v_add_f64 v[1:2], v[32:33], -v[1:2]
	v_add_f64 v[3:4], v[34:35], -v[3:4]
	scratch_store_b128 off, v[1:4], off offset:32
	v_cmpx_lt_u32_e32 1, v23
	s_cbranch_execz .LBB68_41
; %bb.40:
	scratch_load_b128 v[1:4], v26, off
	v_mov_b32_e32 v6, 0
	s_delay_alu instid0(VALU_DEP_1)
	v_mov_b32_e32 v7, v6
	v_mov_b32_e32 v8, v6
	;; [unrolled: 1-line block ×3, first 2 shown]
	scratch_store_b128 off, v[6:9], off offset:16
	s_waitcnt vmcnt(0)
	ds_store_b128 v5, v[1:4]
.LBB68_41:
	s_or_b32 exec_lo, exec_lo, s2
	s_waitcnt lgkmcnt(0)
	s_waitcnt_vscnt null, 0x0
	s_barrier
	buffer_gl0_inv
	s_clause 0x3
	scratch_load_b128 v[6:9], off, off offset:32
	scratch_load_b128 v[28:31], off, off offset:48
	;; [unrolled: 1-line block ×4, first 2 shown]
	v_mov_b32_e32 v1, 0
	ds_load_b128 v[40:43], v1 offset:112
	ds_load_b128 v[44:47], v1 offset:128
	s_mov_b32 s2, exec_lo
	s_waitcnt vmcnt(3) lgkmcnt(1)
	v_mul_f64 v[2:3], v[42:43], v[8:9]
	v_mul_f64 v[8:9], v[40:41], v[8:9]
	s_waitcnt vmcnt(2) lgkmcnt(0)
	v_mul_f64 v[10:11], v[44:45], v[30:31]
	v_mul_f64 v[30:31], v[46:47], v[30:31]
	s_delay_alu instid0(VALU_DEP_4) | instskip(NEXT) | instid1(VALU_DEP_4)
	v_fma_f64 v[2:3], v[40:41], v[6:7], -v[2:3]
	v_fma_f64 v[40:41], v[42:43], v[6:7], v[8:9]
	ds_load_b128 v[6:9], v1 offset:144
	v_fma_f64 v[10:11], v[46:47], v[28:29], v[10:11]
	v_fma_f64 v[28:29], v[44:45], v[28:29], -v[30:31]
	s_waitcnt vmcnt(1) lgkmcnt(0)
	v_mul_f64 v[42:43], v[6:7], v[34:35]
	v_mul_f64 v[34:35], v[8:9], v[34:35]
	v_add_f64 v[2:3], v[2:3], 0
	v_add_f64 v[30:31], v[40:41], 0
	s_delay_alu instid0(VALU_DEP_4) | instskip(NEXT) | instid1(VALU_DEP_4)
	v_fma_f64 v[8:9], v[8:9], v[32:33], v[42:43]
	v_fma_f64 v[6:7], v[6:7], v[32:33], -v[34:35]
	s_delay_alu instid0(VALU_DEP_4) | instskip(NEXT) | instid1(VALU_DEP_4)
	v_add_f64 v[2:3], v[2:3], v[28:29]
	v_add_f64 v[10:11], v[30:31], v[10:11]
	s_delay_alu instid0(VALU_DEP_2) | instskip(NEXT) | instid1(VALU_DEP_2)
	v_add_f64 v[2:3], v[2:3], v[6:7]
	v_add_f64 v[8:9], v[10:11], v[8:9]
	s_waitcnt vmcnt(0)
	s_delay_alu instid0(VALU_DEP_2) | instskip(NEXT) | instid1(VALU_DEP_2)
	v_add_f64 v[6:7], v[36:37], -v[2:3]
	v_add_f64 v[8:9], v[38:39], -v[8:9]
	scratch_store_b128 off, v[6:9], off offset:16
	v_cmpx_ne_u32_e32 0, v23
	s_cbranch_execz .LBB68_43
; %bb.42:
	scratch_load_b128 v[6:9], off, off
	v_mov_b32_e32 v2, v1
	v_mov_b32_e32 v3, v1
	v_mov_b32_e32 v4, v1
	scratch_store_b128 off, v[1:4], off
	s_waitcnt vmcnt(0)
	ds_store_b128 v5, v[6:9]
.LBB68_43:
	s_or_b32 exec_lo, exec_lo, s2
	s_waitcnt lgkmcnt(0)
	s_waitcnt_vscnt null, 0x0
	s_barrier
	buffer_gl0_inv
	s_clause 0x4
	scratch_load_b128 v[2:5], off, off offset:16
	scratch_load_b128 v[6:9], off, off offset:32
	;; [unrolled: 1-line block ×4, first 2 shown]
	scratch_load_b128 v[36:39], off, off
	ds_load_b128 v[40:43], v1 offset:96
	ds_load_b128 v[44:47], v1 offset:112
	s_and_b32 vcc_lo, exec_lo, s14
	s_waitcnt vmcnt(4) lgkmcnt(1)
	v_mul_f64 v[10:11], v[42:43], v[4:5]
	v_mul_f64 v[4:5], v[40:41], v[4:5]
	s_waitcnt vmcnt(3) lgkmcnt(0)
	v_mul_f64 v[48:49], v[44:45], v[8:9]
	v_mul_f64 v[50:51], v[46:47], v[8:9]
	s_delay_alu instid0(VALU_DEP_4) | instskip(NEXT) | instid1(VALU_DEP_4)
	v_fma_f64 v[40:41], v[40:41], v[2:3], -v[10:11]
	v_fma_f64 v[42:43], v[42:43], v[2:3], v[4:5]
	ds_load_b128 v[2:5], v1 offset:128
	ds_load_b128 v[8:11], v1 offset:144
	v_fma_f64 v[46:47], v[46:47], v[6:7], v[48:49]
	v_fma_f64 v[6:7], v[44:45], v[6:7], -v[50:51]
	s_waitcnt vmcnt(2) lgkmcnt(1)
	v_mul_f64 v[52:53], v[2:3], v[30:31]
	v_mul_f64 v[30:31], v[4:5], v[30:31]
	s_waitcnt vmcnt(1) lgkmcnt(0)
	v_mul_f64 v[44:45], v[8:9], v[34:35]
	v_mul_f64 v[34:35], v[10:11], v[34:35]
	v_add_f64 v[40:41], v[40:41], 0
	v_add_f64 v[42:43], v[42:43], 0
	v_fma_f64 v[4:5], v[4:5], v[28:29], v[52:53]
	v_fma_f64 v[1:2], v[2:3], v[28:29], -v[30:31]
	v_fma_f64 v[10:11], v[10:11], v[32:33], v[44:45]
	v_fma_f64 v[8:9], v[8:9], v[32:33], -v[34:35]
	v_add_f64 v[6:7], v[40:41], v[6:7]
	v_add_f64 v[28:29], v[42:43], v[46:47]
	s_delay_alu instid0(VALU_DEP_2) | instskip(NEXT) | instid1(VALU_DEP_2)
	v_add_f64 v[1:2], v[6:7], v[1:2]
	v_add_f64 v[3:4], v[28:29], v[4:5]
	s_delay_alu instid0(VALU_DEP_2) | instskip(NEXT) | instid1(VALU_DEP_2)
	v_add_f64 v[1:2], v[1:2], v[8:9]
	v_add_f64 v[3:4], v[3:4], v[10:11]
	s_waitcnt vmcnt(0)
	s_delay_alu instid0(VALU_DEP_2) | instskip(NEXT) | instid1(VALU_DEP_2)
	v_add_f64 v[1:2], v[36:37], -v[1:2]
	v_add_f64 v[3:4], v[38:39], -v[3:4]
	scratch_store_b128 off, v[1:4], off
	s_cbranch_vccz .LBB68_53
; %bb.44:
	v_dual_mov_b32 v1, s8 :: v_dual_mov_b32 v2, s9
	s_load_b64 s[0:1], s[0:1], 0x4
	flat_load_b32 v1, v[1:2] offset:12
	v_bfe_u32 v2, v0, 10, 10
	v_bfe_u32 v0, v0, 20, 10
	s_waitcnt lgkmcnt(0)
	s_lshr_b32 s0, s0, 16
	s_delay_alu instid0(VALU_DEP_2) | instskip(SKIP_1) | instid1(SALU_CYCLE_1)
	v_mul_u32_u24_e32 v2, s1, v2
	s_mul_i32 s0, s0, s1
	v_mul_u32_u24_e32 v3, s0, v23
	s_mov_b32 s0, exec_lo
	s_delay_alu instid0(VALU_DEP_1) | instskip(NEXT) | instid1(VALU_DEP_1)
	v_add3_u32 v0, v3, v2, v0
	v_lshl_add_u32 v0, v0, 4, 0xa8
	s_waitcnt vmcnt(0)
	v_cmpx_ne_u32_e32 4, v1
	s_cbranch_execz .LBB68_46
; %bb.45:
	v_lshl_add_u32 v9, v1, 4, 0
	s_clause 0x1
	scratch_load_b128 v[1:4], v25, off
	scratch_load_b128 v[5:8], v9, off offset:-16
	s_waitcnt vmcnt(1)
	ds_store_2addr_b64 v0, v[1:2], v[3:4] offset1:1
	s_waitcnt vmcnt(0)
	s_clause 0x1
	scratch_store_b128 v25, v[5:8], off
	scratch_store_b128 v9, v[1:4], off offset:-16
.LBB68_46:
	s_or_b32 exec_lo, exec_lo, s0
	v_dual_mov_b32 v1, s8 :: v_dual_mov_b32 v2, s9
	s_mov_b32 s0, exec_lo
	flat_load_b32 v1, v[1:2] offset:8
	s_waitcnt vmcnt(0) lgkmcnt(0)
	v_cmpx_ne_u32_e32 3, v1
	s_cbranch_execz .LBB68_48
; %bb.47:
	v_lshl_add_u32 v9, v1, 4, 0
	s_clause 0x1
	scratch_load_b128 v[1:4], v27, off
	scratch_load_b128 v[5:8], v9, off offset:-16
	s_waitcnt vmcnt(1)
	ds_store_2addr_b64 v0, v[1:2], v[3:4] offset1:1
	s_waitcnt vmcnt(0)
	s_clause 0x1
	scratch_store_b128 v27, v[5:8], off
	scratch_store_b128 v9, v[1:4], off offset:-16
.LBB68_48:
	s_or_b32 exec_lo, exec_lo, s0
	v_dual_mov_b32 v1, s8 :: v_dual_mov_b32 v2, s9
	s_mov_b32 s0, exec_lo
	flat_load_b32 v1, v[1:2] offset:4
	s_waitcnt vmcnt(0) lgkmcnt(0)
	v_cmpx_ne_u32_e32 2, v1
	s_cbranch_execz .LBB68_50
; %bb.49:
	v_lshl_add_u32 v9, v1, 4, 0
	s_clause 0x1
	scratch_load_b128 v[1:4], v26, off
	scratch_load_b128 v[5:8], v9, off offset:-16
	s_waitcnt vmcnt(1)
	ds_store_2addr_b64 v0, v[1:2], v[3:4] offset1:1
	s_waitcnt vmcnt(0)
	s_clause 0x1
	scratch_store_b128 v26, v[5:8], off
	scratch_store_b128 v9, v[1:4], off offset:-16
.LBB68_50:
	s_or_b32 exec_lo, exec_lo, s0
	v_dual_mov_b32 v1, s8 :: v_dual_mov_b32 v2, s9
	s_mov_b32 s0, exec_lo
	flat_load_b32 v1, v[1:2]
	s_waitcnt vmcnt(0) lgkmcnt(0)
	v_cmpx_ne_u32_e32 1, v1
	s_cbranch_execz .LBB68_52
; %bb.51:
	v_lshl_add_u32 v9, v1, 4, 0
	scratch_load_b128 v[1:4], off, off
	scratch_load_b128 v[5:8], v9, off offset:-16
	s_waitcnt vmcnt(1)
	ds_store_2addr_b64 v0, v[1:2], v[3:4] offset1:1
	s_waitcnt vmcnt(0)
	scratch_store_b128 off, v[5:8], off
	scratch_store_b128 v9, v[1:4], off offset:-16
.LBB68_52:
	s_or_b32 exec_lo, exec_lo, s0
.LBB68_53:
	scratch_load_b128 v[0:3], off, off
	s_clause 0x3
	scratch_load_b128 v[4:7], v26, off
	scratch_load_b128 v[8:11], v27, off
	;; [unrolled: 1-line block ×4, first 2 shown]
	s_waitcnt vmcnt(4)
	global_store_b128 v[13:14], v[0:3], off
	s_waitcnt vmcnt(3)
	global_store_b128 v[15:16], v[4:7], off
	;; [unrolled: 2-line block ×5, first 2 shown]
	s_endpgm
	.section	.rodata,"a",@progbits
	.p2align	6, 0x0
	.amdhsa_kernel _ZN9rocsolver6v33100L18getri_kernel_smallILi5E19rocblas_complex_numIdEPKPS3_EEvT1_iilPiilS8_bb
		.amdhsa_group_segment_fixed_size 1192
		.amdhsa_private_segment_fixed_size 96
		.amdhsa_kernarg_size 60
		.amdhsa_user_sgpr_count 15
		.amdhsa_user_sgpr_dispatch_ptr 1
		.amdhsa_user_sgpr_queue_ptr 0
		.amdhsa_user_sgpr_kernarg_segment_ptr 1
		.amdhsa_user_sgpr_dispatch_id 0
		.amdhsa_user_sgpr_private_segment_size 0
		.amdhsa_wavefront_size32 1
		.amdhsa_uses_dynamic_stack 0
		.amdhsa_enable_private_segment 1
		.amdhsa_system_sgpr_workgroup_id_x 1
		.amdhsa_system_sgpr_workgroup_id_y 0
		.amdhsa_system_sgpr_workgroup_id_z 0
		.amdhsa_system_sgpr_workgroup_info 0
		.amdhsa_system_vgpr_workitem_id 2
		.amdhsa_next_free_vgpr 54
		.amdhsa_next_free_sgpr 19
		.amdhsa_reserve_vcc 1
		.amdhsa_float_round_mode_32 0
		.amdhsa_float_round_mode_16_64 0
		.amdhsa_float_denorm_mode_32 3
		.amdhsa_float_denorm_mode_16_64 3
		.amdhsa_dx10_clamp 1
		.amdhsa_ieee_mode 1
		.amdhsa_fp16_overflow 0
		.amdhsa_workgroup_processor_mode 1
		.amdhsa_memory_ordered 1
		.amdhsa_forward_progress 0
		.amdhsa_shared_vgpr_count 0
		.amdhsa_exception_fp_ieee_invalid_op 0
		.amdhsa_exception_fp_denorm_src 0
		.amdhsa_exception_fp_ieee_div_zero 0
		.amdhsa_exception_fp_ieee_overflow 0
		.amdhsa_exception_fp_ieee_underflow 0
		.amdhsa_exception_fp_ieee_inexact 0
		.amdhsa_exception_int_div_zero 0
	.end_amdhsa_kernel
	.section	.text._ZN9rocsolver6v33100L18getri_kernel_smallILi5E19rocblas_complex_numIdEPKPS3_EEvT1_iilPiilS8_bb,"axG",@progbits,_ZN9rocsolver6v33100L18getri_kernel_smallILi5E19rocblas_complex_numIdEPKPS3_EEvT1_iilPiilS8_bb,comdat
.Lfunc_end68:
	.size	_ZN9rocsolver6v33100L18getri_kernel_smallILi5E19rocblas_complex_numIdEPKPS3_EEvT1_iilPiilS8_bb, .Lfunc_end68-_ZN9rocsolver6v33100L18getri_kernel_smallILi5E19rocblas_complex_numIdEPKPS3_EEvT1_iilPiilS8_bb
                                        ; -- End function
	.section	.AMDGPU.csdata,"",@progbits
; Kernel info:
; codeLenInByte = 4376
; NumSgprs: 21
; NumVgprs: 54
; ScratchSize: 96
; MemoryBound: 0
; FloatMode: 240
; IeeeMode: 1
; LDSByteSize: 1192 bytes/workgroup (compile time only)
; SGPRBlocks: 2
; VGPRBlocks: 6
; NumSGPRsForWavesPerEU: 21
; NumVGPRsForWavesPerEU: 54
; Occupancy: 16
; WaveLimiterHint : 1
; COMPUTE_PGM_RSRC2:SCRATCH_EN: 1
; COMPUTE_PGM_RSRC2:USER_SGPR: 15
; COMPUTE_PGM_RSRC2:TRAP_HANDLER: 0
; COMPUTE_PGM_RSRC2:TGID_X_EN: 1
; COMPUTE_PGM_RSRC2:TGID_Y_EN: 0
; COMPUTE_PGM_RSRC2:TGID_Z_EN: 0
; COMPUTE_PGM_RSRC2:TIDIG_COMP_CNT: 2
	.section	.text._ZN9rocsolver6v33100L18getri_kernel_smallILi6E19rocblas_complex_numIdEPKPS3_EEvT1_iilPiilS8_bb,"axG",@progbits,_ZN9rocsolver6v33100L18getri_kernel_smallILi6E19rocblas_complex_numIdEPKPS3_EEvT1_iilPiilS8_bb,comdat
	.globl	_ZN9rocsolver6v33100L18getri_kernel_smallILi6E19rocblas_complex_numIdEPKPS3_EEvT1_iilPiilS8_bb ; -- Begin function _ZN9rocsolver6v33100L18getri_kernel_smallILi6E19rocblas_complex_numIdEPKPS3_EEvT1_iilPiilS8_bb
	.p2align	8
	.type	_ZN9rocsolver6v33100L18getri_kernel_smallILi6E19rocblas_complex_numIdEPKPS3_EEvT1_iilPiilS8_bb,@function
_ZN9rocsolver6v33100L18getri_kernel_smallILi6E19rocblas_complex_numIdEPKPS3_EEvT1_iilPiilS8_bb: ; @_ZN9rocsolver6v33100L18getri_kernel_smallILi6E19rocblas_complex_numIdEPKPS3_EEvT1_iilPiilS8_bb
; %bb.0:
	v_and_b32_e32 v25, 0x3ff, v0
	s_mov_b32 s4, exec_lo
	s_delay_alu instid0(VALU_DEP_1)
	v_cmpx_gt_u32_e32 6, v25
	s_cbranch_execz .LBB69_38
; %bb.1:
	s_mov_b32 s10, s15
	s_clause 0x2
	s_load_b32 s15, s[2:3], 0x38
	s_load_b64 s[8:9], s[2:3], 0x0
	s_load_b128 s[4:7], s[2:3], 0x28
	s_waitcnt lgkmcnt(0)
	s_bitcmp1_b32 s15, 8
	s_cselect_b32 s14, -1, 0
	s_ashr_i32 s11, s10, 31
	s_delay_alu instid0(SALU_CYCLE_1) | instskip(NEXT) | instid1(SALU_CYCLE_1)
	s_lshl_b64 s[12:13], s[10:11], 3
	s_add_u32 s8, s8, s12
	s_addc_u32 s9, s9, s13
	s_load_b64 s[12:13], s[8:9], 0x0
	s_bfe_u32 s8, s15, 0x10008
	s_delay_alu instid0(SALU_CYCLE_1)
	s_cmp_eq_u32 s8, 0
                                        ; implicit-def: $sgpr8_sgpr9
	s_cbranch_scc1 .LBB69_3
; %bb.2:
	s_clause 0x1
	s_load_b32 s8, s[2:3], 0x20
	s_load_b64 s[16:17], s[2:3], 0x18
	s_mul_i32 s5, s10, s5
	s_mul_hi_u32 s9, s10, s4
	s_mul_i32 s18, s11, s4
	s_add_i32 s5, s9, s5
	s_mul_i32 s4, s10, s4
	s_add_i32 s5, s5, s18
	s_delay_alu instid0(SALU_CYCLE_1)
	s_lshl_b64 s[4:5], s[4:5], 2
	s_waitcnt lgkmcnt(0)
	s_ashr_i32 s9, s8, 31
	s_add_u32 s16, s16, s4
	s_addc_u32 s17, s17, s5
	s_lshl_b64 s[4:5], s[8:9], 2
	s_delay_alu instid0(SALU_CYCLE_1)
	s_add_u32 s8, s16, s4
	s_addc_u32 s9, s17, s5
.LBB69_3:
	s_load_b64 s[2:3], s[2:3], 0x8
	v_lshlrev_b32_e32 v31, 4, v25
	v_add_nc_u32_e64 v29, 0, 32
	v_add_nc_u32_e64 v30, 0, 64
	s_waitcnt lgkmcnt(0)
	v_add3_u32 v5, s3, s3, v25
	s_ashr_i32 s5, s2, 31
	s_mov_b32 s4, s2
	s_mov_b32 s16, s3
	s_lshl_b64 s[4:5], s[4:5], 4
	v_add_nc_u32_e32 v7, s3, v5
	v_ashrrev_i32_e32 v6, 31, v5
	s_add_u32 s4, s12, s4
	s_addc_u32 s5, s13, s5
	v_add_co_u32 v13, s2, s4, v31
	v_add_nc_u32_e32 v9, s3, v7
	v_ashrrev_i32_e32 v8, 31, v7
	s_ashr_i32 s17, s3, 31
	v_add_co_ci_u32_e64 v14, null, s5, 0, s2
	s_delay_alu instid0(VALU_DEP_3)
	v_add_nc_u32_e32 v21, s3, v9
	v_lshlrev_b64 v[5:6], 4, v[5:6]
	s_lshl_b64 s[12:13], s[16:17], 4
	v_ashrrev_i32_e32 v10, 31, v9
	v_add_co_u32 v15, vcc_lo, v13, s12
	v_lshlrev_b64 v[7:8], 4, v[7:8]
	v_ashrrev_i32_e32 v22, 31, v21
	v_add_co_ci_u32_e32 v16, vcc_lo, s13, v14, vcc_lo
	v_add_co_u32 v17, vcc_lo, s4, v5
	v_lshlrev_b64 v[23:24], 4, v[9:10]
	v_add_co_ci_u32_e32 v18, vcc_lo, s5, v6, vcc_lo
	v_add_co_u32 v19, vcc_lo, s4, v7
	v_lshlrev_b64 v[26:27], 4, v[21:22]
	v_add_co_ci_u32_e32 v20, vcc_lo, s5, v8, vcc_lo
	v_add_co_u32 v21, vcc_lo, s4, v23
	v_add_co_ci_u32_e32 v22, vcc_lo, s5, v24, vcc_lo
	s_delay_alu instid0(VALU_DEP_4)
	v_add_co_u32 v23, vcc_lo, s4, v26
	v_add_co_ci_u32_e32 v24, vcc_lo, s5, v27, vcc_lo
	s_clause 0x5
	global_load_b128 v[1:4], v31, s[4:5]
	global_load_b128 v[5:8], v[15:16], off
	global_load_b128 v[9:12], v[17:18], off
	;; [unrolled: 1-line block ×5, first 2 shown]
	s_movk_i32 s2, 0x50
	v_add_nc_u32_e64 v27, 0, 16
	v_add_nc_u32_e64 v26, 0, 48
	;; [unrolled: 1-line block ×3, first 2 shown]
	s_mov_b32 s3, -1
	s_bitcmp0_b32 s15, 0
	s_waitcnt vmcnt(5)
	scratch_store_b128 off, v[1:4], off
	s_waitcnt vmcnt(4)
	scratch_store_b128 off, v[5:8], off offset:16
	s_waitcnt vmcnt(3)
	scratch_store_b128 off, v[9:12], off offset:32
	;; [unrolled: 2-line block ×5, first 2 shown]
	s_cbranch_scc1 .LBB69_36
; %bb.4:
	v_cmp_eq_u32_e64 s2, 0, v25
	s_delay_alu instid0(VALU_DEP_1)
	s_and_saveexec_b32 s3, s2
	s_cbranch_execz .LBB69_6
; %bb.5:
	v_mov_b32_e32 v1, 0
	ds_store_b32 v1, v1 offset:192
.LBB69_6:
	s_or_b32 exec_lo, exec_lo, s3
	s_waitcnt lgkmcnt(0)
	s_waitcnt_vscnt null, 0x0
	s_barrier
	buffer_gl0_inv
	scratch_load_b128 v[1:4], v31, off
	s_waitcnt vmcnt(0)
	v_cmp_eq_f64_e32 vcc_lo, 0, v[1:2]
	v_cmp_eq_f64_e64 s3, 0, v[3:4]
	s_delay_alu instid0(VALU_DEP_1) | instskip(NEXT) | instid1(SALU_CYCLE_1)
	s_and_b32 s3, vcc_lo, s3
	s_and_saveexec_b32 s4, s3
	s_cbranch_execz .LBB69_10
; %bb.7:
	v_mov_b32_e32 v1, 0
	s_mov_b32 s5, 0
	ds_load_b32 v2, v1 offset:192
	s_waitcnt lgkmcnt(0)
	v_readfirstlane_b32 s3, v2
	v_add_nc_u32_e32 v2, 1, v25
	s_delay_alu instid0(VALU_DEP_2) | instskip(NEXT) | instid1(VALU_DEP_1)
	s_cmp_eq_u32 s3, 0
	v_cmp_gt_i32_e32 vcc_lo, s3, v2
	s_cselect_b32 s12, -1, 0
	s_delay_alu instid0(SALU_CYCLE_1) | instskip(NEXT) | instid1(SALU_CYCLE_1)
	s_or_b32 s12, s12, vcc_lo
	s_and_b32 exec_lo, exec_lo, s12
	s_cbranch_execz .LBB69_10
; %bb.8:
	v_mov_b32_e32 v3, s3
.LBB69_9:                               ; =>This Inner Loop Header: Depth=1
	ds_cmpstore_rtn_b32 v3, v1, v2, v3 offset:192
	s_waitcnt lgkmcnt(0)
	v_cmp_ne_u32_e32 vcc_lo, 0, v3
	v_cmp_le_i32_e64 s3, v3, v2
	s_delay_alu instid0(VALU_DEP_1) | instskip(NEXT) | instid1(SALU_CYCLE_1)
	s_and_b32 s3, vcc_lo, s3
	s_and_b32 s3, exec_lo, s3
	s_delay_alu instid0(SALU_CYCLE_1) | instskip(NEXT) | instid1(SALU_CYCLE_1)
	s_or_b32 s5, s3, s5
	s_and_not1_b32 exec_lo, exec_lo, s5
	s_cbranch_execnz .LBB69_9
.LBB69_10:
	s_or_b32 exec_lo, exec_lo, s4
	v_mov_b32_e32 v1, 0
	s_barrier
	buffer_gl0_inv
	ds_load_b32 v2, v1 offset:192
	s_and_saveexec_b32 s3, s2
	s_cbranch_execz .LBB69_12
; %bb.11:
	s_lshl_b64 s[4:5], s[10:11], 2
	s_delay_alu instid0(SALU_CYCLE_1)
	s_add_u32 s4, s6, s4
	s_addc_u32 s5, s7, s5
	s_waitcnt lgkmcnt(0)
	global_store_b32 v1, v2, s[4:5]
.LBB69_12:
	s_or_b32 exec_lo, exec_lo, s3
	s_waitcnt lgkmcnt(0)
	v_cmp_ne_u32_e32 vcc_lo, 0, v2
	s_mov_b32 s3, 0
	s_cbranch_vccnz .LBB69_36
; %bb.13:
	v_add_nc_u32_e32 v32, 0, v31
                                        ; implicit-def: $vgpr9_vgpr10
	scratch_load_b128 v[1:4], v32, off
	s_waitcnt vmcnt(0)
	v_mov_b32_e32 v5, v1
	v_cmp_gt_f64_e32 vcc_lo, 0, v[1:2]
	v_xor_b32_e32 v6, 0x80000000, v2
	v_xor_b32_e32 v7, 0x80000000, v4
	s_delay_alu instid0(VALU_DEP_2) | instskip(SKIP_1) | instid1(VALU_DEP_3)
	v_cndmask_b32_e32 v6, v2, v6, vcc_lo
	v_cmp_gt_f64_e32 vcc_lo, 0, v[3:4]
	v_dual_cndmask_b32 v8, v4, v7 :: v_dual_mov_b32 v7, v3
	s_delay_alu instid0(VALU_DEP_1) | instskip(SKIP_1) | instid1(SALU_CYCLE_1)
	v_cmp_ngt_f64_e32 vcc_lo, v[5:6], v[7:8]
                                        ; implicit-def: $vgpr5_vgpr6
	s_and_saveexec_b32 s3, vcc_lo
	s_xor_b32 s3, exec_lo, s3
	s_cbranch_execz .LBB69_15
; %bb.14:
	v_div_scale_f64 v[5:6], null, v[3:4], v[3:4], v[1:2]
	v_div_scale_f64 v[11:12], vcc_lo, v[1:2], v[3:4], v[1:2]
	s_delay_alu instid0(VALU_DEP_2) | instskip(SKIP_2) | instid1(VALU_DEP_1)
	v_rcp_f64_e32 v[7:8], v[5:6]
	s_waitcnt_depctr 0xfff
	v_fma_f64 v[9:10], -v[5:6], v[7:8], 1.0
	v_fma_f64 v[7:8], v[7:8], v[9:10], v[7:8]
	s_delay_alu instid0(VALU_DEP_1) | instskip(NEXT) | instid1(VALU_DEP_1)
	v_fma_f64 v[9:10], -v[5:6], v[7:8], 1.0
	v_fma_f64 v[7:8], v[7:8], v[9:10], v[7:8]
	s_delay_alu instid0(VALU_DEP_1) | instskip(NEXT) | instid1(VALU_DEP_1)
	v_mul_f64 v[9:10], v[11:12], v[7:8]
	v_fma_f64 v[5:6], -v[5:6], v[9:10], v[11:12]
	s_delay_alu instid0(VALU_DEP_1) | instskip(NEXT) | instid1(VALU_DEP_1)
	v_div_fmas_f64 v[5:6], v[5:6], v[7:8], v[9:10]
	v_div_fixup_f64 v[5:6], v[5:6], v[3:4], v[1:2]
	s_delay_alu instid0(VALU_DEP_1) | instskip(NEXT) | instid1(VALU_DEP_1)
	v_fma_f64 v[1:2], v[1:2], v[5:6], v[3:4]
	v_div_scale_f64 v[3:4], null, v[1:2], v[1:2], 1.0
	v_div_scale_f64 v[11:12], vcc_lo, 1.0, v[1:2], 1.0
	s_delay_alu instid0(VALU_DEP_2) | instskip(SKIP_2) | instid1(VALU_DEP_1)
	v_rcp_f64_e32 v[7:8], v[3:4]
	s_waitcnt_depctr 0xfff
	v_fma_f64 v[9:10], -v[3:4], v[7:8], 1.0
	v_fma_f64 v[7:8], v[7:8], v[9:10], v[7:8]
	s_delay_alu instid0(VALU_DEP_1) | instskip(NEXT) | instid1(VALU_DEP_1)
	v_fma_f64 v[9:10], -v[3:4], v[7:8], 1.0
	v_fma_f64 v[7:8], v[7:8], v[9:10], v[7:8]
	s_delay_alu instid0(VALU_DEP_1) | instskip(NEXT) | instid1(VALU_DEP_1)
	v_mul_f64 v[9:10], v[11:12], v[7:8]
	v_fma_f64 v[3:4], -v[3:4], v[9:10], v[11:12]
	s_delay_alu instid0(VALU_DEP_1) | instskip(NEXT) | instid1(VALU_DEP_1)
	v_div_fmas_f64 v[3:4], v[3:4], v[7:8], v[9:10]
	v_div_fixup_f64 v[7:8], v[3:4], v[1:2], 1.0
                                        ; implicit-def: $vgpr1_vgpr2
	s_delay_alu instid0(VALU_DEP_1) | instskip(SKIP_1) | instid1(VALU_DEP_2)
	v_mul_f64 v[5:6], v[5:6], v[7:8]
	v_xor_b32_e32 v8, 0x80000000, v8
	v_xor_b32_e32 v10, 0x80000000, v6
	s_delay_alu instid0(VALU_DEP_3)
	v_mov_b32_e32 v9, v5
.LBB69_15:
	s_and_not1_saveexec_b32 s3, s3
	s_cbranch_execz .LBB69_17
; %bb.16:
	v_div_scale_f64 v[5:6], null, v[1:2], v[1:2], v[3:4]
	v_div_scale_f64 v[11:12], vcc_lo, v[3:4], v[1:2], v[3:4]
	s_delay_alu instid0(VALU_DEP_2) | instskip(SKIP_2) | instid1(VALU_DEP_1)
	v_rcp_f64_e32 v[7:8], v[5:6]
	s_waitcnt_depctr 0xfff
	v_fma_f64 v[9:10], -v[5:6], v[7:8], 1.0
	v_fma_f64 v[7:8], v[7:8], v[9:10], v[7:8]
	s_delay_alu instid0(VALU_DEP_1) | instskip(NEXT) | instid1(VALU_DEP_1)
	v_fma_f64 v[9:10], -v[5:6], v[7:8], 1.0
	v_fma_f64 v[7:8], v[7:8], v[9:10], v[7:8]
	s_delay_alu instid0(VALU_DEP_1) | instskip(NEXT) | instid1(VALU_DEP_1)
	v_mul_f64 v[9:10], v[11:12], v[7:8]
	v_fma_f64 v[5:6], -v[5:6], v[9:10], v[11:12]
	s_delay_alu instid0(VALU_DEP_1) | instskip(NEXT) | instid1(VALU_DEP_1)
	v_div_fmas_f64 v[5:6], v[5:6], v[7:8], v[9:10]
	v_div_fixup_f64 v[7:8], v[5:6], v[1:2], v[3:4]
	s_delay_alu instid0(VALU_DEP_1) | instskip(NEXT) | instid1(VALU_DEP_1)
	v_fma_f64 v[1:2], v[3:4], v[7:8], v[1:2]
	v_div_scale_f64 v[3:4], null, v[1:2], v[1:2], 1.0
	s_delay_alu instid0(VALU_DEP_1) | instskip(SKIP_2) | instid1(VALU_DEP_1)
	v_rcp_f64_e32 v[5:6], v[3:4]
	s_waitcnt_depctr 0xfff
	v_fma_f64 v[9:10], -v[3:4], v[5:6], 1.0
	v_fma_f64 v[5:6], v[5:6], v[9:10], v[5:6]
	s_delay_alu instid0(VALU_DEP_1) | instskip(NEXT) | instid1(VALU_DEP_1)
	v_fma_f64 v[9:10], -v[3:4], v[5:6], 1.0
	v_fma_f64 v[5:6], v[5:6], v[9:10], v[5:6]
	v_div_scale_f64 v[9:10], vcc_lo, 1.0, v[1:2], 1.0
	s_delay_alu instid0(VALU_DEP_1) | instskip(NEXT) | instid1(VALU_DEP_1)
	v_mul_f64 v[11:12], v[9:10], v[5:6]
	v_fma_f64 v[3:4], -v[3:4], v[11:12], v[9:10]
	s_delay_alu instid0(VALU_DEP_1) | instskip(NEXT) | instid1(VALU_DEP_1)
	v_div_fmas_f64 v[3:4], v[3:4], v[5:6], v[11:12]
	v_div_fixup_f64 v[5:6], v[3:4], v[1:2], 1.0
	s_delay_alu instid0(VALU_DEP_1)
	v_mul_f64 v[7:8], v[7:8], -v[5:6]
	v_xor_b32_e32 v10, 0x80000000, v6
	v_mov_b32_e32 v9, v5
.LBB69_17:
	s_or_b32 exec_lo, exec_lo, s3
	scratch_store_b128 v32, v[5:8], off
	scratch_load_b128 v[1:4], v27, off
	v_xor_b32_e32 v12, 0x80000000, v8
	v_mov_b32_e32 v11, v7
	v_add_nc_u32_e32 v5, 0x60, v31
	ds_store_b128 v31, v[9:12]
	s_waitcnt vmcnt(0)
	ds_store_b128 v31, v[1:4] offset:96
	s_waitcnt lgkmcnt(0)
	s_waitcnt_vscnt null, 0x0
	s_barrier
	buffer_gl0_inv
	s_and_saveexec_b32 s3, s2
	s_cbranch_execz .LBB69_19
; %bb.18:
	scratch_load_b128 v[1:4], v32, off
	ds_load_b128 v[6:9], v5
	v_mov_b32_e32 v10, 0
	ds_load_b128 v[33:36], v10 offset:16
	s_waitcnt vmcnt(0) lgkmcnt(1)
	v_mul_f64 v[10:11], v[6:7], v[3:4]
	v_mul_f64 v[3:4], v[8:9], v[3:4]
	s_delay_alu instid0(VALU_DEP_2) | instskip(NEXT) | instid1(VALU_DEP_2)
	v_fma_f64 v[8:9], v[8:9], v[1:2], v[10:11]
	v_fma_f64 v[1:2], v[6:7], v[1:2], -v[3:4]
	s_delay_alu instid0(VALU_DEP_2) | instskip(NEXT) | instid1(VALU_DEP_2)
	v_add_f64 v[3:4], v[8:9], 0
	v_add_f64 v[1:2], v[1:2], 0
	s_waitcnt lgkmcnt(0)
	s_delay_alu instid0(VALU_DEP_2) | instskip(NEXT) | instid1(VALU_DEP_2)
	v_mul_f64 v[6:7], v[3:4], v[35:36]
	v_mul_f64 v[8:9], v[1:2], v[35:36]
	s_delay_alu instid0(VALU_DEP_2) | instskip(NEXT) | instid1(VALU_DEP_2)
	v_fma_f64 v[1:2], v[1:2], v[33:34], -v[6:7]
	v_fma_f64 v[3:4], v[3:4], v[33:34], v[8:9]
	scratch_store_b128 off, v[1:4], off offset:16
.LBB69_19:
	s_or_b32 exec_lo, exec_lo, s3
	s_waitcnt_vscnt null, 0x0
	s_barrier
	buffer_gl0_inv
	scratch_load_b128 v[1:4], v29, off
	s_mov_b32 s3, exec_lo
	s_waitcnt vmcnt(0)
	ds_store_b128 v5, v[1:4]
	s_waitcnt lgkmcnt(0)
	s_barrier
	buffer_gl0_inv
	v_cmpx_gt_u32_e32 2, v25
	s_cbranch_execz .LBB69_23
; %bb.20:
	scratch_load_b128 v[1:4], v32, off
	ds_load_b128 v[6:9], v5
	s_waitcnt vmcnt(0) lgkmcnt(0)
	v_mul_f64 v[10:11], v[8:9], v[3:4]
	v_mul_f64 v[3:4], v[6:7], v[3:4]
	s_delay_alu instid0(VALU_DEP_2) | instskip(NEXT) | instid1(VALU_DEP_2)
	v_fma_f64 v[6:7], v[6:7], v[1:2], -v[10:11]
	v_fma_f64 v[3:4], v[8:9], v[1:2], v[3:4]
	s_delay_alu instid0(VALU_DEP_2) | instskip(NEXT) | instid1(VALU_DEP_2)
	v_add_f64 v[1:2], v[6:7], 0
	v_add_f64 v[3:4], v[3:4], 0
	s_and_saveexec_b32 s4, s2
	s_cbranch_execz .LBB69_22
; %bb.21:
	scratch_load_b128 v[6:9], off, off offset:16
	v_mov_b32_e32 v10, 0
	ds_load_b128 v[33:36], v10 offset:112
	s_waitcnt vmcnt(0) lgkmcnt(0)
	v_mul_f64 v[10:11], v[33:34], v[8:9]
	v_mul_f64 v[8:9], v[35:36], v[8:9]
	s_delay_alu instid0(VALU_DEP_2) | instskip(NEXT) | instid1(VALU_DEP_2)
	v_fma_f64 v[10:11], v[35:36], v[6:7], v[10:11]
	v_fma_f64 v[6:7], v[33:34], v[6:7], -v[8:9]
	s_delay_alu instid0(VALU_DEP_2) | instskip(NEXT) | instid1(VALU_DEP_2)
	v_add_f64 v[3:4], v[3:4], v[10:11]
	v_add_f64 v[1:2], v[1:2], v[6:7]
.LBB69_22:
	s_or_b32 exec_lo, exec_lo, s4
	v_mov_b32_e32 v6, 0
	ds_load_b128 v[6:9], v6 offset:32
	s_waitcnt lgkmcnt(0)
	v_mul_f64 v[10:11], v[3:4], v[8:9]
	v_mul_f64 v[8:9], v[1:2], v[8:9]
	s_delay_alu instid0(VALU_DEP_2) | instskip(NEXT) | instid1(VALU_DEP_2)
	v_fma_f64 v[1:2], v[1:2], v[6:7], -v[10:11]
	v_fma_f64 v[3:4], v[3:4], v[6:7], v[8:9]
	scratch_store_b128 off, v[1:4], off offset:32
.LBB69_23:
	s_or_b32 exec_lo, exec_lo, s3
	s_waitcnt_vscnt null, 0x0
	s_barrier
	buffer_gl0_inv
	scratch_load_b128 v[1:4], v26, off
	v_add_nc_u32_e32 v6, -1, v25
	s_mov_b32 s2, exec_lo
	s_waitcnt vmcnt(0)
	ds_store_b128 v5, v[1:4]
	s_waitcnt lgkmcnt(0)
	s_barrier
	buffer_gl0_inv
	v_cmpx_gt_u32_e32 3, v25
	s_cbranch_execz .LBB69_27
; %bb.24:
	v_dual_mov_b32 v1, 0 :: v_dual_add_nc_u32 v8, 0x60, v31
	v_dual_mov_b32 v2, 0 :: v_dual_add_nc_u32 v7, -1, v25
	v_or_b32_e32 v9, 8, v32
	s_mov_b32 s3, 0
	s_delay_alu instid0(VALU_DEP_2)
	v_dual_mov_b32 v4, v2 :: v_dual_mov_b32 v3, v1
	.p2align	6
.LBB69_25:                              ; =>This Inner Loop Header: Depth=1
	scratch_load_b128 v[33:36], v9, off offset:-8
	ds_load_b128 v[37:40], v8
	v_add_nc_u32_e32 v7, 1, v7
	v_add_nc_u32_e32 v8, 16, v8
	;; [unrolled: 1-line block ×3, first 2 shown]
	s_delay_alu instid0(VALU_DEP_3) | instskip(SKIP_4) | instid1(VALU_DEP_2)
	v_cmp_lt_u32_e32 vcc_lo, 1, v7
	s_or_b32 s3, vcc_lo, s3
	s_waitcnt vmcnt(0) lgkmcnt(0)
	v_mul_f64 v[10:11], v[39:40], v[35:36]
	v_mul_f64 v[35:36], v[37:38], v[35:36]
	v_fma_f64 v[10:11], v[37:38], v[33:34], -v[10:11]
	s_delay_alu instid0(VALU_DEP_2) | instskip(NEXT) | instid1(VALU_DEP_2)
	v_fma_f64 v[33:34], v[39:40], v[33:34], v[35:36]
	v_add_f64 v[3:4], v[3:4], v[10:11]
	s_delay_alu instid0(VALU_DEP_2)
	v_add_f64 v[1:2], v[1:2], v[33:34]
	s_and_not1_b32 exec_lo, exec_lo, s3
	s_cbranch_execnz .LBB69_25
; %bb.26:
	s_or_b32 exec_lo, exec_lo, s3
	v_mov_b32_e32 v7, 0
	ds_load_b128 v[7:10], v7 offset:48
	s_waitcnt lgkmcnt(0)
	v_mul_f64 v[11:12], v[1:2], v[9:10]
	v_mul_f64 v[33:34], v[3:4], v[9:10]
	s_delay_alu instid0(VALU_DEP_2) | instskip(NEXT) | instid1(VALU_DEP_2)
	v_fma_f64 v[9:10], v[3:4], v[7:8], -v[11:12]
	v_fma_f64 v[11:12], v[1:2], v[7:8], v[33:34]
	scratch_store_b128 off, v[9:12], off offset:48
.LBB69_27:
	s_or_b32 exec_lo, exec_lo, s2
	s_waitcnt_vscnt null, 0x0
	s_barrier
	buffer_gl0_inv
	scratch_load_b128 v[1:4], v30, off
	s_mov_b32 s2, exec_lo
	s_waitcnt vmcnt(0)
	ds_store_b128 v5, v[1:4]
	s_waitcnt lgkmcnt(0)
	s_barrier
	buffer_gl0_inv
	v_cmpx_gt_u32_e32 4, v25
	s_cbranch_execz .LBB69_31
; %bb.28:
	v_dual_mov_b32 v1, 0 :: v_dual_add_nc_u32 v8, 0x60, v31
	v_dual_mov_b32 v2, 0 :: v_dual_add_nc_u32 v7, -1, v25
	v_or_b32_e32 v9, 8, v32
	s_mov_b32 s3, 0
	s_delay_alu instid0(VALU_DEP_2)
	v_dual_mov_b32 v4, v2 :: v_dual_mov_b32 v3, v1
	.p2align	6
.LBB69_29:                              ; =>This Inner Loop Header: Depth=1
	scratch_load_b128 v[33:36], v9, off offset:-8
	ds_load_b128 v[37:40], v8
	v_add_nc_u32_e32 v7, 1, v7
	v_add_nc_u32_e32 v8, 16, v8
	;; [unrolled: 1-line block ×3, first 2 shown]
	s_delay_alu instid0(VALU_DEP_3) | instskip(SKIP_4) | instid1(VALU_DEP_2)
	v_cmp_lt_u32_e32 vcc_lo, 2, v7
	s_or_b32 s3, vcc_lo, s3
	s_waitcnt vmcnt(0) lgkmcnt(0)
	v_mul_f64 v[10:11], v[39:40], v[35:36]
	v_mul_f64 v[35:36], v[37:38], v[35:36]
	v_fma_f64 v[10:11], v[37:38], v[33:34], -v[10:11]
	s_delay_alu instid0(VALU_DEP_2) | instskip(NEXT) | instid1(VALU_DEP_2)
	v_fma_f64 v[33:34], v[39:40], v[33:34], v[35:36]
	v_add_f64 v[3:4], v[3:4], v[10:11]
	s_delay_alu instid0(VALU_DEP_2)
	v_add_f64 v[1:2], v[1:2], v[33:34]
	s_and_not1_b32 exec_lo, exec_lo, s3
	s_cbranch_execnz .LBB69_29
; %bb.30:
	s_or_b32 exec_lo, exec_lo, s3
	v_mov_b32_e32 v7, 0
	ds_load_b128 v[7:10], v7 offset:64
	s_waitcnt lgkmcnt(0)
	v_mul_f64 v[11:12], v[1:2], v[9:10]
	v_mul_f64 v[33:34], v[3:4], v[9:10]
	s_delay_alu instid0(VALU_DEP_2) | instskip(NEXT) | instid1(VALU_DEP_2)
	v_fma_f64 v[9:10], v[3:4], v[7:8], -v[11:12]
	v_fma_f64 v[11:12], v[1:2], v[7:8], v[33:34]
	scratch_store_b128 off, v[9:12], off offset:64
.LBB69_31:
	s_or_b32 exec_lo, exec_lo, s2
	s_waitcnt_vscnt null, 0x0
	s_barrier
	buffer_gl0_inv
	scratch_load_b128 v[1:4], v28, off
	s_mov_b32 s2, exec_lo
	s_waitcnt vmcnt(0)
	ds_store_b128 v5, v[1:4]
	s_waitcnt lgkmcnt(0)
	s_barrier
	buffer_gl0_inv
	v_cmpx_ne_u32_e32 5, v25
	s_cbranch_execz .LBB69_35
; %bb.32:
	v_mov_b32_e32 v1, 0
	v_mov_b32_e32 v2, 0
	v_or_b32_e32 v7, 8, v32
	s_mov_b32 s3, 0
	s_delay_alu instid0(VALU_DEP_2)
	v_dual_mov_b32 v4, v2 :: v_dual_mov_b32 v3, v1
	.p2align	6
.LBB69_33:                              ; =>This Inner Loop Header: Depth=1
	scratch_load_b128 v[8:11], v7, off offset:-8
	ds_load_b128 v[31:34], v5
	v_add_nc_u32_e32 v6, 1, v6
	v_add_nc_u32_e32 v5, 16, v5
	;; [unrolled: 1-line block ×3, first 2 shown]
	s_delay_alu instid0(VALU_DEP_3) | instskip(SKIP_4) | instid1(VALU_DEP_2)
	v_cmp_lt_u32_e32 vcc_lo, 3, v6
	s_or_b32 s3, vcc_lo, s3
	s_waitcnt vmcnt(0) lgkmcnt(0)
	v_mul_f64 v[35:36], v[33:34], v[10:11]
	v_mul_f64 v[10:11], v[31:32], v[10:11]
	v_fma_f64 v[31:32], v[31:32], v[8:9], -v[35:36]
	s_delay_alu instid0(VALU_DEP_2) | instskip(NEXT) | instid1(VALU_DEP_2)
	v_fma_f64 v[8:9], v[33:34], v[8:9], v[10:11]
	v_add_f64 v[3:4], v[3:4], v[31:32]
	s_delay_alu instid0(VALU_DEP_2)
	v_add_f64 v[1:2], v[1:2], v[8:9]
	s_and_not1_b32 exec_lo, exec_lo, s3
	s_cbranch_execnz .LBB69_33
; %bb.34:
	s_or_b32 exec_lo, exec_lo, s3
	v_mov_b32_e32 v5, 0
	ds_load_b128 v[5:8], v5 offset:80
	s_waitcnt lgkmcnt(0)
	v_mul_f64 v[9:10], v[1:2], v[7:8]
	v_mul_f64 v[7:8], v[3:4], v[7:8]
	s_delay_alu instid0(VALU_DEP_2) | instskip(NEXT) | instid1(VALU_DEP_2)
	v_fma_f64 v[3:4], v[3:4], v[5:6], -v[9:10]
	v_fma_f64 v[5:6], v[1:2], v[5:6], v[7:8]
	scratch_store_b128 off, v[3:6], off offset:80
.LBB69_35:
	s_or_b32 exec_lo, exec_lo, s2
	s_mov_b32 s3, -1
	s_waitcnt_vscnt null, 0x0
	s_barrier
	buffer_gl0_inv
.LBB69_36:
	s_and_b32 vcc_lo, exec_lo, s3
	s_cbranch_vccz .LBB69_38
; %bb.37:
	s_lshl_b64 s[2:3], s[10:11], 2
	v_mov_b32_e32 v1, 0
	s_add_u32 s2, s6, s2
	s_addc_u32 s3, s7, s3
	global_load_b32 v1, v1, s[2:3]
	s_waitcnt vmcnt(0)
	v_cmp_ne_u32_e32 vcc_lo, 0, v1
	s_cbranch_vccz .LBB69_39
.LBB69_38:
	s_endpgm
.LBB69_39:
	v_lshl_add_u32 v5, v25, 4, 0x60
	s_mov_b32 s2, exec_lo
	v_cmpx_eq_u32_e32 5, v25
	s_cbranch_execz .LBB69_41
; %bb.40:
	scratch_load_b128 v[1:4], v30, off
	v_mov_b32_e32 v6, 0
	s_delay_alu instid0(VALU_DEP_1)
	v_mov_b32_e32 v7, v6
	v_mov_b32_e32 v8, v6
	;; [unrolled: 1-line block ×3, first 2 shown]
	scratch_store_b128 off, v[6:9], off offset:64
	s_waitcnt vmcnt(0)
	ds_store_b128 v5, v[1:4]
.LBB69_41:
	s_or_b32 exec_lo, exec_lo, s2
	s_waitcnt lgkmcnt(0)
	s_waitcnt_vscnt null, 0x0
	s_barrier
	buffer_gl0_inv
	s_clause 0x1
	scratch_load_b128 v[6:9], off, off offset:80
	scratch_load_b128 v[31:34], off, off offset:64
	v_mov_b32_e32 v1, 0
	s_mov_b32 s2, exec_lo
	ds_load_b128 v[35:38], v1 offset:176
	s_waitcnt vmcnt(1) lgkmcnt(0)
	v_mul_f64 v[2:3], v[37:38], v[8:9]
	v_mul_f64 v[8:9], v[35:36], v[8:9]
	s_delay_alu instid0(VALU_DEP_2) | instskip(NEXT) | instid1(VALU_DEP_2)
	v_fma_f64 v[2:3], v[35:36], v[6:7], -v[2:3]
	v_fma_f64 v[6:7], v[37:38], v[6:7], v[8:9]
	s_delay_alu instid0(VALU_DEP_2) | instskip(NEXT) | instid1(VALU_DEP_2)
	v_add_f64 v[2:3], v[2:3], 0
	v_add_f64 v[8:9], v[6:7], 0
	s_waitcnt vmcnt(0)
	s_delay_alu instid0(VALU_DEP_2) | instskip(NEXT) | instid1(VALU_DEP_2)
	v_add_f64 v[6:7], v[31:32], -v[2:3]
	v_add_f64 v[8:9], v[33:34], -v[8:9]
	scratch_store_b128 off, v[6:9], off offset:64
	v_cmpx_lt_u32_e32 3, v25
	s_cbranch_execz .LBB69_43
; %bb.42:
	scratch_load_b128 v[6:9], v26, off
	v_mov_b32_e32 v2, v1
	v_mov_b32_e32 v3, v1
	;; [unrolled: 1-line block ×3, first 2 shown]
	scratch_store_b128 off, v[1:4], off offset:48
	s_waitcnt vmcnt(0)
	ds_store_b128 v5, v[6:9]
.LBB69_43:
	s_or_b32 exec_lo, exec_lo, s2
	s_waitcnt lgkmcnt(0)
	s_waitcnt_vscnt null, 0x0
	s_barrier
	buffer_gl0_inv
	s_clause 0x2
	scratch_load_b128 v[6:9], off, off offset:64
	scratch_load_b128 v[31:34], off, off offset:80
	;; [unrolled: 1-line block ×3, first 2 shown]
	ds_load_b128 v[39:42], v1 offset:160
	ds_load_b128 v[1:4], v1 offset:176
	s_mov_b32 s2, exec_lo
	s_waitcnt vmcnt(2) lgkmcnt(1)
	v_mul_f64 v[10:11], v[41:42], v[8:9]
	v_mul_f64 v[8:9], v[39:40], v[8:9]
	s_waitcnt vmcnt(1) lgkmcnt(0)
	v_mul_f64 v[43:44], v[1:2], v[33:34]
	v_mul_f64 v[33:34], v[3:4], v[33:34]
	s_delay_alu instid0(VALU_DEP_4) | instskip(NEXT) | instid1(VALU_DEP_4)
	v_fma_f64 v[10:11], v[39:40], v[6:7], -v[10:11]
	v_fma_f64 v[6:7], v[41:42], v[6:7], v[8:9]
	s_delay_alu instid0(VALU_DEP_4) | instskip(NEXT) | instid1(VALU_DEP_4)
	v_fma_f64 v[3:4], v[3:4], v[31:32], v[43:44]
	v_fma_f64 v[1:2], v[1:2], v[31:32], -v[33:34]
	s_delay_alu instid0(VALU_DEP_4) | instskip(NEXT) | instid1(VALU_DEP_4)
	v_add_f64 v[8:9], v[10:11], 0
	v_add_f64 v[6:7], v[6:7], 0
	s_delay_alu instid0(VALU_DEP_2) | instskip(NEXT) | instid1(VALU_DEP_2)
	v_add_f64 v[1:2], v[8:9], v[1:2]
	v_add_f64 v[3:4], v[6:7], v[3:4]
	s_waitcnt vmcnt(0)
	s_delay_alu instid0(VALU_DEP_2) | instskip(NEXT) | instid1(VALU_DEP_2)
	v_add_f64 v[1:2], v[35:36], -v[1:2]
	v_add_f64 v[3:4], v[37:38], -v[3:4]
	scratch_store_b128 off, v[1:4], off offset:48
	v_cmpx_lt_u32_e32 2, v25
	s_cbranch_execz .LBB69_45
; %bb.44:
	scratch_load_b128 v[1:4], v29, off
	v_mov_b32_e32 v6, 0
	s_delay_alu instid0(VALU_DEP_1)
	v_mov_b32_e32 v7, v6
	v_mov_b32_e32 v8, v6
	;; [unrolled: 1-line block ×3, first 2 shown]
	scratch_store_b128 off, v[6:9], off offset:32
	s_waitcnt vmcnt(0)
	ds_store_b128 v5, v[1:4]
.LBB69_45:
	s_or_b32 exec_lo, exec_lo, s2
	s_waitcnt lgkmcnt(0)
	s_waitcnt_vscnt null, 0x0
	s_barrier
	buffer_gl0_inv
	s_clause 0x3
	scratch_load_b128 v[6:9], off, off offset:48
	scratch_load_b128 v[31:34], off, off offset:64
	;; [unrolled: 1-line block ×4, first 2 shown]
	v_mov_b32_e32 v1, 0
	ds_load_b128 v[43:46], v1 offset:144
	ds_load_b128 v[47:50], v1 offset:160
	s_mov_b32 s2, exec_lo
	s_waitcnt vmcnt(3) lgkmcnt(1)
	v_mul_f64 v[2:3], v[45:46], v[8:9]
	v_mul_f64 v[8:9], v[43:44], v[8:9]
	s_waitcnt vmcnt(2) lgkmcnt(0)
	v_mul_f64 v[10:11], v[47:48], v[33:34]
	v_mul_f64 v[33:34], v[49:50], v[33:34]
	s_delay_alu instid0(VALU_DEP_4) | instskip(NEXT) | instid1(VALU_DEP_4)
	v_fma_f64 v[2:3], v[43:44], v[6:7], -v[2:3]
	v_fma_f64 v[43:44], v[45:46], v[6:7], v[8:9]
	ds_load_b128 v[6:9], v1 offset:176
	v_fma_f64 v[10:11], v[49:50], v[31:32], v[10:11]
	v_fma_f64 v[31:32], v[47:48], v[31:32], -v[33:34]
	s_waitcnt vmcnt(1) lgkmcnt(0)
	v_mul_f64 v[45:46], v[6:7], v[37:38]
	v_mul_f64 v[37:38], v[8:9], v[37:38]
	v_add_f64 v[2:3], v[2:3], 0
	v_add_f64 v[33:34], v[43:44], 0
	s_delay_alu instid0(VALU_DEP_4) | instskip(NEXT) | instid1(VALU_DEP_4)
	v_fma_f64 v[8:9], v[8:9], v[35:36], v[45:46]
	v_fma_f64 v[6:7], v[6:7], v[35:36], -v[37:38]
	s_delay_alu instid0(VALU_DEP_4) | instskip(NEXT) | instid1(VALU_DEP_4)
	v_add_f64 v[2:3], v[2:3], v[31:32]
	v_add_f64 v[10:11], v[33:34], v[10:11]
	s_delay_alu instid0(VALU_DEP_2) | instskip(NEXT) | instid1(VALU_DEP_2)
	v_add_f64 v[2:3], v[2:3], v[6:7]
	v_add_f64 v[8:9], v[10:11], v[8:9]
	s_waitcnt vmcnt(0)
	s_delay_alu instid0(VALU_DEP_2) | instskip(NEXT) | instid1(VALU_DEP_2)
	v_add_f64 v[6:7], v[39:40], -v[2:3]
	v_add_f64 v[8:9], v[41:42], -v[8:9]
	scratch_store_b128 off, v[6:9], off offset:32
	v_cmpx_lt_u32_e32 1, v25
	s_cbranch_execz .LBB69_47
; %bb.46:
	scratch_load_b128 v[6:9], v27, off
	v_mov_b32_e32 v2, v1
	v_mov_b32_e32 v3, v1
	;; [unrolled: 1-line block ×3, first 2 shown]
	scratch_store_b128 off, v[1:4], off offset:16
	s_waitcnt vmcnt(0)
	ds_store_b128 v5, v[6:9]
.LBB69_47:
	s_or_b32 exec_lo, exec_lo, s2
	s_waitcnt lgkmcnt(0)
	s_waitcnt_vscnt null, 0x0
	s_barrier
	buffer_gl0_inv
	s_clause 0x4
	scratch_load_b128 v[6:9], off, off offset:32
	scratch_load_b128 v[31:34], off, off offset:48
	;; [unrolled: 1-line block ×5, first 2 shown]
	ds_load_b128 v[47:50], v1 offset:128
	ds_load_b128 v[51:54], v1 offset:144
	s_mov_b32 s2, exec_lo
	s_waitcnt vmcnt(4) lgkmcnt(1)
	v_mul_f64 v[2:3], v[49:50], v[8:9]
	v_mul_f64 v[8:9], v[47:48], v[8:9]
	s_waitcnt vmcnt(3) lgkmcnt(0)
	v_mul_f64 v[10:11], v[51:52], v[33:34]
	v_mul_f64 v[33:34], v[53:54], v[33:34]
	s_delay_alu instid0(VALU_DEP_4) | instskip(NEXT) | instid1(VALU_DEP_4)
	v_fma_f64 v[47:48], v[47:48], v[6:7], -v[2:3]
	v_fma_f64 v[49:50], v[49:50], v[6:7], v[8:9]
	ds_load_b128 v[6:9], v1 offset:160
	ds_load_b128 v[1:4], v1 offset:176
	v_fma_f64 v[10:11], v[53:54], v[31:32], v[10:11]
	v_fma_f64 v[31:32], v[51:52], v[31:32], -v[33:34]
	s_waitcnt vmcnt(2) lgkmcnt(1)
	v_mul_f64 v[55:56], v[6:7], v[37:38]
	v_mul_f64 v[37:38], v[8:9], v[37:38]
	v_add_f64 v[33:34], v[47:48], 0
	v_add_f64 v[47:48], v[49:50], 0
	s_waitcnt vmcnt(1) lgkmcnt(0)
	v_mul_f64 v[49:50], v[1:2], v[41:42]
	v_mul_f64 v[41:42], v[3:4], v[41:42]
	v_fma_f64 v[8:9], v[8:9], v[35:36], v[55:56]
	v_fma_f64 v[6:7], v[6:7], v[35:36], -v[37:38]
	v_add_f64 v[31:32], v[33:34], v[31:32]
	v_add_f64 v[10:11], v[47:48], v[10:11]
	v_fma_f64 v[3:4], v[3:4], v[39:40], v[49:50]
	v_fma_f64 v[1:2], v[1:2], v[39:40], -v[41:42]
	s_delay_alu instid0(VALU_DEP_4) | instskip(NEXT) | instid1(VALU_DEP_4)
	v_add_f64 v[6:7], v[31:32], v[6:7]
	v_add_f64 v[8:9], v[10:11], v[8:9]
	s_delay_alu instid0(VALU_DEP_2) | instskip(NEXT) | instid1(VALU_DEP_2)
	v_add_f64 v[1:2], v[6:7], v[1:2]
	v_add_f64 v[3:4], v[8:9], v[3:4]
	s_waitcnt vmcnt(0)
	s_delay_alu instid0(VALU_DEP_2) | instskip(NEXT) | instid1(VALU_DEP_2)
	v_add_f64 v[1:2], v[43:44], -v[1:2]
	v_add_f64 v[3:4], v[45:46], -v[3:4]
	scratch_store_b128 off, v[1:4], off offset:16
	v_cmpx_ne_u32_e32 0, v25
	s_cbranch_execz .LBB69_49
; %bb.48:
	scratch_load_b128 v[1:4], off, off
	v_mov_b32_e32 v6, 0
	s_delay_alu instid0(VALU_DEP_1)
	v_mov_b32_e32 v7, v6
	v_mov_b32_e32 v8, v6
	;; [unrolled: 1-line block ×3, first 2 shown]
	scratch_store_b128 off, v[6:9], off
	s_waitcnt vmcnt(0)
	ds_store_b128 v5, v[1:4]
.LBB69_49:
	s_or_b32 exec_lo, exec_lo, s2
	s_waitcnt lgkmcnt(0)
	s_waitcnt_vscnt null, 0x0
	s_barrier
	buffer_gl0_inv
	s_clause 0x5
	scratch_load_b128 v[1:4], off, off offset:16
	scratch_load_b128 v[5:8], off, off offset:32
	;; [unrolled: 1-line block ×5, first 2 shown]
	scratch_load_b128 v[39:42], off, off
	v_mov_b32_e32 v59, 0
	ds_load_b128 v[43:46], v59 offset:112
	ds_load_b128 v[47:50], v59 offset:128
	s_and_b32 vcc_lo, exec_lo, s14
	s_waitcnt vmcnt(5) lgkmcnt(1)
	v_mul_f64 v[51:52], v[45:46], v[3:4]
	v_mul_f64 v[3:4], v[43:44], v[3:4]
	s_waitcnt vmcnt(4) lgkmcnt(0)
	v_mul_f64 v[53:54], v[47:48], v[7:8]
	v_mul_f64 v[7:8], v[49:50], v[7:8]
	s_delay_alu instid0(VALU_DEP_4) | instskip(NEXT) | instid1(VALU_DEP_4)
	v_fma_f64 v[51:52], v[43:44], v[1:2], -v[51:52]
	v_fma_f64 v[55:56], v[45:46], v[1:2], v[3:4]
	ds_load_b128 v[1:4], v59 offset:144
	ds_load_b128 v[43:46], v59 offset:160
	v_fma_f64 v[49:50], v[49:50], v[5:6], v[53:54]
	v_fma_f64 v[5:6], v[47:48], v[5:6], -v[7:8]
	s_waitcnt vmcnt(3) lgkmcnt(1)
	v_mul_f64 v[57:58], v[1:2], v[11:12]
	v_mul_f64 v[11:12], v[3:4], v[11:12]
	v_add_f64 v[7:8], v[51:52], 0
	v_add_f64 v[47:48], v[55:56], 0
	s_waitcnt vmcnt(2) lgkmcnt(0)
	v_mul_f64 v[51:52], v[43:44], v[33:34]
	v_mul_f64 v[33:34], v[45:46], v[33:34]
	v_fma_f64 v[53:54], v[3:4], v[9:10], v[57:58]
	v_fma_f64 v[9:10], v[1:2], v[9:10], -v[11:12]
	ds_load_b128 v[1:4], v59 offset:176
	v_add_f64 v[5:6], v[7:8], v[5:6]
	v_add_f64 v[7:8], v[47:48], v[49:50]
	v_fma_f64 v[45:46], v[45:46], v[31:32], v[51:52]
	v_fma_f64 v[31:32], v[43:44], v[31:32], -v[33:34]
	s_waitcnt vmcnt(1) lgkmcnt(0)
	v_mul_f64 v[11:12], v[1:2], v[37:38]
	v_mul_f64 v[37:38], v[3:4], v[37:38]
	v_add_f64 v[5:6], v[5:6], v[9:10]
	v_add_f64 v[7:8], v[7:8], v[53:54]
	s_delay_alu instid0(VALU_DEP_4) | instskip(NEXT) | instid1(VALU_DEP_4)
	v_fma_f64 v[3:4], v[3:4], v[35:36], v[11:12]
	v_fma_f64 v[1:2], v[1:2], v[35:36], -v[37:38]
	s_delay_alu instid0(VALU_DEP_4) | instskip(NEXT) | instid1(VALU_DEP_4)
	v_add_f64 v[5:6], v[5:6], v[31:32]
	v_add_f64 v[7:8], v[7:8], v[45:46]
	s_delay_alu instid0(VALU_DEP_2) | instskip(NEXT) | instid1(VALU_DEP_2)
	v_add_f64 v[1:2], v[5:6], v[1:2]
	v_add_f64 v[3:4], v[7:8], v[3:4]
	s_waitcnt vmcnt(0)
	s_delay_alu instid0(VALU_DEP_2) | instskip(NEXT) | instid1(VALU_DEP_2)
	v_add_f64 v[1:2], v[39:40], -v[1:2]
	v_add_f64 v[3:4], v[41:42], -v[3:4]
	scratch_store_b128 off, v[1:4], off
	s_cbranch_vccz .LBB69_61
; %bb.50:
	v_dual_mov_b32 v1, s8 :: v_dual_mov_b32 v2, s9
	s_load_b64 s[0:1], s[0:1], 0x4
	flat_load_b32 v1, v[1:2] offset:16
	v_bfe_u32 v2, v0, 10, 10
	v_bfe_u32 v0, v0, 20, 10
	s_waitcnt lgkmcnt(0)
	s_lshr_b32 s0, s0, 16
	s_delay_alu instid0(VALU_DEP_2) | instskip(SKIP_1) | instid1(SALU_CYCLE_1)
	v_mul_u32_u24_e32 v2, s1, v2
	s_mul_i32 s0, s0, s1
	v_mul_u32_u24_e32 v3, s0, v25
	s_mov_b32 s0, exec_lo
	s_delay_alu instid0(VALU_DEP_1) | instskip(NEXT) | instid1(VALU_DEP_1)
	v_add3_u32 v0, v3, v2, v0
	v_lshl_add_u32 v0, v0, 4, 0xc8
	s_waitcnt vmcnt(0)
	v_cmpx_ne_u32_e32 5, v1
	s_cbranch_execz .LBB69_52
; %bb.51:
	v_lshl_add_u32 v9, v1, 4, 0
	s_clause 0x1
	scratch_load_b128 v[1:4], v30, off
	scratch_load_b128 v[5:8], v9, off offset:-16
	s_waitcnt vmcnt(1)
	ds_store_2addr_b64 v0, v[1:2], v[3:4] offset1:1
	s_waitcnt vmcnt(0)
	s_clause 0x1
	scratch_store_b128 v30, v[5:8], off
	scratch_store_b128 v9, v[1:4], off offset:-16
.LBB69_52:
	s_or_b32 exec_lo, exec_lo, s0
	v_dual_mov_b32 v1, s8 :: v_dual_mov_b32 v2, s9
	s_mov_b32 s0, exec_lo
	flat_load_b32 v1, v[1:2] offset:12
	s_waitcnt vmcnt(0) lgkmcnt(0)
	v_cmpx_ne_u32_e32 4, v1
	s_cbranch_execz .LBB69_54
; %bb.53:
	v_lshl_add_u32 v9, v1, 4, 0
	s_clause 0x1
	scratch_load_b128 v[1:4], v26, off
	scratch_load_b128 v[5:8], v9, off offset:-16
	s_waitcnt vmcnt(1)
	ds_store_2addr_b64 v0, v[1:2], v[3:4] offset1:1
	s_waitcnt vmcnt(0)
	s_clause 0x1
	scratch_store_b128 v26, v[5:8], off
	scratch_store_b128 v9, v[1:4], off offset:-16
.LBB69_54:
	s_or_b32 exec_lo, exec_lo, s0
	v_dual_mov_b32 v1, s8 :: v_dual_mov_b32 v2, s9
	s_mov_b32 s0, exec_lo
	flat_load_b32 v1, v[1:2] offset:8
	s_waitcnt vmcnt(0) lgkmcnt(0)
	;; [unrolled: 19-line block ×3, first 2 shown]
	v_cmpx_ne_u32_e32 2, v1
	s_cbranch_execz .LBB69_58
; %bb.57:
	v_lshl_add_u32 v9, v1, 4, 0
	s_clause 0x1
	scratch_load_b128 v[1:4], v27, off
	scratch_load_b128 v[5:8], v9, off offset:-16
	s_waitcnt vmcnt(1)
	ds_store_2addr_b64 v0, v[1:2], v[3:4] offset1:1
	s_waitcnt vmcnt(0)
	s_clause 0x1
	scratch_store_b128 v27, v[5:8], off
	scratch_store_b128 v9, v[1:4], off offset:-16
.LBB69_58:
	s_or_b32 exec_lo, exec_lo, s0
	v_dual_mov_b32 v1, s8 :: v_dual_mov_b32 v2, s9
	s_mov_b32 s0, exec_lo
	flat_load_b32 v1, v[1:2]
	s_waitcnt vmcnt(0) lgkmcnt(0)
	v_cmpx_ne_u32_e32 1, v1
	s_cbranch_execz .LBB69_60
; %bb.59:
	v_lshl_add_u32 v9, v1, 4, 0
	scratch_load_b128 v[1:4], off, off
	scratch_load_b128 v[5:8], v9, off offset:-16
	s_waitcnt vmcnt(1)
	ds_store_2addr_b64 v0, v[1:2], v[3:4] offset1:1
	s_waitcnt vmcnt(0)
	scratch_store_b128 off, v[5:8], off
	scratch_store_b128 v9, v[1:4], off offset:-16
.LBB69_60:
	s_or_b32 exec_lo, exec_lo, s0
.LBB69_61:
	scratch_load_b128 v[0:3], off, off
	s_clause 0x4
	scratch_load_b128 v[4:7], v27, off
	scratch_load_b128 v[8:11], v29, off
	;; [unrolled: 1-line block ×5, first 2 shown]
	s_waitcnt vmcnt(5)
	global_store_b128 v[13:14], v[0:3], off
	s_waitcnt vmcnt(4)
	global_store_b128 v[15:16], v[4:7], off
	;; [unrolled: 2-line block ×6, first 2 shown]
	s_endpgm
	.section	.rodata,"a",@progbits
	.p2align	6, 0x0
	.amdhsa_kernel _ZN9rocsolver6v33100L18getri_kernel_smallILi6E19rocblas_complex_numIdEPKPS3_EEvT1_iilPiilS8_bb
		.amdhsa_group_segment_fixed_size 1224
		.amdhsa_private_segment_fixed_size 112
		.amdhsa_kernarg_size 60
		.amdhsa_user_sgpr_count 15
		.amdhsa_user_sgpr_dispatch_ptr 1
		.amdhsa_user_sgpr_queue_ptr 0
		.amdhsa_user_sgpr_kernarg_segment_ptr 1
		.amdhsa_user_sgpr_dispatch_id 0
		.amdhsa_user_sgpr_private_segment_size 0
		.amdhsa_wavefront_size32 1
		.amdhsa_uses_dynamic_stack 0
		.amdhsa_enable_private_segment 1
		.amdhsa_system_sgpr_workgroup_id_x 1
		.amdhsa_system_sgpr_workgroup_id_y 0
		.amdhsa_system_sgpr_workgroup_id_z 0
		.amdhsa_system_sgpr_workgroup_info 0
		.amdhsa_system_vgpr_workitem_id 2
		.amdhsa_next_free_vgpr 60
		.amdhsa_next_free_sgpr 19
		.amdhsa_reserve_vcc 1
		.amdhsa_float_round_mode_32 0
		.amdhsa_float_round_mode_16_64 0
		.amdhsa_float_denorm_mode_32 3
		.amdhsa_float_denorm_mode_16_64 3
		.amdhsa_dx10_clamp 1
		.amdhsa_ieee_mode 1
		.amdhsa_fp16_overflow 0
		.amdhsa_workgroup_processor_mode 1
		.amdhsa_memory_ordered 1
		.amdhsa_forward_progress 0
		.amdhsa_shared_vgpr_count 0
		.amdhsa_exception_fp_ieee_invalid_op 0
		.amdhsa_exception_fp_denorm_src 0
		.amdhsa_exception_fp_ieee_div_zero 0
		.amdhsa_exception_fp_ieee_overflow 0
		.amdhsa_exception_fp_ieee_underflow 0
		.amdhsa_exception_fp_ieee_inexact 0
		.amdhsa_exception_int_div_zero 0
	.end_amdhsa_kernel
	.section	.text._ZN9rocsolver6v33100L18getri_kernel_smallILi6E19rocblas_complex_numIdEPKPS3_EEvT1_iilPiilS8_bb,"axG",@progbits,_ZN9rocsolver6v33100L18getri_kernel_smallILi6E19rocblas_complex_numIdEPKPS3_EEvT1_iilPiilS8_bb,comdat
.Lfunc_end69:
	.size	_ZN9rocsolver6v33100L18getri_kernel_smallILi6E19rocblas_complex_numIdEPKPS3_EEvT1_iilPiilS8_bb, .Lfunc_end69-_ZN9rocsolver6v33100L18getri_kernel_smallILi6E19rocblas_complex_numIdEPKPS3_EEvT1_iilPiilS8_bb
                                        ; -- End function
	.section	.AMDGPU.csdata,"",@progbits
; Kernel info:
; codeLenInByte = 5328
; NumSgprs: 21
; NumVgprs: 60
; ScratchSize: 112
; MemoryBound: 0
; FloatMode: 240
; IeeeMode: 1
; LDSByteSize: 1224 bytes/workgroup (compile time only)
; SGPRBlocks: 2
; VGPRBlocks: 7
; NumSGPRsForWavesPerEU: 21
; NumVGPRsForWavesPerEU: 60
; Occupancy: 16
; WaveLimiterHint : 1
; COMPUTE_PGM_RSRC2:SCRATCH_EN: 1
; COMPUTE_PGM_RSRC2:USER_SGPR: 15
; COMPUTE_PGM_RSRC2:TRAP_HANDLER: 0
; COMPUTE_PGM_RSRC2:TGID_X_EN: 1
; COMPUTE_PGM_RSRC2:TGID_Y_EN: 0
; COMPUTE_PGM_RSRC2:TGID_Z_EN: 0
; COMPUTE_PGM_RSRC2:TIDIG_COMP_CNT: 2
	.section	.text._ZN9rocsolver6v33100L18getri_kernel_smallILi7E19rocblas_complex_numIdEPKPS3_EEvT1_iilPiilS8_bb,"axG",@progbits,_ZN9rocsolver6v33100L18getri_kernel_smallILi7E19rocblas_complex_numIdEPKPS3_EEvT1_iilPiilS8_bb,comdat
	.globl	_ZN9rocsolver6v33100L18getri_kernel_smallILi7E19rocblas_complex_numIdEPKPS3_EEvT1_iilPiilS8_bb ; -- Begin function _ZN9rocsolver6v33100L18getri_kernel_smallILi7E19rocblas_complex_numIdEPKPS3_EEvT1_iilPiilS8_bb
	.p2align	8
	.type	_ZN9rocsolver6v33100L18getri_kernel_smallILi7E19rocblas_complex_numIdEPKPS3_EEvT1_iilPiilS8_bb,@function
_ZN9rocsolver6v33100L18getri_kernel_smallILi7E19rocblas_complex_numIdEPKPS3_EEvT1_iilPiilS8_bb: ; @_ZN9rocsolver6v33100L18getri_kernel_smallILi7E19rocblas_complex_numIdEPKPS3_EEvT1_iilPiilS8_bb
; %bb.0:
	v_and_b32_e32 v27, 0x3ff, v0
	s_mov_b32 s4, exec_lo
	s_delay_alu instid0(VALU_DEP_1)
	v_cmpx_gt_u32_e32 7, v27
	s_cbranch_execz .LBB70_42
; %bb.1:
	s_mov_b32 s10, s15
	s_clause 0x2
	s_load_b32 s15, s[2:3], 0x38
	s_load_b64 s[8:9], s[2:3], 0x0
	s_load_b128 s[4:7], s[2:3], 0x28
	s_waitcnt lgkmcnt(0)
	s_bitcmp1_b32 s15, 8
	s_cselect_b32 s14, -1, 0
	s_ashr_i32 s11, s10, 31
	s_delay_alu instid0(SALU_CYCLE_1) | instskip(NEXT) | instid1(SALU_CYCLE_1)
	s_lshl_b64 s[12:13], s[10:11], 3
	s_add_u32 s8, s8, s12
	s_addc_u32 s9, s9, s13
	s_load_b64 s[12:13], s[8:9], 0x0
	s_bfe_u32 s8, s15, 0x10008
	s_delay_alu instid0(SALU_CYCLE_1)
	s_cmp_eq_u32 s8, 0
                                        ; implicit-def: $sgpr8_sgpr9
	s_cbranch_scc1 .LBB70_3
; %bb.2:
	s_clause 0x1
	s_load_b32 s8, s[2:3], 0x20
	s_load_b64 s[16:17], s[2:3], 0x18
	s_mul_i32 s5, s10, s5
	s_mul_hi_u32 s9, s10, s4
	s_mul_i32 s18, s11, s4
	s_add_i32 s5, s9, s5
	s_mul_i32 s4, s10, s4
	s_add_i32 s5, s5, s18
	s_delay_alu instid0(SALU_CYCLE_1)
	s_lshl_b64 s[4:5], s[4:5], 2
	s_waitcnt lgkmcnt(0)
	s_ashr_i32 s9, s8, 31
	s_add_u32 s16, s16, s4
	s_addc_u32 s17, s17, s5
	s_lshl_b64 s[4:5], s[8:9], 2
	s_delay_alu instid0(SALU_CYCLE_1)
	s_add_u32 s8, s16, s4
	s_addc_u32 s9, s17, s5
.LBB70_3:
	s_load_b64 s[2:3], s[2:3], 0x8
	v_lshlrev_b32_e32 v34, 4, v27
	v_add_nc_u32_e64 v32, 0, 32
	v_add_nc_u32_e64 v31, 0, 64
	s_waitcnt lgkmcnt(0)
	v_add3_u32 v5, s3, s3, v27
	s_ashr_i32 s5, s2, 31
	s_mov_b32 s4, s2
	s_mov_b32 s16, s3
	s_lshl_b64 s[4:5], s[4:5], 4
	v_add_nc_u32_e32 v7, s3, v5
	v_ashrrev_i32_e32 v6, 31, v5
	s_add_u32 s4, s12, s4
	s_addc_u32 s5, s13, s5
	v_add_co_u32 v13, s2, s4, v34
	v_add_nc_u32_e32 v9, s3, v7
	v_ashrrev_i32_e32 v8, 31, v7
	s_ashr_i32 s17, s3, 31
	v_add_co_ci_u32_e64 v14, null, s5, 0, s2
	s_delay_alu instid0(VALU_DEP_3)
	v_add_nc_u32_e32 v21, s3, v9
	v_lshlrev_b64 v[5:6], 4, v[5:6]
	s_lshl_b64 s[12:13], s[16:17], 4
	v_ashrrev_i32_e32 v10, 31, v9
	v_add_co_u32 v15, vcc_lo, v13, s12
	v_add_nc_u32_e32 v25, s3, v21
	v_lshlrev_b64 v[7:8], 4, v[7:8]
	v_ashrrev_i32_e32 v22, 31, v21
	v_add_co_ci_u32_e32 v16, vcc_lo, s13, v14, vcc_lo
	v_add_co_u32 v17, vcc_lo, s4, v5
	v_lshlrev_b64 v[23:24], 4, v[9:10]
	v_ashrrev_i32_e32 v26, 31, v25
	v_add_co_ci_u32_e32 v18, vcc_lo, s5, v6, vcc_lo
	v_add_co_u32 v19, vcc_lo, s4, v7
	v_lshlrev_b64 v[28:29], 4, v[21:22]
	v_add_co_ci_u32_e32 v20, vcc_lo, s5, v8, vcc_lo
	v_add_co_u32 v21, vcc_lo, s4, v23
	v_lshlrev_b64 v[25:26], 4, v[25:26]
	v_add_co_ci_u32_e32 v22, vcc_lo, s5, v24, vcc_lo
	v_add_co_u32 v23, vcc_lo, s4, v28
	v_add_co_ci_u32_e32 v24, vcc_lo, s5, v29, vcc_lo
	s_delay_alu instid0(VALU_DEP_4)
	v_add_co_u32 v25, vcc_lo, s4, v25
	v_add_co_ci_u32_e32 v26, vcc_lo, s5, v26, vcc_lo
	s_clause 0x6
	global_load_b128 v[1:4], v34, s[4:5]
	global_load_b128 v[5:8], v[15:16], off
	global_load_b128 v[9:12], v[17:18], off
	;; [unrolled: 1-line block ×6, first 2 shown]
	s_movk_i32 s2, 0x50
	s_movk_i32 s3, 0x60
	v_add_nc_u32_e64 v29, 0, 16
	v_add_nc_u32_e64 v28, 0, 48
	;; [unrolled: 1-line block ×4, first 2 shown]
	s_bitcmp0_b32 s15, 0
	s_mov_b32 s3, -1
	s_waitcnt vmcnt(6)
	scratch_store_b128 off, v[1:4], off
	s_waitcnt vmcnt(5)
	scratch_store_b128 off, v[5:8], off offset:16
	s_waitcnt vmcnt(4)
	scratch_store_b128 off, v[9:12], off offset:32
	;; [unrolled: 2-line block ×6, first 2 shown]
	s_cbranch_scc1 .LBB70_40
; %bb.4:
	v_cmp_eq_u32_e64 s2, 0, v27
	s_delay_alu instid0(VALU_DEP_1)
	s_and_saveexec_b32 s3, s2
	s_cbranch_execz .LBB70_6
; %bb.5:
	v_mov_b32_e32 v1, 0
	ds_store_b32 v1, v1 offset:224
.LBB70_6:
	s_or_b32 exec_lo, exec_lo, s3
	s_waitcnt lgkmcnt(0)
	s_waitcnt_vscnt null, 0x0
	s_barrier
	buffer_gl0_inv
	scratch_load_b128 v[1:4], v34, off
	s_waitcnt vmcnt(0)
	v_cmp_eq_f64_e32 vcc_lo, 0, v[1:2]
	v_cmp_eq_f64_e64 s3, 0, v[3:4]
	s_delay_alu instid0(VALU_DEP_1) | instskip(NEXT) | instid1(SALU_CYCLE_1)
	s_and_b32 s3, vcc_lo, s3
	s_and_saveexec_b32 s4, s3
	s_cbranch_execz .LBB70_10
; %bb.7:
	v_mov_b32_e32 v1, 0
	s_mov_b32 s5, 0
	ds_load_b32 v2, v1 offset:224
	s_waitcnt lgkmcnt(0)
	v_readfirstlane_b32 s3, v2
	v_add_nc_u32_e32 v2, 1, v27
	s_delay_alu instid0(VALU_DEP_2) | instskip(NEXT) | instid1(VALU_DEP_1)
	s_cmp_eq_u32 s3, 0
	v_cmp_gt_i32_e32 vcc_lo, s3, v2
	s_cselect_b32 s12, -1, 0
	s_delay_alu instid0(SALU_CYCLE_1) | instskip(NEXT) | instid1(SALU_CYCLE_1)
	s_or_b32 s12, s12, vcc_lo
	s_and_b32 exec_lo, exec_lo, s12
	s_cbranch_execz .LBB70_10
; %bb.8:
	v_mov_b32_e32 v3, s3
.LBB70_9:                               ; =>This Inner Loop Header: Depth=1
	ds_cmpstore_rtn_b32 v3, v1, v2, v3 offset:224
	s_waitcnt lgkmcnt(0)
	v_cmp_ne_u32_e32 vcc_lo, 0, v3
	v_cmp_le_i32_e64 s3, v3, v2
	s_delay_alu instid0(VALU_DEP_1) | instskip(NEXT) | instid1(SALU_CYCLE_1)
	s_and_b32 s3, vcc_lo, s3
	s_and_b32 s3, exec_lo, s3
	s_delay_alu instid0(SALU_CYCLE_1) | instskip(NEXT) | instid1(SALU_CYCLE_1)
	s_or_b32 s5, s3, s5
	s_and_not1_b32 exec_lo, exec_lo, s5
	s_cbranch_execnz .LBB70_9
.LBB70_10:
	s_or_b32 exec_lo, exec_lo, s4
	v_mov_b32_e32 v1, 0
	s_barrier
	buffer_gl0_inv
	ds_load_b32 v2, v1 offset:224
	s_and_saveexec_b32 s3, s2
	s_cbranch_execz .LBB70_12
; %bb.11:
	s_lshl_b64 s[4:5], s[10:11], 2
	s_delay_alu instid0(SALU_CYCLE_1)
	s_add_u32 s4, s6, s4
	s_addc_u32 s5, s7, s5
	s_waitcnt lgkmcnt(0)
	global_store_b32 v1, v2, s[4:5]
.LBB70_12:
	s_or_b32 exec_lo, exec_lo, s3
	s_waitcnt lgkmcnt(0)
	v_cmp_ne_u32_e32 vcc_lo, 0, v2
	s_mov_b32 s3, 0
	s_cbranch_vccnz .LBB70_40
; %bb.13:
	v_add_nc_u32_e32 v35, 0, v34
                                        ; implicit-def: $vgpr9_vgpr10
	scratch_load_b128 v[1:4], v35, off
	s_waitcnt vmcnt(0)
	v_cmp_gt_f64_e32 vcc_lo, 0, v[1:2]
	v_xor_b32_e32 v6, 0x80000000, v2
	v_mov_b32_e32 v5, v1
	v_xor_b32_e32 v7, 0x80000000, v4
	s_delay_alu instid0(VALU_DEP_3) | instskip(SKIP_1) | instid1(VALU_DEP_3)
	v_cndmask_b32_e32 v6, v2, v6, vcc_lo
	v_cmp_gt_f64_e32 vcc_lo, 0, v[3:4]
	v_dual_cndmask_b32 v8, v4, v7 :: v_dual_mov_b32 v7, v3
	s_delay_alu instid0(VALU_DEP_1) | instskip(SKIP_1) | instid1(SALU_CYCLE_1)
	v_cmp_ngt_f64_e32 vcc_lo, v[5:6], v[7:8]
                                        ; implicit-def: $vgpr5_vgpr6
	s_and_saveexec_b32 s3, vcc_lo
	s_xor_b32 s3, exec_lo, s3
	s_cbranch_execz .LBB70_15
; %bb.14:
	v_div_scale_f64 v[5:6], null, v[3:4], v[3:4], v[1:2]
	v_div_scale_f64 v[11:12], vcc_lo, v[1:2], v[3:4], v[1:2]
	s_delay_alu instid0(VALU_DEP_2) | instskip(SKIP_2) | instid1(VALU_DEP_1)
	v_rcp_f64_e32 v[7:8], v[5:6]
	s_waitcnt_depctr 0xfff
	v_fma_f64 v[9:10], -v[5:6], v[7:8], 1.0
	v_fma_f64 v[7:8], v[7:8], v[9:10], v[7:8]
	s_delay_alu instid0(VALU_DEP_1) | instskip(NEXT) | instid1(VALU_DEP_1)
	v_fma_f64 v[9:10], -v[5:6], v[7:8], 1.0
	v_fma_f64 v[7:8], v[7:8], v[9:10], v[7:8]
	s_delay_alu instid0(VALU_DEP_1) | instskip(NEXT) | instid1(VALU_DEP_1)
	v_mul_f64 v[9:10], v[11:12], v[7:8]
	v_fma_f64 v[5:6], -v[5:6], v[9:10], v[11:12]
	s_delay_alu instid0(VALU_DEP_1) | instskip(NEXT) | instid1(VALU_DEP_1)
	v_div_fmas_f64 v[5:6], v[5:6], v[7:8], v[9:10]
	v_div_fixup_f64 v[5:6], v[5:6], v[3:4], v[1:2]
	s_delay_alu instid0(VALU_DEP_1) | instskip(NEXT) | instid1(VALU_DEP_1)
	v_fma_f64 v[1:2], v[1:2], v[5:6], v[3:4]
	v_div_scale_f64 v[3:4], null, v[1:2], v[1:2], 1.0
	v_div_scale_f64 v[11:12], vcc_lo, 1.0, v[1:2], 1.0
	s_delay_alu instid0(VALU_DEP_2) | instskip(SKIP_2) | instid1(VALU_DEP_1)
	v_rcp_f64_e32 v[7:8], v[3:4]
	s_waitcnt_depctr 0xfff
	v_fma_f64 v[9:10], -v[3:4], v[7:8], 1.0
	v_fma_f64 v[7:8], v[7:8], v[9:10], v[7:8]
	s_delay_alu instid0(VALU_DEP_1) | instskip(NEXT) | instid1(VALU_DEP_1)
	v_fma_f64 v[9:10], -v[3:4], v[7:8], 1.0
	v_fma_f64 v[7:8], v[7:8], v[9:10], v[7:8]
	s_delay_alu instid0(VALU_DEP_1) | instskip(NEXT) | instid1(VALU_DEP_1)
	v_mul_f64 v[9:10], v[11:12], v[7:8]
	v_fma_f64 v[3:4], -v[3:4], v[9:10], v[11:12]
	s_delay_alu instid0(VALU_DEP_1) | instskip(NEXT) | instid1(VALU_DEP_1)
	v_div_fmas_f64 v[3:4], v[3:4], v[7:8], v[9:10]
	v_div_fixup_f64 v[7:8], v[3:4], v[1:2], 1.0
                                        ; implicit-def: $vgpr1_vgpr2
	s_delay_alu instid0(VALU_DEP_1) | instskip(SKIP_1) | instid1(VALU_DEP_2)
	v_mul_f64 v[5:6], v[5:6], v[7:8]
	v_xor_b32_e32 v8, 0x80000000, v8
	v_xor_b32_e32 v10, 0x80000000, v6
	s_delay_alu instid0(VALU_DEP_3)
	v_mov_b32_e32 v9, v5
.LBB70_15:
	s_and_not1_saveexec_b32 s3, s3
	s_cbranch_execz .LBB70_17
; %bb.16:
	v_div_scale_f64 v[5:6], null, v[1:2], v[1:2], v[3:4]
	v_div_scale_f64 v[11:12], vcc_lo, v[3:4], v[1:2], v[3:4]
	s_delay_alu instid0(VALU_DEP_2) | instskip(SKIP_2) | instid1(VALU_DEP_1)
	v_rcp_f64_e32 v[7:8], v[5:6]
	s_waitcnt_depctr 0xfff
	v_fma_f64 v[9:10], -v[5:6], v[7:8], 1.0
	v_fma_f64 v[7:8], v[7:8], v[9:10], v[7:8]
	s_delay_alu instid0(VALU_DEP_1) | instskip(NEXT) | instid1(VALU_DEP_1)
	v_fma_f64 v[9:10], -v[5:6], v[7:8], 1.0
	v_fma_f64 v[7:8], v[7:8], v[9:10], v[7:8]
	s_delay_alu instid0(VALU_DEP_1) | instskip(NEXT) | instid1(VALU_DEP_1)
	v_mul_f64 v[9:10], v[11:12], v[7:8]
	v_fma_f64 v[5:6], -v[5:6], v[9:10], v[11:12]
	s_delay_alu instid0(VALU_DEP_1) | instskip(NEXT) | instid1(VALU_DEP_1)
	v_div_fmas_f64 v[5:6], v[5:6], v[7:8], v[9:10]
	v_div_fixup_f64 v[7:8], v[5:6], v[1:2], v[3:4]
	s_delay_alu instid0(VALU_DEP_1) | instskip(NEXT) | instid1(VALU_DEP_1)
	v_fma_f64 v[1:2], v[3:4], v[7:8], v[1:2]
	v_div_scale_f64 v[3:4], null, v[1:2], v[1:2], 1.0
	s_delay_alu instid0(VALU_DEP_1) | instskip(SKIP_2) | instid1(VALU_DEP_1)
	v_rcp_f64_e32 v[5:6], v[3:4]
	s_waitcnt_depctr 0xfff
	v_fma_f64 v[9:10], -v[3:4], v[5:6], 1.0
	v_fma_f64 v[5:6], v[5:6], v[9:10], v[5:6]
	s_delay_alu instid0(VALU_DEP_1) | instskip(NEXT) | instid1(VALU_DEP_1)
	v_fma_f64 v[9:10], -v[3:4], v[5:6], 1.0
	v_fma_f64 v[5:6], v[5:6], v[9:10], v[5:6]
	v_div_scale_f64 v[9:10], vcc_lo, 1.0, v[1:2], 1.0
	s_delay_alu instid0(VALU_DEP_1) | instskip(NEXT) | instid1(VALU_DEP_1)
	v_mul_f64 v[11:12], v[9:10], v[5:6]
	v_fma_f64 v[3:4], -v[3:4], v[11:12], v[9:10]
	s_delay_alu instid0(VALU_DEP_1) | instskip(NEXT) | instid1(VALU_DEP_1)
	v_div_fmas_f64 v[3:4], v[3:4], v[5:6], v[11:12]
	v_div_fixup_f64 v[5:6], v[3:4], v[1:2], 1.0
	s_delay_alu instid0(VALU_DEP_1)
	v_mul_f64 v[7:8], v[7:8], -v[5:6]
	v_xor_b32_e32 v10, 0x80000000, v6
	v_mov_b32_e32 v9, v5
.LBB70_17:
	s_or_b32 exec_lo, exec_lo, s3
	scratch_store_b128 v35, v[5:8], off
	scratch_load_b128 v[1:4], v29, off
	v_xor_b32_e32 v12, 0x80000000, v8
	v_mov_b32_e32 v11, v7
	v_add_nc_u32_e32 v5, 0x70, v34
	ds_store_b128 v34, v[9:12]
	s_waitcnt vmcnt(0)
	ds_store_b128 v34, v[1:4] offset:112
	s_waitcnt lgkmcnt(0)
	s_waitcnt_vscnt null, 0x0
	s_barrier
	buffer_gl0_inv
	s_and_saveexec_b32 s3, s2
	s_cbranch_execz .LBB70_19
; %bb.18:
	scratch_load_b128 v[1:4], v35, off
	ds_load_b128 v[6:9], v5
	v_mov_b32_e32 v10, 0
	ds_load_b128 v[36:39], v10 offset:16
	s_waitcnt vmcnt(0) lgkmcnt(1)
	v_mul_f64 v[10:11], v[6:7], v[3:4]
	v_mul_f64 v[3:4], v[8:9], v[3:4]
	s_delay_alu instid0(VALU_DEP_2) | instskip(NEXT) | instid1(VALU_DEP_2)
	v_fma_f64 v[8:9], v[8:9], v[1:2], v[10:11]
	v_fma_f64 v[1:2], v[6:7], v[1:2], -v[3:4]
	s_delay_alu instid0(VALU_DEP_2) | instskip(NEXT) | instid1(VALU_DEP_2)
	v_add_f64 v[3:4], v[8:9], 0
	v_add_f64 v[1:2], v[1:2], 0
	s_waitcnt lgkmcnt(0)
	s_delay_alu instid0(VALU_DEP_2) | instskip(NEXT) | instid1(VALU_DEP_2)
	v_mul_f64 v[6:7], v[3:4], v[38:39]
	v_mul_f64 v[8:9], v[1:2], v[38:39]
	s_delay_alu instid0(VALU_DEP_2) | instskip(NEXT) | instid1(VALU_DEP_2)
	v_fma_f64 v[1:2], v[1:2], v[36:37], -v[6:7]
	v_fma_f64 v[3:4], v[3:4], v[36:37], v[8:9]
	scratch_store_b128 off, v[1:4], off offset:16
.LBB70_19:
	s_or_b32 exec_lo, exec_lo, s3
	s_waitcnt_vscnt null, 0x0
	s_barrier
	buffer_gl0_inv
	scratch_load_b128 v[1:4], v32, off
	s_mov_b32 s3, exec_lo
	s_waitcnt vmcnt(0)
	ds_store_b128 v5, v[1:4]
	s_waitcnt lgkmcnt(0)
	s_barrier
	buffer_gl0_inv
	v_cmpx_gt_u32_e32 2, v27
	s_cbranch_execz .LBB70_23
; %bb.20:
	scratch_load_b128 v[1:4], v35, off
	ds_load_b128 v[6:9], v5
	s_waitcnt vmcnt(0) lgkmcnt(0)
	v_mul_f64 v[10:11], v[8:9], v[3:4]
	v_mul_f64 v[3:4], v[6:7], v[3:4]
	s_delay_alu instid0(VALU_DEP_2) | instskip(NEXT) | instid1(VALU_DEP_2)
	v_fma_f64 v[6:7], v[6:7], v[1:2], -v[10:11]
	v_fma_f64 v[3:4], v[8:9], v[1:2], v[3:4]
	s_delay_alu instid0(VALU_DEP_2) | instskip(NEXT) | instid1(VALU_DEP_2)
	v_add_f64 v[1:2], v[6:7], 0
	v_add_f64 v[3:4], v[3:4], 0
	s_and_saveexec_b32 s4, s2
	s_cbranch_execz .LBB70_22
; %bb.21:
	scratch_load_b128 v[6:9], off, off offset:16
	v_mov_b32_e32 v10, 0
	ds_load_b128 v[36:39], v10 offset:128
	s_waitcnt vmcnt(0) lgkmcnt(0)
	v_mul_f64 v[10:11], v[36:37], v[8:9]
	v_mul_f64 v[8:9], v[38:39], v[8:9]
	s_delay_alu instid0(VALU_DEP_2) | instskip(NEXT) | instid1(VALU_DEP_2)
	v_fma_f64 v[10:11], v[38:39], v[6:7], v[10:11]
	v_fma_f64 v[6:7], v[36:37], v[6:7], -v[8:9]
	s_delay_alu instid0(VALU_DEP_2) | instskip(NEXT) | instid1(VALU_DEP_2)
	v_add_f64 v[3:4], v[3:4], v[10:11]
	v_add_f64 v[1:2], v[1:2], v[6:7]
.LBB70_22:
	s_or_b32 exec_lo, exec_lo, s4
	v_mov_b32_e32 v6, 0
	ds_load_b128 v[6:9], v6 offset:32
	s_waitcnt lgkmcnt(0)
	v_mul_f64 v[10:11], v[3:4], v[8:9]
	v_mul_f64 v[8:9], v[1:2], v[8:9]
	s_delay_alu instid0(VALU_DEP_2) | instskip(NEXT) | instid1(VALU_DEP_2)
	v_fma_f64 v[1:2], v[1:2], v[6:7], -v[10:11]
	v_fma_f64 v[3:4], v[3:4], v[6:7], v[8:9]
	scratch_store_b128 off, v[1:4], off offset:32
.LBB70_23:
	s_or_b32 exec_lo, exec_lo, s3
	s_waitcnt_vscnt null, 0x0
	s_barrier
	buffer_gl0_inv
	scratch_load_b128 v[1:4], v28, off
	v_add_nc_u32_e32 v6, -1, v27
	s_mov_b32 s2, exec_lo
	s_waitcnt vmcnt(0)
	ds_store_b128 v5, v[1:4]
	s_waitcnt lgkmcnt(0)
	s_barrier
	buffer_gl0_inv
	v_cmpx_gt_u32_e32 3, v27
	s_cbranch_execz .LBB70_27
; %bb.24:
	v_dual_mov_b32 v1, 0 :: v_dual_add_nc_u32 v8, 0x70, v34
	v_dual_mov_b32 v2, 0 :: v_dual_add_nc_u32 v7, -1, v27
	v_or_b32_e32 v9, 8, v35
	s_mov_b32 s3, 0
	s_delay_alu instid0(VALU_DEP_2)
	v_dual_mov_b32 v4, v2 :: v_dual_mov_b32 v3, v1
	.p2align	6
.LBB70_25:                              ; =>This Inner Loop Header: Depth=1
	scratch_load_b128 v[36:39], v9, off offset:-8
	ds_load_b128 v[40:43], v8
	v_add_nc_u32_e32 v7, 1, v7
	v_add_nc_u32_e32 v8, 16, v8
	;; [unrolled: 1-line block ×3, first 2 shown]
	s_delay_alu instid0(VALU_DEP_3) | instskip(SKIP_4) | instid1(VALU_DEP_2)
	v_cmp_lt_u32_e32 vcc_lo, 1, v7
	s_or_b32 s3, vcc_lo, s3
	s_waitcnt vmcnt(0) lgkmcnt(0)
	v_mul_f64 v[10:11], v[42:43], v[38:39]
	v_mul_f64 v[38:39], v[40:41], v[38:39]
	v_fma_f64 v[10:11], v[40:41], v[36:37], -v[10:11]
	s_delay_alu instid0(VALU_DEP_2) | instskip(NEXT) | instid1(VALU_DEP_2)
	v_fma_f64 v[36:37], v[42:43], v[36:37], v[38:39]
	v_add_f64 v[3:4], v[3:4], v[10:11]
	s_delay_alu instid0(VALU_DEP_2)
	v_add_f64 v[1:2], v[1:2], v[36:37]
	s_and_not1_b32 exec_lo, exec_lo, s3
	s_cbranch_execnz .LBB70_25
; %bb.26:
	s_or_b32 exec_lo, exec_lo, s3
	v_mov_b32_e32 v7, 0
	ds_load_b128 v[7:10], v7 offset:48
	s_waitcnt lgkmcnt(0)
	v_mul_f64 v[11:12], v[1:2], v[9:10]
	v_mul_f64 v[36:37], v[3:4], v[9:10]
	s_delay_alu instid0(VALU_DEP_2) | instskip(NEXT) | instid1(VALU_DEP_2)
	v_fma_f64 v[9:10], v[3:4], v[7:8], -v[11:12]
	v_fma_f64 v[11:12], v[1:2], v[7:8], v[36:37]
	scratch_store_b128 off, v[9:12], off offset:48
.LBB70_27:
	s_or_b32 exec_lo, exec_lo, s2
	s_waitcnt_vscnt null, 0x0
	s_barrier
	buffer_gl0_inv
	scratch_load_b128 v[1:4], v31, off
	s_mov_b32 s2, exec_lo
	s_waitcnt vmcnt(0)
	ds_store_b128 v5, v[1:4]
	s_waitcnt lgkmcnt(0)
	s_barrier
	buffer_gl0_inv
	v_cmpx_gt_u32_e32 4, v27
	s_cbranch_execz .LBB70_31
; %bb.28:
	v_dual_mov_b32 v1, 0 :: v_dual_add_nc_u32 v8, 0x70, v34
	v_dual_mov_b32 v2, 0 :: v_dual_add_nc_u32 v7, -1, v27
	v_or_b32_e32 v9, 8, v35
	s_mov_b32 s3, 0
	s_delay_alu instid0(VALU_DEP_2)
	v_dual_mov_b32 v4, v2 :: v_dual_mov_b32 v3, v1
	.p2align	6
.LBB70_29:                              ; =>This Inner Loop Header: Depth=1
	scratch_load_b128 v[36:39], v9, off offset:-8
	ds_load_b128 v[40:43], v8
	v_add_nc_u32_e32 v7, 1, v7
	v_add_nc_u32_e32 v8, 16, v8
	;; [unrolled: 1-line block ×3, first 2 shown]
	s_delay_alu instid0(VALU_DEP_3) | instskip(SKIP_4) | instid1(VALU_DEP_2)
	v_cmp_lt_u32_e32 vcc_lo, 2, v7
	s_or_b32 s3, vcc_lo, s3
	s_waitcnt vmcnt(0) lgkmcnt(0)
	v_mul_f64 v[10:11], v[42:43], v[38:39]
	v_mul_f64 v[38:39], v[40:41], v[38:39]
	v_fma_f64 v[10:11], v[40:41], v[36:37], -v[10:11]
	s_delay_alu instid0(VALU_DEP_2) | instskip(NEXT) | instid1(VALU_DEP_2)
	v_fma_f64 v[36:37], v[42:43], v[36:37], v[38:39]
	v_add_f64 v[3:4], v[3:4], v[10:11]
	s_delay_alu instid0(VALU_DEP_2)
	v_add_f64 v[1:2], v[1:2], v[36:37]
	s_and_not1_b32 exec_lo, exec_lo, s3
	s_cbranch_execnz .LBB70_29
; %bb.30:
	s_or_b32 exec_lo, exec_lo, s3
	v_mov_b32_e32 v7, 0
	ds_load_b128 v[7:10], v7 offset:64
	s_waitcnt lgkmcnt(0)
	v_mul_f64 v[11:12], v[1:2], v[9:10]
	v_mul_f64 v[36:37], v[3:4], v[9:10]
	s_delay_alu instid0(VALU_DEP_2) | instskip(NEXT) | instid1(VALU_DEP_2)
	v_fma_f64 v[9:10], v[3:4], v[7:8], -v[11:12]
	v_fma_f64 v[11:12], v[1:2], v[7:8], v[36:37]
	scratch_store_b128 off, v[9:12], off offset:64
.LBB70_31:
	s_or_b32 exec_lo, exec_lo, s2
	s_waitcnt_vscnt null, 0x0
	s_barrier
	buffer_gl0_inv
	scratch_load_b128 v[1:4], v33, off
	s_mov_b32 s2, exec_lo
	s_waitcnt vmcnt(0)
	ds_store_b128 v5, v[1:4]
	s_waitcnt lgkmcnt(0)
	s_barrier
	buffer_gl0_inv
	v_cmpx_gt_u32_e32 5, v27
	s_cbranch_execz .LBB70_35
; %bb.32:
	v_dual_mov_b32 v1, 0 :: v_dual_add_nc_u32 v8, 0x70, v34
	v_dual_mov_b32 v2, 0 :: v_dual_add_nc_u32 v7, -1, v27
	v_or_b32_e32 v9, 8, v35
	s_mov_b32 s3, 0
	s_delay_alu instid0(VALU_DEP_2)
	v_dual_mov_b32 v4, v2 :: v_dual_mov_b32 v3, v1
	.p2align	6
.LBB70_33:                              ; =>This Inner Loop Header: Depth=1
	scratch_load_b128 v[36:39], v9, off offset:-8
	ds_load_b128 v[40:43], v8
	v_add_nc_u32_e32 v7, 1, v7
	v_add_nc_u32_e32 v8, 16, v8
	;; [unrolled: 1-line block ×3, first 2 shown]
	s_delay_alu instid0(VALU_DEP_3) | instskip(SKIP_4) | instid1(VALU_DEP_2)
	v_cmp_lt_u32_e32 vcc_lo, 3, v7
	s_or_b32 s3, vcc_lo, s3
	s_waitcnt vmcnt(0) lgkmcnt(0)
	v_mul_f64 v[10:11], v[42:43], v[38:39]
	v_mul_f64 v[38:39], v[40:41], v[38:39]
	v_fma_f64 v[10:11], v[40:41], v[36:37], -v[10:11]
	s_delay_alu instid0(VALU_DEP_2) | instskip(NEXT) | instid1(VALU_DEP_2)
	v_fma_f64 v[36:37], v[42:43], v[36:37], v[38:39]
	v_add_f64 v[3:4], v[3:4], v[10:11]
	s_delay_alu instid0(VALU_DEP_2)
	v_add_f64 v[1:2], v[1:2], v[36:37]
	s_and_not1_b32 exec_lo, exec_lo, s3
	s_cbranch_execnz .LBB70_33
; %bb.34:
	s_or_b32 exec_lo, exec_lo, s3
	v_mov_b32_e32 v7, 0
	ds_load_b128 v[7:10], v7 offset:80
	s_waitcnt lgkmcnt(0)
	v_mul_f64 v[11:12], v[1:2], v[9:10]
	v_mul_f64 v[36:37], v[3:4], v[9:10]
	s_delay_alu instid0(VALU_DEP_2) | instskip(NEXT) | instid1(VALU_DEP_2)
	v_fma_f64 v[9:10], v[3:4], v[7:8], -v[11:12]
	v_fma_f64 v[11:12], v[1:2], v[7:8], v[36:37]
	scratch_store_b128 off, v[9:12], off offset:80
.LBB70_35:
	s_or_b32 exec_lo, exec_lo, s2
	s_waitcnt_vscnt null, 0x0
	s_barrier
	buffer_gl0_inv
	scratch_load_b128 v[1:4], v30, off
	s_mov_b32 s2, exec_lo
	s_waitcnt vmcnt(0)
	ds_store_b128 v5, v[1:4]
	s_waitcnt lgkmcnt(0)
	s_barrier
	buffer_gl0_inv
	v_cmpx_ne_u32_e32 6, v27
	s_cbranch_execz .LBB70_39
; %bb.36:
	v_mov_b32_e32 v1, 0
	v_mov_b32_e32 v2, 0
	v_or_b32_e32 v7, 8, v35
	s_mov_b32 s3, 0
	s_delay_alu instid0(VALU_DEP_2)
	v_dual_mov_b32 v4, v2 :: v_dual_mov_b32 v3, v1
	.p2align	6
.LBB70_37:                              ; =>This Inner Loop Header: Depth=1
	scratch_load_b128 v[8:11], v7, off offset:-8
	ds_load_b128 v[34:37], v5
	v_add_nc_u32_e32 v6, 1, v6
	v_add_nc_u32_e32 v5, 16, v5
	;; [unrolled: 1-line block ×3, first 2 shown]
	s_delay_alu instid0(VALU_DEP_3) | instskip(SKIP_4) | instid1(VALU_DEP_2)
	v_cmp_lt_u32_e32 vcc_lo, 4, v6
	s_or_b32 s3, vcc_lo, s3
	s_waitcnt vmcnt(0) lgkmcnt(0)
	v_mul_f64 v[38:39], v[36:37], v[10:11]
	v_mul_f64 v[10:11], v[34:35], v[10:11]
	v_fma_f64 v[34:35], v[34:35], v[8:9], -v[38:39]
	s_delay_alu instid0(VALU_DEP_2) | instskip(NEXT) | instid1(VALU_DEP_2)
	v_fma_f64 v[8:9], v[36:37], v[8:9], v[10:11]
	v_add_f64 v[3:4], v[3:4], v[34:35]
	s_delay_alu instid0(VALU_DEP_2)
	v_add_f64 v[1:2], v[1:2], v[8:9]
	s_and_not1_b32 exec_lo, exec_lo, s3
	s_cbranch_execnz .LBB70_37
; %bb.38:
	s_or_b32 exec_lo, exec_lo, s3
	v_mov_b32_e32 v5, 0
	ds_load_b128 v[5:8], v5 offset:96
	s_waitcnt lgkmcnt(0)
	v_mul_f64 v[9:10], v[1:2], v[7:8]
	v_mul_f64 v[7:8], v[3:4], v[7:8]
	s_delay_alu instid0(VALU_DEP_2) | instskip(NEXT) | instid1(VALU_DEP_2)
	v_fma_f64 v[3:4], v[3:4], v[5:6], -v[9:10]
	v_fma_f64 v[5:6], v[1:2], v[5:6], v[7:8]
	scratch_store_b128 off, v[3:6], off offset:96
.LBB70_39:
	s_or_b32 exec_lo, exec_lo, s2
	s_mov_b32 s3, -1
	s_waitcnt_vscnt null, 0x0
	s_barrier
	buffer_gl0_inv
.LBB70_40:
	s_and_b32 vcc_lo, exec_lo, s3
	s_cbranch_vccz .LBB70_42
; %bb.41:
	s_lshl_b64 s[2:3], s[10:11], 2
	v_mov_b32_e32 v1, 0
	s_add_u32 s2, s6, s2
	s_addc_u32 s3, s7, s3
	global_load_b32 v1, v1, s[2:3]
	s_waitcnt vmcnt(0)
	v_cmp_ne_u32_e32 vcc_lo, 0, v1
	s_cbranch_vccz .LBB70_43
.LBB70_42:
	s_endpgm
.LBB70_43:
	v_lshl_add_u32 v5, v27, 4, 0x70
	s_mov_b32 s2, exec_lo
	v_cmpx_eq_u32_e32 6, v27
	s_cbranch_execz .LBB70_45
; %bb.44:
	scratch_load_b128 v[1:4], v33, off
	v_mov_b32_e32 v6, 0
	s_delay_alu instid0(VALU_DEP_1)
	v_mov_b32_e32 v7, v6
	v_mov_b32_e32 v8, v6
	;; [unrolled: 1-line block ×3, first 2 shown]
	scratch_store_b128 off, v[6:9], off offset:80
	s_waitcnt vmcnt(0)
	ds_store_b128 v5, v[1:4]
.LBB70_45:
	s_or_b32 exec_lo, exec_lo, s2
	s_waitcnt lgkmcnt(0)
	s_waitcnt_vscnt null, 0x0
	s_barrier
	buffer_gl0_inv
	s_clause 0x1
	scratch_load_b128 v[6:9], off, off offset:96
	scratch_load_b128 v[34:37], off, off offset:80
	v_mov_b32_e32 v1, 0
	s_mov_b32 s2, exec_lo
	ds_load_b128 v[38:41], v1 offset:208
	s_waitcnt vmcnt(1) lgkmcnt(0)
	v_mul_f64 v[2:3], v[40:41], v[8:9]
	v_mul_f64 v[8:9], v[38:39], v[8:9]
	s_delay_alu instid0(VALU_DEP_2) | instskip(NEXT) | instid1(VALU_DEP_2)
	v_fma_f64 v[2:3], v[38:39], v[6:7], -v[2:3]
	v_fma_f64 v[6:7], v[40:41], v[6:7], v[8:9]
	s_delay_alu instid0(VALU_DEP_2) | instskip(NEXT) | instid1(VALU_DEP_2)
	v_add_f64 v[2:3], v[2:3], 0
	v_add_f64 v[8:9], v[6:7], 0
	s_waitcnt vmcnt(0)
	s_delay_alu instid0(VALU_DEP_2) | instskip(NEXT) | instid1(VALU_DEP_2)
	v_add_f64 v[6:7], v[34:35], -v[2:3]
	v_add_f64 v[8:9], v[36:37], -v[8:9]
	scratch_store_b128 off, v[6:9], off offset:80
	v_cmpx_lt_u32_e32 4, v27
	s_cbranch_execz .LBB70_47
; %bb.46:
	scratch_load_b128 v[6:9], v31, off
	v_mov_b32_e32 v2, v1
	v_mov_b32_e32 v3, v1
	;; [unrolled: 1-line block ×3, first 2 shown]
	scratch_store_b128 off, v[1:4], off offset:64
	s_waitcnt vmcnt(0)
	ds_store_b128 v5, v[6:9]
.LBB70_47:
	s_or_b32 exec_lo, exec_lo, s2
	s_waitcnt lgkmcnt(0)
	s_waitcnt_vscnt null, 0x0
	s_barrier
	buffer_gl0_inv
	s_clause 0x2
	scratch_load_b128 v[6:9], off, off offset:80
	scratch_load_b128 v[34:37], off, off offset:96
	;; [unrolled: 1-line block ×3, first 2 shown]
	ds_load_b128 v[42:45], v1 offset:192
	ds_load_b128 v[1:4], v1 offset:208
	s_mov_b32 s2, exec_lo
	s_waitcnt vmcnt(2) lgkmcnt(1)
	v_mul_f64 v[10:11], v[44:45], v[8:9]
	v_mul_f64 v[8:9], v[42:43], v[8:9]
	s_waitcnt vmcnt(1) lgkmcnt(0)
	v_mul_f64 v[46:47], v[1:2], v[36:37]
	v_mul_f64 v[36:37], v[3:4], v[36:37]
	s_delay_alu instid0(VALU_DEP_4) | instskip(NEXT) | instid1(VALU_DEP_4)
	v_fma_f64 v[10:11], v[42:43], v[6:7], -v[10:11]
	v_fma_f64 v[6:7], v[44:45], v[6:7], v[8:9]
	s_delay_alu instid0(VALU_DEP_4) | instskip(NEXT) | instid1(VALU_DEP_4)
	v_fma_f64 v[3:4], v[3:4], v[34:35], v[46:47]
	v_fma_f64 v[1:2], v[1:2], v[34:35], -v[36:37]
	s_delay_alu instid0(VALU_DEP_4) | instskip(NEXT) | instid1(VALU_DEP_4)
	v_add_f64 v[8:9], v[10:11], 0
	v_add_f64 v[6:7], v[6:7], 0
	s_delay_alu instid0(VALU_DEP_2) | instskip(NEXT) | instid1(VALU_DEP_2)
	v_add_f64 v[1:2], v[8:9], v[1:2]
	v_add_f64 v[3:4], v[6:7], v[3:4]
	s_waitcnt vmcnt(0)
	s_delay_alu instid0(VALU_DEP_2) | instskip(NEXT) | instid1(VALU_DEP_2)
	v_add_f64 v[1:2], v[38:39], -v[1:2]
	v_add_f64 v[3:4], v[40:41], -v[3:4]
	scratch_store_b128 off, v[1:4], off offset:64
	v_cmpx_lt_u32_e32 3, v27
	s_cbranch_execz .LBB70_49
; %bb.48:
	scratch_load_b128 v[1:4], v28, off
	v_mov_b32_e32 v6, 0
	s_delay_alu instid0(VALU_DEP_1)
	v_mov_b32_e32 v7, v6
	v_mov_b32_e32 v8, v6
	;; [unrolled: 1-line block ×3, first 2 shown]
	scratch_store_b128 off, v[6:9], off offset:48
	s_waitcnt vmcnt(0)
	ds_store_b128 v5, v[1:4]
.LBB70_49:
	s_or_b32 exec_lo, exec_lo, s2
	s_waitcnt lgkmcnt(0)
	s_waitcnt_vscnt null, 0x0
	s_barrier
	buffer_gl0_inv
	s_clause 0x3
	scratch_load_b128 v[6:9], off, off offset:64
	scratch_load_b128 v[34:37], off, off offset:80
	;; [unrolled: 1-line block ×4, first 2 shown]
	v_mov_b32_e32 v1, 0
	ds_load_b128 v[46:49], v1 offset:176
	ds_load_b128 v[50:53], v1 offset:192
	s_mov_b32 s2, exec_lo
	s_waitcnt vmcnt(3) lgkmcnt(1)
	v_mul_f64 v[2:3], v[48:49], v[8:9]
	v_mul_f64 v[8:9], v[46:47], v[8:9]
	s_waitcnt vmcnt(2) lgkmcnt(0)
	v_mul_f64 v[10:11], v[50:51], v[36:37]
	v_mul_f64 v[36:37], v[52:53], v[36:37]
	s_delay_alu instid0(VALU_DEP_4) | instskip(NEXT) | instid1(VALU_DEP_4)
	v_fma_f64 v[2:3], v[46:47], v[6:7], -v[2:3]
	v_fma_f64 v[46:47], v[48:49], v[6:7], v[8:9]
	ds_load_b128 v[6:9], v1 offset:208
	v_fma_f64 v[10:11], v[52:53], v[34:35], v[10:11]
	v_fma_f64 v[34:35], v[50:51], v[34:35], -v[36:37]
	s_waitcnt vmcnt(1) lgkmcnt(0)
	v_mul_f64 v[48:49], v[6:7], v[40:41]
	v_mul_f64 v[40:41], v[8:9], v[40:41]
	v_add_f64 v[2:3], v[2:3], 0
	v_add_f64 v[36:37], v[46:47], 0
	s_delay_alu instid0(VALU_DEP_4) | instskip(NEXT) | instid1(VALU_DEP_4)
	v_fma_f64 v[8:9], v[8:9], v[38:39], v[48:49]
	v_fma_f64 v[6:7], v[6:7], v[38:39], -v[40:41]
	s_delay_alu instid0(VALU_DEP_4) | instskip(NEXT) | instid1(VALU_DEP_4)
	v_add_f64 v[2:3], v[2:3], v[34:35]
	v_add_f64 v[10:11], v[36:37], v[10:11]
	s_delay_alu instid0(VALU_DEP_2) | instskip(NEXT) | instid1(VALU_DEP_2)
	v_add_f64 v[2:3], v[2:3], v[6:7]
	v_add_f64 v[8:9], v[10:11], v[8:9]
	s_waitcnt vmcnt(0)
	s_delay_alu instid0(VALU_DEP_2) | instskip(NEXT) | instid1(VALU_DEP_2)
	v_add_f64 v[6:7], v[42:43], -v[2:3]
	v_add_f64 v[8:9], v[44:45], -v[8:9]
	scratch_store_b128 off, v[6:9], off offset:48
	v_cmpx_lt_u32_e32 2, v27
	s_cbranch_execz .LBB70_51
; %bb.50:
	scratch_load_b128 v[6:9], v32, off
	v_mov_b32_e32 v2, v1
	v_mov_b32_e32 v3, v1
	;; [unrolled: 1-line block ×3, first 2 shown]
	scratch_store_b128 off, v[1:4], off offset:32
	s_waitcnt vmcnt(0)
	ds_store_b128 v5, v[6:9]
.LBB70_51:
	s_or_b32 exec_lo, exec_lo, s2
	s_waitcnt lgkmcnt(0)
	s_waitcnt_vscnt null, 0x0
	s_barrier
	buffer_gl0_inv
	s_clause 0x4
	scratch_load_b128 v[6:9], off, off offset:48
	scratch_load_b128 v[34:37], off, off offset:64
	;; [unrolled: 1-line block ×5, first 2 shown]
	ds_load_b128 v[50:53], v1 offset:160
	ds_load_b128 v[54:57], v1 offset:176
	s_mov_b32 s2, exec_lo
	s_waitcnt vmcnt(4) lgkmcnt(1)
	v_mul_f64 v[2:3], v[52:53], v[8:9]
	v_mul_f64 v[8:9], v[50:51], v[8:9]
	s_waitcnt vmcnt(3) lgkmcnt(0)
	v_mul_f64 v[10:11], v[54:55], v[36:37]
	v_mul_f64 v[36:37], v[56:57], v[36:37]
	s_delay_alu instid0(VALU_DEP_4) | instskip(NEXT) | instid1(VALU_DEP_4)
	v_fma_f64 v[50:51], v[50:51], v[6:7], -v[2:3]
	v_fma_f64 v[52:53], v[52:53], v[6:7], v[8:9]
	ds_load_b128 v[6:9], v1 offset:192
	ds_load_b128 v[1:4], v1 offset:208
	v_fma_f64 v[10:11], v[56:57], v[34:35], v[10:11]
	v_fma_f64 v[34:35], v[54:55], v[34:35], -v[36:37]
	s_waitcnt vmcnt(2) lgkmcnt(1)
	v_mul_f64 v[58:59], v[6:7], v[40:41]
	v_mul_f64 v[40:41], v[8:9], v[40:41]
	v_add_f64 v[36:37], v[50:51], 0
	v_add_f64 v[50:51], v[52:53], 0
	s_waitcnt vmcnt(1) lgkmcnt(0)
	v_mul_f64 v[52:53], v[1:2], v[44:45]
	v_mul_f64 v[44:45], v[3:4], v[44:45]
	v_fma_f64 v[8:9], v[8:9], v[38:39], v[58:59]
	v_fma_f64 v[6:7], v[6:7], v[38:39], -v[40:41]
	v_add_f64 v[34:35], v[36:37], v[34:35]
	v_add_f64 v[10:11], v[50:51], v[10:11]
	v_fma_f64 v[3:4], v[3:4], v[42:43], v[52:53]
	v_fma_f64 v[1:2], v[1:2], v[42:43], -v[44:45]
	s_delay_alu instid0(VALU_DEP_4) | instskip(NEXT) | instid1(VALU_DEP_4)
	v_add_f64 v[6:7], v[34:35], v[6:7]
	v_add_f64 v[8:9], v[10:11], v[8:9]
	s_delay_alu instid0(VALU_DEP_2) | instskip(NEXT) | instid1(VALU_DEP_2)
	v_add_f64 v[1:2], v[6:7], v[1:2]
	v_add_f64 v[3:4], v[8:9], v[3:4]
	s_waitcnt vmcnt(0)
	s_delay_alu instid0(VALU_DEP_2) | instskip(NEXT) | instid1(VALU_DEP_2)
	v_add_f64 v[1:2], v[46:47], -v[1:2]
	v_add_f64 v[3:4], v[48:49], -v[3:4]
	scratch_store_b128 off, v[1:4], off offset:32
	v_cmpx_lt_u32_e32 1, v27
	s_cbranch_execz .LBB70_53
; %bb.52:
	scratch_load_b128 v[1:4], v29, off
	v_mov_b32_e32 v6, 0
	s_delay_alu instid0(VALU_DEP_1)
	v_mov_b32_e32 v7, v6
	v_mov_b32_e32 v8, v6
	;; [unrolled: 1-line block ×3, first 2 shown]
	scratch_store_b128 off, v[6:9], off offset:16
	s_waitcnt vmcnt(0)
	ds_store_b128 v5, v[1:4]
.LBB70_53:
	s_or_b32 exec_lo, exec_lo, s2
	s_waitcnt lgkmcnt(0)
	s_waitcnt_vscnt null, 0x0
	s_barrier
	buffer_gl0_inv
	s_clause 0x5
	scratch_load_b128 v[6:9], off, off offset:32
	scratch_load_b128 v[34:37], off, off offset:48
	;; [unrolled: 1-line block ×6, first 2 shown]
	v_mov_b32_e32 v1, 0
	ds_load_b128 v[54:57], v1 offset:144
	ds_load_b128 v[58:61], v1 offset:160
	s_mov_b32 s2, exec_lo
	s_waitcnt vmcnt(5) lgkmcnt(1)
	v_mul_f64 v[2:3], v[56:57], v[8:9]
	v_mul_f64 v[8:9], v[54:55], v[8:9]
	s_waitcnt vmcnt(4) lgkmcnt(0)
	v_mul_f64 v[10:11], v[58:59], v[36:37]
	v_mul_f64 v[36:37], v[60:61], v[36:37]
	s_delay_alu instid0(VALU_DEP_4) | instskip(NEXT) | instid1(VALU_DEP_4)
	v_fma_f64 v[2:3], v[54:55], v[6:7], -v[2:3]
	v_fma_f64 v[62:63], v[56:57], v[6:7], v[8:9]
	ds_load_b128 v[6:9], v1 offset:176
	ds_load_b128 v[54:57], v1 offset:192
	v_fma_f64 v[10:11], v[60:61], v[34:35], v[10:11]
	v_fma_f64 v[34:35], v[58:59], v[34:35], -v[36:37]
	s_waitcnt vmcnt(3) lgkmcnt(1)
	v_mul_f64 v[64:65], v[6:7], v[40:41]
	v_mul_f64 v[40:41], v[8:9], v[40:41]
	s_waitcnt vmcnt(2) lgkmcnt(0)
	v_mul_f64 v[58:59], v[54:55], v[44:45]
	v_mul_f64 v[44:45], v[56:57], v[44:45]
	v_add_f64 v[2:3], v[2:3], 0
	v_add_f64 v[36:37], v[62:63], 0
	v_fma_f64 v[60:61], v[8:9], v[38:39], v[64:65]
	v_fma_f64 v[38:39], v[6:7], v[38:39], -v[40:41]
	ds_load_b128 v[6:9], v1 offset:208
	v_fma_f64 v[40:41], v[56:57], v[42:43], v[58:59]
	v_fma_f64 v[42:43], v[54:55], v[42:43], -v[44:45]
	v_add_f64 v[2:3], v[2:3], v[34:35]
	v_add_f64 v[10:11], v[36:37], v[10:11]
	s_waitcnt vmcnt(1) lgkmcnt(0)
	v_mul_f64 v[34:35], v[6:7], v[48:49]
	v_mul_f64 v[36:37], v[8:9], v[48:49]
	s_delay_alu instid0(VALU_DEP_4) | instskip(NEXT) | instid1(VALU_DEP_4)
	v_add_f64 v[2:3], v[2:3], v[38:39]
	v_add_f64 v[10:11], v[10:11], v[60:61]
	s_delay_alu instid0(VALU_DEP_4) | instskip(NEXT) | instid1(VALU_DEP_4)
	v_fma_f64 v[8:9], v[8:9], v[46:47], v[34:35]
	v_fma_f64 v[6:7], v[6:7], v[46:47], -v[36:37]
	s_delay_alu instid0(VALU_DEP_4) | instskip(NEXT) | instid1(VALU_DEP_4)
	v_add_f64 v[2:3], v[2:3], v[42:43]
	v_add_f64 v[10:11], v[10:11], v[40:41]
	s_delay_alu instid0(VALU_DEP_2) | instskip(NEXT) | instid1(VALU_DEP_2)
	v_add_f64 v[2:3], v[2:3], v[6:7]
	v_add_f64 v[8:9], v[10:11], v[8:9]
	s_waitcnt vmcnt(0)
	s_delay_alu instid0(VALU_DEP_2) | instskip(NEXT) | instid1(VALU_DEP_2)
	v_add_f64 v[6:7], v[50:51], -v[2:3]
	v_add_f64 v[8:9], v[52:53], -v[8:9]
	scratch_store_b128 off, v[6:9], off offset:16
	v_cmpx_ne_u32_e32 0, v27
	s_cbranch_execz .LBB70_55
; %bb.54:
	scratch_load_b128 v[6:9], off, off
	v_mov_b32_e32 v2, v1
	v_mov_b32_e32 v3, v1
	;; [unrolled: 1-line block ×3, first 2 shown]
	scratch_store_b128 off, v[1:4], off
	s_waitcnt vmcnt(0)
	ds_store_b128 v5, v[6:9]
.LBB70_55:
	s_or_b32 exec_lo, exec_lo, s2
	s_waitcnt lgkmcnt(0)
	s_waitcnt_vscnt null, 0x0
	s_barrier
	buffer_gl0_inv
	s_clause 0x5
	scratch_load_b128 v[2:5], off, off offset:16
	scratch_load_b128 v[6:9], off, off offset:32
	;; [unrolled: 1-line block ×6, first 2 shown]
	ds_load_b128 v[50:53], v1 offset:128
	ds_load_b128 v[58:61], v1 offset:144
	scratch_load_b128 v[54:57], off, off
	s_and_b32 vcc_lo, exec_lo, s14
	s_waitcnt vmcnt(6) lgkmcnt(1)
	v_mul_f64 v[10:11], v[52:53], v[4:5]
	v_mul_f64 v[4:5], v[50:51], v[4:5]
	s_waitcnt vmcnt(5) lgkmcnt(0)
	v_mul_f64 v[62:63], v[58:59], v[8:9]
	v_mul_f64 v[64:65], v[60:61], v[8:9]
	s_delay_alu instid0(VALU_DEP_4) | instskip(NEXT) | instid1(VALU_DEP_4)
	v_fma_f64 v[50:51], v[50:51], v[2:3], -v[10:11]
	v_fma_f64 v[52:53], v[52:53], v[2:3], v[4:5]
	ds_load_b128 v[2:5], v1 offset:160
	ds_load_b128 v[8:11], v1 offset:176
	v_fma_f64 v[60:61], v[60:61], v[6:7], v[62:63]
	v_fma_f64 v[6:7], v[58:59], v[6:7], -v[64:65]
	s_waitcnt vmcnt(4) lgkmcnt(1)
	v_mul_f64 v[66:67], v[2:3], v[36:37]
	v_mul_f64 v[36:37], v[4:5], v[36:37]
	s_waitcnt vmcnt(3) lgkmcnt(0)
	v_mul_f64 v[58:59], v[8:9], v[40:41]
	v_mul_f64 v[40:41], v[10:11], v[40:41]
	v_add_f64 v[50:51], v[50:51], 0
	v_add_f64 v[52:53], v[52:53], 0
	v_fma_f64 v[62:63], v[4:5], v[34:35], v[66:67]
	v_fma_f64 v[64:65], v[2:3], v[34:35], -v[36:37]
	ds_load_b128 v[2:5], v1 offset:192
	ds_load_b128 v[34:37], v1 offset:208
	v_fma_f64 v[10:11], v[10:11], v[38:39], v[58:59]
	v_fma_f64 v[8:9], v[8:9], v[38:39], -v[40:41]
	v_add_f64 v[6:7], v[50:51], v[6:7]
	v_add_f64 v[50:51], v[52:53], v[60:61]
	s_waitcnt vmcnt(2) lgkmcnt(1)
	v_mul_f64 v[52:53], v[2:3], v[44:45]
	v_mul_f64 v[44:45], v[4:5], v[44:45]
	s_waitcnt vmcnt(1) lgkmcnt(0)
	v_mul_f64 v[40:41], v[34:35], v[48:49]
	v_mul_f64 v[48:49], v[36:37], v[48:49]
	v_add_f64 v[6:7], v[6:7], v[64:65]
	v_add_f64 v[38:39], v[50:51], v[62:63]
	v_fma_f64 v[4:5], v[4:5], v[42:43], v[52:53]
	v_fma_f64 v[1:2], v[2:3], v[42:43], -v[44:45]
	v_fma_f64 v[34:35], v[34:35], v[46:47], -v[48:49]
	v_add_f64 v[6:7], v[6:7], v[8:9]
	v_add_f64 v[8:9], v[38:39], v[10:11]
	v_fma_f64 v[10:11], v[36:37], v[46:47], v[40:41]
	s_delay_alu instid0(VALU_DEP_3) | instskip(NEXT) | instid1(VALU_DEP_3)
	v_add_f64 v[1:2], v[6:7], v[1:2]
	v_add_f64 v[3:4], v[8:9], v[4:5]
	s_delay_alu instid0(VALU_DEP_2) | instskip(NEXT) | instid1(VALU_DEP_2)
	v_add_f64 v[1:2], v[1:2], v[34:35]
	v_add_f64 v[3:4], v[3:4], v[10:11]
	s_waitcnt vmcnt(0)
	s_delay_alu instid0(VALU_DEP_2) | instskip(NEXT) | instid1(VALU_DEP_2)
	v_add_f64 v[1:2], v[54:55], -v[1:2]
	v_add_f64 v[3:4], v[56:57], -v[3:4]
	scratch_store_b128 off, v[1:4], off
	s_cbranch_vccz .LBB70_69
; %bb.56:
	v_dual_mov_b32 v1, s8 :: v_dual_mov_b32 v2, s9
	s_load_b64 s[0:1], s[0:1], 0x4
	flat_load_b32 v1, v[1:2] offset:20
	v_bfe_u32 v2, v0, 10, 10
	v_bfe_u32 v0, v0, 20, 10
	s_waitcnt lgkmcnt(0)
	s_lshr_b32 s0, s0, 16
	s_delay_alu instid0(VALU_DEP_2) | instskip(SKIP_1) | instid1(SALU_CYCLE_1)
	v_mul_u32_u24_e32 v2, s1, v2
	s_mul_i32 s0, s0, s1
	v_mul_u32_u24_e32 v3, s0, v27
	s_mov_b32 s0, exec_lo
	s_delay_alu instid0(VALU_DEP_1) | instskip(NEXT) | instid1(VALU_DEP_1)
	v_add3_u32 v0, v3, v2, v0
	v_lshl_add_u32 v0, v0, 4, 0xe8
	s_waitcnt vmcnt(0)
	v_cmpx_ne_u32_e32 6, v1
	s_cbranch_execz .LBB70_58
; %bb.57:
	v_lshl_add_u32 v9, v1, 4, 0
	s_clause 0x1
	scratch_load_b128 v[1:4], v33, off
	scratch_load_b128 v[5:8], v9, off offset:-16
	s_waitcnt vmcnt(1)
	ds_store_2addr_b64 v0, v[1:2], v[3:4] offset1:1
	s_waitcnt vmcnt(0)
	s_clause 0x1
	scratch_store_b128 v33, v[5:8], off
	scratch_store_b128 v9, v[1:4], off offset:-16
.LBB70_58:
	s_or_b32 exec_lo, exec_lo, s0
	v_dual_mov_b32 v1, s8 :: v_dual_mov_b32 v2, s9
	s_mov_b32 s0, exec_lo
	flat_load_b32 v1, v[1:2] offset:16
	s_waitcnt vmcnt(0) lgkmcnt(0)
	v_cmpx_ne_u32_e32 5, v1
	s_cbranch_execz .LBB70_60
; %bb.59:
	v_lshl_add_u32 v9, v1, 4, 0
	s_clause 0x1
	scratch_load_b128 v[1:4], v31, off
	scratch_load_b128 v[5:8], v9, off offset:-16
	s_waitcnt vmcnt(1)
	ds_store_2addr_b64 v0, v[1:2], v[3:4] offset1:1
	s_waitcnt vmcnt(0)
	s_clause 0x1
	scratch_store_b128 v31, v[5:8], off
	scratch_store_b128 v9, v[1:4], off offset:-16
.LBB70_60:
	s_or_b32 exec_lo, exec_lo, s0
	v_dual_mov_b32 v1, s8 :: v_dual_mov_b32 v2, s9
	s_mov_b32 s0, exec_lo
	flat_load_b32 v1, v[1:2] offset:12
	s_waitcnt vmcnt(0) lgkmcnt(0)
	;; [unrolled: 19-line block ×4, first 2 shown]
	v_cmpx_ne_u32_e32 2, v1
	s_cbranch_execz .LBB70_66
; %bb.65:
	v_lshl_add_u32 v9, v1, 4, 0
	s_clause 0x1
	scratch_load_b128 v[1:4], v29, off
	scratch_load_b128 v[5:8], v9, off offset:-16
	s_waitcnt vmcnt(1)
	ds_store_2addr_b64 v0, v[1:2], v[3:4] offset1:1
	s_waitcnt vmcnt(0)
	s_clause 0x1
	scratch_store_b128 v29, v[5:8], off
	scratch_store_b128 v9, v[1:4], off offset:-16
.LBB70_66:
	s_or_b32 exec_lo, exec_lo, s0
	v_dual_mov_b32 v1, s8 :: v_dual_mov_b32 v2, s9
	s_mov_b32 s0, exec_lo
	flat_load_b32 v1, v[1:2]
	s_waitcnt vmcnt(0) lgkmcnt(0)
	v_cmpx_ne_u32_e32 1, v1
	s_cbranch_execz .LBB70_68
; %bb.67:
	v_lshl_add_u32 v9, v1, 4, 0
	scratch_load_b128 v[1:4], off, off
	scratch_load_b128 v[5:8], v9, off offset:-16
	s_waitcnt vmcnt(1)
	ds_store_2addr_b64 v0, v[1:2], v[3:4] offset1:1
	s_waitcnt vmcnt(0)
	scratch_store_b128 off, v[5:8], off
	scratch_store_b128 v9, v[1:4], off offset:-16
.LBB70_68:
	s_or_b32 exec_lo, exec_lo, s0
.LBB70_69:
	scratch_load_b128 v[0:3], off, off
	s_clause 0x5
	scratch_load_b128 v[4:7], v29, off
	scratch_load_b128 v[8:11], v32, off
	;; [unrolled: 1-line block ×6, first 2 shown]
	s_waitcnt vmcnt(6)
	global_store_b128 v[13:14], v[0:3], off
	s_waitcnt vmcnt(5)
	global_store_b128 v[15:16], v[4:7], off
	;; [unrolled: 2-line block ×7, first 2 shown]
	s_endpgm
	.section	.rodata,"a",@progbits
	.p2align	6, 0x0
	.amdhsa_kernel _ZN9rocsolver6v33100L18getri_kernel_smallILi7E19rocblas_complex_numIdEPKPS3_EEvT1_iilPiilS8_bb
		.amdhsa_group_segment_fixed_size 1256
		.amdhsa_private_segment_fixed_size 128
		.amdhsa_kernarg_size 60
		.amdhsa_user_sgpr_count 15
		.amdhsa_user_sgpr_dispatch_ptr 1
		.amdhsa_user_sgpr_queue_ptr 0
		.amdhsa_user_sgpr_kernarg_segment_ptr 1
		.amdhsa_user_sgpr_dispatch_id 0
		.amdhsa_user_sgpr_private_segment_size 0
		.amdhsa_wavefront_size32 1
		.amdhsa_uses_dynamic_stack 0
		.amdhsa_enable_private_segment 1
		.amdhsa_system_sgpr_workgroup_id_x 1
		.amdhsa_system_sgpr_workgroup_id_y 0
		.amdhsa_system_sgpr_workgroup_id_z 0
		.amdhsa_system_sgpr_workgroup_info 0
		.amdhsa_system_vgpr_workitem_id 2
		.amdhsa_next_free_vgpr 68
		.amdhsa_next_free_sgpr 19
		.amdhsa_reserve_vcc 1
		.amdhsa_float_round_mode_32 0
		.amdhsa_float_round_mode_16_64 0
		.amdhsa_float_denorm_mode_32 3
		.amdhsa_float_denorm_mode_16_64 3
		.amdhsa_dx10_clamp 1
		.amdhsa_ieee_mode 1
		.amdhsa_fp16_overflow 0
		.amdhsa_workgroup_processor_mode 1
		.amdhsa_memory_ordered 1
		.amdhsa_forward_progress 0
		.amdhsa_shared_vgpr_count 0
		.amdhsa_exception_fp_ieee_invalid_op 0
		.amdhsa_exception_fp_denorm_src 0
		.amdhsa_exception_fp_ieee_div_zero 0
		.amdhsa_exception_fp_ieee_overflow 0
		.amdhsa_exception_fp_ieee_underflow 0
		.amdhsa_exception_fp_ieee_inexact 0
		.amdhsa_exception_int_div_zero 0
	.end_amdhsa_kernel
	.section	.text._ZN9rocsolver6v33100L18getri_kernel_smallILi7E19rocblas_complex_numIdEPKPS3_EEvT1_iilPiilS8_bb,"axG",@progbits,_ZN9rocsolver6v33100L18getri_kernel_smallILi7E19rocblas_complex_numIdEPKPS3_EEvT1_iilPiilS8_bb,comdat
.Lfunc_end70:
	.size	_ZN9rocsolver6v33100L18getri_kernel_smallILi7E19rocblas_complex_numIdEPKPS3_EEvT1_iilPiilS8_bb, .Lfunc_end70-_ZN9rocsolver6v33100L18getri_kernel_smallILi7E19rocblas_complex_numIdEPKPS3_EEvT1_iilPiilS8_bb
                                        ; -- End function
	.section	.AMDGPU.csdata,"",@progbits
; Kernel info:
; codeLenInByte = 6332
; NumSgprs: 21
; NumVgprs: 68
; ScratchSize: 128
; MemoryBound: 0
; FloatMode: 240
; IeeeMode: 1
; LDSByteSize: 1256 bytes/workgroup (compile time only)
; SGPRBlocks: 2
; VGPRBlocks: 8
; NumSGPRsForWavesPerEU: 21
; NumVGPRsForWavesPerEU: 68
; Occupancy: 16
; WaveLimiterHint : 1
; COMPUTE_PGM_RSRC2:SCRATCH_EN: 1
; COMPUTE_PGM_RSRC2:USER_SGPR: 15
; COMPUTE_PGM_RSRC2:TRAP_HANDLER: 0
; COMPUTE_PGM_RSRC2:TGID_X_EN: 1
; COMPUTE_PGM_RSRC2:TGID_Y_EN: 0
; COMPUTE_PGM_RSRC2:TGID_Z_EN: 0
; COMPUTE_PGM_RSRC2:TIDIG_COMP_CNT: 2
	.section	.text._ZN9rocsolver6v33100L18getri_kernel_smallILi8E19rocblas_complex_numIdEPKPS3_EEvT1_iilPiilS8_bb,"axG",@progbits,_ZN9rocsolver6v33100L18getri_kernel_smallILi8E19rocblas_complex_numIdEPKPS3_EEvT1_iilPiilS8_bb,comdat
	.globl	_ZN9rocsolver6v33100L18getri_kernel_smallILi8E19rocblas_complex_numIdEPKPS3_EEvT1_iilPiilS8_bb ; -- Begin function _ZN9rocsolver6v33100L18getri_kernel_smallILi8E19rocblas_complex_numIdEPKPS3_EEvT1_iilPiilS8_bb
	.p2align	8
	.type	_ZN9rocsolver6v33100L18getri_kernel_smallILi8E19rocblas_complex_numIdEPKPS3_EEvT1_iilPiilS8_bb,@function
_ZN9rocsolver6v33100L18getri_kernel_smallILi8E19rocblas_complex_numIdEPKPS3_EEvT1_iilPiilS8_bb: ; @_ZN9rocsolver6v33100L18getri_kernel_smallILi8E19rocblas_complex_numIdEPKPS3_EEvT1_iilPiilS8_bb
; %bb.0:
	v_and_b32_e32 v29, 0x3ff, v0
	s_mov_b32 s4, exec_lo
	s_delay_alu instid0(VALU_DEP_1)
	v_cmpx_gt_u32_e32 8, v29
	s_cbranch_execz .LBB71_46
; %bb.1:
	s_mov_b32 s10, s15
	s_clause 0x2
	s_load_b32 s15, s[2:3], 0x38
	s_load_b64 s[8:9], s[2:3], 0x0
	s_load_b128 s[4:7], s[2:3], 0x28
	s_waitcnt lgkmcnt(0)
	s_bitcmp1_b32 s15, 8
	s_cselect_b32 s14, -1, 0
	s_ashr_i32 s11, s10, 31
	s_delay_alu instid0(SALU_CYCLE_1) | instskip(NEXT) | instid1(SALU_CYCLE_1)
	s_lshl_b64 s[12:13], s[10:11], 3
	s_add_u32 s8, s8, s12
	s_addc_u32 s9, s9, s13
	s_load_b64 s[12:13], s[8:9], 0x0
	s_bfe_u32 s8, s15, 0x10008
	s_delay_alu instid0(SALU_CYCLE_1)
	s_cmp_eq_u32 s8, 0
                                        ; implicit-def: $sgpr8_sgpr9
	s_cbranch_scc1 .LBB71_3
; %bb.2:
	s_clause 0x1
	s_load_b32 s8, s[2:3], 0x20
	s_load_b64 s[16:17], s[2:3], 0x18
	s_mul_i32 s5, s10, s5
	s_mul_hi_u32 s9, s10, s4
	s_mul_i32 s18, s11, s4
	s_add_i32 s5, s9, s5
	s_mul_i32 s4, s10, s4
	s_add_i32 s5, s5, s18
	s_delay_alu instid0(SALU_CYCLE_1)
	s_lshl_b64 s[4:5], s[4:5], 2
	s_waitcnt lgkmcnt(0)
	s_ashr_i32 s9, s8, 31
	s_add_u32 s16, s16, s4
	s_addc_u32 s17, s17, s5
	s_lshl_b64 s[4:5], s[8:9], 2
	s_delay_alu instid0(SALU_CYCLE_1)
	s_add_u32 s8, s16, s4
	s_addc_u32 s9, s17, s5
.LBB71_3:
	s_load_b64 s[2:3], s[2:3], 0x8
	v_lshlrev_b32_e32 v37, 4, v29
	v_add_nc_u32_e64 v33, 0, 32
	v_add_nc_u32_e64 v34, 0, 64
	s_waitcnt lgkmcnt(0)
	v_add3_u32 v5, s3, s3, v29
	s_ashr_i32 s5, s2, 31
	s_mov_b32 s4, s2
	s_mov_b32 s16, s3
	s_lshl_b64 s[4:5], s[4:5], 4
	v_add_nc_u32_e32 v7, s3, v5
	v_ashrrev_i32_e32 v6, 31, v5
	s_add_u32 s4, s12, s4
	s_addc_u32 s5, s13, s5
	v_add_co_u32 v13, s2, s4, v37
	v_add_nc_u32_e32 v9, s3, v7
	v_ashrrev_i32_e32 v8, 31, v7
	s_ashr_i32 s17, s3, 31
	v_add_co_ci_u32_e64 v14, null, s5, 0, s2
	s_delay_alu instid0(VALU_DEP_3)
	v_add_nc_u32_e32 v21, s3, v9
	v_lshlrev_b64 v[5:6], 4, v[5:6]
	s_lshl_b64 s[12:13], s[16:17], 4
	v_ashrrev_i32_e32 v10, 31, v9
	v_add_co_u32 v15, vcc_lo, v13, s12
	v_add_nc_u32_e32 v25, s3, v21
	v_lshlrev_b64 v[19:20], 4, v[7:8]
	v_ashrrev_i32_e32 v22, 31, v21
	v_add_co_ci_u32_e32 v16, vcc_lo, s13, v14, vcc_lo
	v_add_co_u32 v17, vcc_lo, s4, v5
	v_lshlrev_b64 v[23:24], 4, v[9:10]
	v_add_nc_u32_e32 v30, s3, v25
	v_add_co_ci_u32_e32 v18, vcc_lo, s5, v6, vcc_lo
	v_add_co_u32 v19, vcc_lo, s4, v19
	v_lshlrev_b64 v[27:28], 4, v[21:22]
	v_ashrrev_i32_e32 v26, 31, v25
	v_add_co_ci_u32_e32 v20, vcc_lo, s5, v20, vcc_lo
	v_add_co_u32 v21, vcc_lo, s4, v23
	v_ashrrev_i32_e32 v31, 31, v30
	v_add_co_ci_u32_e32 v22, vcc_lo, s5, v24, vcc_lo
	v_lshlrev_b64 v[25:26], 4, v[25:26]
	v_add_co_u32 v23, vcc_lo, s4, v27
	v_add_co_ci_u32_e32 v24, vcc_lo, s5, v28, vcc_lo
	v_lshlrev_b64 v[27:28], 4, v[30:31]
	s_delay_alu instid0(VALU_DEP_4)
	v_add_co_u32 v25, vcc_lo, s4, v25
	v_add_co_ci_u32_e32 v26, vcc_lo, s5, v26, vcc_lo
	global_load_b128 v[1:4], v37, s[4:5]
	v_add_co_u32 v27, vcc_lo, s4, v27
	v_add_co_ci_u32_e32 v28, vcc_lo, s5, v28, vcc_lo
	s_clause 0x6
	global_load_b128 v[5:8], v[15:16], off
	global_load_b128 v[9:12], v[17:18], off
	;; [unrolled: 1-line block ×7, first 2 shown]
	s_movk_i32 s2, 0x50
	s_movk_i32 s3, 0x70
	v_add_nc_u32_e64 v32, s2, 0
	s_movk_i32 s2, 0x60
	v_add_nc_u32_e64 v31, 0, 16
	v_add_nc_u32_e64 v30, 0, 48
	;; [unrolled: 1-line block ×4, first 2 shown]
	s_mov_b32 s3, -1
	s_bitcmp0_b32 s15, 0
	s_waitcnt vmcnt(7)
	scratch_store_b128 off, v[1:4], off
	s_waitcnt vmcnt(6)
	scratch_store_b128 off, v[5:8], off offset:16
	s_waitcnt vmcnt(5)
	scratch_store_b128 off, v[9:12], off offset:32
	;; [unrolled: 2-line block ×7, first 2 shown]
	s_cbranch_scc1 .LBB71_44
; %bb.4:
	v_cmp_eq_u32_e64 s2, 0, v29
	s_delay_alu instid0(VALU_DEP_1)
	s_and_saveexec_b32 s3, s2
	s_cbranch_execz .LBB71_6
; %bb.5:
	v_mov_b32_e32 v1, 0
	ds_store_b32 v1, v1 offset:256
.LBB71_6:
	s_or_b32 exec_lo, exec_lo, s3
	s_waitcnt lgkmcnt(0)
	s_waitcnt_vscnt null, 0x0
	s_barrier
	buffer_gl0_inv
	scratch_load_b128 v[1:4], v37, off
	s_waitcnt vmcnt(0)
	v_cmp_eq_f64_e32 vcc_lo, 0, v[1:2]
	v_cmp_eq_f64_e64 s3, 0, v[3:4]
	s_delay_alu instid0(VALU_DEP_1) | instskip(NEXT) | instid1(SALU_CYCLE_1)
	s_and_b32 s3, vcc_lo, s3
	s_and_saveexec_b32 s4, s3
	s_cbranch_execz .LBB71_10
; %bb.7:
	v_mov_b32_e32 v1, 0
	s_mov_b32 s5, 0
	ds_load_b32 v2, v1 offset:256
	s_waitcnt lgkmcnt(0)
	v_readfirstlane_b32 s3, v2
	v_add_nc_u32_e32 v2, 1, v29
	s_delay_alu instid0(VALU_DEP_2) | instskip(NEXT) | instid1(VALU_DEP_1)
	s_cmp_eq_u32 s3, 0
	v_cmp_gt_i32_e32 vcc_lo, s3, v2
	s_cselect_b32 s12, -1, 0
	s_delay_alu instid0(SALU_CYCLE_1) | instskip(NEXT) | instid1(SALU_CYCLE_1)
	s_or_b32 s12, s12, vcc_lo
	s_and_b32 exec_lo, exec_lo, s12
	s_cbranch_execz .LBB71_10
; %bb.8:
	v_mov_b32_e32 v3, s3
.LBB71_9:                               ; =>This Inner Loop Header: Depth=1
	ds_cmpstore_rtn_b32 v3, v1, v2, v3 offset:256
	s_waitcnt lgkmcnt(0)
	v_cmp_ne_u32_e32 vcc_lo, 0, v3
	v_cmp_le_i32_e64 s3, v3, v2
	s_delay_alu instid0(VALU_DEP_1) | instskip(NEXT) | instid1(SALU_CYCLE_1)
	s_and_b32 s3, vcc_lo, s3
	s_and_b32 s3, exec_lo, s3
	s_delay_alu instid0(SALU_CYCLE_1) | instskip(NEXT) | instid1(SALU_CYCLE_1)
	s_or_b32 s5, s3, s5
	s_and_not1_b32 exec_lo, exec_lo, s5
	s_cbranch_execnz .LBB71_9
.LBB71_10:
	s_or_b32 exec_lo, exec_lo, s4
	v_mov_b32_e32 v1, 0
	s_barrier
	buffer_gl0_inv
	ds_load_b32 v2, v1 offset:256
	s_and_saveexec_b32 s3, s2
	s_cbranch_execz .LBB71_12
; %bb.11:
	s_lshl_b64 s[4:5], s[10:11], 2
	s_delay_alu instid0(SALU_CYCLE_1)
	s_add_u32 s4, s6, s4
	s_addc_u32 s5, s7, s5
	s_waitcnt lgkmcnt(0)
	global_store_b32 v1, v2, s[4:5]
.LBB71_12:
	s_or_b32 exec_lo, exec_lo, s3
	s_waitcnt lgkmcnt(0)
	v_cmp_ne_u32_e32 vcc_lo, 0, v2
	s_mov_b32 s3, 0
	s_cbranch_vccnz .LBB71_44
; %bb.13:
	v_add_nc_u32_e32 v38, 0, v37
                                        ; implicit-def: $vgpr9_vgpr10
	scratch_load_b128 v[1:4], v38, off
	s_waitcnt vmcnt(0)
	v_mov_b32_e32 v5, v1
	v_cmp_gt_f64_e32 vcc_lo, 0, v[1:2]
	v_xor_b32_e32 v6, 0x80000000, v2
	v_xor_b32_e32 v7, 0x80000000, v4
	s_delay_alu instid0(VALU_DEP_2) | instskip(SKIP_1) | instid1(VALU_DEP_3)
	v_cndmask_b32_e32 v6, v2, v6, vcc_lo
	v_cmp_gt_f64_e32 vcc_lo, 0, v[3:4]
	v_dual_cndmask_b32 v8, v4, v7 :: v_dual_mov_b32 v7, v3
	s_delay_alu instid0(VALU_DEP_1) | instskip(SKIP_1) | instid1(SALU_CYCLE_1)
	v_cmp_ngt_f64_e32 vcc_lo, v[5:6], v[7:8]
                                        ; implicit-def: $vgpr5_vgpr6
	s_and_saveexec_b32 s3, vcc_lo
	s_xor_b32 s3, exec_lo, s3
	s_cbranch_execz .LBB71_15
; %bb.14:
	v_div_scale_f64 v[5:6], null, v[3:4], v[3:4], v[1:2]
	v_div_scale_f64 v[11:12], vcc_lo, v[1:2], v[3:4], v[1:2]
	s_delay_alu instid0(VALU_DEP_2) | instskip(SKIP_2) | instid1(VALU_DEP_1)
	v_rcp_f64_e32 v[7:8], v[5:6]
	s_waitcnt_depctr 0xfff
	v_fma_f64 v[9:10], -v[5:6], v[7:8], 1.0
	v_fma_f64 v[7:8], v[7:8], v[9:10], v[7:8]
	s_delay_alu instid0(VALU_DEP_1) | instskip(NEXT) | instid1(VALU_DEP_1)
	v_fma_f64 v[9:10], -v[5:6], v[7:8], 1.0
	v_fma_f64 v[7:8], v[7:8], v[9:10], v[7:8]
	s_delay_alu instid0(VALU_DEP_1) | instskip(NEXT) | instid1(VALU_DEP_1)
	v_mul_f64 v[9:10], v[11:12], v[7:8]
	v_fma_f64 v[5:6], -v[5:6], v[9:10], v[11:12]
	s_delay_alu instid0(VALU_DEP_1) | instskip(NEXT) | instid1(VALU_DEP_1)
	v_div_fmas_f64 v[5:6], v[5:6], v[7:8], v[9:10]
	v_div_fixup_f64 v[5:6], v[5:6], v[3:4], v[1:2]
	s_delay_alu instid0(VALU_DEP_1) | instskip(NEXT) | instid1(VALU_DEP_1)
	v_fma_f64 v[1:2], v[1:2], v[5:6], v[3:4]
	v_div_scale_f64 v[3:4], null, v[1:2], v[1:2], 1.0
	v_div_scale_f64 v[11:12], vcc_lo, 1.0, v[1:2], 1.0
	s_delay_alu instid0(VALU_DEP_2) | instskip(SKIP_2) | instid1(VALU_DEP_1)
	v_rcp_f64_e32 v[7:8], v[3:4]
	s_waitcnt_depctr 0xfff
	v_fma_f64 v[9:10], -v[3:4], v[7:8], 1.0
	v_fma_f64 v[7:8], v[7:8], v[9:10], v[7:8]
	s_delay_alu instid0(VALU_DEP_1) | instskip(NEXT) | instid1(VALU_DEP_1)
	v_fma_f64 v[9:10], -v[3:4], v[7:8], 1.0
	v_fma_f64 v[7:8], v[7:8], v[9:10], v[7:8]
	s_delay_alu instid0(VALU_DEP_1) | instskip(NEXT) | instid1(VALU_DEP_1)
	v_mul_f64 v[9:10], v[11:12], v[7:8]
	v_fma_f64 v[3:4], -v[3:4], v[9:10], v[11:12]
	s_delay_alu instid0(VALU_DEP_1) | instskip(NEXT) | instid1(VALU_DEP_1)
	v_div_fmas_f64 v[3:4], v[3:4], v[7:8], v[9:10]
	v_div_fixup_f64 v[7:8], v[3:4], v[1:2], 1.0
                                        ; implicit-def: $vgpr1_vgpr2
	s_delay_alu instid0(VALU_DEP_1) | instskip(SKIP_1) | instid1(VALU_DEP_2)
	v_mul_f64 v[5:6], v[5:6], v[7:8]
	v_xor_b32_e32 v8, 0x80000000, v8
	v_xor_b32_e32 v10, 0x80000000, v6
	s_delay_alu instid0(VALU_DEP_3)
	v_mov_b32_e32 v9, v5
.LBB71_15:
	s_and_not1_saveexec_b32 s3, s3
	s_cbranch_execz .LBB71_17
; %bb.16:
	v_div_scale_f64 v[5:6], null, v[1:2], v[1:2], v[3:4]
	v_div_scale_f64 v[11:12], vcc_lo, v[3:4], v[1:2], v[3:4]
	s_delay_alu instid0(VALU_DEP_2) | instskip(SKIP_2) | instid1(VALU_DEP_1)
	v_rcp_f64_e32 v[7:8], v[5:6]
	s_waitcnt_depctr 0xfff
	v_fma_f64 v[9:10], -v[5:6], v[7:8], 1.0
	v_fma_f64 v[7:8], v[7:8], v[9:10], v[7:8]
	s_delay_alu instid0(VALU_DEP_1) | instskip(NEXT) | instid1(VALU_DEP_1)
	v_fma_f64 v[9:10], -v[5:6], v[7:8], 1.0
	v_fma_f64 v[7:8], v[7:8], v[9:10], v[7:8]
	s_delay_alu instid0(VALU_DEP_1) | instskip(NEXT) | instid1(VALU_DEP_1)
	v_mul_f64 v[9:10], v[11:12], v[7:8]
	v_fma_f64 v[5:6], -v[5:6], v[9:10], v[11:12]
	s_delay_alu instid0(VALU_DEP_1) | instskip(NEXT) | instid1(VALU_DEP_1)
	v_div_fmas_f64 v[5:6], v[5:6], v[7:8], v[9:10]
	v_div_fixup_f64 v[7:8], v[5:6], v[1:2], v[3:4]
	s_delay_alu instid0(VALU_DEP_1) | instskip(NEXT) | instid1(VALU_DEP_1)
	v_fma_f64 v[1:2], v[3:4], v[7:8], v[1:2]
	v_div_scale_f64 v[3:4], null, v[1:2], v[1:2], 1.0
	s_delay_alu instid0(VALU_DEP_1) | instskip(SKIP_2) | instid1(VALU_DEP_1)
	v_rcp_f64_e32 v[5:6], v[3:4]
	s_waitcnt_depctr 0xfff
	v_fma_f64 v[9:10], -v[3:4], v[5:6], 1.0
	v_fma_f64 v[5:6], v[5:6], v[9:10], v[5:6]
	s_delay_alu instid0(VALU_DEP_1) | instskip(NEXT) | instid1(VALU_DEP_1)
	v_fma_f64 v[9:10], -v[3:4], v[5:6], 1.0
	v_fma_f64 v[5:6], v[5:6], v[9:10], v[5:6]
	v_div_scale_f64 v[9:10], vcc_lo, 1.0, v[1:2], 1.0
	s_delay_alu instid0(VALU_DEP_1) | instskip(NEXT) | instid1(VALU_DEP_1)
	v_mul_f64 v[11:12], v[9:10], v[5:6]
	v_fma_f64 v[3:4], -v[3:4], v[11:12], v[9:10]
	s_delay_alu instid0(VALU_DEP_1) | instskip(NEXT) | instid1(VALU_DEP_1)
	v_div_fmas_f64 v[3:4], v[3:4], v[5:6], v[11:12]
	v_div_fixup_f64 v[5:6], v[3:4], v[1:2], 1.0
	s_delay_alu instid0(VALU_DEP_1)
	v_mul_f64 v[7:8], v[7:8], -v[5:6]
	v_xor_b32_e32 v10, 0x80000000, v6
	v_mov_b32_e32 v9, v5
.LBB71_17:
	s_or_b32 exec_lo, exec_lo, s3
	scratch_store_b128 v38, v[5:8], off
	scratch_load_b128 v[1:4], v31, off
	v_xor_b32_e32 v12, 0x80000000, v8
	v_mov_b32_e32 v11, v7
	v_add_nc_u32_e32 v5, 0x80, v37
	ds_store_b128 v37, v[9:12]
	s_waitcnt vmcnt(0)
	ds_store_b128 v37, v[1:4] offset:128
	s_waitcnt lgkmcnt(0)
	s_waitcnt_vscnt null, 0x0
	s_barrier
	buffer_gl0_inv
	s_and_saveexec_b32 s3, s2
	s_cbranch_execz .LBB71_19
; %bb.18:
	scratch_load_b128 v[1:4], v38, off
	ds_load_b128 v[6:9], v5
	v_mov_b32_e32 v10, 0
	ds_load_b128 v[39:42], v10 offset:16
	s_waitcnt vmcnt(0) lgkmcnt(1)
	v_mul_f64 v[10:11], v[6:7], v[3:4]
	v_mul_f64 v[3:4], v[8:9], v[3:4]
	s_delay_alu instid0(VALU_DEP_2) | instskip(NEXT) | instid1(VALU_DEP_2)
	v_fma_f64 v[8:9], v[8:9], v[1:2], v[10:11]
	v_fma_f64 v[1:2], v[6:7], v[1:2], -v[3:4]
	s_delay_alu instid0(VALU_DEP_2) | instskip(NEXT) | instid1(VALU_DEP_2)
	v_add_f64 v[3:4], v[8:9], 0
	v_add_f64 v[1:2], v[1:2], 0
	s_waitcnt lgkmcnt(0)
	s_delay_alu instid0(VALU_DEP_2) | instskip(NEXT) | instid1(VALU_DEP_2)
	v_mul_f64 v[6:7], v[3:4], v[41:42]
	v_mul_f64 v[8:9], v[1:2], v[41:42]
	s_delay_alu instid0(VALU_DEP_2) | instskip(NEXT) | instid1(VALU_DEP_2)
	v_fma_f64 v[1:2], v[1:2], v[39:40], -v[6:7]
	v_fma_f64 v[3:4], v[3:4], v[39:40], v[8:9]
	scratch_store_b128 off, v[1:4], off offset:16
.LBB71_19:
	s_or_b32 exec_lo, exec_lo, s3
	s_waitcnt_vscnt null, 0x0
	s_barrier
	buffer_gl0_inv
	scratch_load_b128 v[1:4], v33, off
	s_mov_b32 s3, exec_lo
	s_waitcnt vmcnt(0)
	ds_store_b128 v5, v[1:4]
	s_waitcnt lgkmcnt(0)
	s_barrier
	buffer_gl0_inv
	v_cmpx_gt_u32_e32 2, v29
	s_cbranch_execz .LBB71_23
; %bb.20:
	scratch_load_b128 v[1:4], v38, off
	ds_load_b128 v[6:9], v5
	s_waitcnt vmcnt(0) lgkmcnt(0)
	v_mul_f64 v[10:11], v[8:9], v[3:4]
	v_mul_f64 v[3:4], v[6:7], v[3:4]
	s_delay_alu instid0(VALU_DEP_2) | instskip(NEXT) | instid1(VALU_DEP_2)
	v_fma_f64 v[6:7], v[6:7], v[1:2], -v[10:11]
	v_fma_f64 v[3:4], v[8:9], v[1:2], v[3:4]
	s_delay_alu instid0(VALU_DEP_2) | instskip(NEXT) | instid1(VALU_DEP_2)
	v_add_f64 v[1:2], v[6:7], 0
	v_add_f64 v[3:4], v[3:4], 0
	s_and_saveexec_b32 s4, s2
	s_cbranch_execz .LBB71_22
; %bb.21:
	scratch_load_b128 v[6:9], off, off offset:16
	v_mov_b32_e32 v10, 0
	ds_load_b128 v[39:42], v10 offset:144
	s_waitcnt vmcnt(0) lgkmcnt(0)
	v_mul_f64 v[10:11], v[39:40], v[8:9]
	v_mul_f64 v[8:9], v[41:42], v[8:9]
	s_delay_alu instid0(VALU_DEP_2) | instskip(NEXT) | instid1(VALU_DEP_2)
	v_fma_f64 v[10:11], v[41:42], v[6:7], v[10:11]
	v_fma_f64 v[6:7], v[39:40], v[6:7], -v[8:9]
	s_delay_alu instid0(VALU_DEP_2) | instskip(NEXT) | instid1(VALU_DEP_2)
	v_add_f64 v[3:4], v[3:4], v[10:11]
	v_add_f64 v[1:2], v[1:2], v[6:7]
.LBB71_22:
	s_or_b32 exec_lo, exec_lo, s4
	v_mov_b32_e32 v6, 0
	ds_load_b128 v[6:9], v6 offset:32
	s_waitcnt lgkmcnt(0)
	v_mul_f64 v[10:11], v[3:4], v[8:9]
	v_mul_f64 v[8:9], v[1:2], v[8:9]
	s_delay_alu instid0(VALU_DEP_2) | instskip(NEXT) | instid1(VALU_DEP_2)
	v_fma_f64 v[1:2], v[1:2], v[6:7], -v[10:11]
	v_fma_f64 v[3:4], v[3:4], v[6:7], v[8:9]
	scratch_store_b128 off, v[1:4], off offset:32
.LBB71_23:
	s_or_b32 exec_lo, exec_lo, s3
	s_waitcnt_vscnt null, 0x0
	s_barrier
	buffer_gl0_inv
	scratch_load_b128 v[1:4], v30, off
	v_add_nc_u32_e32 v6, -1, v29
	s_mov_b32 s2, exec_lo
	s_waitcnt vmcnt(0)
	ds_store_b128 v5, v[1:4]
	s_waitcnt lgkmcnt(0)
	s_barrier
	buffer_gl0_inv
	v_cmpx_gt_u32_e32 3, v29
	s_cbranch_execz .LBB71_27
; %bb.24:
	v_dual_mov_b32 v1, 0 :: v_dual_add_nc_u32 v8, 0x80, v37
	v_dual_mov_b32 v2, 0 :: v_dual_add_nc_u32 v7, -1, v29
	v_or_b32_e32 v9, 8, v38
	s_mov_b32 s3, 0
	s_delay_alu instid0(VALU_DEP_2)
	v_dual_mov_b32 v4, v2 :: v_dual_mov_b32 v3, v1
	.p2align	6
.LBB71_25:                              ; =>This Inner Loop Header: Depth=1
	scratch_load_b128 v[39:42], v9, off offset:-8
	ds_load_b128 v[43:46], v8
	v_add_nc_u32_e32 v7, 1, v7
	v_add_nc_u32_e32 v8, 16, v8
	;; [unrolled: 1-line block ×3, first 2 shown]
	s_delay_alu instid0(VALU_DEP_3) | instskip(SKIP_4) | instid1(VALU_DEP_2)
	v_cmp_lt_u32_e32 vcc_lo, 1, v7
	s_or_b32 s3, vcc_lo, s3
	s_waitcnt vmcnt(0) lgkmcnt(0)
	v_mul_f64 v[10:11], v[45:46], v[41:42]
	v_mul_f64 v[41:42], v[43:44], v[41:42]
	v_fma_f64 v[10:11], v[43:44], v[39:40], -v[10:11]
	s_delay_alu instid0(VALU_DEP_2) | instskip(NEXT) | instid1(VALU_DEP_2)
	v_fma_f64 v[39:40], v[45:46], v[39:40], v[41:42]
	v_add_f64 v[3:4], v[3:4], v[10:11]
	s_delay_alu instid0(VALU_DEP_2)
	v_add_f64 v[1:2], v[1:2], v[39:40]
	s_and_not1_b32 exec_lo, exec_lo, s3
	s_cbranch_execnz .LBB71_25
; %bb.26:
	s_or_b32 exec_lo, exec_lo, s3
	v_mov_b32_e32 v7, 0
	ds_load_b128 v[7:10], v7 offset:48
	s_waitcnt lgkmcnt(0)
	v_mul_f64 v[11:12], v[1:2], v[9:10]
	v_mul_f64 v[39:40], v[3:4], v[9:10]
	s_delay_alu instid0(VALU_DEP_2) | instskip(NEXT) | instid1(VALU_DEP_2)
	v_fma_f64 v[9:10], v[3:4], v[7:8], -v[11:12]
	v_fma_f64 v[11:12], v[1:2], v[7:8], v[39:40]
	scratch_store_b128 off, v[9:12], off offset:48
.LBB71_27:
	s_or_b32 exec_lo, exec_lo, s2
	s_waitcnt_vscnt null, 0x0
	s_barrier
	buffer_gl0_inv
	scratch_load_b128 v[1:4], v34, off
	s_mov_b32 s2, exec_lo
	s_waitcnt vmcnt(0)
	ds_store_b128 v5, v[1:4]
	s_waitcnt lgkmcnt(0)
	s_barrier
	buffer_gl0_inv
	v_cmpx_gt_u32_e32 4, v29
	s_cbranch_execz .LBB71_31
; %bb.28:
	v_dual_mov_b32 v1, 0 :: v_dual_add_nc_u32 v8, 0x80, v37
	v_dual_mov_b32 v2, 0 :: v_dual_add_nc_u32 v7, -1, v29
	v_or_b32_e32 v9, 8, v38
	s_mov_b32 s3, 0
	s_delay_alu instid0(VALU_DEP_2)
	v_dual_mov_b32 v4, v2 :: v_dual_mov_b32 v3, v1
	.p2align	6
.LBB71_29:                              ; =>This Inner Loop Header: Depth=1
	scratch_load_b128 v[39:42], v9, off offset:-8
	ds_load_b128 v[43:46], v8
	v_add_nc_u32_e32 v7, 1, v7
	v_add_nc_u32_e32 v8, 16, v8
	;; [unrolled: 1-line block ×3, first 2 shown]
	s_delay_alu instid0(VALU_DEP_3) | instskip(SKIP_4) | instid1(VALU_DEP_2)
	v_cmp_lt_u32_e32 vcc_lo, 2, v7
	s_or_b32 s3, vcc_lo, s3
	s_waitcnt vmcnt(0) lgkmcnt(0)
	v_mul_f64 v[10:11], v[45:46], v[41:42]
	v_mul_f64 v[41:42], v[43:44], v[41:42]
	v_fma_f64 v[10:11], v[43:44], v[39:40], -v[10:11]
	s_delay_alu instid0(VALU_DEP_2) | instskip(NEXT) | instid1(VALU_DEP_2)
	v_fma_f64 v[39:40], v[45:46], v[39:40], v[41:42]
	v_add_f64 v[3:4], v[3:4], v[10:11]
	s_delay_alu instid0(VALU_DEP_2)
	v_add_f64 v[1:2], v[1:2], v[39:40]
	s_and_not1_b32 exec_lo, exec_lo, s3
	s_cbranch_execnz .LBB71_29
; %bb.30:
	s_or_b32 exec_lo, exec_lo, s3
	v_mov_b32_e32 v7, 0
	ds_load_b128 v[7:10], v7 offset:64
	s_waitcnt lgkmcnt(0)
	v_mul_f64 v[11:12], v[1:2], v[9:10]
	v_mul_f64 v[39:40], v[3:4], v[9:10]
	s_delay_alu instid0(VALU_DEP_2) | instskip(NEXT) | instid1(VALU_DEP_2)
	v_fma_f64 v[9:10], v[3:4], v[7:8], -v[11:12]
	v_fma_f64 v[11:12], v[1:2], v[7:8], v[39:40]
	scratch_store_b128 off, v[9:12], off offset:64
.LBB71_31:
	s_or_b32 exec_lo, exec_lo, s2
	s_waitcnt_vscnt null, 0x0
	s_barrier
	buffer_gl0_inv
	scratch_load_b128 v[1:4], v32, off
	s_mov_b32 s2, exec_lo
	s_waitcnt vmcnt(0)
	ds_store_b128 v5, v[1:4]
	s_waitcnt lgkmcnt(0)
	s_barrier
	buffer_gl0_inv
	v_cmpx_gt_u32_e32 5, v29
	s_cbranch_execz .LBB71_35
; %bb.32:
	v_dual_mov_b32 v1, 0 :: v_dual_add_nc_u32 v8, 0x80, v37
	v_dual_mov_b32 v2, 0 :: v_dual_add_nc_u32 v7, -1, v29
	v_or_b32_e32 v9, 8, v38
	s_mov_b32 s3, 0
	s_delay_alu instid0(VALU_DEP_2)
	v_dual_mov_b32 v4, v2 :: v_dual_mov_b32 v3, v1
	.p2align	6
.LBB71_33:                              ; =>This Inner Loop Header: Depth=1
	scratch_load_b128 v[39:42], v9, off offset:-8
	ds_load_b128 v[43:46], v8
	v_add_nc_u32_e32 v7, 1, v7
	v_add_nc_u32_e32 v8, 16, v8
	;; [unrolled: 1-line block ×3, first 2 shown]
	s_delay_alu instid0(VALU_DEP_3) | instskip(SKIP_4) | instid1(VALU_DEP_2)
	v_cmp_lt_u32_e32 vcc_lo, 3, v7
	s_or_b32 s3, vcc_lo, s3
	s_waitcnt vmcnt(0) lgkmcnt(0)
	v_mul_f64 v[10:11], v[45:46], v[41:42]
	v_mul_f64 v[41:42], v[43:44], v[41:42]
	v_fma_f64 v[10:11], v[43:44], v[39:40], -v[10:11]
	s_delay_alu instid0(VALU_DEP_2) | instskip(NEXT) | instid1(VALU_DEP_2)
	v_fma_f64 v[39:40], v[45:46], v[39:40], v[41:42]
	v_add_f64 v[3:4], v[3:4], v[10:11]
	s_delay_alu instid0(VALU_DEP_2)
	v_add_f64 v[1:2], v[1:2], v[39:40]
	s_and_not1_b32 exec_lo, exec_lo, s3
	s_cbranch_execnz .LBB71_33
; %bb.34:
	s_or_b32 exec_lo, exec_lo, s3
	v_mov_b32_e32 v7, 0
	ds_load_b128 v[7:10], v7 offset:80
	s_waitcnt lgkmcnt(0)
	v_mul_f64 v[11:12], v[1:2], v[9:10]
	v_mul_f64 v[39:40], v[3:4], v[9:10]
	s_delay_alu instid0(VALU_DEP_2) | instskip(NEXT) | instid1(VALU_DEP_2)
	v_fma_f64 v[9:10], v[3:4], v[7:8], -v[11:12]
	v_fma_f64 v[11:12], v[1:2], v[7:8], v[39:40]
	scratch_store_b128 off, v[9:12], off offset:80
.LBB71_35:
	s_or_b32 exec_lo, exec_lo, s2
	s_waitcnt_vscnt null, 0x0
	s_barrier
	buffer_gl0_inv
	scratch_load_b128 v[1:4], v36, off
	s_mov_b32 s2, exec_lo
	s_waitcnt vmcnt(0)
	ds_store_b128 v5, v[1:4]
	s_waitcnt lgkmcnt(0)
	s_barrier
	buffer_gl0_inv
	v_cmpx_gt_u32_e32 6, v29
	s_cbranch_execz .LBB71_39
; %bb.36:
	v_dual_mov_b32 v1, 0 :: v_dual_add_nc_u32 v8, 0x80, v37
	v_dual_mov_b32 v2, 0 :: v_dual_add_nc_u32 v7, -1, v29
	v_or_b32_e32 v9, 8, v38
	s_mov_b32 s3, 0
	s_delay_alu instid0(VALU_DEP_2)
	v_dual_mov_b32 v4, v2 :: v_dual_mov_b32 v3, v1
	.p2align	6
.LBB71_37:                              ; =>This Inner Loop Header: Depth=1
	scratch_load_b128 v[39:42], v9, off offset:-8
	ds_load_b128 v[43:46], v8
	v_add_nc_u32_e32 v7, 1, v7
	v_add_nc_u32_e32 v8, 16, v8
	;; [unrolled: 1-line block ×3, first 2 shown]
	s_delay_alu instid0(VALU_DEP_3) | instskip(SKIP_4) | instid1(VALU_DEP_2)
	v_cmp_lt_u32_e32 vcc_lo, 4, v7
	s_or_b32 s3, vcc_lo, s3
	s_waitcnt vmcnt(0) lgkmcnt(0)
	v_mul_f64 v[10:11], v[45:46], v[41:42]
	v_mul_f64 v[41:42], v[43:44], v[41:42]
	v_fma_f64 v[10:11], v[43:44], v[39:40], -v[10:11]
	s_delay_alu instid0(VALU_DEP_2) | instskip(NEXT) | instid1(VALU_DEP_2)
	v_fma_f64 v[39:40], v[45:46], v[39:40], v[41:42]
	v_add_f64 v[3:4], v[3:4], v[10:11]
	s_delay_alu instid0(VALU_DEP_2)
	v_add_f64 v[1:2], v[1:2], v[39:40]
	s_and_not1_b32 exec_lo, exec_lo, s3
	s_cbranch_execnz .LBB71_37
; %bb.38:
	s_or_b32 exec_lo, exec_lo, s3
	v_mov_b32_e32 v7, 0
	ds_load_b128 v[7:10], v7 offset:96
	s_waitcnt lgkmcnt(0)
	v_mul_f64 v[11:12], v[1:2], v[9:10]
	v_mul_f64 v[39:40], v[3:4], v[9:10]
	s_delay_alu instid0(VALU_DEP_2) | instskip(NEXT) | instid1(VALU_DEP_2)
	v_fma_f64 v[9:10], v[3:4], v[7:8], -v[11:12]
	v_fma_f64 v[11:12], v[1:2], v[7:8], v[39:40]
	scratch_store_b128 off, v[9:12], off offset:96
.LBB71_39:
	s_or_b32 exec_lo, exec_lo, s2
	s_waitcnt_vscnt null, 0x0
	s_barrier
	buffer_gl0_inv
	scratch_load_b128 v[1:4], v35, off
	s_mov_b32 s2, exec_lo
	s_waitcnt vmcnt(0)
	ds_store_b128 v5, v[1:4]
	s_waitcnt lgkmcnt(0)
	s_barrier
	buffer_gl0_inv
	v_cmpx_ne_u32_e32 7, v29
	s_cbranch_execz .LBB71_43
; %bb.40:
	v_mov_b32_e32 v1, 0
	v_mov_b32_e32 v2, 0
	v_or_b32_e32 v7, 8, v38
	s_mov_b32 s3, 0
	s_delay_alu instid0(VALU_DEP_2)
	v_dual_mov_b32 v4, v2 :: v_dual_mov_b32 v3, v1
	.p2align	6
.LBB71_41:                              ; =>This Inner Loop Header: Depth=1
	scratch_load_b128 v[8:11], v7, off offset:-8
	ds_load_b128 v[37:40], v5
	v_add_nc_u32_e32 v6, 1, v6
	v_add_nc_u32_e32 v5, 16, v5
	;; [unrolled: 1-line block ×3, first 2 shown]
	s_delay_alu instid0(VALU_DEP_3) | instskip(SKIP_4) | instid1(VALU_DEP_2)
	v_cmp_lt_u32_e32 vcc_lo, 5, v6
	s_or_b32 s3, vcc_lo, s3
	s_waitcnt vmcnt(0) lgkmcnt(0)
	v_mul_f64 v[41:42], v[39:40], v[10:11]
	v_mul_f64 v[10:11], v[37:38], v[10:11]
	v_fma_f64 v[37:38], v[37:38], v[8:9], -v[41:42]
	s_delay_alu instid0(VALU_DEP_2) | instskip(NEXT) | instid1(VALU_DEP_2)
	v_fma_f64 v[8:9], v[39:40], v[8:9], v[10:11]
	v_add_f64 v[3:4], v[3:4], v[37:38]
	s_delay_alu instid0(VALU_DEP_2)
	v_add_f64 v[1:2], v[1:2], v[8:9]
	s_and_not1_b32 exec_lo, exec_lo, s3
	s_cbranch_execnz .LBB71_41
; %bb.42:
	s_or_b32 exec_lo, exec_lo, s3
	v_mov_b32_e32 v5, 0
	ds_load_b128 v[5:8], v5 offset:112
	s_waitcnt lgkmcnt(0)
	v_mul_f64 v[9:10], v[1:2], v[7:8]
	v_mul_f64 v[7:8], v[3:4], v[7:8]
	s_delay_alu instid0(VALU_DEP_2) | instskip(NEXT) | instid1(VALU_DEP_2)
	v_fma_f64 v[3:4], v[3:4], v[5:6], -v[9:10]
	v_fma_f64 v[5:6], v[1:2], v[5:6], v[7:8]
	scratch_store_b128 off, v[3:6], off offset:112
.LBB71_43:
	s_or_b32 exec_lo, exec_lo, s2
	s_mov_b32 s3, -1
	s_waitcnt_vscnt null, 0x0
	s_barrier
	buffer_gl0_inv
.LBB71_44:
	s_and_b32 vcc_lo, exec_lo, s3
	s_cbranch_vccz .LBB71_46
; %bb.45:
	s_lshl_b64 s[2:3], s[10:11], 2
	v_mov_b32_e32 v1, 0
	s_add_u32 s2, s6, s2
	s_addc_u32 s3, s7, s3
	global_load_b32 v1, v1, s[2:3]
	s_waitcnt vmcnt(0)
	v_cmp_ne_u32_e32 vcc_lo, 0, v1
	s_cbranch_vccz .LBB71_47
.LBB71_46:
	s_endpgm
.LBB71_47:
	v_lshl_add_u32 v5, v29, 4, 0x80
	s_mov_b32 s2, exec_lo
	v_cmpx_eq_u32_e32 7, v29
	s_cbranch_execz .LBB71_49
; %bb.48:
	scratch_load_b128 v[1:4], v36, off
	v_mov_b32_e32 v6, 0
	s_delay_alu instid0(VALU_DEP_1)
	v_mov_b32_e32 v7, v6
	v_mov_b32_e32 v8, v6
	;; [unrolled: 1-line block ×3, first 2 shown]
	scratch_store_b128 off, v[6:9], off offset:96
	s_waitcnt vmcnt(0)
	ds_store_b128 v5, v[1:4]
.LBB71_49:
	s_or_b32 exec_lo, exec_lo, s2
	s_waitcnt lgkmcnt(0)
	s_waitcnt_vscnt null, 0x0
	s_barrier
	buffer_gl0_inv
	s_clause 0x1
	scratch_load_b128 v[6:9], off, off offset:112
	scratch_load_b128 v[37:40], off, off offset:96
	v_mov_b32_e32 v1, 0
	s_mov_b32 s2, exec_lo
	ds_load_b128 v[41:44], v1 offset:240
	s_waitcnt vmcnt(1) lgkmcnt(0)
	v_mul_f64 v[2:3], v[43:44], v[8:9]
	v_mul_f64 v[8:9], v[41:42], v[8:9]
	s_delay_alu instid0(VALU_DEP_2) | instskip(NEXT) | instid1(VALU_DEP_2)
	v_fma_f64 v[2:3], v[41:42], v[6:7], -v[2:3]
	v_fma_f64 v[6:7], v[43:44], v[6:7], v[8:9]
	s_delay_alu instid0(VALU_DEP_2) | instskip(NEXT) | instid1(VALU_DEP_2)
	v_add_f64 v[2:3], v[2:3], 0
	v_add_f64 v[8:9], v[6:7], 0
	s_waitcnt vmcnt(0)
	s_delay_alu instid0(VALU_DEP_2) | instskip(NEXT) | instid1(VALU_DEP_2)
	v_add_f64 v[6:7], v[37:38], -v[2:3]
	v_add_f64 v[8:9], v[39:40], -v[8:9]
	scratch_store_b128 off, v[6:9], off offset:96
	v_cmpx_lt_u32_e32 5, v29
	s_cbranch_execz .LBB71_51
; %bb.50:
	scratch_load_b128 v[6:9], v32, off
	v_mov_b32_e32 v2, v1
	v_mov_b32_e32 v3, v1
	;; [unrolled: 1-line block ×3, first 2 shown]
	scratch_store_b128 off, v[1:4], off offset:80
	s_waitcnt vmcnt(0)
	ds_store_b128 v5, v[6:9]
.LBB71_51:
	s_or_b32 exec_lo, exec_lo, s2
	s_waitcnt lgkmcnt(0)
	s_waitcnt_vscnt null, 0x0
	s_barrier
	buffer_gl0_inv
	s_clause 0x2
	scratch_load_b128 v[6:9], off, off offset:96
	scratch_load_b128 v[37:40], off, off offset:112
	;; [unrolled: 1-line block ×3, first 2 shown]
	ds_load_b128 v[45:48], v1 offset:224
	ds_load_b128 v[1:4], v1 offset:240
	s_mov_b32 s2, exec_lo
	s_waitcnt vmcnt(2) lgkmcnt(1)
	v_mul_f64 v[10:11], v[47:48], v[8:9]
	v_mul_f64 v[8:9], v[45:46], v[8:9]
	s_waitcnt vmcnt(1) lgkmcnt(0)
	v_mul_f64 v[49:50], v[1:2], v[39:40]
	v_mul_f64 v[39:40], v[3:4], v[39:40]
	s_delay_alu instid0(VALU_DEP_4) | instskip(NEXT) | instid1(VALU_DEP_4)
	v_fma_f64 v[10:11], v[45:46], v[6:7], -v[10:11]
	v_fma_f64 v[6:7], v[47:48], v[6:7], v[8:9]
	s_delay_alu instid0(VALU_DEP_4) | instskip(NEXT) | instid1(VALU_DEP_4)
	v_fma_f64 v[3:4], v[3:4], v[37:38], v[49:50]
	v_fma_f64 v[1:2], v[1:2], v[37:38], -v[39:40]
	s_delay_alu instid0(VALU_DEP_4) | instskip(NEXT) | instid1(VALU_DEP_4)
	v_add_f64 v[8:9], v[10:11], 0
	v_add_f64 v[6:7], v[6:7], 0
	s_delay_alu instid0(VALU_DEP_2) | instskip(NEXT) | instid1(VALU_DEP_2)
	v_add_f64 v[1:2], v[8:9], v[1:2]
	v_add_f64 v[3:4], v[6:7], v[3:4]
	s_waitcnt vmcnt(0)
	s_delay_alu instid0(VALU_DEP_2) | instskip(NEXT) | instid1(VALU_DEP_2)
	v_add_f64 v[1:2], v[41:42], -v[1:2]
	v_add_f64 v[3:4], v[43:44], -v[3:4]
	scratch_store_b128 off, v[1:4], off offset:80
	v_cmpx_lt_u32_e32 4, v29
	s_cbranch_execz .LBB71_53
; %bb.52:
	scratch_load_b128 v[1:4], v34, off
	v_mov_b32_e32 v6, 0
	s_delay_alu instid0(VALU_DEP_1)
	v_mov_b32_e32 v7, v6
	v_mov_b32_e32 v8, v6
	v_mov_b32_e32 v9, v6
	scratch_store_b128 off, v[6:9], off offset:64
	s_waitcnt vmcnt(0)
	ds_store_b128 v5, v[1:4]
.LBB71_53:
	s_or_b32 exec_lo, exec_lo, s2
	s_waitcnt lgkmcnt(0)
	s_waitcnt_vscnt null, 0x0
	s_barrier
	buffer_gl0_inv
	s_clause 0x3
	scratch_load_b128 v[6:9], off, off offset:80
	scratch_load_b128 v[37:40], off, off offset:96
	;; [unrolled: 1-line block ×4, first 2 shown]
	v_mov_b32_e32 v1, 0
	ds_load_b128 v[49:52], v1 offset:208
	ds_load_b128 v[53:56], v1 offset:224
	s_mov_b32 s2, exec_lo
	s_waitcnt vmcnt(3) lgkmcnt(1)
	v_mul_f64 v[2:3], v[51:52], v[8:9]
	v_mul_f64 v[8:9], v[49:50], v[8:9]
	s_waitcnt vmcnt(2) lgkmcnt(0)
	v_mul_f64 v[10:11], v[53:54], v[39:40]
	v_mul_f64 v[39:40], v[55:56], v[39:40]
	s_delay_alu instid0(VALU_DEP_4) | instskip(NEXT) | instid1(VALU_DEP_4)
	v_fma_f64 v[2:3], v[49:50], v[6:7], -v[2:3]
	v_fma_f64 v[49:50], v[51:52], v[6:7], v[8:9]
	ds_load_b128 v[6:9], v1 offset:240
	v_fma_f64 v[10:11], v[55:56], v[37:38], v[10:11]
	v_fma_f64 v[37:38], v[53:54], v[37:38], -v[39:40]
	s_waitcnt vmcnt(1) lgkmcnt(0)
	v_mul_f64 v[51:52], v[6:7], v[43:44]
	v_mul_f64 v[43:44], v[8:9], v[43:44]
	v_add_f64 v[2:3], v[2:3], 0
	v_add_f64 v[39:40], v[49:50], 0
	s_delay_alu instid0(VALU_DEP_4) | instskip(NEXT) | instid1(VALU_DEP_4)
	v_fma_f64 v[8:9], v[8:9], v[41:42], v[51:52]
	v_fma_f64 v[6:7], v[6:7], v[41:42], -v[43:44]
	s_delay_alu instid0(VALU_DEP_4) | instskip(NEXT) | instid1(VALU_DEP_4)
	v_add_f64 v[2:3], v[2:3], v[37:38]
	v_add_f64 v[10:11], v[39:40], v[10:11]
	s_delay_alu instid0(VALU_DEP_2) | instskip(NEXT) | instid1(VALU_DEP_2)
	v_add_f64 v[2:3], v[2:3], v[6:7]
	v_add_f64 v[8:9], v[10:11], v[8:9]
	s_waitcnt vmcnt(0)
	s_delay_alu instid0(VALU_DEP_2) | instskip(NEXT) | instid1(VALU_DEP_2)
	v_add_f64 v[6:7], v[45:46], -v[2:3]
	v_add_f64 v[8:9], v[47:48], -v[8:9]
	scratch_store_b128 off, v[6:9], off offset:64
	v_cmpx_lt_u32_e32 3, v29
	s_cbranch_execz .LBB71_55
; %bb.54:
	scratch_load_b128 v[6:9], v30, off
	v_mov_b32_e32 v2, v1
	v_mov_b32_e32 v3, v1
	;; [unrolled: 1-line block ×3, first 2 shown]
	scratch_store_b128 off, v[1:4], off offset:48
	s_waitcnt vmcnt(0)
	ds_store_b128 v5, v[6:9]
.LBB71_55:
	s_or_b32 exec_lo, exec_lo, s2
	s_waitcnt lgkmcnt(0)
	s_waitcnt_vscnt null, 0x0
	s_barrier
	buffer_gl0_inv
	s_clause 0x4
	scratch_load_b128 v[6:9], off, off offset:64
	scratch_load_b128 v[37:40], off, off offset:80
	;; [unrolled: 1-line block ×5, first 2 shown]
	ds_load_b128 v[53:56], v1 offset:192
	ds_load_b128 v[57:60], v1 offset:208
	s_mov_b32 s2, exec_lo
	s_waitcnt vmcnt(4) lgkmcnt(1)
	v_mul_f64 v[2:3], v[55:56], v[8:9]
	v_mul_f64 v[8:9], v[53:54], v[8:9]
	s_waitcnt vmcnt(3) lgkmcnt(0)
	v_mul_f64 v[10:11], v[57:58], v[39:40]
	v_mul_f64 v[39:40], v[59:60], v[39:40]
	s_delay_alu instid0(VALU_DEP_4) | instskip(NEXT) | instid1(VALU_DEP_4)
	v_fma_f64 v[53:54], v[53:54], v[6:7], -v[2:3]
	v_fma_f64 v[55:56], v[55:56], v[6:7], v[8:9]
	ds_load_b128 v[6:9], v1 offset:224
	ds_load_b128 v[1:4], v1 offset:240
	v_fma_f64 v[10:11], v[59:60], v[37:38], v[10:11]
	v_fma_f64 v[37:38], v[57:58], v[37:38], -v[39:40]
	s_waitcnt vmcnt(2) lgkmcnt(1)
	v_mul_f64 v[61:62], v[6:7], v[43:44]
	v_mul_f64 v[43:44], v[8:9], v[43:44]
	v_add_f64 v[39:40], v[53:54], 0
	v_add_f64 v[53:54], v[55:56], 0
	s_waitcnt vmcnt(1) lgkmcnt(0)
	v_mul_f64 v[55:56], v[1:2], v[47:48]
	v_mul_f64 v[47:48], v[3:4], v[47:48]
	v_fma_f64 v[8:9], v[8:9], v[41:42], v[61:62]
	v_fma_f64 v[6:7], v[6:7], v[41:42], -v[43:44]
	v_add_f64 v[37:38], v[39:40], v[37:38]
	v_add_f64 v[10:11], v[53:54], v[10:11]
	v_fma_f64 v[3:4], v[3:4], v[45:46], v[55:56]
	v_fma_f64 v[1:2], v[1:2], v[45:46], -v[47:48]
	s_delay_alu instid0(VALU_DEP_4) | instskip(NEXT) | instid1(VALU_DEP_4)
	v_add_f64 v[6:7], v[37:38], v[6:7]
	v_add_f64 v[8:9], v[10:11], v[8:9]
	s_delay_alu instid0(VALU_DEP_2) | instskip(NEXT) | instid1(VALU_DEP_2)
	v_add_f64 v[1:2], v[6:7], v[1:2]
	v_add_f64 v[3:4], v[8:9], v[3:4]
	s_waitcnt vmcnt(0)
	s_delay_alu instid0(VALU_DEP_2) | instskip(NEXT) | instid1(VALU_DEP_2)
	v_add_f64 v[1:2], v[49:50], -v[1:2]
	v_add_f64 v[3:4], v[51:52], -v[3:4]
	scratch_store_b128 off, v[1:4], off offset:48
	v_cmpx_lt_u32_e32 2, v29
	s_cbranch_execz .LBB71_57
; %bb.56:
	scratch_load_b128 v[1:4], v33, off
	v_mov_b32_e32 v6, 0
	s_delay_alu instid0(VALU_DEP_1)
	v_mov_b32_e32 v7, v6
	v_mov_b32_e32 v8, v6
	;; [unrolled: 1-line block ×3, first 2 shown]
	scratch_store_b128 off, v[6:9], off offset:32
	s_waitcnt vmcnt(0)
	ds_store_b128 v5, v[1:4]
.LBB71_57:
	s_or_b32 exec_lo, exec_lo, s2
	s_waitcnt lgkmcnt(0)
	s_waitcnt_vscnt null, 0x0
	s_barrier
	buffer_gl0_inv
	s_clause 0x5
	scratch_load_b128 v[6:9], off, off offset:48
	scratch_load_b128 v[37:40], off, off offset:64
	;; [unrolled: 1-line block ×6, first 2 shown]
	v_mov_b32_e32 v1, 0
	ds_load_b128 v[57:60], v1 offset:176
	ds_load_b128 v[61:64], v1 offset:192
	s_mov_b32 s2, exec_lo
	s_waitcnt vmcnt(5) lgkmcnt(1)
	v_mul_f64 v[2:3], v[59:60], v[8:9]
	v_mul_f64 v[8:9], v[57:58], v[8:9]
	s_waitcnt vmcnt(4) lgkmcnt(0)
	v_mul_f64 v[10:11], v[61:62], v[39:40]
	v_mul_f64 v[39:40], v[63:64], v[39:40]
	s_delay_alu instid0(VALU_DEP_4) | instskip(NEXT) | instid1(VALU_DEP_4)
	v_fma_f64 v[2:3], v[57:58], v[6:7], -v[2:3]
	v_fma_f64 v[65:66], v[59:60], v[6:7], v[8:9]
	ds_load_b128 v[6:9], v1 offset:208
	ds_load_b128 v[57:60], v1 offset:224
	v_fma_f64 v[10:11], v[63:64], v[37:38], v[10:11]
	v_fma_f64 v[37:38], v[61:62], v[37:38], -v[39:40]
	s_waitcnt vmcnt(3) lgkmcnt(1)
	v_mul_f64 v[67:68], v[6:7], v[43:44]
	v_mul_f64 v[43:44], v[8:9], v[43:44]
	s_waitcnt vmcnt(2) lgkmcnt(0)
	v_mul_f64 v[61:62], v[57:58], v[47:48]
	v_mul_f64 v[47:48], v[59:60], v[47:48]
	v_add_f64 v[2:3], v[2:3], 0
	v_add_f64 v[39:40], v[65:66], 0
	v_fma_f64 v[63:64], v[8:9], v[41:42], v[67:68]
	v_fma_f64 v[41:42], v[6:7], v[41:42], -v[43:44]
	ds_load_b128 v[6:9], v1 offset:240
	v_fma_f64 v[43:44], v[59:60], v[45:46], v[61:62]
	v_fma_f64 v[45:46], v[57:58], v[45:46], -v[47:48]
	v_add_f64 v[2:3], v[2:3], v[37:38]
	v_add_f64 v[10:11], v[39:40], v[10:11]
	s_waitcnt vmcnt(1) lgkmcnt(0)
	v_mul_f64 v[37:38], v[6:7], v[51:52]
	v_mul_f64 v[39:40], v[8:9], v[51:52]
	s_delay_alu instid0(VALU_DEP_4) | instskip(NEXT) | instid1(VALU_DEP_4)
	v_add_f64 v[2:3], v[2:3], v[41:42]
	v_add_f64 v[10:11], v[10:11], v[63:64]
	s_delay_alu instid0(VALU_DEP_4) | instskip(NEXT) | instid1(VALU_DEP_4)
	v_fma_f64 v[8:9], v[8:9], v[49:50], v[37:38]
	v_fma_f64 v[6:7], v[6:7], v[49:50], -v[39:40]
	s_delay_alu instid0(VALU_DEP_4) | instskip(NEXT) | instid1(VALU_DEP_4)
	v_add_f64 v[2:3], v[2:3], v[45:46]
	v_add_f64 v[10:11], v[10:11], v[43:44]
	s_delay_alu instid0(VALU_DEP_2) | instskip(NEXT) | instid1(VALU_DEP_2)
	v_add_f64 v[2:3], v[2:3], v[6:7]
	v_add_f64 v[8:9], v[10:11], v[8:9]
	s_waitcnt vmcnt(0)
	s_delay_alu instid0(VALU_DEP_2) | instskip(NEXT) | instid1(VALU_DEP_2)
	v_add_f64 v[6:7], v[53:54], -v[2:3]
	v_add_f64 v[8:9], v[55:56], -v[8:9]
	scratch_store_b128 off, v[6:9], off offset:32
	v_cmpx_lt_u32_e32 1, v29
	s_cbranch_execz .LBB71_59
; %bb.58:
	scratch_load_b128 v[6:9], v31, off
	v_mov_b32_e32 v2, v1
	v_mov_b32_e32 v3, v1
	;; [unrolled: 1-line block ×3, first 2 shown]
	scratch_store_b128 off, v[1:4], off offset:16
	s_waitcnt vmcnt(0)
	ds_store_b128 v5, v[6:9]
.LBB71_59:
	s_or_b32 exec_lo, exec_lo, s2
	s_waitcnt lgkmcnt(0)
	s_waitcnt_vscnt null, 0x0
	s_barrier
	buffer_gl0_inv
	s_clause 0x5
	scratch_load_b128 v[6:9], off, off offset:32
	scratch_load_b128 v[37:40], off, off offset:48
	;; [unrolled: 1-line block ×6, first 2 shown]
	ds_load_b128 v[57:60], v1 offset:160
	ds_load_b128 v[65:68], v1 offset:176
	scratch_load_b128 v[61:64], off, off offset:16
	s_mov_b32 s2, exec_lo
	s_waitcnt vmcnt(6) lgkmcnt(1)
	v_mul_f64 v[2:3], v[59:60], v[8:9]
	v_mul_f64 v[8:9], v[57:58], v[8:9]
	s_waitcnt vmcnt(5) lgkmcnt(0)
	v_mul_f64 v[10:11], v[65:66], v[39:40]
	v_mul_f64 v[39:40], v[67:68], v[39:40]
	s_delay_alu instid0(VALU_DEP_4) | instskip(NEXT) | instid1(VALU_DEP_4)
	v_fma_f64 v[2:3], v[57:58], v[6:7], -v[2:3]
	v_fma_f64 v[69:70], v[59:60], v[6:7], v[8:9]
	ds_load_b128 v[6:9], v1 offset:192
	ds_load_b128 v[57:60], v1 offset:208
	v_fma_f64 v[10:11], v[67:68], v[37:38], v[10:11]
	v_fma_f64 v[37:38], v[65:66], v[37:38], -v[39:40]
	s_waitcnt vmcnt(4) lgkmcnt(1)
	v_mul_f64 v[71:72], v[6:7], v[43:44]
	v_mul_f64 v[43:44], v[8:9], v[43:44]
	s_waitcnt vmcnt(3) lgkmcnt(0)
	v_mul_f64 v[65:66], v[57:58], v[47:48]
	v_mul_f64 v[47:48], v[59:60], v[47:48]
	v_add_f64 v[2:3], v[2:3], 0
	v_add_f64 v[39:40], v[69:70], 0
	v_fma_f64 v[67:68], v[8:9], v[41:42], v[71:72]
	v_fma_f64 v[41:42], v[6:7], v[41:42], -v[43:44]
	s_delay_alu instid0(VALU_DEP_4) | instskip(NEXT) | instid1(VALU_DEP_4)
	v_add_f64 v[37:38], v[2:3], v[37:38]
	v_add_f64 v[10:11], v[39:40], v[10:11]
	ds_load_b128 v[6:9], v1 offset:224
	ds_load_b128 v[1:4], v1 offset:240
	s_waitcnt vmcnt(2) lgkmcnt(1)
	v_mul_f64 v[39:40], v[6:7], v[51:52]
	v_mul_f64 v[43:44], v[8:9], v[51:52]
	v_fma_f64 v[51:52], v[59:60], v[45:46], v[65:66]
	v_fma_f64 v[45:46], v[57:58], v[45:46], -v[47:48]
	s_waitcnt vmcnt(1) lgkmcnt(0)
	v_mul_f64 v[47:48], v[3:4], v[55:56]
	v_add_f64 v[37:38], v[37:38], v[41:42]
	v_add_f64 v[10:11], v[10:11], v[67:68]
	v_mul_f64 v[41:42], v[1:2], v[55:56]
	v_fma_f64 v[8:9], v[8:9], v[49:50], v[39:40]
	v_fma_f64 v[6:7], v[6:7], v[49:50], -v[43:44]
	v_fma_f64 v[1:2], v[1:2], v[53:54], -v[47:48]
	v_add_f64 v[37:38], v[37:38], v[45:46]
	v_add_f64 v[10:11], v[10:11], v[51:52]
	v_fma_f64 v[3:4], v[3:4], v[53:54], v[41:42]
	s_delay_alu instid0(VALU_DEP_3) | instskip(NEXT) | instid1(VALU_DEP_3)
	v_add_f64 v[6:7], v[37:38], v[6:7]
	v_add_f64 v[8:9], v[10:11], v[8:9]
	s_delay_alu instid0(VALU_DEP_2) | instskip(NEXT) | instid1(VALU_DEP_2)
	v_add_f64 v[1:2], v[6:7], v[1:2]
	v_add_f64 v[3:4], v[8:9], v[3:4]
	s_waitcnt vmcnt(0)
	s_delay_alu instid0(VALU_DEP_2) | instskip(NEXT) | instid1(VALU_DEP_2)
	v_add_f64 v[1:2], v[61:62], -v[1:2]
	v_add_f64 v[3:4], v[63:64], -v[3:4]
	scratch_store_b128 off, v[1:4], off offset:16
	v_cmpx_ne_u32_e32 0, v29
	s_cbranch_execz .LBB71_61
; %bb.60:
	scratch_load_b128 v[1:4], off, off
	v_mov_b32_e32 v6, 0
	s_delay_alu instid0(VALU_DEP_1)
	v_mov_b32_e32 v7, v6
	v_mov_b32_e32 v8, v6
	;; [unrolled: 1-line block ×3, first 2 shown]
	scratch_store_b128 off, v[6:9], off
	s_waitcnt vmcnt(0)
	ds_store_b128 v5, v[1:4]
.LBB71_61:
	s_or_b32 exec_lo, exec_lo, s2
	s_waitcnt lgkmcnt(0)
	s_waitcnt_vscnt null, 0x0
	s_barrier
	buffer_gl0_inv
	s_clause 0x6
	scratch_load_b128 v[1:4], off, off offset:16
	scratch_load_b128 v[5:8], off, off offset:32
	scratch_load_b128 v[9:12], off, off offset:48
	scratch_load_b128 v[37:40], off, off offset:64
	scratch_load_b128 v[41:44], off, off offset:80
	scratch_load_b128 v[45:48], off, off offset:96
	scratch_load_b128 v[49:52], off, off offset:112
	v_mov_b32_e32 v73, 0
	scratch_load_b128 v[57:60], off, off
	s_and_b32 vcc_lo, exec_lo, s14
	ds_load_b128 v[53:56], v73 offset:144
	ds_load_b128 v[61:64], v73 offset:160
	s_waitcnt vmcnt(7) lgkmcnt(1)
	v_mul_f64 v[65:66], v[55:56], v[3:4]
	v_mul_f64 v[3:4], v[53:54], v[3:4]
	s_waitcnt vmcnt(6) lgkmcnt(0)
	v_mul_f64 v[67:68], v[61:62], v[7:8]
	v_mul_f64 v[7:8], v[63:64], v[7:8]
	s_delay_alu instid0(VALU_DEP_4) | instskip(NEXT) | instid1(VALU_DEP_4)
	v_fma_f64 v[65:66], v[53:54], v[1:2], -v[65:66]
	v_fma_f64 v[69:70], v[55:56], v[1:2], v[3:4]
	ds_load_b128 v[1:4], v73 offset:176
	ds_load_b128 v[53:56], v73 offset:192
	v_fma_f64 v[63:64], v[63:64], v[5:6], v[67:68]
	v_fma_f64 v[5:6], v[61:62], v[5:6], -v[7:8]
	s_waitcnt vmcnt(5) lgkmcnt(1)
	v_mul_f64 v[71:72], v[1:2], v[11:12]
	v_mul_f64 v[11:12], v[3:4], v[11:12]
	v_add_f64 v[7:8], v[65:66], 0
	v_add_f64 v[61:62], v[69:70], 0
	s_waitcnt vmcnt(4) lgkmcnt(0)
	v_mul_f64 v[65:66], v[53:54], v[39:40]
	v_mul_f64 v[39:40], v[55:56], v[39:40]
	v_fma_f64 v[67:68], v[3:4], v[9:10], v[71:72]
	v_fma_f64 v[9:10], v[1:2], v[9:10], -v[11:12]
	v_add_f64 v[11:12], v[7:8], v[5:6]
	v_add_f64 v[61:62], v[61:62], v[63:64]
	ds_load_b128 v[1:4], v73 offset:208
	ds_load_b128 v[5:8], v73 offset:224
	v_fma_f64 v[55:56], v[55:56], v[37:38], v[65:66]
	v_fma_f64 v[37:38], v[53:54], v[37:38], -v[39:40]
	s_waitcnt vmcnt(3) lgkmcnt(1)
	v_mul_f64 v[63:64], v[1:2], v[43:44]
	v_mul_f64 v[43:44], v[3:4], v[43:44]
	s_waitcnt vmcnt(2) lgkmcnt(0)
	v_mul_f64 v[39:40], v[5:6], v[47:48]
	v_mul_f64 v[47:48], v[7:8], v[47:48]
	v_add_f64 v[9:10], v[11:12], v[9:10]
	v_add_f64 v[11:12], v[61:62], v[67:68]
	v_fma_f64 v[53:54], v[3:4], v[41:42], v[63:64]
	v_fma_f64 v[41:42], v[1:2], v[41:42], -v[43:44]
	ds_load_b128 v[1:4], v73 offset:240
	v_fma_f64 v[7:8], v[7:8], v[45:46], v[39:40]
	v_fma_f64 v[5:6], v[5:6], v[45:46], -v[47:48]
	v_add_f64 v[9:10], v[9:10], v[37:38]
	v_add_f64 v[11:12], v[11:12], v[55:56]
	s_waitcnt vmcnt(1) lgkmcnt(0)
	v_mul_f64 v[37:38], v[1:2], v[51:52]
	v_mul_f64 v[43:44], v[3:4], v[51:52]
	s_delay_alu instid0(VALU_DEP_4) | instskip(NEXT) | instid1(VALU_DEP_4)
	v_add_f64 v[9:10], v[9:10], v[41:42]
	v_add_f64 v[11:12], v[11:12], v[53:54]
	s_delay_alu instid0(VALU_DEP_4) | instskip(NEXT) | instid1(VALU_DEP_4)
	v_fma_f64 v[3:4], v[3:4], v[49:50], v[37:38]
	v_fma_f64 v[1:2], v[1:2], v[49:50], -v[43:44]
	s_delay_alu instid0(VALU_DEP_4) | instskip(NEXT) | instid1(VALU_DEP_4)
	v_add_f64 v[5:6], v[9:10], v[5:6]
	v_add_f64 v[7:8], v[11:12], v[7:8]
	s_delay_alu instid0(VALU_DEP_2) | instskip(NEXT) | instid1(VALU_DEP_2)
	v_add_f64 v[1:2], v[5:6], v[1:2]
	v_add_f64 v[3:4], v[7:8], v[3:4]
	s_waitcnt vmcnt(0)
	s_delay_alu instid0(VALU_DEP_2) | instskip(NEXT) | instid1(VALU_DEP_2)
	v_add_f64 v[1:2], v[57:58], -v[1:2]
	v_add_f64 v[3:4], v[59:60], -v[3:4]
	scratch_store_b128 off, v[1:4], off
	s_cbranch_vccz .LBB71_77
; %bb.62:
	v_dual_mov_b32 v1, s8 :: v_dual_mov_b32 v2, s9
	s_load_b64 s[0:1], s[0:1], 0x4
	flat_load_b32 v1, v[1:2] offset:24
	v_bfe_u32 v2, v0, 10, 10
	v_bfe_u32 v0, v0, 20, 10
	s_waitcnt lgkmcnt(0)
	s_lshr_b32 s0, s0, 16
	s_delay_alu instid0(VALU_DEP_2) | instskip(SKIP_1) | instid1(SALU_CYCLE_1)
	v_mul_u32_u24_e32 v2, s1, v2
	s_mul_i32 s0, s0, s1
	v_mul_u32_u24_e32 v3, s0, v29
	s_mov_b32 s0, exec_lo
	s_delay_alu instid0(VALU_DEP_1) | instskip(NEXT) | instid1(VALU_DEP_1)
	v_add3_u32 v0, v3, v2, v0
	v_lshl_add_u32 v0, v0, 4, 0x108
	s_waitcnt vmcnt(0)
	v_cmpx_ne_u32_e32 7, v1
	s_cbranch_execz .LBB71_64
; %bb.63:
	v_lshl_add_u32 v9, v1, 4, 0
	s_clause 0x1
	scratch_load_b128 v[1:4], v36, off
	scratch_load_b128 v[5:8], v9, off offset:-16
	s_waitcnt vmcnt(1)
	ds_store_2addr_b64 v0, v[1:2], v[3:4] offset1:1
	s_waitcnt vmcnt(0)
	s_clause 0x1
	scratch_store_b128 v36, v[5:8], off
	scratch_store_b128 v9, v[1:4], off offset:-16
.LBB71_64:
	s_or_b32 exec_lo, exec_lo, s0
	v_dual_mov_b32 v1, s8 :: v_dual_mov_b32 v2, s9
	s_mov_b32 s0, exec_lo
	flat_load_b32 v1, v[1:2] offset:20
	s_waitcnt vmcnt(0) lgkmcnt(0)
	v_cmpx_ne_u32_e32 6, v1
	s_cbranch_execz .LBB71_66
; %bb.65:
	v_lshl_add_u32 v9, v1, 4, 0
	s_clause 0x1
	scratch_load_b128 v[1:4], v32, off
	scratch_load_b128 v[5:8], v9, off offset:-16
	s_waitcnt vmcnt(1)
	ds_store_2addr_b64 v0, v[1:2], v[3:4] offset1:1
	s_waitcnt vmcnt(0)
	s_clause 0x1
	scratch_store_b128 v32, v[5:8], off
	scratch_store_b128 v9, v[1:4], off offset:-16
.LBB71_66:
	s_or_b32 exec_lo, exec_lo, s0
	v_dual_mov_b32 v1, s8 :: v_dual_mov_b32 v2, s9
	s_mov_b32 s0, exec_lo
	flat_load_b32 v1, v[1:2] offset:16
	s_waitcnt vmcnt(0) lgkmcnt(0)
	;; [unrolled: 19-line block ×5, first 2 shown]
	v_cmpx_ne_u32_e32 2, v1
	s_cbranch_execz .LBB71_74
; %bb.73:
	v_lshl_add_u32 v9, v1, 4, 0
	s_clause 0x1
	scratch_load_b128 v[1:4], v31, off
	scratch_load_b128 v[5:8], v9, off offset:-16
	s_waitcnt vmcnt(1)
	ds_store_2addr_b64 v0, v[1:2], v[3:4] offset1:1
	s_waitcnt vmcnt(0)
	s_clause 0x1
	scratch_store_b128 v31, v[5:8], off
	scratch_store_b128 v9, v[1:4], off offset:-16
.LBB71_74:
	s_or_b32 exec_lo, exec_lo, s0
	v_dual_mov_b32 v1, s8 :: v_dual_mov_b32 v2, s9
	s_mov_b32 s0, exec_lo
	flat_load_b32 v1, v[1:2]
	s_waitcnt vmcnt(0) lgkmcnt(0)
	v_cmpx_ne_u32_e32 1, v1
	s_cbranch_execz .LBB71_76
; %bb.75:
	v_lshl_add_u32 v9, v1, 4, 0
	scratch_load_b128 v[1:4], off, off
	scratch_load_b128 v[5:8], v9, off offset:-16
	s_waitcnt vmcnt(1)
	ds_store_2addr_b64 v0, v[1:2], v[3:4] offset1:1
	s_waitcnt vmcnt(0)
	scratch_store_b128 off, v[5:8], off
	scratch_store_b128 v9, v[1:4], off offset:-16
.LBB71_76:
	s_or_b32 exec_lo, exec_lo, s0
.LBB71_77:
	scratch_load_b128 v[0:3], off, off
	s_clause 0x6
	scratch_load_b128 v[4:7], v31, off
	scratch_load_b128 v[8:11], v33, off
	;; [unrolled: 1-line block ×7, first 2 shown]
	s_waitcnt vmcnt(7)
	global_store_b128 v[13:14], v[0:3], off
	s_waitcnt vmcnt(6)
	global_store_b128 v[15:16], v[4:7], off
	;; [unrolled: 2-line block ×8, first 2 shown]
	s_endpgm
	.section	.rodata,"a",@progbits
	.p2align	6, 0x0
	.amdhsa_kernel _ZN9rocsolver6v33100L18getri_kernel_smallILi8E19rocblas_complex_numIdEPKPS3_EEvT1_iilPiilS8_bb
		.amdhsa_group_segment_fixed_size 1288
		.amdhsa_private_segment_fixed_size 144
		.amdhsa_kernarg_size 60
		.amdhsa_user_sgpr_count 15
		.amdhsa_user_sgpr_dispatch_ptr 1
		.amdhsa_user_sgpr_queue_ptr 0
		.amdhsa_user_sgpr_kernarg_segment_ptr 1
		.amdhsa_user_sgpr_dispatch_id 0
		.amdhsa_user_sgpr_private_segment_size 0
		.amdhsa_wavefront_size32 1
		.amdhsa_uses_dynamic_stack 0
		.amdhsa_enable_private_segment 1
		.amdhsa_system_sgpr_workgroup_id_x 1
		.amdhsa_system_sgpr_workgroup_id_y 0
		.amdhsa_system_sgpr_workgroup_id_z 0
		.amdhsa_system_sgpr_workgroup_info 0
		.amdhsa_system_vgpr_workitem_id 2
		.amdhsa_next_free_vgpr 74
		.amdhsa_next_free_sgpr 19
		.amdhsa_reserve_vcc 1
		.amdhsa_float_round_mode_32 0
		.amdhsa_float_round_mode_16_64 0
		.amdhsa_float_denorm_mode_32 3
		.amdhsa_float_denorm_mode_16_64 3
		.amdhsa_dx10_clamp 1
		.amdhsa_ieee_mode 1
		.amdhsa_fp16_overflow 0
		.amdhsa_workgroup_processor_mode 1
		.amdhsa_memory_ordered 1
		.amdhsa_forward_progress 0
		.amdhsa_shared_vgpr_count 0
		.amdhsa_exception_fp_ieee_invalid_op 0
		.amdhsa_exception_fp_denorm_src 0
		.amdhsa_exception_fp_ieee_div_zero 0
		.amdhsa_exception_fp_ieee_overflow 0
		.amdhsa_exception_fp_ieee_underflow 0
		.amdhsa_exception_fp_ieee_inexact 0
		.amdhsa_exception_int_div_zero 0
	.end_amdhsa_kernel
	.section	.text._ZN9rocsolver6v33100L18getri_kernel_smallILi8E19rocblas_complex_numIdEPKPS3_EEvT1_iilPiilS8_bb,"axG",@progbits,_ZN9rocsolver6v33100L18getri_kernel_smallILi8E19rocblas_complex_numIdEPKPS3_EEvT1_iilPiilS8_bb,comdat
.Lfunc_end71:
	.size	_ZN9rocsolver6v33100L18getri_kernel_smallILi8E19rocblas_complex_numIdEPKPS3_EEvT1_iilPiilS8_bb, .Lfunc_end71-_ZN9rocsolver6v33100L18getri_kernel_smallILi8E19rocblas_complex_numIdEPKPS3_EEvT1_iilPiilS8_bb
                                        ; -- End function
	.section	.AMDGPU.csdata,"",@progbits
; Kernel info:
; codeLenInByte = 7424
; NumSgprs: 21
; NumVgprs: 74
; ScratchSize: 144
; MemoryBound: 0
; FloatMode: 240
; IeeeMode: 1
; LDSByteSize: 1288 bytes/workgroup (compile time only)
; SGPRBlocks: 2
; VGPRBlocks: 9
; NumSGPRsForWavesPerEU: 21
; NumVGPRsForWavesPerEU: 74
; Occupancy: 16
; WaveLimiterHint : 1
; COMPUTE_PGM_RSRC2:SCRATCH_EN: 1
; COMPUTE_PGM_RSRC2:USER_SGPR: 15
; COMPUTE_PGM_RSRC2:TRAP_HANDLER: 0
; COMPUTE_PGM_RSRC2:TGID_X_EN: 1
; COMPUTE_PGM_RSRC2:TGID_Y_EN: 0
; COMPUTE_PGM_RSRC2:TGID_Z_EN: 0
; COMPUTE_PGM_RSRC2:TIDIG_COMP_CNT: 2
	.section	.text._ZN9rocsolver6v33100L18getri_kernel_smallILi9E19rocblas_complex_numIdEPKPS3_EEvT1_iilPiilS8_bb,"axG",@progbits,_ZN9rocsolver6v33100L18getri_kernel_smallILi9E19rocblas_complex_numIdEPKPS3_EEvT1_iilPiilS8_bb,comdat
	.globl	_ZN9rocsolver6v33100L18getri_kernel_smallILi9E19rocblas_complex_numIdEPKPS3_EEvT1_iilPiilS8_bb ; -- Begin function _ZN9rocsolver6v33100L18getri_kernel_smallILi9E19rocblas_complex_numIdEPKPS3_EEvT1_iilPiilS8_bb
	.p2align	8
	.type	_ZN9rocsolver6v33100L18getri_kernel_smallILi9E19rocblas_complex_numIdEPKPS3_EEvT1_iilPiilS8_bb,@function
_ZN9rocsolver6v33100L18getri_kernel_smallILi9E19rocblas_complex_numIdEPKPS3_EEvT1_iilPiilS8_bb: ; @_ZN9rocsolver6v33100L18getri_kernel_smallILi9E19rocblas_complex_numIdEPKPS3_EEvT1_iilPiilS8_bb
; %bb.0:
	v_and_b32_e32 v31, 0x3ff, v0
	s_mov_b32 s4, exec_lo
	s_delay_alu instid0(VALU_DEP_1)
	v_cmpx_gt_u32_e32 9, v31
	s_cbranch_execz .LBB72_50
; %bb.1:
	s_mov_b32 s10, s15
	s_clause 0x2
	s_load_b32 s15, s[2:3], 0x38
	s_load_b64 s[8:9], s[2:3], 0x0
	s_load_b128 s[4:7], s[2:3], 0x28
	s_waitcnt lgkmcnt(0)
	s_bitcmp1_b32 s15, 8
	s_cselect_b32 s14, -1, 0
	s_ashr_i32 s11, s10, 31
	s_delay_alu instid0(SALU_CYCLE_1) | instskip(NEXT) | instid1(SALU_CYCLE_1)
	s_lshl_b64 s[12:13], s[10:11], 3
	s_add_u32 s8, s8, s12
	s_addc_u32 s9, s9, s13
	s_load_b64 s[12:13], s[8:9], 0x0
	s_bfe_u32 s8, s15, 0x10008
	s_delay_alu instid0(SALU_CYCLE_1)
	s_cmp_eq_u32 s8, 0
                                        ; implicit-def: $sgpr8_sgpr9
	s_cbranch_scc1 .LBB72_3
; %bb.2:
	s_clause 0x1
	s_load_b32 s8, s[2:3], 0x20
	s_load_b64 s[16:17], s[2:3], 0x18
	s_mul_i32 s5, s10, s5
	s_mul_hi_u32 s9, s10, s4
	s_mul_i32 s18, s11, s4
	s_add_i32 s5, s9, s5
	s_mul_i32 s4, s10, s4
	s_add_i32 s5, s5, s18
	s_delay_alu instid0(SALU_CYCLE_1)
	s_lshl_b64 s[4:5], s[4:5], 2
	s_waitcnt lgkmcnt(0)
	s_ashr_i32 s9, s8, 31
	s_add_u32 s16, s16, s4
	s_addc_u32 s17, s17, s5
	s_lshl_b64 s[4:5], s[8:9], 2
	s_delay_alu instid0(SALU_CYCLE_1)
	s_add_u32 s8, s16, s4
	s_addc_u32 s9, s17, s5
.LBB72_3:
	s_load_b64 s[2:3], s[2:3], 0x8
	v_lshlrev_b32_e32 v40, 4, v31
	v_add_nc_u32_e64 v35, 0, 32
	s_waitcnt lgkmcnt(0)
	v_add3_u32 v5, s3, s3, v31
	s_ashr_i32 s5, s2, 31
	s_mov_b32 s4, s2
	s_mov_b32 s16, s3
	s_lshl_b64 s[4:5], s[4:5], 4
	v_add_nc_u32_e32 v7, s3, v5
	v_ashrrev_i32_e32 v6, 31, v5
	s_add_u32 s4, s12, s4
	s_addc_u32 s5, s13, s5
	v_add_co_u32 v13, s2, s4, v40
	v_add_nc_u32_e32 v9, s3, v7
	v_ashrrev_i32_e32 v8, 31, v7
	s_ashr_i32 s17, s3, 31
	v_add_co_ci_u32_e64 v14, null, s5, 0, s2
	s_delay_alu instid0(VALU_DEP_3)
	v_add_nc_u32_e32 v21, s3, v9
	v_lshlrev_b64 v[5:6], 4, v[5:6]
	s_lshl_b64 s[12:13], s[16:17], 4
	v_ashrrev_i32_e32 v10, 31, v9
	v_add_co_u32 v15, vcc_lo, v13, s12
	v_lshlrev_b64 v[19:20], 4, v[7:8]
	v_ashrrev_i32_e32 v22, 31, v21
	v_add_co_ci_u32_e32 v16, vcc_lo, s13, v14, vcc_lo
	v_add_nc_u32_e32 v25, s3, v21
	v_add_co_u32 v17, vcc_lo, s4, v5
	v_lshlrev_b64 v[23:24], 4, v[9:10]
	v_add_co_ci_u32_e32 v18, vcc_lo, s5, v6, vcc_lo
	v_add_co_u32 v19, vcc_lo, s4, v19
	v_lshlrev_b64 v[27:28], 4, v[21:22]
	v_add_nc_u32_e32 v29, s3, v25
	v_add_co_ci_u32_e32 v20, vcc_lo, s5, v20, vcc_lo
	v_add_co_u32 v21, vcc_lo, s4, v23
	v_ashrrev_i32_e32 v26, 31, v25
	v_add_co_ci_u32_e32 v22, vcc_lo, s5, v24, vcc_lo
	v_add_co_u32 v23, vcc_lo, s4, v27
	v_add_nc_u32_e32 v27, s3, v29
	v_ashrrev_i32_e32 v30, 31, v29
	v_lshlrev_b64 v[25:26], 4, v[25:26]
	v_add_co_ci_u32_e32 v24, vcc_lo, s5, v28, vcc_lo
	s_delay_alu instid0(VALU_DEP_4) | instskip(NEXT) | instid1(VALU_DEP_4)
	v_ashrrev_i32_e32 v28, 31, v27
	v_lshlrev_b64 v[29:30], 4, v[29:30]
	global_load_b128 v[1:4], v40, s[4:5]
	v_add_co_u32 v25, vcc_lo, s4, v25
	v_lshlrev_b64 v[32:33], 4, v[27:28]
	v_add_co_ci_u32_e32 v26, vcc_lo, s5, v26, vcc_lo
	v_add_co_u32 v27, vcc_lo, s4, v29
	s_clause 0x1
	global_load_b128 v[5:8], v[15:16], off
	global_load_b128 v[9:12], v[17:18], off
	v_add_co_ci_u32_e32 v28, vcc_lo, s5, v30, vcc_lo
	s_clause 0x2
	global_load_b128 v[36:39], v[19:20], off
	global_load_b128 v[41:44], v[21:22], off
	;; [unrolled: 1-line block ×3, first 2 shown]
	v_add_co_u32 v29, vcc_lo, s4, v32
	v_add_co_ci_u32_e32 v30, vcc_lo, s5, v33, vcc_lo
	s_clause 0x2
	global_load_b128 v[49:52], v[25:26], off
	global_load_b128 v[53:56], v[27:28], off
	;; [unrolled: 1-line block ×3, first 2 shown]
	s_movk_i32 s2, 0x50
	s_movk_i32 s3, 0x80
	v_add_nc_u32_e64 v34, s2, 0
	s_movk_i32 s2, 0x60
	v_add_nc_u32_e64 v33, 0, 16
	v_add_nc_u32_e64 v32, 0, 48
	s_bitcmp0_b32 s15, 0
	s_waitcnt vmcnt(8)
	scratch_store_b128 off, v[1:4], off
	s_waitcnt vmcnt(7)
	scratch_store_b128 off, v[5:8], off offset:16
	s_waitcnt vmcnt(6)
	scratch_store_b128 off, v[9:12], off offset:32
	;; [unrolled: 2-line block ×3, first 2 shown]
	v_add_nc_u32_e64 v38, s2, 0
	s_movk_i32 s2, 0x70
	v_add_nc_u32_e64 v36, 0, 64
	v_add_nc_u32_e64 v39, s2, 0
	;; [unrolled: 1-line block ×3, first 2 shown]
	s_mov_b32 s3, -1
	s_waitcnt vmcnt(4)
	scratch_store_b128 off, v[41:44], off offset:64
	s_waitcnt vmcnt(3)
	scratch_store_b128 off, v[45:48], off offset:80
	;; [unrolled: 2-line block ×5, first 2 shown]
	s_cbranch_scc1 .LBB72_48
; %bb.4:
	v_cmp_eq_u32_e64 s2, 0, v31
	s_delay_alu instid0(VALU_DEP_1)
	s_and_saveexec_b32 s3, s2
	s_cbranch_execz .LBB72_6
; %bb.5:
	v_mov_b32_e32 v1, 0
	ds_store_b32 v1, v1 offset:288
.LBB72_6:
	s_or_b32 exec_lo, exec_lo, s3
	s_waitcnt lgkmcnt(0)
	s_waitcnt_vscnt null, 0x0
	s_barrier
	buffer_gl0_inv
	scratch_load_b128 v[1:4], v40, off
	s_waitcnt vmcnt(0)
	v_cmp_eq_f64_e32 vcc_lo, 0, v[1:2]
	v_cmp_eq_f64_e64 s3, 0, v[3:4]
	s_delay_alu instid0(VALU_DEP_1) | instskip(NEXT) | instid1(SALU_CYCLE_1)
	s_and_b32 s3, vcc_lo, s3
	s_and_saveexec_b32 s4, s3
	s_cbranch_execz .LBB72_10
; %bb.7:
	v_mov_b32_e32 v1, 0
	s_mov_b32 s5, 0
	ds_load_b32 v2, v1 offset:288
	s_waitcnt lgkmcnt(0)
	v_readfirstlane_b32 s3, v2
	v_add_nc_u32_e32 v2, 1, v31
	s_delay_alu instid0(VALU_DEP_2) | instskip(NEXT) | instid1(VALU_DEP_1)
	s_cmp_eq_u32 s3, 0
	v_cmp_gt_i32_e32 vcc_lo, s3, v2
	s_cselect_b32 s12, -1, 0
	s_delay_alu instid0(SALU_CYCLE_1) | instskip(NEXT) | instid1(SALU_CYCLE_1)
	s_or_b32 s12, s12, vcc_lo
	s_and_b32 exec_lo, exec_lo, s12
	s_cbranch_execz .LBB72_10
; %bb.8:
	v_mov_b32_e32 v3, s3
.LBB72_9:                               ; =>This Inner Loop Header: Depth=1
	ds_cmpstore_rtn_b32 v3, v1, v2, v3 offset:288
	s_waitcnt lgkmcnt(0)
	v_cmp_ne_u32_e32 vcc_lo, 0, v3
	v_cmp_le_i32_e64 s3, v3, v2
	s_delay_alu instid0(VALU_DEP_1) | instskip(NEXT) | instid1(SALU_CYCLE_1)
	s_and_b32 s3, vcc_lo, s3
	s_and_b32 s3, exec_lo, s3
	s_delay_alu instid0(SALU_CYCLE_1) | instskip(NEXT) | instid1(SALU_CYCLE_1)
	s_or_b32 s5, s3, s5
	s_and_not1_b32 exec_lo, exec_lo, s5
	s_cbranch_execnz .LBB72_9
.LBB72_10:
	s_or_b32 exec_lo, exec_lo, s4
	v_mov_b32_e32 v1, 0
	s_barrier
	buffer_gl0_inv
	ds_load_b32 v2, v1 offset:288
	s_and_saveexec_b32 s3, s2
	s_cbranch_execz .LBB72_12
; %bb.11:
	s_lshl_b64 s[4:5], s[10:11], 2
	s_delay_alu instid0(SALU_CYCLE_1)
	s_add_u32 s4, s6, s4
	s_addc_u32 s5, s7, s5
	s_waitcnt lgkmcnt(0)
	global_store_b32 v1, v2, s[4:5]
.LBB72_12:
	s_or_b32 exec_lo, exec_lo, s3
	s_waitcnt lgkmcnt(0)
	v_cmp_ne_u32_e32 vcc_lo, 0, v2
	s_mov_b32 s3, 0
	s_cbranch_vccnz .LBB72_48
; %bb.13:
	v_add_nc_u32_e32 v41, 0, v40
                                        ; implicit-def: $vgpr9_vgpr10
	scratch_load_b128 v[1:4], v41, off
	s_waitcnt vmcnt(0)
	v_cmp_gt_f64_e32 vcc_lo, 0, v[1:2]
	v_xor_b32_e32 v6, 0x80000000, v2
	v_xor_b32_e32 v7, 0x80000000, v4
	s_delay_alu instid0(VALU_DEP_2) | instskip(SKIP_1) | instid1(VALU_DEP_3)
	v_cndmask_b32_e32 v6, v2, v6, vcc_lo
	v_cmp_gt_f64_e32 vcc_lo, 0, v[3:4]
	v_dual_mov_b32 v5, v1 :: v_dual_cndmask_b32 v8, v4, v7
	v_mov_b32_e32 v7, v3
	s_delay_alu instid0(VALU_DEP_1) | instskip(SKIP_1) | instid1(SALU_CYCLE_1)
	v_cmp_ngt_f64_e32 vcc_lo, v[5:6], v[7:8]
                                        ; implicit-def: $vgpr5_vgpr6
	s_and_saveexec_b32 s3, vcc_lo
	s_xor_b32 s3, exec_lo, s3
	s_cbranch_execz .LBB72_15
; %bb.14:
	v_div_scale_f64 v[5:6], null, v[3:4], v[3:4], v[1:2]
	v_div_scale_f64 v[11:12], vcc_lo, v[1:2], v[3:4], v[1:2]
	s_delay_alu instid0(VALU_DEP_2) | instskip(SKIP_2) | instid1(VALU_DEP_1)
	v_rcp_f64_e32 v[7:8], v[5:6]
	s_waitcnt_depctr 0xfff
	v_fma_f64 v[9:10], -v[5:6], v[7:8], 1.0
	v_fma_f64 v[7:8], v[7:8], v[9:10], v[7:8]
	s_delay_alu instid0(VALU_DEP_1) | instskip(NEXT) | instid1(VALU_DEP_1)
	v_fma_f64 v[9:10], -v[5:6], v[7:8], 1.0
	v_fma_f64 v[7:8], v[7:8], v[9:10], v[7:8]
	s_delay_alu instid0(VALU_DEP_1) | instskip(NEXT) | instid1(VALU_DEP_1)
	v_mul_f64 v[9:10], v[11:12], v[7:8]
	v_fma_f64 v[5:6], -v[5:6], v[9:10], v[11:12]
	s_delay_alu instid0(VALU_DEP_1) | instskip(NEXT) | instid1(VALU_DEP_1)
	v_div_fmas_f64 v[5:6], v[5:6], v[7:8], v[9:10]
	v_div_fixup_f64 v[5:6], v[5:6], v[3:4], v[1:2]
	s_delay_alu instid0(VALU_DEP_1) | instskip(NEXT) | instid1(VALU_DEP_1)
	v_fma_f64 v[1:2], v[1:2], v[5:6], v[3:4]
	v_div_scale_f64 v[3:4], null, v[1:2], v[1:2], 1.0
	v_div_scale_f64 v[11:12], vcc_lo, 1.0, v[1:2], 1.0
	s_delay_alu instid0(VALU_DEP_2) | instskip(SKIP_2) | instid1(VALU_DEP_1)
	v_rcp_f64_e32 v[7:8], v[3:4]
	s_waitcnt_depctr 0xfff
	v_fma_f64 v[9:10], -v[3:4], v[7:8], 1.0
	v_fma_f64 v[7:8], v[7:8], v[9:10], v[7:8]
	s_delay_alu instid0(VALU_DEP_1) | instskip(NEXT) | instid1(VALU_DEP_1)
	v_fma_f64 v[9:10], -v[3:4], v[7:8], 1.0
	v_fma_f64 v[7:8], v[7:8], v[9:10], v[7:8]
	s_delay_alu instid0(VALU_DEP_1) | instskip(NEXT) | instid1(VALU_DEP_1)
	v_mul_f64 v[9:10], v[11:12], v[7:8]
	v_fma_f64 v[3:4], -v[3:4], v[9:10], v[11:12]
	s_delay_alu instid0(VALU_DEP_1) | instskip(NEXT) | instid1(VALU_DEP_1)
	v_div_fmas_f64 v[3:4], v[3:4], v[7:8], v[9:10]
	v_div_fixup_f64 v[7:8], v[3:4], v[1:2], 1.0
                                        ; implicit-def: $vgpr1_vgpr2
	s_delay_alu instid0(VALU_DEP_1) | instskip(SKIP_1) | instid1(VALU_DEP_2)
	v_mul_f64 v[5:6], v[5:6], v[7:8]
	v_xor_b32_e32 v8, 0x80000000, v8
	v_xor_b32_e32 v10, 0x80000000, v6
	s_delay_alu instid0(VALU_DEP_3)
	v_mov_b32_e32 v9, v5
.LBB72_15:
	s_and_not1_saveexec_b32 s3, s3
	s_cbranch_execz .LBB72_17
; %bb.16:
	v_div_scale_f64 v[5:6], null, v[1:2], v[1:2], v[3:4]
	v_div_scale_f64 v[11:12], vcc_lo, v[3:4], v[1:2], v[3:4]
	s_delay_alu instid0(VALU_DEP_2) | instskip(SKIP_2) | instid1(VALU_DEP_1)
	v_rcp_f64_e32 v[7:8], v[5:6]
	s_waitcnt_depctr 0xfff
	v_fma_f64 v[9:10], -v[5:6], v[7:8], 1.0
	v_fma_f64 v[7:8], v[7:8], v[9:10], v[7:8]
	s_delay_alu instid0(VALU_DEP_1) | instskip(NEXT) | instid1(VALU_DEP_1)
	v_fma_f64 v[9:10], -v[5:6], v[7:8], 1.0
	v_fma_f64 v[7:8], v[7:8], v[9:10], v[7:8]
	s_delay_alu instid0(VALU_DEP_1) | instskip(NEXT) | instid1(VALU_DEP_1)
	v_mul_f64 v[9:10], v[11:12], v[7:8]
	v_fma_f64 v[5:6], -v[5:6], v[9:10], v[11:12]
	s_delay_alu instid0(VALU_DEP_1) | instskip(NEXT) | instid1(VALU_DEP_1)
	v_div_fmas_f64 v[5:6], v[5:6], v[7:8], v[9:10]
	v_div_fixup_f64 v[7:8], v[5:6], v[1:2], v[3:4]
	s_delay_alu instid0(VALU_DEP_1) | instskip(NEXT) | instid1(VALU_DEP_1)
	v_fma_f64 v[1:2], v[3:4], v[7:8], v[1:2]
	v_div_scale_f64 v[3:4], null, v[1:2], v[1:2], 1.0
	s_delay_alu instid0(VALU_DEP_1) | instskip(SKIP_2) | instid1(VALU_DEP_1)
	v_rcp_f64_e32 v[5:6], v[3:4]
	s_waitcnt_depctr 0xfff
	v_fma_f64 v[9:10], -v[3:4], v[5:6], 1.0
	v_fma_f64 v[5:6], v[5:6], v[9:10], v[5:6]
	s_delay_alu instid0(VALU_DEP_1) | instskip(NEXT) | instid1(VALU_DEP_1)
	v_fma_f64 v[9:10], -v[3:4], v[5:6], 1.0
	v_fma_f64 v[5:6], v[5:6], v[9:10], v[5:6]
	v_div_scale_f64 v[9:10], vcc_lo, 1.0, v[1:2], 1.0
	s_delay_alu instid0(VALU_DEP_1) | instskip(NEXT) | instid1(VALU_DEP_1)
	v_mul_f64 v[11:12], v[9:10], v[5:6]
	v_fma_f64 v[3:4], -v[3:4], v[11:12], v[9:10]
	s_delay_alu instid0(VALU_DEP_1) | instskip(NEXT) | instid1(VALU_DEP_1)
	v_div_fmas_f64 v[3:4], v[3:4], v[5:6], v[11:12]
	v_div_fixup_f64 v[5:6], v[3:4], v[1:2], 1.0
	s_delay_alu instid0(VALU_DEP_1)
	v_mul_f64 v[7:8], v[7:8], -v[5:6]
	v_xor_b32_e32 v10, 0x80000000, v6
	v_mov_b32_e32 v9, v5
.LBB72_17:
	s_or_b32 exec_lo, exec_lo, s3
	scratch_store_b128 v41, v[5:8], off
	scratch_load_b128 v[1:4], v33, off
	v_xor_b32_e32 v12, 0x80000000, v8
	v_mov_b32_e32 v11, v7
	v_add_nc_u32_e32 v5, 0x90, v40
	ds_store_b128 v40, v[9:12]
	s_waitcnt vmcnt(0)
	ds_store_b128 v40, v[1:4] offset:144
	s_waitcnt lgkmcnt(0)
	s_waitcnt_vscnt null, 0x0
	s_barrier
	buffer_gl0_inv
	s_and_saveexec_b32 s3, s2
	s_cbranch_execz .LBB72_19
; %bb.18:
	scratch_load_b128 v[1:4], v41, off
	ds_load_b128 v[6:9], v5
	v_mov_b32_e32 v10, 0
	ds_load_b128 v[42:45], v10 offset:16
	s_waitcnt vmcnt(0) lgkmcnt(1)
	v_mul_f64 v[10:11], v[6:7], v[3:4]
	v_mul_f64 v[3:4], v[8:9], v[3:4]
	s_delay_alu instid0(VALU_DEP_2) | instskip(NEXT) | instid1(VALU_DEP_2)
	v_fma_f64 v[8:9], v[8:9], v[1:2], v[10:11]
	v_fma_f64 v[1:2], v[6:7], v[1:2], -v[3:4]
	s_delay_alu instid0(VALU_DEP_2) | instskip(NEXT) | instid1(VALU_DEP_2)
	v_add_f64 v[3:4], v[8:9], 0
	v_add_f64 v[1:2], v[1:2], 0
	s_waitcnt lgkmcnt(0)
	s_delay_alu instid0(VALU_DEP_2) | instskip(NEXT) | instid1(VALU_DEP_2)
	v_mul_f64 v[6:7], v[3:4], v[44:45]
	v_mul_f64 v[8:9], v[1:2], v[44:45]
	s_delay_alu instid0(VALU_DEP_2) | instskip(NEXT) | instid1(VALU_DEP_2)
	v_fma_f64 v[1:2], v[1:2], v[42:43], -v[6:7]
	v_fma_f64 v[3:4], v[3:4], v[42:43], v[8:9]
	scratch_store_b128 off, v[1:4], off offset:16
.LBB72_19:
	s_or_b32 exec_lo, exec_lo, s3
	s_waitcnt_vscnt null, 0x0
	s_barrier
	buffer_gl0_inv
	scratch_load_b128 v[1:4], v35, off
	s_mov_b32 s3, exec_lo
	s_waitcnt vmcnt(0)
	ds_store_b128 v5, v[1:4]
	s_waitcnt lgkmcnt(0)
	s_barrier
	buffer_gl0_inv
	v_cmpx_gt_u32_e32 2, v31
	s_cbranch_execz .LBB72_23
; %bb.20:
	scratch_load_b128 v[1:4], v41, off
	ds_load_b128 v[6:9], v5
	s_waitcnt vmcnt(0) lgkmcnt(0)
	v_mul_f64 v[10:11], v[8:9], v[3:4]
	v_mul_f64 v[3:4], v[6:7], v[3:4]
	s_delay_alu instid0(VALU_DEP_2) | instskip(NEXT) | instid1(VALU_DEP_2)
	v_fma_f64 v[6:7], v[6:7], v[1:2], -v[10:11]
	v_fma_f64 v[3:4], v[8:9], v[1:2], v[3:4]
	s_delay_alu instid0(VALU_DEP_2) | instskip(NEXT) | instid1(VALU_DEP_2)
	v_add_f64 v[1:2], v[6:7], 0
	v_add_f64 v[3:4], v[3:4], 0
	s_and_saveexec_b32 s4, s2
	s_cbranch_execz .LBB72_22
; %bb.21:
	scratch_load_b128 v[6:9], off, off offset:16
	v_mov_b32_e32 v10, 0
	ds_load_b128 v[42:45], v10 offset:160
	s_waitcnt vmcnt(0) lgkmcnt(0)
	v_mul_f64 v[10:11], v[42:43], v[8:9]
	v_mul_f64 v[8:9], v[44:45], v[8:9]
	s_delay_alu instid0(VALU_DEP_2) | instskip(NEXT) | instid1(VALU_DEP_2)
	v_fma_f64 v[10:11], v[44:45], v[6:7], v[10:11]
	v_fma_f64 v[6:7], v[42:43], v[6:7], -v[8:9]
	s_delay_alu instid0(VALU_DEP_2) | instskip(NEXT) | instid1(VALU_DEP_2)
	v_add_f64 v[3:4], v[3:4], v[10:11]
	v_add_f64 v[1:2], v[1:2], v[6:7]
.LBB72_22:
	s_or_b32 exec_lo, exec_lo, s4
	v_mov_b32_e32 v6, 0
	ds_load_b128 v[6:9], v6 offset:32
	s_waitcnt lgkmcnt(0)
	v_mul_f64 v[10:11], v[3:4], v[8:9]
	v_mul_f64 v[8:9], v[1:2], v[8:9]
	s_delay_alu instid0(VALU_DEP_2) | instskip(NEXT) | instid1(VALU_DEP_2)
	v_fma_f64 v[1:2], v[1:2], v[6:7], -v[10:11]
	v_fma_f64 v[3:4], v[3:4], v[6:7], v[8:9]
	scratch_store_b128 off, v[1:4], off offset:32
.LBB72_23:
	s_or_b32 exec_lo, exec_lo, s3
	s_waitcnt_vscnt null, 0x0
	s_barrier
	buffer_gl0_inv
	scratch_load_b128 v[1:4], v32, off
	v_add_nc_u32_e32 v6, -1, v31
	s_mov_b32 s2, exec_lo
	s_waitcnt vmcnt(0)
	ds_store_b128 v5, v[1:4]
	s_waitcnt lgkmcnt(0)
	s_barrier
	buffer_gl0_inv
	v_cmpx_gt_u32_e32 3, v31
	s_cbranch_execz .LBB72_27
; %bb.24:
	v_dual_mov_b32 v1, 0 :: v_dual_add_nc_u32 v8, 0x90, v40
	v_dual_mov_b32 v2, 0 :: v_dual_add_nc_u32 v7, -1, v31
	v_or_b32_e32 v9, 8, v41
	s_mov_b32 s3, 0
	s_delay_alu instid0(VALU_DEP_2)
	v_dual_mov_b32 v4, v2 :: v_dual_mov_b32 v3, v1
	.p2align	6
.LBB72_25:                              ; =>This Inner Loop Header: Depth=1
	scratch_load_b128 v[42:45], v9, off offset:-8
	ds_load_b128 v[46:49], v8
	v_add_nc_u32_e32 v7, 1, v7
	v_add_nc_u32_e32 v8, 16, v8
	;; [unrolled: 1-line block ×3, first 2 shown]
	s_delay_alu instid0(VALU_DEP_3) | instskip(SKIP_4) | instid1(VALU_DEP_2)
	v_cmp_lt_u32_e32 vcc_lo, 1, v7
	s_or_b32 s3, vcc_lo, s3
	s_waitcnt vmcnt(0) lgkmcnt(0)
	v_mul_f64 v[10:11], v[48:49], v[44:45]
	v_mul_f64 v[44:45], v[46:47], v[44:45]
	v_fma_f64 v[10:11], v[46:47], v[42:43], -v[10:11]
	s_delay_alu instid0(VALU_DEP_2) | instskip(NEXT) | instid1(VALU_DEP_2)
	v_fma_f64 v[42:43], v[48:49], v[42:43], v[44:45]
	v_add_f64 v[3:4], v[3:4], v[10:11]
	s_delay_alu instid0(VALU_DEP_2)
	v_add_f64 v[1:2], v[1:2], v[42:43]
	s_and_not1_b32 exec_lo, exec_lo, s3
	s_cbranch_execnz .LBB72_25
; %bb.26:
	s_or_b32 exec_lo, exec_lo, s3
	v_mov_b32_e32 v7, 0
	ds_load_b128 v[7:10], v7 offset:48
	s_waitcnt lgkmcnt(0)
	v_mul_f64 v[11:12], v[1:2], v[9:10]
	v_mul_f64 v[42:43], v[3:4], v[9:10]
	s_delay_alu instid0(VALU_DEP_2) | instskip(NEXT) | instid1(VALU_DEP_2)
	v_fma_f64 v[9:10], v[3:4], v[7:8], -v[11:12]
	v_fma_f64 v[11:12], v[1:2], v[7:8], v[42:43]
	scratch_store_b128 off, v[9:12], off offset:48
.LBB72_27:
	s_or_b32 exec_lo, exec_lo, s2
	s_waitcnt_vscnt null, 0x0
	s_barrier
	buffer_gl0_inv
	scratch_load_b128 v[1:4], v36, off
	s_mov_b32 s2, exec_lo
	s_waitcnt vmcnt(0)
	ds_store_b128 v5, v[1:4]
	s_waitcnt lgkmcnt(0)
	s_barrier
	buffer_gl0_inv
	v_cmpx_gt_u32_e32 4, v31
	s_cbranch_execz .LBB72_31
; %bb.28:
	v_dual_mov_b32 v1, 0 :: v_dual_add_nc_u32 v8, 0x90, v40
	v_dual_mov_b32 v2, 0 :: v_dual_add_nc_u32 v7, -1, v31
	v_or_b32_e32 v9, 8, v41
	s_mov_b32 s3, 0
	s_delay_alu instid0(VALU_DEP_2)
	v_dual_mov_b32 v4, v2 :: v_dual_mov_b32 v3, v1
	.p2align	6
.LBB72_29:                              ; =>This Inner Loop Header: Depth=1
	scratch_load_b128 v[42:45], v9, off offset:-8
	ds_load_b128 v[46:49], v8
	v_add_nc_u32_e32 v7, 1, v7
	v_add_nc_u32_e32 v8, 16, v8
	;; [unrolled: 1-line block ×3, first 2 shown]
	s_delay_alu instid0(VALU_DEP_3) | instskip(SKIP_4) | instid1(VALU_DEP_2)
	v_cmp_lt_u32_e32 vcc_lo, 2, v7
	s_or_b32 s3, vcc_lo, s3
	s_waitcnt vmcnt(0) lgkmcnt(0)
	v_mul_f64 v[10:11], v[48:49], v[44:45]
	v_mul_f64 v[44:45], v[46:47], v[44:45]
	v_fma_f64 v[10:11], v[46:47], v[42:43], -v[10:11]
	s_delay_alu instid0(VALU_DEP_2) | instskip(NEXT) | instid1(VALU_DEP_2)
	v_fma_f64 v[42:43], v[48:49], v[42:43], v[44:45]
	v_add_f64 v[3:4], v[3:4], v[10:11]
	s_delay_alu instid0(VALU_DEP_2)
	v_add_f64 v[1:2], v[1:2], v[42:43]
	s_and_not1_b32 exec_lo, exec_lo, s3
	s_cbranch_execnz .LBB72_29
; %bb.30:
	s_or_b32 exec_lo, exec_lo, s3
	v_mov_b32_e32 v7, 0
	ds_load_b128 v[7:10], v7 offset:64
	s_waitcnt lgkmcnt(0)
	v_mul_f64 v[11:12], v[1:2], v[9:10]
	v_mul_f64 v[42:43], v[3:4], v[9:10]
	s_delay_alu instid0(VALU_DEP_2) | instskip(NEXT) | instid1(VALU_DEP_2)
	v_fma_f64 v[9:10], v[3:4], v[7:8], -v[11:12]
	v_fma_f64 v[11:12], v[1:2], v[7:8], v[42:43]
	scratch_store_b128 off, v[9:12], off offset:64
.LBB72_31:
	s_or_b32 exec_lo, exec_lo, s2
	s_waitcnt_vscnt null, 0x0
	s_barrier
	buffer_gl0_inv
	scratch_load_b128 v[1:4], v34, off
	s_mov_b32 s2, exec_lo
	s_waitcnt vmcnt(0)
	ds_store_b128 v5, v[1:4]
	s_waitcnt lgkmcnt(0)
	s_barrier
	buffer_gl0_inv
	v_cmpx_gt_u32_e32 5, v31
	s_cbranch_execz .LBB72_35
; %bb.32:
	v_dual_mov_b32 v1, 0 :: v_dual_add_nc_u32 v8, 0x90, v40
	v_dual_mov_b32 v2, 0 :: v_dual_add_nc_u32 v7, -1, v31
	v_or_b32_e32 v9, 8, v41
	s_mov_b32 s3, 0
	s_delay_alu instid0(VALU_DEP_2)
	v_dual_mov_b32 v4, v2 :: v_dual_mov_b32 v3, v1
	.p2align	6
.LBB72_33:                              ; =>This Inner Loop Header: Depth=1
	scratch_load_b128 v[42:45], v9, off offset:-8
	ds_load_b128 v[46:49], v8
	v_add_nc_u32_e32 v7, 1, v7
	v_add_nc_u32_e32 v8, 16, v8
	;; [unrolled: 1-line block ×3, first 2 shown]
	s_delay_alu instid0(VALU_DEP_3) | instskip(SKIP_4) | instid1(VALU_DEP_2)
	v_cmp_lt_u32_e32 vcc_lo, 3, v7
	s_or_b32 s3, vcc_lo, s3
	s_waitcnt vmcnt(0) lgkmcnt(0)
	v_mul_f64 v[10:11], v[48:49], v[44:45]
	v_mul_f64 v[44:45], v[46:47], v[44:45]
	v_fma_f64 v[10:11], v[46:47], v[42:43], -v[10:11]
	s_delay_alu instid0(VALU_DEP_2) | instskip(NEXT) | instid1(VALU_DEP_2)
	v_fma_f64 v[42:43], v[48:49], v[42:43], v[44:45]
	v_add_f64 v[3:4], v[3:4], v[10:11]
	s_delay_alu instid0(VALU_DEP_2)
	v_add_f64 v[1:2], v[1:2], v[42:43]
	s_and_not1_b32 exec_lo, exec_lo, s3
	s_cbranch_execnz .LBB72_33
; %bb.34:
	s_or_b32 exec_lo, exec_lo, s3
	v_mov_b32_e32 v7, 0
	ds_load_b128 v[7:10], v7 offset:80
	s_waitcnt lgkmcnt(0)
	v_mul_f64 v[11:12], v[1:2], v[9:10]
	v_mul_f64 v[42:43], v[3:4], v[9:10]
	s_delay_alu instid0(VALU_DEP_2) | instskip(NEXT) | instid1(VALU_DEP_2)
	v_fma_f64 v[9:10], v[3:4], v[7:8], -v[11:12]
	v_fma_f64 v[11:12], v[1:2], v[7:8], v[42:43]
	scratch_store_b128 off, v[9:12], off offset:80
.LBB72_35:
	s_or_b32 exec_lo, exec_lo, s2
	s_waitcnt_vscnt null, 0x0
	s_barrier
	buffer_gl0_inv
	scratch_load_b128 v[1:4], v38, off
	s_mov_b32 s2, exec_lo
	s_waitcnt vmcnt(0)
	ds_store_b128 v5, v[1:4]
	s_waitcnt lgkmcnt(0)
	s_barrier
	buffer_gl0_inv
	v_cmpx_gt_u32_e32 6, v31
	s_cbranch_execz .LBB72_39
; %bb.36:
	v_dual_mov_b32 v1, 0 :: v_dual_add_nc_u32 v8, 0x90, v40
	v_dual_mov_b32 v2, 0 :: v_dual_add_nc_u32 v7, -1, v31
	v_or_b32_e32 v9, 8, v41
	s_mov_b32 s3, 0
	s_delay_alu instid0(VALU_DEP_2)
	v_dual_mov_b32 v4, v2 :: v_dual_mov_b32 v3, v1
	.p2align	6
.LBB72_37:                              ; =>This Inner Loop Header: Depth=1
	scratch_load_b128 v[42:45], v9, off offset:-8
	ds_load_b128 v[46:49], v8
	v_add_nc_u32_e32 v7, 1, v7
	v_add_nc_u32_e32 v8, 16, v8
	;; [unrolled: 1-line block ×3, first 2 shown]
	s_delay_alu instid0(VALU_DEP_3) | instskip(SKIP_4) | instid1(VALU_DEP_2)
	v_cmp_lt_u32_e32 vcc_lo, 4, v7
	s_or_b32 s3, vcc_lo, s3
	s_waitcnt vmcnt(0) lgkmcnt(0)
	v_mul_f64 v[10:11], v[48:49], v[44:45]
	v_mul_f64 v[44:45], v[46:47], v[44:45]
	v_fma_f64 v[10:11], v[46:47], v[42:43], -v[10:11]
	s_delay_alu instid0(VALU_DEP_2) | instskip(NEXT) | instid1(VALU_DEP_2)
	v_fma_f64 v[42:43], v[48:49], v[42:43], v[44:45]
	v_add_f64 v[3:4], v[3:4], v[10:11]
	s_delay_alu instid0(VALU_DEP_2)
	v_add_f64 v[1:2], v[1:2], v[42:43]
	s_and_not1_b32 exec_lo, exec_lo, s3
	s_cbranch_execnz .LBB72_37
; %bb.38:
	s_or_b32 exec_lo, exec_lo, s3
	v_mov_b32_e32 v7, 0
	ds_load_b128 v[7:10], v7 offset:96
	s_waitcnt lgkmcnt(0)
	v_mul_f64 v[11:12], v[1:2], v[9:10]
	v_mul_f64 v[42:43], v[3:4], v[9:10]
	s_delay_alu instid0(VALU_DEP_2) | instskip(NEXT) | instid1(VALU_DEP_2)
	v_fma_f64 v[9:10], v[3:4], v[7:8], -v[11:12]
	v_fma_f64 v[11:12], v[1:2], v[7:8], v[42:43]
	scratch_store_b128 off, v[9:12], off offset:96
.LBB72_39:
	s_or_b32 exec_lo, exec_lo, s2
	s_waitcnt_vscnt null, 0x0
	s_barrier
	buffer_gl0_inv
	scratch_load_b128 v[1:4], v39, off
	s_mov_b32 s2, exec_lo
	s_waitcnt vmcnt(0)
	ds_store_b128 v5, v[1:4]
	s_waitcnt lgkmcnt(0)
	s_barrier
	buffer_gl0_inv
	v_cmpx_gt_u32_e32 7, v31
	s_cbranch_execz .LBB72_43
; %bb.40:
	v_dual_mov_b32 v1, 0 :: v_dual_add_nc_u32 v8, 0x90, v40
	v_dual_mov_b32 v2, 0 :: v_dual_add_nc_u32 v7, -1, v31
	v_or_b32_e32 v9, 8, v41
	s_mov_b32 s3, 0
	s_delay_alu instid0(VALU_DEP_2)
	v_dual_mov_b32 v4, v2 :: v_dual_mov_b32 v3, v1
	.p2align	6
.LBB72_41:                              ; =>This Inner Loop Header: Depth=1
	scratch_load_b128 v[42:45], v9, off offset:-8
	ds_load_b128 v[46:49], v8
	v_add_nc_u32_e32 v7, 1, v7
	v_add_nc_u32_e32 v8, 16, v8
	;; [unrolled: 1-line block ×3, first 2 shown]
	s_delay_alu instid0(VALU_DEP_3) | instskip(SKIP_4) | instid1(VALU_DEP_2)
	v_cmp_lt_u32_e32 vcc_lo, 5, v7
	s_or_b32 s3, vcc_lo, s3
	s_waitcnt vmcnt(0) lgkmcnt(0)
	v_mul_f64 v[10:11], v[48:49], v[44:45]
	v_mul_f64 v[44:45], v[46:47], v[44:45]
	v_fma_f64 v[10:11], v[46:47], v[42:43], -v[10:11]
	s_delay_alu instid0(VALU_DEP_2) | instskip(NEXT) | instid1(VALU_DEP_2)
	v_fma_f64 v[42:43], v[48:49], v[42:43], v[44:45]
	v_add_f64 v[3:4], v[3:4], v[10:11]
	s_delay_alu instid0(VALU_DEP_2)
	v_add_f64 v[1:2], v[1:2], v[42:43]
	s_and_not1_b32 exec_lo, exec_lo, s3
	s_cbranch_execnz .LBB72_41
; %bb.42:
	s_or_b32 exec_lo, exec_lo, s3
	v_mov_b32_e32 v7, 0
	ds_load_b128 v[7:10], v7 offset:112
	s_waitcnt lgkmcnt(0)
	v_mul_f64 v[11:12], v[1:2], v[9:10]
	v_mul_f64 v[42:43], v[3:4], v[9:10]
	s_delay_alu instid0(VALU_DEP_2) | instskip(NEXT) | instid1(VALU_DEP_2)
	v_fma_f64 v[9:10], v[3:4], v[7:8], -v[11:12]
	v_fma_f64 v[11:12], v[1:2], v[7:8], v[42:43]
	scratch_store_b128 off, v[9:12], off offset:112
.LBB72_43:
	s_or_b32 exec_lo, exec_lo, s2
	s_waitcnt_vscnt null, 0x0
	s_barrier
	buffer_gl0_inv
	scratch_load_b128 v[1:4], v37, off
	s_mov_b32 s2, exec_lo
	s_waitcnt vmcnt(0)
	ds_store_b128 v5, v[1:4]
	s_waitcnt lgkmcnt(0)
	s_barrier
	buffer_gl0_inv
	v_cmpx_ne_u32_e32 8, v31
	s_cbranch_execz .LBB72_47
; %bb.44:
	v_mov_b32_e32 v1, 0
	v_mov_b32_e32 v2, 0
	v_or_b32_e32 v7, 8, v41
	s_mov_b32 s3, 0
	s_delay_alu instid0(VALU_DEP_2)
	v_dual_mov_b32 v4, v2 :: v_dual_mov_b32 v3, v1
	.p2align	6
.LBB72_45:                              ; =>This Inner Loop Header: Depth=1
	scratch_load_b128 v[8:11], v7, off offset:-8
	ds_load_b128 v[40:43], v5
	v_add_nc_u32_e32 v6, 1, v6
	v_add_nc_u32_e32 v5, 16, v5
	;; [unrolled: 1-line block ×3, first 2 shown]
	s_delay_alu instid0(VALU_DEP_3) | instskip(SKIP_4) | instid1(VALU_DEP_2)
	v_cmp_lt_u32_e32 vcc_lo, 6, v6
	s_or_b32 s3, vcc_lo, s3
	s_waitcnt vmcnt(0) lgkmcnt(0)
	v_mul_f64 v[44:45], v[42:43], v[10:11]
	v_mul_f64 v[10:11], v[40:41], v[10:11]
	v_fma_f64 v[40:41], v[40:41], v[8:9], -v[44:45]
	s_delay_alu instid0(VALU_DEP_2) | instskip(NEXT) | instid1(VALU_DEP_2)
	v_fma_f64 v[8:9], v[42:43], v[8:9], v[10:11]
	v_add_f64 v[3:4], v[3:4], v[40:41]
	s_delay_alu instid0(VALU_DEP_2)
	v_add_f64 v[1:2], v[1:2], v[8:9]
	s_and_not1_b32 exec_lo, exec_lo, s3
	s_cbranch_execnz .LBB72_45
; %bb.46:
	s_or_b32 exec_lo, exec_lo, s3
	v_mov_b32_e32 v5, 0
	ds_load_b128 v[5:8], v5 offset:128
	s_waitcnt lgkmcnt(0)
	v_mul_f64 v[9:10], v[1:2], v[7:8]
	v_mul_f64 v[7:8], v[3:4], v[7:8]
	s_delay_alu instid0(VALU_DEP_2) | instskip(NEXT) | instid1(VALU_DEP_2)
	v_fma_f64 v[3:4], v[3:4], v[5:6], -v[9:10]
	v_fma_f64 v[5:6], v[1:2], v[5:6], v[7:8]
	scratch_store_b128 off, v[3:6], off offset:128
.LBB72_47:
	s_or_b32 exec_lo, exec_lo, s2
	s_mov_b32 s3, -1
	s_waitcnt_vscnt null, 0x0
	s_barrier
	buffer_gl0_inv
.LBB72_48:
	s_and_b32 vcc_lo, exec_lo, s3
	s_cbranch_vccz .LBB72_50
; %bb.49:
	s_lshl_b64 s[2:3], s[10:11], 2
	v_mov_b32_e32 v1, 0
	s_add_u32 s2, s6, s2
	s_addc_u32 s3, s7, s3
	global_load_b32 v1, v1, s[2:3]
	s_waitcnt vmcnt(0)
	v_cmp_ne_u32_e32 vcc_lo, 0, v1
	s_cbranch_vccz .LBB72_51
.LBB72_50:
	s_endpgm
.LBB72_51:
	v_lshl_add_u32 v5, v31, 4, 0x90
	s_mov_b32 s2, exec_lo
	v_cmpx_eq_u32_e32 8, v31
	s_cbranch_execz .LBB72_53
; %bb.52:
	scratch_load_b128 v[1:4], v39, off
	v_mov_b32_e32 v6, 0
	s_delay_alu instid0(VALU_DEP_1)
	v_mov_b32_e32 v7, v6
	v_mov_b32_e32 v8, v6
	;; [unrolled: 1-line block ×3, first 2 shown]
	scratch_store_b128 off, v[6:9], off offset:112
	s_waitcnt vmcnt(0)
	ds_store_b128 v5, v[1:4]
.LBB72_53:
	s_or_b32 exec_lo, exec_lo, s2
	s_waitcnt lgkmcnt(0)
	s_waitcnt_vscnt null, 0x0
	s_barrier
	buffer_gl0_inv
	s_clause 0x1
	scratch_load_b128 v[6:9], off, off offset:128
	scratch_load_b128 v[40:43], off, off offset:112
	v_mov_b32_e32 v1, 0
	s_mov_b32 s2, exec_lo
	ds_load_b128 v[44:47], v1 offset:272
	s_waitcnt vmcnt(1) lgkmcnt(0)
	v_mul_f64 v[2:3], v[46:47], v[8:9]
	v_mul_f64 v[8:9], v[44:45], v[8:9]
	s_delay_alu instid0(VALU_DEP_2) | instskip(NEXT) | instid1(VALU_DEP_2)
	v_fma_f64 v[2:3], v[44:45], v[6:7], -v[2:3]
	v_fma_f64 v[6:7], v[46:47], v[6:7], v[8:9]
	s_delay_alu instid0(VALU_DEP_2) | instskip(NEXT) | instid1(VALU_DEP_2)
	v_add_f64 v[2:3], v[2:3], 0
	v_add_f64 v[8:9], v[6:7], 0
	s_waitcnt vmcnt(0)
	s_delay_alu instid0(VALU_DEP_2) | instskip(NEXT) | instid1(VALU_DEP_2)
	v_add_f64 v[6:7], v[40:41], -v[2:3]
	v_add_f64 v[8:9], v[42:43], -v[8:9]
	scratch_store_b128 off, v[6:9], off offset:112
	v_cmpx_lt_u32_e32 6, v31
	s_cbranch_execz .LBB72_55
; %bb.54:
	scratch_load_b128 v[6:9], v38, off
	v_mov_b32_e32 v2, v1
	v_mov_b32_e32 v3, v1
	;; [unrolled: 1-line block ×3, first 2 shown]
	scratch_store_b128 off, v[1:4], off offset:96
	s_waitcnt vmcnt(0)
	ds_store_b128 v5, v[6:9]
.LBB72_55:
	s_or_b32 exec_lo, exec_lo, s2
	s_waitcnt lgkmcnt(0)
	s_waitcnt_vscnt null, 0x0
	s_barrier
	buffer_gl0_inv
	s_clause 0x2
	scratch_load_b128 v[6:9], off, off offset:112
	scratch_load_b128 v[40:43], off, off offset:128
	;; [unrolled: 1-line block ×3, first 2 shown]
	ds_load_b128 v[48:51], v1 offset:256
	ds_load_b128 v[1:4], v1 offset:272
	s_mov_b32 s2, exec_lo
	s_waitcnt vmcnt(2) lgkmcnt(1)
	v_mul_f64 v[10:11], v[50:51], v[8:9]
	v_mul_f64 v[8:9], v[48:49], v[8:9]
	s_waitcnt vmcnt(1) lgkmcnt(0)
	v_mul_f64 v[52:53], v[1:2], v[42:43]
	v_mul_f64 v[42:43], v[3:4], v[42:43]
	s_delay_alu instid0(VALU_DEP_4) | instskip(NEXT) | instid1(VALU_DEP_4)
	v_fma_f64 v[10:11], v[48:49], v[6:7], -v[10:11]
	v_fma_f64 v[6:7], v[50:51], v[6:7], v[8:9]
	s_delay_alu instid0(VALU_DEP_4) | instskip(NEXT) | instid1(VALU_DEP_4)
	v_fma_f64 v[3:4], v[3:4], v[40:41], v[52:53]
	v_fma_f64 v[1:2], v[1:2], v[40:41], -v[42:43]
	s_delay_alu instid0(VALU_DEP_4) | instskip(NEXT) | instid1(VALU_DEP_4)
	v_add_f64 v[8:9], v[10:11], 0
	v_add_f64 v[6:7], v[6:7], 0
	s_delay_alu instid0(VALU_DEP_2) | instskip(NEXT) | instid1(VALU_DEP_2)
	v_add_f64 v[1:2], v[8:9], v[1:2]
	v_add_f64 v[3:4], v[6:7], v[3:4]
	s_waitcnt vmcnt(0)
	s_delay_alu instid0(VALU_DEP_2) | instskip(NEXT) | instid1(VALU_DEP_2)
	v_add_f64 v[1:2], v[44:45], -v[1:2]
	v_add_f64 v[3:4], v[46:47], -v[3:4]
	scratch_store_b128 off, v[1:4], off offset:96
	v_cmpx_lt_u32_e32 5, v31
	s_cbranch_execz .LBB72_57
; %bb.56:
	scratch_load_b128 v[1:4], v34, off
	v_mov_b32_e32 v6, 0
	s_delay_alu instid0(VALU_DEP_1)
	v_mov_b32_e32 v7, v6
	v_mov_b32_e32 v8, v6
	;; [unrolled: 1-line block ×3, first 2 shown]
	scratch_store_b128 off, v[6:9], off offset:80
	s_waitcnt vmcnt(0)
	ds_store_b128 v5, v[1:4]
.LBB72_57:
	s_or_b32 exec_lo, exec_lo, s2
	s_waitcnt lgkmcnt(0)
	s_waitcnt_vscnt null, 0x0
	s_barrier
	buffer_gl0_inv
	s_clause 0x3
	scratch_load_b128 v[6:9], off, off offset:96
	scratch_load_b128 v[40:43], off, off offset:112
	;; [unrolled: 1-line block ×4, first 2 shown]
	v_mov_b32_e32 v1, 0
	ds_load_b128 v[52:55], v1 offset:240
	ds_load_b128 v[56:59], v1 offset:256
	s_mov_b32 s2, exec_lo
	s_waitcnt vmcnt(3) lgkmcnt(1)
	v_mul_f64 v[2:3], v[54:55], v[8:9]
	v_mul_f64 v[8:9], v[52:53], v[8:9]
	s_waitcnt vmcnt(2) lgkmcnt(0)
	v_mul_f64 v[10:11], v[56:57], v[42:43]
	v_mul_f64 v[42:43], v[58:59], v[42:43]
	s_delay_alu instid0(VALU_DEP_4) | instskip(NEXT) | instid1(VALU_DEP_4)
	v_fma_f64 v[2:3], v[52:53], v[6:7], -v[2:3]
	v_fma_f64 v[52:53], v[54:55], v[6:7], v[8:9]
	ds_load_b128 v[6:9], v1 offset:272
	v_fma_f64 v[10:11], v[58:59], v[40:41], v[10:11]
	v_fma_f64 v[40:41], v[56:57], v[40:41], -v[42:43]
	s_waitcnt vmcnt(1) lgkmcnt(0)
	v_mul_f64 v[54:55], v[6:7], v[46:47]
	v_mul_f64 v[46:47], v[8:9], v[46:47]
	v_add_f64 v[2:3], v[2:3], 0
	v_add_f64 v[42:43], v[52:53], 0
	s_delay_alu instid0(VALU_DEP_4) | instskip(NEXT) | instid1(VALU_DEP_4)
	v_fma_f64 v[8:9], v[8:9], v[44:45], v[54:55]
	v_fma_f64 v[6:7], v[6:7], v[44:45], -v[46:47]
	s_delay_alu instid0(VALU_DEP_4) | instskip(NEXT) | instid1(VALU_DEP_4)
	v_add_f64 v[2:3], v[2:3], v[40:41]
	v_add_f64 v[10:11], v[42:43], v[10:11]
	s_delay_alu instid0(VALU_DEP_2) | instskip(NEXT) | instid1(VALU_DEP_2)
	v_add_f64 v[2:3], v[2:3], v[6:7]
	v_add_f64 v[8:9], v[10:11], v[8:9]
	s_waitcnt vmcnt(0)
	s_delay_alu instid0(VALU_DEP_2) | instskip(NEXT) | instid1(VALU_DEP_2)
	v_add_f64 v[6:7], v[48:49], -v[2:3]
	v_add_f64 v[8:9], v[50:51], -v[8:9]
	scratch_store_b128 off, v[6:9], off offset:80
	v_cmpx_lt_u32_e32 4, v31
	s_cbranch_execz .LBB72_59
; %bb.58:
	scratch_load_b128 v[6:9], v36, off
	v_mov_b32_e32 v2, v1
	v_mov_b32_e32 v3, v1
	;; [unrolled: 1-line block ×3, first 2 shown]
	scratch_store_b128 off, v[1:4], off offset:64
	s_waitcnt vmcnt(0)
	ds_store_b128 v5, v[6:9]
.LBB72_59:
	s_or_b32 exec_lo, exec_lo, s2
	s_waitcnt lgkmcnt(0)
	s_waitcnt_vscnt null, 0x0
	s_barrier
	buffer_gl0_inv
	s_clause 0x4
	scratch_load_b128 v[6:9], off, off offset:80
	scratch_load_b128 v[40:43], off, off offset:96
	;; [unrolled: 1-line block ×5, first 2 shown]
	ds_load_b128 v[56:59], v1 offset:224
	ds_load_b128 v[60:63], v1 offset:240
	s_mov_b32 s2, exec_lo
	s_waitcnt vmcnt(4) lgkmcnt(1)
	v_mul_f64 v[2:3], v[58:59], v[8:9]
	v_mul_f64 v[8:9], v[56:57], v[8:9]
	s_waitcnt vmcnt(3) lgkmcnt(0)
	v_mul_f64 v[10:11], v[60:61], v[42:43]
	v_mul_f64 v[42:43], v[62:63], v[42:43]
	s_delay_alu instid0(VALU_DEP_4) | instskip(NEXT) | instid1(VALU_DEP_4)
	v_fma_f64 v[56:57], v[56:57], v[6:7], -v[2:3]
	v_fma_f64 v[58:59], v[58:59], v[6:7], v[8:9]
	ds_load_b128 v[6:9], v1 offset:256
	ds_load_b128 v[1:4], v1 offset:272
	v_fma_f64 v[10:11], v[62:63], v[40:41], v[10:11]
	v_fma_f64 v[40:41], v[60:61], v[40:41], -v[42:43]
	s_waitcnt vmcnt(2) lgkmcnt(1)
	v_mul_f64 v[64:65], v[6:7], v[46:47]
	v_mul_f64 v[46:47], v[8:9], v[46:47]
	v_add_f64 v[42:43], v[56:57], 0
	v_add_f64 v[56:57], v[58:59], 0
	s_waitcnt vmcnt(1) lgkmcnt(0)
	v_mul_f64 v[58:59], v[1:2], v[50:51]
	v_mul_f64 v[50:51], v[3:4], v[50:51]
	v_fma_f64 v[8:9], v[8:9], v[44:45], v[64:65]
	v_fma_f64 v[6:7], v[6:7], v[44:45], -v[46:47]
	v_add_f64 v[40:41], v[42:43], v[40:41]
	v_add_f64 v[10:11], v[56:57], v[10:11]
	v_fma_f64 v[3:4], v[3:4], v[48:49], v[58:59]
	v_fma_f64 v[1:2], v[1:2], v[48:49], -v[50:51]
	s_delay_alu instid0(VALU_DEP_4) | instskip(NEXT) | instid1(VALU_DEP_4)
	v_add_f64 v[6:7], v[40:41], v[6:7]
	v_add_f64 v[8:9], v[10:11], v[8:9]
	s_delay_alu instid0(VALU_DEP_2) | instskip(NEXT) | instid1(VALU_DEP_2)
	v_add_f64 v[1:2], v[6:7], v[1:2]
	v_add_f64 v[3:4], v[8:9], v[3:4]
	s_waitcnt vmcnt(0)
	s_delay_alu instid0(VALU_DEP_2) | instskip(NEXT) | instid1(VALU_DEP_2)
	v_add_f64 v[1:2], v[52:53], -v[1:2]
	v_add_f64 v[3:4], v[54:55], -v[3:4]
	scratch_store_b128 off, v[1:4], off offset:64
	v_cmpx_lt_u32_e32 3, v31
	s_cbranch_execz .LBB72_61
; %bb.60:
	scratch_load_b128 v[1:4], v32, off
	v_mov_b32_e32 v6, 0
	s_delay_alu instid0(VALU_DEP_1)
	v_mov_b32_e32 v7, v6
	v_mov_b32_e32 v8, v6
	;; [unrolled: 1-line block ×3, first 2 shown]
	scratch_store_b128 off, v[6:9], off offset:48
	s_waitcnt vmcnt(0)
	ds_store_b128 v5, v[1:4]
.LBB72_61:
	s_or_b32 exec_lo, exec_lo, s2
	s_waitcnt lgkmcnt(0)
	s_waitcnt_vscnt null, 0x0
	s_barrier
	buffer_gl0_inv
	s_clause 0x5
	scratch_load_b128 v[6:9], off, off offset:64
	scratch_load_b128 v[40:43], off, off offset:80
	;; [unrolled: 1-line block ×6, first 2 shown]
	v_mov_b32_e32 v1, 0
	ds_load_b128 v[60:63], v1 offset:208
	ds_load_b128 v[64:67], v1 offset:224
	s_mov_b32 s2, exec_lo
	s_waitcnt vmcnt(5) lgkmcnt(1)
	v_mul_f64 v[2:3], v[62:63], v[8:9]
	v_mul_f64 v[8:9], v[60:61], v[8:9]
	s_waitcnt vmcnt(4) lgkmcnt(0)
	v_mul_f64 v[10:11], v[64:65], v[42:43]
	v_mul_f64 v[42:43], v[66:67], v[42:43]
	s_delay_alu instid0(VALU_DEP_4) | instskip(NEXT) | instid1(VALU_DEP_4)
	v_fma_f64 v[2:3], v[60:61], v[6:7], -v[2:3]
	v_fma_f64 v[68:69], v[62:63], v[6:7], v[8:9]
	ds_load_b128 v[6:9], v1 offset:240
	ds_load_b128 v[60:63], v1 offset:256
	v_fma_f64 v[10:11], v[66:67], v[40:41], v[10:11]
	v_fma_f64 v[40:41], v[64:65], v[40:41], -v[42:43]
	s_waitcnt vmcnt(3) lgkmcnt(1)
	v_mul_f64 v[70:71], v[6:7], v[46:47]
	v_mul_f64 v[46:47], v[8:9], v[46:47]
	s_waitcnt vmcnt(2) lgkmcnt(0)
	v_mul_f64 v[64:65], v[60:61], v[50:51]
	v_mul_f64 v[50:51], v[62:63], v[50:51]
	v_add_f64 v[2:3], v[2:3], 0
	v_add_f64 v[42:43], v[68:69], 0
	v_fma_f64 v[66:67], v[8:9], v[44:45], v[70:71]
	v_fma_f64 v[44:45], v[6:7], v[44:45], -v[46:47]
	ds_load_b128 v[6:9], v1 offset:272
	v_fma_f64 v[46:47], v[62:63], v[48:49], v[64:65]
	v_fma_f64 v[48:49], v[60:61], v[48:49], -v[50:51]
	v_add_f64 v[2:3], v[2:3], v[40:41]
	v_add_f64 v[10:11], v[42:43], v[10:11]
	s_waitcnt vmcnt(1) lgkmcnt(0)
	v_mul_f64 v[40:41], v[6:7], v[54:55]
	v_mul_f64 v[42:43], v[8:9], v[54:55]
	s_delay_alu instid0(VALU_DEP_4) | instskip(NEXT) | instid1(VALU_DEP_4)
	v_add_f64 v[2:3], v[2:3], v[44:45]
	v_add_f64 v[10:11], v[10:11], v[66:67]
	s_delay_alu instid0(VALU_DEP_4) | instskip(NEXT) | instid1(VALU_DEP_4)
	v_fma_f64 v[8:9], v[8:9], v[52:53], v[40:41]
	v_fma_f64 v[6:7], v[6:7], v[52:53], -v[42:43]
	s_delay_alu instid0(VALU_DEP_4) | instskip(NEXT) | instid1(VALU_DEP_4)
	v_add_f64 v[2:3], v[2:3], v[48:49]
	v_add_f64 v[10:11], v[10:11], v[46:47]
	s_delay_alu instid0(VALU_DEP_2) | instskip(NEXT) | instid1(VALU_DEP_2)
	v_add_f64 v[2:3], v[2:3], v[6:7]
	v_add_f64 v[8:9], v[10:11], v[8:9]
	s_waitcnt vmcnt(0)
	s_delay_alu instid0(VALU_DEP_2) | instskip(NEXT) | instid1(VALU_DEP_2)
	v_add_f64 v[6:7], v[56:57], -v[2:3]
	v_add_f64 v[8:9], v[58:59], -v[8:9]
	scratch_store_b128 off, v[6:9], off offset:48
	v_cmpx_lt_u32_e32 2, v31
	s_cbranch_execz .LBB72_63
; %bb.62:
	scratch_load_b128 v[6:9], v35, off
	v_mov_b32_e32 v2, v1
	v_mov_b32_e32 v3, v1
	;; [unrolled: 1-line block ×3, first 2 shown]
	scratch_store_b128 off, v[1:4], off offset:32
	s_waitcnt vmcnt(0)
	ds_store_b128 v5, v[6:9]
.LBB72_63:
	s_or_b32 exec_lo, exec_lo, s2
	s_waitcnt lgkmcnt(0)
	s_waitcnt_vscnt null, 0x0
	s_barrier
	buffer_gl0_inv
	s_clause 0x5
	scratch_load_b128 v[6:9], off, off offset:48
	scratch_load_b128 v[40:43], off, off offset:64
	;; [unrolled: 1-line block ×6, first 2 shown]
	ds_load_b128 v[60:63], v1 offset:192
	ds_load_b128 v[68:71], v1 offset:208
	scratch_load_b128 v[64:67], off, off offset:32
	s_mov_b32 s2, exec_lo
	s_waitcnt vmcnt(6) lgkmcnt(1)
	v_mul_f64 v[2:3], v[62:63], v[8:9]
	v_mul_f64 v[8:9], v[60:61], v[8:9]
	s_waitcnt vmcnt(5) lgkmcnt(0)
	v_mul_f64 v[10:11], v[68:69], v[42:43]
	v_mul_f64 v[42:43], v[70:71], v[42:43]
	s_delay_alu instid0(VALU_DEP_4) | instskip(NEXT) | instid1(VALU_DEP_4)
	v_fma_f64 v[2:3], v[60:61], v[6:7], -v[2:3]
	v_fma_f64 v[72:73], v[62:63], v[6:7], v[8:9]
	ds_load_b128 v[6:9], v1 offset:224
	ds_load_b128 v[60:63], v1 offset:240
	v_fma_f64 v[10:11], v[70:71], v[40:41], v[10:11]
	v_fma_f64 v[40:41], v[68:69], v[40:41], -v[42:43]
	s_waitcnt vmcnt(4) lgkmcnt(1)
	v_mul_f64 v[74:75], v[6:7], v[46:47]
	v_mul_f64 v[46:47], v[8:9], v[46:47]
	s_waitcnt vmcnt(3) lgkmcnt(0)
	v_mul_f64 v[68:69], v[60:61], v[50:51]
	v_mul_f64 v[50:51], v[62:63], v[50:51]
	v_add_f64 v[2:3], v[2:3], 0
	v_add_f64 v[42:43], v[72:73], 0
	v_fma_f64 v[70:71], v[8:9], v[44:45], v[74:75]
	v_fma_f64 v[44:45], v[6:7], v[44:45], -v[46:47]
	s_delay_alu instid0(VALU_DEP_4) | instskip(NEXT) | instid1(VALU_DEP_4)
	v_add_f64 v[40:41], v[2:3], v[40:41]
	v_add_f64 v[10:11], v[42:43], v[10:11]
	ds_load_b128 v[6:9], v1 offset:256
	ds_load_b128 v[1:4], v1 offset:272
	s_waitcnt vmcnt(2) lgkmcnt(1)
	v_mul_f64 v[42:43], v[6:7], v[54:55]
	v_mul_f64 v[46:47], v[8:9], v[54:55]
	v_fma_f64 v[54:55], v[62:63], v[48:49], v[68:69]
	v_fma_f64 v[48:49], v[60:61], v[48:49], -v[50:51]
	s_waitcnt vmcnt(1) lgkmcnt(0)
	v_mul_f64 v[50:51], v[3:4], v[58:59]
	v_add_f64 v[40:41], v[40:41], v[44:45]
	v_add_f64 v[10:11], v[10:11], v[70:71]
	v_mul_f64 v[44:45], v[1:2], v[58:59]
	v_fma_f64 v[8:9], v[8:9], v[52:53], v[42:43]
	v_fma_f64 v[6:7], v[6:7], v[52:53], -v[46:47]
	v_fma_f64 v[1:2], v[1:2], v[56:57], -v[50:51]
	v_add_f64 v[40:41], v[40:41], v[48:49]
	v_add_f64 v[10:11], v[10:11], v[54:55]
	v_fma_f64 v[3:4], v[3:4], v[56:57], v[44:45]
	s_delay_alu instid0(VALU_DEP_3) | instskip(NEXT) | instid1(VALU_DEP_3)
	v_add_f64 v[6:7], v[40:41], v[6:7]
	v_add_f64 v[8:9], v[10:11], v[8:9]
	s_delay_alu instid0(VALU_DEP_2) | instskip(NEXT) | instid1(VALU_DEP_2)
	v_add_f64 v[1:2], v[6:7], v[1:2]
	v_add_f64 v[3:4], v[8:9], v[3:4]
	s_waitcnt vmcnt(0)
	s_delay_alu instid0(VALU_DEP_2) | instskip(NEXT) | instid1(VALU_DEP_2)
	v_add_f64 v[1:2], v[64:65], -v[1:2]
	v_add_f64 v[3:4], v[66:67], -v[3:4]
	scratch_store_b128 off, v[1:4], off offset:32
	v_cmpx_lt_u32_e32 1, v31
	s_cbranch_execz .LBB72_65
; %bb.64:
	scratch_load_b128 v[1:4], v33, off
	v_mov_b32_e32 v6, 0
	s_delay_alu instid0(VALU_DEP_1)
	v_mov_b32_e32 v7, v6
	v_mov_b32_e32 v8, v6
	;; [unrolled: 1-line block ×3, first 2 shown]
	scratch_store_b128 off, v[6:9], off offset:16
	s_waitcnt vmcnt(0)
	ds_store_b128 v5, v[1:4]
.LBB72_65:
	s_or_b32 exec_lo, exec_lo, s2
	s_waitcnt lgkmcnt(0)
	s_waitcnt_vscnt null, 0x0
	s_barrier
	buffer_gl0_inv
	s_clause 0x6
	scratch_load_b128 v[6:9], off, off offset:32
	scratch_load_b128 v[40:43], off, off offset:48
	;; [unrolled: 1-line block ×7, first 2 shown]
	v_mov_b32_e32 v1, 0
	scratch_load_b128 v[68:71], off, off offset:16
	s_mov_b32 s2, exec_lo
	ds_load_b128 v[64:67], v1 offset:176
	ds_load_b128 v[72:75], v1 offset:192
	s_waitcnt vmcnt(7) lgkmcnt(1)
	v_mul_f64 v[2:3], v[66:67], v[8:9]
	v_mul_f64 v[8:9], v[64:65], v[8:9]
	s_waitcnt vmcnt(6) lgkmcnt(0)
	v_mul_f64 v[10:11], v[72:73], v[42:43]
	v_mul_f64 v[42:43], v[74:75], v[42:43]
	s_delay_alu instid0(VALU_DEP_4) | instskip(NEXT) | instid1(VALU_DEP_4)
	v_fma_f64 v[2:3], v[64:65], v[6:7], -v[2:3]
	v_fma_f64 v[76:77], v[66:67], v[6:7], v[8:9]
	ds_load_b128 v[6:9], v1 offset:208
	ds_load_b128 v[64:67], v1 offset:224
	v_fma_f64 v[10:11], v[74:75], v[40:41], v[10:11]
	v_fma_f64 v[40:41], v[72:73], v[40:41], -v[42:43]
	s_waitcnt vmcnt(5) lgkmcnt(1)
	v_mul_f64 v[78:79], v[6:7], v[46:47]
	v_mul_f64 v[46:47], v[8:9], v[46:47]
	s_waitcnt vmcnt(4) lgkmcnt(0)
	v_mul_f64 v[72:73], v[64:65], v[50:51]
	v_mul_f64 v[50:51], v[66:67], v[50:51]
	v_add_f64 v[2:3], v[2:3], 0
	v_add_f64 v[42:43], v[76:77], 0
	v_fma_f64 v[74:75], v[8:9], v[44:45], v[78:79]
	v_fma_f64 v[44:45], v[6:7], v[44:45], -v[46:47]
	v_fma_f64 v[66:67], v[66:67], v[48:49], v[72:73]
	v_fma_f64 v[48:49], v[64:65], v[48:49], -v[50:51]
	v_add_f64 v[2:3], v[2:3], v[40:41]
	v_add_f64 v[10:11], v[42:43], v[10:11]
	ds_load_b128 v[6:9], v1 offset:240
	ds_load_b128 v[40:43], v1 offset:256
	s_waitcnt vmcnt(3) lgkmcnt(1)
	v_mul_f64 v[46:47], v[6:7], v[54:55]
	v_mul_f64 v[54:55], v[8:9], v[54:55]
	s_waitcnt vmcnt(2) lgkmcnt(0)
	v_mul_f64 v[50:51], v[42:43], v[58:59]
	v_add_f64 v[2:3], v[2:3], v[44:45]
	v_add_f64 v[10:11], v[10:11], v[74:75]
	v_mul_f64 v[44:45], v[40:41], v[58:59]
	v_fma_f64 v[46:47], v[8:9], v[52:53], v[46:47]
	v_fma_f64 v[52:53], v[6:7], v[52:53], -v[54:55]
	ds_load_b128 v[6:9], v1 offset:272
	v_fma_f64 v[40:41], v[40:41], v[56:57], -v[50:51]
	v_add_f64 v[2:3], v[2:3], v[48:49]
	v_add_f64 v[10:11], v[10:11], v[66:67]
	v_fma_f64 v[42:43], v[42:43], v[56:57], v[44:45]
	s_waitcnt vmcnt(1) lgkmcnt(0)
	v_mul_f64 v[48:49], v[6:7], v[62:63]
	v_mul_f64 v[54:55], v[8:9], v[62:63]
	v_add_f64 v[2:3], v[2:3], v[52:53]
	v_add_f64 v[10:11], v[10:11], v[46:47]
	s_delay_alu instid0(VALU_DEP_4) | instskip(NEXT) | instid1(VALU_DEP_4)
	v_fma_f64 v[8:9], v[8:9], v[60:61], v[48:49]
	v_fma_f64 v[6:7], v[6:7], v[60:61], -v[54:55]
	s_delay_alu instid0(VALU_DEP_4) | instskip(NEXT) | instid1(VALU_DEP_4)
	v_add_f64 v[2:3], v[2:3], v[40:41]
	v_add_f64 v[10:11], v[10:11], v[42:43]
	s_delay_alu instid0(VALU_DEP_2) | instskip(NEXT) | instid1(VALU_DEP_2)
	v_add_f64 v[2:3], v[2:3], v[6:7]
	v_add_f64 v[8:9], v[10:11], v[8:9]
	s_waitcnt vmcnt(0)
	s_delay_alu instid0(VALU_DEP_2) | instskip(NEXT) | instid1(VALU_DEP_2)
	v_add_f64 v[6:7], v[68:69], -v[2:3]
	v_add_f64 v[8:9], v[70:71], -v[8:9]
	scratch_store_b128 off, v[6:9], off offset:16
	v_cmpx_ne_u32_e32 0, v31
	s_cbranch_execz .LBB72_67
; %bb.66:
	scratch_load_b128 v[6:9], off, off
	v_mov_b32_e32 v2, v1
	v_mov_b32_e32 v3, v1
	;; [unrolled: 1-line block ×3, first 2 shown]
	scratch_store_b128 off, v[1:4], off
	s_waitcnt vmcnt(0)
	ds_store_b128 v5, v[6:9]
.LBB72_67:
	s_or_b32 exec_lo, exec_lo, s2
	s_waitcnt lgkmcnt(0)
	s_waitcnt_vscnt null, 0x0
	s_barrier
	buffer_gl0_inv
	s_clause 0x7
	scratch_load_b128 v[2:5], off, off offset:16
	scratch_load_b128 v[6:9], off, off offset:32
	;; [unrolled: 1-line block ×8, first 2 shown]
	ds_load_b128 v[64:67], v1 offset:160
	ds_load_b128 v[68:71], v1 offset:176
	scratch_load_b128 v[72:75], off, off
	s_and_b32 vcc_lo, exec_lo, s14
	s_waitcnt vmcnt(8) lgkmcnt(1)
	v_mul_f64 v[10:11], v[66:67], v[4:5]
	v_mul_f64 v[4:5], v[64:65], v[4:5]
	s_waitcnt vmcnt(7) lgkmcnt(0)
	v_mul_f64 v[76:77], v[68:69], v[8:9]
	v_mul_f64 v[78:79], v[70:71], v[8:9]
	s_delay_alu instid0(VALU_DEP_4) | instskip(NEXT) | instid1(VALU_DEP_4)
	v_fma_f64 v[64:65], v[64:65], v[2:3], -v[10:11]
	v_fma_f64 v[66:67], v[66:67], v[2:3], v[4:5]
	ds_load_b128 v[2:5], v1 offset:192
	ds_load_b128 v[8:11], v1 offset:208
	v_fma_f64 v[70:71], v[70:71], v[6:7], v[76:77]
	v_fma_f64 v[6:7], v[68:69], v[6:7], -v[78:79]
	s_waitcnt vmcnt(6) lgkmcnt(1)
	v_mul_f64 v[80:81], v[2:3], v[42:43]
	v_mul_f64 v[42:43], v[4:5], v[42:43]
	s_waitcnt vmcnt(5) lgkmcnt(0)
	v_mul_f64 v[68:69], v[8:9], v[46:47]
	v_mul_f64 v[46:47], v[10:11], v[46:47]
	v_add_f64 v[64:65], v[64:65], 0
	v_add_f64 v[66:67], v[66:67], 0
	v_fma_f64 v[76:77], v[4:5], v[40:41], v[80:81]
	v_fma_f64 v[78:79], v[2:3], v[40:41], -v[42:43]
	ds_load_b128 v[2:5], v1 offset:224
	ds_load_b128 v[40:43], v1 offset:240
	v_fma_f64 v[10:11], v[10:11], v[44:45], v[68:69]
	v_fma_f64 v[8:9], v[8:9], v[44:45], -v[46:47]
	v_add_f64 v[6:7], v[64:65], v[6:7]
	v_add_f64 v[64:65], v[66:67], v[70:71]
	s_waitcnt vmcnt(4) lgkmcnt(1)
	v_mul_f64 v[66:67], v[2:3], v[50:51]
	v_mul_f64 v[50:51], v[4:5], v[50:51]
	s_waitcnt vmcnt(3) lgkmcnt(0)
	v_mul_f64 v[46:47], v[40:41], v[54:55]
	v_mul_f64 v[54:55], v[42:43], v[54:55]
	v_add_f64 v[6:7], v[6:7], v[78:79]
	v_add_f64 v[44:45], v[64:65], v[76:77]
	v_fma_f64 v[64:65], v[4:5], v[48:49], v[66:67]
	v_fma_f64 v[48:49], v[2:3], v[48:49], -v[50:51]
	v_fma_f64 v[42:43], v[42:43], v[52:53], v[46:47]
	v_fma_f64 v[40:41], v[40:41], v[52:53], -v[54:55]
	v_add_f64 v[50:51], v[6:7], v[8:9]
	v_add_f64 v[10:11], v[44:45], v[10:11]
	ds_load_b128 v[2:5], v1 offset:256
	ds_load_b128 v[6:9], v1 offset:272
	s_waitcnt vmcnt(2) lgkmcnt(1)
	v_mul_f64 v[44:45], v[2:3], v[58:59]
	v_mul_f64 v[58:59], v[4:5], v[58:59]
	v_add_f64 v[46:47], v[50:51], v[48:49]
	v_add_f64 v[10:11], v[10:11], v[64:65]
	s_waitcnt vmcnt(1) lgkmcnt(0)
	v_mul_f64 v[48:49], v[6:7], v[62:63]
	v_mul_f64 v[50:51], v[8:9], v[62:63]
	v_fma_f64 v[4:5], v[4:5], v[56:57], v[44:45]
	v_fma_f64 v[1:2], v[2:3], v[56:57], -v[58:59]
	v_add_f64 v[40:41], v[46:47], v[40:41]
	v_add_f64 v[10:11], v[10:11], v[42:43]
	v_fma_f64 v[8:9], v[8:9], v[60:61], v[48:49]
	v_fma_f64 v[6:7], v[6:7], v[60:61], -v[50:51]
	s_delay_alu instid0(VALU_DEP_4) | instskip(NEXT) | instid1(VALU_DEP_4)
	v_add_f64 v[1:2], v[40:41], v[1:2]
	v_add_f64 v[3:4], v[10:11], v[4:5]
	s_delay_alu instid0(VALU_DEP_2) | instskip(NEXT) | instid1(VALU_DEP_2)
	v_add_f64 v[1:2], v[1:2], v[6:7]
	v_add_f64 v[3:4], v[3:4], v[8:9]
	s_waitcnt vmcnt(0)
	s_delay_alu instid0(VALU_DEP_2) | instskip(NEXT) | instid1(VALU_DEP_2)
	v_add_f64 v[1:2], v[72:73], -v[1:2]
	v_add_f64 v[3:4], v[74:75], -v[3:4]
	scratch_store_b128 off, v[1:4], off
	s_cbranch_vccz .LBB72_85
; %bb.68:
	v_dual_mov_b32 v1, s8 :: v_dual_mov_b32 v2, s9
	s_load_b64 s[0:1], s[0:1], 0x4
	flat_load_b32 v1, v[1:2] offset:28
	v_bfe_u32 v2, v0, 10, 10
	v_bfe_u32 v0, v0, 20, 10
	s_waitcnt lgkmcnt(0)
	s_lshr_b32 s0, s0, 16
	s_delay_alu instid0(VALU_DEP_2) | instskip(SKIP_1) | instid1(SALU_CYCLE_1)
	v_mul_u32_u24_e32 v2, s1, v2
	s_mul_i32 s0, s0, s1
	v_mul_u32_u24_e32 v3, s0, v31
	s_mov_b32 s0, exec_lo
	s_delay_alu instid0(VALU_DEP_1) | instskip(NEXT) | instid1(VALU_DEP_1)
	v_add3_u32 v0, v3, v2, v0
	v_lshl_add_u32 v0, v0, 4, 0x128
	s_waitcnt vmcnt(0)
	v_cmpx_ne_u32_e32 8, v1
	s_cbranch_execz .LBB72_70
; %bb.69:
	v_lshl_add_u32 v9, v1, 4, 0
	s_clause 0x1
	scratch_load_b128 v[1:4], v39, off
	scratch_load_b128 v[5:8], v9, off offset:-16
	s_waitcnt vmcnt(1)
	ds_store_2addr_b64 v0, v[1:2], v[3:4] offset1:1
	s_waitcnt vmcnt(0)
	s_clause 0x1
	scratch_store_b128 v39, v[5:8], off
	scratch_store_b128 v9, v[1:4], off offset:-16
.LBB72_70:
	s_or_b32 exec_lo, exec_lo, s0
	v_dual_mov_b32 v1, s8 :: v_dual_mov_b32 v2, s9
	s_mov_b32 s0, exec_lo
	flat_load_b32 v1, v[1:2] offset:24
	s_waitcnt vmcnt(0) lgkmcnt(0)
	v_cmpx_ne_u32_e32 7, v1
	s_cbranch_execz .LBB72_72
; %bb.71:
	v_lshl_add_u32 v9, v1, 4, 0
	s_clause 0x1
	scratch_load_b128 v[1:4], v38, off
	scratch_load_b128 v[5:8], v9, off offset:-16
	s_waitcnt vmcnt(1)
	ds_store_2addr_b64 v0, v[1:2], v[3:4] offset1:1
	s_waitcnt vmcnt(0)
	s_clause 0x1
	scratch_store_b128 v38, v[5:8], off
	scratch_store_b128 v9, v[1:4], off offset:-16
.LBB72_72:
	s_or_b32 exec_lo, exec_lo, s0
	v_dual_mov_b32 v1, s8 :: v_dual_mov_b32 v2, s9
	s_mov_b32 s0, exec_lo
	flat_load_b32 v1, v[1:2] offset:20
	s_waitcnt vmcnt(0) lgkmcnt(0)
	;; [unrolled: 19-line block ×6, first 2 shown]
	v_cmpx_ne_u32_e32 2, v1
	s_cbranch_execz .LBB72_82
; %bb.81:
	v_lshl_add_u32 v9, v1, 4, 0
	s_clause 0x1
	scratch_load_b128 v[1:4], v33, off
	scratch_load_b128 v[5:8], v9, off offset:-16
	s_waitcnt vmcnt(1)
	ds_store_2addr_b64 v0, v[1:2], v[3:4] offset1:1
	s_waitcnt vmcnt(0)
	s_clause 0x1
	scratch_store_b128 v33, v[5:8], off
	scratch_store_b128 v9, v[1:4], off offset:-16
.LBB72_82:
	s_or_b32 exec_lo, exec_lo, s0
	v_dual_mov_b32 v1, s8 :: v_dual_mov_b32 v2, s9
	s_mov_b32 s0, exec_lo
	flat_load_b32 v1, v[1:2]
	s_waitcnt vmcnt(0) lgkmcnt(0)
	v_cmpx_ne_u32_e32 1, v1
	s_cbranch_execz .LBB72_84
; %bb.83:
	v_lshl_add_u32 v9, v1, 4, 0
	scratch_load_b128 v[1:4], off, off
	scratch_load_b128 v[5:8], v9, off offset:-16
	s_waitcnt vmcnt(1)
	ds_store_2addr_b64 v0, v[1:2], v[3:4] offset1:1
	s_waitcnt vmcnt(0)
	scratch_store_b128 off, v[5:8], off
	scratch_store_b128 v9, v[1:4], off offset:-16
.LBB72_84:
	s_or_b32 exec_lo, exec_lo, s0
.LBB72_85:
	scratch_load_b128 v[0:3], off, off
	s_clause 0x7
	scratch_load_b128 v[4:7], v33, off
	scratch_load_b128 v[8:11], v35, off
	;; [unrolled: 1-line block ×8, first 2 shown]
	s_waitcnt vmcnt(8)
	global_store_b128 v[13:14], v[0:3], off
	s_waitcnt vmcnt(7)
	global_store_b128 v[15:16], v[4:7], off
	;; [unrolled: 2-line block ×9, first 2 shown]
	s_endpgm
	.section	.rodata,"a",@progbits
	.p2align	6, 0x0
	.amdhsa_kernel _ZN9rocsolver6v33100L18getri_kernel_smallILi9E19rocblas_complex_numIdEPKPS3_EEvT1_iilPiilS8_bb
		.amdhsa_group_segment_fixed_size 1320
		.amdhsa_private_segment_fixed_size 160
		.amdhsa_kernarg_size 60
		.amdhsa_user_sgpr_count 15
		.amdhsa_user_sgpr_dispatch_ptr 1
		.amdhsa_user_sgpr_queue_ptr 0
		.amdhsa_user_sgpr_kernarg_segment_ptr 1
		.amdhsa_user_sgpr_dispatch_id 0
		.amdhsa_user_sgpr_private_segment_size 0
		.amdhsa_wavefront_size32 1
		.amdhsa_uses_dynamic_stack 0
		.amdhsa_enable_private_segment 1
		.amdhsa_system_sgpr_workgroup_id_x 1
		.amdhsa_system_sgpr_workgroup_id_y 0
		.amdhsa_system_sgpr_workgroup_id_z 0
		.amdhsa_system_sgpr_workgroup_info 0
		.amdhsa_system_vgpr_workitem_id 2
		.amdhsa_next_free_vgpr 82
		.amdhsa_next_free_sgpr 19
		.amdhsa_reserve_vcc 1
		.amdhsa_float_round_mode_32 0
		.amdhsa_float_round_mode_16_64 0
		.amdhsa_float_denorm_mode_32 3
		.amdhsa_float_denorm_mode_16_64 3
		.amdhsa_dx10_clamp 1
		.amdhsa_ieee_mode 1
		.amdhsa_fp16_overflow 0
		.amdhsa_workgroup_processor_mode 1
		.amdhsa_memory_ordered 1
		.amdhsa_forward_progress 0
		.amdhsa_shared_vgpr_count 0
		.amdhsa_exception_fp_ieee_invalid_op 0
		.amdhsa_exception_fp_denorm_src 0
		.amdhsa_exception_fp_ieee_div_zero 0
		.amdhsa_exception_fp_ieee_overflow 0
		.amdhsa_exception_fp_ieee_underflow 0
		.amdhsa_exception_fp_ieee_inexact 0
		.amdhsa_exception_int_div_zero 0
	.end_amdhsa_kernel
	.section	.text._ZN9rocsolver6v33100L18getri_kernel_smallILi9E19rocblas_complex_numIdEPKPS3_EEvT1_iilPiilS8_bb,"axG",@progbits,_ZN9rocsolver6v33100L18getri_kernel_smallILi9E19rocblas_complex_numIdEPKPS3_EEvT1_iilPiilS8_bb,comdat
.Lfunc_end72:
	.size	_ZN9rocsolver6v33100L18getri_kernel_smallILi9E19rocblas_complex_numIdEPKPS3_EEvT1_iilPiilS8_bb, .Lfunc_end72-_ZN9rocsolver6v33100L18getri_kernel_smallILi9E19rocblas_complex_numIdEPKPS3_EEvT1_iilPiilS8_bb
                                        ; -- End function
	.section	.AMDGPU.csdata,"",@progbits
; Kernel info:
; codeLenInByte = 8564
; NumSgprs: 21
; NumVgprs: 82
; ScratchSize: 160
; MemoryBound: 0
; FloatMode: 240
; IeeeMode: 1
; LDSByteSize: 1320 bytes/workgroup (compile time only)
; SGPRBlocks: 2
; VGPRBlocks: 10
; NumSGPRsForWavesPerEU: 21
; NumVGPRsForWavesPerEU: 82
; Occupancy: 16
; WaveLimiterHint : 1
; COMPUTE_PGM_RSRC2:SCRATCH_EN: 1
; COMPUTE_PGM_RSRC2:USER_SGPR: 15
; COMPUTE_PGM_RSRC2:TRAP_HANDLER: 0
; COMPUTE_PGM_RSRC2:TGID_X_EN: 1
; COMPUTE_PGM_RSRC2:TGID_Y_EN: 0
; COMPUTE_PGM_RSRC2:TGID_Z_EN: 0
; COMPUTE_PGM_RSRC2:TIDIG_COMP_CNT: 2
	.section	.text._ZN9rocsolver6v33100L18getri_kernel_smallILi10E19rocblas_complex_numIdEPKPS3_EEvT1_iilPiilS8_bb,"axG",@progbits,_ZN9rocsolver6v33100L18getri_kernel_smallILi10E19rocblas_complex_numIdEPKPS3_EEvT1_iilPiilS8_bb,comdat
	.globl	_ZN9rocsolver6v33100L18getri_kernel_smallILi10E19rocblas_complex_numIdEPKPS3_EEvT1_iilPiilS8_bb ; -- Begin function _ZN9rocsolver6v33100L18getri_kernel_smallILi10E19rocblas_complex_numIdEPKPS3_EEvT1_iilPiilS8_bb
	.p2align	8
	.type	_ZN9rocsolver6v33100L18getri_kernel_smallILi10E19rocblas_complex_numIdEPKPS3_EEvT1_iilPiilS8_bb,@function
_ZN9rocsolver6v33100L18getri_kernel_smallILi10E19rocblas_complex_numIdEPKPS3_EEvT1_iilPiilS8_bb: ; @_ZN9rocsolver6v33100L18getri_kernel_smallILi10E19rocblas_complex_numIdEPKPS3_EEvT1_iilPiilS8_bb
; %bb.0:
	v_and_b32_e32 v33, 0x3ff, v0
	s_mov_b32 s4, exec_lo
	s_delay_alu instid0(VALU_DEP_1)
	v_cmpx_gt_u32_e32 10, v33
	s_cbranch_execz .LBB73_54
; %bb.1:
	s_mov_b32 s10, s15
	s_clause 0x2
	s_load_b32 s15, s[2:3], 0x38
	s_load_b64 s[8:9], s[2:3], 0x0
	s_load_b128 s[4:7], s[2:3], 0x28
	s_waitcnt lgkmcnt(0)
	s_bitcmp1_b32 s15, 8
	s_cselect_b32 s14, -1, 0
	s_ashr_i32 s11, s10, 31
	s_delay_alu instid0(SALU_CYCLE_1) | instskip(NEXT) | instid1(SALU_CYCLE_1)
	s_lshl_b64 s[12:13], s[10:11], 3
	s_add_u32 s8, s8, s12
	s_addc_u32 s9, s9, s13
	s_load_b64 s[12:13], s[8:9], 0x0
	s_bfe_u32 s8, s15, 0x10008
	s_delay_alu instid0(SALU_CYCLE_1)
	s_cmp_eq_u32 s8, 0
                                        ; implicit-def: $sgpr8_sgpr9
	s_cbranch_scc1 .LBB73_3
; %bb.2:
	s_clause 0x1
	s_load_b32 s8, s[2:3], 0x20
	s_load_b64 s[16:17], s[2:3], 0x18
	s_mul_i32 s5, s10, s5
	s_mul_hi_u32 s9, s10, s4
	s_mul_i32 s18, s11, s4
	s_add_i32 s5, s9, s5
	s_mul_i32 s4, s10, s4
	s_add_i32 s5, s5, s18
	s_delay_alu instid0(SALU_CYCLE_1)
	s_lshl_b64 s[4:5], s[4:5], 2
	s_waitcnt lgkmcnt(0)
	s_ashr_i32 s9, s8, 31
	s_add_u32 s16, s16, s4
	s_addc_u32 s17, s17, s5
	s_lshl_b64 s[4:5], s[8:9], 2
	s_delay_alu instid0(SALU_CYCLE_1)
	s_add_u32 s8, s16, s4
	s_addc_u32 s9, s17, s5
.LBB73_3:
	s_load_b64 s[2:3], s[2:3], 0x8
	v_lshlrev_b32_e32 v43, 4, v33
	v_add_nc_u32_e64 v37, 0, 32
	s_waitcnt lgkmcnt(0)
	v_add3_u32 v5, s3, s3, v33
	s_ashr_i32 s5, s2, 31
	s_mov_b32 s4, s2
	s_mov_b32 s16, s3
	s_lshl_b64 s[4:5], s[4:5], 4
	v_add_nc_u32_e32 v7, s3, v5
	v_ashrrev_i32_e32 v6, 31, v5
	s_add_u32 s4, s12, s4
	s_addc_u32 s5, s13, s5
	v_add_co_u32 v13, s2, s4, v43
	v_add_nc_u32_e32 v9, s3, v7
	v_ashrrev_i32_e32 v8, 31, v7
	s_ashr_i32 s17, s3, 31
	v_add_co_ci_u32_e64 v14, null, s5, 0, s2
	s_delay_alu instid0(VALU_DEP_3)
	v_add_nc_u32_e32 v23, s3, v9
	v_lshlrev_b64 v[5:6], 4, v[5:6]
	s_lshl_b64 s[12:13], s[16:17], 4
	v_ashrrev_i32_e32 v10, 31, v9
	v_add_co_u32 v15, vcc_lo, v13, s12
	v_add_nc_u32_e32 v25, s3, v23
	v_lshlrev_b64 v[19:20], 4, v[7:8]
	v_ashrrev_i32_e32 v24, 31, v23
	v_add_co_ci_u32_e32 v16, vcc_lo, s13, v14, vcc_lo
	s_delay_alu instid0(VALU_DEP_4)
	v_add_nc_u32_e32 v27, s3, v25
	v_add_co_u32 v17, vcc_lo, s4, v5
	v_lshlrev_b64 v[21:22], 4, v[9:10]
	v_ashrrev_i32_e32 v26, 31, v25
	v_add_co_ci_u32_e32 v18, vcc_lo, s5, v6, vcc_lo
	v_add_co_u32 v19, vcc_lo, s4, v19
	v_lshlrev_b64 v[23:24], 4, v[23:24]
	v_ashrrev_i32_e32 v28, 31, v27
	v_add_co_ci_u32_e32 v20, vcc_lo, s5, v20, vcc_lo
	v_add_nc_u32_e32 v30, s3, v27
	v_add_co_u32 v21, vcc_lo, s4, v21
	v_lshlrev_b64 v[25:26], 4, v[25:26]
	v_add_co_ci_u32_e32 v22, vcc_lo, s5, v22, vcc_lo
	v_add_co_u32 v23, vcc_lo, s4, v23
	v_lshlrev_b64 v[28:29], 4, v[27:28]
	v_add_nc_u32_e32 v34, s3, v30
	v_add_co_ci_u32_e32 v24, vcc_lo, s5, v24, vcc_lo
	v_add_co_u32 v25, vcc_lo, s4, v25
	v_ashrrev_i32_e32 v31, 31, v30
	v_add_co_ci_u32_e32 v26, vcc_lo, s5, v26, vcc_lo
	v_add_co_u32 v27, vcc_lo, s4, v28
	v_ashrrev_i32_e32 v35, 31, v34
	v_add_co_ci_u32_e32 v28, vcc_lo, s5, v29, vcc_lo
	v_lshlrev_b64 v[29:30], 4, v[30:31]
	global_load_b128 v[1:4], v43, s[4:5]
	v_lshlrev_b64 v[31:32], 4, v[34:35]
	s_clause 0x6
	global_load_b128 v[5:8], v[15:16], off
	global_load_b128 v[9:12], v[17:18], off
	;; [unrolled: 1-line block ×7, first 2 shown]
	v_add_co_u32 v29, vcc_lo, s4, v29
	v_add_co_ci_u32_e32 v30, vcc_lo, s5, v30, vcc_lo
	v_add_co_u32 v31, vcc_lo, s4, v31
	v_add_co_ci_u32_e32 v32, vcc_lo, s5, v32, vcc_lo
	s_clause 0x1
	global_load_b128 v[60:63], v[29:30], off
	global_load_b128 v[64:67], v[31:32], off
	s_movk_i32 s2, 0x50
	s_movk_i32 s3, 0x70
	v_add_nc_u32_e64 v36, s2, 0
	s_movk_i32 s2, 0x60
	v_add_nc_u32_e64 v35, 0, 16
	v_add_nc_u32_e64 v34, 0, 48
	s_bitcmp0_b32 s15, 0
	s_waitcnt vmcnt(9)
	scratch_store_b128 off, v[1:4], off
	s_waitcnt vmcnt(8)
	scratch_store_b128 off, v[5:8], off offset:16
	s_waitcnt vmcnt(7)
	scratch_store_b128 off, v[9:12], off offset:32
	;; [unrolled: 2-line block ×3, first 2 shown]
	v_add_nc_u32_e64 v40, s2, 0
	v_add_nc_u32_e64 v39, s3, 0
	s_movk_i32 s2, 0x80
	s_movk_i32 s3, 0x90
	v_add_nc_u32_e64 v38, 0, 64
	v_add_nc_u32_e64 v42, s2, 0
	;; [unrolled: 1-line block ×3, first 2 shown]
	s_mov_b32 s3, -1
	s_waitcnt vmcnt(5)
	scratch_store_b128 off, v[44:47], off offset:64
	s_waitcnt vmcnt(4)
	scratch_store_b128 off, v[48:51], off offset:80
	;; [unrolled: 2-line block ×6, first 2 shown]
	s_cbranch_scc1 .LBB73_52
; %bb.4:
	v_cmp_eq_u32_e64 s2, 0, v33
	s_delay_alu instid0(VALU_DEP_1)
	s_and_saveexec_b32 s3, s2
	s_cbranch_execz .LBB73_6
; %bb.5:
	v_mov_b32_e32 v1, 0
	ds_store_b32 v1, v1 offset:320
.LBB73_6:
	s_or_b32 exec_lo, exec_lo, s3
	s_waitcnt lgkmcnt(0)
	s_waitcnt_vscnt null, 0x0
	s_barrier
	buffer_gl0_inv
	scratch_load_b128 v[1:4], v43, off
	s_waitcnt vmcnt(0)
	v_cmp_eq_f64_e32 vcc_lo, 0, v[1:2]
	v_cmp_eq_f64_e64 s3, 0, v[3:4]
	s_delay_alu instid0(VALU_DEP_1) | instskip(NEXT) | instid1(SALU_CYCLE_1)
	s_and_b32 s3, vcc_lo, s3
	s_and_saveexec_b32 s4, s3
	s_cbranch_execz .LBB73_10
; %bb.7:
	v_mov_b32_e32 v1, 0
	s_mov_b32 s5, 0
	ds_load_b32 v2, v1 offset:320
	s_waitcnt lgkmcnt(0)
	v_readfirstlane_b32 s3, v2
	v_add_nc_u32_e32 v2, 1, v33
	s_delay_alu instid0(VALU_DEP_2) | instskip(NEXT) | instid1(VALU_DEP_1)
	s_cmp_eq_u32 s3, 0
	v_cmp_gt_i32_e32 vcc_lo, s3, v2
	s_cselect_b32 s12, -1, 0
	s_delay_alu instid0(SALU_CYCLE_1) | instskip(NEXT) | instid1(SALU_CYCLE_1)
	s_or_b32 s12, s12, vcc_lo
	s_and_b32 exec_lo, exec_lo, s12
	s_cbranch_execz .LBB73_10
; %bb.8:
	v_mov_b32_e32 v3, s3
.LBB73_9:                               ; =>This Inner Loop Header: Depth=1
	ds_cmpstore_rtn_b32 v3, v1, v2, v3 offset:320
	s_waitcnt lgkmcnt(0)
	v_cmp_ne_u32_e32 vcc_lo, 0, v3
	v_cmp_le_i32_e64 s3, v3, v2
	s_delay_alu instid0(VALU_DEP_1) | instskip(NEXT) | instid1(SALU_CYCLE_1)
	s_and_b32 s3, vcc_lo, s3
	s_and_b32 s3, exec_lo, s3
	s_delay_alu instid0(SALU_CYCLE_1) | instskip(NEXT) | instid1(SALU_CYCLE_1)
	s_or_b32 s5, s3, s5
	s_and_not1_b32 exec_lo, exec_lo, s5
	s_cbranch_execnz .LBB73_9
.LBB73_10:
	s_or_b32 exec_lo, exec_lo, s4
	v_mov_b32_e32 v1, 0
	s_barrier
	buffer_gl0_inv
	ds_load_b32 v2, v1 offset:320
	s_and_saveexec_b32 s3, s2
	s_cbranch_execz .LBB73_12
; %bb.11:
	s_lshl_b64 s[4:5], s[10:11], 2
	s_delay_alu instid0(SALU_CYCLE_1)
	s_add_u32 s4, s6, s4
	s_addc_u32 s5, s7, s5
	s_waitcnt lgkmcnt(0)
	global_store_b32 v1, v2, s[4:5]
.LBB73_12:
	s_or_b32 exec_lo, exec_lo, s3
	s_waitcnt lgkmcnt(0)
	v_cmp_ne_u32_e32 vcc_lo, 0, v2
	s_mov_b32 s3, 0
	s_cbranch_vccnz .LBB73_52
; %bb.13:
	v_add_nc_u32_e32 v44, 0, v43
                                        ; implicit-def: $vgpr9_vgpr10
	scratch_load_b128 v[1:4], v44, off
	s_waitcnt vmcnt(0)
	v_mov_b32_e32 v5, v1
	v_cmp_gt_f64_e32 vcc_lo, 0, v[1:2]
	v_xor_b32_e32 v6, 0x80000000, v2
	v_xor_b32_e32 v7, 0x80000000, v4
	s_delay_alu instid0(VALU_DEP_2) | instskip(SKIP_1) | instid1(VALU_DEP_3)
	v_cndmask_b32_e32 v6, v2, v6, vcc_lo
	v_cmp_gt_f64_e32 vcc_lo, 0, v[3:4]
	v_dual_cndmask_b32 v8, v4, v7 :: v_dual_mov_b32 v7, v3
	s_delay_alu instid0(VALU_DEP_1) | instskip(SKIP_1) | instid1(SALU_CYCLE_1)
	v_cmp_ngt_f64_e32 vcc_lo, v[5:6], v[7:8]
                                        ; implicit-def: $vgpr5_vgpr6
	s_and_saveexec_b32 s3, vcc_lo
	s_xor_b32 s3, exec_lo, s3
	s_cbranch_execz .LBB73_15
; %bb.14:
	v_div_scale_f64 v[5:6], null, v[3:4], v[3:4], v[1:2]
	v_div_scale_f64 v[11:12], vcc_lo, v[1:2], v[3:4], v[1:2]
	s_delay_alu instid0(VALU_DEP_2) | instskip(SKIP_2) | instid1(VALU_DEP_1)
	v_rcp_f64_e32 v[7:8], v[5:6]
	s_waitcnt_depctr 0xfff
	v_fma_f64 v[9:10], -v[5:6], v[7:8], 1.0
	v_fma_f64 v[7:8], v[7:8], v[9:10], v[7:8]
	s_delay_alu instid0(VALU_DEP_1) | instskip(NEXT) | instid1(VALU_DEP_1)
	v_fma_f64 v[9:10], -v[5:6], v[7:8], 1.0
	v_fma_f64 v[7:8], v[7:8], v[9:10], v[7:8]
	s_delay_alu instid0(VALU_DEP_1) | instskip(NEXT) | instid1(VALU_DEP_1)
	v_mul_f64 v[9:10], v[11:12], v[7:8]
	v_fma_f64 v[5:6], -v[5:6], v[9:10], v[11:12]
	s_delay_alu instid0(VALU_DEP_1) | instskip(NEXT) | instid1(VALU_DEP_1)
	v_div_fmas_f64 v[5:6], v[5:6], v[7:8], v[9:10]
	v_div_fixup_f64 v[5:6], v[5:6], v[3:4], v[1:2]
	s_delay_alu instid0(VALU_DEP_1) | instskip(NEXT) | instid1(VALU_DEP_1)
	v_fma_f64 v[1:2], v[1:2], v[5:6], v[3:4]
	v_div_scale_f64 v[3:4], null, v[1:2], v[1:2], 1.0
	v_div_scale_f64 v[11:12], vcc_lo, 1.0, v[1:2], 1.0
	s_delay_alu instid0(VALU_DEP_2) | instskip(SKIP_2) | instid1(VALU_DEP_1)
	v_rcp_f64_e32 v[7:8], v[3:4]
	s_waitcnt_depctr 0xfff
	v_fma_f64 v[9:10], -v[3:4], v[7:8], 1.0
	v_fma_f64 v[7:8], v[7:8], v[9:10], v[7:8]
	s_delay_alu instid0(VALU_DEP_1) | instskip(NEXT) | instid1(VALU_DEP_1)
	v_fma_f64 v[9:10], -v[3:4], v[7:8], 1.0
	v_fma_f64 v[7:8], v[7:8], v[9:10], v[7:8]
	s_delay_alu instid0(VALU_DEP_1) | instskip(NEXT) | instid1(VALU_DEP_1)
	v_mul_f64 v[9:10], v[11:12], v[7:8]
	v_fma_f64 v[3:4], -v[3:4], v[9:10], v[11:12]
	s_delay_alu instid0(VALU_DEP_1) | instskip(NEXT) | instid1(VALU_DEP_1)
	v_div_fmas_f64 v[3:4], v[3:4], v[7:8], v[9:10]
	v_div_fixup_f64 v[7:8], v[3:4], v[1:2], 1.0
                                        ; implicit-def: $vgpr1_vgpr2
	s_delay_alu instid0(VALU_DEP_1) | instskip(SKIP_1) | instid1(VALU_DEP_2)
	v_mul_f64 v[5:6], v[5:6], v[7:8]
	v_xor_b32_e32 v8, 0x80000000, v8
	v_xor_b32_e32 v10, 0x80000000, v6
	s_delay_alu instid0(VALU_DEP_3)
	v_mov_b32_e32 v9, v5
.LBB73_15:
	s_and_not1_saveexec_b32 s3, s3
	s_cbranch_execz .LBB73_17
; %bb.16:
	v_div_scale_f64 v[5:6], null, v[1:2], v[1:2], v[3:4]
	v_div_scale_f64 v[11:12], vcc_lo, v[3:4], v[1:2], v[3:4]
	s_delay_alu instid0(VALU_DEP_2) | instskip(SKIP_2) | instid1(VALU_DEP_1)
	v_rcp_f64_e32 v[7:8], v[5:6]
	s_waitcnt_depctr 0xfff
	v_fma_f64 v[9:10], -v[5:6], v[7:8], 1.0
	v_fma_f64 v[7:8], v[7:8], v[9:10], v[7:8]
	s_delay_alu instid0(VALU_DEP_1) | instskip(NEXT) | instid1(VALU_DEP_1)
	v_fma_f64 v[9:10], -v[5:6], v[7:8], 1.0
	v_fma_f64 v[7:8], v[7:8], v[9:10], v[7:8]
	s_delay_alu instid0(VALU_DEP_1) | instskip(NEXT) | instid1(VALU_DEP_1)
	v_mul_f64 v[9:10], v[11:12], v[7:8]
	v_fma_f64 v[5:6], -v[5:6], v[9:10], v[11:12]
	s_delay_alu instid0(VALU_DEP_1) | instskip(NEXT) | instid1(VALU_DEP_1)
	v_div_fmas_f64 v[5:6], v[5:6], v[7:8], v[9:10]
	v_div_fixup_f64 v[7:8], v[5:6], v[1:2], v[3:4]
	s_delay_alu instid0(VALU_DEP_1) | instskip(NEXT) | instid1(VALU_DEP_1)
	v_fma_f64 v[1:2], v[3:4], v[7:8], v[1:2]
	v_div_scale_f64 v[3:4], null, v[1:2], v[1:2], 1.0
	s_delay_alu instid0(VALU_DEP_1) | instskip(SKIP_2) | instid1(VALU_DEP_1)
	v_rcp_f64_e32 v[5:6], v[3:4]
	s_waitcnt_depctr 0xfff
	v_fma_f64 v[9:10], -v[3:4], v[5:6], 1.0
	v_fma_f64 v[5:6], v[5:6], v[9:10], v[5:6]
	s_delay_alu instid0(VALU_DEP_1) | instskip(NEXT) | instid1(VALU_DEP_1)
	v_fma_f64 v[9:10], -v[3:4], v[5:6], 1.0
	v_fma_f64 v[5:6], v[5:6], v[9:10], v[5:6]
	v_div_scale_f64 v[9:10], vcc_lo, 1.0, v[1:2], 1.0
	s_delay_alu instid0(VALU_DEP_1) | instskip(NEXT) | instid1(VALU_DEP_1)
	v_mul_f64 v[11:12], v[9:10], v[5:6]
	v_fma_f64 v[3:4], -v[3:4], v[11:12], v[9:10]
	s_delay_alu instid0(VALU_DEP_1) | instskip(NEXT) | instid1(VALU_DEP_1)
	v_div_fmas_f64 v[3:4], v[3:4], v[5:6], v[11:12]
	v_div_fixup_f64 v[5:6], v[3:4], v[1:2], 1.0
	s_delay_alu instid0(VALU_DEP_1)
	v_mul_f64 v[7:8], v[7:8], -v[5:6]
	v_xor_b32_e32 v10, 0x80000000, v6
	v_mov_b32_e32 v9, v5
.LBB73_17:
	s_or_b32 exec_lo, exec_lo, s3
	scratch_store_b128 v44, v[5:8], off
	scratch_load_b128 v[1:4], v35, off
	v_xor_b32_e32 v12, 0x80000000, v8
	v_mov_b32_e32 v11, v7
	v_add_nc_u32_e32 v5, 0xa0, v43
	ds_store_b128 v43, v[9:12]
	s_waitcnt vmcnt(0)
	ds_store_b128 v43, v[1:4] offset:160
	s_waitcnt lgkmcnt(0)
	s_waitcnt_vscnt null, 0x0
	s_barrier
	buffer_gl0_inv
	s_and_saveexec_b32 s3, s2
	s_cbranch_execz .LBB73_19
; %bb.18:
	scratch_load_b128 v[1:4], v44, off
	ds_load_b128 v[6:9], v5
	v_mov_b32_e32 v10, 0
	ds_load_b128 v[45:48], v10 offset:16
	s_waitcnt vmcnt(0) lgkmcnt(1)
	v_mul_f64 v[10:11], v[6:7], v[3:4]
	v_mul_f64 v[3:4], v[8:9], v[3:4]
	s_delay_alu instid0(VALU_DEP_2) | instskip(NEXT) | instid1(VALU_DEP_2)
	v_fma_f64 v[8:9], v[8:9], v[1:2], v[10:11]
	v_fma_f64 v[1:2], v[6:7], v[1:2], -v[3:4]
	s_delay_alu instid0(VALU_DEP_2) | instskip(NEXT) | instid1(VALU_DEP_2)
	v_add_f64 v[3:4], v[8:9], 0
	v_add_f64 v[1:2], v[1:2], 0
	s_waitcnt lgkmcnt(0)
	s_delay_alu instid0(VALU_DEP_2) | instskip(NEXT) | instid1(VALU_DEP_2)
	v_mul_f64 v[6:7], v[3:4], v[47:48]
	v_mul_f64 v[8:9], v[1:2], v[47:48]
	s_delay_alu instid0(VALU_DEP_2) | instskip(NEXT) | instid1(VALU_DEP_2)
	v_fma_f64 v[1:2], v[1:2], v[45:46], -v[6:7]
	v_fma_f64 v[3:4], v[3:4], v[45:46], v[8:9]
	scratch_store_b128 off, v[1:4], off offset:16
.LBB73_19:
	s_or_b32 exec_lo, exec_lo, s3
	s_waitcnt_vscnt null, 0x0
	s_barrier
	buffer_gl0_inv
	scratch_load_b128 v[1:4], v37, off
	s_mov_b32 s3, exec_lo
	s_waitcnt vmcnt(0)
	ds_store_b128 v5, v[1:4]
	s_waitcnt lgkmcnt(0)
	s_barrier
	buffer_gl0_inv
	v_cmpx_gt_u32_e32 2, v33
	s_cbranch_execz .LBB73_23
; %bb.20:
	scratch_load_b128 v[1:4], v44, off
	ds_load_b128 v[6:9], v5
	s_waitcnt vmcnt(0) lgkmcnt(0)
	v_mul_f64 v[10:11], v[8:9], v[3:4]
	v_mul_f64 v[3:4], v[6:7], v[3:4]
	s_delay_alu instid0(VALU_DEP_2) | instskip(NEXT) | instid1(VALU_DEP_2)
	v_fma_f64 v[6:7], v[6:7], v[1:2], -v[10:11]
	v_fma_f64 v[3:4], v[8:9], v[1:2], v[3:4]
	s_delay_alu instid0(VALU_DEP_2) | instskip(NEXT) | instid1(VALU_DEP_2)
	v_add_f64 v[1:2], v[6:7], 0
	v_add_f64 v[3:4], v[3:4], 0
	s_and_saveexec_b32 s4, s2
	s_cbranch_execz .LBB73_22
; %bb.21:
	scratch_load_b128 v[6:9], off, off offset:16
	v_mov_b32_e32 v10, 0
	ds_load_b128 v[45:48], v10 offset:176
	s_waitcnt vmcnt(0) lgkmcnt(0)
	v_mul_f64 v[10:11], v[45:46], v[8:9]
	v_mul_f64 v[8:9], v[47:48], v[8:9]
	s_delay_alu instid0(VALU_DEP_2) | instskip(NEXT) | instid1(VALU_DEP_2)
	v_fma_f64 v[10:11], v[47:48], v[6:7], v[10:11]
	v_fma_f64 v[6:7], v[45:46], v[6:7], -v[8:9]
	s_delay_alu instid0(VALU_DEP_2) | instskip(NEXT) | instid1(VALU_DEP_2)
	v_add_f64 v[3:4], v[3:4], v[10:11]
	v_add_f64 v[1:2], v[1:2], v[6:7]
.LBB73_22:
	s_or_b32 exec_lo, exec_lo, s4
	v_mov_b32_e32 v6, 0
	ds_load_b128 v[6:9], v6 offset:32
	s_waitcnt lgkmcnt(0)
	v_mul_f64 v[10:11], v[3:4], v[8:9]
	v_mul_f64 v[8:9], v[1:2], v[8:9]
	s_delay_alu instid0(VALU_DEP_2) | instskip(NEXT) | instid1(VALU_DEP_2)
	v_fma_f64 v[1:2], v[1:2], v[6:7], -v[10:11]
	v_fma_f64 v[3:4], v[3:4], v[6:7], v[8:9]
	scratch_store_b128 off, v[1:4], off offset:32
.LBB73_23:
	s_or_b32 exec_lo, exec_lo, s3
	s_waitcnt_vscnt null, 0x0
	s_barrier
	buffer_gl0_inv
	scratch_load_b128 v[1:4], v34, off
	v_add_nc_u32_e32 v6, -1, v33
	s_mov_b32 s2, exec_lo
	s_waitcnt vmcnt(0)
	ds_store_b128 v5, v[1:4]
	s_waitcnt lgkmcnt(0)
	s_barrier
	buffer_gl0_inv
	v_cmpx_gt_u32_e32 3, v33
	s_cbranch_execz .LBB73_27
; %bb.24:
	v_dual_mov_b32 v1, 0 :: v_dual_add_nc_u32 v8, 0xa0, v43
	v_dual_mov_b32 v2, 0 :: v_dual_add_nc_u32 v7, -1, v33
	v_or_b32_e32 v9, 8, v44
	s_mov_b32 s3, 0
	s_delay_alu instid0(VALU_DEP_2)
	v_dual_mov_b32 v4, v2 :: v_dual_mov_b32 v3, v1
	.p2align	6
.LBB73_25:                              ; =>This Inner Loop Header: Depth=1
	scratch_load_b128 v[45:48], v9, off offset:-8
	ds_load_b128 v[49:52], v8
	v_add_nc_u32_e32 v7, 1, v7
	v_add_nc_u32_e32 v8, 16, v8
	;; [unrolled: 1-line block ×3, first 2 shown]
	s_delay_alu instid0(VALU_DEP_3) | instskip(SKIP_4) | instid1(VALU_DEP_2)
	v_cmp_lt_u32_e32 vcc_lo, 1, v7
	s_or_b32 s3, vcc_lo, s3
	s_waitcnt vmcnt(0) lgkmcnt(0)
	v_mul_f64 v[10:11], v[51:52], v[47:48]
	v_mul_f64 v[47:48], v[49:50], v[47:48]
	v_fma_f64 v[10:11], v[49:50], v[45:46], -v[10:11]
	s_delay_alu instid0(VALU_DEP_2) | instskip(NEXT) | instid1(VALU_DEP_2)
	v_fma_f64 v[45:46], v[51:52], v[45:46], v[47:48]
	v_add_f64 v[3:4], v[3:4], v[10:11]
	s_delay_alu instid0(VALU_DEP_2)
	v_add_f64 v[1:2], v[1:2], v[45:46]
	s_and_not1_b32 exec_lo, exec_lo, s3
	s_cbranch_execnz .LBB73_25
; %bb.26:
	s_or_b32 exec_lo, exec_lo, s3
	v_mov_b32_e32 v7, 0
	ds_load_b128 v[7:10], v7 offset:48
	s_waitcnt lgkmcnt(0)
	v_mul_f64 v[11:12], v[1:2], v[9:10]
	v_mul_f64 v[45:46], v[3:4], v[9:10]
	s_delay_alu instid0(VALU_DEP_2) | instskip(NEXT) | instid1(VALU_DEP_2)
	v_fma_f64 v[9:10], v[3:4], v[7:8], -v[11:12]
	v_fma_f64 v[11:12], v[1:2], v[7:8], v[45:46]
	scratch_store_b128 off, v[9:12], off offset:48
.LBB73_27:
	s_or_b32 exec_lo, exec_lo, s2
	s_waitcnt_vscnt null, 0x0
	s_barrier
	buffer_gl0_inv
	scratch_load_b128 v[1:4], v38, off
	s_mov_b32 s2, exec_lo
	s_waitcnt vmcnt(0)
	ds_store_b128 v5, v[1:4]
	s_waitcnt lgkmcnt(0)
	s_barrier
	buffer_gl0_inv
	v_cmpx_gt_u32_e32 4, v33
	s_cbranch_execz .LBB73_31
; %bb.28:
	v_dual_mov_b32 v1, 0 :: v_dual_add_nc_u32 v8, 0xa0, v43
	v_dual_mov_b32 v2, 0 :: v_dual_add_nc_u32 v7, -1, v33
	v_or_b32_e32 v9, 8, v44
	s_mov_b32 s3, 0
	s_delay_alu instid0(VALU_DEP_2)
	v_dual_mov_b32 v4, v2 :: v_dual_mov_b32 v3, v1
	.p2align	6
.LBB73_29:                              ; =>This Inner Loop Header: Depth=1
	scratch_load_b128 v[45:48], v9, off offset:-8
	ds_load_b128 v[49:52], v8
	v_add_nc_u32_e32 v7, 1, v7
	v_add_nc_u32_e32 v8, 16, v8
	;; [unrolled: 1-line block ×3, first 2 shown]
	s_delay_alu instid0(VALU_DEP_3) | instskip(SKIP_4) | instid1(VALU_DEP_2)
	v_cmp_lt_u32_e32 vcc_lo, 2, v7
	s_or_b32 s3, vcc_lo, s3
	s_waitcnt vmcnt(0) lgkmcnt(0)
	v_mul_f64 v[10:11], v[51:52], v[47:48]
	v_mul_f64 v[47:48], v[49:50], v[47:48]
	v_fma_f64 v[10:11], v[49:50], v[45:46], -v[10:11]
	s_delay_alu instid0(VALU_DEP_2) | instskip(NEXT) | instid1(VALU_DEP_2)
	v_fma_f64 v[45:46], v[51:52], v[45:46], v[47:48]
	v_add_f64 v[3:4], v[3:4], v[10:11]
	s_delay_alu instid0(VALU_DEP_2)
	v_add_f64 v[1:2], v[1:2], v[45:46]
	s_and_not1_b32 exec_lo, exec_lo, s3
	s_cbranch_execnz .LBB73_29
; %bb.30:
	s_or_b32 exec_lo, exec_lo, s3
	v_mov_b32_e32 v7, 0
	ds_load_b128 v[7:10], v7 offset:64
	s_waitcnt lgkmcnt(0)
	v_mul_f64 v[11:12], v[1:2], v[9:10]
	v_mul_f64 v[45:46], v[3:4], v[9:10]
	s_delay_alu instid0(VALU_DEP_2) | instskip(NEXT) | instid1(VALU_DEP_2)
	v_fma_f64 v[9:10], v[3:4], v[7:8], -v[11:12]
	v_fma_f64 v[11:12], v[1:2], v[7:8], v[45:46]
	scratch_store_b128 off, v[9:12], off offset:64
.LBB73_31:
	s_or_b32 exec_lo, exec_lo, s2
	s_waitcnt_vscnt null, 0x0
	s_barrier
	buffer_gl0_inv
	scratch_load_b128 v[1:4], v36, off
	s_mov_b32 s2, exec_lo
	s_waitcnt vmcnt(0)
	ds_store_b128 v5, v[1:4]
	s_waitcnt lgkmcnt(0)
	s_barrier
	buffer_gl0_inv
	v_cmpx_gt_u32_e32 5, v33
	s_cbranch_execz .LBB73_35
; %bb.32:
	v_dual_mov_b32 v1, 0 :: v_dual_add_nc_u32 v8, 0xa0, v43
	v_dual_mov_b32 v2, 0 :: v_dual_add_nc_u32 v7, -1, v33
	v_or_b32_e32 v9, 8, v44
	s_mov_b32 s3, 0
	s_delay_alu instid0(VALU_DEP_2)
	v_dual_mov_b32 v4, v2 :: v_dual_mov_b32 v3, v1
	.p2align	6
.LBB73_33:                              ; =>This Inner Loop Header: Depth=1
	scratch_load_b128 v[45:48], v9, off offset:-8
	ds_load_b128 v[49:52], v8
	v_add_nc_u32_e32 v7, 1, v7
	v_add_nc_u32_e32 v8, 16, v8
	;; [unrolled: 1-line block ×3, first 2 shown]
	s_delay_alu instid0(VALU_DEP_3) | instskip(SKIP_4) | instid1(VALU_DEP_2)
	v_cmp_lt_u32_e32 vcc_lo, 3, v7
	s_or_b32 s3, vcc_lo, s3
	s_waitcnt vmcnt(0) lgkmcnt(0)
	v_mul_f64 v[10:11], v[51:52], v[47:48]
	v_mul_f64 v[47:48], v[49:50], v[47:48]
	v_fma_f64 v[10:11], v[49:50], v[45:46], -v[10:11]
	s_delay_alu instid0(VALU_DEP_2) | instskip(NEXT) | instid1(VALU_DEP_2)
	v_fma_f64 v[45:46], v[51:52], v[45:46], v[47:48]
	v_add_f64 v[3:4], v[3:4], v[10:11]
	s_delay_alu instid0(VALU_DEP_2)
	v_add_f64 v[1:2], v[1:2], v[45:46]
	s_and_not1_b32 exec_lo, exec_lo, s3
	s_cbranch_execnz .LBB73_33
; %bb.34:
	s_or_b32 exec_lo, exec_lo, s3
	v_mov_b32_e32 v7, 0
	ds_load_b128 v[7:10], v7 offset:80
	s_waitcnt lgkmcnt(0)
	v_mul_f64 v[11:12], v[1:2], v[9:10]
	v_mul_f64 v[45:46], v[3:4], v[9:10]
	s_delay_alu instid0(VALU_DEP_2) | instskip(NEXT) | instid1(VALU_DEP_2)
	v_fma_f64 v[9:10], v[3:4], v[7:8], -v[11:12]
	v_fma_f64 v[11:12], v[1:2], v[7:8], v[45:46]
	scratch_store_b128 off, v[9:12], off offset:80
.LBB73_35:
	s_or_b32 exec_lo, exec_lo, s2
	s_waitcnt_vscnt null, 0x0
	s_barrier
	buffer_gl0_inv
	scratch_load_b128 v[1:4], v40, off
	s_mov_b32 s2, exec_lo
	s_waitcnt vmcnt(0)
	ds_store_b128 v5, v[1:4]
	s_waitcnt lgkmcnt(0)
	s_barrier
	buffer_gl0_inv
	v_cmpx_gt_u32_e32 6, v33
	s_cbranch_execz .LBB73_39
; %bb.36:
	v_dual_mov_b32 v1, 0 :: v_dual_add_nc_u32 v8, 0xa0, v43
	v_dual_mov_b32 v2, 0 :: v_dual_add_nc_u32 v7, -1, v33
	v_or_b32_e32 v9, 8, v44
	s_mov_b32 s3, 0
	s_delay_alu instid0(VALU_DEP_2)
	v_dual_mov_b32 v4, v2 :: v_dual_mov_b32 v3, v1
	.p2align	6
.LBB73_37:                              ; =>This Inner Loop Header: Depth=1
	scratch_load_b128 v[45:48], v9, off offset:-8
	ds_load_b128 v[49:52], v8
	v_add_nc_u32_e32 v7, 1, v7
	v_add_nc_u32_e32 v8, 16, v8
	;; [unrolled: 1-line block ×3, first 2 shown]
	s_delay_alu instid0(VALU_DEP_3) | instskip(SKIP_4) | instid1(VALU_DEP_2)
	v_cmp_lt_u32_e32 vcc_lo, 4, v7
	s_or_b32 s3, vcc_lo, s3
	s_waitcnt vmcnt(0) lgkmcnt(0)
	v_mul_f64 v[10:11], v[51:52], v[47:48]
	v_mul_f64 v[47:48], v[49:50], v[47:48]
	v_fma_f64 v[10:11], v[49:50], v[45:46], -v[10:11]
	s_delay_alu instid0(VALU_DEP_2) | instskip(NEXT) | instid1(VALU_DEP_2)
	v_fma_f64 v[45:46], v[51:52], v[45:46], v[47:48]
	v_add_f64 v[3:4], v[3:4], v[10:11]
	s_delay_alu instid0(VALU_DEP_2)
	v_add_f64 v[1:2], v[1:2], v[45:46]
	s_and_not1_b32 exec_lo, exec_lo, s3
	s_cbranch_execnz .LBB73_37
; %bb.38:
	s_or_b32 exec_lo, exec_lo, s3
	v_mov_b32_e32 v7, 0
	ds_load_b128 v[7:10], v7 offset:96
	s_waitcnt lgkmcnt(0)
	v_mul_f64 v[11:12], v[1:2], v[9:10]
	v_mul_f64 v[45:46], v[3:4], v[9:10]
	s_delay_alu instid0(VALU_DEP_2) | instskip(NEXT) | instid1(VALU_DEP_2)
	v_fma_f64 v[9:10], v[3:4], v[7:8], -v[11:12]
	v_fma_f64 v[11:12], v[1:2], v[7:8], v[45:46]
	scratch_store_b128 off, v[9:12], off offset:96
.LBB73_39:
	s_or_b32 exec_lo, exec_lo, s2
	s_waitcnt_vscnt null, 0x0
	s_barrier
	buffer_gl0_inv
	scratch_load_b128 v[1:4], v39, off
	s_mov_b32 s2, exec_lo
	s_waitcnt vmcnt(0)
	ds_store_b128 v5, v[1:4]
	s_waitcnt lgkmcnt(0)
	s_barrier
	buffer_gl0_inv
	v_cmpx_gt_u32_e32 7, v33
	s_cbranch_execz .LBB73_43
; %bb.40:
	v_dual_mov_b32 v1, 0 :: v_dual_add_nc_u32 v8, 0xa0, v43
	v_dual_mov_b32 v2, 0 :: v_dual_add_nc_u32 v7, -1, v33
	v_or_b32_e32 v9, 8, v44
	s_mov_b32 s3, 0
	s_delay_alu instid0(VALU_DEP_2)
	v_dual_mov_b32 v4, v2 :: v_dual_mov_b32 v3, v1
	.p2align	6
.LBB73_41:                              ; =>This Inner Loop Header: Depth=1
	scratch_load_b128 v[45:48], v9, off offset:-8
	ds_load_b128 v[49:52], v8
	v_add_nc_u32_e32 v7, 1, v7
	v_add_nc_u32_e32 v8, 16, v8
	;; [unrolled: 1-line block ×3, first 2 shown]
	s_delay_alu instid0(VALU_DEP_3) | instskip(SKIP_4) | instid1(VALU_DEP_2)
	v_cmp_lt_u32_e32 vcc_lo, 5, v7
	s_or_b32 s3, vcc_lo, s3
	s_waitcnt vmcnt(0) lgkmcnt(0)
	v_mul_f64 v[10:11], v[51:52], v[47:48]
	v_mul_f64 v[47:48], v[49:50], v[47:48]
	v_fma_f64 v[10:11], v[49:50], v[45:46], -v[10:11]
	s_delay_alu instid0(VALU_DEP_2) | instskip(NEXT) | instid1(VALU_DEP_2)
	v_fma_f64 v[45:46], v[51:52], v[45:46], v[47:48]
	v_add_f64 v[3:4], v[3:4], v[10:11]
	s_delay_alu instid0(VALU_DEP_2)
	v_add_f64 v[1:2], v[1:2], v[45:46]
	s_and_not1_b32 exec_lo, exec_lo, s3
	s_cbranch_execnz .LBB73_41
; %bb.42:
	s_or_b32 exec_lo, exec_lo, s3
	v_mov_b32_e32 v7, 0
	ds_load_b128 v[7:10], v7 offset:112
	s_waitcnt lgkmcnt(0)
	v_mul_f64 v[11:12], v[1:2], v[9:10]
	v_mul_f64 v[45:46], v[3:4], v[9:10]
	s_delay_alu instid0(VALU_DEP_2) | instskip(NEXT) | instid1(VALU_DEP_2)
	v_fma_f64 v[9:10], v[3:4], v[7:8], -v[11:12]
	v_fma_f64 v[11:12], v[1:2], v[7:8], v[45:46]
	scratch_store_b128 off, v[9:12], off offset:112
.LBB73_43:
	s_or_b32 exec_lo, exec_lo, s2
	s_waitcnt_vscnt null, 0x0
	s_barrier
	buffer_gl0_inv
	scratch_load_b128 v[1:4], v42, off
	s_mov_b32 s2, exec_lo
	s_waitcnt vmcnt(0)
	ds_store_b128 v5, v[1:4]
	s_waitcnt lgkmcnt(0)
	s_barrier
	buffer_gl0_inv
	v_cmpx_gt_u32_e32 8, v33
	s_cbranch_execz .LBB73_47
; %bb.44:
	v_dual_mov_b32 v1, 0 :: v_dual_add_nc_u32 v8, 0xa0, v43
	v_dual_mov_b32 v2, 0 :: v_dual_add_nc_u32 v7, -1, v33
	v_or_b32_e32 v9, 8, v44
	s_mov_b32 s3, 0
	s_delay_alu instid0(VALU_DEP_2)
	v_dual_mov_b32 v4, v2 :: v_dual_mov_b32 v3, v1
	.p2align	6
.LBB73_45:                              ; =>This Inner Loop Header: Depth=1
	scratch_load_b128 v[45:48], v9, off offset:-8
	ds_load_b128 v[49:52], v8
	v_add_nc_u32_e32 v7, 1, v7
	v_add_nc_u32_e32 v8, 16, v8
	;; [unrolled: 1-line block ×3, first 2 shown]
	s_delay_alu instid0(VALU_DEP_3) | instskip(SKIP_4) | instid1(VALU_DEP_2)
	v_cmp_lt_u32_e32 vcc_lo, 6, v7
	s_or_b32 s3, vcc_lo, s3
	s_waitcnt vmcnt(0) lgkmcnt(0)
	v_mul_f64 v[10:11], v[51:52], v[47:48]
	v_mul_f64 v[47:48], v[49:50], v[47:48]
	v_fma_f64 v[10:11], v[49:50], v[45:46], -v[10:11]
	s_delay_alu instid0(VALU_DEP_2) | instskip(NEXT) | instid1(VALU_DEP_2)
	v_fma_f64 v[45:46], v[51:52], v[45:46], v[47:48]
	v_add_f64 v[3:4], v[3:4], v[10:11]
	s_delay_alu instid0(VALU_DEP_2)
	v_add_f64 v[1:2], v[1:2], v[45:46]
	s_and_not1_b32 exec_lo, exec_lo, s3
	s_cbranch_execnz .LBB73_45
; %bb.46:
	s_or_b32 exec_lo, exec_lo, s3
	v_mov_b32_e32 v7, 0
	ds_load_b128 v[7:10], v7 offset:128
	s_waitcnt lgkmcnt(0)
	v_mul_f64 v[11:12], v[1:2], v[9:10]
	v_mul_f64 v[45:46], v[3:4], v[9:10]
	s_delay_alu instid0(VALU_DEP_2) | instskip(NEXT) | instid1(VALU_DEP_2)
	v_fma_f64 v[9:10], v[3:4], v[7:8], -v[11:12]
	v_fma_f64 v[11:12], v[1:2], v[7:8], v[45:46]
	scratch_store_b128 off, v[9:12], off offset:128
.LBB73_47:
	s_or_b32 exec_lo, exec_lo, s2
	s_waitcnt_vscnt null, 0x0
	s_barrier
	buffer_gl0_inv
	scratch_load_b128 v[1:4], v41, off
	s_mov_b32 s2, exec_lo
	s_waitcnt vmcnt(0)
	ds_store_b128 v5, v[1:4]
	s_waitcnt lgkmcnt(0)
	s_barrier
	buffer_gl0_inv
	v_cmpx_ne_u32_e32 9, v33
	s_cbranch_execz .LBB73_51
; %bb.48:
	v_mov_b32_e32 v1, 0
	v_mov_b32_e32 v2, 0
	v_or_b32_e32 v7, 8, v44
	s_mov_b32 s3, 0
	s_delay_alu instid0(VALU_DEP_2)
	v_dual_mov_b32 v4, v2 :: v_dual_mov_b32 v3, v1
	.p2align	6
.LBB73_49:                              ; =>This Inner Loop Header: Depth=1
	scratch_load_b128 v[8:11], v7, off offset:-8
	ds_load_b128 v[43:46], v5
	v_add_nc_u32_e32 v6, 1, v6
	v_add_nc_u32_e32 v5, 16, v5
	;; [unrolled: 1-line block ×3, first 2 shown]
	s_delay_alu instid0(VALU_DEP_3) | instskip(SKIP_4) | instid1(VALU_DEP_2)
	v_cmp_lt_u32_e32 vcc_lo, 7, v6
	s_or_b32 s3, vcc_lo, s3
	s_waitcnt vmcnt(0) lgkmcnt(0)
	v_mul_f64 v[47:48], v[45:46], v[10:11]
	v_mul_f64 v[10:11], v[43:44], v[10:11]
	v_fma_f64 v[43:44], v[43:44], v[8:9], -v[47:48]
	s_delay_alu instid0(VALU_DEP_2) | instskip(NEXT) | instid1(VALU_DEP_2)
	v_fma_f64 v[8:9], v[45:46], v[8:9], v[10:11]
	v_add_f64 v[3:4], v[3:4], v[43:44]
	s_delay_alu instid0(VALU_DEP_2)
	v_add_f64 v[1:2], v[1:2], v[8:9]
	s_and_not1_b32 exec_lo, exec_lo, s3
	s_cbranch_execnz .LBB73_49
; %bb.50:
	s_or_b32 exec_lo, exec_lo, s3
	v_mov_b32_e32 v5, 0
	ds_load_b128 v[5:8], v5 offset:144
	s_waitcnt lgkmcnt(0)
	v_mul_f64 v[9:10], v[1:2], v[7:8]
	v_mul_f64 v[7:8], v[3:4], v[7:8]
	s_delay_alu instid0(VALU_DEP_2) | instskip(NEXT) | instid1(VALU_DEP_2)
	v_fma_f64 v[3:4], v[3:4], v[5:6], -v[9:10]
	v_fma_f64 v[5:6], v[1:2], v[5:6], v[7:8]
	scratch_store_b128 off, v[3:6], off offset:144
.LBB73_51:
	s_or_b32 exec_lo, exec_lo, s2
	s_mov_b32 s3, -1
	s_waitcnt_vscnt null, 0x0
	s_barrier
	buffer_gl0_inv
.LBB73_52:
	s_and_b32 vcc_lo, exec_lo, s3
	s_cbranch_vccz .LBB73_54
; %bb.53:
	s_lshl_b64 s[2:3], s[10:11], 2
	v_mov_b32_e32 v1, 0
	s_add_u32 s2, s6, s2
	s_addc_u32 s3, s7, s3
	global_load_b32 v1, v1, s[2:3]
	s_waitcnt vmcnt(0)
	v_cmp_ne_u32_e32 vcc_lo, 0, v1
	s_cbranch_vccz .LBB73_55
.LBB73_54:
	s_endpgm
.LBB73_55:
	v_lshl_add_u32 v5, v33, 4, 0xa0
	s_mov_b32 s2, exec_lo
	v_cmpx_eq_u32_e32 9, v33
	s_cbranch_execz .LBB73_57
; %bb.56:
	scratch_load_b128 v[1:4], v42, off
	v_mov_b32_e32 v6, 0
	s_delay_alu instid0(VALU_DEP_1)
	v_mov_b32_e32 v7, v6
	v_mov_b32_e32 v8, v6
	;; [unrolled: 1-line block ×3, first 2 shown]
	scratch_store_b128 off, v[6:9], off offset:128
	s_waitcnt vmcnt(0)
	ds_store_b128 v5, v[1:4]
.LBB73_57:
	s_or_b32 exec_lo, exec_lo, s2
	s_waitcnt lgkmcnt(0)
	s_waitcnt_vscnt null, 0x0
	s_barrier
	buffer_gl0_inv
	s_clause 0x1
	scratch_load_b128 v[6:9], off, off offset:144
	scratch_load_b128 v[43:46], off, off offset:128
	v_mov_b32_e32 v1, 0
	s_mov_b32 s2, exec_lo
	ds_load_b128 v[47:50], v1 offset:304
	s_waitcnt vmcnt(1) lgkmcnt(0)
	v_mul_f64 v[2:3], v[49:50], v[8:9]
	v_mul_f64 v[8:9], v[47:48], v[8:9]
	s_delay_alu instid0(VALU_DEP_2) | instskip(NEXT) | instid1(VALU_DEP_2)
	v_fma_f64 v[2:3], v[47:48], v[6:7], -v[2:3]
	v_fma_f64 v[6:7], v[49:50], v[6:7], v[8:9]
	s_delay_alu instid0(VALU_DEP_2) | instskip(NEXT) | instid1(VALU_DEP_2)
	v_add_f64 v[2:3], v[2:3], 0
	v_add_f64 v[8:9], v[6:7], 0
	s_waitcnt vmcnt(0)
	s_delay_alu instid0(VALU_DEP_2) | instskip(NEXT) | instid1(VALU_DEP_2)
	v_add_f64 v[6:7], v[43:44], -v[2:3]
	v_add_f64 v[8:9], v[45:46], -v[8:9]
	scratch_store_b128 off, v[6:9], off offset:128
	v_cmpx_lt_u32_e32 7, v33
	s_cbranch_execz .LBB73_59
; %bb.58:
	scratch_load_b128 v[6:9], v39, off
	v_mov_b32_e32 v2, v1
	v_mov_b32_e32 v3, v1
	;; [unrolled: 1-line block ×3, first 2 shown]
	scratch_store_b128 off, v[1:4], off offset:112
	s_waitcnt vmcnt(0)
	ds_store_b128 v5, v[6:9]
.LBB73_59:
	s_or_b32 exec_lo, exec_lo, s2
	s_waitcnt lgkmcnt(0)
	s_waitcnt_vscnt null, 0x0
	s_barrier
	buffer_gl0_inv
	s_clause 0x2
	scratch_load_b128 v[6:9], off, off offset:128
	scratch_load_b128 v[43:46], off, off offset:144
	;; [unrolled: 1-line block ×3, first 2 shown]
	ds_load_b128 v[51:54], v1 offset:288
	ds_load_b128 v[1:4], v1 offset:304
	s_mov_b32 s2, exec_lo
	s_waitcnt vmcnt(2) lgkmcnt(1)
	v_mul_f64 v[10:11], v[53:54], v[8:9]
	v_mul_f64 v[8:9], v[51:52], v[8:9]
	s_waitcnt vmcnt(1) lgkmcnt(0)
	v_mul_f64 v[55:56], v[1:2], v[45:46]
	v_mul_f64 v[45:46], v[3:4], v[45:46]
	s_delay_alu instid0(VALU_DEP_4) | instskip(NEXT) | instid1(VALU_DEP_4)
	v_fma_f64 v[10:11], v[51:52], v[6:7], -v[10:11]
	v_fma_f64 v[6:7], v[53:54], v[6:7], v[8:9]
	s_delay_alu instid0(VALU_DEP_4) | instskip(NEXT) | instid1(VALU_DEP_4)
	v_fma_f64 v[3:4], v[3:4], v[43:44], v[55:56]
	v_fma_f64 v[1:2], v[1:2], v[43:44], -v[45:46]
	s_delay_alu instid0(VALU_DEP_4) | instskip(NEXT) | instid1(VALU_DEP_4)
	v_add_f64 v[8:9], v[10:11], 0
	v_add_f64 v[6:7], v[6:7], 0
	s_delay_alu instid0(VALU_DEP_2) | instskip(NEXT) | instid1(VALU_DEP_2)
	v_add_f64 v[1:2], v[8:9], v[1:2]
	v_add_f64 v[3:4], v[6:7], v[3:4]
	s_waitcnt vmcnt(0)
	s_delay_alu instid0(VALU_DEP_2) | instskip(NEXT) | instid1(VALU_DEP_2)
	v_add_f64 v[1:2], v[47:48], -v[1:2]
	v_add_f64 v[3:4], v[49:50], -v[3:4]
	scratch_store_b128 off, v[1:4], off offset:112
	v_cmpx_lt_u32_e32 6, v33
	s_cbranch_execz .LBB73_61
; %bb.60:
	scratch_load_b128 v[1:4], v40, off
	v_mov_b32_e32 v6, 0
	s_delay_alu instid0(VALU_DEP_1)
	v_mov_b32_e32 v7, v6
	v_mov_b32_e32 v8, v6
	;; [unrolled: 1-line block ×3, first 2 shown]
	scratch_store_b128 off, v[6:9], off offset:96
	s_waitcnt vmcnt(0)
	ds_store_b128 v5, v[1:4]
.LBB73_61:
	s_or_b32 exec_lo, exec_lo, s2
	s_waitcnt lgkmcnt(0)
	s_waitcnt_vscnt null, 0x0
	s_barrier
	buffer_gl0_inv
	s_clause 0x3
	scratch_load_b128 v[6:9], off, off offset:112
	scratch_load_b128 v[43:46], off, off offset:128
	;; [unrolled: 1-line block ×4, first 2 shown]
	v_mov_b32_e32 v1, 0
	ds_load_b128 v[55:58], v1 offset:272
	ds_load_b128 v[59:62], v1 offset:288
	s_mov_b32 s2, exec_lo
	s_waitcnt vmcnt(3) lgkmcnt(1)
	v_mul_f64 v[2:3], v[57:58], v[8:9]
	v_mul_f64 v[8:9], v[55:56], v[8:9]
	s_waitcnt vmcnt(2) lgkmcnt(0)
	v_mul_f64 v[10:11], v[59:60], v[45:46]
	v_mul_f64 v[45:46], v[61:62], v[45:46]
	s_delay_alu instid0(VALU_DEP_4) | instskip(NEXT) | instid1(VALU_DEP_4)
	v_fma_f64 v[2:3], v[55:56], v[6:7], -v[2:3]
	v_fma_f64 v[55:56], v[57:58], v[6:7], v[8:9]
	ds_load_b128 v[6:9], v1 offset:304
	v_fma_f64 v[10:11], v[61:62], v[43:44], v[10:11]
	v_fma_f64 v[43:44], v[59:60], v[43:44], -v[45:46]
	s_waitcnt vmcnt(1) lgkmcnt(0)
	v_mul_f64 v[57:58], v[6:7], v[49:50]
	v_mul_f64 v[49:50], v[8:9], v[49:50]
	v_add_f64 v[2:3], v[2:3], 0
	v_add_f64 v[45:46], v[55:56], 0
	s_delay_alu instid0(VALU_DEP_4) | instskip(NEXT) | instid1(VALU_DEP_4)
	v_fma_f64 v[8:9], v[8:9], v[47:48], v[57:58]
	v_fma_f64 v[6:7], v[6:7], v[47:48], -v[49:50]
	s_delay_alu instid0(VALU_DEP_4) | instskip(NEXT) | instid1(VALU_DEP_4)
	v_add_f64 v[2:3], v[2:3], v[43:44]
	v_add_f64 v[10:11], v[45:46], v[10:11]
	s_delay_alu instid0(VALU_DEP_2) | instskip(NEXT) | instid1(VALU_DEP_2)
	v_add_f64 v[2:3], v[2:3], v[6:7]
	v_add_f64 v[8:9], v[10:11], v[8:9]
	s_waitcnt vmcnt(0)
	s_delay_alu instid0(VALU_DEP_2) | instskip(NEXT) | instid1(VALU_DEP_2)
	v_add_f64 v[6:7], v[51:52], -v[2:3]
	v_add_f64 v[8:9], v[53:54], -v[8:9]
	scratch_store_b128 off, v[6:9], off offset:96
	v_cmpx_lt_u32_e32 5, v33
	s_cbranch_execz .LBB73_63
; %bb.62:
	scratch_load_b128 v[6:9], v36, off
	v_mov_b32_e32 v2, v1
	v_mov_b32_e32 v3, v1
	;; [unrolled: 1-line block ×3, first 2 shown]
	scratch_store_b128 off, v[1:4], off offset:80
	s_waitcnt vmcnt(0)
	ds_store_b128 v5, v[6:9]
.LBB73_63:
	s_or_b32 exec_lo, exec_lo, s2
	s_waitcnt lgkmcnt(0)
	s_waitcnt_vscnt null, 0x0
	s_barrier
	buffer_gl0_inv
	s_clause 0x4
	scratch_load_b128 v[6:9], off, off offset:96
	scratch_load_b128 v[43:46], off, off offset:112
	;; [unrolled: 1-line block ×5, first 2 shown]
	ds_load_b128 v[59:62], v1 offset:256
	ds_load_b128 v[63:66], v1 offset:272
	s_mov_b32 s2, exec_lo
	s_waitcnt vmcnt(4) lgkmcnt(1)
	v_mul_f64 v[2:3], v[61:62], v[8:9]
	v_mul_f64 v[8:9], v[59:60], v[8:9]
	s_waitcnt vmcnt(3) lgkmcnt(0)
	v_mul_f64 v[10:11], v[63:64], v[45:46]
	v_mul_f64 v[45:46], v[65:66], v[45:46]
	s_delay_alu instid0(VALU_DEP_4) | instskip(NEXT) | instid1(VALU_DEP_4)
	v_fma_f64 v[59:60], v[59:60], v[6:7], -v[2:3]
	v_fma_f64 v[61:62], v[61:62], v[6:7], v[8:9]
	ds_load_b128 v[6:9], v1 offset:288
	ds_load_b128 v[1:4], v1 offset:304
	v_fma_f64 v[10:11], v[65:66], v[43:44], v[10:11]
	v_fma_f64 v[43:44], v[63:64], v[43:44], -v[45:46]
	s_waitcnt vmcnt(2) lgkmcnt(1)
	v_mul_f64 v[67:68], v[6:7], v[49:50]
	v_mul_f64 v[49:50], v[8:9], v[49:50]
	v_add_f64 v[45:46], v[59:60], 0
	v_add_f64 v[59:60], v[61:62], 0
	s_waitcnt vmcnt(1) lgkmcnt(0)
	v_mul_f64 v[61:62], v[1:2], v[53:54]
	v_mul_f64 v[53:54], v[3:4], v[53:54]
	v_fma_f64 v[8:9], v[8:9], v[47:48], v[67:68]
	v_fma_f64 v[6:7], v[6:7], v[47:48], -v[49:50]
	v_add_f64 v[43:44], v[45:46], v[43:44]
	v_add_f64 v[10:11], v[59:60], v[10:11]
	v_fma_f64 v[3:4], v[3:4], v[51:52], v[61:62]
	v_fma_f64 v[1:2], v[1:2], v[51:52], -v[53:54]
	s_delay_alu instid0(VALU_DEP_4) | instskip(NEXT) | instid1(VALU_DEP_4)
	v_add_f64 v[6:7], v[43:44], v[6:7]
	v_add_f64 v[8:9], v[10:11], v[8:9]
	s_delay_alu instid0(VALU_DEP_2) | instskip(NEXT) | instid1(VALU_DEP_2)
	v_add_f64 v[1:2], v[6:7], v[1:2]
	v_add_f64 v[3:4], v[8:9], v[3:4]
	s_waitcnt vmcnt(0)
	s_delay_alu instid0(VALU_DEP_2) | instskip(NEXT) | instid1(VALU_DEP_2)
	v_add_f64 v[1:2], v[55:56], -v[1:2]
	v_add_f64 v[3:4], v[57:58], -v[3:4]
	scratch_store_b128 off, v[1:4], off offset:80
	v_cmpx_lt_u32_e32 4, v33
	s_cbranch_execz .LBB73_65
; %bb.64:
	scratch_load_b128 v[1:4], v38, off
	v_mov_b32_e32 v6, 0
	s_delay_alu instid0(VALU_DEP_1)
	v_mov_b32_e32 v7, v6
	v_mov_b32_e32 v8, v6
	;; [unrolled: 1-line block ×3, first 2 shown]
	scratch_store_b128 off, v[6:9], off offset:64
	s_waitcnt vmcnt(0)
	ds_store_b128 v5, v[1:4]
.LBB73_65:
	s_or_b32 exec_lo, exec_lo, s2
	s_waitcnt lgkmcnt(0)
	s_waitcnt_vscnt null, 0x0
	s_barrier
	buffer_gl0_inv
	s_clause 0x5
	scratch_load_b128 v[6:9], off, off offset:80
	scratch_load_b128 v[43:46], off, off offset:96
	;; [unrolled: 1-line block ×6, first 2 shown]
	v_mov_b32_e32 v1, 0
	ds_load_b128 v[63:66], v1 offset:240
	ds_load_b128 v[67:70], v1 offset:256
	s_mov_b32 s2, exec_lo
	s_waitcnt vmcnt(5) lgkmcnt(1)
	v_mul_f64 v[2:3], v[65:66], v[8:9]
	v_mul_f64 v[8:9], v[63:64], v[8:9]
	s_waitcnt vmcnt(4) lgkmcnt(0)
	v_mul_f64 v[10:11], v[67:68], v[45:46]
	v_mul_f64 v[45:46], v[69:70], v[45:46]
	s_delay_alu instid0(VALU_DEP_4) | instskip(NEXT) | instid1(VALU_DEP_4)
	v_fma_f64 v[2:3], v[63:64], v[6:7], -v[2:3]
	v_fma_f64 v[71:72], v[65:66], v[6:7], v[8:9]
	ds_load_b128 v[6:9], v1 offset:272
	ds_load_b128 v[63:66], v1 offset:288
	v_fma_f64 v[10:11], v[69:70], v[43:44], v[10:11]
	v_fma_f64 v[43:44], v[67:68], v[43:44], -v[45:46]
	s_waitcnt vmcnt(3) lgkmcnt(1)
	v_mul_f64 v[73:74], v[6:7], v[49:50]
	v_mul_f64 v[49:50], v[8:9], v[49:50]
	s_waitcnt vmcnt(2) lgkmcnt(0)
	v_mul_f64 v[67:68], v[63:64], v[53:54]
	v_mul_f64 v[53:54], v[65:66], v[53:54]
	v_add_f64 v[2:3], v[2:3], 0
	v_add_f64 v[45:46], v[71:72], 0
	v_fma_f64 v[69:70], v[8:9], v[47:48], v[73:74]
	v_fma_f64 v[47:48], v[6:7], v[47:48], -v[49:50]
	ds_load_b128 v[6:9], v1 offset:304
	v_fma_f64 v[49:50], v[65:66], v[51:52], v[67:68]
	v_fma_f64 v[51:52], v[63:64], v[51:52], -v[53:54]
	v_add_f64 v[2:3], v[2:3], v[43:44]
	v_add_f64 v[10:11], v[45:46], v[10:11]
	s_waitcnt vmcnt(1) lgkmcnt(0)
	v_mul_f64 v[43:44], v[6:7], v[57:58]
	v_mul_f64 v[45:46], v[8:9], v[57:58]
	s_delay_alu instid0(VALU_DEP_4) | instskip(NEXT) | instid1(VALU_DEP_4)
	v_add_f64 v[2:3], v[2:3], v[47:48]
	v_add_f64 v[10:11], v[10:11], v[69:70]
	s_delay_alu instid0(VALU_DEP_4) | instskip(NEXT) | instid1(VALU_DEP_4)
	v_fma_f64 v[8:9], v[8:9], v[55:56], v[43:44]
	v_fma_f64 v[6:7], v[6:7], v[55:56], -v[45:46]
	s_delay_alu instid0(VALU_DEP_4) | instskip(NEXT) | instid1(VALU_DEP_4)
	v_add_f64 v[2:3], v[2:3], v[51:52]
	v_add_f64 v[10:11], v[10:11], v[49:50]
	s_delay_alu instid0(VALU_DEP_2) | instskip(NEXT) | instid1(VALU_DEP_2)
	v_add_f64 v[2:3], v[2:3], v[6:7]
	v_add_f64 v[8:9], v[10:11], v[8:9]
	s_waitcnt vmcnt(0)
	s_delay_alu instid0(VALU_DEP_2) | instskip(NEXT) | instid1(VALU_DEP_2)
	v_add_f64 v[6:7], v[59:60], -v[2:3]
	v_add_f64 v[8:9], v[61:62], -v[8:9]
	scratch_store_b128 off, v[6:9], off offset:64
	v_cmpx_lt_u32_e32 3, v33
	s_cbranch_execz .LBB73_67
; %bb.66:
	scratch_load_b128 v[6:9], v34, off
	v_mov_b32_e32 v2, v1
	v_mov_b32_e32 v3, v1
	;; [unrolled: 1-line block ×3, first 2 shown]
	scratch_store_b128 off, v[1:4], off offset:48
	s_waitcnt vmcnt(0)
	ds_store_b128 v5, v[6:9]
.LBB73_67:
	s_or_b32 exec_lo, exec_lo, s2
	s_waitcnt lgkmcnt(0)
	s_waitcnt_vscnt null, 0x0
	s_barrier
	buffer_gl0_inv
	s_clause 0x5
	scratch_load_b128 v[6:9], off, off offset:64
	scratch_load_b128 v[43:46], off, off offset:80
	;; [unrolled: 1-line block ×6, first 2 shown]
	ds_load_b128 v[63:66], v1 offset:224
	ds_load_b128 v[71:74], v1 offset:240
	scratch_load_b128 v[67:70], off, off offset:48
	s_mov_b32 s2, exec_lo
	s_waitcnt vmcnt(6) lgkmcnt(1)
	v_mul_f64 v[2:3], v[65:66], v[8:9]
	v_mul_f64 v[8:9], v[63:64], v[8:9]
	s_waitcnt vmcnt(5) lgkmcnt(0)
	v_mul_f64 v[10:11], v[71:72], v[45:46]
	v_mul_f64 v[45:46], v[73:74], v[45:46]
	s_delay_alu instid0(VALU_DEP_4) | instskip(NEXT) | instid1(VALU_DEP_4)
	v_fma_f64 v[2:3], v[63:64], v[6:7], -v[2:3]
	v_fma_f64 v[75:76], v[65:66], v[6:7], v[8:9]
	ds_load_b128 v[6:9], v1 offset:256
	ds_load_b128 v[63:66], v1 offset:272
	v_fma_f64 v[10:11], v[73:74], v[43:44], v[10:11]
	v_fma_f64 v[43:44], v[71:72], v[43:44], -v[45:46]
	s_waitcnt vmcnt(4) lgkmcnt(1)
	v_mul_f64 v[77:78], v[6:7], v[49:50]
	v_mul_f64 v[49:50], v[8:9], v[49:50]
	s_waitcnt vmcnt(3) lgkmcnt(0)
	v_mul_f64 v[71:72], v[63:64], v[53:54]
	v_mul_f64 v[53:54], v[65:66], v[53:54]
	v_add_f64 v[2:3], v[2:3], 0
	v_add_f64 v[45:46], v[75:76], 0
	v_fma_f64 v[73:74], v[8:9], v[47:48], v[77:78]
	v_fma_f64 v[47:48], v[6:7], v[47:48], -v[49:50]
	s_delay_alu instid0(VALU_DEP_4) | instskip(NEXT) | instid1(VALU_DEP_4)
	v_add_f64 v[43:44], v[2:3], v[43:44]
	v_add_f64 v[10:11], v[45:46], v[10:11]
	ds_load_b128 v[6:9], v1 offset:288
	ds_load_b128 v[1:4], v1 offset:304
	s_waitcnt vmcnt(2) lgkmcnt(1)
	v_mul_f64 v[45:46], v[6:7], v[57:58]
	v_mul_f64 v[49:50], v[8:9], v[57:58]
	v_fma_f64 v[57:58], v[65:66], v[51:52], v[71:72]
	v_fma_f64 v[51:52], v[63:64], v[51:52], -v[53:54]
	s_waitcnt vmcnt(1) lgkmcnt(0)
	v_mul_f64 v[53:54], v[3:4], v[61:62]
	v_add_f64 v[43:44], v[43:44], v[47:48]
	v_add_f64 v[10:11], v[10:11], v[73:74]
	v_mul_f64 v[47:48], v[1:2], v[61:62]
	v_fma_f64 v[8:9], v[8:9], v[55:56], v[45:46]
	v_fma_f64 v[6:7], v[6:7], v[55:56], -v[49:50]
	v_fma_f64 v[1:2], v[1:2], v[59:60], -v[53:54]
	v_add_f64 v[43:44], v[43:44], v[51:52]
	v_add_f64 v[10:11], v[10:11], v[57:58]
	v_fma_f64 v[3:4], v[3:4], v[59:60], v[47:48]
	s_delay_alu instid0(VALU_DEP_3) | instskip(NEXT) | instid1(VALU_DEP_3)
	v_add_f64 v[6:7], v[43:44], v[6:7]
	v_add_f64 v[8:9], v[10:11], v[8:9]
	s_delay_alu instid0(VALU_DEP_2) | instskip(NEXT) | instid1(VALU_DEP_2)
	v_add_f64 v[1:2], v[6:7], v[1:2]
	v_add_f64 v[3:4], v[8:9], v[3:4]
	s_waitcnt vmcnt(0)
	s_delay_alu instid0(VALU_DEP_2) | instskip(NEXT) | instid1(VALU_DEP_2)
	v_add_f64 v[1:2], v[67:68], -v[1:2]
	v_add_f64 v[3:4], v[69:70], -v[3:4]
	scratch_store_b128 off, v[1:4], off offset:48
	v_cmpx_lt_u32_e32 2, v33
	s_cbranch_execz .LBB73_69
; %bb.68:
	scratch_load_b128 v[1:4], v37, off
	v_mov_b32_e32 v6, 0
	s_delay_alu instid0(VALU_DEP_1)
	v_mov_b32_e32 v7, v6
	v_mov_b32_e32 v8, v6
	;; [unrolled: 1-line block ×3, first 2 shown]
	scratch_store_b128 off, v[6:9], off offset:32
	s_waitcnt vmcnt(0)
	ds_store_b128 v5, v[1:4]
.LBB73_69:
	s_or_b32 exec_lo, exec_lo, s2
	s_waitcnt lgkmcnt(0)
	s_waitcnt_vscnt null, 0x0
	s_barrier
	buffer_gl0_inv
	s_clause 0x6
	scratch_load_b128 v[6:9], off, off offset:48
	scratch_load_b128 v[43:46], off, off offset:64
	;; [unrolled: 1-line block ×7, first 2 shown]
	v_mov_b32_e32 v1, 0
	scratch_load_b128 v[71:74], off, off offset:32
	s_mov_b32 s2, exec_lo
	ds_load_b128 v[67:70], v1 offset:208
	ds_load_b128 v[75:78], v1 offset:224
	s_waitcnt vmcnt(7) lgkmcnt(1)
	v_mul_f64 v[2:3], v[69:70], v[8:9]
	v_mul_f64 v[8:9], v[67:68], v[8:9]
	s_waitcnt vmcnt(6) lgkmcnt(0)
	v_mul_f64 v[10:11], v[75:76], v[45:46]
	v_mul_f64 v[45:46], v[77:78], v[45:46]
	s_delay_alu instid0(VALU_DEP_4) | instskip(NEXT) | instid1(VALU_DEP_4)
	v_fma_f64 v[2:3], v[67:68], v[6:7], -v[2:3]
	v_fma_f64 v[79:80], v[69:70], v[6:7], v[8:9]
	ds_load_b128 v[6:9], v1 offset:240
	ds_load_b128 v[67:70], v1 offset:256
	v_fma_f64 v[10:11], v[77:78], v[43:44], v[10:11]
	v_fma_f64 v[43:44], v[75:76], v[43:44], -v[45:46]
	s_waitcnt vmcnt(5) lgkmcnt(1)
	v_mul_f64 v[81:82], v[6:7], v[49:50]
	v_mul_f64 v[49:50], v[8:9], v[49:50]
	s_waitcnt vmcnt(4) lgkmcnt(0)
	v_mul_f64 v[75:76], v[67:68], v[53:54]
	v_mul_f64 v[53:54], v[69:70], v[53:54]
	v_add_f64 v[2:3], v[2:3], 0
	v_add_f64 v[45:46], v[79:80], 0
	v_fma_f64 v[77:78], v[8:9], v[47:48], v[81:82]
	v_fma_f64 v[47:48], v[6:7], v[47:48], -v[49:50]
	v_fma_f64 v[69:70], v[69:70], v[51:52], v[75:76]
	v_fma_f64 v[51:52], v[67:68], v[51:52], -v[53:54]
	v_add_f64 v[2:3], v[2:3], v[43:44]
	v_add_f64 v[10:11], v[45:46], v[10:11]
	ds_load_b128 v[6:9], v1 offset:272
	ds_load_b128 v[43:46], v1 offset:288
	s_waitcnt vmcnt(3) lgkmcnt(1)
	v_mul_f64 v[49:50], v[6:7], v[57:58]
	v_mul_f64 v[57:58], v[8:9], v[57:58]
	s_waitcnt vmcnt(2) lgkmcnt(0)
	v_mul_f64 v[53:54], v[45:46], v[61:62]
	v_add_f64 v[2:3], v[2:3], v[47:48]
	v_add_f64 v[10:11], v[10:11], v[77:78]
	v_mul_f64 v[47:48], v[43:44], v[61:62]
	v_fma_f64 v[49:50], v[8:9], v[55:56], v[49:50]
	v_fma_f64 v[55:56], v[6:7], v[55:56], -v[57:58]
	ds_load_b128 v[6:9], v1 offset:304
	v_fma_f64 v[43:44], v[43:44], v[59:60], -v[53:54]
	v_add_f64 v[2:3], v[2:3], v[51:52]
	v_add_f64 v[10:11], v[10:11], v[69:70]
	v_fma_f64 v[45:46], v[45:46], v[59:60], v[47:48]
	s_waitcnt vmcnt(1) lgkmcnt(0)
	v_mul_f64 v[51:52], v[6:7], v[65:66]
	v_mul_f64 v[57:58], v[8:9], v[65:66]
	v_add_f64 v[2:3], v[2:3], v[55:56]
	v_add_f64 v[10:11], v[10:11], v[49:50]
	s_delay_alu instid0(VALU_DEP_4) | instskip(NEXT) | instid1(VALU_DEP_4)
	v_fma_f64 v[8:9], v[8:9], v[63:64], v[51:52]
	v_fma_f64 v[6:7], v[6:7], v[63:64], -v[57:58]
	s_delay_alu instid0(VALU_DEP_4) | instskip(NEXT) | instid1(VALU_DEP_4)
	v_add_f64 v[2:3], v[2:3], v[43:44]
	v_add_f64 v[10:11], v[10:11], v[45:46]
	s_delay_alu instid0(VALU_DEP_2) | instskip(NEXT) | instid1(VALU_DEP_2)
	v_add_f64 v[2:3], v[2:3], v[6:7]
	v_add_f64 v[8:9], v[10:11], v[8:9]
	s_waitcnt vmcnt(0)
	s_delay_alu instid0(VALU_DEP_2) | instskip(NEXT) | instid1(VALU_DEP_2)
	v_add_f64 v[6:7], v[71:72], -v[2:3]
	v_add_f64 v[8:9], v[73:74], -v[8:9]
	scratch_store_b128 off, v[6:9], off offset:32
	v_cmpx_lt_u32_e32 1, v33
	s_cbranch_execz .LBB73_71
; %bb.70:
	scratch_load_b128 v[6:9], v35, off
	v_mov_b32_e32 v2, v1
	v_mov_b32_e32 v3, v1
	;; [unrolled: 1-line block ×3, first 2 shown]
	scratch_store_b128 off, v[1:4], off offset:16
	s_waitcnt vmcnt(0)
	ds_store_b128 v5, v[6:9]
.LBB73_71:
	s_or_b32 exec_lo, exec_lo, s2
	s_waitcnt lgkmcnt(0)
	s_waitcnt_vscnt null, 0x0
	s_barrier
	buffer_gl0_inv
	s_clause 0x7
	scratch_load_b128 v[6:9], off, off offset:32
	scratch_load_b128 v[43:46], off, off offset:48
	;; [unrolled: 1-line block ×8, first 2 shown]
	ds_load_b128 v[71:74], v1 offset:192
	ds_load_b128 v[75:78], v1 offset:208
	scratch_load_b128 v[79:82], off, off offset:16
	s_mov_b32 s2, exec_lo
	s_waitcnt vmcnt(8) lgkmcnt(1)
	v_mul_f64 v[2:3], v[73:74], v[8:9]
	v_mul_f64 v[8:9], v[71:72], v[8:9]
	s_waitcnt vmcnt(7) lgkmcnt(0)
	v_mul_f64 v[10:11], v[75:76], v[45:46]
	v_mul_f64 v[45:46], v[77:78], v[45:46]
	s_delay_alu instid0(VALU_DEP_4) | instskip(NEXT) | instid1(VALU_DEP_4)
	v_fma_f64 v[2:3], v[71:72], v[6:7], -v[2:3]
	v_fma_f64 v[83:84], v[73:74], v[6:7], v[8:9]
	ds_load_b128 v[6:9], v1 offset:224
	ds_load_b128 v[71:74], v1 offset:240
	v_fma_f64 v[10:11], v[77:78], v[43:44], v[10:11]
	v_fma_f64 v[43:44], v[75:76], v[43:44], -v[45:46]
	s_waitcnt vmcnt(6) lgkmcnt(1)
	v_mul_f64 v[85:86], v[6:7], v[49:50]
	v_mul_f64 v[49:50], v[8:9], v[49:50]
	s_waitcnt vmcnt(5) lgkmcnt(0)
	v_mul_f64 v[75:76], v[71:72], v[53:54]
	v_mul_f64 v[53:54], v[73:74], v[53:54]
	v_add_f64 v[2:3], v[2:3], 0
	v_add_f64 v[45:46], v[83:84], 0
	v_fma_f64 v[77:78], v[8:9], v[47:48], v[85:86]
	v_fma_f64 v[47:48], v[6:7], v[47:48], -v[49:50]
	v_fma_f64 v[73:74], v[73:74], v[51:52], v[75:76]
	v_fma_f64 v[51:52], v[71:72], v[51:52], -v[53:54]
	v_add_f64 v[2:3], v[2:3], v[43:44]
	v_add_f64 v[10:11], v[45:46], v[10:11]
	ds_load_b128 v[6:9], v1 offset:256
	ds_load_b128 v[43:46], v1 offset:272
	s_waitcnt vmcnt(4) lgkmcnt(1)
	v_mul_f64 v[49:50], v[6:7], v[57:58]
	v_mul_f64 v[57:58], v[8:9], v[57:58]
	s_waitcnt vmcnt(3) lgkmcnt(0)
	v_mul_f64 v[53:54], v[45:46], v[61:62]
	v_add_f64 v[2:3], v[2:3], v[47:48]
	v_add_f64 v[10:11], v[10:11], v[77:78]
	v_mul_f64 v[47:48], v[43:44], v[61:62]
	v_fma_f64 v[49:50], v[8:9], v[55:56], v[49:50]
	v_fma_f64 v[55:56], v[6:7], v[55:56], -v[57:58]
	v_fma_f64 v[43:44], v[43:44], v[59:60], -v[53:54]
	v_add_f64 v[51:52], v[2:3], v[51:52]
	v_add_f64 v[10:11], v[10:11], v[73:74]
	ds_load_b128 v[6:9], v1 offset:288
	ds_load_b128 v[1:4], v1 offset:304
	v_fma_f64 v[45:46], v[45:46], v[59:60], v[47:48]
	s_waitcnt vmcnt(2) lgkmcnt(1)
	v_mul_f64 v[57:58], v[6:7], v[65:66]
	v_mul_f64 v[61:62], v[8:9], v[65:66]
	v_add_f64 v[47:48], v[51:52], v[55:56]
	v_add_f64 v[10:11], v[10:11], v[49:50]
	s_waitcnt vmcnt(1) lgkmcnt(0)
	v_mul_f64 v[49:50], v[1:2], v[69:70]
	v_mul_f64 v[51:52], v[3:4], v[69:70]
	v_fma_f64 v[8:9], v[8:9], v[63:64], v[57:58]
	v_fma_f64 v[6:7], v[6:7], v[63:64], -v[61:62]
	v_add_f64 v[43:44], v[47:48], v[43:44]
	v_add_f64 v[10:11], v[10:11], v[45:46]
	v_fma_f64 v[3:4], v[3:4], v[67:68], v[49:50]
	v_fma_f64 v[1:2], v[1:2], v[67:68], -v[51:52]
	s_delay_alu instid0(VALU_DEP_4) | instskip(NEXT) | instid1(VALU_DEP_4)
	v_add_f64 v[6:7], v[43:44], v[6:7]
	v_add_f64 v[8:9], v[10:11], v[8:9]
	s_delay_alu instid0(VALU_DEP_2) | instskip(NEXT) | instid1(VALU_DEP_2)
	v_add_f64 v[1:2], v[6:7], v[1:2]
	v_add_f64 v[3:4], v[8:9], v[3:4]
	s_waitcnt vmcnt(0)
	s_delay_alu instid0(VALU_DEP_2) | instskip(NEXT) | instid1(VALU_DEP_2)
	v_add_f64 v[1:2], v[79:80], -v[1:2]
	v_add_f64 v[3:4], v[81:82], -v[3:4]
	scratch_store_b128 off, v[1:4], off offset:16
	v_cmpx_ne_u32_e32 0, v33
	s_cbranch_execz .LBB73_73
; %bb.72:
	scratch_load_b128 v[1:4], off, off
	v_mov_b32_e32 v6, 0
	s_delay_alu instid0(VALU_DEP_1)
	v_mov_b32_e32 v7, v6
	v_mov_b32_e32 v8, v6
	;; [unrolled: 1-line block ×3, first 2 shown]
	scratch_store_b128 off, v[6:9], off
	s_waitcnt vmcnt(0)
	ds_store_b128 v5, v[1:4]
.LBB73_73:
	s_or_b32 exec_lo, exec_lo, s2
	s_waitcnt lgkmcnt(0)
	s_waitcnt_vscnt null, 0x0
	s_barrier
	buffer_gl0_inv
	s_clause 0x7
	scratch_load_b128 v[1:4], off, off offset:16
	scratch_load_b128 v[5:8], off, off offset:32
	;; [unrolled: 1-line block ×8, first 2 shown]
	v_mov_b32_e32 v87, 0
	s_and_b32 vcc_lo, exec_lo, s14
	ds_load_b128 v[63:66], v87 offset:176
	s_clause 0x1
	scratch_load_b128 v[67:70], off, off offset:144
	scratch_load_b128 v[71:74], off, off
	ds_load_b128 v[75:78], v87 offset:192
	s_waitcnt vmcnt(9) lgkmcnt(1)
	v_mul_f64 v[79:80], v[65:66], v[3:4]
	v_mul_f64 v[3:4], v[63:64], v[3:4]
	s_waitcnt vmcnt(8) lgkmcnt(0)
	v_mul_f64 v[81:82], v[75:76], v[7:8]
	v_mul_f64 v[7:8], v[77:78], v[7:8]
	s_delay_alu instid0(VALU_DEP_4) | instskip(NEXT) | instid1(VALU_DEP_4)
	v_fma_f64 v[79:80], v[63:64], v[1:2], -v[79:80]
	v_fma_f64 v[83:84], v[65:66], v[1:2], v[3:4]
	ds_load_b128 v[1:4], v87 offset:208
	ds_load_b128 v[63:66], v87 offset:224
	v_fma_f64 v[77:78], v[77:78], v[5:6], v[81:82]
	v_fma_f64 v[5:6], v[75:76], v[5:6], -v[7:8]
	s_waitcnt vmcnt(7) lgkmcnt(1)
	v_mul_f64 v[85:86], v[1:2], v[11:12]
	v_mul_f64 v[11:12], v[3:4], v[11:12]
	v_add_f64 v[7:8], v[79:80], 0
	v_add_f64 v[75:76], v[83:84], 0
	s_waitcnt vmcnt(6) lgkmcnt(0)
	v_mul_f64 v[79:80], v[63:64], v[45:46]
	v_mul_f64 v[45:46], v[65:66], v[45:46]
	v_fma_f64 v[81:82], v[3:4], v[9:10], v[85:86]
	v_fma_f64 v[9:10], v[1:2], v[9:10], -v[11:12]
	v_add_f64 v[11:12], v[7:8], v[5:6]
	v_add_f64 v[75:76], v[75:76], v[77:78]
	ds_load_b128 v[1:4], v87 offset:240
	ds_load_b128 v[5:8], v87 offset:256
	v_fma_f64 v[65:66], v[65:66], v[43:44], v[79:80]
	v_fma_f64 v[43:44], v[63:64], v[43:44], -v[45:46]
	s_waitcnt vmcnt(5) lgkmcnt(1)
	v_mul_f64 v[77:78], v[1:2], v[49:50]
	v_mul_f64 v[49:50], v[3:4], v[49:50]
	s_waitcnt vmcnt(4) lgkmcnt(0)
	v_mul_f64 v[45:46], v[5:6], v[53:54]
	v_mul_f64 v[53:54], v[7:8], v[53:54]
	v_add_f64 v[9:10], v[11:12], v[9:10]
	v_add_f64 v[11:12], v[75:76], v[81:82]
	v_fma_f64 v[63:64], v[3:4], v[47:48], v[77:78]
	v_fma_f64 v[47:48], v[1:2], v[47:48], -v[49:50]
	v_fma_f64 v[7:8], v[7:8], v[51:52], v[45:46]
	v_fma_f64 v[5:6], v[5:6], v[51:52], -v[53:54]
	v_add_f64 v[43:44], v[9:10], v[43:44]
	v_add_f64 v[49:50], v[11:12], v[65:66]
	ds_load_b128 v[1:4], v87 offset:272
	ds_load_b128 v[9:12], v87 offset:288
	s_waitcnt vmcnt(3) lgkmcnt(1)
	v_mul_f64 v[65:66], v[1:2], v[57:58]
	v_mul_f64 v[57:58], v[3:4], v[57:58]
	v_add_f64 v[43:44], v[43:44], v[47:48]
	v_add_f64 v[45:46], v[49:50], v[63:64]
	s_waitcnt vmcnt(2) lgkmcnt(0)
	v_mul_f64 v[47:48], v[9:10], v[61:62]
	v_mul_f64 v[49:50], v[11:12], v[61:62]
	v_fma_f64 v[51:52], v[3:4], v[55:56], v[65:66]
	v_fma_f64 v[53:54], v[1:2], v[55:56], -v[57:58]
	ds_load_b128 v[1:4], v87 offset:304
	v_add_f64 v[5:6], v[43:44], v[5:6]
	v_add_f64 v[7:8], v[45:46], v[7:8]
	v_fma_f64 v[11:12], v[11:12], v[59:60], v[47:48]
	v_fma_f64 v[9:10], v[9:10], v[59:60], -v[49:50]
	s_waitcnt vmcnt(1) lgkmcnt(0)
	v_mul_f64 v[43:44], v[1:2], v[69:70]
	v_mul_f64 v[45:46], v[3:4], v[69:70]
	v_add_f64 v[5:6], v[5:6], v[53:54]
	v_add_f64 v[7:8], v[7:8], v[51:52]
	s_delay_alu instid0(VALU_DEP_4) | instskip(NEXT) | instid1(VALU_DEP_4)
	v_fma_f64 v[3:4], v[3:4], v[67:68], v[43:44]
	v_fma_f64 v[1:2], v[1:2], v[67:68], -v[45:46]
	s_delay_alu instid0(VALU_DEP_4) | instskip(NEXT) | instid1(VALU_DEP_4)
	v_add_f64 v[5:6], v[5:6], v[9:10]
	v_add_f64 v[7:8], v[7:8], v[11:12]
	s_delay_alu instid0(VALU_DEP_2) | instskip(NEXT) | instid1(VALU_DEP_2)
	v_add_f64 v[1:2], v[5:6], v[1:2]
	v_add_f64 v[3:4], v[7:8], v[3:4]
	s_waitcnt vmcnt(0)
	s_delay_alu instid0(VALU_DEP_2) | instskip(NEXT) | instid1(VALU_DEP_2)
	v_add_f64 v[1:2], v[71:72], -v[1:2]
	v_add_f64 v[3:4], v[73:74], -v[3:4]
	scratch_store_b128 off, v[1:4], off
	s_cbranch_vccz .LBB73_93
; %bb.74:
	v_dual_mov_b32 v1, s8 :: v_dual_mov_b32 v2, s9
	s_load_b64 s[0:1], s[0:1], 0x4
	flat_load_b32 v1, v[1:2] offset:32
	v_bfe_u32 v2, v0, 10, 10
	v_bfe_u32 v0, v0, 20, 10
	s_waitcnt lgkmcnt(0)
	s_lshr_b32 s0, s0, 16
	s_delay_alu instid0(VALU_DEP_2) | instskip(SKIP_1) | instid1(SALU_CYCLE_1)
	v_mul_u32_u24_e32 v2, s1, v2
	s_mul_i32 s0, s0, s1
	v_mul_u32_u24_e32 v3, s0, v33
	s_mov_b32 s0, exec_lo
	s_delay_alu instid0(VALU_DEP_1) | instskip(NEXT) | instid1(VALU_DEP_1)
	v_add3_u32 v0, v3, v2, v0
	v_lshl_add_u32 v0, v0, 4, 0x148
	s_waitcnt vmcnt(0)
	v_cmpx_ne_u32_e32 9, v1
	s_cbranch_execz .LBB73_76
; %bb.75:
	v_lshl_add_u32 v9, v1, 4, 0
	s_clause 0x1
	scratch_load_b128 v[1:4], v42, off
	scratch_load_b128 v[5:8], v9, off offset:-16
	s_waitcnt vmcnt(1)
	ds_store_2addr_b64 v0, v[1:2], v[3:4] offset1:1
	s_waitcnt vmcnt(0)
	s_clause 0x1
	scratch_store_b128 v42, v[5:8], off
	scratch_store_b128 v9, v[1:4], off offset:-16
.LBB73_76:
	s_or_b32 exec_lo, exec_lo, s0
	v_dual_mov_b32 v1, s8 :: v_dual_mov_b32 v2, s9
	s_mov_b32 s0, exec_lo
	flat_load_b32 v1, v[1:2] offset:28
	s_waitcnt vmcnt(0) lgkmcnt(0)
	v_cmpx_ne_u32_e32 8, v1
	s_cbranch_execz .LBB73_78
; %bb.77:
	v_lshl_add_u32 v9, v1, 4, 0
	s_clause 0x1
	scratch_load_b128 v[1:4], v39, off
	scratch_load_b128 v[5:8], v9, off offset:-16
	s_waitcnt vmcnt(1)
	ds_store_2addr_b64 v0, v[1:2], v[3:4] offset1:1
	s_waitcnt vmcnt(0)
	s_clause 0x1
	scratch_store_b128 v39, v[5:8], off
	scratch_store_b128 v9, v[1:4], off offset:-16
.LBB73_78:
	s_or_b32 exec_lo, exec_lo, s0
	v_dual_mov_b32 v1, s8 :: v_dual_mov_b32 v2, s9
	s_mov_b32 s0, exec_lo
	flat_load_b32 v1, v[1:2] offset:24
	s_waitcnt vmcnt(0) lgkmcnt(0)
	;; [unrolled: 19-line block ×7, first 2 shown]
	v_cmpx_ne_u32_e32 2, v1
	s_cbranch_execz .LBB73_90
; %bb.89:
	v_lshl_add_u32 v9, v1, 4, 0
	s_clause 0x1
	scratch_load_b128 v[1:4], v35, off
	scratch_load_b128 v[5:8], v9, off offset:-16
	s_waitcnt vmcnt(1)
	ds_store_2addr_b64 v0, v[1:2], v[3:4] offset1:1
	s_waitcnt vmcnt(0)
	s_clause 0x1
	scratch_store_b128 v35, v[5:8], off
	scratch_store_b128 v9, v[1:4], off offset:-16
.LBB73_90:
	s_or_b32 exec_lo, exec_lo, s0
	v_dual_mov_b32 v1, s8 :: v_dual_mov_b32 v2, s9
	s_mov_b32 s0, exec_lo
	flat_load_b32 v1, v[1:2]
	s_waitcnt vmcnt(0) lgkmcnt(0)
	v_cmpx_ne_u32_e32 1, v1
	s_cbranch_execz .LBB73_92
; %bb.91:
	v_lshl_add_u32 v9, v1, 4, 0
	scratch_load_b128 v[1:4], off, off
	scratch_load_b128 v[5:8], v9, off offset:-16
	s_waitcnt vmcnt(1)
	ds_store_2addr_b64 v0, v[1:2], v[3:4] offset1:1
	s_waitcnt vmcnt(0)
	scratch_store_b128 off, v[5:8], off
	scratch_store_b128 v9, v[1:4], off offset:-16
.LBB73_92:
	s_or_b32 exec_lo, exec_lo, s0
.LBB73_93:
	scratch_load_b128 v[0:3], off, off
	s_clause 0x8
	scratch_load_b128 v[4:7], v35, off
	scratch_load_b128 v[8:11], v37, off
	scratch_load_b128 v[43:46], v34, off
	scratch_load_b128 v[47:50], v38, off
	scratch_load_b128 v[33:36], v36, off
	scratch_load_b128 v[51:54], v40, off
	scratch_load_b128 v[37:40], v39, off
	scratch_load_b128 v[55:58], v42, off
	scratch_load_b128 v[59:62], v41, off
	s_waitcnt vmcnt(9)
	global_store_b128 v[13:14], v[0:3], off
	s_waitcnt vmcnt(8)
	global_store_b128 v[15:16], v[4:7], off
	;; [unrolled: 2-line block ×10, first 2 shown]
	s_endpgm
	.section	.rodata,"a",@progbits
	.p2align	6, 0x0
	.amdhsa_kernel _ZN9rocsolver6v33100L18getri_kernel_smallILi10E19rocblas_complex_numIdEPKPS3_EEvT1_iilPiilS8_bb
		.amdhsa_group_segment_fixed_size 1352
		.amdhsa_private_segment_fixed_size 176
		.amdhsa_kernarg_size 60
		.amdhsa_user_sgpr_count 15
		.amdhsa_user_sgpr_dispatch_ptr 1
		.amdhsa_user_sgpr_queue_ptr 0
		.amdhsa_user_sgpr_kernarg_segment_ptr 1
		.amdhsa_user_sgpr_dispatch_id 0
		.amdhsa_user_sgpr_private_segment_size 0
		.amdhsa_wavefront_size32 1
		.amdhsa_uses_dynamic_stack 0
		.amdhsa_enable_private_segment 1
		.amdhsa_system_sgpr_workgroup_id_x 1
		.amdhsa_system_sgpr_workgroup_id_y 0
		.amdhsa_system_sgpr_workgroup_id_z 0
		.amdhsa_system_sgpr_workgroup_info 0
		.amdhsa_system_vgpr_workitem_id 2
		.amdhsa_next_free_vgpr 88
		.amdhsa_next_free_sgpr 19
		.amdhsa_reserve_vcc 1
		.amdhsa_float_round_mode_32 0
		.amdhsa_float_round_mode_16_64 0
		.amdhsa_float_denorm_mode_32 3
		.amdhsa_float_denorm_mode_16_64 3
		.amdhsa_dx10_clamp 1
		.amdhsa_ieee_mode 1
		.amdhsa_fp16_overflow 0
		.amdhsa_workgroup_processor_mode 1
		.amdhsa_memory_ordered 1
		.amdhsa_forward_progress 0
		.amdhsa_shared_vgpr_count 0
		.amdhsa_exception_fp_ieee_invalid_op 0
		.amdhsa_exception_fp_denorm_src 0
		.amdhsa_exception_fp_ieee_div_zero 0
		.amdhsa_exception_fp_ieee_overflow 0
		.amdhsa_exception_fp_ieee_underflow 0
		.amdhsa_exception_fp_ieee_inexact 0
		.amdhsa_exception_int_div_zero 0
	.end_amdhsa_kernel
	.section	.text._ZN9rocsolver6v33100L18getri_kernel_smallILi10E19rocblas_complex_numIdEPKPS3_EEvT1_iilPiilS8_bb,"axG",@progbits,_ZN9rocsolver6v33100L18getri_kernel_smallILi10E19rocblas_complex_numIdEPKPS3_EEvT1_iilPiilS8_bb,comdat
.Lfunc_end73:
	.size	_ZN9rocsolver6v33100L18getri_kernel_smallILi10E19rocblas_complex_numIdEPKPS3_EEvT1_iilPiilS8_bb, .Lfunc_end73-_ZN9rocsolver6v33100L18getri_kernel_smallILi10E19rocblas_complex_numIdEPKPS3_EEvT1_iilPiilS8_bb
                                        ; -- End function
	.section	.AMDGPU.csdata,"",@progbits
; Kernel info:
; codeLenInByte = 9784
; NumSgprs: 21
; NumVgprs: 88
; ScratchSize: 176
; MemoryBound: 0
; FloatMode: 240
; IeeeMode: 1
; LDSByteSize: 1352 bytes/workgroup (compile time only)
; SGPRBlocks: 2
; VGPRBlocks: 10
; NumSGPRsForWavesPerEU: 21
; NumVGPRsForWavesPerEU: 88
; Occupancy: 16
; WaveLimiterHint : 1
; COMPUTE_PGM_RSRC2:SCRATCH_EN: 1
; COMPUTE_PGM_RSRC2:USER_SGPR: 15
; COMPUTE_PGM_RSRC2:TRAP_HANDLER: 0
; COMPUTE_PGM_RSRC2:TGID_X_EN: 1
; COMPUTE_PGM_RSRC2:TGID_Y_EN: 0
; COMPUTE_PGM_RSRC2:TGID_Z_EN: 0
; COMPUTE_PGM_RSRC2:TIDIG_COMP_CNT: 2
	.section	.text._ZN9rocsolver6v33100L18getri_kernel_smallILi11E19rocblas_complex_numIdEPKPS3_EEvT1_iilPiilS8_bb,"axG",@progbits,_ZN9rocsolver6v33100L18getri_kernel_smallILi11E19rocblas_complex_numIdEPKPS3_EEvT1_iilPiilS8_bb,comdat
	.globl	_ZN9rocsolver6v33100L18getri_kernel_smallILi11E19rocblas_complex_numIdEPKPS3_EEvT1_iilPiilS8_bb ; -- Begin function _ZN9rocsolver6v33100L18getri_kernel_smallILi11E19rocblas_complex_numIdEPKPS3_EEvT1_iilPiilS8_bb
	.p2align	8
	.type	_ZN9rocsolver6v33100L18getri_kernel_smallILi11E19rocblas_complex_numIdEPKPS3_EEvT1_iilPiilS8_bb,@function
_ZN9rocsolver6v33100L18getri_kernel_smallILi11E19rocblas_complex_numIdEPKPS3_EEvT1_iilPiilS8_bb: ; @_ZN9rocsolver6v33100L18getri_kernel_smallILi11E19rocblas_complex_numIdEPKPS3_EEvT1_iilPiilS8_bb
; %bb.0:
	v_and_b32_e32 v35, 0x3ff, v0
	s_mov_b32 s4, exec_lo
	s_delay_alu instid0(VALU_DEP_1)
	v_cmpx_gt_u32_e32 11, v35
	s_cbranch_execz .LBB74_58
; %bb.1:
	s_mov_b32 s10, s15
	s_clause 0x2
	s_load_b32 s15, s[2:3], 0x38
	s_load_b64 s[8:9], s[2:3], 0x0
	s_load_b128 s[4:7], s[2:3], 0x28
	s_waitcnt lgkmcnt(0)
	s_bitcmp1_b32 s15, 8
	s_cselect_b32 s14, -1, 0
	s_ashr_i32 s11, s10, 31
	s_delay_alu instid0(SALU_CYCLE_1) | instskip(NEXT) | instid1(SALU_CYCLE_1)
	s_lshl_b64 s[12:13], s[10:11], 3
	s_add_u32 s8, s8, s12
	s_addc_u32 s9, s9, s13
	s_load_b64 s[12:13], s[8:9], 0x0
	s_bfe_u32 s8, s15, 0x10008
	s_delay_alu instid0(SALU_CYCLE_1)
	s_cmp_eq_u32 s8, 0
                                        ; implicit-def: $sgpr8_sgpr9
	s_cbranch_scc1 .LBB74_3
; %bb.2:
	s_clause 0x1
	s_load_b32 s8, s[2:3], 0x20
	s_load_b64 s[16:17], s[2:3], 0x18
	s_mul_i32 s5, s10, s5
	s_mul_hi_u32 s9, s10, s4
	s_mul_i32 s18, s11, s4
	s_add_i32 s5, s9, s5
	s_mul_i32 s4, s10, s4
	s_add_i32 s5, s5, s18
	s_delay_alu instid0(SALU_CYCLE_1)
	s_lshl_b64 s[4:5], s[4:5], 2
	s_waitcnt lgkmcnt(0)
	s_ashr_i32 s9, s8, 31
	s_add_u32 s16, s16, s4
	s_addc_u32 s17, s17, s5
	s_lshl_b64 s[4:5], s[8:9], 2
	s_delay_alu instid0(SALU_CYCLE_1)
	s_add_u32 s8, s16, s4
	s_addc_u32 s9, s17, s5
.LBB74_3:
	s_load_b64 s[2:3], s[2:3], 0x8
	v_lshlrev_b32_e32 v46, 4, v35
	v_add_nc_u32_e64 v39, 0, 32
	s_waitcnt lgkmcnt(0)
	v_add3_u32 v5, s3, s3, v35
	s_ashr_i32 s5, s2, 31
	s_mov_b32 s4, s2
	s_mov_b32 s16, s3
	s_lshl_b64 s[4:5], s[4:5], 4
	v_add_nc_u32_e32 v7, s3, v5
	v_ashrrev_i32_e32 v6, 31, v5
	s_add_u32 s4, s12, s4
	s_addc_u32 s5, s13, s5
	v_add_co_u32 v13, s2, s4, v46
	v_add_nc_u32_e32 v9, s3, v7
	v_ashrrev_i32_e32 v8, 31, v7
	s_ashr_i32 s17, s3, 31
	v_add_co_ci_u32_e64 v14, null, s5, 0, s2
	s_delay_alu instid0(VALU_DEP_3)
	v_add_nc_u32_e32 v23, s3, v9
	v_lshlrev_b64 v[5:6], 4, v[5:6]
	s_lshl_b64 s[12:13], s[16:17], 4
	v_ashrrev_i32_e32 v10, 31, v9
	v_add_co_u32 v15, vcc_lo, v13, s12
	v_add_nc_u32_e32 v25, s3, v23
	v_lshlrev_b64 v[19:20], 4, v[7:8]
	v_ashrrev_i32_e32 v24, 31, v23
	v_add_co_ci_u32_e32 v16, vcc_lo, s13, v14, vcc_lo
	s_delay_alu instid0(VALU_DEP_4)
	v_add_nc_u32_e32 v27, s3, v25
	v_add_co_u32 v17, vcc_lo, s4, v5
	v_lshlrev_b64 v[21:22], 4, v[9:10]
	v_ashrrev_i32_e32 v26, 31, v25
	v_add_co_ci_u32_e32 v18, vcc_lo, s5, v6, vcc_lo
	v_add_co_u32 v19, vcc_lo, s4, v19
	v_lshlrev_b64 v[23:24], 4, v[23:24]
	v_ashrrev_i32_e32 v28, 31, v27
	v_add_co_ci_u32_e32 v20, vcc_lo, s5, v20, vcc_lo
	v_add_co_u32 v21, vcc_lo, s4, v21
	v_lshlrev_b64 v[25:26], 4, v[25:26]
	v_add_nc_u32_e32 v30, s3, v27
	v_add_co_ci_u32_e32 v22, vcc_lo, s5, v22, vcc_lo
	v_add_co_u32 v23, vcc_lo, s4, v23
	v_lshlrev_b64 v[28:29], 4, v[27:28]
	v_add_co_ci_u32_e32 v24, vcc_lo, s5, v24, vcc_lo
	v_add_co_u32 v25, vcc_lo, s4, v25
	v_ashrrev_i32_e32 v31, 31, v30
	v_add_nc_u32_e32 v32, s3, v30
	v_add_co_ci_u32_e32 v26, vcc_lo, s5, v26, vcc_lo
	v_add_co_u32 v27, vcc_lo, s4, v28
	v_add_co_ci_u32_e32 v28, vcc_lo, s5, v29, vcc_lo
	v_lshlrev_b64 v[29:30], 4, v[30:31]
	v_ashrrev_i32_e32 v33, 31, v32
	v_add_nc_u32_e32 v31, s3, v32
	s_clause 0x4
	global_load_b128 v[1:4], v46, s[4:5]
	global_load_b128 v[5:8], v[15:16], off
	global_load_b128 v[9:12], v[17:18], off
	;; [unrolled: 1-line block ×4, first 2 shown]
	v_lshlrev_b64 v[33:34], 4, v[32:33]
	v_ashrrev_i32_e32 v32, 31, v31
	v_add_co_u32 v29, vcc_lo, s4, v29
	v_add_co_ci_u32_e32 v30, vcc_lo, s5, v30, vcc_lo
	s_delay_alu instid0(VALU_DEP_3)
	v_lshlrev_b64 v[36:37], 4, v[31:32]
	v_add_co_u32 v31, vcc_lo, s4, v33
	v_add_co_ci_u32_e32 v32, vcc_lo, s5, v34, vcc_lo
	s_clause 0x2
	global_load_b128 v[51:54], v[23:24], off
	global_load_b128 v[55:58], v[25:26], off
	;; [unrolled: 1-line block ×3, first 2 shown]
	v_add_co_u32 v33, vcc_lo, s4, v36
	v_add_co_ci_u32_e32 v34, vcc_lo, s5, v37, vcc_lo
	s_clause 0x2
	global_load_b128 v[63:66], v[29:30], off
	global_load_b128 v[67:70], v[31:32], off
	;; [unrolled: 1-line block ×3, first 2 shown]
	s_movk_i32 s2, 0x50
	s_movk_i32 s3, 0x70
	v_add_nc_u32_e64 v38, s2, 0
	s_movk_i32 s2, 0x60
	v_add_nc_u32_e64 v37, 0, 16
	v_add_nc_u32_e64 v36, 0, 48
	s_bitcmp0_b32 s15, 0
	s_waitcnt vmcnt(10)
	scratch_store_b128 off, v[1:4], off
	s_waitcnt vmcnt(9)
	scratch_store_b128 off, v[5:8], off offset:16
	s_waitcnt vmcnt(8)
	scratch_store_b128 off, v[9:12], off offset:32
	s_waitcnt vmcnt(7)
	scratch_store_b128 off, v[40:43], off offset:48
	v_add_nc_u32_e64 v42, s2, 0
	s_movk_i32 s2, 0x80
	v_add_nc_u32_e64 v41, s3, 0
	v_add_nc_u32_e64 v44, s2, 0
	s_movk_i32 s2, 0x90
	s_movk_i32 s3, 0xa0
	v_add_nc_u32_e64 v40, 0, 64
	v_add_nc_u32_e64 v45, s2, 0
	;; [unrolled: 1-line block ×3, first 2 shown]
	s_mov_b32 s3, -1
	s_waitcnt vmcnt(6)
	scratch_store_b128 off, v[47:50], off offset:64
	s_waitcnt vmcnt(5)
	scratch_store_b128 off, v[51:54], off offset:80
	;; [unrolled: 2-line block ×7, first 2 shown]
	s_cbranch_scc1 .LBB74_56
; %bb.4:
	v_cmp_eq_u32_e64 s2, 0, v35
	s_delay_alu instid0(VALU_DEP_1)
	s_and_saveexec_b32 s3, s2
	s_cbranch_execz .LBB74_6
; %bb.5:
	v_mov_b32_e32 v1, 0
	ds_store_b32 v1, v1 offset:352
.LBB74_6:
	s_or_b32 exec_lo, exec_lo, s3
	s_waitcnt lgkmcnt(0)
	s_waitcnt_vscnt null, 0x0
	s_barrier
	buffer_gl0_inv
	scratch_load_b128 v[1:4], v46, off
	s_waitcnt vmcnt(0)
	v_cmp_eq_f64_e32 vcc_lo, 0, v[1:2]
	v_cmp_eq_f64_e64 s3, 0, v[3:4]
	s_delay_alu instid0(VALU_DEP_1) | instskip(NEXT) | instid1(SALU_CYCLE_1)
	s_and_b32 s3, vcc_lo, s3
	s_and_saveexec_b32 s4, s3
	s_cbranch_execz .LBB74_10
; %bb.7:
	v_mov_b32_e32 v1, 0
	s_mov_b32 s5, 0
	ds_load_b32 v2, v1 offset:352
	s_waitcnt lgkmcnt(0)
	v_readfirstlane_b32 s3, v2
	v_add_nc_u32_e32 v2, 1, v35
	s_delay_alu instid0(VALU_DEP_2) | instskip(NEXT) | instid1(VALU_DEP_1)
	s_cmp_eq_u32 s3, 0
	v_cmp_gt_i32_e32 vcc_lo, s3, v2
	s_cselect_b32 s12, -1, 0
	s_delay_alu instid0(SALU_CYCLE_1) | instskip(NEXT) | instid1(SALU_CYCLE_1)
	s_or_b32 s12, s12, vcc_lo
	s_and_b32 exec_lo, exec_lo, s12
	s_cbranch_execz .LBB74_10
; %bb.8:
	v_mov_b32_e32 v3, s3
.LBB74_9:                               ; =>This Inner Loop Header: Depth=1
	ds_cmpstore_rtn_b32 v3, v1, v2, v3 offset:352
	s_waitcnt lgkmcnt(0)
	v_cmp_ne_u32_e32 vcc_lo, 0, v3
	v_cmp_le_i32_e64 s3, v3, v2
	s_delay_alu instid0(VALU_DEP_1) | instskip(NEXT) | instid1(SALU_CYCLE_1)
	s_and_b32 s3, vcc_lo, s3
	s_and_b32 s3, exec_lo, s3
	s_delay_alu instid0(SALU_CYCLE_1) | instskip(NEXT) | instid1(SALU_CYCLE_1)
	s_or_b32 s5, s3, s5
	s_and_not1_b32 exec_lo, exec_lo, s5
	s_cbranch_execnz .LBB74_9
.LBB74_10:
	s_or_b32 exec_lo, exec_lo, s4
	v_mov_b32_e32 v1, 0
	s_barrier
	buffer_gl0_inv
	ds_load_b32 v2, v1 offset:352
	s_and_saveexec_b32 s3, s2
	s_cbranch_execz .LBB74_12
; %bb.11:
	s_lshl_b64 s[4:5], s[10:11], 2
	s_delay_alu instid0(SALU_CYCLE_1)
	s_add_u32 s4, s6, s4
	s_addc_u32 s5, s7, s5
	s_waitcnt lgkmcnt(0)
	global_store_b32 v1, v2, s[4:5]
.LBB74_12:
	s_or_b32 exec_lo, exec_lo, s3
	s_waitcnt lgkmcnt(0)
	v_cmp_ne_u32_e32 vcc_lo, 0, v2
	s_mov_b32 s3, 0
	s_cbranch_vccnz .LBB74_56
; %bb.13:
	v_add_nc_u32_e32 v47, 0, v46
                                        ; implicit-def: $vgpr9_vgpr10
	scratch_load_b128 v[1:4], v47, off
	s_waitcnt vmcnt(0)
	v_cmp_gt_f64_e32 vcc_lo, 0, v[1:2]
	v_xor_b32_e32 v6, 0x80000000, v2
	v_mov_b32_e32 v5, v1
	v_xor_b32_e32 v7, 0x80000000, v4
	s_delay_alu instid0(VALU_DEP_3) | instskip(SKIP_1) | instid1(VALU_DEP_3)
	v_cndmask_b32_e32 v6, v2, v6, vcc_lo
	v_cmp_gt_f64_e32 vcc_lo, 0, v[3:4]
	v_dual_cndmask_b32 v8, v4, v7 :: v_dual_mov_b32 v7, v3
	s_delay_alu instid0(VALU_DEP_1) | instskip(SKIP_1) | instid1(SALU_CYCLE_1)
	v_cmp_ngt_f64_e32 vcc_lo, v[5:6], v[7:8]
                                        ; implicit-def: $vgpr5_vgpr6
	s_and_saveexec_b32 s3, vcc_lo
	s_xor_b32 s3, exec_lo, s3
	s_cbranch_execz .LBB74_15
; %bb.14:
	v_div_scale_f64 v[5:6], null, v[3:4], v[3:4], v[1:2]
	v_div_scale_f64 v[11:12], vcc_lo, v[1:2], v[3:4], v[1:2]
	s_delay_alu instid0(VALU_DEP_2) | instskip(SKIP_2) | instid1(VALU_DEP_1)
	v_rcp_f64_e32 v[7:8], v[5:6]
	s_waitcnt_depctr 0xfff
	v_fma_f64 v[9:10], -v[5:6], v[7:8], 1.0
	v_fma_f64 v[7:8], v[7:8], v[9:10], v[7:8]
	s_delay_alu instid0(VALU_DEP_1) | instskip(NEXT) | instid1(VALU_DEP_1)
	v_fma_f64 v[9:10], -v[5:6], v[7:8], 1.0
	v_fma_f64 v[7:8], v[7:8], v[9:10], v[7:8]
	s_delay_alu instid0(VALU_DEP_1) | instskip(NEXT) | instid1(VALU_DEP_1)
	v_mul_f64 v[9:10], v[11:12], v[7:8]
	v_fma_f64 v[5:6], -v[5:6], v[9:10], v[11:12]
	s_delay_alu instid0(VALU_DEP_1) | instskip(NEXT) | instid1(VALU_DEP_1)
	v_div_fmas_f64 v[5:6], v[5:6], v[7:8], v[9:10]
	v_div_fixup_f64 v[5:6], v[5:6], v[3:4], v[1:2]
	s_delay_alu instid0(VALU_DEP_1) | instskip(NEXT) | instid1(VALU_DEP_1)
	v_fma_f64 v[1:2], v[1:2], v[5:6], v[3:4]
	v_div_scale_f64 v[3:4], null, v[1:2], v[1:2], 1.0
	v_div_scale_f64 v[11:12], vcc_lo, 1.0, v[1:2], 1.0
	s_delay_alu instid0(VALU_DEP_2) | instskip(SKIP_2) | instid1(VALU_DEP_1)
	v_rcp_f64_e32 v[7:8], v[3:4]
	s_waitcnt_depctr 0xfff
	v_fma_f64 v[9:10], -v[3:4], v[7:8], 1.0
	v_fma_f64 v[7:8], v[7:8], v[9:10], v[7:8]
	s_delay_alu instid0(VALU_DEP_1) | instskip(NEXT) | instid1(VALU_DEP_1)
	v_fma_f64 v[9:10], -v[3:4], v[7:8], 1.0
	v_fma_f64 v[7:8], v[7:8], v[9:10], v[7:8]
	s_delay_alu instid0(VALU_DEP_1) | instskip(NEXT) | instid1(VALU_DEP_1)
	v_mul_f64 v[9:10], v[11:12], v[7:8]
	v_fma_f64 v[3:4], -v[3:4], v[9:10], v[11:12]
	s_delay_alu instid0(VALU_DEP_1) | instskip(NEXT) | instid1(VALU_DEP_1)
	v_div_fmas_f64 v[3:4], v[3:4], v[7:8], v[9:10]
	v_div_fixup_f64 v[7:8], v[3:4], v[1:2], 1.0
                                        ; implicit-def: $vgpr1_vgpr2
	s_delay_alu instid0(VALU_DEP_1) | instskip(SKIP_1) | instid1(VALU_DEP_2)
	v_mul_f64 v[5:6], v[5:6], v[7:8]
	v_xor_b32_e32 v8, 0x80000000, v8
	v_xor_b32_e32 v10, 0x80000000, v6
	s_delay_alu instid0(VALU_DEP_3)
	v_mov_b32_e32 v9, v5
.LBB74_15:
	s_and_not1_saveexec_b32 s3, s3
	s_cbranch_execz .LBB74_17
; %bb.16:
	v_div_scale_f64 v[5:6], null, v[1:2], v[1:2], v[3:4]
	v_div_scale_f64 v[11:12], vcc_lo, v[3:4], v[1:2], v[3:4]
	s_delay_alu instid0(VALU_DEP_2) | instskip(SKIP_2) | instid1(VALU_DEP_1)
	v_rcp_f64_e32 v[7:8], v[5:6]
	s_waitcnt_depctr 0xfff
	v_fma_f64 v[9:10], -v[5:6], v[7:8], 1.0
	v_fma_f64 v[7:8], v[7:8], v[9:10], v[7:8]
	s_delay_alu instid0(VALU_DEP_1) | instskip(NEXT) | instid1(VALU_DEP_1)
	v_fma_f64 v[9:10], -v[5:6], v[7:8], 1.0
	v_fma_f64 v[7:8], v[7:8], v[9:10], v[7:8]
	s_delay_alu instid0(VALU_DEP_1) | instskip(NEXT) | instid1(VALU_DEP_1)
	v_mul_f64 v[9:10], v[11:12], v[7:8]
	v_fma_f64 v[5:6], -v[5:6], v[9:10], v[11:12]
	s_delay_alu instid0(VALU_DEP_1) | instskip(NEXT) | instid1(VALU_DEP_1)
	v_div_fmas_f64 v[5:6], v[5:6], v[7:8], v[9:10]
	v_div_fixup_f64 v[7:8], v[5:6], v[1:2], v[3:4]
	s_delay_alu instid0(VALU_DEP_1) | instskip(NEXT) | instid1(VALU_DEP_1)
	v_fma_f64 v[1:2], v[3:4], v[7:8], v[1:2]
	v_div_scale_f64 v[3:4], null, v[1:2], v[1:2], 1.0
	s_delay_alu instid0(VALU_DEP_1) | instskip(SKIP_2) | instid1(VALU_DEP_1)
	v_rcp_f64_e32 v[5:6], v[3:4]
	s_waitcnt_depctr 0xfff
	v_fma_f64 v[9:10], -v[3:4], v[5:6], 1.0
	v_fma_f64 v[5:6], v[5:6], v[9:10], v[5:6]
	s_delay_alu instid0(VALU_DEP_1) | instskip(NEXT) | instid1(VALU_DEP_1)
	v_fma_f64 v[9:10], -v[3:4], v[5:6], 1.0
	v_fma_f64 v[5:6], v[5:6], v[9:10], v[5:6]
	v_div_scale_f64 v[9:10], vcc_lo, 1.0, v[1:2], 1.0
	s_delay_alu instid0(VALU_DEP_1) | instskip(NEXT) | instid1(VALU_DEP_1)
	v_mul_f64 v[11:12], v[9:10], v[5:6]
	v_fma_f64 v[3:4], -v[3:4], v[11:12], v[9:10]
	s_delay_alu instid0(VALU_DEP_1) | instskip(NEXT) | instid1(VALU_DEP_1)
	v_div_fmas_f64 v[3:4], v[3:4], v[5:6], v[11:12]
	v_div_fixup_f64 v[5:6], v[3:4], v[1:2], 1.0
	s_delay_alu instid0(VALU_DEP_1)
	v_mul_f64 v[7:8], v[7:8], -v[5:6]
	v_xor_b32_e32 v10, 0x80000000, v6
	v_mov_b32_e32 v9, v5
.LBB74_17:
	s_or_b32 exec_lo, exec_lo, s3
	scratch_store_b128 v47, v[5:8], off
	scratch_load_b128 v[1:4], v37, off
	v_xor_b32_e32 v12, 0x80000000, v8
	v_mov_b32_e32 v11, v7
	v_add_nc_u32_e32 v5, 0xb0, v46
	ds_store_b128 v46, v[9:12]
	s_waitcnt vmcnt(0)
	ds_store_b128 v46, v[1:4] offset:176
	s_waitcnt lgkmcnt(0)
	s_waitcnt_vscnt null, 0x0
	s_barrier
	buffer_gl0_inv
	s_and_saveexec_b32 s3, s2
	s_cbranch_execz .LBB74_19
; %bb.18:
	scratch_load_b128 v[1:4], v47, off
	ds_load_b128 v[6:9], v5
	v_mov_b32_e32 v10, 0
	ds_load_b128 v[48:51], v10 offset:16
	s_waitcnt vmcnt(0) lgkmcnt(1)
	v_mul_f64 v[10:11], v[6:7], v[3:4]
	v_mul_f64 v[3:4], v[8:9], v[3:4]
	s_delay_alu instid0(VALU_DEP_2) | instskip(NEXT) | instid1(VALU_DEP_2)
	v_fma_f64 v[8:9], v[8:9], v[1:2], v[10:11]
	v_fma_f64 v[1:2], v[6:7], v[1:2], -v[3:4]
	s_delay_alu instid0(VALU_DEP_2) | instskip(NEXT) | instid1(VALU_DEP_2)
	v_add_f64 v[3:4], v[8:9], 0
	v_add_f64 v[1:2], v[1:2], 0
	s_waitcnt lgkmcnt(0)
	s_delay_alu instid0(VALU_DEP_2) | instskip(NEXT) | instid1(VALU_DEP_2)
	v_mul_f64 v[6:7], v[3:4], v[50:51]
	v_mul_f64 v[8:9], v[1:2], v[50:51]
	s_delay_alu instid0(VALU_DEP_2) | instskip(NEXT) | instid1(VALU_DEP_2)
	v_fma_f64 v[1:2], v[1:2], v[48:49], -v[6:7]
	v_fma_f64 v[3:4], v[3:4], v[48:49], v[8:9]
	scratch_store_b128 off, v[1:4], off offset:16
.LBB74_19:
	s_or_b32 exec_lo, exec_lo, s3
	s_waitcnt_vscnt null, 0x0
	s_barrier
	buffer_gl0_inv
	scratch_load_b128 v[1:4], v39, off
	s_mov_b32 s3, exec_lo
	s_waitcnt vmcnt(0)
	ds_store_b128 v5, v[1:4]
	s_waitcnt lgkmcnt(0)
	s_barrier
	buffer_gl0_inv
	v_cmpx_gt_u32_e32 2, v35
	s_cbranch_execz .LBB74_23
; %bb.20:
	scratch_load_b128 v[1:4], v47, off
	ds_load_b128 v[6:9], v5
	s_waitcnt vmcnt(0) lgkmcnt(0)
	v_mul_f64 v[10:11], v[8:9], v[3:4]
	v_mul_f64 v[3:4], v[6:7], v[3:4]
	s_delay_alu instid0(VALU_DEP_2) | instskip(NEXT) | instid1(VALU_DEP_2)
	v_fma_f64 v[6:7], v[6:7], v[1:2], -v[10:11]
	v_fma_f64 v[3:4], v[8:9], v[1:2], v[3:4]
	s_delay_alu instid0(VALU_DEP_2) | instskip(NEXT) | instid1(VALU_DEP_2)
	v_add_f64 v[1:2], v[6:7], 0
	v_add_f64 v[3:4], v[3:4], 0
	s_and_saveexec_b32 s4, s2
	s_cbranch_execz .LBB74_22
; %bb.21:
	scratch_load_b128 v[6:9], off, off offset:16
	v_mov_b32_e32 v10, 0
	ds_load_b128 v[48:51], v10 offset:192
	s_waitcnt vmcnt(0) lgkmcnt(0)
	v_mul_f64 v[10:11], v[48:49], v[8:9]
	v_mul_f64 v[8:9], v[50:51], v[8:9]
	s_delay_alu instid0(VALU_DEP_2) | instskip(NEXT) | instid1(VALU_DEP_2)
	v_fma_f64 v[10:11], v[50:51], v[6:7], v[10:11]
	v_fma_f64 v[6:7], v[48:49], v[6:7], -v[8:9]
	s_delay_alu instid0(VALU_DEP_2) | instskip(NEXT) | instid1(VALU_DEP_2)
	v_add_f64 v[3:4], v[3:4], v[10:11]
	v_add_f64 v[1:2], v[1:2], v[6:7]
.LBB74_22:
	s_or_b32 exec_lo, exec_lo, s4
	v_mov_b32_e32 v6, 0
	ds_load_b128 v[6:9], v6 offset:32
	s_waitcnt lgkmcnt(0)
	v_mul_f64 v[10:11], v[3:4], v[8:9]
	v_mul_f64 v[8:9], v[1:2], v[8:9]
	s_delay_alu instid0(VALU_DEP_2) | instskip(NEXT) | instid1(VALU_DEP_2)
	v_fma_f64 v[1:2], v[1:2], v[6:7], -v[10:11]
	v_fma_f64 v[3:4], v[3:4], v[6:7], v[8:9]
	scratch_store_b128 off, v[1:4], off offset:32
.LBB74_23:
	s_or_b32 exec_lo, exec_lo, s3
	s_waitcnt_vscnt null, 0x0
	s_barrier
	buffer_gl0_inv
	scratch_load_b128 v[1:4], v36, off
	v_add_nc_u32_e32 v6, -1, v35
	s_mov_b32 s2, exec_lo
	s_waitcnt vmcnt(0)
	ds_store_b128 v5, v[1:4]
	s_waitcnt lgkmcnt(0)
	s_barrier
	buffer_gl0_inv
	v_cmpx_gt_u32_e32 3, v35
	s_cbranch_execz .LBB74_27
; %bb.24:
	v_dual_mov_b32 v1, 0 :: v_dual_add_nc_u32 v8, 0xb0, v46
	v_dual_mov_b32 v2, 0 :: v_dual_add_nc_u32 v7, -1, v35
	v_or_b32_e32 v9, 8, v47
	s_mov_b32 s3, 0
	s_delay_alu instid0(VALU_DEP_2)
	v_dual_mov_b32 v4, v2 :: v_dual_mov_b32 v3, v1
	.p2align	6
.LBB74_25:                              ; =>This Inner Loop Header: Depth=1
	scratch_load_b128 v[48:51], v9, off offset:-8
	ds_load_b128 v[52:55], v8
	v_add_nc_u32_e32 v7, 1, v7
	v_add_nc_u32_e32 v8, 16, v8
	;; [unrolled: 1-line block ×3, first 2 shown]
	s_delay_alu instid0(VALU_DEP_3) | instskip(SKIP_4) | instid1(VALU_DEP_2)
	v_cmp_lt_u32_e32 vcc_lo, 1, v7
	s_or_b32 s3, vcc_lo, s3
	s_waitcnt vmcnt(0) lgkmcnt(0)
	v_mul_f64 v[10:11], v[54:55], v[50:51]
	v_mul_f64 v[50:51], v[52:53], v[50:51]
	v_fma_f64 v[10:11], v[52:53], v[48:49], -v[10:11]
	s_delay_alu instid0(VALU_DEP_2) | instskip(NEXT) | instid1(VALU_DEP_2)
	v_fma_f64 v[48:49], v[54:55], v[48:49], v[50:51]
	v_add_f64 v[3:4], v[3:4], v[10:11]
	s_delay_alu instid0(VALU_DEP_2)
	v_add_f64 v[1:2], v[1:2], v[48:49]
	s_and_not1_b32 exec_lo, exec_lo, s3
	s_cbranch_execnz .LBB74_25
; %bb.26:
	s_or_b32 exec_lo, exec_lo, s3
	v_mov_b32_e32 v7, 0
	ds_load_b128 v[7:10], v7 offset:48
	s_waitcnt lgkmcnt(0)
	v_mul_f64 v[11:12], v[1:2], v[9:10]
	v_mul_f64 v[48:49], v[3:4], v[9:10]
	s_delay_alu instid0(VALU_DEP_2) | instskip(NEXT) | instid1(VALU_DEP_2)
	v_fma_f64 v[9:10], v[3:4], v[7:8], -v[11:12]
	v_fma_f64 v[11:12], v[1:2], v[7:8], v[48:49]
	scratch_store_b128 off, v[9:12], off offset:48
.LBB74_27:
	s_or_b32 exec_lo, exec_lo, s2
	s_waitcnt_vscnt null, 0x0
	s_barrier
	buffer_gl0_inv
	scratch_load_b128 v[1:4], v40, off
	s_mov_b32 s2, exec_lo
	s_waitcnt vmcnt(0)
	ds_store_b128 v5, v[1:4]
	s_waitcnt lgkmcnt(0)
	s_barrier
	buffer_gl0_inv
	v_cmpx_gt_u32_e32 4, v35
	s_cbranch_execz .LBB74_31
; %bb.28:
	v_dual_mov_b32 v1, 0 :: v_dual_add_nc_u32 v8, 0xb0, v46
	v_dual_mov_b32 v2, 0 :: v_dual_add_nc_u32 v7, -1, v35
	v_or_b32_e32 v9, 8, v47
	s_mov_b32 s3, 0
	s_delay_alu instid0(VALU_DEP_2)
	v_dual_mov_b32 v4, v2 :: v_dual_mov_b32 v3, v1
	.p2align	6
.LBB74_29:                              ; =>This Inner Loop Header: Depth=1
	scratch_load_b128 v[48:51], v9, off offset:-8
	ds_load_b128 v[52:55], v8
	v_add_nc_u32_e32 v7, 1, v7
	v_add_nc_u32_e32 v8, 16, v8
	;; [unrolled: 1-line block ×3, first 2 shown]
	s_delay_alu instid0(VALU_DEP_3) | instskip(SKIP_4) | instid1(VALU_DEP_2)
	v_cmp_lt_u32_e32 vcc_lo, 2, v7
	s_or_b32 s3, vcc_lo, s3
	s_waitcnt vmcnt(0) lgkmcnt(0)
	v_mul_f64 v[10:11], v[54:55], v[50:51]
	v_mul_f64 v[50:51], v[52:53], v[50:51]
	v_fma_f64 v[10:11], v[52:53], v[48:49], -v[10:11]
	s_delay_alu instid0(VALU_DEP_2) | instskip(NEXT) | instid1(VALU_DEP_2)
	v_fma_f64 v[48:49], v[54:55], v[48:49], v[50:51]
	v_add_f64 v[3:4], v[3:4], v[10:11]
	s_delay_alu instid0(VALU_DEP_2)
	v_add_f64 v[1:2], v[1:2], v[48:49]
	s_and_not1_b32 exec_lo, exec_lo, s3
	s_cbranch_execnz .LBB74_29
; %bb.30:
	s_or_b32 exec_lo, exec_lo, s3
	v_mov_b32_e32 v7, 0
	ds_load_b128 v[7:10], v7 offset:64
	s_waitcnt lgkmcnt(0)
	v_mul_f64 v[11:12], v[1:2], v[9:10]
	v_mul_f64 v[48:49], v[3:4], v[9:10]
	s_delay_alu instid0(VALU_DEP_2) | instskip(NEXT) | instid1(VALU_DEP_2)
	v_fma_f64 v[9:10], v[3:4], v[7:8], -v[11:12]
	v_fma_f64 v[11:12], v[1:2], v[7:8], v[48:49]
	scratch_store_b128 off, v[9:12], off offset:64
.LBB74_31:
	s_or_b32 exec_lo, exec_lo, s2
	s_waitcnt_vscnt null, 0x0
	s_barrier
	buffer_gl0_inv
	scratch_load_b128 v[1:4], v38, off
	s_mov_b32 s2, exec_lo
	s_waitcnt vmcnt(0)
	ds_store_b128 v5, v[1:4]
	s_waitcnt lgkmcnt(0)
	s_barrier
	buffer_gl0_inv
	v_cmpx_gt_u32_e32 5, v35
	s_cbranch_execz .LBB74_35
; %bb.32:
	v_dual_mov_b32 v1, 0 :: v_dual_add_nc_u32 v8, 0xb0, v46
	v_dual_mov_b32 v2, 0 :: v_dual_add_nc_u32 v7, -1, v35
	v_or_b32_e32 v9, 8, v47
	s_mov_b32 s3, 0
	s_delay_alu instid0(VALU_DEP_2)
	v_dual_mov_b32 v4, v2 :: v_dual_mov_b32 v3, v1
	.p2align	6
.LBB74_33:                              ; =>This Inner Loop Header: Depth=1
	scratch_load_b128 v[48:51], v9, off offset:-8
	ds_load_b128 v[52:55], v8
	v_add_nc_u32_e32 v7, 1, v7
	v_add_nc_u32_e32 v8, 16, v8
	;; [unrolled: 1-line block ×3, first 2 shown]
	s_delay_alu instid0(VALU_DEP_3) | instskip(SKIP_4) | instid1(VALU_DEP_2)
	v_cmp_lt_u32_e32 vcc_lo, 3, v7
	s_or_b32 s3, vcc_lo, s3
	s_waitcnt vmcnt(0) lgkmcnt(0)
	v_mul_f64 v[10:11], v[54:55], v[50:51]
	v_mul_f64 v[50:51], v[52:53], v[50:51]
	v_fma_f64 v[10:11], v[52:53], v[48:49], -v[10:11]
	s_delay_alu instid0(VALU_DEP_2) | instskip(NEXT) | instid1(VALU_DEP_2)
	v_fma_f64 v[48:49], v[54:55], v[48:49], v[50:51]
	v_add_f64 v[3:4], v[3:4], v[10:11]
	s_delay_alu instid0(VALU_DEP_2)
	v_add_f64 v[1:2], v[1:2], v[48:49]
	s_and_not1_b32 exec_lo, exec_lo, s3
	s_cbranch_execnz .LBB74_33
; %bb.34:
	s_or_b32 exec_lo, exec_lo, s3
	v_mov_b32_e32 v7, 0
	ds_load_b128 v[7:10], v7 offset:80
	s_waitcnt lgkmcnt(0)
	v_mul_f64 v[11:12], v[1:2], v[9:10]
	v_mul_f64 v[48:49], v[3:4], v[9:10]
	s_delay_alu instid0(VALU_DEP_2) | instskip(NEXT) | instid1(VALU_DEP_2)
	v_fma_f64 v[9:10], v[3:4], v[7:8], -v[11:12]
	v_fma_f64 v[11:12], v[1:2], v[7:8], v[48:49]
	scratch_store_b128 off, v[9:12], off offset:80
.LBB74_35:
	s_or_b32 exec_lo, exec_lo, s2
	s_waitcnt_vscnt null, 0x0
	s_barrier
	buffer_gl0_inv
	scratch_load_b128 v[1:4], v42, off
	s_mov_b32 s2, exec_lo
	s_waitcnt vmcnt(0)
	ds_store_b128 v5, v[1:4]
	s_waitcnt lgkmcnt(0)
	s_barrier
	buffer_gl0_inv
	v_cmpx_gt_u32_e32 6, v35
	s_cbranch_execz .LBB74_39
; %bb.36:
	v_dual_mov_b32 v1, 0 :: v_dual_add_nc_u32 v8, 0xb0, v46
	v_dual_mov_b32 v2, 0 :: v_dual_add_nc_u32 v7, -1, v35
	v_or_b32_e32 v9, 8, v47
	s_mov_b32 s3, 0
	s_delay_alu instid0(VALU_DEP_2)
	v_dual_mov_b32 v4, v2 :: v_dual_mov_b32 v3, v1
	.p2align	6
.LBB74_37:                              ; =>This Inner Loop Header: Depth=1
	scratch_load_b128 v[48:51], v9, off offset:-8
	ds_load_b128 v[52:55], v8
	v_add_nc_u32_e32 v7, 1, v7
	v_add_nc_u32_e32 v8, 16, v8
	;; [unrolled: 1-line block ×3, first 2 shown]
	s_delay_alu instid0(VALU_DEP_3) | instskip(SKIP_4) | instid1(VALU_DEP_2)
	v_cmp_lt_u32_e32 vcc_lo, 4, v7
	s_or_b32 s3, vcc_lo, s3
	s_waitcnt vmcnt(0) lgkmcnt(0)
	v_mul_f64 v[10:11], v[54:55], v[50:51]
	v_mul_f64 v[50:51], v[52:53], v[50:51]
	v_fma_f64 v[10:11], v[52:53], v[48:49], -v[10:11]
	s_delay_alu instid0(VALU_DEP_2) | instskip(NEXT) | instid1(VALU_DEP_2)
	v_fma_f64 v[48:49], v[54:55], v[48:49], v[50:51]
	v_add_f64 v[3:4], v[3:4], v[10:11]
	s_delay_alu instid0(VALU_DEP_2)
	v_add_f64 v[1:2], v[1:2], v[48:49]
	s_and_not1_b32 exec_lo, exec_lo, s3
	s_cbranch_execnz .LBB74_37
; %bb.38:
	s_or_b32 exec_lo, exec_lo, s3
	v_mov_b32_e32 v7, 0
	ds_load_b128 v[7:10], v7 offset:96
	s_waitcnt lgkmcnt(0)
	v_mul_f64 v[11:12], v[1:2], v[9:10]
	v_mul_f64 v[48:49], v[3:4], v[9:10]
	s_delay_alu instid0(VALU_DEP_2) | instskip(NEXT) | instid1(VALU_DEP_2)
	v_fma_f64 v[9:10], v[3:4], v[7:8], -v[11:12]
	v_fma_f64 v[11:12], v[1:2], v[7:8], v[48:49]
	scratch_store_b128 off, v[9:12], off offset:96
.LBB74_39:
	s_or_b32 exec_lo, exec_lo, s2
	s_waitcnt_vscnt null, 0x0
	s_barrier
	buffer_gl0_inv
	scratch_load_b128 v[1:4], v41, off
	s_mov_b32 s2, exec_lo
	s_waitcnt vmcnt(0)
	ds_store_b128 v5, v[1:4]
	s_waitcnt lgkmcnt(0)
	s_barrier
	buffer_gl0_inv
	v_cmpx_gt_u32_e32 7, v35
	s_cbranch_execz .LBB74_43
; %bb.40:
	v_dual_mov_b32 v1, 0 :: v_dual_add_nc_u32 v8, 0xb0, v46
	v_dual_mov_b32 v2, 0 :: v_dual_add_nc_u32 v7, -1, v35
	v_or_b32_e32 v9, 8, v47
	s_mov_b32 s3, 0
	s_delay_alu instid0(VALU_DEP_2)
	v_dual_mov_b32 v4, v2 :: v_dual_mov_b32 v3, v1
	.p2align	6
.LBB74_41:                              ; =>This Inner Loop Header: Depth=1
	scratch_load_b128 v[48:51], v9, off offset:-8
	ds_load_b128 v[52:55], v8
	v_add_nc_u32_e32 v7, 1, v7
	v_add_nc_u32_e32 v8, 16, v8
	;; [unrolled: 1-line block ×3, first 2 shown]
	s_delay_alu instid0(VALU_DEP_3) | instskip(SKIP_4) | instid1(VALU_DEP_2)
	v_cmp_lt_u32_e32 vcc_lo, 5, v7
	s_or_b32 s3, vcc_lo, s3
	s_waitcnt vmcnt(0) lgkmcnt(0)
	v_mul_f64 v[10:11], v[54:55], v[50:51]
	v_mul_f64 v[50:51], v[52:53], v[50:51]
	v_fma_f64 v[10:11], v[52:53], v[48:49], -v[10:11]
	s_delay_alu instid0(VALU_DEP_2) | instskip(NEXT) | instid1(VALU_DEP_2)
	v_fma_f64 v[48:49], v[54:55], v[48:49], v[50:51]
	v_add_f64 v[3:4], v[3:4], v[10:11]
	s_delay_alu instid0(VALU_DEP_2)
	v_add_f64 v[1:2], v[1:2], v[48:49]
	s_and_not1_b32 exec_lo, exec_lo, s3
	s_cbranch_execnz .LBB74_41
; %bb.42:
	s_or_b32 exec_lo, exec_lo, s3
	v_mov_b32_e32 v7, 0
	ds_load_b128 v[7:10], v7 offset:112
	s_waitcnt lgkmcnt(0)
	v_mul_f64 v[11:12], v[1:2], v[9:10]
	v_mul_f64 v[48:49], v[3:4], v[9:10]
	s_delay_alu instid0(VALU_DEP_2) | instskip(NEXT) | instid1(VALU_DEP_2)
	v_fma_f64 v[9:10], v[3:4], v[7:8], -v[11:12]
	v_fma_f64 v[11:12], v[1:2], v[7:8], v[48:49]
	scratch_store_b128 off, v[9:12], off offset:112
.LBB74_43:
	s_or_b32 exec_lo, exec_lo, s2
	s_waitcnt_vscnt null, 0x0
	s_barrier
	buffer_gl0_inv
	scratch_load_b128 v[1:4], v44, off
	s_mov_b32 s2, exec_lo
	s_waitcnt vmcnt(0)
	ds_store_b128 v5, v[1:4]
	s_waitcnt lgkmcnt(0)
	s_barrier
	buffer_gl0_inv
	v_cmpx_gt_u32_e32 8, v35
	s_cbranch_execz .LBB74_47
; %bb.44:
	v_dual_mov_b32 v1, 0 :: v_dual_add_nc_u32 v8, 0xb0, v46
	v_dual_mov_b32 v2, 0 :: v_dual_add_nc_u32 v7, -1, v35
	v_or_b32_e32 v9, 8, v47
	s_mov_b32 s3, 0
	s_delay_alu instid0(VALU_DEP_2)
	v_dual_mov_b32 v4, v2 :: v_dual_mov_b32 v3, v1
	.p2align	6
.LBB74_45:                              ; =>This Inner Loop Header: Depth=1
	scratch_load_b128 v[48:51], v9, off offset:-8
	ds_load_b128 v[52:55], v8
	v_add_nc_u32_e32 v7, 1, v7
	v_add_nc_u32_e32 v8, 16, v8
	;; [unrolled: 1-line block ×3, first 2 shown]
	s_delay_alu instid0(VALU_DEP_3) | instskip(SKIP_4) | instid1(VALU_DEP_2)
	v_cmp_lt_u32_e32 vcc_lo, 6, v7
	s_or_b32 s3, vcc_lo, s3
	s_waitcnt vmcnt(0) lgkmcnt(0)
	v_mul_f64 v[10:11], v[54:55], v[50:51]
	v_mul_f64 v[50:51], v[52:53], v[50:51]
	v_fma_f64 v[10:11], v[52:53], v[48:49], -v[10:11]
	s_delay_alu instid0(VALU_DEP_2) | instskip(NEXT) | instid1(VALU_DEP_2)
	v_fma_f64 v[48:49], v[54:55], v[48:49], v[50:51]
	v_add_f64 v[3:4], v[3:4], v[10:11]
	s_delay_alu instid0(VALU_DEP_2)
	v_add_f64 v[1:2], v[1:2], v[48:49]
	s_and_not1_b32 exec_lo, exec_lo, s3
	s_cbranch_execnz .LBB74_45
; %bb.46:
	s_or_b32 exec_lo, exec_lo, s3
	v_mov_b32_e32 v7, 0
	ds_load_b128 v[7:10], v7 offset:128
	s_waitcnt lgkmcnt(0)
	v_mul_f64 v[11:12], v[1:2], v[9:10]
	v_mul_f64 v[48:49], v[3:4], v[9:10]
	s_delay_alu instid0(VALU_DEP_2) | instskip(NEXT) | instid1(VALU_DEP_2)
	v_fma_f64 v[9:10], v[3:4], v[7:8], -v[11:12]
	v_fma_f64 v[11:12], v[1:2], v[7:8], v[48:49]
	scratch_store_b128 off, v[9:12], off offset:128
.LBB74_47:
	s_or_b32 exec_lo, exec_lo, s2
	s_waitcnt_vscnt null, 0x0
	s_barrier
	buffer_gl0_inv
	scratch_load_b128 v[1:4], v45, off
	s_mov_b32 s2, exec_lo
	s_waitcnt vmcnt(0)
	ds_store_b128 v5, v[1:4]
	s_waitcnt lgkmcnt(0)
	s_barrier
	buffer_gl0_inv
	v_cmpx_gt_u32_e32 9, v35
	s_cbranch_execz .LBB74_51
; %bb.48:
	v_dual_mov_b32 v1, 0 :: v_dual_add_nc_u32 v8, 0xb0, v46
	v_dual_mov_b32 v2, 0 :: v_dual_add_nc_u32 v7, -1, v35
	v_or_b32_e32 v9, 8, v47
	s_mov_b32 s3, 0
	s_delay_alu instid0(VALU_DEP_2)
	v_dual_mov_b32 v4, v2 :: v_dual_mov_b32 v3, v1
	.p2align	6
.LBB74_49:                              ; =>This Inner Loop Header: Depth=1
	scratch_load_b128 v[48:51], v9, off offset:-8
	ds_load_b128 v[52:55], v8
	v_add_nc_u32_e32 v7, 1, v7
	v_add_nc_u32_e32 v8, 16, v8
	;; [unrolled: 1-line block ×3, first 2 shown]
	s_delay_alu instid0(VALU_DEP_3) | instskip(SKIP_4) | instid1(VALU_DEP_2)
	v_cmp_lt_u32_e32 vcc_lo, 7, v7
	s_or_b32 s3, vcc_lo, s3
	s_waitcnt vmcnt(0) lgkmcnt(0)
	v_mul_f64 v[10:11], v[54:55], v[50:51]
	v_mul_f64 v[50:51], v[52:53], v[50:51]
	v_fma_f64 v[10:11], v[52:53], v[48:49], -v[10:11]
	s_delay_alu instid0(VALU_DEP_2) | instskip(NEXT) | instid1(VALU_DEP_2)
	v_fma_f64 v[48:49], v[54:55], v[48:49], v[50:51]
	v_add_f64 v[3:4], v[3:4], v[10:11]
	s_delay_alu instid0(VALU_DEP_2)
	v_add_f64 v[1:2], v[1:2], v[48:49]
	s_and_not1_b32 exec_lo, exec_lo, s3
	s_cbranch_execnz .LBB74_49
; %bb.50:
	s_or_b32 exec_lo, exec_lo, s3
	v_mov_b32_e32 v7, 0
	ds_load_b128 v[7:10], v7 offset:144
	s_waitcnt lgkmcnt(0)
	v_mul_f64 v[11:12], v[1:2], v[9:10]
	v_mul_f64 v[48:49], v[3:4], v[9:10]
	s_delay_alu instid0(VALU_DEP_2) | instskip(NEXT) | instid1(VALU_DEP_2)
	v_fma_f64 v[9:10], v[3:4], v[7:8], -v[11:12]
	v_fma_f64 v[11:12], v[1:2], v[7:8], v[48:49]
	scratch_store_b128 off, v[9:12], off offset:144
.LBB74_51:
	s_or_b32 exec_lo, exec_lo, s2
	s_waitcnt_vscnt null, 0x0
	s_barrier
	buffer_gl0_inv
	scratch_load_b128 v[1:4], v43, off
	s_mov_b32 s2, exec_lo
	s_waitcnt vmcnt(0)
	ds_store_b128 v5, v[1:4]
	s_waitcnt lgkmcnt(0)
	s_barrier
	buffer_gl0_inv
	v_cmpx_ne_u32_e32 10, v35
	s_cbranch_execz .LBB74_55
; %bb.52:
	v_mov_b32_e32 v1, 0
	v_mov_b32_e32 v2, 0
	v_or_b32_e32 v7, 8, v47
	s_mov_b32 s3, 0
	s_delay_alu instid0(VALU_DEP_2)
	v_dual_mov_b32 v4, v2 :: v_dual_mov_b32 v3, v1
	.p2align	6
.LBB74_53:                              ; =>This Inner Loop Header: Depth=1
	scratch_load_b128 v[8:11], v7, off offset:-8
	ds_load_b128 v[46:49], v5
	v_add_nc_u32_e32 v6, 1, v6
	v_add_nc_u32_e32 v5, 16, v5
	;; [unrolled: 1-line block ×3, first 2 shown]
	s_delay_alu instid0(VALU_DEP_3) | instskip(SKIP_4) | instid1(VALU_DEP_2)
	v_cmp_lt_u32_e32 vcc_lo, 8, v6
	s_or_b32 s3, vcc_lo, s3
	s_waitcnt vmcnt(0) lgkmcnt(0)
	v_mul_f64 v[50:51], v[48:49], v[10:11]
	v_mul_f64 v[10:11], v[46:47], v[10:11]
	v_fma_f64 v[46:47], v[46:47], v[8:9], -v[50:51]
	s_delay_alu instid0(VALU_DEP_2) | instskip(NEXT) | instid1(VALU_DEP_2)
	v_fma_f64 v[8:9], v[48:49], v[8:9], v[10:11]
	v_add_f64 v[3:4], v[3:4], v[46:47]
	s_delay_alu instid0(VALU_DEP_2)
	v_add_f64 v[1:2], v[1:2], v[8:9]
	s_and_not1_b32 exec_lo, exec_lo, s3
	s_cbranch_execnz .LBB74_53
; %bb.54:
	s_or_b32 exec_lo, exec_lo, s3
	v_mov_b32_e32 v5, 0
	ds_load_b128 v[5:8], v5 offset:160
	s_waitcnt lgkmcnt(0)
	v_mul_f64 v[9:10], v[1:2], v[7:8]
	v_mul_f64 v[7:8], v[3:4], v[7:8]
	s_delay_alu instid0(VALU_DEP_2) | instskip(NEXT) | instid1(VALU_DEP_2)
	v_fma_f64 v[3:4], v[3:4], v[5:6], -v[9:10]
	v_fma_f64 v[5:6], v[1:2], v[5:6], v[7:8]
	scratch_store_b128 off, v[3:6], off offset:160
.LBB74_55:
	s_or_b32 exec_lo, exec_lo, s2
	s_mov_b32 s3, -1
	s_waitcnt_vscnt null, 0x0
	s_barrier
	buffer_gl0_inv
.LBB74_56:
	s_and_b32 vcc_lo, exec_lo, s3
	s_cbranch_vccz .LBB74_58
; %bb.57:
	s_lshl_b64 s[2:3], s[10:11], 2
	v_mov_b32_e32 v1, 0
	s_add_u32 s2, s6, s2
	s_addc_u32 s3, s7, s3
	global_load_b32 v1, v1, s[2:3]
	s_waitcnt vmcnt(0)
	v_cmp_ne_u32_e32 vcc_lo, 0, v1
	s_cbranch_vccz .LBB74_59
.LBB74_58:
	s_endpgm
.LBB74_59:
	v_lshl_add_u32 v5, v35, 4, 0xb0
	s_mov_b32 s2, exec_lo
	v_cmpx_eq_u32_e32 10, v35
	s_cbranch_execz .LBB74_61
; %bb.60:
	scratch_load_b128 v[1:4], v45, off
	v_mov_b32_e32 v6, 0
	s_delay_alu instid0(VALU_DEP_1)
	v_mov_b32_e32 v7, v6
	v_mov_b32_e32 v8, v6
	;; [unrolled: 1-line block ×3, first 2 shown]
	scratch_store_b128 off, v[6:9], off offset:144
	s_waitcnt vmcnt(0)
	ds_store_b128 v5, v[1:4]
.LBB74_61:
	s_or_b32 exec_lo, exec_lo, s2
	s_waitcnt lgkmcnt(0)
	s_waitcnt_vscnt null, 0x0
	s_barrier
	buffer_gl0_inv
	s_clause 0x1
	scratch_load_b128 v[6:9], off, off offset:160
	scratch_load_b128 v[46:49], off, off offset:144
	v_mov_b32_e32 v1, 0
	s_mov_b32 s2, exec_lo
	ds_load_b128 v[50:53], v1 offset:336
	s_waitcnt vmcnt(1) lgkmcnt(0)
	v_mul_f64 v[2:3], v[52:53], v[8:9]
	v_mul_f64 v[8:9], v[50:51], v[8:9]
	s_delay_alu instid0(VALU_DEP_2) | instskip(NEXT) | instid1(VALU_DEP_2)
	v_fma_f64 v[2:3], v[50:51], v[6:7], -v[2:3]
	v_fma_f64 v[6:7], v[52:53], v[6:7], v[8:9]
	s_delay_alu instid0(VALU_DEP_2) | instskip(NEXT) | instid1(VALU_DEP_2)
	v_add_f64 v[2:3], v[2:3], 0
	v_add_f64 v[8:9], v[6:7], 0
	s_waitcnt vmcnt(0)
	s_delay_alu instid0(VALU_DEP_2) | instskip(NEXT) | instid1(VALU_DEP_2)
	v_add_f64 v[6:7], v[46:47], -v[2:3]
	v_add_f64 v[8:9], v[48:49], -v[8:9]
	scratch_store_b128 off, v[6:9], off offset:144
	v_cmpx_lt_u32_e32 8, v35
	s_cbranch_execz .LBB74_63
; %bb.62:
	scratch_load_b128 v[6:9], v44, off
	v_mov_b32_e32 v2, v1
	v_mov_b32_e32 v3, v1
	v_mov_b32_e32 v4, v1
	scratch_store_b128 off, v[1:4], off offset:128
	s_waitcnt vmcnt(0)
	ds_store_b128 v5, v[6:9]
.LBB74_63:
	s_or_b32 exec_lo, exec_lo, s2
	s_waitcnt lgkmcnt(0)
	s_waitcnt_vscnt null, 0x0
	s_barrier
	buffer_gl0_inv
	s_clause 0x2
	scratch_load_b128 v[6:9], off, off offset:144
	scratch_load_b128 v[46:49], off, off offset:160
	;; [unrolled: 1-line block ×3, first 2 shown]
	ds_load_b128 v[54:57], v1 offset:320
	ds_load_b128 v[1:4], v1 offset:336
	s_mov_b32 s2, exec_lo
	s_waitcnt vmcnt(2) lgkmcnt(1)
	v_mul_f64 v[10:11], v[56:57], v[8:9]
	v_mul_f64 v[8:9], v[54:55], v[8:9]
	s_waitcnt vmcnt(1) lgkmcnt(0)
	v_mul_f64 v[58:59], v[1:2], v[48:49]
	v_mul_f64 v[48:49], v[3:4], v[48:49]
	s_delay_alu instid0(VALU_DEP_4) | instskip(NEXT) | instid1(VALU_DEP_4)
	v_fma_f64 v[10:11], v[54:55], v[6:7], -v[10:11]
	v_fma_f64 v[6:7], v[56:57], v[6:7], v[8:9]
	s_delay_alu instid0(VALU_DEP_4) | instskip(NEXT) | instid1(VALU_DEP_4)
	v_fma_f64 v[3:4], v[3:4], v[46:47], v[58:59]
	v_fma_f64 v[1:2], v[1:2], v[46:47], -v[48:49]
	s_delay_alu instid0(VALU_DEP_4) | instskip(NEXT) | instid1(VALU_DEP_4)
	v_add_f64 v[8:9], v[10:11], 0
	v_add_f64 v[6:7], v[6:7], 0
	s_delay_alu instid0(VALU_DEP_2) | instskip(NEXT) | instid1(VALU_DEP_2)
	v_add_f64 v[1:2], v[8:9], v[1:2]
	v_add_f64 v[3:4], v[6:7], v[3:4]
	s_waitcnt vmcnt(0)
	s_delay_alu instid0(VALU_DEP_2) | instskip(NEXT) | instid1(VALU_DEP_2)
	v_add_f64 v[1:2], v[50:51], -v[1:2]
	v_add_f64 v[3:4], v[52:53], -v[3:4]
	scratch_store_b128 off, v[1:4], off offset:128
	v_cmpx_lt_u32_e32 7, v35
	s_cbranch_execz .LBB74_65
; %bb.64:
	scratch_load_b128 v[1:4], v41, off
	v_mov_b32_e32 v6, 0
	s_delay_alu instid0(VALU_DEP_1)
	v_mov_b32_e32 v7, v6
	v_mov_b32_e32 v8, v6
	;; [unrolled: 1-line block ×3, first 2 shown]
	scratch_store_b128 off, v[6:9], off offset:112
	s_waitcnt vmcnt(0)
	ds_store_b128 v5, v[1:4]
.LBB74_65:
	s_or_b32 exec_lo, exec_lo, s2
	s_waitcnt lgkmcnt(0)
	s_waitcnt_vscnt null, 0x0
	s_barrier
	buffer_gl0_inv
	s_clause 0x3
	scratch_load_b128 v[6:9], off, off offset:128
	scratch_load_b128 v[46:49], off, off offset:144
	;; [unrolled: 1-line block ×4, first 2 shown]
	v_mov_b32_e32 v1, 0
	ds_load_b128 v[58:61], v1 offset:304
	ds_load_b128 v[62:65], v1 offset:320
	s_mov_b32 s2, exec_lo
	s_waitcnt vmcnt(3) lgkmcnt(1)
	v_mul_f64 v[2:3], v[60:61], v[8:9]
	v_mul_f64 v[8:9], v[58:59], v[8:9]
	s_waitcnt vmcnt(2) lgkmcnt(0)
	v_mul_f64 v[10:11], v[62:63], v[48:49]
	v_mul_f64 v[48:49], v[64:65], v[48:49]
	s_delay_alu instid0(VALU_DEP_4) | instskip(NEXT) | instid1(VALU_DEP_4)
	v_fma_f64 v[2:3], v[58:59], v[6:7], -v[2:3]
	v_fma_f64 v[58:59], v[60:61], v[6:7], v[8:9]
	ds_load_b128 v[6:9], v1 offset:336
	v_fma_f64 v[10:11], v[64:65], v[46:47], v[10:11]
	v_fma_f64 v[46:47], v[62:63], v[46:47], -v[48:49]
	s_waitcnt vmcnt(1) lgkmcnt(0)
	v_mul_f64 v[60:61], v[6:7], v[52:53]
	v_mul_f64 v[52:53], v[8:9], v[52:53]
	v_add_f64 v[2:3], v[2:3], 0
	v_add_f64 v[48:49], v[58:59], 0
	s_delay_alu instid0(VALU_DEP_4) | instskip(NEXT) | instid1(VALU_DEP_4)
	v_fma_f64 v[8:9], v[8:9], v[50:51], v[60:61]
	v_fma_f64 v[6:7], v[6:7], v[50:51], -v[52:53]
	s_delay_alu instid0(VALU_DEP_4) | instskip(NEXT) | instid1(VALU_DEP_4)
	v_add_f64 v[2:3], v[2:3], v[46:47]
	v_add_f64 v[10:11], v[48:49], v[10:11]
	s_delay_alu instid0(VALU_DEP_2) | instskip(NEXT) | instid1(VALU_DEP_2)
	v_add_f64 v[2:3], v[2:3], v[6:7]
	v_add_f64 v[8:9], v[10:11], v[8:9]
	s_waitcnt vmcnt(0)
	s_delay_alu instid0(VALU_DEP_2) | instskip(NEXT) | instid1(VALU_DEP_2)
	v_add_f64 v[6:7], v[54:55], -v[2:3]
	v_add_f64 v[8:9], v[56:57], -v[8:9]
	scratch_store_b128 off, v[6:9], off offset:112
	v_cmpx_lt_u32_e32 6, v35
	s_cbranch_execz .LBB74_67
; %bb.66:
	scratch_load_b128 v[6:9], v42, off
	v_mov_b32_e32 v2, v1
	v_mov_b32_e32 v3, v1
	;; [unrolled: 1-line block ×3, first 2 shown]
	scratch_store_b128 off, v[1:4], off offset:96
	s_waitcnt vmcnt(0)
	ds_store_b128 v5, v[6:9]
.LBB74_67:
	s_or_b32 exec_lo, exec_lo, s2
	s_waitcnt lgkmcnt(0)
	s_waitcnt_vscnt null, 0x0
	s_barrier
	buffer_gl0_inv
	s_clause 0x4
	scratch_load_b128 v[6:9], off, off offset:112
	scratch_load_b128 v[46:49], off, off offset:128
	;; [unrolled: 1-line block ×5, first 2 shown]
	ds_load_b128 v[62:65], v1 offset:288
	ds_load_b128 v[66:69], v1 offset:304
	s_mov_b32 s2, exec_lo
	s_waitcnt vmcnt(4) lgkmcnt(1)
	v_mul_f64 v[2:3], v[64:65], v[8:9]
	v_mul_f64 v[8:9], v[62:63], v[8:9]
	s_waitcnt vmcnt(3) lgkmcnt(0)
	v_mul_f64 v[10:11], v[66:67], v[48:49]
	v_mul_f64 v[48:49], v[68:69], v[48:49]
	s_delay_alu instid0(VALU_DEP_4) | instskip(NEXT) | instid1(VALU_DEP_4)
	v_fma_f64 v[62:63], v[62:63], v[6:7], -v[2:3]
	v_fma_f64 v[64:65], v[64:65], v[6:7], v[8:9]
	ds_load_b128 v[6:9], v1 offset:320
	ds_load_b128 v[1:4], v1 offset:336
	v_fma_f64 v[10:11], v[68:69], v[46:47], v[10:11]
	v_fma_f64 v[46:47], v[66:67], v[46:47], -v[48:49]
	s_waitcnt vmcnt(2) lgkmcnt(1)
	v_mul_f64 v[70:71], v[6:7], v[52:53]
	v_mul_f64 v[52:53], v[8:9], v[52:53]
	v_add_f64 v[48:49], v[62:63], 0
	v_add_f64 v[62:63], v[64:65], 0
	s_waitcnt vmcnt(1) lgkmcnt(0)
	v_mul_f64 v[64:65], v[1:2], v[56:57]
	v_mul_f64 v[56:57], v[3:4], v[56:57]
	v_fma_f64 v[8:9], v[8:9], v[50:51], v[70:71]
	v_fma_f64 v[6:7], v[6:7], v[50:51], -v[52:53]
	v_add_f64 v[46:47], v[48:49], v[46:47]
	v_add_f64 v[10:11], v[62:63], v[10:11]
	v_fma_f64 v[3:4], v[3:4], v[54:55], v[64:65]
	v_fma_f64 v[1:2], v[1:2], v[54:55], -v[56:57]
	s_delay_alu instid0(VALU_DEP_4) | instskip(NEXT) | instid1(VALU_DEP_4)
	v_add_f64 v[6:7], v[46:47], v[6:7]
	v_add_f64 v[8:9], v[10:11], v[8:9]
	s_delay_alu instid0(VALU_DEP_2) | instskip(NEXT) | instid1(VALU_DEP_2)
	v_add_f64 v[1:2], v[6:7], v[1:2]
	v_add_f64 v[3:4], v[8:9], v[3:4]
	s_waitcnt vmcnt(0)
	s_delay_alu instid0(VALU_DEP_2) | instskip(NEXT) | instid1(VALU_DEP_2)
	v_add_f64 v[1:2], v[58:59], -v[1:2]
	v_add_f64 v[3:4], v[60:61], -v[3:4]
	scratch_store_b128 off, v[1:4], off offset:96
	v_cmpx_lt_u32_e32 5, v35
	s_cbranch_execz .LBB74_69
; %bb.68:
	scratch_load_b128 v[1:4], v38, off
	v_mov_b32_e32 v6, 0
	s_delay_alu instid0(VALU_DEP_1)
	v_mov_b32_e32 v7, v6
	v_mov_b32_e32 v8, v6
	;; [unrolled: 1-line block ×3, first 2 shown]
	scratch_store_b128 off, v[6:9], off offset:80
	s_waitcnt vmcnt(0)
	ds_store_b128 v5, v[1:4]
.LBB74_69:
	s_or_b32 exec_lo, exec_lo, s2
	s_waitcnt lgkmcnt(0)
	s_waitcnt_vscnt null, 0x0
	s_barrier
	buffer_gl0_inv
	s_clause 0x5
	scratch_load_b128 v[6:9], off, off offset:96
	scratch_load_b128 v[46:49], off, off offset:112
	;; [unrolled: 1-line block ×6, first 2 shown]
	v_mov_b32_e32 v1, 0
	ds_load_b128 v[66:69], v1 offset:272
	ds_load_b128 v[70:73], v1 offset:288
	s_mov_b32 s2, exec_lo
	s_waitcnt vmcnt(5) lgkmcnt(1)
	v_mul_f64 v[2:3], v[68:69], v[8:9]
	v_mul_f64 v[8:9], v[66:67], v[8:9]
	s_waitcnt vmcnt(4) lgkmcnt(0)
	v_mul_f64 v[10:11], v[70:71], v[48:49]
	v_mul_f64 v[48:49], v[72:73], v[48:49]
	s_delay_alu instid0(VALU_DEP_4) | instskip(NEXT) | instid1(VALU_DEP_4)
	v_fma_f64 v[2:3], v[66:67], v[6:7], -v[2:3]
	v_fma_f64 v[74:75], v[68:69], v[6:7], v[8:9]
	ds_load_b128 v[6:9], v1 offset:304
	ds_load_b128 v[66:69], v1 offset:320
	v_fma_f64 v[10:11], v[72:73], v[46:47], v[10:11]
	v_fma_f64 v[46:47], v[70:71], v[46:47], -v[48:49]
	s_waitcnt vmcnt(3) lgkmcnt(1)
	v_mul_f64 v[76:77], v[6:7], v[52:53]
	v_mul_f64 v[52:53], v[8:9], v[52:53]
	s_waitcnt vmcnt(2) lgkmcnt(0)
	v_mul_f64 v[70:71], v[66:67], v[56:57]
	v_mul_f64 v[56:57], v[68:69], v[56:57]
	v_add_f64 v[2:3], v[2:3], 0
	v_add_f64 v[48:49], v[74:75], 0
	v_fma_f64 v[72:73], v[8:9], v[50:51], v[76:77]
	v_fma_f64 v[50:51], v[6:7], v[50:51], -v[52:53]
	ds_load_b128 v[6:9], v1 offset:336
	v_fma_f64 v[52:53], v[68:69], v[54:55], v[70:71]
	v_fma_f64 v[54:55], v[66:67], v[54:55], -v[56:57]
	v_add_f64 v[2:3], v[2:3], v[46:47]
	v_add_f64 v[10:11], v[48:49], v[10:11]
	s_waitcnt vmcnt(1) lgkmcnt(0)
	v_mul_f64 v[46:47], v[6:7], v[60:61]
	v_mul_f64 v[48:49], v[8:9], v[60:61]
	s_delay_alu instid0(VALU_DEP_4) | instskip(NEXT) | instid1(VALU_DEP_4)
	v_add_f64 v[2:3], v[2:3], v[50:51]
	v_add_f64 v[10:11], v[10:11], v[72:73]
	s_delay_alu instid0(VALU_DEP_4) | instskip(NEXT) | instid1(VALU_DEP_4)
	v_fma_f64 v[8:9], v[8:9], v[58:59], v[46:47]
	v_fma_f64 v[6:7], v[6:7], v[58:59], -v[48:49]
	s_delay_alu instid0(VALU_DEP_4) | instskip(NEXT) | instid1(VALU_DEP_4)
	v_add_f64 v[2:3], v[2:3], v[54:55]
	v_add_f64 v[10:11], v[10:11], v[52:53]
	s_delay_alu instid0(VALU_DEP_2) | instskip(NEXT) | instid1(VALU_DEP_2)
	v_add_f64 v[2:3], v[2:3], v[6:7]
	v_add_f64 v[8:9], v[10:11], v[8:9]
	s_waitcnt vmcnt(0)
	s_delay_alu instid0(VALU_DEP_2) | instskip(NEXT) | instid1(VALU_DEP_2)
	v_add_f64 v[6:7], v[62:63], -v[2:3]
	v_add_f64 v[8:9], v[64:65], -v[8:9]
	scratch_store_b128 off, v[6:9], off offset:80
	v_cmpx_lt_u32_e32 4, v35
	s_cbranch_execz .LBB74_71
; %bb.70:
	scratch_load_b128 v[6:9], v40, off
	v_mov_b32_e32 v2, v1
	v_mov_b32_e32 v3, v1
	;; [unrolled: 1-line block ×3, first 2 shown]
	scratch_store_b128 off, v[1:4], off offset:64
	s_waitcnt vmcnt(0)
	ds_store_b128 v5, v[6:9]
.LBB74_71:
	s_or_b32 exec_lo, exec_lo, s2
	s_waitcnt lgkmcnt(0)
	s_waitcnt_vscnt null, 0x0
	s_barrier
	buffer_gl0_inv
	s_clause 0x5
	scratch_load_b128 v[6:9], off, off offset:80
	scratch_load_b128 v[46:49], off, off offset:96
	;; [unrolled: 1-line block ×6, first 2 shown]
	ds_load_b128 v[66:69], v1 offset:256
	ds_load_b128 v[74:77], v1 offset:272
	scratch_load_b128 v[70:73], off, off offset:64
	s_mov_b32 s2, exec_lo
	s_waitcnt vmcnt(6) lgkmcnt(1)
	v_mul_f64 v[2:3], v[68:69], v[8:9]
	v_mul_f64 v[8:9], v[66:67], v[8:9]
	s_waitcnt vmcnt(5) lgkmcnt(0)
	v_mul_f64 v[10:11], v[74:75], v[48:49]
	v_mul_f64 v[48:49], v[76:77], v[48:49]
	s_delay_alu instid0(VALU_DEP_4) | instskip(NEXT) | instid1(VALU_DEP_4)
	v_fma_f64 v[2:3], v[66:67], v[6:7], -v[2:3]
	v_fma_f64 v[78:79], v[68:69], v[6:7], v[8:9]
	ds_load_b128 v[6:9], v1 offset:288
	ds_load_b128 v[66:69], v1 offset:304
	v_fma_f64 v[10:11], v[76:77], v[46:47], v[10:11]
	v_fma_f64 v[46:47], v[74:75], v[46:47], -v[48:49]
	s_waitcnt vmcnt(4) lgkmcnt(1)
	v_mul_f64 v[80:81], v[6:7], v[52:53]
	v_mul_f64 v[52:53], v[8:9], v[52:53]
	s_waitcnt vmcnt(3) lgkmcnt(0)
	v_mul_f64 v[74:75], v[66:67], v[56:57]
	v_mul_f64 v[56:57], v[68:69], v[56:57]
	v_add_f64 v[2:3], v[2:3], 0
	v_add_f64 v[48:49], v[78:79], 0
	v_fma_f64 v[76:77], v[8:9], v[50:51], v[80:81]
	v_fma_f64 v[50:51], v[6:7], v[50:51], -v[52:53]
	s_delay_alu instid0(VALU_DEP_4) | instskip(NEXT) | instid1(VALU_DEP_4)
	v_add_f64 v[46:47], v[2:3], v[46:47]
	v_add_f64 v[10:11], v[48:49], v[10:11]
	ds_load_b128 v[6:9], v1 offset:320
	ds_load_b128 v[1:4], v1 offset:336
	s_waitcnt vmcnt(2) lgkmcnt(1)
	v_mul_f64 v[48:49], v[6:7], v[60:61]
	v_mul_f64 v[52:53], v[8:9], v[60:61]
	v_fma_f64 v[60:61], v[68:69], v[54:55], v[74:75]
	v_fma_f64 v[54:55], v[66:67], v[54:55], -v[56:57]
	s_waitcnt vmcnt(1) lgkmcnt(0)
	v_mul_f64 v[56:57], v[3:4], v[64:65]
	v_add_f64 v[46:47], v[46:47], v[50:51]
	v_add_f64 v[10:11], v[10:11], v[76:77]
	v_mul_f64 v[50:51], v[1:2], v[64:65]
	v_fma_f64 v[8:9], v[8:9], v[58:59], v[48:49]
	v_fma_f64 v[6:7], v[6:7], v[58:59], -v[52:53]
	v_fma_f64 v[1:2], v[1:2], v[62:63], -v[56:57]
	v_add_f64 v[46:47], v[46:47], v[54:55]
	v_add_f64 v[10:11], v[10:11], v[60:61]
	v_fma_f64 v[3:4], v[3:4], v[62:63], v[50:51]
	s_delay_alu instid0(VALU_DEP_3) | instskip(NEXT) | instid1(VALU_DEP_3)
	v_add_f64 v[6:7], v[46:47], v[6:7]
	v_add_f64 v[8:9], v[10:11], v[8:9]
	s_delay_alu instid0(VALU_DEP_2) | instskip(NEXT) | instid1(VALU_DEP_2)
	v_add_f64 v[1:2], v[6:7], v[1:2]
	v_add_f64 v[3:4], v[8:9], v[3:4]
	s_waitcnt vmcnt(0)
	s_delay_alu instid0(VALU_DEP_2) | instskip(NEXT) | instid1(VALU_DEP_2)
	v_add_f64 v[1:2], v[70:71], -v[1:2]
	v_add_f64 v[3:4], v[72:73], -v[3:4]
	scratch_store_b128 off, v[1:4], off offset:64
	v_cmpx_lt_u32_e32 3, v35
	s_cbranch_execz .LBB74_73
; %bb.72:
	scratch_load_b128 v[1:4], v36, off
	v_mov_b32_e32 v6, 0
	s_delay_alu instid0(VALU_DEP_1)
	v_mov_b32_e32 v7, v6
	v_mov_b32_e32 v8, v6
	;; [unrolled: 1-line block ×3, first 2 shown]
	scratch_store_b128 off, v[6:9], off offset:48
	s_waitcnt vmcnt(0)
	ds_store_b128 v5, v[1:4]
.LBB74_73:
	s_or_b32 exec_lo, exec_lo, s2
	s_waitcnt lgkmcnt(0)
	s_waitcnt_vscnt null, 0x0
	s_barrier
	buffer_gl0_inv
	s_clause 0x6
	scratch_load_b128 v[6:9], off, off offset:64
	scratch_load_b128 v[46:49], off, off offset:80
	;; [unrolled: 1-line block ×7, first 2 shown]
	v_mov_b32_e32 v1, 0
	scratch_load_b128 v[74:77], off, off offset:48
	s_mov_b32 s2, exec_lo
	ds_load_b128 v[70:73], v1 offset:240
	ds_load_b128 v[78:81], v1 offset:256
	s_waitcnt vmcnt(7) lgkmcnt(1)
	v_mul_f64 v[2:3], v[72:73], v[8:9]
	v_mul_f64 v[8:9], v[70:71], v[8:9]
	s_waitcnt vmcnt(6) lgkmcnt(0)
	v_mul_f64 v[10:11], v[78:79], v[48:49]
	v_mul_f64 v[48:49], v[80:81], v[48:49]
	s_delay_alu instid0(VALU_DEP_4) | instskip(NEXT) | instid1(VALU_DEP_4)
	v_fma_f64 v[2:3], v[70:71], v[6:7], -v[2:3]
	v_fma_f64 v[82:83], v[72:73], v[6:7], v[8:9]
	ds_load_b128 v[6:9], v1 offset:272
	ds_load_b128 v[70:73], v1 offset:288
	v_fma_f64 v[10:11], v[80:81], v[46:47], v[10:11]
	v_fma_f64 v[46:47], v[78:79], v[46:47], -v[48:49]
	s_waitcnt vmcnt(5) lgkmcnt(1)
	v_mul_f64 v[84:85], v[6:7], v[52:53]
	v_mul_f64 v[52:53], v[8:9], v[52:53]
	s_waitcnt vmcnt(4) lgkmcnt(0)
	v_mul_f64 v[78:79], v[70:71], v[56:57]
	v_mul_f64 v[56:57], v[72:73], v[56:57]
	v_add_f64 v[2:3], v[2:3], 0
	v_add_f64 v[48:49], v[82:83], 0
	v_fma_f64 v[80:81], v[8:9], v[50:51], v[84:85]
	v_fma_f64 v[50:51], v[6:7], v[50:51], -v[52:53]
	v_fma_f64 v[72:73], v[72:73], v[54:55], v[78:79]
	v_fma_f64 v[54:55], v[70:71], v[54:55], -v[56:57]
	v_add_f64 v[2:3], v[2:3], v[46:47]
	v_add_f64 v[10:11], v[48:49], v[10:11]
	ds_load_b128 v[6:9], v1 offset:304
	ds_load_b128 v[46:49], v1 offset:320
	s_waitcnt vmcnt(3) lgkmcnt(1)
	v_mul_f64 v[52:53], v[6:7], v[60:61]
	v_mul_f64 v[60:61], v[8:9], v[60:61]
	s_waitcnt vmcnt(2) lgkmcnt(0)
	v_mul_f64 v[56:57], v[48:49], v[64:65]
	v_add_f64 v[2:3], v[2:3], v[50:51]
	v_add_f64 v[10:11], v[10:11], v[80:81]
	v_mul_f64 v[50:51], v[46:47], v[64:65]
	v_fma_f64 v[52:53], v[8:9], v[58:59], v[52:53]
	v_fma_f64 v[58:59], v[6:7], v[58:59], -v[60:61]
	ds_load_b128 v[6:9], v1 offset:336
	v_fma_f64 v[46:47], v[46:47], v[62:63], -v[56:57]
	v_add_f64 v[2:3], v[2:3], v[54:55]
	v_add_f64 v[10:11], v[10:11], v[72:73]
	v_fma_f64 v[48:49], v[48:49], v[62:63], v[50:51]
	s_waitcnt vmcnt(1) lgkmcnt(0)
	v_mul_f64 v[54:55], v[6:7], v[68:69]
	v_mul_f64 v[60:61], v[8:9], v[68:69]
	v_add_f64 v[2:3], v[2:3], v[58:59]
	v_add_f64 v[10:11], v[10:11], v[52:53]
	s_delay_alu instid0(VALU_DEP_4) | instskip(NEXT) | instid1(VALU_DEP_4)
	v_fma_f64 v[8:9], v[8:9], v[66:67], v[54:55]
	v_fma_f64 v[6:7], v[6:7], v[66:67], -v[60:61]
	s_delay_alu instid0(VALU_DEP_4) | instskip(NEXT) | instid1(VALU_DEP_4)
	v_add_f64 v[2:3], v[2:3], v[46:47]
	v_add_f64 v[10:11], v[10:11], v[48:49]
	s_delay_alu instid0(VALU_DEP_2) | instskip(NEXT) | instid1(VALU_DEP_2)
	v_add_f64 v[2:3], v[2:3], v[6:7]
	v_add_f64 v[8:9], v[10:11], v[8:9]
	s_waitcnt vmcnt(0)
	s_delay_alu instid0(VALU_DEP_2) | instskip(NEXT) | instid1(VALU_DEP_2)
	v_add_f64 v[6:7], v[74:75], -v[2:3]
	v_add_f64 v[8:9], v[76:77], -v[8:9]
	scratch_store_b128 off, v[6:9], off offset:48
	v_cmpx_lt_u32_e32 2, v35
	s_cbranch_execz .LBB74_75
; %bb.74:
	scratch_load_b128 v[6:9], v39, off
	v_mov_b32_e32 v2, v1
	v_mov_b32_e32 v3, v1
	v_mov_b32_e32 v4, v1
	scratch_store_b128 off, v[1:4], off offset:32
	s_waitcnt vmcnt(0)
	ds_store_b128 v5, v[6:9]
.LBB74_75:
	s_or_b32 exec_lo, exec_lo, s2
	s_waitcnt lgkmcnt(0)
	s_waitcnt_vscnt null, 0x0
	s_barrier
	buffer_gl0_inv
	s_clause 0x7
	scratch_load_b128 v[6:9], off, off offset:48
	scratch_load_b128 v[46:49], off, off offset:64
	;; [unrolled: 1-line block ×8, first 2 shown]
	ds_load_b128 v[74:77], v1 offset:224
	ds_load_b128 v[78:81], v1 offset:240
	scratch_load_b128 v[82:85], off, off offset:32
	s_mov_b32 s2, exec_lo
	s_waitcnt vmcnt(8) lgkmcnt(1)
	v_mul_f64 v[2:3], v[76:77], v[8:9]
	v_mul_f64 v[8:9], v[74:75], v[8:9]
	s_waitcnt vmcnt(7) lgkmcnt(0)
	v_mul_f64 v[10:11], v[78:79], v[48:49]
	v_mul_f64 v[48:49], v[80:81], v[48:49]
	s_delay_alu instid0(VALU_DEP_4) | instskip(NEXT) | instid1(VALU_DEP_4)
	v_fma_f64 v[2:3], v[74:75], v[6:7], -v[2:3]
	v_fma_f64 v[86:87], v[76:77], v[6:7], v[8:9]
	ds_load_b128 v[6:9], v1 offset:256
	ds_load_b128 v[74:77], v1 offset:272
	v_fma_f64 v[10:11], v[80:81], v[46:47], v[10:11]
	v_fma_f64 v[46:47], v[78:79], v[46:47], -v[48:49]
	s_waitcnt vmcnt(6) lgkmcnt(1)
	v_mul_f64 v[88:89], v[6:7], v[52:53]
	v_mul_f64 v[52:53], v[8:9], v[52:53]
	s_waitcnt vmcnt(5) lgkmcnt(0)
	v_mul_f64 v[78:79], v[74:75], v[56:57]
	v_mul_f64 v[56:57], v[76:77], v[56:57]
	v_add_f64 v[2:3], v[2:3], 0
	v_add_f64 v[48:49], v[86:87], 0
	v_fma_f64 v[80:81], v[8:9], v[50:51], v[88:89]
	v_fma_f64 v[50:51], v[6:7], v[50:51], -v[52:53]
	v_fma_f64 v[76:77], v[76:77], v[54:55], v[78:79]
	v_fma_f64 v[54:55], v[74:75], v[54:55], -v[56:57]
	v_add_f64 v[2:3], v[2:3], v[46:47]
	v_add_f64 v[10:11], v[48:49], v[10:11]
	ds_load_b128 v[6:9], v1 offset:288
	ds_load_b128 v[46:49], v1 offset:304
	s_waitcnt vmcnt(4) lgkmcnt(1)
	v_mul_f64 v[52:53], v[6:7], v[60:61]
	v_mul_f64 v[60:61], v[8:9], v[60:61]
	s_waitcnt vmcnt(3) lgkmcnt(0)
	v_mul_f64 v[56:57], v[48:49], v[64:65]
	v_add_f64 v[2:3], v[2:3], v[50:51]
	v_add_f64 v[10:11], v[10:11], v[80:81]
	v_mul_f64 v[50:51], v[46:47], v[64:65]
	v_fma_f64 v[52:53], v[8:9], v[58:59], v[52:53]
	v_fma_f64 v[58:59], v[6:7], v[58:59], -v[60:61]
	v_fma_f64 v[46:47], v[46:47], v[62:63], -v[56:57]
	v_add_f64 v[54:55], v[2:3], v[54:55]
	v_add_f64 v[10:11], v[10:11], v[76:77]
	ds_load_b128 v[6:9], v1 offset:320
	ds_load_b128 v[1:4], v1 offset:336
	v_fma_f64 v[48:49], v[48:49], v[62:63], v[50:51]
	s_waitcnt vmcnt(2) lgkmcnt(1)
	v_mul_f64 v[60:61], v[6:7], v[68:69]
	v_mul_f64 v[64:65], v[8:9], v[68:69]
	v_add_f64 v[50:51], v[54:55], v[58:59]
	v_add_f64 v[10:11], v[10:11], v[52:53]
	s_waitcnt vmcnt(1) lgkmcnt(0)
	v_mul_f64 v[52:53], v[1:2], v[72:73]
	v_mul_f64 v[54:55], v[3:4], v[72:73]
	v_fma_f64 v[8:9], v[8:9], v[66:67], v[60:61]
	v_fma_f64 v[6:7], v[6:7], v[66:67], -v[64:65]
	v_add_f64 v[46:47], v[50:51], v[46:47]
	v_add_f64 v[10:11], v[10:11], v[48:49]
	v_fma_f64 v[3:4], v[3:4], v[70:71], v[52:53]
	v_fma_f64 v[1:2], v[1:2], v[70:71], -v[54:55]
	s_delay_alu instid0(VALU_DEP_4) | instskip(NEXT) | instid1(VALU_DEP_4)
	v_add_f64 v[6:7], v[46:47], v[6:7]
	v_add_f64 v[8:9], v[10:11], v[8:9]
	s_delay_alu instid0(VALU_DEP_2) | instskip(NEXT) | instid1(VALU_DEP_2)
	v_add_f64 v[1:2], v[6:7], v[1:2]
	v_add_f64 v[3:4], v[8:9], v[3:4]
	s_waitcnt vmcnt(0)
	s_delay_alu instid0(VALU_DEP_2) | instskip(NEXT) | instid1(VALU_DEP_2)
	v_add_f64 v[1:2], v[82:83], -v[1:2]
	v_add_f64 v[3:4], v[84:85], -v[3:4]
	scratch_store_b128 off, v[1:4], off offset:32
	v_cmpx_lt_u32_e32 1, v35
	s_cbranch_execz .LBB74_77
; %bb.76:
	scratch_load_b128 v[1:4], v37, off
	v_mov_b32_e32 v6, 0
	s_delay_alu instid0(VALU_DEP_1)
	v_mov_b32_e32 v7, v6
	v_mov_b32_e32 v8, v6
	v_mov_b32_e32 v9, v6
	scratch_store_b128 off, v[6:9], off offset:16
	s_waitcnt vmcnt(0)
	ds_store_b128 v5, v[1:4]
.LBB74_77:
	s_or_b32 exec_lo, exec_lo, s2
	s_waitcnt lgkmcnt(0)
	s_waitcnt_vscnt null, 0x0
	s_barrier
	buffer_gl0_inv
	s_clause 0x7
	scratch_load_b128 v[6:9], off, off offset:32
	scratch_load_b128 v[46:49], off, off offset:48
	;; [unrolled: 1-line block ×8, first 2 shown]
	v_mov_b32_e32 v1, 0
	s_mov_b32 s2, exec_lo
	ds_load_b128 v[74:77], v1 offset:208
	s_clause 0x1
	scratch_load_b128 v[78:81], off, off offset:160
	scratch_load_b128 v[82:85], off, off offset:16
	ds_load_b128 v[86:89], v1 offset:224
	s_waitcnt vmcnt(9) lgkmcnt(1)
	v_mul_f64 v[2:3], v[76:77], v[8:9]
	v_mul_f64 v[8:9], v[74:75], v[8:9]
	s_waitcnt vmcnt(8) lgkmcnt(0)
	v_mul_f64 v[10:11], v[86:87], v[48:49]
	v_mul_f64 v[48:49], v[88:89], v[48:49]
	s_delay_alu instid0(VALU_DEP_4) | instskip(NEXT) | instid1(VALU_DEP_4)
	v_fma_f64 v[2:3], v[74:75], v[6:7], -v[2:3]
	v_fma_f64 v[90:91], v[76:77], v[6:7], v[8:9]
	ds_load_b128 v[6:9], v1 offset:240
	ds_load_b128 v[74:77], v1 offset:256
	v_fma_f64 v[10:11], v[88:89], v[46:47], v[10:11]
	v_fma_f64 v[46:47], v[86:87], v[46:47], -v[48:49]
	s_waitcnt vmcnt(7) lgkmcnt(1)
	v_mul_f64 v[92:93], v[6:7], v[52:53]
	v_mul_f64 v[52:53], v[8:9], v[52:53]
	s_waitcnt vmcnt(6) lgkmcnt(0)
	v_mul_f64 v[86:87], v[74:75], v[56:57]
	v_mul_f64 v[56:57], v[76:77], v[56:57]
	v_add_f64 v[2:3], v[2:3], 0
	v_add_f64 v[48:49], v[90:91], 0
	v_fma_f64 v[88:89], v[8:9], v[50:51], v[92:93]
	v_fma_f64 v[50:51], v[6:7], v[50:51], -v[52:53]
	v_fma_f64 v[76:77], v[76:77], v[54:55], v[86:87]
	v_fma_f64 v[54:55], v[74:75], v[54:55], -v[56:57]
	v_add_f64 v[2:3], v[2:3], v[46:47]
	v_add_f64 v[10:11], v[48:49], v[10:11]
	ds_load_b128 v[6:9], v1 offset:272
	ds_load_b128 v[46:49], v1 offset:288
	s_waitcnt vmcnt(5) lgkmcnt(1)
	v_mul_f64 v[52:53], v[6:7], v[60:61]
	v_mul_f64 v[60:61], v[8:9], v[60:61]
	s_waitcnt vmcnt(4) lgkmcnt(0)
	v_mul_f64 v[56:57], v[46:47], v[64:65]
	v_mul_f64 v[64:65], v[48:49], v[64:65]
	v_add_f64 v[2:3], v[2:3], v[50:51]
	v_add_f64 v[10:11], v[10:11], v[88:89]
	v_fma_f64 v[74:75], v[8:9], v[58:59], v[52:53]
	v_fma_f64 v[58:59], v[6:7], v[58:59], -v[60:61]
	ds_load_b128 v[6:9], v1 offset:304
	ds_load_b128 v[50:53], v1 offset:320
	v_fma_f64 v[48:49], v[48:49], v[62:63], v[56:57]
	v_fma_f64 v[46:47], v[46:47], v[62:63], -v[64:65]
	v_add_f64 v[2:3], v[2:3], v[54:55]
	v_add_f64 v[10:11], v[10:11], v[76:77]
	s_waitcnt vmcnt(3) lgkmcnt(1)
	v_mul_f64 v[54:55], v[6:7], v[68:69]
	v_mul_f64 v[60:61], v[8:9], v[68:69]
	s_waitcnt vmcnt(2) lgkmcnt(0)
	v_mul_f64 v[56:57], v[50:51], v[72:73]
	v_add_f64 v[2:3], v[2:3], v[58:59]
	v_add_f64 v[10:11], v[10:11], v[74:75]
	v_mul_f64 v[58:59], v[52:53], v[72:73]
	v_fma_f64 v[54:55], v[8:9], v[66:67], v[54:55]
	v_fma_f64 v[60:61], v[6:7], v[66:67], -v[60:61]
	ds_load_b128 v[6:9], v1 offset:336
	v_fma_f64 v[52:53], v[52:53], v[70:71], v[56:57]
	v_add_f64 v[2:3], v[2:3], v[46:47]
	v_add_f64 v[10:11], v[10:11], v[48:49]
	s_waitcnt vmcnt(1) lgkmcnt(0)
	v_mul_f64 v[46:47], v[6:7], v[80:81]
	v_mul_f64 v[48:49], v[8:9], v[80:81]
	v_fma_f64 v[50:51], v[50:51], v[70:71], -v[58:59]
	v_add_f64 v[2:3], v[2:3], v[60:61]
	v_add_f64 v[10:11], v[10:11], v[54:55]
	v_fma_f64 v[8:9], v[8:9], v[78:79], v[46:47]
	v_fma_f64 v[6:7], v[6:7], v[78:79], -v[48:49]
	s_delay_alu instid0(VALU_DEP_4) | instskip(NEXT) | instid1(VALU_DEP_4)
	v_add_f64 v[2:3], v[2:3], v[50:51]
	v_add_f64 v[10:11], v[10:11], v[52:53]
	s_delay_alu instid0(VALU_DEP_2) | instskip(NEXT) | instid1(VALU_DEP_2)
	v_add_f64 v[2:3], v[2:3], v[6:7]
	v_add_f64 v[8:9], v[10:11], v[8:9]
	s_waitcnt vmcnt(0)
	s_delay_alu instid0(VALU_DEP_2) | instskip(NEXT) | instid1(VALU_DEP_2)
	v_add_f64 v[6:7], v[82:83], -v[2:3]
	v_add_f64 v[8:9], v[84:85], -v[8:9]
	scratch_store_b128 off, v[6:9], off offset:16
	v_cmpx_ne_u32_e32 0, v35
	s_cbranch_execz .LBB74_79
; %bb.78:
	scratch_load_b128 v[6:9], off, off
	v_mov_b32_e32 v2, v1
	v_mov_b32_e32 v3, v1
	;; [unrolled: 1-line block ×3, first 2 shown]
	scratch_store_b128 off, v[1:4], off
	s_waitcnt vmcnt(0)
	ds_store_b128 v5, v[6:9]
.LBB74_79:
	s_or_b32 exec_lo, exec_lo, s2
	s_waitcnt lgkmcnt(0)
	s_waitcnt_vscnt null, 0x0
	s_barrier
	buffer_gl0_inv
	s_clause 0x8
	scratch_load_b128 v[2:5], off, off offset:16
	scratch_load_b128 v[6:9], off, off offset:32
	scratch_load_b128 v[46:49], off, off offset:48
	scratch_load_b128 v[50:53], off, off offset:64
	scratch_load_b128 v[54:57], off, off offset:80
	scratch_load_b128 v[58:61], off, off offset:96
	scratch_load_b128 v[62:65], off, off offset:112
	scratch_load_b128 v[66:69], off, off offset:128
	scratch_load_b128 v[70:73], off, off offset:144
	ds_load_b128 v[74:77], v1 offset:192
	ds_load_b128 v[78:81], v1 offset:208
	s_clause 0x1
	scratch_load_b128 v[82:85], off, off
	scratch_load_b128 v[86:89], off, off offset:160
	s_and_b32 vcc_lo, exec_lo, s14
	s_waitcnt vmcnt(10) lgkmcnt(1)
	v_mul_f64 v[10:11], v[76:77], v[4:5]
	v_mul_f64 v[4:5], v[74:75], v[4:5]
	s_waitcnt vmcnt(9) lgkmcnt(0)
	v_mul_f64 v[90:91], v[78:79], v[8:9]
	v_mul_f64 v[92:93], v[80:81], v[8:9]
	s_delay_alu instid0(VALU_DEP_4) | instskip(NEXT) | instid1(VALU_DEP_4)
	v_fma_f64 v[74:75], v[74:75], v[2:3], -v[10:11]
	v_fma_f64 v[76:77], v[76:77], v[2:3], v[4:5]
	ds_load_b128 v[2:5], v1 offset:224
	ds_load_b128 v[8:11], v1 offset:240
	v_fma_f64 v[80:81], v[80:81], v[6:7], v[90:91]
	v_fma_f64 v[6:7], v[78:79], v[6:7], -v[92:93]
	s_waitcnt vmcnt(8) lgkmcnt(1)
	v_mul_f64 v[94:95], v[2:3], v[48:49]
	v_mul_f64 v[48:49], v[4:5], v[48:49]
	s_waitcnt vmcnt(7) lgkmcnt(0)
	v_mul_f64 v[78:79], v[8:9], v[52:53]
	v_mul_f64 v[52:53], v[10:11], v[52:53]
	v_add_f64 v[74:75], v[74:75], 0
	v_add_f64 v[76:77], v[76:77], 0
	v_fma_f64 v[90:91], v[4:5], v[46:47], v[94:95]
	v_fma_f64 v[92:93], v[2:3], v[46:47], -v[48:49]
	ds_load_b128 v[2:5], v1 offset:256
	ds_load_b128 v[46:49], v1 offset:272
	v_fma_f64 v[10:11], v[10:11], v[50:51], v[78:79]
	v_fma_f64 v[8:9], v[8:9], v[50:51], -v[52:53]
	v_add_f64 v[6:7], v[74:75], v[6:7]
	v_add_f64 v[74:75], v[76:77], v[80:81]
	s_waitcnt vmcnt(6) lgkmcnt(1)
	v_mul_f64 v[76:77], v[2:3], v[56:57]
	v_mul_f64 v[56:57], v[4:5], v[56:57]
	s_waitcnt vmcnt(5) lgkmcnt(0)
	v_mul_f64 v[52:53], v[46:47], v[60:61]
	v_mul_f64 v[60:61], v[48:49], v[60:61]
	v_add_f64 v[6:7], v[6:7], v[92:93]
	v_add_f64 v[50:51], v[74:75], v[90:91]
	v_fma_f64 v[74:75], v[4:5], v[54:55], v[76:77]
	v_fma_f64 v[54:55], v[2:3], v[54:55], -v[56:57]
	v_fma_f64 v[48:49], v[48:49], v[58:59], v[52:53]
	v_fma_f64 v[46:47], v[46:47], v[58:59], -v[60:61]
	v_add_f64 v[56:57], v[6:7], v[8:9]
	v_add_f64 v[10:11], v[50:51], v[10:11]
	ds_load_b128 v[2:5], v1 offset:288
	ds_load_b128 v[6:9], v1 offset:304
	s_waitcnt vmcnt(4) lgkmcnt(1)
	v_mul_f64 v[50:51], v[2:3], v[64:65]
	v_mul_f64 v[64:65], v[4:5], v[64:65]
	v_add_f64 v[52:53], v[56:57], v[54:55]
	v_add_f64 v[10:11], v[10:11], v[74:75]
	s_waitcnt vmcnt(3) lgkmcnt(0)
	v_mul_f64 v[54:55], v[6:7], v[68:69]
	v_mul_f64 v[56:57], v[8:9], v[68:69]
	v_fma_f64 v[50:51], v[4:5], v[62:63], v[50:51]
	v_fma_f64 v[58:59], v[2:3], v[62:63], -v[64:65]
	v_add_f64 v[52:53], v[52:53], v[46:47]
	v_add_f64 v[10:11], v[10:11], v[48:49]
	ds_load_b128 v[2:5], v1 offset:320
	ds_load_b128 v[46:49], v1 offset:336
	v_fma_f64 v[8:9], v[8:9], v[66:67], v[54:55]
	v_fma_f64 v[6:7], v[6:7], v[66:67], -v[56:57]
	s_waitcnt vmcnt(2) lgkmcnt(1)
	v_mul_f64 v[60:61], v[2:3], v[72:73]
	v_mul_f64 v[62:63], v[4:5], v[72:73]
	s_waitcnt vmcnt(0) lgkmcnt(0)
	v_mul_f64 v[54:55], v[48:49], v[88:89]
	v_add_f64 v[52:53], v[52:53], v[58:59]
	v_add_f64 v[10:11], v[10:11], v[50:51]
	v_mul_f64 v[50:51], v[46:47], v[88:89]
	v_fma_f64 v[4:5], v[4:5], v[70:71], v[60:61]
	v_fma_f64 v[1:2], v[2:3], v[70:71], -v[62:63]
	v_fma_f64 v[46:47], v[46:47], v[86:87], -v[54:55]
	v_add_f64 v[6:7], v[52:53], v[6:7]
	v_add_f64 v[8:9], v[10:11], v[8:9]
	v_fma_f64 v[10:11], v[48:49], v[86:87], v[50:51]
	s_delay_alu instid0(VALU_DEP_3) | instskip(NEXT) | instid1(VALU_DEP_3)
	v_add_f64 v[1:2], v[6:7], v[1:2]
	v_add_f64 v[3:4], v[8:9], v[4:5]
	s_delay_alu instid0(VALU_DEP_2) | instskip(NEXT) | instid1(VALU_DEP_2)
	v_add_f64 v[1:2], v[1:2], v[46:47]
	v_add_f64 v[3:4], v[3:4], v[10:11]
	s_delay_alu instid0(VALU_DEP_2) | instskip(NEXT) | instid1(VALU_DEP_2)
	v_add_f64 v[1:2], v[82:83], -v[1:2]
	v_add_f64 v[3:4], v[84:85], -v[3:4]
	scratch_store_b128 off, v[1:4], off
	s_cbranch_vccz .LBB74_101
; %bb.80:
	v_dual_mov_b32 v1, s8 :: v_dual_mov_b32 v2, s9
	s_load_b64 s[0:1], s[0:1], 0x4
	flat_load_b32 v1, v[1:2] offset:36
	v_bfe_u32 v2, v0, 10, 10
	v_bfe_u32 v0, v0, 20, 10
	s_waitcnt lgkmcnt(0)
	s_lshr_b32 s0, s0, 16
	s_delay_alu instid0(VALU_DEP_2) | instskip(SKIP_1) | instid1(SALU_CYCLE_1)
	v_mul_u32_u24_e32 v2, s1, v2
	s_mul_i32 s0, s0, s1
	v_mul_u32_u24_e32 v3, s0, v35
	s_mov_b32 s0, exec_lo
	s_delay_alu instid0(VALU_DEP_1) | instskip(NEXT) | instid1(VALU_DEP_1)
	v_add3_u32 v0, v3, v2, v0
	v_lshl_add_u32 v0, v0, 4, 0x168
	s_waitcnt vmcnt(0)
	v_cmpx_ne_u32_e32 10, v1
	s_cbranch_execz .LBB74_82
; %bb.81:
	v_lshl_add_u32 v9, v1, 4, 0
	s_clause 0x1
	scratch_load_b128 v[1:4], v45, off
	scratch_load_b128 v[5:8], v9, off offset:-16
	s_waitcnt vmcnt(1)
	ds_store_2addr_b64 v0, v[1:2], v[3:4] offset1:1
	s_waitcnt vmcnt(0)
	s_clause 0x1
	scratch_store_b128 v45, v[5:8], off
	scratch_store_b128 v9, v[1:4], off offset:-16
.LBB74_82:
	s_or_b32 exec_lo, exec_lo, s0
	v_dual_mov_b32 v1, s8 :: v_dual_mov_b32 v2, s9
	s_mov_b32 s0, exec_lo
	flat_load_b32 v1, v[1:2] offset:32
	s_waitcnt vmcnt(0) lgkmcnt(0)
	v_cmpx_ne_u32_e32 9, v1
	s_cbranch_execz .LBB74_84
; %bb.83:
	v_lshl_add_u32 v9, v1, 4, 0
	s_clause 0x1
	scratch_load_b128 v[1:4], v44, off
	scratch_load_b128 v[5:8], v9, off offset:-16
	s_waitcnt vmcnt(1)
	ds_store_2addr_b64 v0, v[1:2], v[3:4] offset1:1
	s_waitcnt vmcnt(0)
	s_clause 0x1
	scratch_store_b128 v44, v[5:8], off
	scratch_store_b128 v9, v[1:4], off offset:-16
.LBB74_84:
	s_or_b32 exec_lo, exec_lo, s0
	v_dual_mov_b32 v1, s8 :: v_dual_mov_b32 v2, s9
	s_mov_b32 s0, exec_lo
	flat_load_b32 v1, v[1:2] offset:28
	s_waitcnt vmcnt(0) lgkmcnt(0)
	;; [unrolled: 19-line block ×8, first 2 shown]
	v_cmpx_ne_u32_e32 2, v1
	s_cbranch_execz .LBB74_98
; %bb.97:
	v_lshl_add_u32 v9, v1, 4, 0
	s_clause 0x1
	scratch_load_b128 v[1:4], v37, off
	scratch_load_b128 v[5:8], v9, off offset:-16
	s_waitcnt vmcnt(1)
	ds_store_2addr_b64 v0, v[1:2], v[3:4] offset1:1
	s_waitcnt vmcnt(0)
	s_clause 0x1
	scratch_store_b128 v37, v[5:8], off
	scratch_store_b128 v9, v[1:4], off offset:-16
.LBB74_98:
	s_or_b32 exec_lo, exec_lo, s0
	v_dual_mov_b32 v1, s8 :: v_dual_mov_b32 v2, s9
	s_mov_b32 s0, exec_lo
	flat_load_b32 v1, v[1:2]
	s_waitcnt vmcnt(0) lgkmcnt(0)
	v_cmpx_ne_u32_e32 1, v1
	s_cbranch_execz .LBB74_100
; %bb.99:
	v_lshl_add_u32 v9, v1, 4, 0
	scratch_load_b128 v[1:4], off, off
	scratch_load_b128 v[5:8], v9, off offset:-16
	s_waitcnt vmcnt(1)
	ds_store_2addr_b64 v0, v[1:2], v[3:4] offset1:1
	s_waitcnt vmcnt(0)
	scratch_store_b128 off, v[5:8], off
	scratch_store_b128 v9, v[1:4], off offset:-16
.LBB74_100:
	s_or_b32 exec_lo, exec_lo, s0
.LBB74_101:
	scratch_load_b128 v[0:3], off, off
	s_clause 0x9
	scratch_load_b128 v[4:7], v37, off
	scratch_load_b128 v[8:11], v39, off
	;; [unrolled: 1-line block ×10, first 2 shown]
	s_waitcnt vmcnt(10)
	global_store_b128 v[13:14], v[0:3], off
	s_waitcnt vmcnt(9)
	global_store_b128 v[15:16], v[4:7], off
	;; [unrolled: 2-line block ×11, first 2 shown]
	s_endpgm
	.section	.rodata,"a",@progbits
	.p2align	6, 0x0
	.amdhsa_kernel _ZN9rocsolver6v33100L18getri_kernel_smallILi11E19rocblas_complex_numIdEPKPS3_EEvT1_iilPiilS8_bb
		.amdhsa_group_segment_fixed_size 1384
		.amdhsa_private_segment_fixed_size 192
		.amdhsa_kernarg_size 60
		.amdhsa_user_sgpr_count 15
		.amdhsa_user_sgpr_dispatch_ptr 1
		.amdhsa_user_sgpr_queue_ptr 0
		.amdhsa_user_sgpr_kernarg_segment_ptr 1
		.amdhsa_user_sgpr_dispatch_id 0
		.amdhsa_user_sgpr_private_segment_size 0
		.amdhsa_wavefront_size32 1
		.amdhsa_uses_dynamic_stack 0
		.amdhsa_enable_private_segment 1
		.amdhsa_system_sgpr_workgroup_id_x 1
		.amdhsa_system_sgpr_workgroup_id_y 0
		.amdhsa_system_sgpr_workgroup_id_z 0
		.amdhsa_system_sgpr_workgroup_info 0
		.amdhsa_system_vgpr_workitem_id 2
		.amdhsa_next_free_vgpr 96
		.amdhsa_next_free_sgpr 19
		.amdhsa_reserve_vcc 1
		.amdhsa_float_round_mode_32 0
		.amdhsa_float_round_mode_16_64 0
		.amdhsa_float_denorm_mode_32 3
		.amdhsa_float_denorm_mode_16_64 3
		.amdhsa_dx10_clamp 1
		.amdhsa_ieee_mode 1
		.amdhsa_fp16_overflow 0
		.amdhsa_workgroup_processor_mode 1
		.amdhsa_memory_ordered 1
		.amdhsa_forward_progress 0
		.amdhsa_shared_vgpr_count 0
		.amdhsa_exception_fp_ieee_invalid_op 0
		.amdhsa_exception_fp_denorm_src 0
		.amdhsa_exception_fp_ieee_div_zero 0
		.amdhsa_exception_fp_ieee_overflow 0
		.amdhsa_exception_fp_ieee_underflow 0
		.amdhsa_exception_fp_ieee_inexact 0
		.amdhsa_exception_int_div_zero 0
	.end_amdhsa_kernel
	.section	.text._ZN9rocsolver6v33100L18getri_kernel_smallILi11E19rocblas_complex_numIdEPKPS3_EEvT1_iilPiilS8_bb,"axG",@progbits,_ZN9rocsolver6v33100L18getri_kernel_smallILi11E19rocblas_complex_numIdEPKPS3_EEvT1_iilPiilS8_bb,comdat
.Lfunc_end74:
	.size	_ZN9rocsolver6v33100L18getri_kernel_smallILi11E19rocblas_complex_numIdEPKPS3_EEvT1_iilPiilS8_bb, .Lfunc_end74-_ZN9rocsolver6v33100L18getri_kernel_smallILi11E19rocblas_complex_numIdEPKPS3_EEvT1_iilPiilS8_bb
                                        ; -- End function
	.section	.AMDGPU.csdata,"",@progbits
; Kernel info:
; codeLenInByte = 11060
; NumSgprs: 21
; NumVgprs: 96
; ScratchSize: 192
; MemoryBound: 0
; FloatMode: 240
; IeeeMode: 1
; LDSByteSize: 1384 bytes/workgroup (compile time only)
; SGPRBlocks: 2
; VGPRBlocks: 11
; NumSGPRsForWavesPerEU: 21
; NumVGPRsForWavesPerEU: 96
; Occupancy: 16
; WaveLimiterHint : 1
; COMPUTE_PGM_RSRC2:SCRATCH_EN: 1
; COMPUTE_PGM_RSRC2:USER_SGPR: 15
; COMPUTE_PGM_RSRC2:TRAP_HANDLER: 0
; COMPUTE_PGM_RSRC2:TGID_X_EN: 1
; COMPUTE_PGM_RSRC2:TGID_Y_EN: 0
; COMPUTE_PGM_RSRC2:TGID_Z_EN: 0
; COMPUTE_PGM_RSRC2:TIDIG_COMP_CNT: 2
	.section	.text._ZN9rocsolver6v33100L18getri_kernel_smallILi12E19rocblas_complex_numIdEPKPS3_EEvT1_iilPiilS8_bb,"axG",@progbits,_ZN9rocsolver6v33100L18getri_kernel_smallILi12E19rocblas_complex_numIdEPKPS3_EEvT1_iilPiilS8_bb,comdat
	.globl	_ZN9rocsolver6v33100L18getri_kernel_smallILi12E19rocblas_complex_numIdEPKPS3_EEvT1_iilPiilS8_bb ; -- Begin function _ZN9rocsolver6v33100L18getri_kernel_smallILi12E19rocblas_complex_numIdEPKPS3_EEvT1_iilPiilS8_bb
	.p2align	8
	.type	_ZN9rocsolver6v33100L18getri_kernel_smallILi12E19rocblas_complex_numIdEPKPS3_EEvT1_iilPiilS8_bb,@function
_ZN9rocsolver6v33100L18getri_kernel_smallILi12E19rocblas_complex_numIdEPKPS3_EEvT1_iilPiilS8_bb: ; @_ZN9rocsolver6v33100L18getri_kernel_smallILi12E19rocblas_complex_numIdEPKPS3_EEvT1_iilPiilS8_bb
; %bb.0:
	v_and_b32_e32 v37, 0x3ff, v0
	s_mov_b32 s4, exec_lo
	s_delay_alu instid0(VALU_DEP_1)
	v_cmpx_gt_u32_e32 12, v37
	s_cbranch_execz .LBB75_62
; %bb.1:
	s_mov_b32 s10, s15
	s_clause 0x2
	s_load_b32 s15, s[2:3], 0x38
	s_load_b64 s[8:9], s[2:3], 0x0
	s_load_b128 s[4:7], s[2:3], 0x28
	s_waitcnt lgkmcnt(0)
	s_bitcmp1_b32 s15, 8
	s_cselect_b32 s14, -1, 0
	s_ashr_i32 s11, s10, 31
	s_delay_alu instid0(SALU_CYCLE_1) | instskip(NEXT) | instid1(SALU_CYCLE_1)
	s_lshl_b64 s[12:13], s[10:11], 3
	s_add_u32 s8, s8, s12
	s_addc_u32 s9, s9, s13
	s_load_b64 s[12:13], s[8:9], 0x0
	s_bfe_u32 s8, s15, 0x10008
	s_delay_alu instid0(SALU_CYCLE_1)
	s_cmp_eq_u32 s8, 0
                                        ; implicit-def: $sgpr8_sgpr9
	s_cbranch_scc1 .LBB75_3
; %bb.2:
	s_clause 0x1
	s_load_b32 s8, s[2:3], 0x20
	s_load_b64 s[16:17], s[2:3], 0x18
	s_mul_i32 s5, s10, s5
	s_mul_hi_u32 s9, s10, s4
	s_mul_i32 s18, s11, s4
	s_add_i32 s5, s9, s5
	s_mul_i32 s4, s10, s4
	s_add_i32 s5, s5, s18
	s_delay_alu instid0(SALU_CYCLE_1)
	s_lshl_b64 s[4:5], s[4:5], 2
	s_waitcnt lgkmcnt(0)
	s_ashr_i32 s9, s8, 31
	s_add_u32 s16, s16, s4
	s_addc_u32 s17, s17, s5
	s_lshl_b64 s[4:5], s[8:9], 2
	s_delay_alu instid0(SALU_CYCLE_1)
	s_add_u32 s8, s16, s4
	s_addc_u32 s9, s17, s5
.LBB75_3:
	s_load_b64 s[2:3], s[2:3], 0x8
	v_lshlrev_b32_e32 v49, 4, v37
	v_add_nc_u32_e64 v41, 0, 32
	s_waitcnt lgkmcnt(0)
	v_add3_u32 v5, s3, s3, v37
	s_ashr_i32 s5, s2, 31
	s_mov_b32 s4, s2
	s_mov_b32 s16, s3
	s_lshl_b64 s[4:5], s[4:5], 4
	v_add_nc_u32_e32 v7, s3, v5
	v_ashrrev_i32_e32 v6, 31, v5
	s_add_u32 s4, s12, s4
	s_addc_u32 s5, s13, s5
	v_add_co_u32 v13, s2, s4, v49
	v_add_nc_u32_e32 v9, s3, v7
	v_ashrrev_i32_e32 v8, 31, v7
	s_ashr_i32 s17, s3, 31
	v_add_co_ci_u32_e64 v14, null, s5, 0, s2
	s_delay_alu instid0(VALU_DEP_3)
	v_add_nc_u32_e32 v23, s3, v9
	v_lshlrev_b64 v[5:6], 4, v[5:6]
	s_lshl_b64 s[12:13], s[16:17], 4
	v_ashrrev_i32_e32 v10, 31, v9
	v_add_co_u32 v15, vcc_lo, v13, s12
	v_add_nc_u32_e32 v25, s3, v23
	v_lshlrev_b64 v[19:20], 4, v[7:8]
	v_ashrrev_i32_e32 v24, 31, v23
	v_add_co_ci_u32_e32 v16, vcc_lo, s13, v14, vcc_lo
	s_delay_alu instid0(VALU_DEP_4) | instskip(SKIP_3) | instid1(VALU_DEP_4)
	v_add_nc_u32_e32 v27, s3, v25
	v_add_co_u32 v17, vcc_lo, s4, v5
	v_lshlrev_b64 v[21:22], 4, v[9:10]
	v_ashrrev_i32_e32 v26, 31, v25
	v_add_nc_u32_e32 v29, s3, v27
	v_add_co_ci_u32_e32 v18, vcc_lo, s5, v6, vcc_lo
	v_add_co_u32 v19, vcc_lo, s4, v19
	v_lshlrev_b64 v[23:24], 4, v[23:24]
	v_ashrrev_i32_e32 v28, 31, v27
	v_add_co_ci_u32_e32 v20, vcc_lo, s5, v20, vcc_lo
	v_add_nc_u32_e32 v31, s3, v29
	v_add_co_u32 v21, vcc_lo, s4, v21
	v_lshlrev_b64 v[25:26], 4, v[25:26]
	v_ashrrev_i32_e32 v30, 31, v29
	v_add_co_ci_u32_e32 v22, vcc_lo, s5, v22, vcc_lo
	v_add_co_u32 v23, vcc_lo, s4, v23
	v_lshlrev_b64 v[27:28], 4, v[27:28]
	v_ashrrev_i32_e32 v32, 31, v31
	v_add_co_ci_u32_e32 v24, vcc_lo, s5, v24, vcc_lo
	v_add_nc_u32_e32 v34, s3, v31
	v_add_co_u32 v25, vcc_lo, s4, v25
	v_lshlrev_b64 v[29:30], 4, v[29:30]
	v_add_co_ci_u32_e32 v26, vcc_lo, s5, v26, vcc_lo
	v_add_co_u32 v27, vcc_lo, s4, v27
	v_lshlrev_b64 v[32:33], 4, v[31:32]
	v_add_nc_u32_e32 v38, s3, v34
	v_add_co_ci_u32_e32 v28, vcc_lo, s5, v28, vcc_lo
	v_add_co_u32 v29, vcc_lo, s4, v29
	v_ashrrev_i32_e32 v35, 31, v34
	v_add_co_ci_u32_e32 v30, vcc_lo, s5, v30, vcc_lo
	v_add_co_u32 v31, vcc_lo, s4, v32
	v_ashrrev_i32_e32 v39, 31, v38
	v_add_co_ci_u32_e32 v32, vcc_lo, s5, v33, vcc_lo
	v_lshlrev_b64 v[33:34], 4, v[34:35]
	global_load_b128 v[1:4], v49, s[4:5]
	v_lshlrev_b64 v[35:36], 4, v[38:39]
	s_clause 0x5
	global_load_b128 v[5:8], v[15:16], off
	global_load_b128 v[9:12], v[17:18], off
	;; [unrolled: 1-line block ×6, first 2 shown]
	v_add_co_u32 v33, vcc_lo, s4, v33
	v_add_co_ci_u32_e32 v34, vcc_lo, s5, v34, vcc_lo
	v_add_co_u32 v35, vcc_lo, s4, v35
	v_add_co_ci_u32_e32 v36, vcc_lo, s5, v36, vcc_lo
	s_clause 0x4
	global_load_b128 v[62:65], v[27:28], off
	global_load_b128 v[66:69], v[29:30], off
	;; [unrolled: 1-line block ×5, first 2 shown]
	s_movk_i32 s2, 0x50
	s_movk_i32 s3, 0x70
	v_add_nc_u32_e64 v40, s2, 0
	s_movk_i32 s2, 0x60
	v_add_nc_u32_e64 v39, 0, 16
	v_add_nc_u32_e64 v38, 0, 48
	s_bitcmp0_b32 s15, 0
	s_waitcnt vmcnt(11)
	scratch_store_b128 off, v[1:4], off
	s_waitcnt vmcnt(10)
	scratch_store_b128 off, v[5:8], off offset:16
	s_waitcnt vmcnt(9)
	scratch_store_b128 off, v[9:12], off offset:32
	;; [unrolled: 2-line block ×3, first 2 shown]
	v_add_nc_u32_e64 v44, s2, 0
	v_add_nc_u32_e64 v43, s3, 0
	s_movk_i32 s2, 0x80
	s_movk_i32 s3, 0x90
	v_add_nc_u32_e64 v46, s2, 0
	v_add_nc_u32_e64 v45, s3, 0
	s_movk_i32 s2, 0xa0
	s_movk_i32 s3, 0xb0
	v_add_nc_u32_e64 v42, 0, 64
	v_add_nc_u32_e64 v48, s2, 0
	;; [unrolled: 1-line block ×3, first 2 shown]
	s_mov_b32 s3, -1
	s_waitcnt vmcnt(7)
	scratch_store_b128 off, v[50:53], off offset:64
	s_waitcnt vmcnt(6)
	scratch_store_b128 off, v[54:57], off offset:80
	;; [unrolled: 2-line block ×8, first 2 shown]
	s_cbranch_scc1 .LBB75_60
; %bb.4:
	v_cmp_eq_u32_e64 s2, 0, v37
	s_delay_alu instid0(VALU_DEP_1)
	s_and_saveexec_b32 s3, s2
	s_cbranch_execz .LBB75_6
; %bb.5:
	v_mov_b32_e32 v1, 0
	ds_store_b32 v1, v1 offset:384
.LBB75_6:
	s_or_b32 exec_lo, exec_lo, s3
	s_waitcnt lgkmcnt(0)
	s_waitcnt_vscnt null, 0x0
	s_barrier
	buffer_gl0_inv
	scratch_load_b128 v[1:4], v49, off
	s_waitcnt vmcnt(0)
	v_cmp_eq_f64_e32 vcc_lo, 0, v[1:2]
	v_cmp_eq_f64_e64 s3, 0, v[3:4]
	s_delay_alu instid0(VALU_DEP_1) | instskip(NEXT) | instid1(SALU_CYCLE_1)
	s_and_b32 s3, vcc_lo, s3
	s_and_saveexec_b32 s4, s3
	s_cbranch_execz .LBB75_10
; %bb.7:
	v_mov_b32_e32 v1, 0
	s_mov_b32 s5, 0
	ds_load_b32 v2, v1 offset:384
	s_waitcnt lgkmcnt(0)
	v_readfirstlane_b32 s3, v2
	v_add_nc_u32_e32 v2, 1, v37
	s_delay_alu instid0(VALU_DEP_2) | instskip(NEXT) | instid1(VALU_DEP_1)
	s_cmp_eq_u32 s3, 0
	v_cmp_gt_i32_e32 vcc_lo, s3, v2
	s_cselect_b32 s12, -1, 0
	s_delay_alu instid0(SALU_CYCLE_1) | instskip(NEXT) | instid1(SALU_CYCLE_1)
	s_or_b32 s12, s12, vcc_lo
	s_and_b32 exec_lo, exec_lo, s12
	s_cbranch_execz .LBB75_10
; %bb.8:
	v_mov_b32_e32 v3, s3
.LBB75_9:                               ; =>This Inner Loop Header: Depth=1
	ds_cmpstore_rtn_b32 v3, v1, v2, v3 offset:384
	s_waitcnt lgkmcnt(0)
	v_cmp_ne_u32_e32 vcc_lo, 0, v3
	v_cmp_le_i32_e64 s3, v3, v2
	s_delay_alu instid0(VALU_DEP_1) | instskip(NEXT) | instid1(SALU_CYCLE_1)
	s_and_b32 s3, vcc_lo, s3
	s_and_b32 s3, exec_lo, s3
	s_delay_alu instid0(SALU_CYCLE_1) | instskip(NEXT) | instid1(SALU_CYCLE_1)
	s_or_b32 s5, s3, s5
	s_and_not1_b32 exec_lo, exec_lo, s5
	s_cbranch_execnz .LBB75_9
.LBB75_10:
	s_or_b32 exec_lo, exec_lo, s4
	v_mov_b32_e32 v1, 0
	s_barrier
	buffer_gl0_inv
	ds_load_b32 v2, v1 offset:384
	s_and_saveexec_b32 s3, s2
	s_cbranch_execz .LBB75_12
; %bb.11:
	s_lshl_b64 s[4:5], s[10:11], 2
	s_delay_alu instid0(SALU_CYCLE_1)
	s_add_u32 s4, s6, s4
	s_addc_u32 s5, s7, s5
	s_waitcnt lgkmcnt(0)
	global_store_b32 v1, v2, s[4:5]
.LBB75_12:
	s_or_b32 exec_lo, exec_lo, s3
	s_waitcnt lgkmcnt(0)
	v_cmp_ne_u32_e32 vcc_lo, 0, v2
	s_mov_b32 s3, 0
	s_cbranch_vccnz .LBB75_60
; %bb.13:
	v_add_nc_u32_e32 v50, 0, v49
                                        ; implicit-def: $vgpr9_vgpr10
	scratch_load_b128 v[1:4], v50, off
	s_waitcnt vmcnt(0)
	v_mov_b32_e32 v5, v1
	v_cmp_gt_f64_e32 vcc_lo, 0, v[1:2]
	v_xor_b32_e32 v6, 0x80000000, v2
	v_xor_b32_e32 v7, 0x80000000, v4
	s_delay_alu instid0(VALU_DEP_2) | instskip(SKIP_1) | instid1(VALU_DEP_3)
	v_cndmask_b32_e32 v6, v2, v6, vcc_lo
	v_cmp_gt_f64_e32 vcc_lo, 0, v[3:4]
	v_dual_cndmask_b32 v8, v4, v7 :: v_dual_mov_b32 v7, v3
	s_delay_alu instid0(VALU_DEP_1) | instskip(SKIP_1) | instid1(SALU_CYCLE_1)
	v_cmp_ngt_f64_e32 vcc_lo, v[5:6], v[7:8]
                                        ; implicit-def: $vgpr5_vgpr6
	s_and_saveexec_b32 s3, vcc_lo
	s_xor_b32 s3, exec_lo, s3
	s_cbranch_execz .LBB75_15
; %bb.14:
	v_div_scale_f64 v[5:6], null, v[3:4], v[3:4], v[1:2]
	v_div_scale_f64 v[11:12], vcc_lo, v[1:2], v[3:4], v[1:2]
	s_delay_alu instid0(VALU_DEP_2) | instskip(SKIP_2) | instid1(VALU_DEP_1)
	v_rcp_f64_e32 v[7:8], v[5:6]
	s_waitcnt_depctr 0xfff
	v_fma_f64 v[9:10], -v[5:6], v[7:8], 1.0
	v_fma_f64 v[7:8], v[7:8], v[9:10], v[7:8]
	s_delay_alu instid0(VALU_DEP_1) | instskip(NEXT) | instid1(VALU_DEP_1)
	v_fma_f64 v[9:10], -v[5:6], v[7:8], 1.0
	v_fma_f64 v[7:8], v[7:8], v[9:10], v[7:8]
	s_delay_alu instid0(VALU_DEP_1) | instskip(NEXT) | instid1(VALU_DEP_1)
	v_mul_f64 v[9:10], v[11:12], v[7:8]
	v_fma_f64 v[5:6], -v[5:6], v[9:10], v[11:12]
	s_delay_alu instid0(VALU_DEP_1) | instskip(NEXT) | instid1(VALU_DEP_1)
	v_div_fmas_f64 v[5:6], v[5:6], v[7:8], v[9:10]
	v_div_fixup_f64 v[5:6], v[5:6], v[3:4], v[1:2]
	s_delay_alu instid0(VALU_DEP_1) | instskip(NEXT) | instid1(VALU_DEP_1)
	v_fma_f64 v[1:2], v[1:2], v[5:6], v[3:4]
	v_div_scale_f64 v[3:4], null, v[1:2], v[1:2], 1.0
	v_div_scale_f64 v[11:12], vcc_lo, 1.0, v[1:2], 1.0
	s_delay_alu instid0(VALU_DEP_2) | instskip(SKIP_2) | instid1(VALU_DEP_1)
	v_rcp_f64_e32 v[7:8], v[3:4]
	s_waitcnt_depctr 0xfff
	v_fma_f64 v[9:10], -v[3:4], v[7:8], 1.0
	v_fma_f64 v[7:8], v[7:8], v[9:10], v[7:8]
	s_delay_alu instid0(VALU_DEP_1) | instskip(NEXT) | instid1(VALU_DEP_1)
	v_fma_f64 v[9:10], -v[3:4], v[7:8], 1.0
	v_fma_f64 v[7:8], v[7:8], v[9:10], v[7:8]
	s_delay_alu instid0(VALU_DEP_1) | instskip(NEXT) | instid1(VALU_DEP_1)
	v_mul_f64 v[9:10], v[11:12], v[7:8]
	v_fma_f64 v[3:4], -v[3:4], v[9:10], v[11:12]
	s_delay_alu instid0(VALU_DEP_1) | instskip(NEXT) | instid1(VALU_DEP_1)
	v_div_fmas_f64 v[3:4], v[3:4], v[7:8], v[9:10]
	v_div_fixup_f64 v[7:8], v[3:4], v[1:2], 1.0
                                        ; implicit-def: $vgpr1_vgpr2
	s_delay_alu instid0(VALU_DEP_1) | instskip(SKIP_1) | instid1(VALU_DEP_2)
	v_mul_f64 v[5:6], v[5:6], v[7:8]
	v_xor_b32_e32 v8, 0x80000000, v8
	v_xor_b32_e32 v10, 0x80000000, v6
	s_delay_alu instid0(VALU_DEP_3)
	v_mov_b32_e32 v9, v5
.LBB75_15:
	s_and_not1_saveexec_b32 s3, s3
	s_cbranch_execz .LBB75_17
; %bb.16:
	v_div_scale_f64 v[5:6], null, v[1:2], v[1:2], v[3:4]
	v_div_scale_f64 v[11:12], vcc_lo, v[3:4], v[1:2], v[3:4]
	s_delay_alu instid0(VALU_DEP_2) | instskip(SKIP_2) | instid1(VALU_DEP_1)
	v_rcp_f64_e32 v[7:8], v[5:6]
	s_waitcnt_depctr 0xfff
	v_fma_f64 v[9:10], -v[5:6], v[7:8], 1.0
	v_fma_f64 v[7:8], v[7:8], v[9:10], v[7:8]
	s_delay_alu instid0(VALU_DEP_1) | instskip(NEXT) | instid1(VALU_DEP_1)
	v_fma_f64 v[9:10], -v[5:6], v[7:8], 1.0
	v_fma_f64 v[7:8], v[7:8], v[9:10], v[7:8]
	s_delay_alu instid0(VALU_DEP_1) | instskip(NEXT) | instid1(VALU_DEP_1)
	v_mul_f64 v[9:10], v[11:12], v[7:8]
	v_fma_f64 v[5:6], -v[5:6], v[9:10], v[11:12]
	s_delay_alu instid0(VALU_DEP_1) | instskip(NEXT) | instid1(VALU_DEP_1)
	v_div_fmas_f64 v[5:6], v[5:6], v[7:8], v[9:10]
	v_div_fixup_f64 v[7:8], v[5:6], v[1:2], v[3:4]
	s_delay_alu instid0(VALU_DEP_1) | instskip(NEXT) | instid1(VALU_DEP_1)
	v_fma_f64 v[1:2], v[3:4], v[7:8], v[1:2]
	v_div_scale_f64 v[3:4], null, v[1:2], v[1:2], 1.0
	s_delay_alu instid0(VALU_DEP_1) | instskip(SKIP_2) | instid1(VALU_DEP_1)
	v_rcp_f64_e32 v[5:6], v[3:4]
	s_waitcnt_depctr 0xfff
	v_fma_f64 v[9:10], -v[3:4], v[5:6], 1.0
	v_fma_f64 v[5:6], v[5:6], v[9:10], v[5:6]
	s_delay_alu instid0(VALU_DEP_1) | instskip(NEXT) | instid1(VALU_DEP_1)
	v_fma_f64 v[9:10], -v[3:4], v[5:6], 1.0
	v_fma_f64 v[5:6], v[5:6], v[9:10], v[5:6]
	v_div_scale_f64 v[9:10], vcc_lo, 1.0, v[1:2], 1.0
	s_delay_alu instid0(VALU_DEP_1) | instskip(NEXT) | instid1(VALU_DEP_1)
	v_mul_f64 v[11:12], v[9:10], v[5:6]
	v_fma_f64 v[3:4], -v[3:4], v[11:12], v[9:10]
	s_delay_alu instid0(VALU_DEP_1) | instskip(NEXT) | instid1(VALU_DEP_1)
	v_div_fmas_f64 v[3:4], v[3:4], v[5:6], v[11:12]
	v_div_fixup_f64 v[5:6], v[3:4], v[1:2], 1.0
	s_delay_alu instid0(VALU_DEP_1)
	v_mul_f64 v[7:8], v[7:8], -v[5:6]
	v_xor_b32_e32 v10, 0x80000000, v6
	v_mov_b32_e32 v9, v5
.LBB75_17:
	s_or_b32 exec_lo, exec_lo, s3
	scratch_store_b128 v50, v[5:8], off
	scratch_load_b128 v[1:4], v39, off
	v_xor_b32_e32 v12, 0x80000000, v8
	v_mov_b32_e32 v11, v7
	v_add_nc_u32_e32 v5, 0xc0, v49
	ds_store_b128 v49, v[9:12]
	s_waitcnt vmcnt(0)
	ds_store_b128 v49, v[1:4] offset:192
	s_waitcnt lgkmcnt(0)
	s_waitcnt_vscnt null, 0x0
	s_barrier
	buffer_gl0_inv
	s_and_saveexec_b32 s3, s2
	s_cbranch_execz .LBB75_19
; %bb.18:
	scratch_load_b128 v[1:4], v50, off
	ds_load_b128 v[6:9], v5
	v_mov_b32_e32 v10, 0
	ds_load_b128 v[51:54], v10 offset:16
	s_waitcnt vmcnt(0) lgkmcnt(1)
	v_mul_f64 v[10:11], v[6:7], v[3:4]
	v_mul_f64 v[3:4], v[8:9], v[3:4]
	s_delay_alu instid0(VALU_DEP_2) | instskip(NEXT) | instid1(VALU_DEP_2)
	v_fma_f64 v[8:9], v[8:9], v[1:2], v[10:11]
	v_fma_f64 v[1:2], v[6:7], v[1:2], -v[3:4]
	s_delay_alu instid0(VALU_DEP_2) | instskip(NEXT) | instid1(VALU_DEP_2)
	v_add_f64 v[3:4], v[8:9], 0
	v_add_f64 v[1:2], v[1:2], 0
	s_waitcnt lgkmcnt(0)
	s_delay_alu instid0(VALU_DEP_2) | instskip(NEXT) | instid1(VALU_DEP_2)
	v_mul_f64 v[6:7], v[3:4], v[53:54]
	v_mul_f64 v[8:9], v[1:2], v[53:54]
	s_delay_alu instid0(VALU_DEP_2) | instskip(NEXT) | instid1(VALU_DEP_2)
	v_fma_f64 v[1:2], v[1:2], v[51:52], -v[6:7]
	v_fma_f64 v[3:4], v[3:4], v[51:52], v[8:9]
	scratch_store_b128 off, v[1:4], off offset:16
.LBB75_19:
	s_or_b32 exec_lo, exec_lo, s3
	s_waitcnt_vscnt null, 0x0
	s_barrier
	buffer_gl0_inv
	scratch_load_b128 v[1:4], v41, off
	s_mov_b32 s3, exec_lo
	s_waitcnt vmcnt(0)
	ds_store_b128 v5, v[1:4]
	s_waitcnt lgkmcnt(0)
	s_barrier
	buffer_gl0_inv
	v_cmpx_gt_u32_e32 2, v37
	s_cbranch_execz .LBB75_23
; %bb.20:
	scratch_load_b128 v[1:4], v50, off
	ds_load_b128 v[6:9], v5
	s_waitcnt vmcnt(0) lgkmcnt(0)
	v_mul_f64 v[10:11], v[8:9], v[3:4]
	v_mul_f64 v[3:4], v[6:7], v[3:4]
	s_delay_alu instid0(VALU_DEP_2) | instskip(NEXT) | instid1(VALU_DEP_2)
	v_fma_f64 v[6:7], v[6:7], v[1:2], -v[10:11]
	v_fma_f64 v[3:4], v[8:9], v[1:2], v[3:4]
	s_delay_alu instid0(VALU_DEP_2) | instskip(NEXT) | instid1(VALU_DEP_2)
	v_add_f64 v[1:2], v[6:7], 0
	v_add_f64 v[3:4], v[3:4], 0
	s_and_saveexec_b32 s4, s2
	s_cbranch_execz .LBB75_22
; %bb.21:
	scratch_load_b128 v[6:9], off, off offset:16
	v_mov_b32_e32 v10, 0
	ds_load_b128 v[51:54], v10 offset:208
	s_waitcnt vmcnt(0) lgkmcnt(0)
	v_mul_f64 v[10:11], v[51:52], v[8:9]
	v_mul_f64 v[8:9], v[53:54], v[8:9]
	s_delay_alu instid0(VALU_DEP_2) | instskip(NEXT) | instid1(VALU_DEP_2)
	v_fma_f64 v[10:11], v[53:54], v[6:7], v[10:11]
	v_fma_f64 v[6:7], v[51:52], v[6:7], -v[8:9]
	s_delay_alu instid0(VALU_DEP_2) | instskip(NEXT) | instid1(VALU_DEP_2)
	v_add_f64 v[3:4], v[3:4], v[10:11]
	v_add_f64 v[1:2], v[1:2], v[6:7]
.LBB75_22:
	s_or_b32 exec_lo, exec_lo, s4
	v_mov_b32_e32 v6, 0
	ds_load_b128 v[6:9], v6 offset:32
	s_waitcnt lgkmcnt(0)
	v_mul_f64 v[10:11], v[3:4], v[8:9]
	v_mul_f64 v[8:9], v[1:2], v[8:9]
	s_delay_alu instid0(VALU_DEP_2) | instskip(NEXT) | instid1(VALU_DEP_2)
	v_fma_f64 v[1:2], v[1:2], v[6:7], -v[10:11]
	v_fma_f64 v[3:4], v[3:4], v[6:7], v[8:9]
	scratch_store_b128 off, v[1:4], off offset:32
.LBB75_23:
	s_or_b32 exec_lo, exec_lo, s3
	s_waitcnt_vscnt null, 0x0
	s_barrier
	buffer_gl0_inv
	scratch_load_b128 v[1:4], v38, off
	v_add_nc_u32_e32 v6, -1, v37
	s_mov_b32 s2, exec_lo
	s_waitcnt vmcnt(0)
	ds_store_b128 v5, v[1:4]
	s_waitcnt lgkmcnt(0)
	s_barrier
	buffer_gl0_inv
	v_cmpx_gt_u32_e32 3, v37
	s_cbranch_execz .LBB75_27
; %bb.24:
	v_dual_mov_b32 v1, 0 :: v_dual_add_nc_u32 v8, 0xc0, v49
	v_dual_mov_b32 v2, 0 :: v_dual_add_nc_u32 v7, -1, v37
	v_or_b32_e32 v9, 8, v50
	s_mov_b32 s3, 0
	s_delay_alu instid0(VALU_DEP_2)
	v_dual_mov_b32 v4, v2 :: v_dual_mov_b32 v3, v1
	.p2align	6
.LBB75_25:                              ; =>This Inner Loop Header: Depth=1
	scratch_load_b128 v[51:54], v9, off offset:-8
	ds_load_b128 v[55:58], v8
	v_add_nc_u32_e32 v7, 1, v7
	v_add_nc_u32_e32 v8, 16, v8
	;; [unrolled: 1-line block ×3, first 2 shown]
	s_delay_alu instid0(VALU_DEP_3) | instskip(SKIP_4) | instid1(VALU_DEP_2)
	v_cmp_lt_u32_e32 vcc_lo, 1, v7
	s_or_b32 s3, vcc_lo, s3
	s_waitcnt vmcnt(0) lgkmcnt(0)
	v_mul_f64 v[10:11], v[57:58], v[53:54]
	v_mul_f64 v[53:54], v[55:56], v[53:54]
	v_fma_f64 v[10:11], v[55:56], v[51:52], -v[10:11]
	s_delay_alu instid0(VALU_DEP_2) | instskip(NEXT) | instid1(VALU_DEP_2)
	v_fma_f64 v[51:52], v[57:58], v[51:52], v[53:54]
	v_add_f64 v[3:4], v[3:4], v[10:11]
	s_delay_alu instid0(VALU_DEP_2)
	v_add_f64 v[1:2], v[1:2], v[51:52]
	s_and_not1_b32 exec_lo, exec_lo, s3
	s_cbranch_execnz .LBB75_25
; %bb.26:
	s_or_b32 exec_lo, exec_lo, s3
	v_mov_b32_e32 v7, 0
	ds_load_b128 v[7:10], v7 offset:48
	s_waitcnt lgkmcnt(0)
	v_mul_f64 v[11:12], v[1:2], v[9:10]
	v_mul_f64 v[51:52], v[3:4], v[9:10]
	s_delay_alu instid0(VALU_DEP_2) | instskip(NEXT) | instid1(VALU_DEP_2)
	v_fma_f64 v[9:10], v[3:4], v[7:8], -v[11:12]
	v_fma_f64 v[11:12], v[1:2], v[7:8], v[51:52]
	scratch_store_b128 off, v[9:12], off offset:48
.LBB75_27:
	s_or_b32 exec_lo, exec_lo, s2
	s_waitcnt_vscnt null, 0x0
	s_barrier
	buffer_gl0_inv
	scratch_load_b128 v[1:4], v42, off
	s_mov_b32 s2, exec_lo
	s_waitcnt vmcnt(0)
	ds_store_b128 v5, v[1:4]
	s_waitcnt lgkmcnt(0)
	s_barrier
	buffer_gl0_inv
	v_cmpx_gt_u32_e32 4, v37
	s_cbranch_execz .LBB75_31
; %bb.28:
	v_dual_mov_b32 v1, 0 :: v_dual_add_nc_u32 v8, 0xc0, v49
	v_dual_mov_b32 v2, 0 :: v_dual_add_nc_u32 v7, -1, v37
	v_or_b32_e32 v9, 8, v50
	s_mov_b32 s3, 0
	s_delay_alu instid0(VALU_DEP_2)
	v_dual_mov_b32 v4, v2 :: v_dual_mov_b32 v3, v1
	.p2align	6
.LBB75_29:                              ; =>This Inner Loop Header: Depth=1
	scratch_load_b128 v[51:54], v9, off offset:-8
	ds_load_b128 v[55:58], v8
	v_add_nc_u32_e32 v7, 1, v7
	v_add_nc_u32_e32 v8, 16, v8
	;; [unrolled: 1-line block ×3, first 2 shown]
	s_delay_alu instid0(VALU_DEP_3) | instskip(SKIP_4) | instid1(VALU_DEP_2)
	v_cmp_lt_u32_e32 vcc_lo, 2, v7
	s_or_b32 s3, vcc_lo, s3
	s_waitcnt vmcnt(0) lgkmcnt(0)
	v_mul_f64 v[10:11], v[57:58], v[53:54]
	v_mul_f64 v[53:54], v[55:56], v[53:54]
	v_fma_f64 v[10:11], v[55:56], v[51:52], -v[10:11]
	s_delay_alu instid0(VALU_DEP_2) | instskip(NEXT) | instid1(VALU_DEP_2)
	v_fma_f64 v[51:52], v[57:58], v[51:52], v[53:54]
	v_add_f64 v[3:4], v[3:4], v[10:11]
	s_delay_alu instid0(VALU_DEP_2)
	v_add_f64 v[1:2], v[1:2], v[51:52]
	s_and_not1_b32 exec_lo, exec_lo, s3
	s_cbranch_execnz .LBB75_29
; %bb.30:
	s_or_b32 exec_lo, exec_lo, s3
	v_mov_b32_e32 v7, 0
	ds_load_b128 v[7:10], v7 offset:64
	s_waitcnt lgkmcnt(0)
	v_mul_f64 v[11:12], v[1:2], v[9:10]
	v_mul_f64 v[51:52], v[3:4], v[9:10]
	s_delay_alu instid0(VALU_DEP_2) | instskip(NEXT) | instid1(VALU_DEP_2)
	v_fma_f64 v[9:10], v[3:4], v[7:8], -v[11:12]
	v_fma_f64 v[11:12], v[1:2], v[7:8], v[51:52]
	scratch_store_b128 off, v[9:12], off offset:64
.LBB75_31:
	s_or_b32 exec_lo, exec_lo, s2
	s_waitcnt_vscnt null, 0x0
	s_barrier
	buffer_gl0_inv
	scratch_load_b128 v[1:4], v40, off
	s_mov_b32 s2, exec_lo
	s_waitcnt vmcnt(0)
	ds_store_b128 v5, v[1:4]
	s_waitcnt lgkmcnt(0)
	s_barrier
	buffer_gl0_inv
	v_cmpx_gt_u32_e32 5, v37
	s_cbranch_execz .LBB75_35
; %bb.32:
	v_dual_mov_b32 v1, 0 :: v_dual_add_nc_u32 v8, 0xc0, v49
	v_dual_mov_b32 v2, 0 :: v_dual_add_nc_u32 v7, -1, v37
	v_or_b32_e32 v9, 8, v50
	s_mov_b32 s3, 0
	s_delay_alu instid0(VALU_DEP_2)
	v_dual_mov_b32 v4, v2 :: v_dual_mov_b32 v3, v1
	.p2align	6
.LBB75_33:                              ; =>This Inner Loop Header: Depth=1
	scratch_load_b128 v[51:54], v9, off offset:-8
	ds_load_b128 v[55:58], v8
	v_add_nc_u32_e32 v7, 1, v7
	v_add_nc_u32_e32 v8, 16, v8
	;; [unrolled: 1-line block ×3, first 2 shown]
	s_delay_alu instid0(VALU_DEP_3) | instskip(SKIP_4) | instid1(VALU_DEP_2)
	v_cmp_lt_u32_e32 vcc_lo, 3, v7
	s_or_b32 s3, vcc_lo, s3
	s_waitcnt vmcnt(0) lgkmcnt(0)
	v_mul_f64 v[10:11], v[57:58], v[53:54]
	v_mul_f64 v[53:54], v[55:56], v[53:54]
	v_fma_f64 v[10:11], v[55:56], v[51:52], -v[10:11]
	s_delay_alu instid0(VALU_DEP_2) | instskip(NEXT) | instid1(VALU_DEP_2)
	v_fma_f64 v[51:52], v[57:58], v[51:52], v[53:54]
	v_add_f64 v[3:4], v[3:4], v[10:11]
	s_delay_alu instid0(VALU_DEP_2)
	v_add_f64 v[1:2], v[1:2], v[51:52]
	s_and_not1_b32 exec_lo, exec_lo, s3
	s_cbranch_execnz .LBB75_33
; %bb.34:
	s_or_b32 exec_lo, exec_lo, s3
	v_mov_b32_e32 v7, 0
	ds_load_b128 v[7:10], v7 offset:80
	s_waitcnt lgkmcnt(0)
	v_mul_f64 v[11:12], v[1:2], v[9:10]
	v_mul_f64 v[51:52], v[3:4], v[9:10]
	s_delay_alu instid0(VALU_DEP_2) | instskip(NEXT) | instid1(VALU_DEP_2)
	v_fma_f64 v[9:10], v[3:4], v[7:8], -v[11:12]
	v_fma_f64 v[11:12], v[1:2], v[7:8], v[51:52]
	scratch_store_b128 off, v[9:12], off offset:80
.LBB75_35:
	s_or_b32 exec_lo, exec_lo, s2
	s_waitcnt_vscnt null, 0x0
	s_barrier
	buffer_gl0_inv
	scratch_load_b128 v[1:4], v44, off
	s_mov_b32 s2, exec_lo
	s_waitcnt vmcnt(0)
	ds_store_b128 v5, v[1:4]
	s_waitcnt lgkmcnt(0)
	s_barrier
	buffer_gl0_inv
	v_cmpx_gt_u32_e32 6, v37
	s_cbranch_execz .LBB75_39
; %bb.36:
	v_dual_mov_b32 v1, 0 :: v_dual_add_nc_u32 v8, 0xc0, v49
	v_dual_mov_b32 v2, 0 :: v_dual_add_nc_u32 v7, -1, v37
	v_or_b32_e32 v9, 8, v50
	s_mov_b32 s3, 0
	s_delay_alu instid0(VALU_DEP_2)
	v_dual_mov_b32 v4, v2 :: v_dual_mov_b32 v3, v1
	.p2align	6
.LBB75_37:                              ; =>This Inner Loop Header: Depth=1
	scratch_load_b128 v[51:54], v9, off offset:-8
	ds_load_b128 v[55:58], v8
	v_add_nc_u32_e32 v7, 1, v7
	v_add_nc_u32_e32 v8, 16, v8
	;; [unrolled: 1-line block ×3, first 2 shown]
	s_delay_alu instid0(VALU_DEP_3) | instskip(SKIP_4) | instid1(VALU_DEP_2)
	v_cmp_lt_u32_e32 vcc_lo, 4, v7
	s_or_b32 s3, vcc_lo, s3
	s_waitcnt vmcnt(0) lgkmcnt(0)
	v_mul_f64 v[10:11], v[57:58], v[53:54]
	v_mul_f64 v[53:54], v[55:56], v[53:54]
	v_fma_f64 v[10:11], v[55:56], v[51:52], -v[10:11]
	s_delay_alu instid0(VALU_DEP_2) | instskip(NEXT) | instid1(VALU_DEP_2)
	v_fma_f64 v[51:52], v[57:58], v[51:52], v[53:54]
	v_add_f64 v[3:4], v[3:4], v[10:11]
	s_delay_alu instid0(VALU_DEP_2)
	v_add_f64 v[1:2], v[1:2], v[51:52]
	s_and_not1_b32 exec_lo, exec_lo, s3
	s_cbranch_execnz .LBB75_37
; %bb.38:
	s_or_b32 exec_lo, exec_lo, s3
	v_mov_b32_e32 v7, 0
	ds_load_b128 v[7:10], v7 offset:96
	s_waitcnt lgkmcnt(0)
	v_mul_f64 v[11:12], v[1:2], v[9:10]
	v_mul_f64 v[51:52], v[3:4], v[9:10]
	s_delay_alu instid0(VALU_DEP_2) | instskip(NEXT) | instid1(VALU_DEP_2)
	v_fma_f64 v[9:10], v[3:4], v[7:8], -v[11:12]
	v_fma_f64 v[11:12], v[1:2], v[7:8], v[51:52]
	scratch_store_b128 off, v[9:12], off offset:96
.LBB75_39:
	s_or_b32 exec_lo, exec_lo, s2
	s_waitcnt_vscnt null, 0x0
	s_barrier
	buffer_gl0_inv
	scratch_load_b128 v[1:4], v43, off
	s_mov_b32 s2, exec_lo
	s_waitcnt vmcnt(0)
	ds_store_b128 v5, v[1:4]
	s_waitcnt lgkmcnt(0)
	s_barrier
	buffer_gl0_inv
	v_cmpx_gt_u32_e32 7, v37
	s_cbranch_execz .LBB75_43
; %bb.40:
	v_dual_mov_b32 v1, 0 :: v_dual_add_nc_u32 v8, 0xc0, v49
	v_dual_mov_b32 v2, 0 :: v_dual_add_nc_u32 v7, -1, v37
	v_or_b32_e32 v9, 8, v50
	s_mov_b32 s3, 0
	s_delay_alu instid0(VALU_DEP_2)
	v_dual_mov_b32 v4, v2 :: v_dual_mov_b32 v3, v1
	.p2align	6
.LBB75_41:                              ; =>This Inner Loop Header: Depth=1
	scratch_load_b128 v[51:54], v9, off offset:-8
	ds_load_b128 v[55:58], v8
	v_add_nc_u32_e32 v7, 1, v7
	v_add_nc_u32_e32 v8, 16, v8
	;; [unrolled: 1-line block ×3, first 2 shown]
	s_delay_alu instid0(VALU_DEP_3) | instskip(SKIP_4) | instid1(VALU_DEP_2)
	v_cmp_lt_u32_e32 vcc_lo, 5, v7
	s_or_b32 s3, vcc_lo, s3
	s_waitcnt vmcnt(0) lgkmcnt(0)
	v_mul_f64 v[10:11], v[57:58], v[53:54]
	v_mul_f64 v[53:54], v[55:56], v[53:54]
	v_fma_f64 v[10:11], v[55:56], v[51:52], -v[10:11]
	s_delay_alu instid0(VALU_DEP_2) | instskip(NEXT) | instid1(VALU_DEP_2)
	v_fma_f64 v[51:52], v[57:58], v[51:52], v[53:54]
	v_add_f64 v[3:4], v[3:4], v[10:11]
	s_delay_alu instid0(VALU_DEP_2)
	v_add_f64 v[1:2], v[1:2], v[51:52]
	s_and_not1_b32 exec_lo, exec_lo, s3
	s_cbranch_execnz .LBB75_41
; %bb.42:
	s_or_b32 exec_lo, exec_lo, s3
	v_mov_b32_e32 v7, 0
	ds_load_b128 v[7:10], v7 offset:112
	s_waitcnt lgkmcnt(0)
	v_mul_f64 v[11:12], v[1:2], v[9:10]
	v_mul_f64 v[51:52], v[3:4], v[9:10]
	s_delay_alu instid0(VALU_DEP_2) | instskip(NEXT) | instid1(VALU_DEP_2)
	v_fma_f64 v[9:10], v[3:4], v[7:8], -v[11:12]
	v_fma_f64 v[11:12], v[1:2], v[7:8], v[51:52]
	scratch_store_b128 off, v[9:12], off offset:112
.LBB75_43:
	s_or_b32 exec_lo, exec_lo, s2
	s_waitcnt_vscnt null, 0x0
	s_barrier
	buffer_gl0_inv
	scratch_load_b128 v[1:4], v46, off
	s_mov_b32 s2, exec_lo
	s_waitcnt vmcnt(0)
	ds_store_b128 v5, v[1:4]
	s_waitcnt lgkmcnt(0)
	s_barrier
	buffer_gl0_inv
	v_cmpx_gt_u32_e32 8, v37
	s_cbranch_execz .LBB75_47
; %bb.44:
	v_dual_mov_b32 v1, 0 :: v_dual_add_nc_u32 v8, 0xc0, v49
	v_dual_mov_b32 v2, 0 :: v_dual_add_nc_u32 v7, -1, v37
	v_or_b32_e32 v9, 8, v50
	s_mov_b32 s3, 0
	s_delay_alu instid0(VALU_DEP_2)
	v_dual_mov_b32 v4, v2 :: v_dual_mov_b32 v3, v1
	.p2align	6
.LBB75_45:                              ; =>This Inner Loop Header: Depth=1
	scratch_load_b128 v[51:54], v9, off offset:-8
	ds_load_b128 v[55:58], v8
	v_add_nc_u32_e32 v7, 1, v7
	v_add_nc_u32_e32 v8, 16, v8
	;; [unrolled: 1-line block ×3, first 2 shown]
	s_delay_alu instid0(VALU_DEP_3) | instskip(SKIP_4) | instid1(VALU_DEP_2)
	v_cmp_lt_u32_e32 vcc_lo, 6, v7
	s_or_b32 s3, vcc_lo, s3
	s_waitcnt vmcnt(0) lgkmcnt(0)
	v_mul_f64 v[10:11], v[57:58], v[53:54]
	v_mul_f64 v[53:54], v[55:56], v[53:54]
	v_fma_f64 v[10:11], v[55:56], v[51:52], -v[10:11]
	s_delay_alu instid0(VALU_DEP_2) | instskip(NEXT) | instid1(VALU_DEP_2)
	v_fma_f64 v[51:52], v[57:58], v[51:52], v[53:54]
	v_add_f64 v[3:4], v[3:4], v[10:11]
	s_delay_alu instid0(VALU_DEP_2)
	v_add_f64 v[1:2], v[1:2], v[51:52]
	s_and_not1_b32 exec_lo, exec_lo, s3
	s_cbranch_execnz .LBB75_45
; %bb.46:
	s_or_b32 exec_lo, exec_lo, s3
	v_mov_b32_e32 v7, 0
	ds_load_b128 v[7:10], v7 offset:128
	s_waitcnt lgkmcnt(0)
	v_mul_f64 v[11:12], v[1:2], v[9:10]
	v_mul_f64 v[51:52], v[3:4], v[9:10]
	s_delay_alu instid0(VALU_DEP_2) | instskip(NEXT) | instid1(VALU_DEP_2)
	v_fma_f64 v[9:10], v[3:4], v[7:8], -v[11:12]
	v_fma_f64 v[11:12], v[1:2], v[7:8], v[51:52]
	scratch_store_b128 off, v[9:12], off offset:128
.LBB75_47:
	s_or_b32 exec_lo, exec_lo, s2
	s_waitcnt_vscnt null, 0x0
	s_barrier
	buffer_gl0_inv
	scratch_load_b128 v[1:4], v45, off
	s_mov_b32 s2, exec_lo
	s_waitcnt vmcnt(0)
	ds_store_b128 v5, v[1:4]
	s_waitcnt lgkmcnt(0)
	s_barrier
	buffer_gl0_inv
	v_cmpx_gt_u32_e32 9, v37
	s_cbranch_execz .LBB75_51
; %bb.48:
	v_dual_mov_b32 v1, 0 :: v_dual_add_nc_u32 v8, 0xc0, v49
	v_dual_mov_b32 v2, 0 :: v_dual_add_nc_u32 v7, -1, v37
	v_or_b32_e32 v9, 8, v50
	s_mov_b32 s3, 0
	s_delay_alu instid0(VALU_DEP_2)
	v_dual_mov_b32 v4, v2 :: v_dual_mov_b32 v3, v1
	.p2align	6
.LBB75_49:                              ; =>This Inner Loop Header: Depth=1
	scratch_load_b128 v[51:54], v9, off offset:-8
	ds_load_b128 v[55:58], v8
	v_add_nc_u32_e32 v7, 1, v7
	v_add_nc_u32_e32 v8, 16, v8
	v_add_nc_u32_e32 v9, 16, v9
	s_delay_alu instid0(VALU_DEP_3) | instskip(SKIP_4) | instid1(VALU_DEP_2)
	v_cmp_lt_u32_e32 vcc_lo, 7, v7
	s_or_b32 s3, vcc_lo, s3
	s_waitcnt vmcnt(0) lgkmcnt(0)
	v_mul_f64 v[10:11], v[57:58], v[53:54]
	v_mul_f64 v[53:54], v[55:56], v[53:54]
	v_fma_f64 v[10:11], v[55:56], v[51:52], -v[10:11]
	s_delay_alu instid0(VALU_DEP_2) | instskip(NEXT) | instid1(VALU_DEP_2)
	v_fma_f64 v[51:52], v[57:58], v[51:52], v[53:54]
	v_add_f64 v[3:4], v[3:4], v[10:11]
	s_delay_alu instid0(VALU_DEP_2)
	v_add_f64 v[1:2], v[1:2], v[51:52]
	s_and_not1_b32 exec_lo, exec_lo, s3
	s_cbranch_execnz .LBB75_49
; %bb.50:
	s_or_b32 exec_lo, exec_lo, s3
	v_mov_b32_e32 v7, 0
	ds_load_b128 v[7:10], v7 offset:144
	s_waitcnt lgkmcnt(0)
	v_mul_f64 v[11:12], v[1:2], v[9:10]
	v_mul_f64 v[51:52], v[3:4], v[9:10]
	s_delay_alu instid0(VALU_DEP_2) | instskip(NEXT) | instid1(VALU_DEP_2)
	v_fma_f64 v[9:10], v[3:4], v[7:8], -v[11:12]
	v_fma_f64 v[11:12], v[1:2], v[7:8], v[51:52]
	scratch_store_b128 off, v[9:12], off offset:144
.LBB75_51:
	s_or_b32 exec_lo, exec_lo, s2
	s_waitcnt_vscnt null, 0x0
	s_barrier
	buffer_gl0_inv
	scratch_load_b128 v[1:4], v48, off
	s_mov_b32 s2, exec_lo
	s_waitcnt vmcnt(0)
	ds_store_b128 v5, v[1:4]
	s_waitcnt lgkmcnt(0)
	s_barrier
	buffer_gl0_inv
	v_cmpx_gt_u32_e32 10, v37
	s_cbranch_execz .LBB75_55
; %bb.52:
	v_dual_mov_b32 v1, 0 :: v_dual_add_nc_u32 v8, 0xc0, v49
	v_dual_mov_b32 v2, 0 :: v_dual_add_nc_u32 v7, -1, v37
	v_or_b32_e32 v9, 8, v50
	s_mov_b32 s3, 0
	s_delay_alu instid0(VALU_DEP_2)
	v_dual_mov_b32 v4, v2 :: v_dual_mov_b32 v3, v1
	.p2align	6
.LBB75_53:                              ; =>This Inner Loop Header: Depth=1
	scratch_load_b128 v[51:54], v9, off offset:-8
	ds_load_b128 v[55:58], v8
	v_add_nc_u32_e32 v7, 1, v7
	v_add_nc_u32_e32 v8, 16, v8
	;; [unrolled: 1-line block ×3, first 2 shown]
	s_delay_alu instid0(VALU_DEP_3) | instskip(SKIP_4) | instid1(VALU_DEP_2)
	v_cmp_lt_u32_e32 vcc_lo, 8, v7
	s_or_b32 s3, vcc_lo, s3
	s_waitcnt vmcnt(0) lgkmcnt(0)
	v_mul_f64 v[10:11], v[57:58], v[53:54]
	v_mul_f64 v[53:54], v[55:56], v[53:54]
	v_fma_f64 v[10:11], v[55:56], v[51:52], -v[10:11]
	s_delay_alu instid0(VALU_DEP_2) | instskip(NEXT) | instid1(VALU_DEP_2)
	v_fma_f64 v[51:52], v[57:58], v[51:52], v[53:54]
	v_add_f64 v[3:4], v[3:4], v[10:11]
	s_delay_alu instid0(VALU_DEP_2)
	v_add_f64 v[1:2], v[1:2], v[51:52]
	s_and_not1_b32 exec_lo, exec_lo, s3
	s_cbranch_execnz .LBB75_53
; %bb.54:
	s_or_b32 exec_lo, exec_lo, s3
	v_mov_b32_e32 v7, 0
	ds_load_b128 v[7:10], v7 offset:160
	s_waitcnt lgkmcnt(0)
	v_mul_f64 v[11:12], v[1:2], v[9:10]
	v_mul_f64 v[51:52], v[3:4], v[9:10]
	s_delay_alu instid0(VALU_DEP_2) | instskip(NEXT) | instid1(VALU_DEP_2)
	v_fma_f64 v[9:10], v[3:4], v[7:8], -v[11:12]
	v_fma_f64 v[11:12], v[1:2], v[7:8], v[51:52]
	scratch_store_b128 off, v[9:12], off offset:160
.LBB75_55:
	s_or_b32 exec_lo, exec_lo, s2
	s_waitcnt_vscnt null, 0x0
	s_barrier
	buffer_gl0_inv
	scratch_load_b128 v[1:4], v47, off
	s_mov_b32 s2, exec_lo
	s_waitcnt vmcnt(0)
	ds_store_b128 v5, v[1:4]
	s_waitcnt lgkmcnt(0)
	s_barrier
	buffer_gl0_inv
	v_cmpx_ne_u32_e32 11, v37
	s_cbranch_execz .LBB75_59
; %bb.56:
	v_mov_b32_e32 v1, 0
	v_mov_b32_e32 v2, 0
	v_or_b32_e32 v7, 8, v50
	s_mov_b32 s3, 0
	s_delay_alu instid0(VALU_DEP_2)
	v_dual_mov_b32 v4, v2 :: v_dual_mov_b32 v3, v1
	.p2align	6
.LBB75_57:                              ; =>This Inner Loop Header: Depth=1
	scratch_load_b128 v[8:11], v7, off offset:-8
	ds_load_b128 v[49:52], v5
	v_add_nc_u32_e32 v6, 1, v6
	v_add_nc_u32_e32 v5, 16, v5
	;; [unrolled: 1-line block ×3, first 2 shown]
	s_delay_alu instid0(VALU_DEP_3) | instskip(SKIP_4) | instid1(VALU_DEP_2)
	v_cmp_lt_u32_e32 vcc_lo, 9, v6
	s_or_b32 s3, vcc_lo, s3
	s_waitcnt vmcnt(0) lgkmcnt(0)
	v_mul_f64 v[53:54], v[51:52], v[10:11]
	v_mul_f64 v[10:11], v[49:50], v[10:11]
	v_fma_f64 v[49:50], v[49:50], v[8:9], -v[53:54]
	s_delay_alu instid0(VALU_DEP_2) | instskip(NEXT) | instid1(VALU_DEP_2)
	v_fma_f64 v[8:9], v[51:52], v[8:9], v[10:11]
	v_add_f64 v[3:4], v[3:4], v[49:50]
	s_delay_alu instid0(VALU_DEP_2)
	v_add_f64 v[1:2], v[1:2], v[8:9]
	s_and_not1_b32 exec_lo, exec_lo, s3
	s_cbranch_execnz .LBB75_57
; %bb.58:
	s_or_b32 exec_lo, exec_lo, s3
	v_mov_b32_e32 v5, 0
	ds_load_b128 v[5:8], v5 offset:176
	s_waitcnt lgkmcnt(0)
	v_mul_f64 v[9:10], v[1:2], v[7:8]
	v_mul_f64 v[7:8], v[3:4], v[7:8]
	s_delay_alu instid0(VALU_DEP_2) | instskip(NEXT) | instid1(VALU_DEP_2)
	v_fma_f64 v[3:4], v[3:4], v[5:6], -v[9:10]
	v_fma_f64 v[5:6], v[1:2], v[5:6], v[7:8]
	scratch_store_b128 off, v[3:6], off offset:176
.LBB75_59:
	s_or_b32 exec_lo, exec_lo, s2
	s_mov_b32 s3, -1
	s_waitcnt_vscnt null, 0x0
	s_barrier
	buffer_gl0_inv
.LBB75_60:
	s_and_b32 vcc_lo, exec_lo, s3
	s_cbranch_vccz .LBB75_62
; %bb.61:
	s_lshl_b64 s[2:3], s[10:11], 2
	v_mov_b32_e32 v1, 0
	s_add_u32 s2, s6, s2
	s_addc_u32 s3, s7, s3
	global_load_b32 v1, v1, s[2:3]
	s_waitcnt vmcnt(0)
	v_cmp_ne_u32_e32 vcc_lo, 0, v1
	s_cbranch_vccz .LBB75_63
.LBB75_62:
	s_endpgm
.LBB75_63:
	v_lshl_add_u32 v5, v37, 4, 0xc0
	s_mov_b32 s2, exec_lo
	v_cmpx_eq_u32_e32 11, v37
	s_cbranch_execz .LBB75_65
; %bb.64:
	scratch_load_b128 v[1:4], v48, off
	v_mov_b32_e32 v6, 0
	s_delay_alu instid0(VALU_DEP_1)
	v_mov_b32_e32 v7, v6
	v_mov_b32_e32 v8, v6
	;; [unrolled: 1-line block ×3, first 2 shown]
	scratch_store_b128 off, v[6:9], off offset:160
	s_waitcnt vmcnt(0)
	ds_store_b128 v5, v[1:4]
.LBB75_65:
	s_or_b32 exec_lo, exec_lo, s2
	s_waitcnt lgkmcnt(0)
	s_waitcnt_vscnt null, 0x0
	s_barrier
	buffer_gl0_inv
	s_clause 0x1
	scratch_load_b128 v[6:9], off, off offset:176
	scratch_load_b128 v[49:52], off, off offset:160
	v_mov_b32_e32 v1, 0
	s_mov_b32 s2, exec_lo
	ds_load_b128 v[53:56], v1 offset:368
	s_waitcnt vmcnt(1) lgkmcnt(0)
	v_mul_f64 v[2:3], v[55:56], v[8:9]
	v_mul_f64 v[8:9], v[53:54], v[8:9]
	s_delay_alu instid0(VALU_DEP_2) | instskip(NEXT) | instid1(VALU_DEP_2)
	v_fma_f64 v[2:3], v[53:54], v[6:7], -v[2:3]
	v_fma_f64 v[6:7], v[55:56], v[6:7], v[8:9]
	s_delay_alu instid0(VALU_DEP_2) | instskip(NEXT) | instid1(VALU_DEP_2)
	v_add_f64 v[2:3], v[2:3], 0
	v_add_f64 v[8:9], v[6:7], 0
	s_waitcnt vmcnt(0)
	s_delay_alu instid0(VALU_DEP_2) | instskip(NEXT) | instid1(VALU_DEP_2)
	v_add_f64 v[6:7], v[49:50], -v[2:3]
	v_add_f64 v[8:9], v[51:52], -v[8:9]
	scratch_store_b128 off, v[6:9], off offset:160
	v_cmpx_lt_u32_e32 9, v37
	s_cbranch_execz .LBB75_67
; %bb.66:
	scratch_load_b128 v[6:9], v45, off
	v_mov_b32_e32 v2, v1
	v_mov_b32_e32 v3, v1
	;; [unrolled: 1-line block ×3, first 2 shown]
	scratch_store_b128 off, v[1:4], off offset:144
	s_waitcnt vmcnt(0)
	ds_store_b128 v5, v[6:9]
.LBB75_67:
	s_or_b32 exec_lo, exec_lo, s2
	s_waitcnt lgkmcnt(0)
	s_waitcnt_vscnt null, 0x0
	s_barrier
	buffer_gl0_inv
	s_clause 0x2
	scratch_load_b128 v[6:9], off, off offset:160
	scratch_load_b128 v[49:52], off, off offset:176
	;; [unrolled: 1-line block ×3, first 2 shown]
	ds_load_b128 v[57:60], v1 offset:352
	ds_load_b128 v[1:4], v1 offset:368
	s_mov_b32 s2, exec_lo
	s_waitcnt vmcnt(2) lgkmcnt(1)
	v_mul_f64 v[10:11], v[59:60], v[8:9]
	v_mul_f64 v[8:9], v[57:58], v[8:9]
	s_waitcnt vmcnt(1) lgkmcnt(0)
	v_mul_f64 v[61:62], v[1:2], v[51:52]
	v_mul_f64 v[51:52], v[3:4], v[51:52]
	s_delay_alu instid0(VALU_DEP_4) | instskip(NEXT) | instid1(VALU_DEP_4)
	v_fma_f64 v[10:11], v[57:58], v[6:7], -v[10:11]
	v_fma_f64 v[6:7], v[59:60], v[6:7], v[8:9]
	s_delay_alu instid0(VALU_DEP_4) | instskip(NEXT) | instid1(VALU_DEP_4)
	v_fma_f64 v[3:4], v[3:4], v[49:50], v[61:62]
	v_fma_f64 v[1:2], v[1:2], v[49:50], -v[51:52]
	s_delay_alu instid0(VALU_DEP_4) | instskip(NEXT) | instid1(VALU_DEP_4)
	v_add_f64 v[8:9], v[10:11], 0
	v_add_f64 v[6:7], v[6:7], 0
	s_delay_alu instid0(VALU_DEP_2) | instskip(NEXT) | instid1(VALU_DEP_2)
	v_add_f64 v[1:2], v[8:9], v[1:2]
	v_add_f64 v[3:4], v[6:7], v[3:4]
	s_waitcnt vmcnt(0)
	s_delay_alu instid0(VALU_DEP_2) | instskip(NEXT) | instid1(VALU_DEP_2)
	v_add_f64 v[1:2], v[53:54], -v[1:2]
	v_add_f64 v[3:4], v[55:56], -v[3:4]
	scratch_store_b128 off, v[1:4], off offset:144
	v_cmpx_lt_u32_e32 8, v37
	s_cbranch_execz .LBB75_69
; %bb.68:
	scratch_load_b128 v[1:4], v46, off
	v_mov_b32_e32 v6, 0
	s_delay_alu instid0(VALU_DEP_1)
	v_mov_b32_e32 v7, v6
	v_mov_b32_e32 v8, v6
	;; [unrolled: 1-line block ×3, first 2 shown]
	scratch_store_b128 off, v[6:9], off offset:128
	s_waitcnt vmcnt(0)
	ds_store_b128 v5, v[1:4]
.LBB75_69:
	s_or_b32 exec_lo, exec_lo, s2
	s_waitcnt lgkmcnt(0)
	s_waitcnt_vscnt null, 0x0
	s_barrier
	buffer_gl0_inv
	s_clause 0x3
	scratch_load_b128 v[6:9], off, off offset:144
	scratch_load_b128 v[49:52], off, off offset:160
	;; [unrolled: 1-line block ×4, first 2 shown]
	v_mov_b32_e32 v1, 0
	ds_load_b128 v[61:64], v1 offset:336
	ds_load_b128 v[65:68], v1 offset:352
	s_mov_b32 s2, exec_lo
	s_waitcnt vmcnt(3) lgkmcnt(1)
	v_mul_f64 v[2:3], v[63:64], v[8:9]
	v_mul_f64 v[8:9], v[61:62], v[8:9]
	s_waitcnt vmcnt(2) lgkmcnt(0)
	v_mul_f64 v[10:11], v[65:66], v[51:52]
	v_mul_f64 v[51:52], v[67:68], v[51:52]
	s_delay_alu instid0(VALU_DEP_4) | instskip(NEXT) | instid1(VALU_DEP_4)
	v_fma_f64 v[2:3], v[61:62], v[6:7], -v[2:3]
	v_fma_f64 v[61:62], v[63:64], v[6:7], v[8:9]
	ds_load_b128 v[6:9], v1 offset:368
	v_fma_f64 v[10:11], v[67:68], v[49:50], v[10:11]
	v_fma_f64 v[49:50], v[65:66], v[49:50], -v[51:52]
	s_waitcnt vmcnt(1) lgkmcnt(0)
	v_mul_f64 v[63:64], v[6:7], v[55:56]
	v_mul_f64 v[55:56], v[8:9], v[55:56]
	v_add_f64 v[2:3], v[2:3], 0
	v_add_f64 v[51:52], v[61:62], 0
	s_delay_alu instid0(VALU_DEP_4) | instskip(NEXT) | instid1(VALU_DEP_4)
	v_fma_f64 v[8:9], v[8:9], v[53:54], v[63:64]
	v_fma_f64 v[6:7], v[6:7], v[53:54], -v[55:56]
	s_delay_alu instid0(VALU_DEP_4) | instskip(NEXT) | instid1(VALU_DEP_4)
	v_add_f64 v[2:3], v[2:3], v[49:50]
	v_add_f64 v[10:11], v[51:52], v[10:11]
	s_delay_alu instid0(VALU_DEP_2) | instskip(NEXT) | instid1(VALU_DEP_2)
	v_add_f64 v[2:3], v[2:3], v[6:7]
	v_add_f64 v[8:9], v[10:11], v[8:9]
	s_waitcnt vmcnt(0)
	s_delay_alu instid0(VALU_DEP_2) | instskip(NEXT) | instid1(VALU_DEP_2)
	v_add_f64 v[6:7], v[57:58], -v[2:3]
	v_add_f64 v[8:9], v[59:60], -v[8:9]
	scratch_store_b128 off, v[6:9], off offset:128
	v_cmpx_lt_u32_e32 7, v37
	s_cbranch_execz .LBB75_71
; %bb.70:
	scratch_load_b128 v[6:9], v43, off
	v_mov_b32_e32 v2, v1
	v_mov_b32_e32 v3, v1
	;; [unrolled: 1-line block ×3, first 2 shown]
	scratch_store_b128 off, v[1:4], off offset:112
	s_waitcnt vmcnt(0)
	ds_store_b128 v5, v[6:9]
.LBB75_71:
	s_or_b32 exec_lo, exec_lo, s2
	s_waitcnt lgkmcnt(0)
	s_waitcnt_vscnt null, 0x0
	s_barrier
	buffer_gl0_inv
	s_clause 0x4
	scratch_load_b128 v[6:9], off, off offset:128
	scratch_load_b128 v[49:52], off, off offset:144
	;; [unrolled: 1-line block ×5, first 2 shown]
	ds_load_b128 v[65:68], v1 offset:320
	ds_load_b128 v[69:72], v1 offset:336
	s_mov_b32 s2, exec_lo
	s_waitcnt vmcnt(4) lgkmcnt(1)
	v_mul_f64 v[2:3], v[67:68], v[8:9]
	v_mul_f64 v[8:9], v[65:66], v[8:9]
	s_waitcnt vmcnt(3) lgkmcnt(0)
	v_mul_f64 v[10:11], v[69:70], v[51:52]
	v_mul_f64 v[51:52], v[71:72], v[51:52]
	s_delay_alu instid0(VALU_DEP_4) | instskip(NEXT) | instid1(VALU_DEP_4)
	v_fma_f64 v[65:66], v[65:66], v[6:7], -v[2:3]
	v_fma_f64 v[67:68], v[67:68], v[6:7], v[8:9]
	ds_load_b128 v[6:9], v1 offset:352
	ds_load_b128 v[1:4], v1 offset:368
	v_fma_f64 v[10:11], v[71:72], v[49:50], v[10:11]
	v_fma_f64 v[49:50], v[69:70], v[49:50], -v[51:52]
	s_waitcnt vmcnt(2) lgkmcnt(1)
	v_mul_f64 v[73:74], v[6:7], v[55:56]
	v_mul_f64 v[55:56], v[8:9], v[55:56]
	v_add_f64 v[51:52], v[65:66], 0
	v_add_f64 v[65:66], v[67:68], 0
	s_waitcnt vmcnt(1) lgkmcnt(0)
	v_mul_f64 v[67:68], v[1:2], v[59:60]
	v_mul_f64 v[59:60], v[3:4], v[59:60]
	v_fma_f64 v[8:9], v[8:9], v[53:54], v[73:74]
	v_fma_f64 v[6:7], v[6:7], v[53:54], -v[55:56]
	v_add_f64 v[49:50], v[51:52], v[49:50]
	v_add_f64 v[10:11], v[65:66], v[10:11]
	v_fma_f64 v[3:4], v[3:4], v[57:58], v[67:68]
	v_fma_f64 v[1:2], v[1:2], v[57:58], -v[59:60]
	s_delay_alu instid0(VALU_DEP_4) | instskip(NEXT) | instid1(VALU_DEP_4)
	v_add_f64 v[6:7], v[49:50], v[6:7]
	v_add_f64 v[8:9], v[10:11], v[8:9]
	s_delay_alu instid0(VALU_DEP_2) | instskip(NEXT) | instid1(VALU_DEP_2)
	v_add_f64 v[1:2], v[6:7], v[1:2]
	v_add_f64 v[3:4], v[8:9], v[3:4]
	s_waitcnt vmcnt(0)
	s_delay_alu instid0(VALU_DEP_2) | instskip(NEXT) | instid1(VALU_DEP_2)
	v_add_f64 v[1:2], v[61:62], -v[1:2]
	v_add_f64 v[3:4], v[63:64], -v[3:4]
	scratch_store_b128 off, v[1:4], off offset:112
	v_cmpx_lt_u32_e32 6, v37
	s_cbranch_execz .LBB75_73
; %bb.72:
	scratch_load_b128 v[1:4], v44, off
	v_mov_b32_e32 v6, 0
	s_delay_alu instid0(VALU_DEP_1)
	v_mov_b32_e32 v7, v6
	v_mov_b32_e32 v8, v6
	;; [unrolled: 1-line block ×3, first 2 shown]
	scratch_store_b128 off, v[6:9], off offset:96
	s_waitcnt vmcnt(0)
	ds_store_b128 v5, v[1:4]
.LBB75_73:
	s_or_b32 exec_lo, exec_lo, s2
	s_waitcnt lgkmcnt(0)
	s_waitcnt_vscnt null, 0x0
	s_barrier
	buffer_gl0_inv
	s_clause 0x5
	scratch_load_b128 v[6:9], off, off offset:112
	scratch_load_b128 v[49:52], off, off offset:128
	;; [unrolled: 1-line block ×6, first 2 shown]
	v_mov_b32_e32 v1, 0
	ds_load_b128 v[69:72], v1 offset:304
	ds_load_b128 v[73:76], v1 offset:320
	s_mov_b32 s2, exec_lo
	s_waitcnt vmcnt(5) lgkmcnt(1)
	v_mul_f64 v[2:3], v[71:72], v[8:9]
	v_mul_f64 v[8:9], v[69:70], v[8:9]
	s_waitcnt vmcnt(4) lgkmcnt(0)
	v_mul_f64 v[10:11], v[73:74], v[51:52]
	v_mul_f64 v[51:52], v[75:76], v[51:52]
	s_delay_alu instid0(VALU_DEP_4) | instskip(NEXT) | instid1(VALU_DEP_4)
	v_fma_f64 v[2:3], v[69:70], v[6:7], -v[2:3]
	v_fma_f64 v[77:78], v[71:72], v[6:7], v[8:9]
	ds_load_b128 v[6:9], v1 offset:336
	ds_load_b128 v[69:72], v1 offset:352
	v_fma_f64 v[10:11], v[75:76], v[49:50], v[10:11]
	v_fma_f64 v[49:50], v[73:74], v[49:50], -v[51:52]
	s_waitcnt vmcnt(3) lgkmcnt(1)
	v_mul_f64 v[79:80], v[6:7], v[55:56]
	v_mul_f64 v[55:56], v[8:9], v[55:56]
	s_waitcnt vmcnt(2) lgkmcnt(0)
	v_mul_f64 v[73:74], v[69:70], v[59:60]
	v_mul_f64 v[59:60], v[71:72], v[59:60]
	v_add_f64 v[2:3], v[2:3], 0
	v_add_f64 v[51:52], v[77:78], 0
	v_fma_f64 v[75:76], v[8:9], v[53:54], v[79:80]
	v_fma_f64 v[53:54], v[6:7], v[53:54], -v[55:56]
	ds_load_b128 v[6:9], v1 offset:368
	v_fma_f64 v[55:56], v[71:72], v[57:58], v[73:74]
	v_fma_f64 v[57:58], v[69:70], v[57:58], -v[59:60]
	v_add_f64 v[2:3], v[2:3], v[49:50]
	v_add_f64 v[10:11], v[51:52], v[10:11]
	s_waitcnt vmcnt(1) lgkmcnt(0)
	v_mul_f64 v[49:50], v[6:7], v[63:64]
	v_mul_f64 v[51:52], v[8:9], v[63:64]
	s_delay_alu instid0(VALU_DEP_4) | instskip(NEXT) | instid1(VALU_DEP_4)
	v_add_f64 v[2:3], v[2:3], v[53:54]
	v_add_f64 v[10:11], v[10:11], v[75:76]
	s_delay_alu instid0(VALU_DEP_4) | instskip(NEXT) | instid1(VALU_DEP_4)
	v_fma_f64 v[8:9], v[8:9], v[61:62], v[49:50]
	v_fma_f64 v[6:7], v[6:7], v[61:62], -v[51:52]
	s_delay_alu instid0(VALU_DEP_4) | instskip(NEXT) | instid1(VALU_DEP_4)
	v_add_f64 v[2:3], v[2:3], v[57:58]
	v_add_f64 v[10:11], v[10:11], v[55:56]
	s_delay_alu instid0(VALU_DEP_2) | instskip(NEXT) | instid1(VALU_DEP_2)
	v_add_f64 v[2:3], v[2:3], v[6:7]
	v_add_f64 v[8:9], v[10:11], v[8:9]
	s_waitcnt vmcnt(0)
	s_delay_alu instid0(VALU_DEP_2) | instskip(NEXT) | instid1(VALU_DEP_2)
	v_add_f64 v[6:7], v[65:66], -v[2:3]
	v_add_f64 v[8:9], v[67:68], -v[8:9]
	scratch_store_b128 off, v[6:9], off offset:96
	v_cmpx_lt_u32_e32 5, v37
	s_cbranch_execz .LBB75_75
; %bb.74:
	scratch_load_b128 v[6:9], v40, off
	v_mov_b32_e32 v2, v1
	v_mov_b32_e32 v3, v1
	;; [unrolled: 1-line block ×3, first 2 shown]
	scratch_store_b128 off, v[1:4], off offset:80
	s_waitcnt vmcnt(0)
	ds_store_b128 v5, v[6:9]
.LBB75_75:
	s_or_b32 exec_lo, exec_lo, s2
	s_waitcnt lgkmcnt(0)
	s_waitcnt_vscnt null, 0x0
	s_barrier
	buffer_gl0_inv
	s_clause 0x5
	scratch_load_b128 v[6:9], off, off offset:96
	scratch_load_b128 v[49:52], off, off offset:112
	;; [unrolled: 1-line block ×6, first 2 shown]
	ds_load_b128 v[69:72], v1 offset:288
	ds_load_b128 v[77:80], v1 offset:304
	scratch_load_b128 v[73:76], off, off offset:80
	s_mov_b32 s2, exec_lo
	s_waitcnt vmcnt(6) lgkmcnt(1)
	v_mul_f64 v[2:3], v[71:72], v[8:9]
	v_mul_f64 v[8:9], v[69:70], v[8:9]
	s_waitcnt vmcnt(5) lgkmcnt(0)
	v_mul_f64 v[10:11], v[77:78], v[51:52]
	v_mul_f64 v[51:52], v[79:80], v[51:52]
	s_delay_alu instid0(VALU_DEP_4) | instskip(NEXT) | instid1(VALU_DEP_4)
	v_fma_f64 v[2:3], v[69:70], v[6:7], -v[2:3]
	v_fma_f64 v[81:82], v[71:72], v[6:7], v[8:9]
	ds_load_b128 v[6:9], v1 offset:320
	ds_load_b128 v[69:72], v1 offset:336
	v_fma_f64 v[10:11], v[79:80], v[49:50], v[10:11]
	v_fma_f64 v[49:50], v[77:78], v[49:50], -v[51:52]
	s_waitcnt vmcnt(4) lgkmcnt(1)
	v_mul_f64 v[83:84], v[6:7], v[55:56]
	v_mul_f64 v[55:56], v[8:9], v[55:56]
	s_waitcnt vmcnt(3) lgkmcnt(0)
	v_mul_f64 v[77:78], v[69:70], v[59:60]
	v_mul_f64 v[59:60], v[71:72], v[59:60]
	v_add_f64 v[2:3], v[2:3], 0
	v_add_f64 v[51:52], v[81:82], 0
	v_fma_f64 v[79:80], v[8:9], v[53:54], v[83:84]
	v_fma_f64 v[53:54], v[6:7], v[53:54], -v[55:56]
	s_delay_alu instid0(VALU_DEP_4) | instskip(NEXT) | instid1(VALU_DEP_4)
	v_add_f64 v[49:50], v[2:3], v[49:50]
	v_add_f64 v[10:11], v[51:52], v[10:11]
	ds_load_b128 v[6:9], v1 offset:352
	ds_load_b128 v[1:4], v1 offset:368
	s_waitcnt vmcnt(2) lgkmcnt(1)
	v_mul_f64 v[51:52], v[6:7], v[63:64]
	v_mul_f64 v[55:56], v[8:9], v[63:64]
	v_fma_f64 v[63:64], v[71:72], v[57:58], v[77:78]
	v_fma_f64 v[57:58], v[69:70], v[57:58], -v[59:60]
	s_waitcnt vmcnt(1) lgkmcnt(0)
	v_mul_f64 v[59:60], v[3:4], v[67:68]
	v_add_f64 v[49:50], v[49:50], v[53:54]
	v_add_f64 v[10:11], v[10:11], v[79:80]
	v_mul_f64 v[53:54], v[1:2], v[67:68]
	v_fma_f64 v[8:9], v[8:9], v[61:62], v[51:52]
	v_fma_f64 v[6:7], v[6:7], v[61:62], -v[55:56]
	v_fma_f64 v[1:2], v[1:2], v[65:66], -v[59:60]
	v_add_f64 v[49:50], v[49:50], v[57:58]
	v_add_f64 v[10:11], v[10:11], v[63:64]
	v_fma_f64 v[3:4], v[3:4], v[65:66], v[53:54]
	s_delay_alu instid0(VALU_DEP_3) | instskip(NEXT) | instid1(VALU_DEP_3)
	v_add_f64 v[6:7], v[49:50], v[6:7]
	v_add_f64 v[8:9], v[10:11], v[8:9]
	s_delay_alu instid0(VALU_DEP_2) | instskip(NEXT) | instid1(VALU_DEP_2)
	v_add_f64 v[1:2], v[6:7], v[1:2]
	v_add_f64 v[3:4], v[8:9], v[3:4]
	s_waitcnt vmcnt(0)
	s_delay_alu instid0(VALU_DEP_2) | instskip(NEXT) | instid1(VALU_DEP_2)
	v_add_f64 v[1:2], v[73:74], -v[1:2]
	v_add_f64 v[3:4], v[75:76], -v[3:4]
	scratch_store_b128 off, v[1:4], off offset:80
	v_cmpx_lt_u32_e32 4, v37
	s_cbranch_execz .LBB75_77
; %bb.76:
	scratch_load_b128 v[1:4], v42, off
	v_mov_b32_e32 v6, 0
	s_delay_alu instid0(VALU_DEP_1)
	v_mov_b32_e32 v7, v6
	v_mov_b32_e32 v8, v6
	;; [unrolled: 1-line block ×3, first 2 shown]
	scratch_store_b128 off, v[6:9], off offset:64
	s_waitcnt vmcnt(0)
	ds_store_b128 v5, v[1:4]
.LBB75_77:
	s_or_b32 exec_lo, exec_lo, s2
	s_waitcnt lgkmcnt(0)
	s_waitcnt_vscnt null, 0x0
	s_barrier
	buffer_gl0_inv
	s_clause 0x6
	scratch_load_b128 v[6:9], off, off offset:80
	scratch_load_b128 v[49:52], off, off offset:96
	;; [unrolled: 1-line block ×7, first 2 shown]
	v_mov_b32_e32 v1, 0
	scratch_load_b128 v[77:80], off, off offset:64
	s_mov_b32 s2, exec_lo
	ds_load_b128 v[73:76], v1 offset:272
	ds_load_b128 v[81:84], v1 offset:288
	s_waitcnt vmcnt(7) lgkmcnt(1)
	v_mul_f64 v[2:3], v[75:76], v[8:9]
	v_mul_f64 v[8:9], v[73:74], v[8:9]
	s_waitcnt vmcnt(6) lgkmcnt(0)
	v_mul_f64 v[10:11], v[81:82], v[51:52]
	v_mul_f64 v[51:52], v[83:84], v[51:52]
	s_delay_alu instid0(VALU_DEP_4) | instskip(NEXT) | instid1(VALU_DEP_4)
	v_fma_f64 v[2:3], v[73:74], v[6:7], -v[2:3]
	v_fma_f64 v[85:86], v[75:76], v[6:7], v[8:9]
	ds_load_b128 v[6:9], v1 offset:304
	ds_load_b128 v[73:76], v1 offset:320
	v_fma_f64 v[10:11], v[83:84], v[49:50], v[10:11]
	v_fma_f64 v[49:50], v[81:82], v[49:50], -v[51:52]
	s_waitcnt vmcnt(5) lgkmcnt(1)
	v_mul_f64 v[87:88], v[6:7], v[55:56]
	v_mul_f64 v[55:56], v[8:9], v[55:56]
	s_waitcnt vmcnt(4) lgkmcnt(0)
	v_mul_f64 v[81:82], v[73:74], v[59:60]
	v_mul_f64 v[59:60], v[75:76], v[59:60]
	v_add_f64 v[2:3], v[2:3], 0
	v_add_f64 v[51:52], v[85:86], 0
	v_fma_f64 v[83:84], v[8:9], v[53:54], v[87:88]
	v_fma_f64 v[53:54], v[6:7], v[53:54], -v[55:56]
	v_fma_f64 v[75:76], v[75:76], v[57:58], v[81:82]
	v_fma_f64 v[57:58], v[73:74], v[57:58], -v[59:60]
	v_add_f64 v[2:3], v[2:3], v[49:50]
	v_add_f64 v[10:11], v[51:52], v[10:11]
	ds_load_b128 v[6:9], v1 offset:336
	ds_load_b128 v[49:52], v1 offset:352
	s_waitcnt vmcnt(3) lgkmcnt(1)
	v_mul_f64 v[55:56], v[6:7], v[63:64]
	v_mul_f64 v[63:64], v[8:9], v[63:64]
	s_waitcnt vmcnt(2) lgkmcnt(0)
	v_mul_f64 v[59:60], v[51:52], v[67:68]
	v_add_f64 v[2:3], v[2:3], v[53:54]
	v_add_f64 v[10:11], v[10:11], v[83:84]
	v_mul_f64 v[53:54], v[49:50], v[67:68]
	v_fma_f64 v[55:56], v[8:9], v[61:62], v[55:56]
	v_fma_f64 v[61:62], v[6:7], v[61:62], -v[63:64]
	ds_load_b128 v[6:9], v1 offset:368
	v_fma_f64 v[49:50], v[49:50], v[65:66], -v[59:60]
	v_add_f64 v[2:3], v[2:3], v[57:58]
	v_add_f64 v[10:11], v[10:11], v[75:76]
	v_fma_f64 v[51:52], v[51:52], v[65:66], v[53:54]
	s_waitcnt vmcnt(1) lgkmcnt(0)
	v_mul_f64 v[57:58], v[6:7], v[71:72]
	v_mul_f64 v[63:64], v[8:9], v[71:72]
	v_add_f64 v[2:3], v[2:3], v[61:62]
	v_add_f64 v[10:11], v[10:11], v[55:56]
	s_delay_alu instid0(VALU_DEP_4) | instskip(NEXT) | instid1(VALU_DEP_4)
	v_fma_f64 v[8:9], v[8:9], v[69:70], v[57:58]
	v_fma_f64 v[6:7], v[6:7], v[69:70], -v[63:64]
	s_delay_alu instid0(VALU_DEP_4) | instskip(NEXT) | instid1(VALU_DEP_4)
	v_add_f64 v[2:3], v[2:3], v[49:50]
	v_add_f64 v[10:11], v[10:11], v[51:52]
	s_delay_alu instid0(VALU_DEP_2) | instskip(NEXT) | instid1(VALU_DEP_2)
	v_add_f64 v[2:3], v[2:3], v[6:7]
	v_add_f64 v[8:9], v[10:11], v[8:9]
	s_waitcnt vmcnt(0)
	s_delay_alu instid0(VALU_DEP_2) | instskip(NEXT) | instid1(VALU_DEP_2)
	v_add_f64 v[6:7], v[77:78], -v[2:3]
	v_add_f64 v[8:9], v[79:80], -v[8:9]
	scratch_store_b128 off, v[6:9], off offset:64
	v_cmpx_lt_u32_e32 3, v37
	s_cbranch_execz .LBB75_79
; %bb.78:
	scratch_load_b128 v[6:9], v38, off
	v_mov_b32_e32 v2, v1
	v_mov_b32_e32 v3, v1
	;; [unrolled: 1-line block ×3, first 2 shown]
	scratch_store_b128 off, v[1:4], off offset:48
	s_waitcnt vmcnt(0)
	ds_store_b128 v5, v[6:9]
.LBB75_79:
	s_or_b32 exec_lo, exec_lo, s2
	s_waitcnt lgkmcnt(0)
	s_waitcnt_vscnt null, 0x0
	s_barrier
	buffer_gl0_inv
	s_clause 0x7
	scratch_load_b128 v[6:9], off, off offset:64
	scratch_load_b128 v[49:52], off, off offset:80
	;; [unrolled: 1-line block ×8, first 2 shown]
	ds_load_b128 v[77:80], v1 offset:256
	ds_load_b128 v[81:84], v1 offset:272
	scratch_load_b128 v[85:88], off, off offset:48
	s_mov_b32 s2, exec_lo
	s_waitcnt vmcnt(8) lgkmcnt(1)
	v_mul_f64 v[2:3], v[79:80], v[8:9]
	v_mul_f64 v[8:9], v[77:78], v[8:9]
	s_waitcnt vmcnt(7) lgkmcnt(0)
	v_mul_f64 v[10:11], v[81:82], v[51:52]
	v_mul_f64 v[51:52], v[83:84], v[51:52]
	s_delay_alu instid0(VALU_DEP_4) | instskip(NEXT) | instid1(VALU_DEP_4)
	v_fma_f64 v[2:3], v[77:78], v[6:7], -v[2:3]
	v_fma_f64 v[89:90], v[79:80], v[6:7], v[8:9]
	ds_load_b128 v[6:9], v1 offset:288
	ds_load_b128 v[77:80], v1 offset:304
	v_fma_f64 v[10:11], v[83:84], v[49:50], v[10:11]
	v_fma_f64 v[49:50], v[81:82], v[49:50], -v[51:52]
	s_waitcnt vmcnt(6) lgkmcnt(1)
	v_mul_f64 v[91:92], v[6:7], v[55:56]
	v_mul_f64 v[55:56], v[8:9], v[55:56]
	s_waitcnt vmcnt(5) lgkmcnt(0)
	v_mul_f64 v[81:82], v[77:78], v[59:60]
	v_mul_f64 v[59:60], v[79:80], v[59:60]
	v_add_f64 v[2:3], v[2:3], 0
	v_add_f64 v[51:52], v[89:90], 0
	v_fma_f64 v[83:84], v[8:9], v[53:54], v[91:92]
	v_fma_f64 v[53:54], v[6:7], v[53:54], -v[55:56]
	v_fma_f64 v[79:80], v[79:80], v[57:58], v[81:82]
	v_fma_f64 v[57:58], v[77:78], v[57:58], -v[59:60]
	v_add_f64 v[2:3], v[2:3], v[49:50]
	v_add_f64 v[10:11], v[51:52], v[10:11]
	ds_load_b128 v[6:9], v1 offset:320
	ds_load_b128 v[49:52], v1 offset:336
	s_waitcnt vmcnt(4) lgkmcnt(1)
	v_mul_f64 v[55:56], v[6:7], v[63:64]
	v_mul_f64 v[63:64], v[8:9], v[63:64]
	s_waitcnt vmcnt(3) lgkmcnt(0)
	v_mul_f64 v[59:60], v[51:52], v[67:68]
	v_add_f64 v[2:3], v[2:3], v[53:54]
	v_add_f64 v[10:11], v[10:11], v[83:84]
	v_mul_f64 v[53:54], v[49:50], v[67:68]
	v_fma_f64 v[55:56], v[8:9], v[61:62], v[55:56]
	v_fma_f64 v[61:62], v[6:7], v[61:62], -v[63:64]
	v_fma_f64 v[49:50], v[49:50], v[65:66], -v[59:60]
	v_add_f64 v[57:58], v[2:3], v[57:58]
	v_add_f64 v[10:11], v[10:11], v[79:80]
	ds_load_b128 v[6:9], v1 offset:352
	ds_load_b128 v[1:4], v1 offset:368
	v_fma_f64 v[51:52], v[51:52], v[65:66], v[53:54]
	s_waitcnt vmcnt(2) lgkmcnt(1)
	v_mul_f64 v[63:64], v[6:7], v[71:72]
	v_mul_f64 v[67:68], v[8:9], v[71:72]
	v_add_f64 v[53:54], v[57:58], v[61:62]
	v_add_f64 v[10:11], v[10:11], v[55:56]
	s_waitcnt vmcnt(1) lgkmcnt(0)
	v_mul_f64 v[55:56], v[1:2], v[75:76]
	v_mul_f64 v[57:58], v[3:4], v[75:76]
	v_fma_f64 v[8:9], v[8:9], v[69:70], v[63:64]
	v_fma_f64 v[6:7], v[6:7], v[69:70], -v[67:68]
	v_add_f64 v[49:50], v[53:54], v[49:50]
	v_add_f64 v[10:11], v[10:11], v[51:52]
	v_fma_f64 v[3:4], v[3:4], v[73:74], v[55:56]
	v_fma_f64 v[1:2], v[1:2], v[73:74], -v[57:58]
	s_delay_alu instid0(VALU_DEP_4) | instskip(NEXT) | instid1(VALU_DEP_4)
	v_add_f64 v[6:7], v[49:50], v[6:7]
	v_add_f64 v[8:9], v[10:11], v[8:9]
	s_delay_alu instid0(VALU_DEP_2) | instskip(NEXT) | instid1(VALU_DEP_2)
	v_add_f64 v[1:2], v[6:7], v[1:2]
	v_add_f64 v[3:4], v[8:9], v[3:4]
	s_waitcnt vmcnt(0)
	s_delay_alu instid0(VALU_DEP_2) | instskip(NEXT) | instid1(VALU_DEP_2)
	v_add_f64 v[1:2], v[85:86], -v[1:2]
	v_add_f64 v[3:4], v[87:88], -v[3:4]
	scratch_store_b128 off, v[1:4], off offset:48
	v_cmpx_lt_u32_e32 2, v37
	s_cbranch_execz .LBB75_81
; %bb.80:
	scratch_load_b128 v[1:4], v41, off
	v_mov_b32_e32 v6, 0
	s_delay_alu instid0(VALU_DEP_1)
	v_mov_b32_e32 v7, v6
	v_mov_b32_e32 v8, v6
	;; [unrolled: 1-line block ×3, first 2 shown]
	scratch_store_b128 off, v[6:9], off offset:32
	s_waitcnt vmcnt(0)
	ds_store_b128 v5, v[1:4]
.LBB75_81:
	s_or_b32 exec_lo, exec_lo, s2
	s_waitcnt lgkmcnt(0)
	s_waitcnt_vscnt null, 0x0
	s_barrier
	buffer_gl0_inv
	s_clause 0x7
	scratch_load_b128 v[6:9], off, off offset:48
	scratch_load_b128 v[49:52], off, off offset:64
	;; [unrolled: 1-line block ×8, first 2 shown]
	v_mov_b32_e32 v1, 0
	s_mov_b32 s2, exec_lo
	ds_load_b128 v[77:80], v1 offset:240
	s_clause 0x1
	scratch_load_b128 v[81:84], off, off offset:176
	scratch_load_b128 v[85:88], off, off offset:32
	ds_load_b128 v[89:92], v1 offset:256
	s_waitcnt vmcnt(9) lgkmcnt(1)
	v_mul_f64 v[2:3], v[79:80], v[8:9]
	v_mul_f64 v[8:9], v[77:78], v[8:9]
	s_waitcnt vmcnt(8) lgkmcnt(0)
	v_mul_f64 v[10:11], v[89:90], v[51:52]
	v_mul_f64 v[51:52], v[91:92], v[51:52]
	s_delay_alu instid0(VALU_DEP_4) | instskip(NEXT) | instid1(VALU_DEP_4)
	v_fma_f64 v[2:3], v[77:78], v[6:7], -v[2:3]
	v_fma_f64 v[93:94], v[79:80], v[6:7], v[8:9]
	ds_load_b128 v[6:9], v1 offset:272
	ds_load_b128 v[77:80], v1 offset:288
	v_fma_f64 v[10:11], v[91:92], v[49:50], v[10:11]
	v_fma_f64 v[49:50], v[89:90], v[49:50], -v[51:52]
	s_waitcnt vmcnt(7) lgkmcnt(1)
	v_mul_f64 v[95:96], v[6:7], v[55:56]
	v_mul_f64 v[55:56], v[8:9], v[55:56]
	s_waitcnt vmcnt(6) lgkmcnt(0)
	v_mul_f64 v[89:90], v[77:78], v[59:60]
	v_mul_f64 v[59:60], v[79:80], v[59:60]
	v_add_f64 v[2:3], v[2:3], 0
	v_add_f64 v[51:52], v[93:94], 0
	v_fma_f64 v[91:92], v[8:9], v[53:54], v[95:96]
	v_fma_f64 v[53:54], v[6:7], v[53:54], -v[55:56]
	v_fma_f64 v[79:80], v[79:80], v[57:58], v[89:90]
	v_fma_f64 v[57:58], v[77:78], v[57:58], -v[59:60]
	v_add_f64 v[2:3], v[2:3], v[49:50]
	v_add_f64 v[10:11], v[51:52], v[10:11]
	ds_load_b128 v[6:9], v1 offset:304
	ds_load_b128 v[49:52], v1 offset:320
	s_waitcnt vmcnt(5) lgkmcnt(1)
	v_mul_f64 v[55:56], v[6:7], v[63:64]
	v_mul_f64 v[63:64], v[8:9], v[63:64]
	s_waitcnt vmcnt(4) lgkmcnt(0)
	v_mul_f64 v[59:60], v[49:50], v[67:68]
	v_mul_f64 v[67:68], v[51:52], v[67:68]
	v_add_f64 v[2:3], v[2:3], v[53:54]
	v_add_f64 v[10:11], v[10:11], v[91:92]
	v_fma_f64 v[77:78], v[8:9], v[61:62], v[55:56]
	v_fma_f64 v[61:62], v[6:7], v[61:62], -v[63:64]
	ds_load_b128 v[6:9], v1 offset:336
	ds_load_b128 v[53:56], v1 offset:352
	v_fma_f64 v[51:52], v[51:52], v[65:66], v[59:60]
	v_fma_f64 v[49:50], v[49:50], v[65:66], -v[67:68]
	v_add_f64 v[2:3], v[2:3], v[57:58]
	v_add_f64 v[10:11], v[10:11], v[79:80]
	s_waitcnt vmcnt(3) lgkmcnt(1)
	v_mul_f64 v[57:58], v[6:7], v[71:72]
	v_mul_f64 v[63:64], v[8:9], v[71:72]
	s_waitcnt vmcnt(2) lgkmcnt(0)
	v_mul_f64 v[59:60], v[53:54], v[75:76]
	v_add_f64 v[2:3], v[2:3], v[61:62]
	v_add_f64 v[10:11], v[10:11], v[77:78]
	v_mul_f64 v[61:62], v[55:56], v[75:76]
	v_fma_f64 v[57:58], v[8:9], v[69:70], v[57:58]
	v_fma_f64 v[63:64], v[6:7], v[69:70], -v[63:64]
	ds_load_b128 v[6:9], v1 offset:368
	v_fma_f64 v[55:56], v[55:56], v[73:74], v[59:60]
	v_add_f64 v[2:3], v[2:3], v[49:50]
	v_add_f64 v[10:11], v[10:11], v[51:52]
	s_waitcnt vmcnt(1) lgkmcnt(0)
	v_mul_f64 v[49:50], v[6:7], v[83:84]
	v_mul_f64 v[51:52], v[8:9], v[83:84]
	v_fma_f64 v[53:54], v[53:54], v[73:74], -v[61:62]
	v_add_f64 v[2:3], v[2:3], v[63:64]
	v_add_f64 v[10:11], v[10:11], v[57:58]
	v_fma_f64 v[8:9], v[8:9], v[81:82], v[49:50]
	v_fma_f64 v[6:7], v[6:7], v[81:82], -v[51:52]
	s_delay_alu instid0(VALU_DEP_4) | instskip(NEXT) | instid1(VALU_DEP_4)
	v_add_f64 v[2:3], v[2:3], v[53:54]
	v_add_f64 v[10:11], v[10:11], v[55:56]
	s_delay_alu instid0(VALU_DEP_2) | instskip(NEXT) | instid1(VALU_DEP_2)
	v_add_f64 v[2:3], v[2:3], v[6:7]
	v_add_f64 v[8:9], v[10:11], v[8:9]
	s_waitcnt vmcnt(0)
	s_delay_alu instid0(VALU_DEP_2) | instskip(NEXT) | instid1(VALU_DEP_2)
	v_add_f64 v[6:7], v[85:86], -v[2:3]
	v_add_f64 v[8:9], v[87:88], -v[8:9]
	scratch_store_b128 off, v[6:9], off offset:32
	v_cmpx_lt_u32_e32 1, v37
	s_cbranch_execz .LBB75_83
; %bb.82:
	scratch_load_b128 v[6:9], v39, off
	v_mov_b32_e32 v2, v1
	v_mov_b32_e32 v3, v1
	;; [unrolled: 1-line block ×3, first 2 shown]
	scratch_store_b128 off, v[1:4], off offset:16
	s_waitcnt vmcnt(0)
	ds_store_b128 v5, v[6:9]
.LBB75_83:
	s_or_b32 exec_lo, exec_lo, s2
	s_waitcnt lgkmcnt(0)
	s_waitcnt_vscnt null, 0x0
	s_barrier
	buffer_gl0_inv
	s_clause 0x8
	scratch_load_b128 v[6:9], off, off offset:32
	scratch_load_b128 v[49:52], off, off offset:48
	;; [unrolled: 1-line block ×9, first 2 shown]
	ds_load_b128 v[81:84], v1 offset:224
	ds_load_b128 v[85:88], v1 offset:240
	scratch_load_b128 v[89:92], off, off offset:16
	s_mov_b32 s2, exec_lo
	s_waitcnt vmcnt(9) lgkmcnt(1)
	v_mul_f64 v[2:3], v[83:84], v[8:9]
	v_mul_f64 v[93:94], v[81:82], v[8:9]
	scratch_load_b128 v[8:11], off, off offset:176
	s_waitcnt vmcnt(9) lgkmcnt(0)
	v_mul_f64 v[97:98], v[85:86], v[51:52]
	v_mul_f64 v[51:52], v[87:88], v[51:52]
	v_fma_f64 v[2:3], v[81:82], v[6:7], -v[2:3]
	v_fma_f64 v[6:7], v[83:84], v[6:7], v[93:94]
	ds_load_b128 v[81:84], v1 offset:256
	ds_load_b128 v[93:96], v1 offset:272
	v_fma_f64 v[87:88], v[87:88], v[49:50], v[97:98]
	v_fma_f64 v[49:50], v[85:86], v[49:50], -v[51:52]
	s_waitcnt vmcnt(8) lgkmcnt(1)
	v_mul_f64 v[99:100], v[81:82], v[55:56]
	v_mul_f64 v[55:56], v[83:84], v[55:56]
	s_waitcnt vmcnt(7) lgkmcnt(0)
	v_mul_f64 v[85:86], v[93:94], v[59:60]
	v_mul_f64 v[59:60], v[95:96], v[59:60]
	v_add_f64 v[2:3], v[2:3], 0
	v_add_f64 v[6:7], v[6:7], 0
	v_fma_f64 v[83:84], v[83:84], v[53:54], v[99:100]
	v_fma_f64 v[81:82], v[81:82], v[53:54], -v[55:56]
	v_fma_f64 v[85:86], v[95:96], v[57:58], v[85:86]
	v_fma_f64 v[57:58], v[93:94], v[57:58], -v[59:60]
	v_add_f64 v[2:3], v[2:3], v[49:50]
	v_add_f64 v[6:7], v[6:7], v[87:88]
	ds_load_b128 v[49:52], v1 offset:288
	ds_load_b128 v[53:56], v1 offset:304
	s_waitcnt vmcnt(6) lgkmcnt(1)
	v_mul_f64 v[87:88], v[49:50], v[63:64]
	v_mul_f64 v[63:64], v[51:52], v[63:64]
	v_add_f64 v[2:3], v[2:3], v[81:82]
	v_add_f64 v[6:7], v[6:7], v[83:84]
	s_waitcnt vmcnt(5) lgkmcnt(0)
	v_mul_f64 v[81:82], v[53:54], v[67:68]
	v_mul_f64 v[67:68], v[55:56], v[67:68]
	v_fma_f64 v[83:84], v[51:52], v[61:62], v[87:88]
	v_fma_f64 v[61:62], v[49:50], v[61:62], -v[63:64]
	v_add_f64 v[2:3], v[2:3], v[57:58]
	v_add_f64 v[6:7], v[6:7], v[85:86]
	ds_load_b128 v[49:52], v1 offset:320
	ds_load_b128 v[57:60], v1 offset:336
	v_fma_f64 v[55:56], v[55:56], v[65:66], v[81:82]
	v_fma_f64 v[53:54], v[53:54], v[65:66], -v[67:68]
	s_waitcnt vmcnt(4) lgkmcnt(1)
	v_mul_f64 v[63:64], v[49:50], v[71:72]
	v_mul_f64 v[71:72], v[51:52], v[71:72]
	s_waitcnt vmcnt(3) lgkmcnt(0)
	v_mul_f64 v[65:66], v[59:60], v[75:76]
	v_add_f64 v[2:3], v[2:3], v[61:62]
	v_add_f64 v[6:7], v[6:7], v[83:84]
	v_mul_f64 v[61:62], v[57:58], v[75:76]
	v_fma_f64 v[63:64], v[51:52], v[69:70], v[63:64]
	v_fma_f64 v[67:68], v[49:50], v[69:70], -v[71:72]
	v_fma_f64 v[57:58], v[57:58], v[73:74], -v[65:66]
	v_add_f64 v[53:54], v[2:3], v[53:54]
	v_add_f64 v[6:7], v[6:7], v[55:56]
	ds_load_b128 v[49:52], v1 offset:352
	ds_load_b128 v[1:4], v1 offset:368
	v_fma_f64 v[59:60], v[59:60], v[73:74], v[61:62]
	s_waitcnt vmcnt(2) lgkmcnt(1)
	v_mul_f64 v[55:56], v[49:50], v[79:80]
	v_mul_f64 v[69:70], v[51:52], v[79:80]
	v_add_f64 v[53:54], v[53:54], v[67:68]
	v_add_f64 v[6:7], v[6:7], v[63:64]
	s_waitcnt vmcnt(0) lgkmcnt(0)
	v_mul_f64 v[61:62], v[1:2], v[10:11]
	v_mul_f64 v[10:11], v[3:4], v[10:11]
	v_fma_f64 v[51:52], v[51:52], v[77:78], v[55:56]
	v_fma_f64 v[49:50], v[49:50], v[77:78], -v[69:70]
	v_add_f64 v[53:54], v[53:54], v[57:58]
	v_add_f64 v[6:7], v[6:7], v[59:60]
	v_fma_f64 v[3:4], v[3:4], v[8:9], v[61:62]
	v_fma_f64 v[1:2], v[1:2], v[8:9], -v[10:11]
	s_delay_alu instid0(VALU_DEP_4) | instskip(NEXT) | instid1(VALU_DEP_4)
	v_add_f64 v[8:9], v[53:54], v[49:50]
	v_add_f64 v[6:7], v[6:7], v[51:52]
	s_delay_alu instid0(VALU_DEP_2) | instskip(NEXT) | instid1(VALU_DEP_2)
	v_add_f64 v[1:2], v[8:9], v[1:2]
	v_add_f64 v[3:4], v[6:7], v[3:4]
	s_delay_alu instid0(VALU_DEP_2) | instskip(NEXT) | instid1(VALU_DEP_2)
	v_add_f64 v[1:2], v[89:90], -v[1:2]
	v_add_f64 v[3:4], v[91:92], -v[3:4]
	scratch_store_b128 off, v[1:4], off offset:16
	v_cmpx_ne_u32_e32 0, v37
	s_cbranch_execz .LBB75_85
; %bb.84:
	scratch_load_b128 v[1:4], off, off
	v_mov_b32_e32 v6, 0
	s_delay_alu instid0(VALU_DEP_1)
	v_mov_b32_e32 v7, v6
	v_mov_b32_e32 v8, v6
	;; [unrolled: 1-line block ×3, first 2 shown]
	scratch_store_b128 off, v[6:9], off
	s_waitcnt vmcnt(0)
	ds_store_b128 v5, v[1:4]
.LBB75_85:
	s_or_b32 exec_lo, exec_lo, s2
	s_waitcnt lgkmcnt(0)
	s_waitcnt_vscnt null, 0x0
	s_barrier
	buffer_gl0_inv
	s_clause 0x7
	scratch_load_b128 v[1:4], off, off offset:16
	scratch_load_b128 v[5:8], off, off offset:32
	;; [unrolled: 1-line block ×8, first 2 shown]
	v_mov_b32_e32 v101, 0
	s_and_b32 vcc_lo, exec_lo, s14
	ds_load_b128 v[69:72], v101 offset:208
	s_clause 0x1
	scratch_load_b128 v[73:76], off, off offset:144
	scratch_load_b128 v[77:80], off, off
	ds_load_b128 v[81:84], v101 offset:224
	scratch_load_b128 v[85:88], off, off offset:160
	s_waitcnt vmcnt(10) lgkmcnt(1)
	v_mul_f64 v[89:90], v[71:72], v[3:4]
	v_mul_f64 v[3:4], v[69:70], v[3:4]
	s_delay_alu instid0(VALU_DEP_2) | instskip(NEXT) | instid1(VALU_DEP_2)
	v_fma_f64 v[95:96], v[69:70], v[1:2], -v[89:90]
	v_fma_f64 v[97:98], v[71:72], v[1:2], v[3:4]
	scratch_load_b128 v[69:72], off, off offset:176
	ds_load_b128 v[1:4], v101 offset:240
	s_waitcnt vmcnt(10) lgkmcnt(1)
	v_mul_f64 v[93:94], v[81:82], v[7:8]
	v_mul_f64 v[7:8], v[83:84], v[7:8]
	ds_load_b128 v[89:92], v101 offset:256
	s_waitcnt vmcnt(9) lgkmcnt(1)
	v_mul_f64 v[99:100], v[1:2], v[11:12]
	v_mul_f64 v[11:12], v[3:4], v[11:12]
	v_fma_f64 v[83:84], v[83:84], v[5:6], v[93:94]
	v_fma_f64 v[5:6], v[81:82], v[5:6], -v[7:8]
	v_add_f64 v[7:8], v[95:96], 0
	v_add_f64 v[81:82], v[97:98], 0
	s_waitcnt vmcnt(8) lgkmcnt(0)
	v_mul_f64 v[93:94], v[89:90], v[51:52]
	v_mul_f64 v[51:52], v[91:92], v[51:52]
	v_fma_f64 v[95:96], v[3:4], v[9:10], v[99:100]
	v_fma_f64 v[9:10], v[1:2], v[9:10], -v[11:12]
	v_add_f64 v[11:12], v[7:8], v[5:6]
	v_add_f64 v[81:82], v[81:82], v[83:84]
	ds_load_b128 v[1:4], v101 offset:272
	ds_load_b128 v[5:8], v101 offset:288
	v_fma_f64 v[91:92], v[91:92], v[49:50], v[93:94]
	v_fma_f64 v[49:50], v[89:90], v[49:50], -v[51:52]
	s_waitcnt vmcnt(7) lgkmcnt(1)
	v_mul_f64 v[83:84], v[1:2], v[55:56]
	v_mul_f64 v[55:56], v[3:4], v[55:56]
	s_waitcnt vmcnt(6) lgkmcnt(0)
	v_mul_f64 v[51:52], v[5:6], v[59:60]
	v_mul_f64 v[59:60], v[7:8], v[59:60]
	v_add_f64 v[9:10], v[11:12], v[9:10]
	v_add_f64 v[11:12], v[81:82], v[95:96]
	v_fma_f64 v[81:82], v[3:4], v[53:54], v[83:84]
	v_fma_f64 v[53:54], v[1:2], v[53:54], -v[55:56]
	v_fma_f64 v[7:8], v[7:8], v[57:58], v[51:52]
	v_fma_f64 v[5:6], v[5:6], v[57:58], -v[59:60]
	v_add_f64 v[49:50], v[9:10], v[49:50]
	v_add_f64 v[55:56], v[11:12], v[91:92]
	ds_load_b128 v[1:4], v101 offset:304
	ds_load_b128 v[9:12], v101 offset:320
	s_waitcnt vmcnt(5) lgkmcnt(1)
	v_mul_f64 v[83:84], v[1:2], v[63:64]
	v_mul_f64 v[63:64], v[3:4], v[63:64]
	v_add_f64 v[49:50], v[49:50], v[53:54]
	v_add_f64 v[51:52], v[55:56], v[81:82]
	s_waitcnt vmcnt(4) lgkmcnt(0)
	v_mul_f64 v[53:54], v[9:10], v[67:68]
	v_mul_f64 v[55:56], v[11:12], v[67:68]
	v_fma_f64 v[57:58], v[3:4], v[61:62], v[83:84]
	v_fma_f64 v[59:60], v[1:2], v[61:62], -v[63:64]
	v_add_f64 v[49:50], v[49:50], v[5:6]
	v_add_f64 v[51:52], v[51:52], v[7:8]
	ds_load_b128 v[1:4], v101 offset:336
	ds_load_b128 v[5:8], v101 offset:352
	v_fma_f64 v[11:12], v[11:12], v[65:66], v[53:54]
	v_fma_f64 v[9:10], v[9:10], v[65:66], -v[55:56]
	s_waitcnt vmcnt(3) lgkmcnt(1)
	v_mul_f64 v[61:62], v[1:2], v[75:76]
	v_mul_f64 v[63:64], v[3:4], v[75:76]
	s_waitcnt vmcnt(1) lgkmcnt(0)
	v_mul_f64 v[53:54], v[5:6], v[87:88]
	v_mul_f64 v[55:56], v[7:8], v[87:88]
	v_add_f64 v[49:50], v[49:50], v[59:60]
	v_add_f64 v[51:52], v[51:52], v[57:58]
	v_fma_f64 v[57:58], v[3:4], v[73:74], v[61:62]
	v_fma_f64 v[59:60], v[1:2], v[73:74], -v[63:64]
	ds_load_b128 v[1:4], v101 offset:368
	v_fma_f64 v[7:8], v[7:8], v[85:86], v[53:54]
	v_fma_f64 v[5:6], v[5:6], v[85:86], -v[55:56]
	v_add_f64 v[9:10], v[49:50], v[9:10]
	v_add_f64 v[11:12], v[51:52], v[11:12]
	s_waitcnt vmcnt(0) lgkmcnt(0)
	v_mul_f64 v[49:50], v[1:2], v[71:72]
	v_mul_f64 v[51:52], v[3:4], v[71:72]
	s_delay_alu instid0(VALU_DEP_4) | instskip(NEXT) | instid1(VALU_DEP_4)
	v_add_f64 v[9:10], v[9:10], v[59:60]
	v_add_f64 v[11:12], v[11:12], v[57:58]
	s_delay_alu instid0(VALU_DEP_4) | instskip(NEXT) | instid1(VALU_DEP_4)
	v_fma_f64 v[3:4], v[3:4], v[69:70], v[49:50]
	v_fma_f64 v[1:2], v[1:2], v[69:70], -v[51:52]
	s_delay_alu instid0(VALU_DEP_4) | instskip(NEXT) | instid1(VALU_DEP_4)
	v_add_f64 v[5:6], v[9:10], v[5:6]
	v_add_f64 v[7:8], v[11:12], v[7:8]
	s_delay_alu instid0(VALU_DEP_2) | instskip(NEXT) | instid1(VALU_DEP_2)
	v_add_f64 v[1:2], v[5:6], v[1:2]
	v_add_f64 v[3:4], v[7:8], v[3:4]
	s_delay_alu instid0(VALU_DEP_2) | instskip(NEXT) | instid1(VALU_DEP_2)
	v_add_f64 v[1:2], v[77:78], -v[1:2]
	v_add_f64 v[3:4], v[79:80], -v[3:4]
	scratch_store_b128 off, v[1:4], off
	s_cbranch_vccz .LBB75_109
; %bb.86:
	v_dual_mov_b32 v1, s8 :: v_dual_mov_b32 v2, s9
	s_load_b64 s[0:1], s[0:1], 0x4
	flat_load_b32 v1, v[1:2] offset:40
	v_bfe_u32 v2, v0, 10, 10
	v_bfe_u32 v0, v0, 20, 10
	s_waitcnt lgkmcnt(0)
	s_lshr_b32 s0, s0, 16
	s_delay_alu instid0(VALU_DEP_2) | instskip(SKIP_1) | instid1(SALU_CYCLE_1)
	v_mul_u32_u24_e32 v2, s1, v2
	s_mul_i32 s0, s0, s1
	v_mul_u32_u24_e32 v3, s0, v37
	s_mov_b32 s0, exec_lo
	s_delay_alu instid0(VALU_DEP_1) | instskip(NEXT) | instid1(VALU_DEP_1)
	v_add3_u32 v0, v3, v2, v0
	v_lshl_add_u32 v0, v0, 4, 0x188
	s_waitcnt vmcnt(0)
	v_cmpx_ne_u32_e32 11, v1
	s_cbranch_execz .LBB75_88
; %bb.87:
	v_lshl_add_u32 v9, v1, 4, 0
	s_clause 0x1
	scratch_load_b128 v[1:4], v48, off
	scratch_load_b128 v[5:8], v9, off offset:-16
	s_waitcnt vmcnt(1)
	ds_store_2addr_b64 v0, v[1:2], v[3:4] offset1:1
	s_waitcnt vmcnt(0)
	s_clause 0x1
	scratch_store_b128 v48, v[5:8], off
	scratch_store_b128 v9, v[1:4], off offset:-16
.LBB75_88:
	s_or_b32 exec_lo, exec_lo, s0
	v_dual_mov_b32 v1, s8 :: v_dual_mov_b32 v2, s9
	s_mov_b32 s0, exec_lo
	flat_load_b32 v1, v[1:2] offset:36
	s_waitcnt vmcnt(0) lgkmcnt(0)
	v_cmpx_ne_u32_e32 10, v1
	s_cbranch_execz .LBB75_90
; %bb.89:
	v_lshl_add_u32 v9, v1, 4, 0
	s_clause 0x1
	scratch_load_b128 v[1:4], v45, off
	scratch_load_b128 v[5:8], v9, off offset:-16
	s_waitcnt vmcnt(1)
	ds_store_2addr_b64 v0, v[1:2], v[3:4] offset1:1
	s_waitcnt vmcnt(0)
	s_clause 0x1
	scratch_store_b128 v45, v[5:8], off
	scratch_store_b128 v9, v[1:4], off offset:-16
.LBB75_90:
	s_or_b32 exec_lo, exec_lo, s0
	v_dual_mov_b32 v1, s8 :: v_dual_mov_b32 v2, s9
	s_mov_b32 s0, exec_lo
	flat_load_b32 v1, v[1:2] offset:32
	s_waitcnt vmcnt(0) lgkmcnt(0)
	;; [unrolled: 19-line block ×9, first 2 shown]
	v_cmpx_ne_u32_e32 2, v1
	s_cbranch_execz .LBB75_106
; %bb.105:
	v_lshl_add_u32 v9, v1, 4, 0
	s_clause 0x1
	scratch_load_b128 v[1:4], v39, off
	scratch_load_b128 v[5:8], v9, off offset:-16
	s_waitcnt vmcnt(1)
	ds_store_2addr_b64 v0, v[1:2], v[3:4] offset1:1
	s_waitcnt vmcnt(0)
	s_clause 0x1
	scratch_store_b128 v39, v[5:8], off
	scratch_store_b128 v9, v[1:4], off offset:-16
.LBB75_106:
	s_or_b32 exec_lo, exec_lo, s0
	v_dual_mov_b32 v1, s8 :: v_dual_mov_b32 v2, s9
	s_mov_b32 s0, exec_lo
	flat_load_b32 v1, v[1:2]
	s_waitcnt vmcnt(0) lgkmcnt(0)
	v_cmpx_ne_u32_e32 1, v1
	s_cbranch_execz .LBB75_108
; %bb.107:
	v_lshl_add_u32 v9, v1, 4, 0
	scratch_load_b128 v[1:4], off, off
	scratch_load_b128 v[5:8], v9, off offset:-16
	s_waitcnt vmcnt(1)
	ds_store_2addr_b64 v0, v[1:2], v[3:4] offset1:1
	s_waitcnt vmcnt(0)
	scratch_store_b128 off, v[5:8], off
	scratch_store_b128 v9, v[1:4], off offset:-16
.LBB75_108:
	s_or_b32 exec_lo, exec_lo, s0
.LBB75_109:
	scratch_load_b128 v[0:3], off, off
	s_clause 0xa
	scratch_load_b128 v[4:7], v39, off
	scratch_load_b128 v[8:11], v41, off
	;; [unrolled: 1-line block ×11, first 2 shown]
	s_waitcnt vmcnt(11)
	global_store_b128 v[13:14], v[0:3], off
	s_waitcnt vmcnt(10)
	global_store_b128 v[15:16], v[4:7], off
	;; [unrolled: 2-line block ×12, first 2 shown]
	s_endpgm
	.section	.rodata,"a",@progbits
	.p2align	6, 0x0
	.amdhsa_kernel _ZN9rocsolver6v33100L18getri_kernel_smallILi12E19rocblas_complex_numIdEPKPS3_EEvT1_iilPiilS8_bb
		.amdhsa_group_segment_fixed_size 1416
		.amdhsa_private_segment_fixed_size 208
		.amdhsa_kernarg_size 60
		.amdhsa_user_sgpr_count 15
		.amdhsa_user_sgpr_dispatch_ptr 1
		.amdhsa_user_sgpr_queue_ptr 0
		.amdhsa_user_sgpr_kernarg_segment_ptr 1
		.amdhsa_user_sgpr_dispatch_id 0
		.amdhsa_user_sgpr_private_segment_size 0
		.amdhsa_wavefront_size32 1
		.amdhsa_uses_dynamic_stack 0
		.amdhsa_enable_private_segment 1
		.amdhsa_system_sgpr_workgroup_id_x 1
		.amdhsa_system_sgpr_workgroup_id_y 0
		.amdhsa_system_sgpr_workgroup_id_z 0
		.amdhsa_system_sgpr_workgroup_info 0
		.amdhsa_system_vgpr_workitem_id 2
		.amdhsa_next_free_vgpr 102
		.amdhsa_next_free_sgpr 19
		.amdhsa_reserve_vcc 1
		.amdhsa_float_round_mode_32 0
		.amdhsa_float_round_mode_16_64 0
		.amdhsa_float_denorm_mode_32 3
		.amdhsa_float_denorm_mode_16_64 3
		.amdhsa_dx10_clamp 1
		.amdhsa_ieee_mode 1
		.amdhsa_fp16_overflow 0
		.amdhsa_workgroup_processor_mode 1
		.amdhsa_memory_ordered 1
		.amdhsa_forward_progress 0
		.amdhsa_shared_vgpr_count 0
		.amdhsa_exception_fp_ieee_invalid_op 0
		.amdhsa_exception_fp_denorm_src 0
		.amdhsa_exception_fp_ieee_div_zero 0
		.amdhsa_exception_fp_ieee_overflow 0
		.amdhsa_exception_fp_ieee_underflow 0
		.amdhsa_exception_fp_ieee_inexact 0
		.amdhsa_exception_int_div_zero 0
	.end_amdhsa_kernel
	.section	.text._ZN9rocsolver6v33100L18getri_kernel_smallILi12E19rocblas_complex_numIdEPKPS3_EEvT1_iilPiilS8_bb,"axG",@progbits,_ZN9rocsolver6v33100L18getri_kernel_smallILi12E19rocblas_complex_numIdEPKPS3_EEvT1_iilPiilS8_bb,comdat
.Lfunc_end75:
	.size	_ZN9rocsolver6v33100L18getri_kernel_smallILi12E19rocblas_complex_numIdEPKPS3_EEvT1_iilPiilS8_bb, .Lfunc_end75-_ZN9rocsolver6v33100L18getri_kernel_smallILi12E19rocblas_complex_numIdEPKPS3_EEvT1_iilPiilS8_bb
                                        ; -- End function
	.section	.AMDGPU.csdata,"",@progbits
; Kernel info:
; codeLenInByte = 12404
; NumSgprs: 21
; NumVgprs: 102
; ScratchSize: 208
; MemoryBound: 0
; FloatMode: 240
; IeeeMode: 1
; LDSByteSize: 1416 bytes/workgroup (compile time only)
; SGPRBlocks: 2
; VGPRBlocks: 12
; NumSGPRsForWavesPerEU: 21
; NumVGPRsForWavesPerEU: 102
; Occupancy: 12
; WaveLimiterHint : 1
; COMPUTE_PGM_RSRC2:SCRATCH_EN: 1
; COMPUTE_PGM_RSRC2:USER_SGPR: 15
; COMPUTE_PGM_RSRC2:TRAP_HANDLER: 0
; COMPUTE_PGM_RSRC2:TGID_X_EN: 1
; COMPUTE_PGM_RSRC2:TGID_Y_EN: 0
; COMPUTE_PGM_RSRC2:TGID_Z_EN: 0
; COMPUTE_PGM_RSRC2:TIDIG_COMP_CNT: 2
	.section	.text._ZN9rocsolver6v33100L18getri_kernel_smallILi13E19rocblas_complex_numIdEPKPS3_EEvT1_iilPiilS8_bb,"axG",@progbits,_ZN9rocsolver6v33100L18getri_kernel_smallILi13E19rocblas_complex_numIdEPKPS3_EEvT1_iilPiilS8_bb,comdat
	.globl	_ZN9rocsolver6v33100L18getri_kernel_smallILi13E19rocblas_complex_numIdEPKPS3_EEvT1_iilPiilS8_bb ; -- Begin function _ZN9rocsolver6v33100L18getri_kernel_smallILi13E19rocblas_complex_numIdEPKPS3_EEvT1_iilPiilS8_bb
	.p2align	8
	.type	_ZN9rocsolver6v33100L18getri_kernel_smallILi13E19rocblas_complex_numIdEPKPS3_EEvT1_iilPiilS8_bb,@function
_ZN9rocsolver6v33100L18getri_kernel_smallILi13E19rocblas_complex_numIdEPKPS3_EEvT1_iilPiilS8_bb: ; @_ZN9rocsolver6v33100L18getri_kernel_smallILi13E19rocblas_complex_numIdEPKPS3_EEvT1_iilPiilS8_bb
; %bb.0:
	v_and_b32_e32 v39, 0x3ff, v0
	s_mov_b32 s4, exec_lo
	s_delay_alu instid0(VALU_DEP_1)
	v_cmpx_gt_u32_e32 13, v39
	s_cbranch_execz .LBB76_66
; %bb.1:
	s_mov_b32 s10, s15
	s_clause 0x2
	s_load_b32 s15, s[2:3], 0x38
	s_load_b64 s[8:9], s[2:3], 0x0
	s_load_b128 s[4:7], s[2:3], 0x28
	s_waitcnt lgkmcnt(0)
	s_bitcmp1_b32 s15, 8
	s_cselect_b32 s14, -1, 0
	s_ashr_i32 s11, s10, 31
	s_delay_alu instid0(SALU_CYCLE_1) | instskip(NEXT) | instid1(SALU_CYCLE_1)
	s_lshl_b64 s[12:13], s[10:11], 3
	s_add_u32 s8, s8, s12
	s_addc_u32 s9, s9, s13
	s_load_b64 s[12:13], s[8:9], 0x0
	s_bfe_u32 s8, s15, 0x10008
	s_delay_alu instid0(SALU_CYCLE_1)
	s_cmp_eq_u32 s8, 0
                                        ; implicit-def: $sgpr8_sgpr9
	s_cbranch_scc1 .LBB76_3
; %bb.2:
	s_clause 0x1
	s_load_b32 s8, s[2:3], 0x20
	s_load_b64 s[16:17], s[2:3], 0x18
	s_mul_i32 s5, s10, s5
	s_mul_hi_u32 s9, s10, s4
	s_mul_i32 s18, s11, s4
	s_add_i32 s5, s9, s5
	s_mul_i32 s4, s10, s4
	s_add_i32 s5, s5, s18
	s_delay_alu instid0(SALU_CYCLE_1)
	s_lshl_b64 s[4:5], s[4:5], 2
	s_waitcnt lgkmcnt(0)
	s_ashr_i32 s9, s8, 31
	s_add_u32 s16, s16, s4
	s_addc_u32 s17, s17, s5
	s_lshl_b64 s[4:5], s[8:9], 2
	s_delay_alu instid0(SALU_CYCLE_1)
	s_add_u32 s8, s16, s4
	s_addc_u32 s9, s17, s5
.LBB76_3:
	s_load_b64 s[2:3], s[2:3], 0x8
	v_lshlrev_b32_e32 v52, 4, v39
	v_add_nc_u32_e64 v43, 0, 32
	s_waitcnt lgkmcnt(0)
	v_add3_u32 v5, s3, s3, v39
	s_ashr_i32 s5, s2, 31
	s_mov_b32 s4, s2
	s_mov_b32 s16, s3
	s_lshl_b64 s[4:5], s[4:5], 4
	v_add_nc_u32_e32 v7, s3, v5
	v_ashrrev_i32_e32 v6, 31, v5
	s_add_u32 s4, s12, s4
	s_addc_u32 s5, s13, s5
	v_add_co_u32 v13, s2, s4, v52
	v_add_nc_u32_e32 v9, s3, v7
	v_ashrrev_i32_e32 v8, 31, v7
	s_ashr_i32 s17, s3, 31
	v_add_co_ci_u32_e64 v14, null, s5, 0, s2
	s_delay_alu instid0(VALU_DEP_3)
	v_add_nc_u32_e32 v23, s3, v9
	v_lshlrev_b64 v[5:6], 4, v[5:6]
	s_lshl_b64 s[12:13], s[16:17], 4
	v_ashrrev_i32_e32 v10, 31, v9
	v_add_co_u32 v15, vcc_lo, v13, s12
	v_add_nc_u32_e32 v25, s3, v23
	v_lshlrev_b64 v[19:20], 4, v[7:8]
	v_ashrrev_i32_e32 v24, 31, v23
	v_add_co_ci_u32_e32 v16, vcc_lo, s13, v14, vcc_lo
	s_delay_alu instid0(VALU_DEP_4) | instskip(SKIP_3) | instid1(VALU_DEP_4)
	v_add_nc_u32_e32 v27, s3, v25
	v_add_co_u32 v17, vcc_lo, s4, v5
	v_lshlrev_b64 v[21:22], 4, v[9:10]
	v_ashrrev_i32_e32 v26, 31, v25
	v_add_nc_u32_e32 v29, s3, v27
	v_add_co_ci_u32_e32 v18, vcc_lo, s5, v6, vcc_lo
	v_add_co_u32 v19, vcc_lo, s4, v19
	v_lshlrev_b64 v[23:24], 4, v[23:24]
	v_ashrrev_i32_e32 v28, 31, v27
	v_add_co_ci_u32_e32 v20, vcc_lo, s5, v20, vcc_lo
	v_add_nc_u32_e32 v31, s3, v29
	v_add_co_u32 v21, vcc_lo, s4, v21
	v_lshlrev_b64 v[25:26], 4, v[25:26]
	v_ashrrev_i32_e32 v30, 31, v29
	v_add_co_ci_u32_e32 v22, vcc_lo, s5, v22, vcc_lo
	v_add_co_u32 v23, vcc_lo, s4, v23
	v_lshlrev_b64 v[27:28], 4, v[27:28]
	v_ashrrev_i32_e32 v32, 31, v31
	v_add_co_ci_u32_e32 v24, vcc_lo, s5, v24, vcc_lo
	v_add_co_u32 v25, vcc_lo, s4, v25
	v_lshlrev_b64 v[29:30], 4, v[29:30]
	v_add_nc_u32_e32 v34, s3, v31
	v_add_co_ci_u32_e32 v26, vcc_lo, s5, v26, vcc_lo
	v_add_co_u32 v27, vcc_lo, s4, v27
	v_lshlrev_b64 v[32:33], 4, v[31:32]
	v_add_co_ci_u32_e32 v28, vcc_lo, s5, v28, vcc_lo
	v_add_co_u32 v29, vcc_lo, s4, v29
	v_ashrrev_i32_e32 v35, 31, v34
	v_add_nc_u32_e32 v36, s3, v34
	v_add_co_ci_u32_e32 v30, vcc_lo, s5, v30, vcc_lo
	v_add_co_u32 v31, vcc_lo, s4, v32
	v_add_co_ci_u32_e32 v32, vcc_lo, s5, v33, vcc_lo
	v_lshlrev_b64 v[33:34], 4, v[34:35]
	v_ashrrev_i32_e32 v37, 31, v36
	v_add_nc_u32_e32 v35, s3, v36
	s_clause 0x4
	global_load_b128 v[1:4], v52, s[4:5]
	global_load_b128 v[5:8], v[15:16], off
	global_load_b128 v[9:12], v[17:18], off
	global_load_b128 v[44:47], v[19:20], off
	global_load_b128 v[48:51], v[21:22], off
	v_lshlrev_b64 v[37:38], 4, v[36:37]
	v_ashrrev_i32_e32 v36, 31, v35
	v_add_co_u32 v33, vcc_lo, s4, v33
	v_add_co_ci_u32_e32 v34, vcc_lo, s5, v34, vcc_lo
	s_delay_alu instid0(VALU_DEP_3)
	v_lshlrev_b64 v[40:41], 4, v[35:36]
	s_clause 0x1
	global_load_b128 v[53:56], v[23:24], off
	global_load_b128 v[57:60], v[25:26], off
	v_add_co_u32 v35, vcc_lo, s4, v37
	v_add_co_ci_u32_e32 v36, vcc_lo, s5, v38, vcc_lo
	v_add_co_u32 v37, vcc_lo, s4, v40
	v_add_co_ci_u32_e32 v38, vcc_lo, s5, v41, vcc_lo
	s_clause 0x5
	global_load_b128 v[61:64], v[27:28], off
	global_load_b128 v[65:68], v[29:30], off
	;; [unrolled: 1-line block ×6, first 2 shown]
	s_movk_i32 s2, 0x50
	s_movk_i32 s3, 0x70
	v_add_nc_u32_e64 v42, s2, 0
	s_movk_i32 s2, 0x60
	v_add_nc_u32_e64 v41, 0, 16
	v_add_nc_u32_e64 v40, 0, 48
	s_bitcmp0_b32 s15, 0
	s_waitcnt vmcnt(12)
	scratch_store_b128 off, v[1:4], off
	s_waitcnt vmcnt(11)
	scratch_store_b128 off, v[5:8], off offset:16
	s_waitcnt vmcnt(10)
	scratch_store_b128 off, v[9:12], off offset:32
	;; [unrolled: 2-line block ×3, first 2 shown]
	v_add_nc_u32_e64 v46, s2, 0
	s_movk_i32 s2, 0x80
	s_waitcnt vmcnt(8)
	scratch_store_b128 off, v[48:51], off offset:64
	s_waitcnt vmcnt(7)
	scratch_store_b128 off, v[53:56], off offset:80
	v_add_nc_u32_e64 v45, s3, 0
	s_movk_i32 s3, 0x90
	v_add_nc_u32_e64 v48, s2, 0
	s_movk_i32 s2, 0xa0
	v_add_nc_u32_e64 v47, s3, 0
	v_add_nc_u32_e64 v50, s2, 0
	s_movk_i32 s2, 0xb0
	s_movk_i32 s3, 0xc0
	v_add_nc_u32_e64 v44, 0, 64
	v_add_nc_u32_e64 v51, s2, 0
	v_add_nc_u32_e64 v49, s3, 0
	s_mov_b32 s3, -1
	s_waitcnt vmcnt(6)
	scratch_store_b128 off, v[57:60], off offset:96
	s_waitcnt vmcnt(5)
	scratch_store_b128 off, v[61:64], off offset:112
	;; [unrolled: 2-line block ×7, first 2 shown]
	s_cbranch_scc1 .LBB76_64
; %bb.4:
	v_cmp_eq_u32_e64 s2, 0, v39
	s_delay_alu instid0(VALU_DEP_1)
	s_and_saveexec_b32 s3, s2
	s_cbranch_execz .LBB76_6
; %bb.5:
	v_mov_b32_e32 v1, 0
	ds_store_b32 v1, v1 offset:416
.LBB76_6:
	s_or_b32 exec_lo, exec_lo, s3
	s_waitcnt lgkmcnt(0)
	s_waitcnt_vscnt null, 0x0
	s_barrier
	buffer_gl0_inv
	scratch_load_b128 v[1:4], v52, off
	s_waitcnt vmcnt(0)
	v_cmp_eq_f64_e32 vcc_lo, 0, v[1:2]
	v_cmp_eq_f64_e64 s3, 0, v[3:4]
	s_delay_alu instid0(VALU_DEP_1) | instskip(NEXT) | instid1(SALU_CYCLE_1)
	s_and_b32 s3, vcc_lo, s3
	s_and_saveexec_b32 s4, s3
	s_cbranch_execz .LBB76_10
; %bb.7:
	v_mov_b32_e32 v1, 0
	s_mov_b32 s5, 0
	ds_load_b32 v2, v1 offset:416
	s_waitcnt lgkmcnt(0)
	v_readfirstlane_b32 s3, v2
	v_add_nc_u32_e32 v2, 1, v39
	s_delay_alu instid0(VALU_DEP_2) | instskip(NEXT) | instid1(VALU_DEP_1)
	s_cmp_eq_u32 s3, 0
	v_cmp_gt_i32_e32 vcc_lo, s3, v2
	s_cselect_b32 s12, -1, 0
	s_delay_alu instid0(SALU_CYCLE_1) | instskip(NEXT) | instid1(SALU_CYCLE_1)
	s_or_b32 s12, s12, vcc_lo
	s_and_b32 exec_lo, exec_lo, s12
	s_cbranch_execz .LBB76_10
; %bb.8:
	v_mov_b32_e32 v3, s3
.LBB76_9:                               ; =>This Inner Loop Header: Depth=1
	ds_cmpstore_rtn_b32 v3, v1, v2, v3 offset:416
	s_waitcnt lgkmcnt(0)
	v_cmp_ne_u32_e32 vcc_lo, 0, v3
	v_cmp_le_i32_e64 s3, v3, v2
	s_delay_alu instid0(VALU_DEP_1) | instskip(NEXT) | instid1(SALU_CYCLE_1)
	s_and_b32 s3, vcc_lo, s3
	s_and_b32 s3, exec_lo, s3
	s_delay_alu instid0(SALU_CYCLE_1) | instskip(NEXT) | instid1(SALU_CYCLE_1)
	s_or_b32 s5, s3, s5
	s_and_not1_b32 exec_lo, exec_lo, s5
	s_cbranch_execnz .LBB76_9
.LBB76_10:
	s_or_b32 exec_lo, exec_lo, s4
	v_mov_b32_e32 v1, 0
	s_barrier
	buffer_gl0_inv
	ds_load_b32 v2, v1 offset:416
	s_and_saveexec_b32 s3, s2
	s_cbranch_execz .LBB76_12
; %bb.11:
	s_lshl_b64 s[4:5], s[10:11], 2
	s_delay_alu instid0(SALU_CYCLE_1)
	s_add_u32 s4, s6, s4
	s_addc_u32 s5, s7, s5
	s_waitcnt lgkmcnt(0)
	global_store_b32 v1, v2, s[4:5]
.LBB76_12:
	s_or_b32 exec_lo, exec_lo, s3
	s_waitcnt lgkmcnt(0)
	v_cmp_ne_u32_e32 vcc_lo, 0, v2
	s_mov_b32 s3, 0
	s_cbranch_vccnz .LBB76_64
; %bb.13:
	v_add_nc_u32_e32 v53, 0, v52
                                        ; implicit-def: $vgpr9_vgpr10
	scratch_load_b128 v[1:4], v53, off
	s_waitcnt vmcnt(0)
	v_cmp_gt_f64_e32 vcc_lo, 0, v[1:2]
	v_xor_b32_e32 v6, 0x80000000, v2
	v_xor_b32_e32 v7, 0x80000000, v4
	s_delay_alu instid0(VALU_DEP_2) | instskip(SKIP_1) | instid1(VALU_DEP_3)
	v_cndmask_b32_e32 v6, v2, v6, vcc_lo
	v_cmp_gt_f64_e32 vcc_lo, 0, v[3:4]
	v_dual_mov_b32 v5, v1 :: v_dual_cndmask_b32 v8, v4, v7
	v_mov_b32_e32 v7, v3
	s_delay_alu instid0(VALU_DEP_1) | instskip(SKIP_1) | instid1(SALU_CYCLE_1)
	v_cmp_ngt_f64_e32 vcc_lo, v[5:6], v[7:8]
                                        ; implicit-def: $vgpr5_vgpr6
	s_and_saveexec_b32 s3, vcc_lo
	s_xor_b32 s3, exec_lo, s3
	s_cbranch_execz .LBB76_15
; %bb.14:
	v_div_scale_f64 v[5:6], null, v[3:4], v[3:4], v[1:2]
	v_div_scale_f64 v[11:12], vcc_lo, v[1:2], v[3:4], v[1:2]
	s_delay_alu instid0(VALU_DEP_2) | instskip(SKIP_2) | instid1(VALU_DEP_1)
	v_rcp_f64_e32 v[7:8], v[5:6]
	s_waitcnt_depctr 0xfff
	v_fma_f64 v[9:10], -v[5:6], v[7:8], 1.0
	v_fma_f64 v[7:8], v[7:8], v[9:10], v[7:8]
	s_delay_alu instid0(VALU_DEP_1) | instskip(NEXT) | instid1(VALU_DEP_1)
	v_fma_f64 v[9:10], -v[5:6], v[7:8], 1.0
	v_fma_f64 v[7:8], v[7:8], v[9:10], v[7:8]
	s_delay_alu instid0(VALU_DEP_1) | instskip(NEXT) | instid1(VALU_DEP_1)
	v_mul_f64 v[9:10], v[11:12], v[7:8]
	v_fma_f64 v[5:6], -v[5:6], v[9:10], v[11:12]
	s_delay_alu instid0(VALU_DEP_1) | instskip(NEXT) | instid1(VALU_DEP_1)
	v_div_fmas_f64 v[5:6], v[5:6], v[7:8], v[9:10]
	v_div_fixup_f64 v[5:6], v[5:6], v[3:4], v[1:2]
	s_delay_alu instid0(VALU_DEP_1) | instskip(NEXT) | instid1(VALU_DEP_1)
	v_fma_f64 v[1:2], v[1:2], v[5:6], v[3:4]
	v_div_scale_f64 v[3:4], null, v[1:2], v[1:2], 1.0
	v_div_scale_f64 v[11:12], vcc_lo, 1.0, v[1:2], 1.0
	s_delay_alu instid0(VALU_DEP_2) | instskip(SKIP_2) | instid1(VALU_DEP_1)
	v_rcp_f64_e32 v[7:8], v[3:4]
	s_waitcnt_depctr 0xfff
	v_fma_f64 v[9:10], -v[3:4], v[7:8], 1.0
	v_fma_f64 v[7:8], v[7:8], v[9:10], v[7:8]
	s_delay_alu instid0(VALU_DEP_1) | instskip(NEXT) | instid1(VALU_DEP_1)
	v_fma_f64 v[9:10], -v[3:4], v[7:8], 1.0
	v_fma_f64 v[7:8], v[7:8], v[9:10], v[7:8]
	s_delay_alu instid0(VALU_DEP_1) | instskip(NEXT) | instid1(VALU_DEP_1)
	v_mul_f64 v[9:10], v[11:12], v[7:8]
	v_fma_f64 v[3:4], -v[3:4], v[9:10], v[11:12]
	s_delay_alu instid0(VALU_DEP_1) | instskip(NEXT) | instid1(VALU_DEP_1)
	v_div_fmas_f64 v[3:4], v[3:4], v[7:8], v[9:10]
	v_div_fixup_f64 v[7:8], v[3:4], v[1:2], 1.0
                                        ; implicit-def: $vgpr1_vgpr2
	s_delay_alu instid0(VALU_DEP_1) | instskip(SKIP_1) | instid1(VALU_DEP_2)
	v_mul_f64 v[5:6], v[5:6], v[7:8]
	v_xor_b32_e32 v8, 0x80000000, v8
	v_xor_b32_e32 v10, 0x80000000, v6
	s_delay_alu instid0(VALU_DEP_3)
	v_mov_b32_e32 v9, v5
.LBB76_15:
	s_and_not1_saveexec_b32 s3, s3
	s_cbranch_execz .LBB76_17
; %bb.16:
	v_div_scale_f64 v[5:6], null, v[1:2], v[1:2], v[3:4]
	v_div_scale_f64 v[11:12], vcc_lo, v[3:4], v[1:2], v[3:4]
	s_delay_alu instid0(VALU_DEP_2) | instskip(SKIP_2) | instid1(VALU_DEP_1)
	v_rcp_f64_e32 v[7:8], v[5:6]
	s_waitcnt_depctr 0xfff
	v_fma_f64 v[9:10], -v[5:6], v[7:8], 1.0
	v_fma_f64 v[7:8], v[7:8], v[9:10], v[7:8]
	s_delay_alu instid0(VALU_DEP_1) | instskip(NEXT) | instid1(VALU_DEP_1)
	v_fma_f64 v[9:10], -v[5:6], v[7:8], 1.0
	v_fma_f64 v[7:8], v[7:8], v[9:10], v[7:8]
	s_delay_alu instid0(VALU_DEP_1) | instskip(NEXT) | instid1(VALU_DEP_1)
	v_mul_f64 v[9:10], v[11:12], v[7:8]
	v_fma_f64 v[5:6], -v[5:6], v[9:10], v[11:12]
	s_delay_alu instid0(VALU_DEP_1) | instskip(NEXT) | instid1(VALU_DEP_1)
	v_div_fmas_f64 v[5:6], v[5:6], v[7:8], v[9:10]
	v_div_fixup_f64 v[7:8], v[5:6], v[1:2], v[3:4]
	s_delay_alu instid0(VALU_DEP_1) | instskip(NEXT) | instid1(VALU_DEP_1)
	v_fma_f64 v[1:2], v[3:4], v[7:8], v[1:2]
	v_div_scale_f64 v[3:4], null, v[1:2], v[1:2], 1.0
	s_delay_alu instid0(VALU_DEP_1) | instskip(SKIP_2) | instid1(VALU_DEP_1)
	v_rcp_f64_e32 v[5:6], v[3:4]
	s_waitcnt_depctr 0xfff
	v_fma_f64 v[9:10], -v[3:4], v[5:6], 1.0
	v_fma_f64 v[5:6], v[5:6], v[9:10], v[5:6]
	s_delay_alu instid0(VALU_DEP_1) | instskip(NEXT) | instid1(VALU_DEP_1)
	v_fma_f64 v[9:10], -v[3:4], v[5:6], 1.0
	v_fma_f64 v[5:6], v[5:6], v[9:10], v[5:6]
	v_div_scale_f64 v[9:10], vcc_lo, 1.0, v[1:2], 1.0
	s_delay_alu instid0(VALU_DEP_1) | instskip(NEXT) | instid1(VALU_DEP_1)
	v_mul_f64 v[11:12], v[9:10], v[5:6]
	v_fma_f64 v[3:4], -v[3:4], v[11:12], v[9:10]
	s_delay_alu instid0(VALU_DEP_1) | instskip(NEXT) | instid1(VALU_DEP_1)
	v_div_fmas_f64 v[3:4], v[3:4], v[5:6], v[11:12]
	v_div_fixup_f64 v[5:6], v[3:4], v[1:2], 1.0
	s_delay_alu instid0(VALU_DEP_1)
	v_mul_f64 v[7:8], v[7:8], -v[5:6]
	v_xor_b32_e32 v10, 0x80000000, v6
	v_mov_b32_e32 v9, v5
.LBB76_17:
	s_or_b32 exec_lo, exec_lo, s3
	scratch_store_b128 v53, v[5:8], off
	scratch_load_b128 v[1:4], v41, off
	v_xor_b32_e32 v12, 0x80000000, v8
	v_mov_b32_e32 v11, v7
	v_add_nc_u32_e32 v5, 0xd0, v52
	ds_store_b128 v52, v[9:12]
	s_waitcnt vmcnt(0)
	ds_store_b128 v52, v[1:4] offset:208
	s_waitcnt lgkmcnt(0)
	s_waitcnt_vscnt null, 0x0
	s_barrier
	buffer_gl0_inv
	s_and_saveexec_b32 s3, s2
	s_cbranch_execz .LBB76_19
; %bb.18:
	scratch_load_b128 v[1:4], v53, off
	ds_load_b128 v[6:9], v5
	v_mov_b32_e32 v10, 0
	ds_load_b128 v[54:57], v10 offset:16
	s_waitcnt vmcnt(0) lgkmcnt(1)
	v_mul_f64 v[10:11], v[6:7], v[3:4]
	v_mul_f64 v[3:4], v[8:9], v[3:4]
	s_delay_alu instid0(VALU_DEP_2) | instskip(NEXT) | instid1(VALU_DEP_2)
	v_fma_f64 v[8:9], v[8:9], v[1:2], v[10:11]
	v_fma_f64 v[1:2], v[6:7], v[1:2], -v[3:4]
	s_delay_alu instid0(VALU_DEP_2) | instskip(NEXT) | instid1(VALU_DEP_2)
	v_add_f64 v[3:4], v[8:9], 0
	v_add_f64 v[1:2], v[1:2], 0
	s_waitcnt lgkmcnt(0)
	s_delay_alu instid0(VALU_DEP_2) | instskip(NEXT) | instid1(VALU_DEP_2)
	v_mul_f64 v[6:7], v[3:4], v[56:57]
	v_mul_f64 v[8:9], v[1:2], v[56:57]
	s_delay_alu instid0(VALU_DEP_2) | instskip(NEXT) | instid1(VALU_DEP_2)
	v_fma_f64 v[1:2], v[1:2], v[54:55], -v[6:7]
	v_fma_f64 v[3:4], v[3:4], v[54:55], v[8:9]
	scratch_store_b128 off, v[1:4], off offset:16
.LBB76_19:
	s_or_b32 exec_lo, exec_lo, s3
	s_waitcnt_vscnt null, 0x0
	s_barrier
	buffer_gl0_inv
	scratch_load_b128 v[1:4], v43, off
	s_mov_b32 s3, exec_lo
	s_waitcnt vmcnt(0)
	ds_store_b128 v5, v[1:4]
	s_waitcnt lgkmcnt(0)
	s_barrier
	buffer_gl0_inv
	v_cmpx_gt_u32_e32 2, v39
	s_cbranch_execz .LBB76_23
; %bb.20:
	scratch_load_b128 v[1:4], v53, off
	ds_load_b128 v[6:9], v5
	s_waitcnt vmcnt(0) lgkmcnt(0)
	v_mul_f64 v[10:11], v[8:9], v[3:4]
	v_mul_f64 v[3:4], v[6:7], v[3:4]
	s_delay_alu instid0(VALU_DEP_2) | instskip(NEXT) | instid1(VALU_DEP_2)
	v_fma_f64 v[6:7], v[6:7], v[1:2], -v[10:11]
	v_fma_f64 v[3:4], v[8:9], v[1:2], v[3:4]
	s_delay_alu instid0(VALU_DEP_2) | instskip(NEXT) | instid1(VALU_DEP_2)
	v_add_f64 v[1:2], v[6:7], 0
	v_add_f64 v[3:4], v[3:4], 0
	s_and_saveexec_b32 s4, s2
	s_cbranch_execz .LBB76_22
; %bb.21:
	scratch_load_b128 v[6:9], off, off offset:16
	v_mov_b32_e32 v10, 0
	ds_load_b128 v[54:57], v10 offset:224
	s_waitcnt vmcnt(0) lgkmcnt(0)
	v_mul_f64 v[10:11], v[54:55], v[8:9]
	v_mul_f64 v[8:9], v[56:57], v[8:9]
	s_delay_alu instid0(VALU_DEP_2) | instskip(NEXT) | instid1(VALU_DEP_2)
	v_fma_f64 v[10:11], v[56:57], v[6:7], v[10:11]
	v_fma_f64 v[6:7], v[54:55], v[6:7], -v[8:9]
	s_delay_alu instid0(VALU_DEP_2) | instskip(NEXT) | instid1(VALU_DEP_2)
	v_add_f64 v[3:4], v[3:4], v[10:11]
	v_add_f64 v[1:2], v[1:2], v[6:7]
.LBB76_22:
	s_or_b32 exec_lo, exec_lo, s4
	v_mov_b32_e32 v6, 0
	ds_load_b128 v[6:9], v6 offset:32
	s_waitcnt lgkmcnt(0)
	v_mul_f64 v[10:11], v[3:4], v[8:9]
	v_mul_f64 v[8:9], v[1:2], v[8:9]
	s_delay_alu instid0(VALU_DEP_2) | instskip(NEXT) | instid1(VALU_DEP_2)
	v_fma_f64 v[1:2], v[1:2], v[6:7], -v[10:11]
	v_fma_f64 v[3:4], v[3:4], v[6:7], v[8:9]
	scratch_store_b128 off, v[1:4], off offset:32
.LBB76_23:
	s_or_b32 exec_lo, exec_lo, s3
	s_waitcnt_vscnt null, 0x0
	s_barrier
	buffer_gl0_inv
	scratch_load_b128 v[1:4], v40, off
	v_add_nc_u32_e32 v6, -1, v39
	s_mov_b32 s2, exec_lo
	s_waitcnt vmcnt(0)
	ds_store_b128 v5, v[1:4]
	s_waitcnt lgkmcnt(0)
	s_barrier
	buffer_gl0_inv
	v_cmpx_gt_u32_e32 3, v39
	s_cbranch_execz .LBB76_27
; %bb.24:
	v_dual_mov_b32 v1, 0 :: v_dual_add_nc_u32 v8, 0xd0, v52
	v_dual_mov_b32 v2, 0 :: v_dual_add_nc_u32 v7, -1, v39
	v_or_b32_e32 v9, 8, v53
	s_mov_b32 s3, 0
	s_delay_alu instid0(VALU_DEP_2)
	v_dual_mov_b32 v4, v2 :: v_dual_mov_b32 v3, v1
	.p2align	6
.LBB76_25:                              ; =>This Inner Loop Header: Depth=1
	scratch_load_b128 v[54:57], v9, off offset:-8
	ds_load_b128 v[58:61], v8
	v_add_nc_u32_e32 v7, 1, v7
	v_add_nc_u32_e32 v8, 16, v8
	v_add_nc_u32_e32 v9, 16, v9
	s_delay_alu instid0(VALU_DEP_3) | instskip(SKIP_4) | instid1(VALU_DEP_2)
	v_cmp_lt_u32_e32 vcc_lo, 1, v7
	s_or_b32 s3, vcc_lo, s3
	s_waitcnt vmcnt(0) lgkmcnt(0)
	v_mul_f64 v[10:11], v[60:61], v[56:57]
	v_mul_f64 v[56:57], v[58:59], v[56:57]
	v_fma_f64 v[10:11], v[58:59], v[54:55], -v[10:11]
	s_delay_alu instid0(VALU_DEP_2) | instskip(NEXT) | instid1(VALU_DEP_2)
	v_fma_f64 v[54:55], v[60:61], v[54:55], v[56:57]
	v_add_f64 v[3:4], v[3:4], v[10:11]
	s_delay_alu instid0(VALU_DEP_2)
	v_add_f64 v[1:2], v[1:2], v[54:55]
	s_and_not1_b32 exec_lo, exec_lo, s3
	s_cbranch_execnz .LBB76_25
; %bb.26:
	s_or_b32 exec_lo, exec_lo, s3
	v_mov_b32_e32 v7, 0
	ds_load_b128 v[7:10], v7 offset:48
	s_waitcnt lgkmcnt(0)
	v_mul_f64 v[11:12], v[1:2], v[9:10]
	v_mul_f64 v[54:55], v[3:4], v[9:10]
	s_delay_alu instid0(VALU_DEP_2) | instskip(NEXT) | instid1(VALU_DEP_2)
	v_fma_f64 v[9:10], v[3:4], v[7:8], -v[11:12]
	v_fma_f64 v[11:12], v[1:2], v[7:8], v[54:55]
	scratch_store_b128 off, v[9:12], off offset:48
.LBB76_27:
	s_or_b32 exec_lo, exec_lo, s2
	s_waitcnt_vscnt null, 0x0
	s_barrier
	buffer_gl0_inv
	scratch_load_b128 v[1:4], v44, off
	s_mov_b32 s2, exec_lo
	s_waitcnt vmcnt(0)
	ds_store_b128 v5, v[1:4]
	s_waitcnt lgkmcnt(0)
	s_barrier
	buffer_gl0_inv
	v_cmpx_gt_u32_e32 4, v39
	s_cbranch_execz .LBB76_31
; %bb.28:
	v_dual_mov_b32 v1, 0 :: v_dual_add_nc_u32 v8, 0xd0, v52
	v_dual_mov_b32 v2, 0 :: v_dual_add_nc_u32 v7, -1, v39
	v_or_b32_e32 v9, 8, v53
	s_mov_b32 s3, 0
	s_delay_alu instid0(VALU_DEP_2)
	v_dual_mov_b32 v4, v2 :: v_dual_mov_b32 v3, v1
	.p2align	6
.LBB76_29:                              ; =>This Inner Loop Header: Depth=1
	scratch_load_b128 v[54:57], v9, off offset:-8
	ds_load_b128 v[58:61], v8
	v_add_nc_u32_e32 v7, 1, v7
	v_add_nc_u32_e32 v8, 16, v8
	;; [unrolled: 1-line block ×3, first 2 shown]
	s_delay_alu instid0(VALU_DEP_3) | instskip(SKIP_4) | instid1(VALU_DEP_2)
	v_cmp_lt_u32_e32 vcc_lo, 2, v7
	s_or_b32 s3, vcc_lo, s3
	s_waitcnt vmcnt(0) lgkmcnt(0)
	v_mul_f64 v[10:11], v[60:61], v[56:57]
	v_mul_f64 v[56:57], v[58:59], v[56:57]
	v_fma_f64 v[10:11], v[58:59], v[54:55], -v[10:11]
	s_delay_alu instid0(VALU_DEP_2) | instskip(NEXT) | instid1(VALU_DEP_2)
	v_fma_f64 v[54:55], v[60:61], v[54:55], v[56:57]
	v_add_f64 v[3:4], v[3:4], v[10:11]
	s_delay_alu instid0(VALU_DEP_2)
	v_add_f64 v[1:2], v[1:2], v[54:55]
	s_and_not1_b32 exec_lo, exec_lo, s3
	s_cbranch_execnz .LBB76_29
; %bb.30:
	s_or_b32 exec_lo, exec_lo, s3
	v_mov_b32_e32 v7, 0
	ds_load_b128 v[7:10], v7 offset:64
	s_waitcnt lgkmcnt(0)
	v_mul_f64 v[11:12], v[1:2], v[9:10]
	v_mul_f64 v[54:55], v[3:4], v[9:10]
	s_delay_alu instid0(VALU_DEP_2) | instskip(NEXT) | instid1(VALU_DEP_2)
	v_fma_f64 v[9:10], v[3:4], v[7:8], -v[11:12]
	v_fma_f64 v[11:12], v[1:2], v[7:8], v[54:55]
	scratch_store_b128 off, v[9:12], off offset:64
.LBB76_31:
	s_or_b32 exec_lo, exec_lo, s2
	s_waitcnt_vscnt null, 0x0
	s_barrier
	buffer_gl0_inv
	scratch_load_b128 v[1:4], v42, off
	s_mov_b32 s2, exec_lo
	s_waitcnt vmcnt(0)
	ds_store_b128 v5, v[1:4]
	s_waitcnt lgkmcnt(0)
	s_barrier
	buffer_gl0_inv
	v_cmpx_gt_u32_e32 5, v39
	s_cbranch_execz .LBB76_35
; %bb.32:
	v_dual_mov_b32 v1, 0 :: v_dual_add_nc_u32 v8, 0xd0, v52
	v_dual_mov_b32 v2, 0 :: v_dual_add_nc_u32 v7, -1, v39
	v_or_b32_e32 v9, 8, v53
	s_mov_b32 s3, 0
	s_delay_alu instid0(VALU_DEP_2)
	v_dual_mov_b32 v4, v2 :: v_dual_mov_b32 v3, v1
	.p2align	6
.LBB76_33:                              ; =>This Inner Loop Header: Depth=1
	scratch_load_b128 v[54:57], v9, off offset:-8
	ds_load_b128 v[58:61], v8
	v_add_nc_u32_e32 v7, 1, v7
	v_add_nc_u32_e32 v8, 16, v8
	;; [unrolled: 1-line block ×3, first 2 shown]
	s_delay_alu instid0(VALU_DEP_3) | instskip(SKIP_4) | instid1(VALU_DEP_2)
	v_cmp_lt_u32_e32 vcc_lo, 3, v7
	s_or_b32 s3, vcc_lo, s3
	s_waitcnt vmcnt(0) lgkmcnt(0)
	v_mul_f64 v[10:11], v[60:61], v[56:57]
	v_mul_f64 v[56:57], v[58:59], v[56:57]
	v_fma_f64 v[10:11], v[58:59], v[54:55], -v[10:11]
	s_delay_alu instid0(VALU_DEP_2) | instskip(NEXT) | instid1(VALU_DEP_2)
	v_fma_f64 v[54:55], v[60:61], v[54:55], v[56:57]
	v_add_f64 v[3:4], v[3:4], v[10:11]
	s_delay_alu instid0(VALU_DEP_2)
	v_add_f64 v[1:2], v[1:2], v[54:55]
	s_and_not1_b32 exec_lo, exec_lo, s3
	s_cbranch_execnz .LBB76_33
; %bb.34:
	s_or_b32 exec_lo, exec_lo, s3
	v_mov_b32_e32 v7, 0
	ds_load_b128 v[7:10], v7 offset:80
	s_waitcnt lgkmcnt(0)
	v_mul_f64 v[11:12], v[1:2], v[9:10]
	v_mul_f64 v[54:55], v[3:4], v[9:10]
	s_delay_alu instid0(VALU_DEP_2) | instskip(NEXT) | instid1(VALU_DEP_2)
	v_fma_f64 v[9:10], v[3:4], v[7:8], -v[11:12]
	v_fma_f64 v[11:12], v[1:2], v[7:8], v[54:55]
	scratch_store_b128 off, v[9:12], off offset:80
.LBB76_35:
	s_or_b32 exec_lo, exec_lo, s2
	s_waitcnt_vscnt null, 0x0
	s_barrier
	buffer_gl0_inv
	scratch_load_b128 v[1:4], v46, off
	s_mov_b32 s2, exec_lo
	s_waitcnt vmcnt(0)
	ds_store_b128 v5, v[1:4]
	s_waitcnt lgkmcnt(0)
	s_barrier
	buffer_gl0_inv
	v_cmpx_gt_u32_e32 6, v39
	s_cbranch_execz .LBB76_39
; %bb.36:
	v_dual_mov_b32 v1, 0 :: v_dual_add_nc_u32 v8, 0xd0, v52
	v_dual_mov_b32 v2, 0 :: v_dual_add_nc_u32 v7, -1, v39
	v_or_b32_e32 v9, 8, v53
	s_mov_b32 s3, 0
	s_delay_alu instid0(VALU_DEP_2)
	v_dual_mov_b32 v4, v2 :: v_dual_mov_b32 v3, v1
	.p2align	6
.LBB76_37:                              ; =>This Inner Loop Header: Depth=1
	scratch_load_b128 v[54:57], v9, off offset:-8
	ds_load_b128 v[58:61], v8
	v_add_nc_u32_e32 v7, 1, v7
	v_add_nc_u32_e32 v8, 16, v8
	;; [unrolled: 1-line block ×3, first 2 shown]
	s_delay_alu instid0(VALU_DEP_3) | instskip(SKIP_4) | instid1(VALU_DEP_2)
	v_cmp_lt_u32_e32 vcc_lo, 4, v7
	s_or_b32 s3, vcc_lo, s3
	s_waitcnt vmcnt(0) lgkmcnt(0)
	v_mul_f64 v[10:11], v[60:61], v[56:57]
	v_mul_f64 v[56:57], v[58:59], v[56:57]
	v_fma_f64 v[10:11], v[58:59], v[54:55], -v[10:11]
	s_delay_alu instid0(VALU_DEP_2) | instskip(NEXT) | instid1(VALU_DEP_2)
	v_fma_f64 v[54:55], v[60:61], v[54:55], v[56:57]
	v_add_f64 v[3:4], v[3:4], v[10:11]
	s_delay_alu instid0(VALU_DEP_2)
	v_add_f64 v[1:2], v[1:2], v[54:55]
	s_and_not1_b32 exec_lo, exec_lo, s3
	s_cbranch_execnz .LBB76_37
; %bb.38:
	s_or_b32 exec_lo, exec_lo, s3
	v_mov_b32_e32 v7, 0
	ds_load_b128 v[7:10], v7 offset:96
	s_waitcnt lgkmcnt(0)
	v_mul_f64 v[11:12], v[1:2], v[9:10]
	v_mul_f64 v[54:55], v[3:4], v[9:10]
	s_delay_alu instid0(VALU_DEP_2) | instskip(NEXT) | instid1(VALU_DEP_2)
	v_fma_f64 v[9:10], v[3:4], v[7:8], -v[11:12]
	v_fma_f64 v[11:12], v[1:2], v[7:8], v[54:55]
	scratch_store_b128 off, v[9:12], off offset:96
.LBB76_39:
	s_or_b32 exec_lo, exec_lo, s2
	s_waitcnt_vscnt null, 0x0
	s_barrier
	buffer_gl0_inv
	scratch_load_b128 v[1:4], v45, off
	s_mov_b32 s2, exec_lo
	s_waitcnt vmcnt(0)
	ds_store_b128 v5, v[1:4]
	s_waitcnt lgkmcnt(0)
	s_barrier
	buffer_gl0_inv
	v_cmpx_gt_u32_e32 7, v39
	s_cbranch_execz .LBB76_43
; %bb.40:
	v_dual_mov_b32 v1, 0 :: v_dual_add_nc_u32 v8, 0xd0, v52
	v_dual_mov_b32 v2, 0 :: v_dual_add_nc_u32 v7, -1, v39
	v_or_b32_e32 v9, 8, v53
	s_mov_b32 s3, 0
	s_delay_alu instid0(VALU_DEP_2)
	v_dual_mov_b32 v4, v2 :: v_dual_mov_b32 v3, v1
	.p2align	6
.LBB76_41:                              ; =>This Inner Loop Header: Depth=1
	scratch_load_b128 v[54:57], v9, off offset:-8
	ds_load_b128 v[58:61], v8
	v_add_nc_u32_e32 v7, 1, v7
	v_add_nc_u32_e32 v8, 16, v8
	v_add_nc_u32_e32 v9, 16, v9
	s_delay_alu instid0(VALU_DEP_3) | instskip(SKIP_4) | instid1(VALU_DEP_2)
	v_cmp_lt_u32_e32 vcc_lo, 5, v7
	s_or_b32 s3, vcc_lo, s3
	s_waitcnt vmcnt(0) lgkmcnt(0)
	v_mul_f64 v[10:11], v[60:61], v[56:57]
	v_mul_f64 v[56:57], v[58:59], v[56:57]
	v_fma_f64 v[10:11], v[58:59], v[54:55], -v[10:11]
	s_delay_alu instid0(VALU_DEP_2) | instskip(NEXT) | instid1(VALU_DEP_2)
	v_fma_f64 v[54:55], v[60:61], v[54:55], v[56:57]
	v_add_f64 v[3:4], v[3:4], v[10:11]
	s_delay_alu instid0(VALU_DEP_2)
	v_add_f64 v[1:2], v[1:2], v[54:55]
	s_and_not1_b32 exec_lo, exec_lo, s3
	s_cbranch_execnz .LBB76_41
; %bb.42:
	s_or_b32 exec_lo, exec_lo, s3
	v_mov_b32_e32 v7, 0
	ds_load_b128 v[7:10], v7 offset:112
	s_waitcnt lgkmcnt(0)
	v_mul_f64 v[11:12], v[1:2], v[9:10]
	v_mul_f64 v[54:55], v[3:4], v[9:10]
	s_delay_alu instid0(VALU_DEP_2) | instskip(NEXT) | instid1(VALU_DEP_2)
	v_fma_f64 v[9:10], v[3:4], v[7:8], -v[11:12]
	v_fma_f64 v[11:12], v[1:2], v[7:8], v[54:55]
	scratch_store_b128 off, v[9:12], off offset:112
.LBB76_43:
	s_or_b32 exec_lo, exec_lo, s2
	s_waitcnt_vscnt null, 0x0
	s_barrier
	buffer_gl0_inv
	scratch_load_b128 v[1:4], v48, off
	s_mov_b32 s2, exec_lo
	s_waitcnt vmcnt(0)
	ds_store_b128 v5, v[1:4]
	s_waitcnt lgkmcnt(0)
	s_barrier
	buffer_gl0_inv
	v_cmpx_gt_u32_e32 8, v39
	s_cbranch_execz .LBB76_47
; %bb.44:
	v_dual_mov_b32 v1, 0 :: v_dual_add_nc_u32 v8, 0xd0, v52
	v_dual_mov_b32 v2, 0 :: v_dual_add_nc_u32 v7, -1, v39
	v_or_b32_e32 v9, 8, v53
	s_mov_b32 s3, 0
	s_delay_alu instid0(VALU_DEP_2)
	v_dual_mov_b32 v4, v2 :: v_dual_mov_b32 v3, v1
	.p2align	6
.LBB76_45:                              ; =>This Inner Loop Header: Depth=1
	scratch_load_b128 v[54:57], v9, off offset:-8
	ds_load_b128 v[58:61], v8
	v_add_nc_u32_e32 v7, 1, v7
	v_add_nc_u32_e32 v8, 16, v8
	;; [unrolled: 1-line block ×3, first 2 shown]
	s_delay_alu instid0(VALU_DEP_3) | instskip(SKIP_4) | instid1(VALU_DEP_2)
	v_cmp_lt_u32_e32 vcc_lo, 6, v7
	s_or_b32 s3, vcc_lo, s3
	s_waitcnt vmcnt(0) lgkmcnt(0)
	v_mul_f64 v[10:11], v[60:61], v[56:57]
	v_mul_f64 v[56:57], v[58:59], v[56:57]
	v_fma_f64 v[10:11], v[58:59], v[54:55], -v[10:11]
	s_delay_alu instid0(VALU_DEP_2) | instskip(NEXT) | instid1(VALU_DEP_2)
	v_fma_f64 v[54:55], v[60:61], v[54:55], v[56:57]
	v_add_f64 v[3:4], v[3:4], v[10:11]
	s_delay_alu instid0(VALU_DEP_2)
	v_add_f64 v[1:2], v[1:2], v[54:55]
	s_and_not1_b32 exec_lo, exec_lo, s3
	s_cbranch_execnz .LBB76_45
; %bb.46:
	s_or_b32 exec_lo, exec_lo, s3
	v_mov_b32_e32 v7, 0
	ds_load_b128 v[7:10], v7 offset:128
	s_waitcnt lgkmcnt(0)
	v_mul_f64 v[11:12], v[1:2], v[9:10]
	v_mul_f64 v[54:55], v[3:4], v[9:10]
	s_delay_alu instid0(VALU_DEP_2) | instskip(NEXT) | instid1(VALU_DEP_2)
	v_fma_f64 v[9:10], v[3:4], v[7:8], -v[11:12]
	v_fma_f64 v[11:12], v[1:2], v[7:8], v[54:55]
	scratch_store_b128 off, v[9:12], off offset:128
.LBB76_47:
	s_or_b32 exec_lo, exec_lo, s2
	s_waitcnt_vscnt null, 0x0
	s_barrier
	buffer_gl0_inv
	scratch_load_b128 v[1:4], v47, off
	s_mov_b32 s2, exec_lo
	s_waitcnt vmcnt(0)
	ds_store_b128 v5, v[1:4]
	s_waitcnt lgkmcnt(0)
	s_barrier
	buffer_gl0_inv
	v_cmpx_gt_u32_e32 9, v39
	s_cbranch_execz .LBB76_51
; %bb.48:
	v_dual_mov_b32 v1, 0 :: v_dual_add_nc_u32 v8, 0xd0, v52
	v_dual_mov_b32 v2, 0 :: v_dual_add_nc_u32 v7, -1, v39
	v_or_b32_e32 v9, 8, v53
	s_mov_b32 s3, 0
	s_delay_alu instid0(VALU_DEP_2)
	v_dual_mov_b32 v4, v2 :: v_dual_mov_b32 v3, v1
	.p2align	6
.LBB76_49:                              ; =>This Inner Loop Header: Depth=1
	scratch_load_b128 v[54:57], v9, off offset:-8
	ds_load_b128 v[58:61], v8
	v_add_nc_u32_e32 v7, 1, v7
	v_add_nc_u32_e32 v8, 16, v8
	;; [unrolled: 1-line block ×3, first 2 shown]
	s_delay_alu instid0(VALU_DEP_3) | instskip(SKIP_4) | instid1(VALU_DEP_2)
	v_cmp_lt_u32_e32 vcc_lo, 7, v7
	s_or_b32 s3, vcc_lo, s3
	s_waitcnt vmcnt(0) lgkmcnt(0)
	v_mul_f64 v[10:11], v[60:61], v[56:57]
	v_mul_f64 v[56:57], v[58:59], v[56:57]
	v_fma_f64 v[10:11], v[58:59], v[54:55], -v[10:11]
	s_delay_alu instid0(VALU_DEP_2) | instskip(NEXT) | instid1(VALU_DEP_2)
	v_fma_f64 v[54:55], v[60:61], v[54:55], v[56:57]
	v_add_f64 v[3:4], v[3:4], v[10:11]
	s_delay_alu instid0(VALU_DEP_2)
	v_add_f64 v[1:2], v[1:2], v[54:55]
	s_and_not1_b32 exec_lo, exec_lo, s3
	s_cbranch_execnz .LBB76_49
; %bb.50:
	s_or_b32 exec_lo, exec_lo, s3
	v_mov_b32_e32 v7, 0
	ds_load_b128 v[7:10], v7 offset:144
	s_waitcnt lgkmcnt(0)
	v_mul_f64 v[11:12], v[1:2], v[9:10]
	v_mul_f64 v[54:55], v[3:4], v[9:10]
	s_delay_alu instid0(VALU_DEP_2) | instskip(NEXT) | instid1(VALU_DEP_2)
	v_fma_f64 v[9:10], v[3:4], v[7:8], -v[11:12]
	v_fma_f64 v[11:12], v[1:2], v[7:8], v[54:55]
	scratch_store_b128 off, v[9:12], off offset:144
.LBB76_51:
	s_or_b32 exec_lo, exec_lo, s2
	s_waitcnt_vscnt null, 0x0
	s_barrier
	buffer_gl0_inv
	scratch_load_b128 v[1:4], v50, off
	s_mov_b32 s2, exec_lo
	s_waitcnt vmcnt(0)
	ds_store_b128 v5, v[1:4]
	s_waitcnt lgkmcnt(0)
	s_barrier
	buffer_gl0_inv
	v_cmpx_gt_u32_e32 10, v39
	s_cbranch_execz .LBB76_55
; %bb.52:
	v_dual_mov_b32 v1, 0 :: v_dual_add_nc_u32 v8, 0xd0, v52
	v_dual_mov_b32 v2, 0 :: v_dual_add_nc_u32 v7, -1, v39
	v_or_b32_e32 v9, 8, v53
	s_mov_b32 s3, 0
	s_delay_alu instid0(VALU_DEP_2)
	v_dual_mov_b32 v4, v2 :: v_dual_mov_b32 v3, v1
	.p2align	6
.LBB76_53:                              ; =>This Inner Loop Header: Depth=1
	scratch_load_b128 v[54:57], v9, off offset:-8
	ds_load_b128 v[58:61], v8
	v_add_nc_u32_e32 v7, 1, v7
	v_add_nc_u32_e32 v8, 16, v8
	;; [unrolled: 1-line block ×3, first 2 shown]
	s_delay_alu instid0(VALU_DEP_3) | instskip(SKIP_4) | instid1(VALU_DEP_2)
	v_cmp_lt_u32_e32 vcc_lo, 8, v7
	s_or_b32 s3, vcc_lo, s3
	s_waitcnt vmcnt(0) lgkmcnt(0)
	v_mul_f64 v[10:11], v[60:61], v[56:57]
	v_mul_f64 v[56:57], v[58:59], v[56:57]
	v_fma_f64 v[10:11], v[58:59], v[54:55], -v[10:11]
	s_delay_alu instid0(VALU_DEP_2) | instskip(NEXT) | instid1(VALU_DEP_2)
	v_fma_f64 v[54:55], v[60:61], v[54:55], v[56:57]
	v_add_f64 v[3:4], v[3:4], v[10:11]
	s_delay_alu instid0(VALU_DEP_2)
	v_add_f64 v[1:2], v[1:2], v[54:55]
	s_and_not1_b32 exec_lo, exec_lo, s3
	s_cbranch_execnz .LBB76_53
; %bb.54:
	s_or_b32 exec_lo, exec_lo, s3
	v_mov_b32_e32 v7, 0
	ds_load_b128 v[7:10], v7 offset:160
	s_waitcnt lgkmcnt(0)
	v_mul_f64 v[11:12], v[1:2], v[9:10]
	v_mul_f64 v[54:55], v[3:4], v[9:10]
	s_delay_alu instid0(VALU_DEP_2) | instskip(NEXT) | instid1(VALU_DEP_2)
	v_fma_f64 v[9:10], v[3:4], v[7:8], -v[11:12]
	v_fma_f64 v[11:12], v[1:2], v[7:8], v[54:55]
	scratch_store_b128 off, v[9:12], off offset:160
.LBB76_55:
	s_or_b32 exec_lo, exec_lo, s2
	s_waitcnt_vscnt null, 0x0
	s_barrier
	buffer_gl0_inv
	scratch_load_b128 v[1:4], v51, off
	s_mov_b32 s2, exec_lo
	s_waitcnt vmcnt(0)
	ds_store_b128 v5, v[1:4]
	s_waitcnt lgkmcnt(0)
	s_barrier
	buffer_gl0_inv
	v_cmpx_gt_u32_e32 11, v39
	s_cbranch_execz .LBB76_59
; %bb.56:
	v_dual_mov_b32 v1, 0 :: v_dual_add_nc_u32 v8, 0xd0, v52
	v_dual_mov_b32 v2, 0 :: v_dual_add_nc_u32 v7, -1, v39
	v_or_b32_e32 v9, 8, v53
	s_mov_b32 s3, 0
	s_delay_alu instid0(VALU_DEP_2)
	v_dual_mov_b32 v4, v2 :: v_dual_mov_b32 v3, v1
	.p2align	6
.LBB76_57:                              ; =>This Inner Loop Header: Depth=1
	scratch_load_b128 v[54:57], v9, off offset:-8
	ds_load_b128 v[58:61], v8
	v_add_nc_u32_e32 v7, 1, v7
	v_add_nc_u32_e32 v8, 16, v8
	;; [unrolled: 1-line block ×3, first 2 shown]
	s_delay_alu instid0(VALU_DEP_3) | instskip(SKIP_4) | instid1(VALU_DEP_2)
	v_cmp_lt_u32_e32 vcc_lo, 9, v7
	s_or_b32 s3, vcc_lo, s3
	s_waitcnt vmcnt(0) lgkmcnt(0)
	v_mul_f64 v[10:11], v[60:61], v[56:57]
	v_mul_f64 v[56:57], v[58:59], v[56:57]
	v_fma_f64 v[10:11], v[58:59], v[54:55], -v[10:11]
	s_delay_alu instid0(VALU_DEP_2) | instskip(NEXT) | instid1(VALU_DEP_2)
	v_fma_f64 v[54:55], v[60:61], v[54:55], v[56:57]
	v_add_f64 v[3:4], v[3:4], v[10:11]
	s_delay_alu instid0(VALU_DEP_2)
	v_add_f64 v[1:2], v[1:2], v[54:55]
	s_and_not1_b32 exec_lo, exec_lo, s3
	s_cbranch_execnz .LBB76_57
; %bb.58:
	s_or_b32 exec_lo, exec_lo, s3
	v_mov_b32_e32 v7, 0
	ds_load_b128 v[7:10], v7 offset:176
	s_waitcnt lgkmcnt(0)
	v_mul_f64 v[11:12], v[1:2], v[9:10]
	v_mul_f64 v[54:55], v[3:4], v[9:10]
	s_delay_alu instid0(VALU_DEP_2) | instskip(NEXT) | instid1(VALU_DEP_2)
	v_fma_f64 v[9:10], v[3:4], v[7:8], -v[11:12]
	v_fma_f64 v[11:12], v[1:2], v[7:8], v[54:55]
	scratch_store_b128 off, v[9:12], off offset:176
.LBB76_59:
	s_or_b32 exec_lo, exec_lo, s2
	s_waitcnt_vscnt null, 0x0
	s_barrier
	buffer_gl0_inv
	scratch_load_b128 v[1:4], v49, off
	s_mov_b32 s2, exec_lo
	s_waitcnt vmcnt(0)
	ds_store_b128 v5, v[1:4]
	s_waitcnt lgkmcnt(0)
	s_barrier
	buffer_gl0_inv
	v_cmpx_ne_u32_e32 12, v39
	s_cbranch_execz .LBB76_63
; %bb.60:
	v_mov_b32_e32 v1, 0
	v_mov_b32_e32 v2, 0
	v_or_b32_e32 v7, 8, v53
	s_mov_b32 s3, 0
	s_delay_alu instid0(VALU_DEP_2)
	v_dual_mov_b32 v4, v2 :: v_dual_mov_b32 v3, v1
	.p2align	6
.LBB76_61:                              ; =>This Inner Loop Header: Depth=1
	scratch_load_b128 v[8:11], v7, off offset:-8
	ds_load_b128 v[52:55], v5
	v_add_nc_u32_e32 v6, 1, v6
	v_add_nc_u32_e32 v5, 16, v5
	;; [unrolled: 1-line block ×3, first 2 shown]
	s_delay_alu instid0(VALU_DEP_3) | instskip(SKIP_4) | instid1(VALU_DEP_2)
	v_cmp_lt_u32_e32 vcc_lo, 10, v6
	s_or_b32 s3, vcc_lo, s3
	s_waitcnt vmcnt(0) lgkmcnt(0)
	v_mul_f64 v[56:57], v[54:55], v[10:11]
	v_mul_f64 v[10:11], v[52:53], v[10:11]
	v_fma_f64 v[52:53], v[52:53], v[8:9], -v[56:57]
	s_delay_alu instid0(VALU_DEP_2) | instskip(NEXT) | instid1(VALU_DEP_2)
	v_fma_f64 v[8:9], v[54:55], v[8:9], v[10:11]
	v_add_f64 v[3:4], v[3:4], v[52:53]
	s_delay_alu instid0(VALU_DEP_2)
	v_add_f64 v[1:2], v[1:2], v[8:9]
	s_and_not1_b32 exec_lo, exec_lo, s3
	s_cbranch_execnz .LBB76_61
; %bb.62:
	s_or_b32 exec_lo, exec_lo, s3
	v_mov_b32_e32 v5, 0
	ds_load_b128 v[5:8], v5 offset:192
	s_waitcnt lgkmcnt(0)
	v_mul_f64 v[9:10], v[1:2], v[7:8]
	v_mul_f64 v[7:8], v[3:4], v[7:8]
	s_delay_alu instid0(VALU_DEP_2) | instskip(NEXT) | instid1(VALU_DEP_2)
	v_fma_f64 v[3:4], v[3:4], v[5:6], -v[9:10]
	v_fma_f64 v[5:6], v[1:2], v[5:6], v[7:8]
	scratch_store_b128 off, v[3:6], off offset:192
.LBB76_63:
	s_or_b32 exec_lo, exec_lo, s2
	s_mov_b32 s3, -1
	s_waitcnt_vscnt null, 0x0
	s_barrier
	buffer_gl0_inv
.LBB76_64:
	s_and_b32 vcc_lo, exec_lo, s3
	s_cbranch_vccz .LBB76_66
; %bb.65:
	s_lshl_b64 s[2:3], s[10:11], 2
	v_mov_b32_e32 v1, 0
	s_add_u32 s2, s6, s2
	s_addc_u32 s3, s7, s3
	global_load_b32 v1, v1, s[2:3]
	s_waitcnt vmcnt(0)
	v_cmp_ne_u32_e32 vcc_lo, 0, v1
	s_cbranch_vccz .LBB76_67
.LBB76_66:
	s_endpgm
.LBB76_67:
	v_lshl_add_u32 v5, v39, 4, 0xd0
	s_mov_b32 s2, exec_lo
	v_cmpx_eq_u32_e32 12, v39
	s_cbranch_execz .LBB76_69
; %bb.68:
	scratch_load_b128 v[1:4], v51, off
	v_mov_b32_e32 v6, 0
	s_delay_alu instid0(VALU_DEP_1)
	v_mov_b32_e32 v7, v6
	v_mov_b32_e32 v8, v6
	;; [unrolled: 1-line block ×3, first 2 shown]
	scratch_store_b128 off, v[6:9], off offset:176
	s_waitcnt vmcnt(0)
	ds_store_b128 v5, v[1:4]
.LBB76_69:
	s_or_b32 exec_lo, exec_lo, s2
	s_waitcnt lgkmcnt(0)
	s_waitcnt_vscnt null, 0x0
	s_barrier
	buffer_gl0_inv
	s_clause 0x1
	scratch_load_b128 v[6:9], off, off offset:192
	scratch_load_b128 v[52:55], off, off offset:176
	v_mov_b32_e32 v1, 0
	s_mov_b32 s2, exec_lo
	ds_load_b128 v[56:59], v1 offset:400
	s_waitcnt vmcnt(1) lgkmcnt(0)
	v_mul_f64 v[2:3], v[58:59], v[8:9]
	v_mul_f64 v[8:9], v[56:57], v[8:9]
	s_delay_alu instid0(VALU_DEP_2) | instskip(NEXT) | instid1(VALU_DEP_2)
	v_fma_f64 v[2:3], v[56:57], v[6:7], -v[2:3]
	v_fma_f64 v[6:7], v[58:59], v[6:7], v[8:9]
	s_delay_alu instid0(VALU_DEP_2) | instskip(NEXT) | instid1(VALU_DEP_2)
	v_add_f64 v[2:3], v[2:3], 0
	v_add_f64 v[8:9], v[6:7], 0
	s_waitcnt vmcnt(0)
	s_delay_alu instid0(VALU_DEP_2) | instskip(NEXT) | instid1(VALU_DEP_2)
	v_add_f64 v[6:7], v[52:53], -v[2:3]
	v_add_f64 v[8:9], v[54:55], -v[8:9]
	scratch_store_b128 off, v[6:9], off offset:176
	v_cmpx_lt_u32_e32 10, v39
	s_cbranch_execz .LBB76_71
; %bb.70:
	scratch_load_b128 v[6:9], v50, off
	v_mov_b32_e32 v2, v1
	v_mov_b32_e32 v3, v1
	;; [unrolled: 1-line block ×3, first 2 shown]
	scratch_store_b128 off, v[1:4], off offset:160
	s_waitcnt vmcnt(0)
	ds_store_b128 v5, v[6:9]
.LBB76_71:
	s_or_b32 exec_lo, exec_lo, s2
	s_waitcnt lgkmcnt(0)
	s_waitcnt_vscnt null, 0x0
	s_barrier
	buffer_gl0_inv
	s_clause 0x2
	scratch_load_b128 v[6:9], off, off offset:176
	scratch_load_b128 v[52:55], off, off offset:192
	scratch_load_b128 v[56:59], off, off offset:160
	ds_load_b128 v[60:63], v1 offset:384
	ds_load_b128 v[1:4], v1 offset:400
	s_mov_b32 s2, exec_lo
	s_waitcnt vmcnt(2) lgkmcnt(1)
	v_mul_f64 v[10:11], v[62:63], v[8:9]
	v_mul_f64 v[8:9], v[60:61], v[8:9]
	s_waitcnt vmcnt(1) lgkmcnt(0)
	v_mul_f64 v[64:65], v[1:2], v[54:55]
	v_mul_f64 v[54:55], v[3:4], v[54:55]
	s_delay_alu instid0(VALU_DEP_4) | instskip(NEXT) | instid1(VALU_DEP_4)
	v_fma_f64 v[10:11], v[60:61], v[6:7], -v[10:11]
	v_fma_f64 v[6:7], v[62:63], v[6:7], v[8:9]
	s_delay_alu instid0(VALU_DEP_4) | instskip(NEXT) | instid1(VALU_DEP_4)
	v_fma_f64 v[3:4], v[3:4], v[52:53], v[64:65]
	v_fma_f64 v[1:2], v[1:2], v[52:53], -v[54:55]
	s_delay_alu instid0(VALU_DEP_4) | instskip(NEXT) | instid1(VALU_DEP_4)
	v_add_f64 v[8:9], v[10:11], 0
	v_add_f64 v[6:7], v[6:7], 0
	s_delay_alu instid0(VALU_DEP_2) | instskip(NEXT) | instid1(VALU_DEP_2)
	v_add_f64 v[1:2], v[8:9], v[1:2]
	v_add_f64 v[3:4], v[6:7], v[3:4]
	s_waitcnt vmcnt(0)
	s_delay_alu instid0(VALU_DEP_2) | instskip(NEXT) | instid1(VALU_DEP_2)
	v_add_f64 v[1:2], v[56:57], -v[1:2]
	v_add_f64 v[3:4], v[58:59], -v[3:4]
	scratch_store_b128 off, v[1:4], off offset:160
	v_cmpx_lt_u32_e32 9, v39
	s_cbranch_execz .LBB76_73
; %bb.72:
	scratch_load_b128 v[1:4], v47, off
	v_mov_b32_e32 v6, 0
	s_delay_alu instid0(VALU_DEP_1)
	v_mov_b32_e32 v7, v6
	v_mov_b32_e32 v8, v6
	;; [unrolled: 1-line block ×3, first 2 shown]
	scratch_store_b128 off, v[6:9], off offset:144
	s_waitcnt vmcnt(0)
	ds_store_b128 v5, v[1:4]
.LBB76_73:
	s_or_b32 exec_lo, exec_lo, s2
	s_waitcnt lgkmcnt(0)
	s_waitcnt_vscnt null, 0x0
	s_barrier
	buffer_gl0_inv
	s_clause 0x3
	scratch_load_b128 v[6:9], off, off offset:160
	scratch_load_b128 v[52:55], off, off offset:176
	;; [unrolled: 1-line block ×4, first 2 shown]
	v_mov_b32_e32 v1, 0
	ds_load_b128 v[64:67], v1 offset:368
	ds_load_b128 v[68:71], v1 offset:384
	s_mov_b32 s2, exec_lo
	s_waitcnt vmcnt(3) lgkmcnt(1)
	v_mul_f64 v[2:3], v[66:67], v[8:9]
	v_mul_f64 v[8:9], v[64:65], v[8:9]
	s_waitcnt vmcnt(2) lgkmcnt(0)
	v_mul_f64 v[10:11], v[68:69], v[54:55]
	v_mul_f64 v[54:55], v[70:71], v[54:55]
	s_delay_alu instid0(VALU_DEP_4) | instskip(NEXT) | instid1(VALU_DEP_4)
	v_fma_f64 v[2:3], v[64:65], v[6:7], -v[2:3]
	v_fma_f64 v[64:65], v[66:67], v[6:7], v[8:9]
	ds_load_b128 v[6:9], v1 offset:400
	v_fma_f64 v[10:11], v[70:71], v[52:53], v[10:11]
	v_fma_f64 v[52:53], v[68:69], v[52:53], -v[54:55]
	s_waitcnt vmcnt(1) lgkmcnt(0)
	v_mul_f64 v[66:67], v[6:7], v[58:59]
	v_mul_f64 v[58:59], v[8:9], v[58:59]
	v_add_f64 v[2:3], v[2:3], 0
	v_add_f64 v[54:55], v[64:65], 0
	s_delay_alu instid0(VALU_DEP_4) | instskip(NEXT) | instid1(VALU_DEP_4)
	v_fma_f64 v[8:9], v[8:9], v[56:57], v[66:67]
	v_fma_f64 v[6:7], v[6:7], v[56:57], -v[58:59]
	s_delay_alu instid0(VALU_DEP_4) | instskip(NEXT) | instid1(VALU_DEP_4)
	v_add_f64 v[2:3], v[2:3], v[52:53]
	v_add_f64 v[10:11], v[54:55], v[10:11]
	s_delay_alu instid0(VALU_DEP_2) | instskip(NEXT) | instid1(VALU_DEP_2)
	v_add_f64 v[2:3], v[2:3], v[6:7]
	v_add_f64 v[8:9], v[10:11], v[8:9]
	s_waitcnt vmcnt(0)
	s_delay_alu instid0(VALU_DEP_2) | instskip(NEXT) | instid1(VALU_DEP_2)
	v_add_f64 v[6:7], v[60:61], -v[2:3]
	v_add_f64 v[8:9], v[62:63], -v[8:9]
	scratch_store_b128 off, v[6:9], off offset:144
	v_cmpx_lt_u32_e32 8, v39
	s_cbranch_execz .LBB76_75
; %bb.74:
	scratch_load_b128 v[6:9], v48, off
	v_mov_b32_e32 v2, v1
	v_mov_b32_e32 v3, v1
	;; [unrolled: 1-line block ×3, first 2 shown]
	scratch_store_b128 off, v[1:4], off offset:128
	s_waitcnt vmcnt(0)
	ds_store_b128 v5, v[6:9]
.LBB76_75:
	s_or_b32 exec_lo, exec_lo, s2
	s_waitcnt lgkmcnt(0)
	s_waitcnt_vscnt null, 0x0
	s_barrier
	buffer_gl0_inv
	s_clause 0x4
	scratch_load_b128 v[6:9], off, off offset:144
	scratch_load_b128 v[52:55], off, off offset:160
	scratch_load_b128 v[56:59], off, off offset:176
	scratch_load_b128 v[60:63], off, off offset:192
	scratch_load_b128 v[64:67], off, off offset:128
	ds_load_b128 v[68:71], v1 offset:352
	ds_load_b128 v[72:75], v1 offset:368
	s_mov_b32 s2, exec_lo
	s_waitcnt vmcnt(4) lgkmcnt(1)
	v_mul_f64 v[2:3], v[70:71], v[8:9]
	v_mul_f64 v[8:9], v[68:69], v[8:9]
	s_waitcnt vmcnt(3) lgkmcnt(0)
	v_mul_f64 v[10:11], v[72:73], v[54:55]
	v_mul_f64 v[54:55], v[74:75], v[54:55]
	s_delay_alu instid0(VALU_DEP_4) | instskip(NEXT) | instid1(VALU_DEP_4)
	v_fma_f64 v[68:69], v[68:69], v[6:7], -v[2:3]
	v_fma_f64 v[70:71], v[70:71], v[6:7], v[8:9]
	ds_load_b128 v[6:9], v1 offset:384
	ds_load_b128 v[1:4], v1 offset:400
	v_fma_f64 v[10:11], v[74:75], v[52:53], v[10:11]
	v_fma_f64 v[52:53], v[72:73], v[52:53], -v[54:55]
	s_waitcnt vmcnt(2) lgkmcnt(1)
	v_mul_f64 v[76:77], v[6:7], v[58:59]
	v_mul_f64 v[58:59], v[8:9], v[58:59]
	v_add_f64 v[54:55], v[68:69], 0
	v_add_f64 v[68:69], v[70:71], 0
	s_waitcnt vmcnt(1) lgkmcnt(0)
	v_mul_f64 v[70:71], v[1:2], v[62:63]
	v_mul_f64 v[62:63], v[3:4], v[62:63]
	v_fma_f64 v[8:9], v[8:9], v[56:57], v[76:77]
	v_fma_f64 v[6:7], v[6:7], v[56:57], -v[58:59]
	v_add_f64 v[52:53], v[54:55], v[52:53]
	v_add_f64 v[10:11], v[68:69], v[10:11]
	v_fma_f64 v[3:4], v[3:4], v[60:61], v[70:71]
	v_fma_f64 v[1:2], v[1:2], v[60:61], -v[62:63]
	s_delay_alu instid0(VALU_DEP_4) | instskip(NEXT) | instid1(VALU_DEP_4)
	v_add_f64 v[6:7], v[52:53], v[6:7]
	v_add_f64 v[8:9], v[10:11], v[8:9]
	s_delay_alu instid0(VALU_DEP_2) | instskip(NEXT) | instid1(VALU_DEP_2)
	v_add_f64 v[1:2], v[6:7], v[1:2]
	v_add_f64 v[3:4], v[8:9], v[3:4]
	s_waitcnt vmcnt(0)
	s_delay_alu instid0(VALU_DEP_2) | instskip(NEXT) | instid1(VALU_DEP_2)
	v_add_f64 v[1:2], v[64:65], -v[1:2]
	v_add_f64 v[3:4], v[66:67], -v[3:4]
	scratch_store_b128 off, v[1:4], off offset:128
	v_cmpx_lt_u32_e32 7, v39
	s_cbranch_execz .LBB76_77
; %bb.76:
	scratch_load_b128 v[1:4], v45, off
	v_mov_b32_e32 v6, 0
	s_delay_alu instid0(VALU_DEP_1)
	v_mov_b32_e32 v7, v6
	v_mov_b32_e32 v8, v6
	;; [unrolled: 1-line block ×3, first 2 shown]
	scratch_store_b128 off, v[6:9], off offset:112
	s_waitcnt vmcnt(0)
	ds_store_b128 v5, v[1:4]
.LBB76_77:
	s_or_b32 exec_lo, exec_lo, s2
	s_waitcnt lgkmcnt(0)
	s_waitcnt_vscnt null, 0x0
	s_barrier
	buffer_gl0_inv
	s_clause 0x5
	scratch_load_b128 v[6:9], off, off offset:128
	scratch_load_b128 v[52:55], off, off offset:144
	scratch_load_b128 v[56:59], off, off offset:160
	scratch_load_b128 v[60:63], off, off offset:176
	scratch_load_b128 v[64:67], off, off offset:192
	scratch_load_b128 v[68:71], off, off offset:112
	v_mov_b32_e32 v1, 0
	ds_load_b128 v[72:75], v1 offset:336
	ds_load_b128 v[76:79], v1 offset:352
	s_mov_b32 s2, exec_lo
	s_waitcnt vmcnt(5) lgkmcnt(1)
	v_mul_f64 v[2:3], v[74:75], v[8:9]
	v_mul_f64 v[8:9], v[72:73], v[8:9]
	s_waitcnt vmcnt(4) lgkmcnt(0)
	v_mul_f64 v[10:11], v[76:77], v[54:55]
	v_mul_f64 v[54:55], v[78:79], v[54:55]
	s_delay_alu instid0(VALU_DEP_4) | instskip(NEXT) | instid1(VALU_DEP_4)
	v_fma_f64 v[2:3], v[72:73], v[6:7], -v[2:3]
	v_fma_f64 v[80:81], v[74:75], v[6:7], v[8:9]
	ds_load_b128 v[6:9], v1 offset:368
	ds_load_b128 v[72:75], v1 offset:384
	v_fma_f64 v[10:11], v[78:79], v[52:53], v[10:11]
	v_fma_f64 v[52:53], v[76:77], v[52:53], -v[54:55]
	s_waitcnt vmcnt(3) lgkmcnt(1)
	v_mul_f64 v[82:83], v[6:7], v[58:59]
	v_mul_f64 v[58:59], v[8:9], v[58:59]
	s_waitcnt vmcnt(2) lgkmcnt(0)
	v_mul_f64 v[76:77], v[72:73], v[62:63]
	v_mul_f64 v[62:63], v[74:75], v[62:63]
	v_add_f64 v[2:3], v[2:3], 0
	v_add_f64 v[54:55], v[80:81], 0
	v_fma_f64 v[78:79], v[8:9], v[56:57], v[82:83]
	v_fma_f64 v[56:57], v[6:7], v[56:57], -v[58:59]
	ds_load_b128 v[6:9], v1 offset:400
	v_fma_f64 v[58:59], v[74:75], v[60:61], v[76:77]
	v_fma_f64 v[60:61], v[72:73], v[60:61], -v[62:63]
	v_add_f64 v[2:3], v[2:3], v[52:53]
	v_add_f64 v[10:11], v[54:55], v[10:11]
	s_waitcnt vmcnt(1) lgkmcnt(0)
	v_mul_f64 v[52:53], v[6:7], v[66:67]
	v_mul_f64 v[54:55], v[8:9], v[66:67]
	s_delay_alu instid0(VALU_DEP_4) | instskip(NEXT) | instid1(VALU_DEP_4)
	v_add_f64 v[2:3], v[2:3], v[56:57]
	v_add_f64 v[10:11], v[10:11], v[78:79]
	s_delay_alu instid0(VALU_DEP_4) | instskip(NEXT) | instid1(VALU_DEP_4)
	v_fma_f64 v[8:9], v[8:9], v[64:65], v[52:53]
	v_fma_f64 v[6:7], v[6:7], v[64:65], -v[54:55]
	s_delay_alu instid0(VALU_DEP_4) | instskip(NEXT) | instid1(VALU_DEP_4)
	v_add_f64 v[2:3], v[2:3], v[60:61]
	v_add_f64 v[10:11], v[10:11], v[58:59]
	s_delay_alu instid0(VALU_DEP_2) | instskip(NEXT) | instid1(VALU_DEP_2)
	v_add_f64 v[2:3], v[2:3], v[6:7]
	v_add_f64 v[8:9], v[10:11], v[8:9]
	s_waitcnt vmcnt(0)
	s_delay_alu instid0(VALU_DEP_2) | instskip(NEXT) | instid1(VALU_DEP_2)
	v_add_f64 v[6:7], v[68:69], -v[2:3]
	v_add_f64 v[8:9], v[70:71], -v[8:9]
	scratch_store_b128 off, v[6:9], off offset:112
	v_cmpx_lt_u32_e32 6, v39
	s_cbranch_execz .LBB76_79
; %bb.78:
	scratch_load_b128 v[6:9], v46, off
	v_mov_b32_e32 v2, v1
	v_mov_b32_e32 v3, v1
	;; [unrolled: 1-line block ×3, first 2 shown]
	scratch_store_b128 off, v[1:4], off offset:96
	s_waitcnt vmcnt(0)
	ds_store_b128 v5, v[6:9]
.LBB76_79:
	s_or_b32 exec_lo, exec_lo, s2
	s_waitcnt lgkmcnt(0)
	s_waitcnt_vscnt null, 0x0
	s_barrier
	buffer_gl0_inv
	s_clause 0x5
	scratch_load_b128 v[6:9], off, off offset:112
	scratch_load_b128 v[52:55], off, off offset:128
	;; [unrolled: 1-line block ×6, first 2 shown]
	ds_load_b128 v[72:75], v1 offset:320
	ds_load_b128 v[80:83], v1 offset:336
	scratch_load_b128 v[76:79], off, off offset:96
	s_mov_b32 s2, exec_lo
	s_waitcnt vmcnt(6) lgkmcnt(1)
	v_mul_f64 v[2:3], v[74:75], v[8:9]
	v_mul_f64 v[8:9], v[72:73], v[8:9]
	s_waitcnt vmcnt(5) lgkmcnt(0)
	v_mul_f64 v[10:11], v[80:81], v[54:55]
	v_mul_f64 v[54:55], v[82:83], v[54:55]
	s_delay_alu instid0(VALU_DEP_4) | instskip(NEXT) | instid1(VALU_DEP_4)
	v_fma_f64 v[2:3], v[72:73], v[6:7], -v[2:3]
	v_fma_f64 v[84:85], v[74:75], v[6:7], v[8:9]
	ds_load_b128 v[6:9], v1 offset:352
	ds_load_b128 v[72:75], v1 offset:368
	v_fma_f64 v[10:11], v[82:83], v[52:53], v[10:11]
	v_fma_f64 v[52:53], v[80:81], v[52:53], -v[54:55]
	s_waitcnt vmcnt(4) lgkmcnt(1)
	v_mul_f64 v[86:87], v[6:7], v[58:59]
	v_mul_f64 v[58:59], v[8:9], v[58:59]
	s_waitcnt vmcnt(3) lgkmcnt(0)
	v_mul_f64 v[80:81], v[72:73], v[62:63]
	v_mul_f64 v[62:63], v[74:75], v[62:63]
	v_add_f64 v[2:3], v[2:3], 0
	v_add_f64 v[54:55], v[84:85], 0
	v_fma_f64 v[82:83], v[8:9], v[56:57], v[86:87]
	v_fma_f64 v[56:57], v[6:7], v[56:57], -v[58:59]
	s_delay_alu instid0(VALU_DEP_4) | instskip(NEXT) | instid1(VALU_DEP_4)
	v_add_f64 v[52:53], v[2:3], v[52:53]
	v_add_f64 v[10:11], v[54:55], v[10:11]
	ds_load_b128 v[6:9], v1 offset:384
	ds_load_b128 v[1:4], v1 offset:400
	s_waitcnt vmcnt(2) lgkmcnt(1)
	v_mul_f64 v[54:55], v[6:7], v[66:67]
	v_mul_f64 v[58:59], v[8:9], v[66:67]
	v_fma_f64 v[66:67], v[74:75], v[60:61], v[80:81]
	v_fma_f64 v[60:61], v[72:73], v[60:61], -v[62:63]
	s_waitcnt vmcnt(1) lgkmcnt(0)
	v_mul_f64 v[62:63], v[3:4], v[70:71]
	v_add_f64 v[52:53], v[52:53], v[56:57]
	v_add_f64 v[10:11], v[10:11], v[82:83]
	v_mul_f64 v[56:57], v[1:2], v[70:71]
	v_fma_f64 v[8:9], v[8:9], v[64:65], v[54:55]
	v_fma_f64 v[6:7], v[6:7], v[64:65], -v[58:59]
	v_fma_f64 v[1:2], v[1:2], v[68:69], -v[62:63]
	v_add_f64 v[52:53], v[52:53], v[60:61]
	v_add_f64 v[10:11], v[10:11], v[66:67]
	v_fma_f64 v[3:4], v[3:4], v[68:69], v[56:57]
	s_delay_alu instid0(VALU_DEP_3) | instskip(NEXT) | instid1(VALU_DEP_3)
	v_add_f64 v[6:7], v[52:53], v[6:7]
	v_add_f64 v[8:9], v[10:11], v[8:9]
	s_delay_alu instid0(VALU_DEP_2) | instskip(NEXT) | instid1(VALU_DEP_2)
	v_add_f64 v[1:2], v[6:7], v[1:2]
	v_add_f64 v[3:4], v[8:9], v[3:4]
	s_waitcnt vmcnt(0)
	s_delay_alu instid0(VALU_DEP_2) | instskip(NEXT) | instid1(VALU_DEP_2)
	v_add_f64 v[1:2], v[76:77], -v[1:2]
	v_add_f64 v[3:4], v[78:79], -v[3:4]
	scratch_store_b128 off, v[1:4], off offset:96
	v_cmpx_lt_u32_e32 5, v39
	s_cbranch_execz .LBB76_81
; %bb.80:
	scratch_load_b128 v[1:4], v42, off
	v_mov_b32_e32 v6, 0
	s_delay_alu instid0(VALU_DEP_1)
	v_mov_b32_e32 v7, v6
	v_mov_b32_e32 v8, v6
	;; [unrolled: 1-line block ×3, first 2 shown]
	scratch_store_b128 off, v[6:9], off offset:80
	s_waitcnt vmcnt(0)
	ds_store_b128 v5, v[1:4]
.LBB76_81:
	s_or_b32 exec_lo, exec_lo, s2
	s_waitcnt lgkmcnt(0)
	s_waitcnt_vscnt null, 0x0
	s_barrier
	buffer_gl0_inv
	s_clause 0x6
	scratch_load_b128 v[6:9], off, off offset:96
	scratch_load_b128 v[52:55], off, off offset:112
	;; [unrolled: 1-line block ×7, first 2 shown]
	v_mov_b32_e32 v1, 0
	scratch_load_b128 v[80:83], off, off offset:80
	s_mov_b32 s2, exec_lo
	ds_load_b128 v[76:79], v1 offset:304
	ds_load_b128 v[84:87], v1 offset:320
	s_waitcnt vmcnt(7) lgkmcnt(1)
	v_mul_f64 v[2:3], v[78:79], v[8:9]
	v_mul_f64 v[8:9], v[76:77], v[8:9]
	s_waitcnt vmcnt(6) lgkmcnt(0)
	v_mul_f64 v[10:11], v[84:85], v[54:55]
	v_mul_f64 v[54:55], v[86:87], v[54:55]
	s_delay_alu instid0(VALU_DEP_4) | instskip(NEXT) | instid1(VALU_DEP_4)
	v_fma_f64 v[2:3], v[76:77], v[6:7], -v[2:3]
	v_fma_f64 v[88:89], v[78:79], v[6:7], v[8:9]
	ds_load_b128 v[6:9], v1 offset:336
	ds_load_b128 v[76:79], v1 offset:352
	v_fma_f64 v[10:11], v[86:87], v[52:53], v[10:11]
	v_fma_f64 v[52:53], v[84:85], v[52:53], -v[54:55]
	s_waitcnt vmcnt(5) lgkmcnt(1)
	v_mul_f64 v[90:91], v[6:7], v[58:59]
	v_mul_f64 v[58:59], v[8:9], v[58:59]
	s_waitcnt vmcnt(4) lgkmcnt(0)
	v_mul_f64 v[84:85], v[76:77], v[62:63]
	v_mul_f64 v[62:63], v[78:79], v[62:63]
	v_add_f64 v[2:3], v[2:3], 0
	v_add_f64 v[54:55], v[88:89], 0
	v_fma_f64 v[86:87], v[8:9], v[56:57], v[90:91]
	v_fma_f64 v[56:57], v[6:7], v[56:57], -v[58:59]
	v_fma_f64 v[78:79], v[78:79], v[60:61], v[84:85]
	v_fma_f64 v[60:61], v[76:77], v[60:61], -v[62:63]
	v_add_f64 v[2:3], v[2:3], v[52:53]
	v_add_f64 v[10:11], v[54:55], v[10:11]
	ds_load_b128 v[6:9], v1 offset:368
	ds_load_b128 v[52:55], v1 offset:384
	s_waitcnt vmcnt(3) lgkmcnt(1)
	v_mul_f64 v[58:59], v[6:7], v[66:67]
	v_mul_f64 v[66:67], v[8:9], v[66:67]
	s_waitcnt vmcnt(2) lgkmcnt(0)
	v_mul_f64 v[62:63], v[54:55], v[70:71]
	v_add_f64 v[2:3], v[2:3], v[56:57]
	v_add_f64 v[10:11], v[10:11], v[86:87]
	v_mul_f64 v[56:57], v[52:53], v[70:71]
	v_fma_f64 v[58:59], v[8:9], v[64:65], v[58:59]
	v_fma_f64 v[64:65], v[6:7], v[64:65], -v[66:67]
	ds_load_b128 v[6:9], v1 offset:400
	v_fma_f64 v[52:53], v[52:53], v[68:69], -v[62:63]
	v_add_f64 v[2:3], v[2:3], v[60:61]
	v_add_f64 v[10:11], v[10:11], v[78:79]
	v_fma_f64 v[54:55], v[54:55], v[68:69], v[56:57]
	s_waitcnt vmcnt(1) lgkmcnt(0)
	v_mul_f64 v[60:61], v[6:7], v[74:75]
	v_mul_f64 v[66:67], v[8:9], v[74:75]
	v_add_f64 v[2:3], v[2:3], v[64:65]
	v_add_f64 v[10:11], v[10:11], v[58:59]
	s_delay_alu instid0(VALU_DEP_4) | instskip(NEXT) | instid1(VALU_DEP_4)
	v_fma_f64 v[8:9], v[8:9], v[72:73], v[60:61]
	v_fma_f64 v[6:7], v[6:7], v[72:73], -v[66:67]
	s_delay_alu instid0(VALU_DEP_4) | instskip(NEXT) | instid1(VALU_DEP_4)
	v_add_f64 v[2:3], v[2:3], v[52:53]
	v_add_f64 v[10:11], v[10:11], v[54:55]
	s_delay_alu instid0(VALU_DEP_2) | instskip(NEXT) | instid1(VALU_DEP_2)
	v_add_f64 v[2:3], v[2:3], v[6:7]
	v_add_f64 v[8:9], v[10:11], v[8:9]
	s_waitcnt vmcnt(0)
	s_delay_alu instid0(VALU_DEP_2) | instskip(NEXT) | instid1(VALU_DEP_2)
	v_add_f64 v[6:7], v[80:81], -v[2:3]
	v_add_f64 v[8:9], v[82:83], -v[8:9]
	scratch_store_b128 off, v[6:9], off offset:80
	v_cmpx_lt_u32_e32 4, v39
	s_cbranch_execz .LBB76_83
; %bb.82:
	scratch_load_b128 v[6:9], v44, off
	v_mov_b32_e32 v2, v1
	v_mov_b32_e32 v3, v1
	;; [unrolled: 1-line block ×3, first 2 shown]
	scratch_store_b128 off, v[1:4], off offset:64
	s_waitcnt vmcnt(0)
	ds_store_b128 v5, v[6:9]
.LBB76_83:
	s_or_b32 exec_lo, exec_lo, s2
	s_waitcnt lgkmcnt(0)
	s_waitcnt_vscnt null, 0x0
	s_barrier
	buffer_gl0_inv
	s_clause 0x7
	scratch_load_b128 v[6:9], off, off offset:80
	scratch_load_b128 v[52:55], off, off offset:96
	;; [unrolled: 1-line block ×8, first 2 shown]
	ds_load_b128 v[80:83], v1 offset:288
	ds_load_b128 v[84:87], v1 offset:304
	scratch_load_b128 v[88:91], off, off offset:64
	s_mov_b32 s2, exec_lo
	s_waitcnt vmcnt(8) lgkmcnt(1)
	v_mul_f64 v[2:3], v[82:83], v[8:9]
	v_mul_f64 v[8:9], v[80:81], v[8:9]
	s_waitcnt vmcnt(7) lgkmcnt(0)
	v_mul_f64 v[10:11], v[84:85], v[54:55]
	v_mul_f64 v[54:55], v[86:87], v[54:55]
	s_delay_alu instid0(VALU_DEP_4) | instskip(NEXT) | instid1(VALU_DEP_4)
	v_fma_f64 v[2:3], v[80:81], v[6:7], -v[2:3]
	v_fma_f64 v[92:93], v[82:83], v[6:7], v[8:9]
	ds_load_b128 v[6:9], v1 offset:320
	ds_load_b128 v[80:83], v1 offset:336
	v_fma_f64 v[10:11], v[86:87], v[52:53], v[10:11]
	v_fma_f64 v[52:53], v[84:85], v[52:53], -v[54:55]
	s_waitcnt vmcnt(6) lgkmcnt(1)
	v_mul_f64 v[94:95], v[6:7], v[58:59]
	v_mul_f64 v[58:59], v[8:9], v[58:59]
	s_waitcnt vmcnt(5) lgkmcnt(0)
	v_mul_f64 v[84:85], v[80:81], v[62:63]
	v_mul_f64 v[62:63], v[82:83], v[62:63]
	v_add_f64 v[2:3], v[2:3], 0
	v_add_f64 v[54:55], v[92:93], 0
	v_fma_f64 v[86:87], v[8:9], v[56:57], v[94:95]
	v_fma_f64 v[56:57], v[6:7], v[56:57], -v[58:59]
	v_fma_f64 v[82:83], v[82:83], v[60:61], v[84:85]
	v_fma_f64 v[60:61], v[80:81], v[60:61], -v[62:63]
	v_add_f64 v[2:3], v[2:3], v[52:53]
	v_add_f64 v[10:11], v[54:55], v[10:11]
	ds_load_b128 v[6:9], v1 offset:352
	ds_load_b128 v[52:55], v1 offset:368
	s_waitcnt vmcnt(4) lgkmcnt(1)
	v_mul_f64 v[58:59], v[6:7], v[66:67]
	v_mul_f64 v[66:67], v[8:9], v[66:67]
	s_waitcnt vmcnt(3) lgkmcnt(0)
	v_mul_f64 v[62:63], v[54:55], v[70:71]
	v_add_f64 v[2:3], v[2:3], v[56:57]
	v_add_f64 v[10:11], v[10:11], v[86:87]
	v_mul_f64 v[56:57], v[52:53], v[70:71]
	v_fma_f64 v[58:59], v[8:9], v[64:65], v[58:59]
	v_fma_f64 v[64:65], v[6:7], v[64:65], -v[66:67]
	v_fma_f64 v[52:53], v[52:53], v[68:69], -v[62:63]
	v_add_f64 v[60:61], v[2:3], v[60:61]
	v_add_f64 v[10:11], v[10:11], v[82:83]
	ds_load_b128 v[6:9], v1 offset:384
	ds_load_b128 v[1:4], v1 offset:400
	v_fma_f64 v[54:55], v[54:55], v[68:69], v[56:57]
	s_waitcnt vmcnt(2) lgkmcnt(1)
	v_mul_f64 v[66:67], v[6:7], v[74:75]
	v_mul_f64 v[70:71], v[8:9], v[74:75]
	v_add_f64 v[56:57], v[60:61], v[64:65]
	v_add_f64 v[10:11], v[10:11], v[58:59]
	s_waitcnt vmcnt(1) lgkmcnt(0)
	v_mul_f64 v[58:59], v[1:2], v[78:79]
	v_mul_f64 v[60:61], v[3:4], v[78:79]
	v_fma_f64 v[8:9], v[8:9], v[72:73], v[66:67]
	v_fma_f64 v[6:7], v[6:7], v[72:73], -v[70:71]
	v_add_f64 v[52:53], v[56:57], v[52:53]
	v_add_f64 v[10:11], v[10:11], v[54:55]
	v_fma_f64 v[3:4], v[3:4], v[76:77], v[58:59]
	v_fma_f64 v[1:2], v[1:2], v[76:77], -v[60:61]
	s_delay_alu instid0(VALU_DEP_4) | instskip(NEXT) | instid1(VALU_DEP_4)
	v_add_f64 v[6:7], v[52:53], v[6:7]
	v_add_f64 v[8:9], v[10:11], v[8:9]
	s_delay_alu instid0(VALU_DEP_2) | instskip(NEXT) | instid1(VALU_DEP_2)
	v_add_f64 v[1:2], v[6:7], v[1:2]
	v_add_f64 v[3:4], v[8:9], v[3:4]
	s_waitcnt vmcnt(0)
	s_delay_alu instid0(VALU_DEP_2) | instskip(NEXT) | instid1(VALU_DEP_2)
	v_add_f64 v[1:2], v[88:89], -v[1:2]
	v_add_f64 v[3:4], v[90:91], -v[3:4]
	scratch_store_b128 off, v[1:4], off offset:64
	v_cmpx_lt_u32_e32 3, v39
	s_cbranch_execz .LBB76_85
; %bb.84:
	scratch_load_b128 v[1:4], v40, off
	v_mov_b32_e32 v6, 0
	s_delay_alu instid0(VALU_DEP_1)
	v_mov_b32_e32 v7, v6
	v_mov_b32_e32 v8, v6
	;; [unrolled: 1-line block ×3, first 2 shown]
	scratch_store_b128 off, v[6:9], off offset:48
	s_waitcnt vmcnt(0)
	ds_store_b128 v5, v[1:4]
.LBB76_85:
	s_or_b32 exec_lo, exec_lo, s2
	s_waitcnt lgkmcnt(0)
	s_waitcnt_vscnt null, 0x0
	s_barrier
	buffer_gl0_inv
	s_clause 0x7
	scratch_load_b128 v[6:9], off, off offset:64
	scratch_load_b128 v[52:55], off, off offset:80
	;; [unrolled: 1-line block ×8, first 2 shown]
	v_mov_b32_e32 v1, 0
	s_mov_b32 s2, exec_lo
	ds_load_b128 v[80:83], v1 offset:272
	s_clause 0x1
	scratch_load_b128 v[84:87], off, off offset:192
	scratch_load_b128 v[88:91], off, off offset:48
	ds_load_b128 v[92:95], v1 offset:288
	s_waitcnt vmcnt(9) lgkmcnt(1)
	v_mul_f64 v[2:3], v[82:83], v[8:9]
	v_mul_f64 v[8:9], v[80:81], v[8:9]
	s_waitcnt vmcnt(8) lgkmcnt(0)
	v_mul_f64 v[10:11], v[92:93], v[54:55]
	v_mul_f64 v[54:55], v[94:95], v[54:55]
	s_delay_alu instid0(VALU_DEP_4) | instskip(NEXT) | instid1(VALU_DEP_4)
	v_fma_f64 v[2:3], v[80:81], v[6:7], -v[2:3]
	v_fma_f64 v[96:97], v[82:83], v[6:7], v[8:9]
	ds_load_b128 v[6:9], v1 offset:304
	ds_load_b128 v[80:83], v1 offset:320
	v_fma_f64 v[10:11], v[94:95], v[52:53], v[10:11]
	v_fma_f64 v[52:53], v[92:93], v[52:53], -v[54:55]
	s_waitcnt vmcnt(7) lgkmcnt(1)
	v_mul_f64 v[98:99], v[6:7], v[58:59]
	v_mul_f64 v[58:59], v[8:9], v[58:59]
	s_waitcnt vmcnt(6) lgkmcnt(0)
	v_mul_f64 v[92:93], v[80:81], v[62:63]
	v_mul_f64 v[62:63], v[82:83], v[62:63]
	v_add_f64 v[2:3], v[2:3], 0
	v_add_f64 v[54:55], v[96:97], 0
	v_fma_f64 v[94:95], v[8:9], v[56:57], v[98:99]
	v_fma_f64 v[56:57], v[6:7], v[56:57], -v[58:59]
	v_fma_f64 v[82:83], v[82:83], v[60:61], v[92:93]
	v_fma_f64 v[60:61], v[80:81], v[60:61], -v[62:63]
	v_add_f64 v[2:3], v[2:3], v[52:53]
	v_add_f64 v[10:11], v[54:55], v[10:11]
	ds_load_b128 v[6:9], v1 offset:336
	ds_load_b128 v[52:55], v1 offset:352
	s_waitcnt vmcnt(5) lgkmcnt(1)
	v_mul_f64 v[58:59], v[6:7], v[66:67]
	v_mul_f64 v[66:67], v[8:9], v[66:67]
	s_waitcnt vmcnt(4) lgkmcnt(0)
	v_mul_f64 v[62:63], v[52:53], v[70:71]
	v_mul_f64 v[70:71], v[54:55], v[70:71]
	v_add_f64 v[2:3], v[2:3], v[56:57]
	v_add_f64 v[10:11], v[10:11], v[94:95]
	v_fma_f64 v[80:81], v[8:9], v[64:65], v[58:59]
	v_fma_f64 v[64:65], v[6:7], v[64:65], -v[66:67]
	ds_load_b128 v[6:9], v1 offset:368
	ds_load_b128 v[56:59], v1 offset:384
	v_fma_f64 v[54:55], v[54:55], v[68:69], v[62:63]
	v_fma_f64 v[52:53], v[52:53], v[68:69], -v[70:71]
	v_add_f64 v[2:3], v[2:3], v[60:61]
	v_add_f64 v[10:11], v[10:11], v[82:83]
	s_waitcnt vmcnt(3) lgkmcnt(1)
	v_mul_f64 v[60:61], v[6:7], v[74:75]
	v_mul_f64 v[66:67], v[8:9], v[74:75]
	s_waitcnt vmcnt(2) lgkmcnt(0)
	v_mul_f64 v[62:63], v[56:57], v[78:79]
	v_add_f64 v[2:3], v[2:3], v[64:65]
	v_add_f64 v[10:11], v[10:11], v[80:81]
	v_mul_f64 v[64:65], v[58:59], v[78:79]
	v_fma_f64 v[60:61], v[8:9], v[72:73], v[60:61]
	v_fma_f64 v[66:67], v[6:7], v[72:73], -v[66:67]
	ds_load_b128 v[6:9], v1 offset:400
	v_fma_f64 v[58:59], v[58:59], v[76:77], v[62:63]
	v_add_f64 v[2:3], v[2:3], v[52:53]
	v_add_f64 v[10:11], v[10:11], v[54:55]
	s_waitcnt vmcnt(1) lgkmcnt(0)
	v_mul_f64 v[52:53], v[6:7], v[86:87]
	v_mul_f64 v[54:55], v[8:9], v[86:87]
	v_fma_f64 v[56:57], v[56:57], v[76:77], -v[64:65]
	v_add_f64 v[2:3], v[2:3], v[66:67]
	v_add_f64 v[10:11], v[10:11], v[60:61]
	v_fma_f64 v[8:9], v[8:9], v[84:85], v[52:53]
	v_fma_f64 v[6:7], v[6:7], v[84:85], -v[54:55]
	s_delay_alu instid0(VALU_DEP_4) | instskip(NEXT) | instid1(VALU_DEP_4)
	v_add_f64 v[2:3], v[2:3], v[56:57]
	v_add_f64 v[10:11], v[10:11], v[58:59]
	s_delay_alu instid0(VALU_DEP_2) | instskip(NEXT) | instid1(VALU_DEP_2)
	v_add_f64 v[2:3], v[2:3], v[6:7]
	v_add_f64 v[8:9], v[10:11], v[8:9]
	s_waitcnt vmcnt(0)
	s_delay_alu instid0(VALU_DEP_2) | instskip(NEXT) | instid1(VALU_DEP_2)
	v_add_f64 v[6:7], v[88:89], -v[2:3]
	v_add_f64 v[8:9], v[90:91], -v[8:9]
	scratch_store_b128 off, v[6:9], off offset:48
	v_cmpx_lt_u32_e32 2, v39
	s_cbranch_execz .LBB76_87
; %bb.86:
	scratch_load_b128 v[6:9], v43, off
	v_mov_b32_e32 v2, v1
	v_mov_b32_e32 v3, v1
	;; [unrolled: 1-line block ×3, first 2 shown]
	scratch_store_b128 off, v[1:4], off offset:32
	s_waitcnt vmcnt(0)
	ds_store_b128 v5, v[6:9]
.LBB76_87:
	s_or_b32 exec_lo, exec_lo, s2
	s_waitcnt lgkmcnt(0)
	s_waitcnt_vscnt null, 0x0
	s_barrier
	buffer_gl0_inv
	s_clause 0x8
	scratch_load_b128 v[6:9], off, off offset:48
	scratch_load_b128 v[52:55], off, off offset:64
	;; [unrolled: 1-line block ×9, first 2 shown]
	ds_load_b128 v[84:87], v1 offset:256
	ds_load_b128 v[88:91], v1 offset:272
	scratch_load_b128 v[92:95], off, off offset:32
	s_mov_b32 s2, exec_lo
	s_waitcnt vmcnt(9) lgkmcnt(1)
	v_mul_f64 v[2:3], v[86:87], v[8:9]
	v_mul_f64 v[96:97], v[84:85], v[8:9]
	scratch_load_b128 v[8:11], off, off offset:192
	s_waitcnt vmcnt(9) lgkmcnt(0)
	v_mul_f64 v[100:101], v[88:89], v[54:55]
	v_mul_f64 v[54:55], v[90:91], v[54:55]
	v_fma_f64 v[2:3], v[84:85], v[6:7], -v[2:3]
	v_fma_f64 v[6:7], v[86:87], v[6:7], v[96:97]
	ds_load_b128 v[84:87], v1 offset:288
	ds_load_b128 v[96:99], v1 offset:304
	v_fma_f64 v[90:91], v[90:91], v[52:53], v[100:101]
	v_fma_f64 v[52:53], v[88:89], v[52:53], -v[54:55]
	s_waitcnt vmcnt(8) lgkmcnt(1)
	v_mul_f64 v[102:103], v[84:85], v[58:59]
	v_mul_f64 v[58:59], v[86:87], v[58:59]
	s_waitcnt vmcnt(7) lgkmcnt(0)
	v_mul_f64 v[88:89], v[96:97], v[62:63]
	v_mul_f64 v[62:63], v[98:99], v[62:63]
	v_add_f64 v[2:3], v[2:3], 0
	v_add_f64 v[6:7], v[6:7], 0
	v_fma_f64 v[86:87], v[86:87], v[56:57], v[102:103]
	v_fma_f64 v[84:85], v[84:85], v[56:57], -v[58:59]
	v_fma_f64 v[88:89], v[98:99], v[60:61], v[88:89]
	v_fma_f64 v[60:61], v[96:97], v[60:61], -v[62:63]
	v_add_f64 v[2:3], v[2:3], v[52:53]
	v_add_f64 v[6:7], v[6:7], v[90:91]
	ds_load_b128 v[52:55], v1 offset:320
	ds_load_b128 v[56:59], v1 offset:336
	s_waitcnt vmcnt(6) lgkmcnt(1)
	v_mul_f64 v[90:91], v[52:53], v[66:67]
	v_mul_f64 v[66:67], v[54:55], v[66:67]
	v_add_f64 v[2:3], v[2:3], v[84:85]
	v_add_f64 v[6:7], v[6:7], v[86:87]
	s_waitcnt vmcnt(5) lgkmcnt(0)
	v_mul_f64 v[84:85], v[56:57], v[70:71]
	v_mul_f64 v[70:71], v[58:59], v[70:71]
	v_fma_f64 v[86:87], v[54:55], v[64:65], v[90:91]
	v_fma_f64 v[64:65], v[52:53], v[64:65], -v[66:67]
	v_add_f64 v[2:3], v[2:3], v[60:61]
	v_add_f64 v[6:7], v[6:7], v[88:89]
	ds_load_b128 v[52:55], v1 offset:352
	ds_load_b128 v[60:63], v1 offset:368
	v_fma_f64 v[58:59], v[58:59], v[68:69], v[84:85]
	v_fma_f64 v[56:57], v[56:57], v[68:69], -v[70:71]
	s_waitcnt vmcnt(4) lgkmcnt(1)
	v_mul_f64 v[66:67], v[52:53], v[74:75]
	v_mul_f64 v[74:75], v[54:55], v[74:75]
	s_waitcnt vmcnt(3) lgkmcnt(0)
	v_mul_f64 v[68:69], v[62:63], v[78:79]
	v_add_f64 v[2:3], v[2:3], v[64:65]
	v_add_f64 v[6:7], v[6:7], v[86:87]
	v_mul_f64 v[64:65], v[60:61], v[78:79]
	v_fma_f64 v[66:67], v[54:55], v[72:73], v[66:67]
	v_fma_f64 v[70:71], v[52:53], v[72:73], -v[74:75]
	v_fma_f64 v[60:61], v[60:61], v[76:77], -v[68:69]
	v_add_f64 v[56:57], v[2:3], v[56:57]
	v_add_f64 v[6:7], v[6:7], v[58:59]
	ds_load_b128 v[52:55], v1 offset:384
	ds_load_b128 v[1:4], v1 offset:400
	v_fma_f64 v[62:63], v[62:63], v[76:77], v[64:65]
	s_waitcnt vmcnt(2) lgkmcnt(1)
	v_mul_f64 v[58:59], v[52:53], v[82:83]
	v_mul_f64 v[72:73], v[54:55], v[82:83]
	v_add_f64 v[56:57], v[56:57], v[70:71]
	v_add_f64 v[6:7], v[6:7], v[66:67]
	s_waitcnt vmcnt(0) lgkmcnt(0)
	v_mul_f64 v[64:65], v[1:2], v[10:11]
	v_mul_f64 v[10:11], v[3:4], v[10:11]
	v_fma_f64 v[54:55], v[54:55], v[80:81], v[58:59]
	v_fma_f64 v[52:53], v[52:53], v[80:81], -v[72:73]
	v_add_f64 v[56:57], v[56:57], v[60:61]
	v_add_f64 v[6:7], v[6:7], v[62:63]
	v_fma_f64 v[3:4], v[3:4], v[8:9], v[64:65]
	v_fma_f64 v[1:2], v[1:2], v[8:9], -v[10:11]
	s_delay_alu instid0(VALU_DEP_4) | instskip(NEXT) | instid1(VALU_DEP_4)
	v_add_f64 v[8:9], v[56:57], v[52:53]
	v_add_f64 v[6:7], v[6:7], v[54:55]
	s_delay_alu instid0(VALU_DEP_2) | instskip(NEXT) | instid1(VALU_DEP_2)
	v_add_f64 v[1:2], v[8:9], v[1:2]
	v_add_f64 v[3:4], v[6:7], v[3:4]
	s_delay_alu instid0(VALU_DEP_2) | instskip(NEXT) | instid1(VALU_DEP_2)
	v_add_f64 v[1:2], v[92:93], -v[1:2]
	v_add_f64 v[3:4], v[94:95], -v[3:4]
	scratch_store_b128 off, v[1:4], off offset:32
	v_cmpx_lt_u32_e32 1, v39
	s_cbranch_execz .LBB76_89
; %bb.88:
	scratch_load_b128 v[1:4], v41, off
	v_mov_b32_e32 v6, 0
	s_delay_alu instid0(VALU_DEP_1)
	v_mov_b32_e32 v7, v6
	v_mov_b32_e32 v8, v6
	;; [unrolled: 1-line block ×3, first 2 shown]
	scratch_store_b128 off, v[6:9], off offset:16
	s_waitcnt vmcnt(0)
	ds_store_b128 v5, v[1:4]
.LBB76_89:
	s_or_b32 exec_lo, exec_lo, s2
	s_waitcnt lgkmcnt(0)
	s_waitcnt_vscnt null, 0x0
	s_barrier
	buffer_gl0_inv
	s_clause 0x7
	scratch_load_b128 v[6:9], off, off offset:32
	scratch_load_b128 v[52:55], off, off offset:48
	;; [unrolled: 1-line block ×8, first 2 shown]
	v_mov_b32_e32 v1, 0
	s_mov_b32 s2, exec_lo
	ds_load_b128 v[80:83], v1 offset:240
	s_clause 0x1
	scratch_load_b128 v[84:87], off, off offset:160
	scratch_load_b128 v[88:91], off, off offset:16
	ds_load_b128 v[92:95], v1 offset:256
	ds_load_b128 v[100:103], v1 offset:288
	s_waitcnt vmcnt(9) lgkmcnt(2)
	v_mul_f64 v[2:3], v[82:83], v[8:9]
	v_mul_f64 v[96:97], v[80:81], v[8:9]
	scratch_load_b128 v[8:11], off, off offset:176
	v_fma_f64 v[2:3], v[80:81], v[6:7], -v[2:3]
	v_fma_f64 v[6:7], v[82:83], v[6:7], v[96:97]
	scratch_load_b128 v[96:99], off, off offset:192
	ds_load_b128 v[80:83], v1 offset:272
	s_waitcnt vmcnt(10) lgkmcnt(2)
	v_mul_f64 v[104:105], v[92:93], v[54:55]
	v_mul_f64 v[54:55], v[94:95], v[54:55]
	s_waitcnt vmcnt(9) lgkmcnt(0)
	v_mul_f64 v[106:107], v[80:81], v[58:59]
	v_mul_f64 v[58:59], v[82:83], v[58:59]
	v_add_f64 v[2:3], v[2:3], 0
	v_add_f64 v[6:7], v[6:7], 0
	v_fma_f64 v[94:95], v[94:95], v[52:53], v[104:105]
	v_fma_f64 v[52:53], v[92:93], v[52:53], -v[54:55]
	s_waitcnt vmcnt(8)
	v_mul_f64 v[92:93], v[100:101], v[62:63]
	v_mul_f64 v[62:63], v[102:103], v[62:63]
	v_fma_f64 v[82:83], v[82:83], v[56:57], v[106:107]
	v_fma_f64 v[80:81], v[80:81], v[56:57], -v[58:59]
	v_add_f64 v[6:7], v[6:7], v[94:95]
	v_add_f64 v[2:3], v[2:3], v[52:53]
	ds_load_b128 v[52:55], v1 offset:304
	ds_load_b128 v[56:59], v1 offset:320
	v_fma_f64 v[92:93], v[102:103], v[60:61], v[92:93]
	v_fma_f64 v[60:61], v[100:101], v[60:61], -v[62:63]
	s_waitcnt vmcnt(7) lgkmcnt(1)
	v_mul_f64 v[94:95], v[52:53], v[66:67]
	v_mul_f64 v[66:67], v[54:55], v[66:67]
	v_add_f64 v[6:7], v[6:7], v[82:83]
	v_add_f64 v[2:3], v[2:3], v[80:81]
	s_waitcnt vmcnt(6) lgkmcnt(0)
	v_mul_f64 v[80:81], v[56:57], v[70:71]
	v_mul_f64 v[70:71], v[58:59], v[70:71]
	v_fma_f64 v[82:83], v[54:55], v[64:65], v[94:95]
	v_fma_f64 v[64:65], v[52:53], v[64:65], -v[66:67]
	v_add_f64 v[6:7], v[6:7], v[92:93]
	v_add_f64 v[2:3], v[2:3], v[60:61]
	ds_load_b128 v[52:55], v1 offset:336
	ds_load_b128 v[60:63], v1 offset:352
	v_fma_f64 v[58:59], v[58:59], v[68:69], v[80:81]
	v_fma_f64 v[56:57], v[56:57], v[68:69], -v[70:71]
	s_waitcnt vmcnt(5) lgkmcnt(1)
	v_mul_f64 v[66:67], v[52:53], v[74:75]
	v_mul_f64 v[74:75], v[54:55], v[74:75]
	s_waitcnt vmcnt(4) lgkmcnt(0)
	v_mul_f64 v[68:69], v[62:63], v[78:79]
	v_add_f64 v[6:7], v[6:7], v[82:83]
	v_add_f64 v[2:3], v[2:3], v[64:65]
	v_mul_f64 v[64:65], v[60:61], v[78:79]
	v_fma_f64 v[66:67], v[54:55], v[72:73], v[66:67]
	v_fma_f64 v[70:71], v[52:53], v[72:73], -v[74:75]
	v_fma_f64 v[60:61], v[60:61], v[76:77], -v[68:69]
	v_add_f64 v[6:7], v[6:7], v[58:59]
	v_add_f64 v[2:3], v[2:3], v[56:57]
	ds_load_b128 v[52:55], v1 offset:368
	ds_load_b128 v[56:59], v1 offset:384
	v_fma_f64 v[62:63], v[62:63], v[76:77], v[64:65]
	s_waitcnt vmcnt(3) lgkmcnt(1)
	v_mul_f64 v[72:73], v[52:53], v[86:87]
	v_mul_f64 v[74:75], v[54:55], v[86:87]
	v_add_f64 v[6:7], v[6:7], v[66:67]
	v_add_f64 v[2:3], v[2:3], v[70:71]
	s_waitcnt vmcnt(1) lgkmcnt(0)
	v_mul_f64 v[64:65], v[56:57], v[10:11]
	v_mul_f64 v[10:11], v[58:59], v[10:11]
	v_fma_f64 v[66:67], v[54:55], v[84:85], v[72:73]
	v_fma_f64 v[68:69], v[52:53], v[84:85], -v[74:75]
	ds_load_b128 v[52:55], v1 offset:400
	v_add_f64 v[6:7], v[6:7], v[62:63]
	v_add_f64 v[2:3], v[2:3], v[60:61]
	s_waitcnt vmcnt(0) lgkmcnt(0)
	v_mul_f64 v[60:61], v[52:53], v[98:99]
	v_mul_f64 v[62:63], v[54:55], v[98:99]
	v_fma_f64 v[58:59], v[58:59], v[8:9], v[64:65]
	v_fma_f64 v[8:9], v[56:57], v[8:9], -v[10:11]
	v_add_f64 v[6:7], v[6:7], v[66:67]
	v_add_f64 v[2:3], v[2:3], v[68:69]
	v_fma_f64 v[10:11], v[54:55], v[96:97], v[60:61]
	v_fma_f64 v[52:53], v[52:53], v[96:97], -v[62:63]
	s_delay_alu instid0(VALU_DEP_4) | instskip(NEXT) | instid1(VALU_DEP_4)
	v_add_f64 v[6:7], v[6:7], v[58:59]
	v_add_f64 v[2:3], v[2:3], v[8:9]
	s_delay_alu instid0(VALU_DEP_2) | instskip(NEXT) | instid1(VALU_DEP_2)
	v_add_f64 v[8:9], v[6:7], v[10:11]
	v_add_f64 v[2:3], v[2:3], v[52:53]
	s_delay_alu instid0(VALU_DEP_2) | instskip(NEXT) | instid1(VALU_DEP_2)
	v_add_f64 v[8:9], v[90:91], -v[8:9]
	v_add_f64 v[6:7], v[88:89], -v[2:3]
	scratch_store_b128 off, v[6:9], off offset:16
	v_cmpx_ne_u32_e32 0, v39
	s_cbranch_execz .LBB76_91
; %bb.90:
	scratch_load_b128 v[6:9], off, off
	v_mov_b32_e32 v2, v1
	v_mov_b32_e32 v3, v1
	;; [unrolled: 1-line block ×3, first 2 shown]
	scratch_store_b128 off, v[1:4], off
	s_waitcnt vmcnt(0)
	ds_store_b128 v5, v[6:9]
.LBB76_91:
	s_or_b32 exec_lo, exec_lo, s2
	s_waitcnt lgkmcnt(0)
	s_waitcnt_vscnt null, 0x0
	s_barrier
	buffer_gl0_inv
	s_clause 0x8
	scratch_load_b128 v[2:5], off, off offset:16
	scratch_load_b128 v[6:9], off, off offset:32
	;; [unrolled: 1-line block ×9, first 2 shown]
	ds_load_b128 v[80:83], v1 offset:224
	ds_load_b128 v[84:87], v1 offset:240
	s_clause 0x1
	scratch_load_b128 v[88:91], off, off
	scratch_load_b128 v[92:95], off, off offset:160
	s_and_b32 vcc_lo, exec_lo, s14
	s_waitcnt vmcnt(10) lgkmcnt(1)
	v_mul_f64 v[10:11], v[82:83], v[4:5]
	v_mul_f64 v[4:5], v[80:81], v[4:5]
	s_waitcnt vmcnt(9) lgkmcnt(0)
	v_mul_f64 v[96:97], v[84:85], v[8:9]
	v_mul_f64 v[98:99], v[86:87], v[8:9]
	s_delay_alu instid0(VALU_DEP_4) | instskip(NEXT) | instid1(VALU_DEP_4)
	v_fma_f64 v[100:101], v[80:81], v[2:3], -v[10:11]
	v_fma_f64 v[102:103], v[82:83], v[2:3], v[4:5]
	ds_load_b128 v[2:5], v1 offset:256
	ds_load_b128 v[80:83], v1 offset:272
	scratch_load_b128 v[8:11], off, off offset:176
	v_fma_f64 v[96:97], v[86:87], v[6:7], v[96:97]
	v_fma_f64 v[6:7], v[84:85], v[6:7], -v[98:99]
	scratch_load_b128 v[84:87], off, off offset:192
	s_waitcnt vmcnt(10) lgkmcnt(1)
	v_mul_f64 v[104:105], v[2:3], v[54:55]
	v_mul_f64 v[54:55], v[4:5], v[54:55]
	v_add_f64 v[98:99], v[100:101], 0
	v_add_f64 v[100:101], v[102:103], 0
	s_waitcnt vmcnt(9) lgkmcnt(0)
	v_mul_f64 v[102:103], v[80:81], v[58:59]
	v_mul_f64 v[58:59], v[82:83], v[58:59]
	v_fma_f64 v[104:105], v[4:5], v[52:53], v[104:105]
	v_fma_f64 v[106:107], v[2:3], v[52:53], -v[54:55]
	ds_load_b128 v[2:5], v1 offset:288
	ds_load_b128 v[52:55], v1 offset:304
	v_add_f64 v[6:7], v[98:99], v[6:7]
	v_add_f64 v[96:97], v[100:101], v[96:97]
	v_fma_f64 v[82:83], v[82:83], v[56:57], v[102:103]
	v_fma_f64 v[56:57], v[80:81], v[56:57], -v[58:59]
	s_waitcnt vmcnt(8) lgkmcnt(1)
	v_mul_f64 v[98:99], v[2:3], v[62:63]
	v_mul_f64 v[62:63], v[4:5], v[62:63]
	s_waitcnt vmcnt(7) lgkmcnt(0)
	v_mul_f64 v[80:81], v[52:53], v[66:67]
	v_mul_f64 v[66:67], v[54:55], v[66:67]
	v_add_f64 v[6:7], v[6:7], v[106:107]
	v_add_f64 v[58:59], v[96:97], v[104:105]
	v_fma_f64 v[96:97], v[4:5], v[60:61], v[98:99]
	v_fma_f64 v[60:61], v[2:3], v[60:61], -v[62:63]
	v_fma_f64 v[54:55], v[54:55], v[64:65], v[80:81]
	v_fma_f64 v[52:53], v[52:53], v[64:65], -v[66:67]
	v_add_f64 v[6:7], v[6:7], v[56:57]
	v_add_f64 v[62:63], v[58:59], v[82:83]
	ds_load_b128 v[2:5], v1 offset:320
	ds_load_b128 v[56:59], v1 offset:336
	s_waitcnt vmcnt(6) lgkmcnt(1)
	v_mul_f64 v[82:83], v[2:3], v[70:71]
	v_mul_f64 v[70:71], v[4:5], v[70:71]
	s_waitcnt vmcnt(5) lgkmcnt(0)
	v_mul_f64 v[64:65], v[58:59], v[74:75]
	v_add_f64 v[6:7], v[6:7], v[60:61]
	v_add_f64 v[60:61], v[62:63], v[96:97]
	v_mul_f64 v[62:63], v[56:57], v[74:75]
	v_fma_f64 v[66:67], v[4:5], v[68:69], v[82:83]
	v_fma_f64 v[68:69], v[2:3], v[68:69], -v[70:71]
	v_fma_f64 v[56:57], v[56:57], v[72:73], -v[64:65]
	v_add_f64 v[6:7], v[6:7], v[52:53]
	v_add_f64 v[60:61], v[60:61], v[54:55]
	ds_load_b128 v[2:5], v1 offset:352
	ds_load_b128 v[52:55], v1 offset:368
	v_fma_f64 v[58:59], v[58:59], v[72:73], v[62:63]
	s_waitcnt vmcnt(4) lgkmcnt(1)
	v_mul_f64 v[70:71], v[2:3], v[78:79]
	v_mul_f64 v[74:75], v[4:5], v[78:79]
	s_waitcnt vmcnt(2) lgkmcnt(0)
	v_mul_f64 v[62:63], v[52:53], v[94:95]
	v_mul_f64 v[64:65], v[54:55], v[94:95]
	v_add_f64 v[6:7], v[6:7], v[68:69]
	v_add_f64 v[60:61], v[60:61], v[66:67]
	v_fma_f64 v[66:67], v[4:5], v[76:77], v[70:71]
	v_fma_f64 v[68:69], v[2:3], v[76:77], -v[74:75]
	v_fma_f64 v[54:55], v[54:55], v[92:93], v[62:63]
	v_fma_f64 v[52:53], v[52:53], v[92:93], -v[64:65]
	v_add_f64 v[6:7], v[6:7], v[56:57]
	v_add_f64 v[60:61], v[60:61], v[58:59]
	ds_load_b128 v[2:5], v1 offset:384
	ds_load_b128 v[56:59], v1 offset:400
	s_waitcnt vmcnt(1) lgkmcnt(1)
	v_mul_f64 v[70:71], v[2:3], v[10:11]
	v_mul_f64 v[10:11], v[4:5], v[10:11]
	s_waitcnt vmcnt(0) lgkmcnt(0)
	v_mul_f64 v[62:63], v[56:57], v[86:87]
	v_mul_f64 v[64:65], v[58:59], v[86:87]
	v_add_f64 v[6:7], v[6:7], v[68:69]
	v_add_f64 v[60:61], v[60:61], v[66:67]
	v_fma_f64 v[4:5], v[4:5], v[8:9], v[70:71]
	v_fma_f64 v[1:2], v[2:3], v[8:9], -v[10:11]
	v_fma_f64 v[10:11], v[58:59], v[84:85], v[62:63]
	v_add_f64 v[6:7], v[6:7], v[52:53]
	v_add_f64 v[8:9], v[60:61], v[54:55]
	v_fma_f64 v[52:53], v[56:57], v[84:85], -v[64:65]
	s_delay_alu instid0(VALU_DEP_3) | instskip(NEXT) | instid1(VALU_DEP_3)
	v_add_f64 v[1:2], v[6:7], v[1:2]
	v_add_f64 v[3:4], v[8:9], v[4:5]
	s_delay_alu instid0(VALU_DEP_2) | instskip(NEXT) | instid1(VALU_DEP_2)
	v_add_f64 v[1:2], v[1:2], v[52:53]
	v_add_f64 v[3:4], v[3:4], v[10:11]
	s_delay_alu instid0(VALU_DEP_2) | instskip(NEXT) | instid1(VALU_DEP_2)
	v_add_f64 v[1:2], v[88:89], -v[1:2]
	v_add_f64 v[3:4], v[90:91], -v[3:4]
	scratch_store_b128 off, v[1:4], off
	s_cbranch_vccz .LBB76_117
; %bb.92:
	v_dual_mov_b32 v1, s8 :: v_dual_mov_b32 v2, s9
	s_load_b64 s[0:1], s[0:1], 0x4
	flat_load_b32 v1, v[1:2] offset:44
	v_bfe_u32 v2, v0, 10, 10
	v_bfe_u32 v0, v0, 20, 10
	s_waitcnt lgkmcnt(0)
	s_lshr_b32 s0, s0, 16
	s_delay_alu instid0(VALU_DEP_2) | instskip(SKIP_1) | instid1(SALU_CYCLE_1)
	v_mul_u32_u24_e32 v2, s1, v2
	s_mul_i32 s0, s0, s1
	v_mul_u32_u24_e32 v3, s0, v39
	s_mov_b32 s0, exec_lo
	s_delay_alu instid0(VALU_DEP_1) | instskip(NEXT) | instid1(VALU_DEP_1)
	v_add3_u32 v0, v3, v2, v0
	v_lshl_add_u32 v0, v0, 4, 0x1a8
	s_waitcnt vmcnt(0)
	v_cmpx_ne_u32_e32 12, v1
	s_cbranch_execz .LBB76_94
; %bb.93:
	v_lshl_add_u32 v9, v1, 4, 0
	s_clause 0x1
	scratch_load_b128 v[1:4], v51, off
	scratch_load_b128 v[5:8], v9, off offset:-16
	s_waitcnt vmcnt(1)
	ds_store_2addr_b64 v0, v[1:2], v[3:4] offset1:1
	s_waitcnt vmcnt(0)
	s_clause 0x1
	scratch_store_b128 v51, v[5:8], off
	scratch_store_b128 v9, v[1:4], off offset:-16
.LBB76_94:
	s_or_b32 exec_lo, exec_lo, s0
	v_dual_mov_b32 v1, s8 :: v_dual_mov_b32 v2, s9
	s_mov_b32 s0, exec_lo
	flat_load_b32 v1, v[1:2] offset:40
	s_waitcnt vmcnt(0) lgkmcnt(0)
	v_cmpx_ne_u32_e32 11, v1
	s_cbranch_execz .LBB76_96
; %bb.95:
	v_lshl_add_u32 v9, v1, 4, 0
	s_clause 0x1
	scratch_load_b128 v[1:4], v50, off
	scratch_load_b128 v[5:8], v9, off offset:-16
	s_waitcnt vmcnt(1)
	ds_store_2addr_b64 v0, v[1:2], v[3:4] offset1:1
	s_waitcnt vmcnt(0)
	s_clause 0x1
	scratch_store_b128 v50, v[5:8], off
	scratch_store_b128 v9, v[1:4], off offset:-16
.LBB76_96:
	s_or_b32 exec_lo, exec_lo, s0
	v_dual_mov_b32 v1, s8 :: v_dual_mov_b32 v2, s9
	s_mov_b32 s0, exec_lo
	flat_load_b32 v1, v[1:2] offset:36
	s_waitcnt vmcnt(0) lgkmcnt(0)
	;; [unrolled: 19-line block ×10, first 2 shown]
	v_cmpx_ne_u32_e32 2, v1
	s_cbranch_execz .LBB76_114
; %bb.113:
	v_lshl_add_u32 v9, v1, 4, 0
	s_clause 0x1
	scratch_load_b128 v[1:4], v41, off
	scratch_load_b128 v[5:8], v9, off offset:-16
	s_waitcnt vmcnt(1)
	ds_store_2addr_b64 v0, v[1:2], v[3:4] offset1:1
	s_waitcnt vmcnt(0)
	s_clause 0x1
	scratch_store_b128 v41, v[5:8], off
	scratch_store_b128 v9, v[1:4], off offset:-16
.LBB76_114:
	s_or_b32 exec_lo, exec_lo, s0
	v_dual_mov_b32 v1, s8 :: v_dual_mov_b32 v2, s9
	s_mov_b32 s0, exec_lo
	flat_load_b32 v1, v[1:2]
	s_waitcnt vmcnt(0) lgkmcnt(0)
	v_cmpx_ne_u32_e32 1, v1
	s_cbranch_execz .LBB76_116
; %bb.115:
	v_lshl_add_u32 v9, v1, 4, 0
	scratch_load_b128 v[1:4], off, off
	scratch_load_b128 v[5:8], v9, off offset:-16
	s_waitcnt vmcnt(1)
	ds_store_2addr_b64 v0, v[1:2], v[3:4] offset1:1
	s_waitcnt vmcnt(0)
	scratch_store_b128 off, v[5:8], off
	scratch_store_b128 v9, v[1:4], off offset:-16
.LBB76_116:
	s_or_b32 exec_lo, exec_lo, s0
.LBB76_117:
	scratch_load_b128 v[0:3], off, off
	s_clause 0xb
	scratch_load_b128 v[4:7], v41, off
	scratch_load_b128 v[8:11], v43, off
	;; [unrolled: 1-line block ×12, first 2 shown]
	s_waitcnt vmcnt(12)
	global_store_b128 v[13:14], v[0:3], off
	s_waitcnt vmcnt(11)
	global_store_b128 v[15:16], v[4:7], off
	;; [unrolled: 2-line block ×13, first 2 shown]
	s_endpgm
	.section	.rodata,"a",@progbits
	.p2align	6, 0x0
	.amdhsa_kernel _ZN9rocsolver6v33100L18getri_kernel_smallILi13E19rocblas_complex_numIdEPKPS3_EEvT1_iilPiilS8_bb
		.amdhsa_group_segment_fixed_size 1448
		.amdhsa_private_segment_fixed_size 224
		.amdhsa_kernarg_size 60
		.amdhsa_user_sgpr_count 15
		.amdhsa_user_sgpr_dispatch_ptr 1
		.amdhsa_user_sgpr_queue_ptr 0
		.amdhsa_user_sgpr_kernarg_segment_ptr 1
		.amdhsa_user_sgpr_dispatch_id 0
		.amdhsa_user_sgpr_private_segment_size 0
		.amdhsa_wavefront_size32 1
		.amdhsa_uses_dynamic_stack 0
		.amdhsa_enable_private_segment 1
		.amdhsa_system_sgpr_workgroup_id_x 1
		.amdhsa_system_sgpr_workgroup_id_y 0
		.amdhsa_system_sgpr_workgroup_id_z 0
		.amdhsa_system_sgpr_workgroup_info 0
		.amdhsa_system_vgpr_workitem_id 2
		.amdhsa_next_free_vgpr 108
		.amdhsa_next_free_sgpr 19
		.amdhsa_reserve_vcc 1
		.amdhsa_float_round_mode_32 0
		.amdhsa_float_round_mode_16_64 0
		.amdhsa_float_denorm_mode_32 3
		.amdhsa_float_denorm_mode_16_64 3
		.amdhsa_dx10_clamp 1
		.amdhsa_ieee_mode 1
		.amdhsa_fp16_overflow 0
		.amdhsa_workgroup_processor_mode 1
		.amdhsa_memory_ordered 1
		.amdhsa_forward_progress 0
		.amdhsa_shared_vgpr_count 0
		.amdhsa_exception_fp_ieee_invalid_op 0
		.amdhsa_exception_fp_denorm_src 0
		.amdhsa_exception_fp_ieee_div_zero 0
		.amdhsa_exception_fp_ieee_overflow 0
		.amdhsa_exception_fp_ieee_underflow 0
		.amdhsa_exception_fp_ieee_inexact 0
		.amdhsa_exception_int_div_zero 0
	.end_amdhsa_kernel
	.section	.text._ZN9rocsolver6v33100L18getri_kernel_smallILi13E19rocblas_complex_numIdEPKPS3_EEvT1_iilPiilS8_bb,"axG",@progbits,_ZN9rocsolver6v33100L18getri_kernel_smallILi13E19rocblas_complex_numIdEPKPS3_EEvT1_iilPiilS8_bb,comdat
.Lfunc_end76:
	.size	_ZN9rocsolver6v33100L18getri_kernel_smallILi13E19rocblas_complex_numIdEPKPS3_EEvT1_iilPiilS8_bb, .Lfunc_end76-_ZN9rocsolver6v33100L18getri_kernel_smallILi13E19rocblas_complex_numIdEPKPS3_EEvT1_iilPiilS8_bb
                                        ; -- End function
	.section	.AMDGPU.csdata,"",@progbits
; Kernel info:
; codeLenInByte = 13808
; NumSgprs: 21
; NumVgprs: 108
; ScratchSize: 224
; MemoryBound: 0
; FloatMode: 240
; IeeeMode: 1
; LDSByteSize: 1448 bytes/workgroup (compile time only)
; SGPRBlocks: 2
; VGPRBlocks: 13
; NumSGPRsForWavesPerEU: 21
; NumVGPRsForWavesPerEU: 108
; Occupancy: 12
; WaveLimiterHint : 1
; COMPUTE_PGM_RSRC2:SCRATCH_EN: 1
; COMPUTE_PGM_RSRC2:USER_SGPR: 15
; COMPUTE_PGM_RSRC2:TRAP_HANDLER: 0
; COMPUTE_PGM_RSRC2:TGID_X_EN: 1
; COMPUTE_PGM_RSRC2:TGID_Y_EN: 0
; COMPUTE_PGM_RSRC2:TGID_Z_EN: 0
; COMPUTE_PGM_RSRC2:TIDIG_COMP_CNT: 2
	.section	.text._ZN9rocsolver6v33100L18getri_kernel_smallILi14E19rocblas_complex_numIdEPKPS3_EEvT1_iilPiilS8_bb,"axG",@progbits,_ZN9rocsolver6v33100L18getri_kernel_smallILi14E19rocblas_complex_numIdEPKPS3_EEvT1_iilPiilS8_bb,comdat
	.globl	_ZN9rocsolver6v33100L18getri_kernel_smallILi14E19rocblas_complex_numIdEPKPS3_EEvT1_iilPiilS8_bb ; -- Begin function _ZN9rocsolver6v33100L18getri_kernel_smallILi14E19rocblas_complex_numIdEPKPS3_EEvT1_iilPiilS8_bb
	.p2align	8
	.type	_ZN9rocsolver6v33100L18getri_kernel_smallILi14E19rocblas_complex_numIdEPKPS3_EEvT1_iilPiilS8_bb,@function
_ZN9rocsolver6v33100L18getri_kernel_smallILi14E19rocblas_complex_numIdEPKPS3_EEvT1_iilPiilS8_bb: ; @_ZN9rocsolver6v33100L18getri_kernel_smallILi14E19rocblas_complex_numIdEPKPS3_EEvT1_iilPiilS8_bb
; %bb.0:
	v_and_b32_e32 v41, 0x3ff, v0
	s_mov_b32 s4, exec_lo
	s_delay_alu instid0(VALU_DEP_1)
	v_cmpx_gt_u32_e32 14, v41
	s_cbranch_execz .LBB77_70
; %bb.1:
	s_mov_b32 s10, s15
	s_clause 0x2
	s_load_b32 s15, s[2:3], 0x38
	s_load_b64 s[8:9], s[2:3], 0x0
	s_load_b128 s[4:7], s[2:3], 0x28
	s_waitcnt lgkmcnt(0)
	s_bitcmp1_b32 s15, 8
	s_cselect_b32 s14, -1, 0
	s_ashr_i32 s11, s10, 31
	s_delay_alu instid0(SALU_CYCLE_1) | instskip(NEXT) | instid1(SALU_CYCLE_1)
	s_lshl_b64 s[12:13], s[10:11], 3
	s_add_u32 s8, s8, s12
	s_addc_u32 s9, s9, s13
	s_load_b64 s[12:13], s[8:9], 0x0
	s_bfe_u32 s8, s15, 0x10008
	s_delay_alu instid0(SALU_CYCLE_1)
	s_cmp_eq_u32 s8, 0
                                        ; implicit-def: $sgpr8_sgpr9
	s_cbranch_scc1 .LBB77_3
; %bb.2:
	s_clause 0x1
	s_load_b32 s8, s[2:3], 0x20
	s_load_b64 s[16:17], s[2:3], 0x18
	s_mul_i32 s5, s10, s5
	s_mul_hi_u32 s9, s10, s4
	s_mul_i32 s18, s11, s4
	s_add_i32 s5, s9, s5
	s_mul_i32 s4, s10, s4
	s_add_i32 s5, s5, s18
	s_delay_alu instid0(SALU_CYCLE_1)
	s_lshl_b64 s[4:5], s[4:5], 2
	s_waitcnt lgkmcnt(0)
	s_ashr_i32 s9, s8, 31
	s_add_u32 s16, s16, s4
	s_addc_u32 s17, s17, s5
	s_lshl_b64 s[4:5], s[8:9], 2
	s_delay_alu instid0(SALU_CYCLE_1)
	s_add_u32 s8, s16, s4
	s_addc_u32 s9, s17, s5
.LBB77_3:
	s_load_b64 s[2:3], s[2:3], 0x8
	v_lshlrev_b32_e32 v55, 4, v41
	v_add_nc_u32_e64 v45, 0, 32
	s_waitcnt lgkmcnt(0)
	v_add3_u32 v5, s3, s3, v41
	s_ashr_i32 s5, s2, 31
	s_mov_b32 s4, s2
	s_mov_b32 s16, s3
	s_lshl_b64 s[4:5], s[4:5], 4
	v_add_nc_u32_e32 v7, s3, v5
	v_ashrrev_i32_e32 v6, 31, v5
	s_add_u32 s4, s12, s4
	s_addc_u32 s5, s13, s5
	v_add_co_u32 v13, s2, s4, v55
	v_add_nc_u32_e32 v9, s3, v7
	v_ashrrev_i32_e32 v8, 31, v7
	s_ashr_i32 s17, s3, 31
	v_add_co_ci_u32_e64 v14, null, s5, 0, s2
	s_delay_alu instid0(VALU_DEP_3)
	v_add_nc_u32_e32 v21, s3, v9
	v_lshlrev_b64 v[5:6], 4, v[5:6]
	s_lshl_b64 s[12:13], s[16:17], 4
	v_ashrrev_i32_e32 v10, 31, v9
	v_add_co_u32 v15, vcc_lo, v13, s12
	v_add_nc_u32_e32 v25, s3, v21
	v_lshlrev_b64 v[19:20], 4, v[7:8]
	v_ashrrev_i32_e32 v22, 31, v21
	v_add_co_ci_u32_e32 v16, vcc_lo, s13, v14, vcc_lo
	s_delay_alu instid0(VALU_DEP_4) | instskip(SKIP_3) | instid1(VALU_DEP_4)
	v_add_nc_u32_e32 v29, s3, v25
	v_add_co_u32 v17, vcc_lo, s4, v5
	v_lshlrev_b64 v[23:24], 4, v[9:10]
	v_add_co_ci_u32_e32 v18, vcc_lo, s5, v6, vcc_lo
	v_add_nc_u32_e32 v31, s3, v29
	v_add_co_u32 v19, vcc_lo, s4, v19
	v_lshlrev_b64 v[27:28], 4, v[21:22]
	v_add_co_ci_u32_e32 v20, vcc_lo, s5, v20, vcc_lo
	v_add_co_u32 v21, vcc_lo, s4, v23
	v_ashrrev_i32_e32 v30, 31, v29
	v_ashrrev_i32_e32 v32, 31, v31
	v_add_co_ci_u32_e32 v22, vcc_lo, s5, v24, vcc_lo
	v_add_co_u32 v23, vcc_lo, s4, v27
	v_ashrrev_i32_e32 v26, 31, v25
	v_add_co_ci_u32_e32 v24, vcc_lo, s5, v28, vcc_lo
	v_lshlrev_b64 v[27:28], 4, v[29:30]
	v_lshlrev_b64 v[29:30], 4, v[31:32]
	v_add_nc_u32_e32 v31, s3, v31
	v_lshlrev_b64 v[25:26], 4, v[25:26]
	s_clause 0x4
	global_load_b128 v[1:4], v55, s[4:5]
	global_load_b128 v[5:8], v[15:16], off
	global_load_b128 v[9:12], v[17:18], off
	;; [unrolled: 1-line block ×4, first 2 shown]
	v_add_nc_u32_e32 v33, s3, v31
	v_ashrrev_i32_e32 v32, 31, v31
	v_add_co_u32 v25, vcc_lo, s4, v25
	v_add_co_ci_u32_e32 v26, vcc_lo, s5, v26, vcc_lo
	s_delay_alu instid0(VALU_DEP_4) | instskip(SKIP_3) | instid1(VALU_DEP_4)
	v_add_nc_u32_e32 v35, s3, v33
	v_ashrrev_i32_e32 v34, 31, v33
	v_add_co_u32 v27, vcc_lo, s4, v27
	v_lshlrev_b64 v[31:32], 4, v[31:32]
	v_ashrrev_i32_e32 v36, 31, v35
	v_add_co_ci_u32_e32 v28, vcc_lo, s5, v28, vcc_lo
	v_add_nc_u32_e32 v38, s3, v35
	v_add_co_u32 v29, vcc_lo, s4, v29
	v_lshlrev_b64 v[33:34], 4, v[33:34]
	v_add_co_ci_u32_e32 v30, vcc_lo, s5, v30, vcc_lo
	v_add_co_u32 v31, vcc_lo, s4, v31
	v_lshlrev_b64 v[36:37], 4, v[35:36]
	v_add_nc_u32_e32 v42, s3, v38
	v_add_co_ci_u32_e32 v32, vcc_lo, s5, v32, vcc_lo
	v_add_co_u32 v33, vcc_lo, s4, v33
	v_ashrrev_i32_e32 v39, 31, v38
	v_add_co_ci_u32_e32 v34, vcc_lo, s5, v34, vcc_lo
	v_add_co_u32 v35, vcc_lo, s4, v36
	v_ashrrev_i32_e32 v43, 31, v42
	v_add_co_ci_u32_e32 v36, vcc_lo, s5, v37, vcc_lo
	v_lshlrev_b64 v[37:38], 4, v[38:39]
	s_clause 0x1
	global_load_b128 v[56:59], v[23:24], off
	global_load_b128 v[60:63], v[25:26], off
	v_lshlrev_b64 v[39:40], 4, v[42:43]
	s_clause 0x4
	global_load_b128 v[64:67], v[27:28], off
	global_load_b128 v[68:71], v[29:30], off
	;; [unrolled: 1-line block ×5, first 2 shown]
	s_movk_i32 s2, 0x50
	v_add_co_u32 v37, vcc_lo, s4, v37
	v_add_co_ci_u32_e32 v38, vcc_lo, s5, v38, vcc_lo
	v_add_co_u32 v39, vcc_lo, s4, v39
	v_add_co_ci_u32_e32 v40, vcc_lo, s5, v40, vcc_lo
	s_clause 0x1
	global_load_b128 v[84:87], v[37:38], off
	global_load_b128 v[88:91], v[39:40], off
	v_add_nc_u32_e64 v44, s2, 0
	s_movk_i32 s2, 0x60
	s_movk_i32 s3, 0x70
	v_add_nc_u32_e64 v43, 0, 16
	v_add_nc_u32_e64 v42, 0, 48
	s_bitcmp0_b32 s15, 0
	s_waitcnt vmcnt(13)
	scratch_store_b128 off, v[1:4], off
	s_waitcnt vmcnt(12)
	scratch_store_b128 off, v[5:8], off offset:16
	s_waitcnt vmcnt(11)
	scratch_store_b128 off, v[9:12], off offset:32
	;; [unrolled: 2-line block ×3, first 2 shown]
	v_add_nc_u32_e64 v48, s2, 0
	v_add_nc_u32_e64 v47, s3, 0
	s_movk_i32 s2, 0x80
	s_movk_i32 s3, 0x90
	s_waitcnt vmcnt(9)
	scratch_store_b128 off, v[50:53], off offset:64
	s_waitcnt vmcnt(8)
	scratch_store_b128 off, v[56:59], off offset:80
	v_add_nc_u32_e64 v50, s2, 0
	v_add_nc_u32_e64 v49, s3, 0
	s_movk_i32 s2, 0xa0
	s_movk_i32 s3, 0xb0
	v_add_nc_u32_e64 v52, s2, 0
	v_add_nc_u32_e64 v51, s3, 0
	s_movk_i32 s2, 0xc0
	s_movk_i32 s3, 0xd0
	v_add_nc_u32_e64 v46, 0, 64
	v_add_nc_u32_e64 v54, s2, 0
	;; [unrolled: 1-line block ×3, first 2 shown]
	s_mov_b32 s3, -1
	s_waitcnt vmcnt(7)
	scratch_store_b128 off, v[60:63], off offset:96
	s_waitcnt vmcnt(6)
	scratch_store_b128 off, v[64:67], off offset:112
	;; [unrolled: 2-line block ×8, first 2 shown]
	s_cbranch_scc1 .LBB77_68
; %bb.4:
	v_cmp_eq_u32_e64 s2, 0, v41
	s_delay_alu instid0(VALU_DEP_1)
	s_and_saveexec_b32 s3, s2
	s_cbranch_execz .LBB77_6
; %bb.5:
	v_mov_b32_e32 v1, 0
	ds_store_b32 v1, v1 offset:448
.LBB77_6:
	s_or_b32 exec_lo, exec_lo, s3
	s_waitcnt lgkmcnt(0)
	s_waitcnt_vscnt null, 0x0
	s_barrier
	buffer_gl0_inv
	scratch_load_b128 v[1:4], v55, off
	s_waitcnt vmcnt(0)
	v_cmp_eq_f64_e32 vcc_lo, 0, v[1:2]
	v_cmp_eq_f64_e64 s3, 0, v[3:4]
	s_delay_alu instid0(VALU_DEP_1) | instskip(NEXT) | instid1(SALU_CYCLE_1)
	s_and_b32 s3, vcc_lo, s3
	s_and_saveexec_b32 s4, s3
	s_cbranch_execz .LBB77_10
; %bb.7:
	v_mov_b32_e32 v1, 0
	s_mov_b32 s5, 0
	ds_load_b32 v2, v1 offset:448
	s_waitcnt lgkmcnt(0)
	v_readfirstlane_b32 s3, v2
	v_add_nc_u32_e32 v2, 1, v41
	s_delay_alu instid0(VALU_DEP_2) | instskip(NEXT) | instid1(VALU_DEP_1)
	s_cmp_eq_u32 s3, 0
	v_cmp_gt_i32_e32 vcc_lo, s3, v2
	s_cselect_b32 s12, -1, 0
	s_delay_alu instid0(SALU_CYCLE_1) | instskip(NEXT) | instid1(SALU_CYCLE_1)
	s_or_b32 s12, s12, vcc_lo
	s_and_b32 exec_lo, exec_lo, s12
	s_cbranch_execz .LBB77_10
; %bb.8:
	v_mov_b32_e32 v3, s3
.LBB77_9:                               ; =>This Inner Loop Header: Depth=1
	ds_cmpstore_rtn_b32 v3, v1, v2, v3 offset:448
	s_waitcnt lgkmcnt(0)
	v_cmp_ne_u32_e32 vcc_lo, 0, v3
	v_cmp_le_i32_e64 s3, v3, v2
	s_delay_alu instid0(VALU_DEP_1) | instskip(NEXT) | instid1(SALU_CYCLE_1)
	s_and_b32 s3, vcc_lo, s3
	s_and_b32 s3, exec_lo, s3
	s_delay_alu instid0(SALU_CYCLE_1) | instskip(NEXT) | instid1(SALU_CYCLE_1)
	s_or_b32 s5, s3, s5
	s_and_not1_b32 exec_lo, exec_lo, s5
	s_cbranch_execnz .LBB77_9
.LBB77_10:
	s_or_b32 exec_lo, exec_lo, s4
	v_mov_b32_e32 v1, 0
	s_barrier
	buffer_gl0_inv
	ds_load_b32 v2, v1 offset:448
	s_and_saveexec_b32 s3, s2
	s_cbranch_execz .LBB77_12
; %bb.11:
	s_lshl_b64 s[4:5], s[10:11], 2
	s_delay_alu instid0(SALU_CYCLE_1)
	s_add_u32 s4, s6, s4
	s_addc_u32 s5, s7, s5
	s_waitcnt lgkmcnt(0)
	global_store_b32 v1, v2, s[4:5]
.LBB77_12:
	s_or_b32 exec_lo, exec_lo, s3
	s_waitcnt lgkmcnt(0)
	v_cmp_ne_u32_e32 vcc_lo, 0, v2
	s_mov_b32 s3, 0
	s_cbranch_vccnz .LBB77_68
; %bb.13:
	v_add_nc_u32_e32 v56, 0, v55
                                        ; implicit-def: $vgpr9_vgpr10
	scratch_load_b128 v[1:4], v56, off
	s_waitcnt vmcnt(0)
	v_mov_b32_e32 v5, v1
	v_cmp_gt_f64_e32 vcc_lo, 0, v[1:2]
	v_xor_b32_e32 v6, 0x80000000, v2
	v_xor_b32_e32 v7, 0x80000000, v4
	s_delay_alu instid0(VALU_DEP_2) | instskip(SKIP_1) | instid1(VALU_DEP_3)
	v_cndmask_b32_e32 v6, v2, v6, vcc_lo
	v_cmp_gt_f64_e32 vcc_lo, 0, v[3:4]
	v_dual_cndmask_b32 v8, v4, v7 :: v_dual_mov_b32 v7, v3
	s_delay_alu instid0(VALU_DEP_1) | instskip(SKIP_1) | instid1(SALU_CYCLE_1)
	v_cmp_ngt_f64_e32 vcc_lo, v[5:6], v[7:8]
                                        ; implicit-def: $vgpr5_vgpr6
	s_and_saveexec_b32 s3, vcc_lo
	s_xor_b32 s3, exec_lo, s3
	s_cbranch_execz .LBB77_15
; %bb.14:
	v_div_scale_f64 v[5:6], null, v[3:4], v[3:4], v[1:2]
	v_div_scale_f64 v[11:12], vcc_lo, v[1:2], v[3:4], v[1:2]
	s_delay_alu instid0(VALU_DEP_2) | instskip(SKIP_2) | instid1(VALU_DEP_1)
	v_rcp_f64_e32 v[7:8], v[5:6]
	s_waitcnt_depctr 0xfff
	v_fma_f64 v[9:10], -v[5:6], v[7:8], 1.0
	v_fma_f64 v[7:8], v[7:8], v[9:10], v[7:8]
	s_delay_alu instid0(VALU_DEP_1) | instskip(NEXT) | instid1(VALU_DEP_1)
	v_fma_f64 v[9:10], -v[5:6], v[7:8], 1.0
	v_fma_f64 v[7:8], v[7:8], v[9:10], v[7:8]
	s_delay_alu instid0(VALU_DEP_1) | instskip(NEXT) | instid1(VALU_DEP_1)
	v_mul_f64 v[9:10], v[11:12], v[7:8]
	v_fma_f64 v[5:6], -v[5:6], v[9:10], v[11:12]
	s_delay_alu instid0(VALU_DEP_1) | instskip(NEXT) | instid1(VALU_DEP_1)
	v_div_fmas_f64 v[5:6], v[5:6], v[7:8], v[9:10]
	v_div_fixup_f64 v[5:6], v[5:6], v[3:4], v[1:2]
	s_delay_alu instid0(VALU_DEP_1) | instskip(NEXT) | instid1(VALU_DEP_1)
	v_fma_f64 v[1:2], v[1:2], v[5:6], v[3:4]
	v_div_scale_f64 v[3:4], null, v[1:2], v[1:2], 1.0
	v_div_scale_f64 v[11:12], vcc_lo, 1.0, v[1:2], 1.0
	s_delay_alu instid0(VALU_DEP_2) | instskip(SKIP_2) | instid1(VALU_DEP_1)
	v_rcp_f64_e32 v[7:8], v[3:4]
	s_waitcnt_depctr 0xfff
	v_fma_f64 v[9:10], -v[3:4], v[7:8], 1.0
	v_fma_f64 v[7:8], v[7:8], v[9:10], v[7:8]
	s_delay_alu instid0(VALU_DEP_1) | instskip(NEXT) | instid1(VALU_DEP_1)
	v_fma_f64 v[9:10], -v[3:4], v[7:8], 1.0
	v_fma_f64 v[7:8], v[7:8], v[9:10], v[7:8]
	s_delay_alu instid0(VALU_DEP_1) | instskip(NEXT) | instid1(VALU_DEP_1)
	v_mul_f64 v[9:10], v[11:12], v[7:8]
	v_fma_f64 v[3:4], -v[3:4], v[9:10], v[11:12]
	s_delay_alu instid0(VALU_DEP_1) | instskip(NEXT) | instid1(VALU_DEP_1)
	v_div_fmas_f64 v[3:4], v[3:4], v[7:8], v[9:10]
	v_div_fixup_f64 v[7:8], v[3:4], v[1:2], 1.0
                                        ; implicit-def: $vgpr1_vgpr2
	s_delay_alu instid0(VALU_DEP_1) | instskip(SKIP_1) | instid1(VALU_DEP_2)
	v_mul_f64 v[5:6], v[5:6], v[7:8]
	v_xor_b32_e32 v8, 0x80000000, v8
	v_xor_b32_e32 v10, 0x80000000, v6
	s_delay_alu instid0(VALU_DEP_3)
	v_mov_b32_e32 v9, v5
.LBB77_15:
	s_and_not1_saveexec_b32 s3, s3
	s_cbranch_execz .LBB77_17
; %bb.16:
	v_div_scale_f64 v[5:6], null, v[1:2], v[1:2], v[3:4]
	v_div_scale_f64 v[11:12], vcc_lo, v[3:4], v[1:2], v[3:4]
	s_delay_alu instid0(VALU_DEP_2) | instskip(SKIP_2) | instid1(VALU_DEP_1)
	v_rcp_f64_e32 v[7:8], v[5:6]
	s_waitcnt_depctr 0xfff
	v_fma_f64 v[9:10], -v[5:6], v[7:8], 1.0
	v_fma_f64 v[7:8], v[7:8], v[9:10], v[7:8]
	s_delay_alu instid0(VALU_DEP_1) | instskip(NEXT) | instid1(VALU_DEP_1)
	v_fma_f64 v[9:10], -v[5:6], v[7:8], 1.0
	v_fma_f64 v[7:8], v[7:8], v[9:10], v[7:8]
	s_delay_alu instid0(VALU_DEP_1) | instskip(NEXT) | instid1(VALU_DEP_1)
	v_mul_f64 v[9:10], v[11:12], v[7:8]
	v_fma_f64 v[5:6], -v[5:6], v[9:10], v[11:12]
	s_delay_alu instid0(VALU_DEP_1) | instskip(NEXT) | instid1(VALU_DEP_1)
	v_div_fmas_f64 v[5:6], v[5:6], v[7:8], v[9:10]
	v_div_fixup_f64 v[7:8], v[5:6], v[1:2], v[3:4]
	s_delay_alu instid0(VALU_DEP_1) | instskip(NEXT) | instid1(VALU_DEP_1)
	v_fma_f64 v[1:2], v[3:4], v[7:8], v[1:2]
	v_div_scale_f64 v[3:4], null, v[1:2], v[1:2], 1.0
	s_delay_alu instid0(VALU_DEP_1) | instskip(SKIP_2) | instid1(VALU_DEP_1)
	v_rcp_f64_e32 v[5:6], v[3:4]
	s_waitcnt_depctr 0xfff
	v_fma_f64 v[9:10], -v[3:4], v[5:6], 1.0
	v_fma_f64 v[5:6], v[5:6], v[9:10], v[5:6]
	s_delay_alu instid0(VALU_DEP_1) | instskip(NEXT) | instid1(VALU_DEP_1)
	v_fma_f64 v[9:10], -v[3:4], v[5:6], 1.0
	v_fma_f64 v[5:6], v[5:6], v[9:10], v[5:6]
	v_div_scale_f64 v[9:10], vcc_lo, 1.0, v[1:2], 1.0
	s_delay_alu instid0(VALU_DEP_1) | instskip(NEXT) | instid1(VALU_DEP_1)
	v_mul_f64 v[11:12], v[9:10], v[5:6]
	v_fma_f64 v[3:4], -v[3:4], v[11:12], v[9:10]
	s_delay_alu instid0(VALU_DEP_1) | instskip(NEXT) | instid1(VALU_DEP_1)
	v_div_fmas_f64 v[3:4], v[3:4], v[5:6], v[11:12]
	v_div_fixup_f64 v[5:6], v[3:4], v[1:2], 1.0
	s_delay_alu instid0(VALU_DEP_1)
	v_mul_f64 v[7:8], v[7:8], -v[5:6]
	v_xor_b32_e32 v10, 0x80000000, v6
	v_mov_b32_e32 v9, v5
.LBB77_17:
	s_or_b32 exec_lo, exec_lo, s3
	scratch_store_b128 v56, v[5:8], off
	scratch_load_b128 v[1:4], v43, off
	v_xor_b32_e32 v12, 0x80000000, v8
	v_mov_b32_e32 v11, v7
	v_add_nc_u32_e32 v5, 0xe0, v55
	ds_store_b128 v55, v[9:12]
	s_waitcnt vmcnt(0)
	ds_store_b128 v55, v[1:4] offset:224
	s_waitcnt lgkmcnt(0)
	s_waitcnt_vscnt null, 0x0
	s_barrier
	buffer_gl0_inv
	s_and_saveexec_b32 s3, s2
	s_cbranch_execz .LBB77_19
; %bb.18:
	scratch_load_b128 v[1:4], v56, off
	ds_load_b128 v[6:9], v5
	v_mov_b32_e32 v10, 0
	ds_load_b128 v[57:60], v10 offset:16
	s_waitcnt vmcnt(0) lgkmcnt(1)
	v_mul_f64 v[10:11], v[6:7], v[3:4]
	v_mul_f64 v[3:4], v[8:9], v[3:4]
	s_delay_alu instid0(VALU_DEP_2) | instskip(NEXT) | instid1(VALU_DEP_2)
	v_fma_f64 v[8:9], v[8:9], v[1:2], v[10:11]
	v_fma_f64 v[1:2], v[6:7], v[1:2], -v[3:4]
	s_delay_alu instid0(VALU_DEP_2) | instskip(NEXT) | instid1(VALU_DEP_2)
	v_add_f64 v[3:4], v[8:9], 0
	v_add_f64 v[1:2], v[1:2], 0
	s_waitcnt lgkmcnt(0)
	s_delay_alu instid0(VALU_DEP_2) | instskip(NEXT) | instid1(VALU_DEP_2)
	v_mul_f64 v[6:7], v[3:4], v[59:60]
	v_mul_f64 v[8:9], v[1:2], v[59:60]
	s_delay_alu instid0(VALU_DEP_2) | instskip(NEXT) | instid1(VALU_DEP_2)
	v_fma_f64 v[1:2], v[1:2], v[57:58], -v[6:7]
	v_fma_f64 v[3:4], v[3:4], v[57:58], v[8:9]
	scratch_store_b128 off, v[1:4], off offset:16
.LBB77_19:
	s_or_b32 exec_lo, exec_lo, s3
	s_waitcnt_vscnt null, 0x0
	s_barrier
	buffer_gl0_inv
	scratch_load_b128 v[1:4], v45, off
	s_mov_b32 s3, exec_lo
	s_waitcnt vmcnt(0)
	ds_store_b128 v5, v[1:4]
	s_waitcnt lgkmcnt(0)
	s_barrier
	buffer_gl0_inv
	v_cmpx_gt_u32_e32 2, v41
	s_cbranch_execz .LBB77_23
; %bb.20:
	scratch_load_b128 v[1:4], v56, off
	ds_load_b128 v[6:9], v5
	s_waitcnt vmcnt(0) lgkmcnt(0)
	v_mul_f64 v[10:11], v[8:9], v[3:4]
	v_mul_f64 v[3:4], v[6:7], v[3:4]
	s_delay_alu instid0(VALU_DEP_2) | instskip(NEXT) | instid1(VALU_DEP_2)
	v_fma_f64 v[6:7], v[6:7], v[1:2], -v[10:11]
	v_fma_f64 v[3:4], v[8:9], v[1:2], v[3:4]
	s_delay_alu instid0(VALU_DEP_2) | instskip(NEXT) | instid1(VALU_DEP_2)
	v_add_f64 v[1:2], v[6:7], 0
	v_add_f64 v[3:4], v[3:4], 0
	s_and_saveexec_b32 s4, s2
	s_cbranch_execz .LBB77_22
; %bb.21:
	scratch_load_b128 v[6:9], off, off offset:16
	v_mov_b32_e32 v10, 0
	ds_load_b128 v[57:60], v10 offset:240
	s_waitcnt vmcnt(0) lgkmcnt(0)
	v_mul_f64 v[10:11], v[57:58], v[8:9]
	v_mul_f64 v[8:9], v[59:60], v[8:9]
	s_delay_alu instid0(VALU_DEP_2) | instskip(NEXT) | instid1(VALU_DEP_2)
	v_fma_f64 v[10:11], v[59:60], v[6:7], v[10:11]
	v_fma_f64 v[6:7], v[57:58], v[6:7], -v[8:9]
	s_delay_alu instid0(VALU_DEP_2) | instskip(NEXT) | instid1(VALU_DEP_2)
	v_add_f64 v[3:4], v[3:4], v[10:11]
	v_add_f64 v[1:2], v[1:2], v[6:7]
.LBB77_22:
	s_or_b32 exec_lo, exec_lo, s4
	v_mov_b32_e32 v6, 0
	ds_load_b128 v[6:9], v6 offset:32
	s_waitcnt lgkmcnt(0)
	v_mul_f64 v[10:11], v[3:4], v[8:9]
	v_mul_f64 v[8:9], v[1:2], v[8:9]
	s_delay_alu instid0(VALU_DEP_2) | instskip(NEXT) | instid1(VALU_DEP_2)
	v_fma_f64 v[1:2], v[1:2], v[6:7], -v[10:11]
	v_fma_f64 v[3:4], v[3:4], v[6:7], v[8:9]
	scratch_store_b128 off, v[1:4], off offset:32
.LBB77_23:
	s_or_b32 exec_lo, exec_lo, s3
	s_waitcnt_vscnt null, 0x0
	s_barrier
	buffer_gl0_inv
	scratch_load_b128 v[1:4], v42, off
	v_add_nc_u32_e32 v6, -1, v41
	s_mov_b32 s2, exec_lo
	s_waitcnt vmcnt(0)
	ds_store_b128 v5, v[1:4]
	s_waitcnt lgkmcnt(0)
	s_barrier
	buffer_gl0_inv
	v_cmpx_gt_u32_e32 3, v41
	s_cbranch_execz .LBB77_27
; %bb.24:
	v_dual_mov_b32 v1, 0 :: v_dual_add_nc_u32 v8, 0xe0, v55
	v_dual_mov_b32 v2, 0 :: v_dual_add_nc_u32 v7, -1, v41
	v_or_b32_e32 v9, 8, v56
	s_mov_b32 s3, 0
	s_delay_alu instid0(VALU_DEP_2)
	v_dual_mov_b32 v4, v2 :: v_dual_mov_b32 v3, v1
	.p2align	6
.LBB77_25:                              ; =>This Inner Loop Header: Depth=1
	scratch_load_b128 v[57:60], v9, off offset:-8
	ds_load_b128 v[61:64], v8
	v_add_nc_u32_e32 v7, 1, v7
	v_add_nc_u32_e32 v8, 16, v8
	;; [unrolled: 1-line block ×3, first 2 shown]
	s_delay_alu instid0(VALU_DEP_3) | instskip(SKIP_4) | instid1(VALU_DEP_2)
	v_cmp_lt_u32_e32 vcc_lo, 1, v7
	s_or_b32 s3, vcc_lo, s3
	s_waitcnt vmcnt(0) lgkmcnt(0)
	v_mul_f64 v[10:11], v[63:64], v[59:60]
	v_mul_f64 v[59:60], v[61:62], v[59:60]
	v_fma_f64 v[10:11], v[61:62], v[57:58], -v[10:11]
	s_delay_alu instid0(VALU_DEP_2) | instskip(NEXT) | instid1(VALU_DEP_2)
	v_fma_f64 v[57:58], v[63:64], v[57:58], v[59:60]
	v_add_f64 v[3:4], v[3:4], v[10:11]
	s_delay_alu instid0(VALU_DEP_2)
	v_add_f64 v[1:2], v[1:2], v[57:58]
	s_and_not1_b32 exec_lo, exec_lo, s3
	s_cbranch_execnz .LBB77_25
; %bb.26:
	s_or_b32 exec_lo, exec_lo, s3
	v_mov_b32_e32 v7, 0
	ds_load_b128 v[7:10], v7 offset:48
	s_waitcnt lgkmcnt(0)
	v_mul_f64 v[11:12], v[1:2], v[9:10]
	v_mul_f64 v[57:58], v[3:4], v[9:10]
	s_delay_alu instid0(VALU_DEP_2) | instskip(NEXT) | instid1(VALU_DEP_2)
	v_fma_f64 v[9:10], v[3:4], v[7:8], -v[11:12]
	v_fma_f64 v[11:12], v[1:2], v[7:8], v[57:58]
	scratch_store_b128 off, v[9:12], off offset:48
.LBB77_27:
	s_or_b32 exec_lo, exec_lo, s2
	s_waitcnt_vscnt null, 0x0
	s_barrier
	buffer_gl0_inv
	scratch_load_b128 v[1:4], v46, off
	s_mov_b32 s2, exec_lo
	s_waitcnt vmcnt(0)
	ds_store_b128 v5, v[1:4]
	s_waitcnt lgkmcnt(0)
	s_barrier
	buffer_gl0_inv
	v_cmpx_gt_u32_e32 4, v41
	s_cbranch_execz .LBB77_31
; %bb.28:
	v_dual_mov_b32 v1, 0 :: v_dual_add_nc_u32 v8, 0xe0, v55
	v_dual_mov_b32 v2, 0 :: v_dual_add_nc_u32 v7, -1, v41
	v_or_b32_e32 v9, 8, v56
	s_mov_b32 s3, 0
	s_delay_alu instid0(VALU_DEP_2)
	v_dual_mov_b32 v4, v2 :: v_dual_mov_b32 v3, v1
	.p2align	6
.LBB77_29:                              ; =>This Inner Loop Header: Depth=1
	scratch_load_b128 v[57:60], v9, off offset:-8
	ds_load_b128 v[61:64], v8
	v_add_nc_u32_e32 v7, 1, v7
	v_add_nc_u32_e32 v8, 16, v8
	;; [unrolled: 1-line block ×3, first 2 shown]
	s_delay_alu instid0(VALU_DEP_3) | instskip(SKIP_4) | instid1(VALU_DEP_2)
	v_cmp_lt_u32_e32 vcc_lo, 2, v7
	s_or_b32 s3, vcc_lo, s3
	s_waitcnt vmcnt(0) lgkmcnt(0)
	v_mul_f64 v[10:11], v[63:64], v[59:60]
	v_mul_f64 v[59:60], v[61:62], v[59:60]
	v_fma_f64 v[10:11], v[61:62], v[57:58], -v[10:11]
	s_delay_alu instid0(VALU_DEP_2) | instskip(NEXT) | instid1(VALU_DEP_2)
	v_fma_f64 v[57:58], v[63:64], v[57:58], v[59:60]
	v_add_f64 v[3:4], v[3:4], v[10:11]
	s_delay_alu instid0(VALU_DEP_2)
	v_add_f64 v[1:2], v[1:2], v[57:58]
	s_and_not1_b32 exec_lo, exec_lo, s3
	s_cbranch_execnz .LBB77_29
; %bb.30:
	s_or_b32 exec_lo, exec_lo, s3
	v_mov_b32_e32 v7, 0
	ds_load_b128 v[7:10], v7 offset:64
	s_waitcnt lgkmcnt(0)
	v_mul_f64 v[11:12], v[1:2], v[9:10]
	v_mul_f64 v[57:58], v[3:4], v[9:10]
	s_delay_alu instid0(VALU_DEP_2) | instskip(NEXT) | instid1(VALU_DEP_2)
	v_fma_f64 v[9:10], v[3:4], v[7:8], -v[11:12]
	v_fma_f64 v[11:12], v[1:2], v[7:8], v[57:58]
	scratch_store_b128 off, v[9:12], off offset:64
.LBB77_31:
	s_or_b32 exec_lo, exec_lo, s2
	s_waitcnt_vscnt null, 0x0
	s_barrier
	buffer_gl0_inv
	scratch_load_b128 v[1:4], v44, off
	s_mov_b32 s2, exec_lo
	s_waitcnt vmcnt(0)
	ds_store_b128 v5, v[1:4]
	s_waitcnt lgkmcnt(0)
	s_barrier
	buffer_gl0_inv
	v_cmpx_gt_u32_e32 5, v41
	s_cbranch_execz .LBB77_35
; %bb.32:
	v_dual_mov_b32 v1, 0 :: v_dual_add_nc_u32 v8, 0xe0, v55
	v_dual_mov_b32 v2, 0 :: v_dual_add_nc_u32 v7, -1, v41
	v_or_b32_e32 v9, 8, v56
	s_mov_b32 s3, 0
	s_delay_alu instid0(VALU_DEP_2)
	v_dual_mov_b32 v4, v2 :: v_dual_mov_b32 v3, v1
	.p2align	6
.LBB77_33:                              ; =>This Inner Loop Header: Depth=1
	scratch_load_b128 v[57:60], v9, off offset:-8
	ds_load_b128 v[61:64], v8
	v_add_nc_u32_e32 v7, 1, v7
	v_add_nc_u32_e32 v8, 16, v8
	;; [unrolled: 1-line block ×3, first 2 shown]
	s_delay_alu instid0(VALU_DEP_3) | instskip(SKIP_4) | instid1(VALU_DEP_2)
	v_cmp_lt_u32_e32 vcc_lo, 3, v7
	s_or_b32 s3, vcc_lo, s3
	s_waitcnt vmcnt(0) lgkmcnt(0)
	v_mul_f64 v[10:11], v[63:64], v[59:60]
	v_mul_f64 v[59:60], v[61:62], v[59:60]
	v_fma_f64 v[10:11], v[61:62], v[57:58], -v[10:11]
	s_delay_alu instid0(VALU_DEP_2) | instskip(NEXT) | instid1(VALU_DEP_2)
	v_fma_f64 v[57:58], v[63:64], v[57:58], v[59:60]
	v_add_f64 v[3:4], v[3:4], v[10:11]
	s_delay_alu instid0(VALU_DEP_2)
	v_add_f64 v[1:2], v[1:2], v[57:58]
	s_and_not1_b32 exec_lo, exec_lo, s3
	s_cbranch_execnz .LBB77_33
; %bb.34:
	s_or_b32 exec_lo, exec_lo, s3
	v_mov_b32_e32 v7, 0
	ds_load_b128 v[7:10], v7 offset:80
	s_waitcnt lgkmcnt(0)
	v_mul_f64 v[11:12], v[1:2], v[9:10]
	v_mul_f64 v[57:58], v[3:4], v[9:10]
	s_delay_alu instid0(VALU_DEP_2) | instskip(NEXT) | instid1(VALU_DEP_2)
	v_fma_f64 v[9:10], v[3:4], v[7:8], -v[11:12]
	v_fma_f64 v[11:12], v[1:2], v[7:8], v[57:58]
	scratch_store_b128 off, v[9:12], off offset:80
.LBB77_35:
	s_or_b32 exec_lo, exec_lo, s2
	s_waitcnt_vscnt null, 0x0
	s_barrier
	buffer_gl0_inv
	scratch_load_b128 v[1:4], v48, off
	s_mov_b32 s2, exec_lo
	s_waitcnt vmcnt(0)
	ds_store_b128 v5, v[1:4]
	s_waitcnt lgkmcnt(0)
	s_barrier
	buffer_gl0_inv
	v_cmpx_gt_u32_e32 6, v41
	s_cbranch_execz .LBB77_39
; %bb.36:
	v_dual_mov_b32 v1, 0 :: v_dual_add_nc_u32 v8, 0xe0, v55
	v_dual_mov_b32 v2, 0 :: v_dual_add_nc_u32 v7, -1, v41
	v_or_b32_e32 v9, 8, v56
	s_mov_b32 s3, 0
	s_delay_alu instid0(VALU_DEP_2)
	v_dual_mov_b32 v4, v2 :: v_dual_mov_b32 v3, v1
	.p2align	6
.LBB77_37:                              ; =>This Inner Loop Header: Depth=1
	scratch_load_b128 v[57:60], v9, off offset:-8
	ds_load_b128 v[61:64], v8
	v_add_nc_u32_e32 v7, 1, v7
	v_add_nc_u32_e32 v8, 16, v8
	;; [unrolled: 1-line block ×3, first 2 shown]
	s_delay_alu instid0(VALU_DEP_3) | instskip(SKIP_4) | instid1(VALU_DEP_2)
	v_cmp_lt_u32_e32 vcc_lo, 4, v7
	s_or_b32 s3, vcc_lo, s3
	s_waitcnt vmcnt(0) lgkmcnt(0)
	v_mul_f64 v[10:11], v[63:64], v[59:60]
	v_mul_f64 v[59:60], v[61:62], v[59:60]
	v_fma_f64 v[10:11], v[61:62], v[57:58], -v[10:11]
	s_delay_alu instid0(VALU_DEP_2) | instskip(NEXT) | instid1(VALU_DEP_2)
	v_fma_f64 v[57:58], v[63:64], v[57:58], v[59:60]
	v_add_f64 v[3:4], v[3:4], v[10:11]
	s_delay_alu instid0(VALU_DEP_2)
	v_add_f64 v[1:2], v[1:2], v[57:58]
	s_and_not1_b32 exec_lo, exec_lo, s3
	s_cbranch_execnz .LBB77_37
; %bb.38:
	s_or_b32 exec_lo, exec_lo, s3
	v_mov_b32_e32 v7, 0
	ds_load_b128 v[7:10], v7 offset:96
	s_waitcnt lgkmcnt(0)
	v_mul_f64 v[11:12], v[1:2], v[9:10]
	v_mul_f64 v[57:58], v[3:4], v[9:10]
	s_delay_alu instid0(VALU_DEP_2) | instskip(NEXT) | instid1(VALU_DEP_2)
	v_fma_f64 v[9:10], v[3:4], v[7:8], -v[11:12]
	v_fma_f64 v[11:12], v[1:2], v[7:8], v[57:58]
	scratch_store_b128 off, v[9:12], off offset:96
.LBB77_39:
	s_or_b32 exec_lo, exec_lo, s2
	s_waitcnt_vscnt null, 0x0
	s_barrier
	buffer_gl0_inv
	scratch_load_b128 v[1:4], v47, off
	s_mov_b32 s2, exec_lo
	s_waitcnt vmcnt(0)
	ds_store_b128 v5, v[1:4]
	s_waitcnt lgkmcnt(0)
	s_barrier
	buffer_gl0_inv
	v_cmpx_gt_u32_e32 7, v41
	s_cbranch_execz .LBB77_43
; %bb.40:
	v_dual_mov_b32 v1, 0 :: v_dual_add_nc_u32 v8, 0xe0, v55
	v_dual_mov_b32 v2, 0 :: v_dual_add_nc_u32 v7, -1, v41
	v_or_b32_e32 v9, 8, v56
	s_mov_b32 s3, 0
	s_delay_alu instid0(VALU_DEP_2)
	v_dual_mov_b32 v4, v2 :: v_dual_mov_b32 v3, v1
	.p2align	6
.LBB77_41:                              ; =>This Inner Loop Header: Depth=1
	scratch_load_b128 v[57:60], v9, off offset:-8
	ds_load_b128 v[61:64], v8
	v_add_nc_u32_e32 v7, 1, v7
	v_add_nc_u32_e32 v8, 16, v8
	;; [unrolled: 1-line block ×3, first 2 shown]
	s_delay_alu instid0(VALU_DEP_3) | instskip(SKIP_4) | instid1(VALU_DEP_2)
	v_cmp_lt_u32_e32 vcc_lo, 5, v7
	s_or_b32 s3, vcc_lo, s3
	s_waitcnt vmcnt(0) lgkmcnt(0)
	v_mul_f64 v[10:11], v[63:64], v[59:60]
	v_mul_f64 v[59:60], v[61:62], v[59:60]
	v_fma_f64 v[10:11], v[61:62], v[57:58], -v[10:11]
	s_delay_alu instid0(VALU_DEP_2) | instskip(NEXT) | instid1(VALU_DEP_2)
	v_fma_f64 v[57:58], v[63:64], v[57:58], v[59:60]
	v_add_f64 v[3:4], v[3:4], v[10:11]
	s_delay_alu instid0(VALU_DEP_2)
	v_add_f64 v[1:2], v[1:2], v[57:58]
	s_and_not1_b32 exec_lo, exec_lo, s3
	s_cbranch_execnz .LBB77_41
; %bb.42:
	s_or_b32 exec_lo, exec_lo, s3
	v_mov_b32_e32 v7, 0
	ds_load_b128 v[7:10], v7 offset:112
	s_waitcnt lgkmcnt(0)
	v_mul_f64 v[11:12], v[1:2], v[9:10]
	v_mul_f64 v[57:58], v[3:4], v[9:10]
	s_delay_alu instid0(VALU_DEP_2) | instskip(NEXT) | instid1(VALU_DEP_2)
	v_fma_f64 v[9:10], v[3:4], v[7:8], -v[11:12]
	v_fma_f64 v[11:12], v[1:2], v[7:8], v[57:58]
	scratch_store_b128 off, v[9:12], off offset:112
.LBB77_43:
	s_or_b32 exec_lo, exec_lo, s2
	s_waitcnt_vscnt null, 0x0
	s_barrier
	buffer_gl0_inv
	scratch_load_b128 v[1:4], v50, off
	s_mov_b32 s2, exec_lo
	s_waitcnt vmcnt(0)
	ds_store_b128 v5, v[1:4]
	s_waitcnt lgkmcnt(0)
	s_barrier
	buffer_gl0_inv
	v_cmpx_gt_u32_e32 8, v41
	s_cbranch_execz .LBB77_47
; %bb.44:
	v_dual_mov_b32 v1, 0 :: v_dual_add_nc_u32 v8, 0xe0, v55
	v_dual_mov_b32 v2, 0 :: v_dual_add_nc_u32 v7, -1, v41
	v_or_b32_e32 v9, 8, v56
	s_mov_b32 s3, 0
	s_delay_alu instid0(VALU_DEP_2)
	v_dual_mov_b32 v4, v2 :: v_dual_mov_b32 v3, v1
	.p2align	6
.LBB77_45:                              ; =>This Inner Loop Header: Depth=1
	scratch_load_b128 v[57:60], v9, off offset:-8
	ds_load_b128 v[61:64], v8
	v_add_nc_u32_e32 v7, 1, v7
	v_add_nc_u32_e32 v8, 16, v8
	v_add_nc_u32_e32 v9, 16, v9
	s_delay_alu instid0(VALU_DEP_3) | instskip(SKIP_4) | instid1(VALU_DEP_2)
	v_cmp_lt_u32_e32 vcc_lo, 6, v7
	s_or_b32 s3, vcc_lo, s3
	s_waitcnt vmcnt(0) lgkmcnt(0)
	v_mul_f64 v[10:11], v[63:64], v[59:60]
	v_mul_f64 v[59:60], v[61:62], v[59:60]
	v_fma_f64 v[10:11], v[61:62], v[57:58], -v[10:11]
	s_delay_alu instid0(VALU_DEP_2) | instskip(NEXT) | instid1(VALU_DEP_2)
	v_fma_f64 v[57:58], v[63:64], v[57:58], v[59:60]
	v_add_f64 v[3:4], v[3:4], v[10:11]
	s_delay_alu instid0(VALU_DEP_2)
	v_add_f64 v[1:2], v[1:2], v[57:58]
	s_and_not1_b32 exec_lo, exec_lo, s3
	s_cbranch_execnz .LBB77_45
; %bb.46:
	s_or_b32 exec_lo, exec_lo, s3
	v_mov_b32_e32 v7, 0
	ds_load_b128 v[7:10], v7 offset:128
	s_waitcnt lgkmcnt(0)
	v_mul_f64 v[11:12], v[1:2], v[9:10]
	v_mul_f64 v[57:58], v[3:4], v[9:10]
	s_delay_alu instid0(VALU_DEP_2) | instskip(NEXT) | instid1(VALU_DEP_2)
	v_fma_f64 v[9:10], v[3:4], v[7:8], -v[11:12]
	v_fma_f64 v[11:12], v[1:2], v[7:8], v[57:58]
	scratch_store_b128 off, v[9:12], off offset:128
.LBB77_47:
	s_or_b32 exec_lo, exec_lo, s2
	s_waitcnt_vscnt null, 0x0
	s_barrier
	buffer_gl0_inv
	scratch_load_b128 v[1:4], v49, off
	s_mov_b32 s2, exec_lo
	s_waitcnt vmcnt(0)
	ds_store_b128 v5, v[1:4]
	s_waitcnt lgkmcnt(0)
	s_barrier
	buffer_gl0_inv
	v_cmpx_gt_u32_e32 9, v41
	s_cbranch_execz .LBB77_51
; %bb.48:
	v_dual_mov_b32 v1, 0 :: v_dual_add_nc_u32 v8, 0xe0, v55
	v_dual_mov_b32 v2, 0 :: v_dual_add_nc_u32 v7, -1, v41
	v_or_b32_e32 v9, 8, v56
	s_mov_b32 s3, 0
	s_delay_alu instid0(VALU_DEP_2)
	v_dual_mov_b32 v4, v2 :: v_dual_mov_b32 v3, v1
	.p2align	6
.LBB77_49:                              ; =>This Inner Loop Header: Depth=1
	scratch_load_b128 v[57:60], v9, off offset:-8
	ds_load_b128 v[61:64], v8
	v_add_nc_u32_e32 v7, 1, v7
	v_add_nc_u32_e32 v8, 16, v8
	;; [unrolled: 1-line block ×3, first 2 shown]
	s_delay_alu instid0(VALU_DEP_3) | instskip(SKIP_4) | instid1(VALU_DEP_2)
	v_cmp_lt_u32_e32 vcc_lo, 7, v7
	s_or_b32 s3, vcc_lo, s3
	s_waitcnt vmcnt(0) lgkmcnt(0)
	v_mul_f64 v[10:11], v[63:64], v[59:60]
	v_mul_f64 v[59:60], v[61:62], v[59:60]
	v_fma_f64 v[10:11], v[61:62], v[57:58], -v[10:11]
	s_delay_alu instid0(VALU_DEP_2) | instskip(NEXT) | instid1(VALU_DEP_2)
	v_fma_f64 v[57:58], v[63:64], v[57:58], v[59:60]
	v_add_f64 v[3:4], v[3:4], v[10:11]
	s_delay_alu instid0(VALU_DEP_2)
	v_add_f64 v[1:2], v[1:2], v[57:58]
	s_and_not1_b32 exec_lo, exec_lo, s3
	s_cbranch_execnz .LBB77_49
; %bb.50:
	s_or_b32 exec_lo, exec_lo, s3
	v_mov_b32_e32 v7, 0
	ds_load_b128 v[7:10], v7 offset:144
	s_waitcnt lgkmcnt(0)
	v_mul_f64 v[11:12], v[1:2], v[9:10]
	v_mul_f64 v[57:58], v[3:4], v[9:10]
	s_delay_alu instid0(VALU_DEP_2) | instskip(NEXT) | instid1(VALU_DEP_2)
	v_fma_f64 v[9:10], v[3:4], v[7:8], -v[11:12]
	v_fma_f64 v[11:12], v[1:2], v[7:8], v[57:58]
	scratch_store_b128 off, v[9:12], off offset:144
.LBB77_51:
	s_or_b32 exec_lo, exec_lo, s2
	s_waitcnt_vscnt null, 0x0
	s_barrier
	buffer_gl0_inv
	scratch_load_b128 v[1:4], v52, off
	s_mov_b32 s2, exec_lo
	s_waitcnt vmcnt(0)
	ds_store_b128 v5, v[1:4]
	s_waitcnt lgkmcnt(0)
	s_barrier
	buffer_gl0_inv
	v_cmpx_gt_u32_e32 10, v41
	s_cbranch_execz .LBB77_55
; %bb.52:
	v_dual_mov_b32 v1, 0 :: v_dual_add_nc_u32 v8, 0xe0, v55
	v_dual_mov_b32 v2, 0 :: v_dual_add_nc_u32 v7, -1, v41
	v_or_b32_e32 v9, 8, v56
	s_mov_b32 s3, 0
	s_delay_alu instid0(VALU_DEP_2)
	v_dual_mov_b32 v4, v2 :: v_dual_mov_b32 v3, v1
	.p2align	6
.LBB77_53:                              ; =>This Inner Loop Header: Depth=1
	scratch_load_b128 v[57:60], v9, off offset:-8
	ds_load_b128 v[61:64], v8
	v_add_nc_u32_e32 v7, 1, v7
	v_add_nc_u32_e32 v8, 16, v8
	;; [unrolled: 1-line block ×3, first 2 shown]
	s_delay_alu instid0(VALU_DEP_3) | instskip(SKIP_4) | instid1(VALU_DEP_2)
	v_cmp_lt_u32_e32 vcc_lo, 8, v7
	s_or_b32 s3, vcc_lo, s3
	s_waitcnt vmcnt(0) lgkmcnt(0)
	v_mul_f64 v[10:11], v[63:64], v[59:60]
	v_mul_f64 v[59:60], v[61:62], v[59:60]
	v_fma_f64 v[10:11], v[61:62], v[57:58], -v[10:11]
	s_delay_alu instid0(VALU_DEP_2) | instskip(NEXT) | instid1(VALU_DEP_2)
	v_fma_f64 v[57:58], v[63:64], v[57:58], v[59:60]
	v_add_f64 v[3:4], v[3:4], v[10:11]
	s_delay_alu instid0(VALU_DEP_2)
	v_add_f64 v[1:2], v[1:2], v[57:58]
	s_and_not1_b32 exec_lo, exec_lo, s3
	s_cbranch_execnz .LBB77_53
; %bb.54:
	s_or_b32 exec_lo, exec_lo, s3
	v_mov_b32_e32 v7, 0
	ds_load_b128 v[7:10], v7 offset:160
	s_waitcnt lgkmcnt(0)
	v_mul_f64 v[11:12], v[1:2], v[9:10]
	v_mul_f64 v[57:58], v[3:4], v[9:10]
	s_delay_alu instid0(VALU_DEP_2) | instskip(NEXT) | instid1(VALU_DEP_2)
	v_fma_f64 v[9:10], v[3:4], v[7:8], -v[11:12]
	v_fma_f64 v[11:12], v[1:2], v[7:8], v[57:58]
	scratch_store_b128 off, v[9:12], off offset:160
.LBB77_55:
	s_or_b32 exec_lo, exec_lo, s2
	s_waitcnt_vscnt null, 0x0
	s_barrier
	buffer_gl0_inv
	scratch_load_b128 v[1:4], v51, off
	s_mov_b32 s2, exec_lo
	s_waitcnt vmcnt(0)
	ds_store_b128 v5, v[1:4]
	s_waitcnt lgkmcnt(0)
	s_barrier
	buffer_gl0_inv
	v_cmpx_gt_u32_e32 11, v41
	s_cbranch_execz .LBB77_59
; %bb.56:
	v_dual_mov_b32 v1, 0 :: v_dual_add_nc_u32 v8, 0xe0, v55
	v_dual_mov_b32 v2, 0 :: v_dual_add_nc_u32 v7, -1, v41
	v_or_b32_e32 v9, 8, v56
	s_mov_b32 s3, 0
	s_delay_alu instid0(VALU_DEP_2)
	v_dual_mov_b32 v4, v2 :: v_dual_mov_b32 v3, v1
	.p2align	6
.LBB77_57:                              ; =>This Inner Loop Header: Depth=1
	scratch_load_b128 v[57:60], v9, off offset:-8
	ds_load_b128 v[61:64], v8
	v_add_nc_u32_e32 v7, 1, v7
	v_add_nc_u32_e32 v8, 16, v8
	;; [unrolled: 1-line block ×3, first 2 shown]
	s_delay_alu instid0(VALU_DEP_3) | instskip(SKIP_4) | instid1(VALU_DEP_2)
	v_cmp_lt_u32_e32 vcc_lo, 9, v7
	s_or_b32 s3, vcc_lo, s3
	s_waitcnt vmcnt(0) lgkmcnt(0)
	v_mul_f64 v[10:11], v[63:64], v[59:60]
	v_mul_f64 v[59:60], v[61:62], v[59:60]
	v_fma_f64 v[10:11], v[61:62], v[57:58], -v[10:11]
	s_delay_alu instid0(VALU_DEP_2) | instskip(NEXT) | instid1(VALU_DEP_2)
	v_fma_f64 v[57:58], v[63:64], v[57:58], v[59:60]
	v_add_f64 v[3:4], v[3:4], v[10:11]
	s_delay_alu instid0(VALU_DEP_2)
	v_add_f64 v[1:2], v[1:2], v[57:58]
	s_and_not1_b32 exec_lo, exec_lo, s3
	s_cbranch_execnz .LBB77_57
; %bb.58:
	s_or_b32 exec_lo, exec_lo, s3
	v_mov_b32_e32 v7, 0
	ds_load_b128 v[7:10], v7 offset:176
	s_waitcnt lgkmcnt(0)
	v_mul_f64 v[11:12], v[1:2], v[9:10]
	v_mul_f64 v[57:58], v[3:4], v[9:10]
	s_delay_alu instid0(VALU_DEP_2) | instskip(NEXT) | instid1(VALU_DEP_2)
	v_fma_f64 v[9:10], v[3:4], v[7:8], -v[11:12]
	v_fma_f64 v[11:12], v[1:2], v[7:8], v[57:58]
	scratch_store_b128 off, v[9:12], off offset:176
.LBB77_59:
	s_or_b32 exec_lo, exec_lo, s2
	s_waitcnt_vscnt null, 0x0
	s_barrier
	buffer_gl0_inv
	scratch_load_b128 v[1:4], v54, off
	s_mov_b32 s2, exec_lo
	s_waitcnt vmcnt(0)
	ds_store_b128 v5, v[1:4]
	s_waitcnt lgkmcnt(0)
	s_barrier
	buffer_gl0_inv
	v_cmpx_gt_u32_e32 12, v41
	s_cbranch_execz .LBB77_63
; %bb.60:
	v_dual_mov_b32 v1, 0 :: v_dual_add_nc_u32 v8, 0xe0, v55
	v_dual_mov_b32 v2, 0 :: v_dual_add_nc_u32 v7, -1, v41
	v_or_b32_e32 v9, 8, v56
	s_mov_b32 s3, 0
	s_delay_alu instid0(VALU_DEP_2)
	v_dual_mov_b32 v4, v2 :: v_dual_mov_b32 v3, v1
	.p2align	6
.LBB77_61:                              ; =>This Inner Loop Header: Depth=1
	scratch_load_b128 v[57:60], v9, off offset:-8
	ds_load_b128 v[61:64], v8
	v_add_nc_u32_e32 v7, 1, v7
	v_add_nc_u32_e32 v8, 16, v8
	;; [unrolled: 1-line block ×3, first 2 shown]
	s_delay_alu instid0(VALU_DEP_3) | instskip(SKIP_4) | instid1(VALU_DEP_2)
	v_cmp_lt_u32_e32 vcc_lo, 10, v7
	s_or_b32 s3, vcc_lo, s3
	s_waitcnt vmcnt(0) lgkmcnt(0)
	v_mul_f64 v[10:11], v[63:64], v[59:60]
	v_mul_f64 v[59:60], v[61:62], v[59:60]
	v_fma_f64 v[10:11], v[61:62], v[57:58], -v[10:11]
	s_delay_alu instid0(VALU_DEP_2) | instskip(NEXT) | instid1(VALU_DEP_2)
	v_fma_f64 v[57:58], v[63:64], v[57:58], v[59:60]
	v_add_f64 v[3:4], v[3:4], v[10:11]
	s_delay_alu instid0(VALU_DEP_2)
	v_add_f64 v[1:2], v[1:2], v[57:58]
	s_and_not1_b32 exec_lo, exec_lo, s3
	s_cbranch_execnz .LBB77_61
; %bb.62:
	s_or_b32 exec_lo, exec_lo, s3
	v_mov_b32_e32 v7, 0
	ds_load_b128 v[7:10], v7 offset:192
	s_waitcnt lgkmcnt(0)
	v_mul_f64 v[11:12], v[1:2], v[9:10]
	v_mul_f64 v[57:58], v[3:4], v[9:10]
	s_delay_alu instid0(VALU_DEP_2) | instskip(NEXT) | instid1(VALU_DEP_2)
	v_fma_f64 v[9:10], v[3:4], v[7:8], -v[11:12]
	v_fma_f64 v[11:12], v[1:2], v[7:8], v[57:58]
	scratch_store_b128 off, v[9:12], off offset:192
.LBB77_63:
	s_or_b32 exec_lo, exec_lo, s2
	s_waitcnt_vscnt null, 0x0
	s_barrier
	buffer_gl0_inv
	scratch_load_b128 v[1:4], v53, off
	s_mov_b32 s2, exec_lo
	s_waitcnt vmcnt(0)
	ds_store_b128 v5, v[1:4]
	s_waitcnt lgkmcnt(0)
	s_barrier
	buffer_gl0_inv
	v_cmpx_ne_u32_e32 13, v41
	s_cbranch_execz .LBB77_67
; %bb.64:
	v_mov_b32_e32 v1, 0
	v_mov_b32_e32 v2, 0
	v_or_b32_e32 v7, 8, v56
	s_mov_b32 s3, 0
	s_delay_alu instid0(VALU_DEP_2)
	v_dual_mov_b32 v4, v2 :: v_dual_mov_b32 v3, v1
	.p2align	6
.LBB77_65:                              ; =>This Inner Loop Header: Depth=1
	scratch_load_b128 v[8:11], v7, off offset:-8
	ds_load_b128 v[55:58], v5
	v_add_nc_u32_e32 v6, 1, v6
	v_add_nc_u32_e32 v5, 16, v5
	;; [unrolled: 1-line block ×3, first 2 shown]
	s_delay_alu instid0(VALU_DEP_3) | instskip(SKIP_4) | instid1(VALU_DEP_2)
	v_cmp_lt_u32_e32 vcc_lo, 11, v6
	s_or_b32 s3, vcc_lo, s3
	s_waitcnt vmcnt(0) lgkmcnt(0)
	v_mul_f64 v[59:60], v[57:58], v[10:11]
	v_mul_f64 v[10:11], v[55:56], v[10:11]
	v_fma_f64 v[55:56], v[55:56], v[8:9], -v[59:60]
	s_delay_alu instid0(VALU_DEP_2) | instskip(NEXT) | instid1(VALU_DEP_2)
	v_fma_f64 v[8:9], v[57:58], v[8:9], v[10:11]
	v_add_f64 v[3:4], v[3:4], v[55:56]
	s_delay_alu instid0(VALU_DEP_2)
	v_add_f64 v[1:2], v[1:2], v[8:9]
	s_and_not1_b32 exec_lo, exec_lo, s3
	s_cbranch_execnz .LBB77_65
; %bb.66:
	s_or_b32 exec_lo, exec_lo, s3
	v_mov_b32_e32 v5, 0
	ds_load_b128 v[5:8], v5 offset:208
	s_waitcnt lgkmcnt(0)
	v_mul_f64 v[9:10], v[1:2], v[7:8]
	v_mul_f64 v[7:8], v[3:4], v[7:8]
	s_delay_alu instid0(VALU_DEP_2) | instskip(NEXT) | instid1(VALU_DEP_2)
	v_fma_f64 v[3:4], v[3:4], v[5:6], -v[9:10]
	v_fma_f64 v[5:6], v[1:2], v[5:6], v[7:8]
	scratch_store_b128 off, v[3:6], off offset:208
.LBB77_67:
	s_or_b32 exec_lo, exec_lo, s2
	s_mov_b32 s3, -1
	s_waitcnt_vscnt null, 0x0
	s_barrier
	buffer_gl0_inv
.LBB77_68:
	s_and_b32 vcc_lo, exec_lo, s3
	s_cbranch_vccz .LBB77_70
; %bb.69:
	s_lshl_b64 s[2:3], s[10:11], 2
	v_mov_b32_e32 v1, 0
	s_add_u32 s2, s6, s2
	s_addc_u32 s3, s7, s3
	global_load_b32 v1, v1, s[2:3]
	s_waitcnt vmcnt(0)
	v_cmp_ne_u32_e32 vcc_lo, 0, v1
	s_cbranch_vccz .LBB77_71
.LBB77_70:
	s_endpgm
.LBB77_71:
	v_lshl_add_u32 v5, v41, 4, 0xe0
	s_mov_b32 s2, exec_lo
	v_cmpx_eq_u32_e32 13, v41
	s_cbranch_execz .LBB77_73
; %bb.72:
	scratch_load_b128 v[1:4], v54, off
	v_mov_b32_e32 v6, 0
	s_delay_alu instid0(VALU_DEP_1)
	v_mov_b32_e32 v7, v6
	v_mov_b32_e32 v8, v6
	;; [unrolled: 1-line block ×3, first 2 shown]
	scratch_store_b128 off, v[6:9], off offset:192
	s_waitcnt vmcnt(0)
	ds_store_b128 v5, v[1:4]
.LBB77_73:
	s_or_b32 exec_lo, exec_lo, s2
	s_waitcnt lgkmcnt(0)
	s_waitcnt_vscnt null, 0x0
	s_barrier
	buffer_gl0_inv
	s_clause 0x1
	scratch_load_b128 v[6:9], off, off offset:208
	scratch_load_b128 v[55:58], off, off offset:192
	v_mov_b32_e32 v1, 0
	s_mov_b32 s2, exec_lo
	ds_load_b128 v[59:62], v1 offset:432
	s_waitcnt vmcnt(1) lgkmcnt(0)
	v_mul_f64 v[2:3], v[61:62], v[8:9]
	v_mul_f64 v[8:9], v[59:60], v[8:9]
	s_delay_alu instid0(VALU_DEP_2) | instskip(NEXT) | instid1(VALU_DEP_2)
	v_fma_f64 v[2:3], v[59:60], v[6:7], -v[2:3]
	v_fma_f64 v[6:7], v[61:62], v[6:7], v[8:9]
	s_delay_alu instid0(VALU_DEP_2) | instskip(NEXT) | instid1(VALU_DEP_2)
	v_add_f64 v[2:3], v[2:3], 0
	v_add_f64 v[8:9], v[6:7], 0
	s_waitcnt vmcnt(0)
	s_delay_alu instid0(VALU_DEP_2) | instskip(NEXT) | instid1(VALU_DEP_2)
	v_add_f64 v[6:7], v[55:56], -v[2:3]
	v_add_f64 v[8:9], v[57:58], -v[8:9]
	scratch_store_b128 off, v[6:9], off offset:192
	v_cmpx_lt_u32_e32 11, v41
	s_cbranch_execz .LBB77_75
; %bb.74:
	scratch_load_b128 v[6:9], v51, off
	v_mov_b32_e32 v2, v1
	v_mov_b32_e32 v3, v1
	;; [unrolled: 1-line block ×3, first 2 shown]
	scratch_store_b128 off, v[1:4], off offset:176
	s_waitcnt vmcnt(0)
	ds_store_b128 v5, v[6:9]
.LBB77_75:
	s_or_b32 exec_lo, exec_lo, s2
	s_waitcnt lgkmcnt(0)
	s_waitcnt_vscnt null, 0x0
	s_barrier
	buffer_gl0_inv
	s_clause 0x2
	scratch_load_b128 v[6:9], off, off offset:192
	scratch_load_b128 v[55:58], off, off offset:208
	;; [unrolled: 1-line block ×3, first 2 shown]
	ds_load_b128 v[63:66], v1 offset:416
	ds_load_b128 v[1:4], v1 offset:432
	s_mov_b32 s2, exec_lo
	s_waitcnt vmcnt(2) lgkmcnt(1)
	v_mul_f64 v[10:11], v[65:66], v[8:9]
	v_mul_f64 v[8:9], v[63:64], v[8:9]
	s_waitcnt vmcnt(1) lgkmcnt(0)
	v_mul_f64 v[67:68], v[1:2], v[57:58]
	v_mul_f64 v[57:58], v[3:4], v[57:58]
	s_delay_alu instid0(VALU_DEP_4) | instskip(NEXT) | instid1(VALU_DEP_4)
	v_fma_f64 v[10:11], v[63:64], v[6:7], -v[10:11]
	v_fma_f64 v[6:7], v[65:66], v[6:7], v[8:9]
	s_delay_alu instid0(VALU_DEP_4) | instskip(NEXT) | instid1(VALU_DEP_4)
	v_fma_f64 v[3:4], v[3:4], v[55:56], v[67:68]
	v_fma_f64 v[1:2], v[1:2], v[55:56], -v[57:58]
	s_delay_alu instid0(VALU_DEP_4) | instskip(NEXT) | instid1(VALU_DEP_4)
	v_add_f64 v[8:9], v[10:11], 0
	v_add_f64 v[6:7], v[6:7], 0
	s_delay_alu instid0(VALU_DEP_2) | instskip(NEXT) | instid1(VALU_DEP_2)
	v_add_f64 v[1:2], v[8:9], v[1:2]
	v_add_f64 v[3:4], v[6:7], v[3:4]
	s_waitcnt vmcnt(0)
	s_delay_alu instid0(VALU_DEP_2) | instskip(NEXT) | instid1(VALU_DEP_2)
	v_add_f64 v[1:2], v[59:60], -v[1:2]
	v_add_f64 v[3:4], v[61:62], -v[3:4]
	scratch_store_b128 off, v[1:4], off offset:176
	v_cmpx_lt_u32_e32 10, v41
	s_cbranch_execz .LBB77_77
; %bb.76:
	scratch_load_b128 v[1:4], v52, off
	v_mov_b32_e32 v6, 0
	s_delay_alu instid0(VALU_DEP_1)
	v_mov_b32_e32 v7, v6
	v_mov_b32_e32 v8, v6
	v_mov_b32_e32 v9, v6
	scratch_store_b128 off, v[6:9], off offset:160
	s_waitcnt vmcnt(0)
	ds_store_b128 v5, v[1:4]
.LBB77_77:
	s_or_b32 exec_lo, exec_lo, s2
	s_waitcnt lgkmcnt(0)
	s_waitcnt_vscnt null, 0x0
	s_barrier
	buffer_gl0_inv
	s_clause 0x3
	scratch_load_b128 v[6:9], off, off offset:176
	scratch_load_b128 v[55:58], off, off offset:192
	;; [unrolled: 1-line block ×4, first 2 shown]
	v_mov_b32_e32 v1, 0
	ds_load_b128 v[67:70], v1 offset:400
	ds_load_b128 v[71:74], v1 offset:416
	s_mov_b32 s2, exec_lo
	s_waitcnt vmcnt(3) lgkmcnt(1)
	v_mul_f64 v[2:3], v[69:70], v[8:9]
	v_mul_f64 v[8:9], v[67:68], v[8:9]
	s_waitcnt vmcnt(2) lgkmcnt(0)
	v_mul_f64 v[10:11], v[71:72], v[57:58]
	v_mul_f64 v[57:58], v[73:74], v[57:58]
	s_delay_alu instid0(VALU_DEP_4) | instskip(NEXT) | instid1(VALU_DEP_4)
	v_fma_f64 v[2:3], v[67:68], v[6:7], -v[2:3]
	v_fma_f64 v[67:68], v[69:70], v[6:7], v[8:9]
	ds_load_b128 v[6:9], v1 offset:432
	v_fma_f64 v[10:11], v[73:74], v[55:56], v[10:11]
	v_fma_f64 v[55:56], v[71:72], v[55:56], -v[57:58]
	s_waitcnt vmcnt(1) lgkmcnt(0)
	v_mul_f64 v[69:70], v[6:7], v[61:62]
	v_mul_f64 v[61:62], v[8:9], v[61:62]
	v_add_f64 v[2:3], v[2:3], 0
	v_add_f64 v[57:58], v[67:68], 0
	s_delay_alu instid0(VALU_DEP_4) | instskip(NEXT) | instid1(VALU_DEP_4)
	v_fma_f64 v[8:9], v[8:9], v[59:60], v[69:70]
	v_fma_f64 v[6:7], v[6:7], v[59:60], -v[61:62]
	s_delay_alu instid0(VALU_DEP_4) | instskip(NEXT) | instid1(VALU_DEP_4)
	v_add_f64 v[2:3], v[2:3], v[55:56]
	v_add_f64 v[10:11], v[57:58], v[10:11]
	s_delay_alu instid0(VALU_DEP_2) | instskip(NEXT) | instid1(VALU_DEP_2)
	v_add_f64 v[2:3], v[2:3], v[6:7]
	v_add_f64 v[8:9], v[10:11], v[8:9]
	s_waitcnt vmcnt(0)
	s_delay_alu instid0(VALU_DEP_2) | instskip(NEXT) | instid1(VALU_DEP_2)
	v_add_f64 v[6:7], v[63:64], -v[2:3]
	v_add_f64 v[8:9], v[65:66], -v[8:9]
	scratch_store_b128 off, v[6:9], off offset:160
	v_cmpx_lt_u32_e32 9, v41
	s_cbranch_execz .LBB77_79
; %bb.78:
	scratch_load_b128 v[6:9], v49, off
	v_mov_b32_e32 v2, v1
	v_mov_b32_e32 v3, v1
	;; [unrolled: 1-line block ×3, first 2 shown]
	scratch_store_b128 off, v[1:4], off offset:144
	s_waitcnt vmcnt(0)
	ds_store_b128 v5, v[6:9]
.LBB77_79:
	s_or_b32 exec_lo, exec_lo, s2
	s_waitcnt lgkmcnt(0)
	s_waitcnt_vscnt null, 0x0
	s_barrier
	buffer_gl0_inv
	s_clause 0x4
	scratch_load_b128 v[6:9], off, off offset:160
	scratch_load_b128 v[55:58], off, off offset:176
	;; [unrolled: 1-line block ×5, first 2 shown]
	ds_load_b128 v[71:74], v1 offset:384
	ds_load_b128 v[75:78], v1 offset:400
	s_mov_b32 s2, exec_lo
	s_waitcnt vmcnt(4) lgkmcnt(1)
	v_mul_f64 v[2:3], v[73:74], v[8:9]
	v_mul_f64 v[8:9], v[71:72], v[8:9]
	s_waitcnt vmcnt(3) lgkmcnt(0)
	v_mul_f64 v[10:11], v[75:76], v[57:58]
	v_mul_f64 v[57:58], v[77:78], v[57:58]
	s_delay_alu instid0(VALU_DEP_4) | instskip(NEXT) | instid1(VALU_DEP_4)
	v_fma_f64 v[71:72], v[71:72], v[6:7], -v[2:3]
	v_fma_f64 v[73:74], v[73:74], v[6:7], v[8:9]
	ds_load_b128 v[6:9], v1 offset:416
	ds_load_b128 v[1:4], v1 offset:432
	v_fma_f64 v[10:11], v[77:78], v[55:56], v[10:11]
	v_fma_f64 v[55:56], v[75:76], v[55:56], -v[57:58]
	s_waitcnt vmcnt(2) lgkmcnt(1)
	v_mul_f64 v[79:80], v[6:7], v[61:62]
	v_mul_f64 v[61:62], v[8:9], v[61:62]
	v_add_f64 v[57:58], v[71:72], 0
	v_add_f64 v[71:72], v[73:74], 0
	s_waitcnt vmcnt(1) lgkmcnt(0)
	v_mul_f64 v[73:74], v[1:2], v[65:66]
	v_mul_f64 v[65:66], v[3:4], v[65:66]
	v_fma_f64 v[8:9], v[8:9], v[59:60], v[79:80]
	v_fma_f64 v[6:7], v[6:7], v[59:60], -v[61:62]
	v_add_f64 v[55:56], v[57:58], v[55:56]
	v_add_f64 v[10:11], v[71:72], v[10:11]
	v_fma_f64 v[3:4], v[3:4], v[63:64], v[73:74]
	v_fma_f64 v[1:2], v[1:2], v[63:64], -v[65:66]
	s_delay_alu instid0(VALU_DEP_4) | instskip(NEXT) | instid1(VALU_DEP_4)
	v_add_f64 v[6:7], v[55:56], v[6:7]
	v_add_f64 v[8:9], v[10:11], v[8:9]
	s_delay_alu instid0(VALU_DEP_2) | instskip(NEXT) | instid1(VALU_DEP_2)
	v_add_f64 v[1:2], v[6:7], v[1:2]
	v_add_f64 v[3:4], v[8:9], v[3:4]
	s_waitcnt vmcnt(0)
	s_delay_alu instid0(VALU_DEP_2) | instskip(NEXT) | instid1(VALU_DEP_2)
	v_add_f64 v[1:2], v[67:68], -v[1:2]
	v_add_f64 v[3:4], v[69:70], -v[3:4]
	scratch_store_b128 off, v[1:4], off offset:144
	v_cmpx_lt_u32_e32 8, v41
	s_cbranch_execz .LBB77_81
; %bb.80:
	scratch_load_b128 v[1:4], v50, off
	v_mov_b32_e32 v6, 0
	s_delay_alu instid0(VALU_DEP_1)
	v_mov_b32_e32 v7, v6
	v_mov_b32_e32 v8, v6
	;; [unrolled: 1-line block ×3, first 2 shown]
	scratch_store_b128 off, v[6:9], off offset:128
	s_waitcnt vmcnt(0)
	ds_store_b128 v5, v[1:4]
.LBB77_81:
	s_or_b32 exec_lo, exec_lo, s2
	s_waitcnt lgkmcnt(0)
	s_waitcnt_vscnt null, 0x0
	s_barrier
	buffer_gl0_inv
	s_clause 0x5
	scratch_load_b128 v[6:9], off, off offset:144
	scratch_load_b128 v[55:58], off, off offset:160
	;; [unrolled: 1-line block ×6, first 2 shown]
	v_mov_b32_e32 v1, 0
	ds_load_b128 v[75:78], v1 offset:368
	ds_load_b128 v[79:82], v1 offset:384
	s_mov_b32 s2, exec_lo
	s_waitcnt vmcnt(5) lgkmcnt(1)
	v_mul_f64 v[2:3], v[77:78], v[8:9]
	v_mul_f64 v[8:9], v[75:76], v[8:9]
	s_waitcnt vmcnt(4) lgkmcnt(0)
	v_mul_f64 v[10:11], v[79:80], v[57:58]
	v_mul_f64 v[57:58], v[81:82], v[57:58]
	s_delay_alu instid0(VALU_DEP_4) | instskip(NEXT) | instid1(VALU_DEP_4)
	v_fma_f64 v[2:3], v[75:76], v[6:7], -v[2:3]
	v_fma_f64 v[83:84], v[77:78], v[6:7], v[8:9]
	ds_load_b128 v[6:9], v1 offset:400
	ds_load_b128 v[75:78], v1 offset:416
	v_fma_f64 v[10:11], v[81:82], v[55:56], v[10:11]
	v_fma_f64 v[55:56], v[79:80], v[55:56], -v[57:58]
	s_waitcnt vmcnt(3) lgkmcnt(1)
	v_mul_f64 v[85:86], v[6:7], v[61:62]
	v_mul_f64 v[61:62], v[8:9], v[61:62]
	s_waitcnt vmcnt(2) lgkmcnt(0)
	v_mul_f64 v[79:80], v[75:76], v[65:66]
	v_mul_f64 v[65:66], v[77:78], v[65:66]
	v_add_f64 v[2:3], v[2:3], 0
	v_add_f64 v[57:58], v[83:84], 0
	v_fma_f64 v[81:82], v[8:9], v[59:60], v[85:86]
	v_fma_f64 v[59:60], v[6:7], v[59:60], -v[61:62]
	ds_load_b128 v[6:9], v1 offset:432
	v_fma_f64 v[61:62], v[77:78], v[63:64], v[79:80]
	v_fma_f64 v[63:64], v[75:76], v[63:64], -v[65:66]
	v_add_f64 v[2:3], v[2:3], v[55:56]
	v_add_f64 v[10:11], v[57:58], v[10:11]
	s_waitcnt vmcnt(1) lgkmcnt(0)
	v_mul_f64 v[55:56], v[6:7], v[69:70]
	v_mul_f64 v[57:58], v[8:9], v[69:70]
	s_delay_alu instid0(VALU_DEP_4) | instskip(NEXT) | instid1(VALU_DEP_4)
	v_add_f64 v[2:3], v[2:3], v[59:60]
	v_add_f64 v[10:11], v[10:11], v[81:82]
	s_delay_alu instid0(VALU_DEP_4) | instskip(NEXT) | instid1(VALU_DEP_4)
	v_fma_f64 v[8:9], v[8:9], v[67:68], v[55:56]
	v_fma_f64 v[6:7], v[6:7], v[67:68], -v[57:58]
	s_delay_alu instid0(VALU_DEP_4) | instskip(NEXT) | instid1(VALU_DEP_4)
	v_add_f64 v[2:3], v[2:3], v[63:64]
	v_add_f64 v[10:11], v[10:11], v[61:62]
	s_delay_alu instid0(VALU_DEP_2) | instskip(NEXT) | instid1(VALU_DEP_2)
	v_add_f64 v[2:3], v[2:3], v[6:7]
	v_add_f64 v[8:9], v[10:11], v[8:9]
	s_waitcnt vmcnt(0)
	s_delay_alu instid0(VALU_DEP_2) | instskip(NEXT) | instid1(VALU_DEP_2)
	v_add_f64 v[6:7], v[71:72], -v[2:3]
	v_add_f64 v[8:9], v[73:74], -v[8:9]
	scratch_store_b128 off, v[6:9], off offset:128
	v_cmpx_lt_u32_e32 7, v41
	s_cbranch_execz .LBB77_83
; %bb.82:
	scratch_load_b128 v[6:9], v47, off
	v_mov_b32_e32 v2, v1
	v_mov_b32_e32 v3, v1
	;; [unrolled: 1-line block ×3, first 2 shown]
	scratch_store_b128 off, v[1:4], off offset:112
	s_waitcnt vmcnt(0)
	ds_store_b128 v5, v[6:9]
.LBB77_83:
	s_or_b32 exec_lo, exec_lo, s2
	s_waitcnt lgkmcnt(0)
	s_waitcnt_vscnt null, 0x0
	s_barrier
	buffer_gl0_inv
	s_clause 0x5
	scratch_load_b128 v[6:9], off, off offset:128
	scratch_load_b128 v[55:58], off, off offset:144
	;; [unrolled: 1-line block ×6, first 2 shown]
	ds_load_b128 v[75:78], v1 offset:352
	ds_load_b128 v[83:86], v1 offset:368
	scratch_load_b128 v[79:82], off, off offset:112
	s_mov_b32 s2, exec_lo
	s_waitcnt vmcnt(6) lgkmcnt(1)
	v_mul_f64 v[2:3], v[77:78], v[8:9]
	v_mul_f64 v[8:9], v[75:76], v[8:9]
	s_waitcnt vmcnt(5) lgkmcnt(0)
	v_mul_f64 v[10:11], v[83:84], v[57:58]
	v_mul_f64 v[57:58], v[85:86], v[57:58]
	s_delay_alu instid0(VALU_DEP_4) | instskip(NEXT) | instid1(VALU_DEP_4)
	v_fma_f64 v[2:3], v[75:76], v[6:7], -v[2:3]
	v_fma_f64 v[87:88], v[77:78], v[6:7], v[8:9]
	ds_load_b128 v[6:9], v1 offset:384
	ds_load_b128 v[75:78], v1 offset:400
	v_fma_f64 v[10:11], v[85:86], v[55:56], v[10:11]
	v_fma_f64 v[55:56], v[83:84], v[55:56], -v[57:58]
	s_waitcnt vmcnt(4) lgkmcnt(1)
	v_mul_f64 v[89:90], v[6:7], v[61:62]
	v_mul_f64 v[61:62], v[8:9], v[61:62]
	s_waitcnt vmcnt(3) lgkmcnt(0)
	v_mul_f64 v[83:84], v[75:76], v[65:66]
	v_mul_f64 v[65:66], v[77:78], v[65:66]
	v_add_f64 v[2:3], v[2:3], 0
	v_add_f64 v[57:58], v[87:88], 0
	v_fma_f64 v[85:86], v[8:9], v[59:60], v[89:90]
	v_fma_f64 v[59:60], v[6:7], v[59:60], -v[61:62]
	s_delay_alu instid0(VALU_DEP_4) | instskip(NEXT) | instid1(VALU_DEP_4)
	v_add_f64 v[55:56], v[2:3], v[55:56]
	v_add_f64 v[10:11], v[57:58], v[10:11]
	ds_load_b128 v[6:9], v1 offset:416
	ds_load_b128 v[1:4], v1 offset:432
	s_waitcnt vmcnt(2) lgkmcnt(1)
	v_mul_f64 v[57:58], v[6:7], v[69:70]
	v_mul_f64 v[61:62], v[8:9], v[69:70]
	v_fma_f64 v[69:70], v[77:78], v[63:64], v[83:84]
	v_fma_f64 v[63:64], v[75:76], v[63:64], -v[65:66]
	s_waitcnt vmcnt(1) lgkmcnt(0)
	v_mul_f64 v[65:66], v[3:4], v[73:74]
	v_add_f64 v[55:56], v[55:56], v[59:60]
	v_add_f64 v[10:11], v[10:11], v[85:86]
	v_mul_f64 v[59:60], v[1:2], v[73:74]
	v_fma_f64 v[8:9], v[8:9], v[67:68], v[57:58]
	v_fma_f64 v[6:7], v[6:7], v[67:68], -v[61:62]
	v_fma_f64 v[1:2], v[1:2], v[71:72], -v[65:66]
	v_add_f64 v[55:56], v[55:56], v[63:64]
	v_add_f64 v[10:11], v[10:11], v[69:70]
	v_fma_f64 v[3:4], v[3:4], v[71:72], v[59:60]
	s_delay_alu instid0(VALU_DEP_3) | instskip(NEXT) | instid1(VALU_DEP_3)
	v_add_f64 v[6:7], v[55:56], v[6:7]
	v_add_f64 v[8:9], v[10:11], v[8:9]
	s_delay_alu instid0(VALU_DEP_2) | instskip(NEXT) | instid1(VALU_DEP_2)
	v_add_f64 v[1:2], v[6:7], v[1:2]
	v_add_f64 v[3:4], v[8:9], v[3:4]
	s_waitcnt vmcnt(0)
	s_delay_alu instid0(VALU_DEP_2) | instskip(NEXT) | instid1(VALU_DEP_2)
	v_add_f64 v[1:2], v[79:80], -v[1:2]
	v_add_f64 v[3:4], v[81:82], -v[3:4]
	scratch_store_b128 off, v[1:4], off offset:112
	v_cmpx_lt_u32_e32 6, v41
	s_cbranch_execz .LBB77_85
; %bb.84:
	scratch_load_b128 v[1:4], v48, off
	v_mov_b32_e32 v6, 0
	s_delay_alu instid0(VALU_DEP_1)
	v_mov_b32_e32 v7, v6
	v_mov_b32_e32 v8, v6
	;; [unrolled: 1-line block ×3, first 2 shown]
	scratch_store_b128 off, v[6:9], off offset:96
	s_waitcnt vmcnt(0)
	ds_store_b128 v5, v[1:4]
.LBB77_85:
	s_or_b32 exec_lo, exec_lo, s2
	s_waitcnt lgkmcnt(0)
	s_waitcnt_vscnt null, 0x0
	s_barrier
	buffer_gl0_inv
	s_clause 0x6
	scratch_load_b128 v[6:9], off, off offset:112
	scratch_load_b128 v[55:58], off, off offset:128
	;; [unrolled: 1-line block ×7, first 2 shown]
	v_mov_b32_e32 v1, 0
	scratch_load_b128 v[83:86], off, off offset:96
	s_mov_b32 s2, exec_lo
	ds_load_b128 v[79:82], v1 offset:336
	ds_load_b128 v[87:90], v1 offset:352
	s_waitcnt vmcnt(7) lgkmcnt(1)
	v_mul_f64 v[2:3], v[81:82], v[8:9]
	v_mul_f64 v[8:9], v[79:80], v[8:9]
	s_waitcnt vmcnt(6) lgkmcnt(0)
	v_mul_f64 v[10:11], v[87:88], v[57:58]
	v_mul_f64 v[57:58], v[89:90], v[57:58]
	s_delay_alu instid0(VALU_DEP_4) | instskip(NEXT) | instid1(VALU_DEP_4)
	v_fma_f64 v[2:3], v[79:80], v[6:7], -v[2:3]
	v_fma_f64 v[91:92], v[81:82], v[6:7], v[8:9]
	ds_load_b128 v[6:9], v1 offset:368
	ds_load_b128 v[79:82], v1 offset:384
	v_fma_f64 v[10:11], v[89:90], v[55:56], v[10:11]
	v_fma_f64 v[55:56], v[87:88], v[55:56], -v[57:58]
	s_waitcnt vmcnt(5) lgkmcnt(1)
	v_mul_f64 v[93:94], v[6:7], v[61:62]
	v_mul_f64 v[61:62], v[8:9], v[61:62]
	s_waitcnt vmcnt(4) lgkmcnt(0)
	v_mul_f64 v[87:88], v[79:80], v[65:66]
	v_mul_f64 v[65:66], v[81:82], v[65:66]
	v_add_f64 v[2:3], v[2:3], 0
	v_add_f64 v[57:58], v[91:92], 0
	v_fma_f64 v[89:90], v[8:9], v[59:60], v[93:94]
	v_fma_f64 v[59:60], v[6:7], v[59:60], -v[61:62]
	v_fma_f64 v[81:82], v[81:82], v[63:64], v[87:88]
	v_fma_f64 v[63:64], v[79:80], v[63:64], -v[65:66]
	v_add_f64 v[2:3], v[2:3], v[55:56]
	v_add_f64 v[10:11], v[57:58], v[10:11]
	ds_load_b128 v[6:9], v1 offset:400
	ds_load_b128 v[55:58], v1 offset:416
	s_waitcnt vmcnt(3) lgkmcnt(1)
	v_mul_f64 v[61:62], v[6:7], v[69:70]
	v_mul_f64 v[69:70], v[8:9], v[69:70]
	s_waitcnt vmcnt(2) lgkmcnt(0)
	v_mul_f64 v[65:66], v[57:58], v[73:74]
	v_add_f64 v[2:3], v[2:3], v[59:60]
	v_add_f64 v[10:11], v[10:11], v[89:90]
	v_mul_f64 v[59:60], v[55:56], v[73:74]
	v_fma_f64 v[61:62], v[8:9], v[67:68], v[61:62]
	v_fma_f64 v[67:68], v[6:7], v[67:68], -v[69:70]
	ds_load_b128 v[6:9], v1 offset:432
	v_fma_f64 v[55:56], v[55:56], v[71:72], -v[65:66]
	v_add_f64 v[2:3], v[2:3], v[63:64]
	v_add_f64 v[10:11], v[10:11], v[81:82]
	v_fma_f64 v[57:58], v[57:58], v[71:72], v[59:60]
	s_waitcnt vmcnt(1) lgkmcnt(0)
	v_mul_f64 v[63:64], v[6:7], v[77:78]
	v_mul_f64 v[69:70], v[8:9], v[77:78]
	v_add_f64 v[2:3], v[2:3], v[67:68]
	v_add_f64 v[10:11], v[10:11], v[61:62]
	s_delay_alu instid0(VALU_DEP_4) | instskip(NEXT) | instid1(VALU_DEP_4)
	v_fma_f64 v[8:9], v[8:9], v[75:76], v[63:64]
	v_fma_f64 v[6:7], v[6:7], v[75:76], -v[69:70]
	s_delay_alu instid0(VALU_DEP_4) | instskip(NEXT) | instid1(VALU_DEP_4)
	v_add_f64 v[2:3], v[2:3], v[55:56]
	v_add_f64 v[10:11], v[10:11], v[57:58]
	s_delay_alu instid0(VALU_DEP_2) | instskip(NEXT) | instid1(VALU_DEP_2)
	v_add_f64 v[2:3], v[2:3], v[6:7]
	v_add_f64 v[8:9], v[10:11], v[8:9]
	s_waitcnt vmcnt(0)
	s_delay_alu instid0(VALU_DEP_2) | instskip(NEXT) | instid1(VALU_DEP_2)
	v_add_f64 v[6:7], v[83:84], -v[2:3]
	v_add_f64 v[8:9], v[85:86], -v[8:9]
	scratch_store_b128 off, v[6:9], off offset:96
	v_cmpx_lt_u32_e32 5, v41
	s_cbranch_execz .LBB77_87
; %bb.86:
	scratch_load_b128 v[6:9], v44, off
	v_mov_b32_e32 v2, v1
	v_mov_b32_e32 v3, v1
	;; [unrolled: 1-line block ×3, first 2 shown]
	scratch_store_b128 off, v[1:4], off offset:80
	s_waitcnt vmcnt(0)
	ds_store_b128 v5, v[6:9]
.LBB77_87:
	s_or_b32 exec_lo, exec_lo, s2
	s_waitcnt lgkmcnt(0)
	s_waitcnt_vscnt null, 0x0
	s_barrier
	buffer_gl0_inv
	s_clause 0x7
	scratch_load_b128 v[6:9], off, off offset:96
	scratch_load_b128 v[55:58], off, off offset:112
	;; [unrolled: 1-line block ×8, first 2 shown]
	ds_load_b128 v[83:86], v1 offset:320
	ds_load_b128 v[87:90], v1 offset:336
	scratch_load_b128 v[91:94], off, off offset:80
	s_mov_b32 s2, exec_lo
	s_waitcnt vmcnt(8) lgkmcnt(1)
	v_mul_f64 v[2:3], v[85:86], v[8:9]
	v_mul_f64 v[8:9], v[83:84], v[8:9]
	s_waitcnt vmcnt(7) lgkmcnt(0)
	v_mul_f64 v[10:11], v[87:88], v[57:58]
	v_mul_f64 v[57:58], v[89:90], v[57:58]
	s_delay_alu instid0(VALU_DEP_4) | instskip(NEXT) | instid1(VALU_DEP_4)
	v_fma_f64 v[2:3], v[83:84], v[6:7], -v[2:3]
	v_fma_f64 v[95:96], v[85:86], v[6:7], v[8:9]
	ds_load_b128 v[6:9], v1 offset:352
	ds_load_b128 v[83:86], v1 offset:368
	v_fma_f64 v[10:11], v[89:90], v[55:56], v[10:11]
	v_fma_f64 v[55:56], v[87:88], v[55:56], -v[57:58]
	s_waitcnt vmcnt(6) lgkmcnt(1)
	v_mul_f64 v[97:98], v[6:7], v[61:62]
	v_mul_f64 v[61:62], v[8:9], v[61:62]
	s_waitcnt vmcnt(5) lgkmcnt(0)
	v_mul_f64 v[87:88], v[83:84], v[65:66]
	v_mul_f64 v[65:66], v[85:86], v[65:66]
	v_add_f64 v[2:3], v[2:3], 0
	v_add_f64 v[57:58], v[95:96], 0
	v_fma_f64 v[89:90], v[8:9], v[59:60], v[97:98]
	v_fma_f64 v[59:60], v[6:7], v[59:60], -v[61:62]
	v_fma_f64 v[85:86], v[85:86], v[63:64], v[87:88]
	v_fma_f64 v[63:64], v[83:84], v[63:64], -v[65:66]
	v_add_f64 v[2:3], v[2:3], v[55:56]
	v_add_f64 v[10:11], v[57:58], v[10:11]
	ds_load_b128 v[6:9], v1 offset:384
	ds_load_b128 v[55:58], v1 offset:400
	s_waitcnt vmcnt(4) lgkmcnt(1)
	v_mul_f64 v[61:62], v[6:7], v[69:70]
	v_mul_f64 v[69:70], v[8:9], v[69:70]
	s_waitcnt vmcnt(3) lgkmcnt(0)
	v_mul_f64 v[65:66], v[57:58], v[73:74]
	v_add_f64 v[2:3], v[2:3], v[59:60]
	v_add_f64 v[10:11], v[10:11], v[89:90]
	v_mul_f64 v[59:60], v[55:56], v[73:74]
	v_fma_f64 v[61:62], v[8:9], v[67:68], v[61:62]
	v_fma_f64 v[67:68], v[6:7], v[67:68], -v[69:70]
	v_fma_f64 v[55:56], v[55:56], v[71:72], -v[65:66]
	v_add_f64 v[63:64], v[2:3], v[63:64]
	v_add_f64 v[10:11], v[10:11], v[85:86]
	ds_load_b128 v[6:9], v1 offset:416
	ds_load_b128 v[1:4], v1 offset:432
	v_fma_f64 v[57:58], v[57:58], v[71:72], v[59:60]
	s_waitcnt vmcnt(2) lgkmcnt(1)
	v_mul_f64 v[69:70], v[6:7], v[77:78]
	v_mul_f64 v[73:74], v[8:9], v[77:78]
	v_add_f64 v[59:60], v[63:64], v[67:68]
	v_add_f64 v[10:11], v[10:11], v[61:62]
	s_waitcnt vmcnt(1) lgkmcnt(0)
	v_mul_f64 v[61:62], v[1:2], v[81:82]
	v_mul_f64 v[63:64], v[3:4], v[81:82]
	v_fma_f64 v[8:9], v[8:9], v[75:76], v[69:70]
	v_fma_f64 v[6:7], v[6:7], v[75:76], -v[73:74]
	v_add_f64 v[55:56], v[59:60], v[55:56]
	v_add_f64 v[10:11], v[10:11], v[57:58]
	v_fma_f64 v[3:4], v[3:4], v[79:80], v[61:62]
	v_fma_f64 v[1:2], v[1:2], v[79:80], -v[63:64]
	s_delay_alu instid0(VALU_DEP_4) | instskip(NEXT) | instid1(VALU_DEP_4)
	v_add_f64 v[6:7], v[55:56], v[6:7]
	v_add_f64 v[8:9], v[10:11], v[8:9]
	s_delay_alu instid0(VALU_DEP_2) | instskip(NEXT) | instid1(VALU_DEP_2)
	v_add_f64 v[1:2], v[6:7], v[1:2]
	v_add_f64 v[3:4], v[8:9], v[3:4]
	s_waitcnt vmcnt(0)
	s_delay_alu instid0(VALU_DEP_2) | instskip(NEXT) | instid1(VALU_DEP_2)
	v_add_f64 v[1:2], v[91:92], -v[1:2]
	v_add_f64 v[3:4], v[93:94], -v[3:4]
	scratch_store_b128 off, v[1:4], off offset:80
	v_cmpx_lt_u32_e32 4, v41
	s_cbranch_execz .LBB77_89
; %bb.88:
	scratch_load_b128 v[1:4], v46, off
	v_mov_b32_e32 v6, 0
	s_delay_alu instid0(VALU_DEP_1)
	v_mov_b32_e32 v7, v6
	v_mov_b32_e32 v8, v6
	;; [unrolled: 1-line block ×3, first 2 shown]
	scratch_store_b128 off, v[6:9], off offset:64
	s_waitcnt vmcnt(0)
	ds_store_b128 v5, v[1:4]
.LBB77_89:
	s_or_b32 exec_lo, exec_lo, s2
	s_waitcnt lgkmcnt(0)
	s_waitcnt_vscnt null, 0x0
	s_barrier
	buffer_gl0_inv
	s_clause 0x7
	scratch_load_b128 v[6:9], off, off offset:80
	scratch_load_b128 v[55:58], off, off offset:96
	;; [unrolled: 1-line block ×8, first 2 shown]
	v_mov_b32_e32 v1, 0
	s_mov_b32 s2, exec_lo
	ds_load_b128 v[83:86], v1 offset:304
	s_clause 0x1
	scratch_load_b128 v[87:90], off, off offset:208
	scratch_load_b128 v[91:94], off, off offset:64
	ds_load_b128 v[95:98], v1 offset:320
	s_waitcnt vmcnt(9) lgkmcnt(1)
	v_mul_f64 v[2:3], v[85:86], v[8:9]
	v_mul_f64 v[8:9], v[83:84], v[8:9]
	s_waitcnt vmcnt(8) lgkmcnt(0)
	v_mul_f64 v[10:11], v[95:96], v[57:58]
	v_mul_f64 v[57:58], v[97:98], v[57:58]
	s_delay_alu instid0(VALU_DEP_4) | instskip(NEXT) | instid1(VALU_DEP_4)
	v_fma_f64 v[2:3], v[83:84], v[6:7], -v[2:3]
	v_fma_f64 v[99:100], v[85:86], v[6:7], v[8:9]
	ds_load_b128 v[6:9], v1 offset:336
	ds_load_b128 v[83:86], v1 offset:352
	v_fma_f64 v[10:11], v[97:98], v[55:56], v[10:11]
	v_fma_f64 v[55:56], v[95:96], v[55:56], -v[57:58]
	s_waitcnt vmcnt(7) lgkmcnt(1)
	v_mul_f64 v[101:102], v[6:7], v[61:62]
	v_mul_f64 v[61:62], v[8:9], v[61:62]
	s_waitcnt vmcnt(6) lgkmcnt(0)
	v_mul_f64 v[95:96], v[83:84], v[65:66]
	v_mul_f64 v[65:66], v[85:86], v[65:66]
	v_add_f64 v[2:3], v[2:3], 0
	v_add_f64 v[57:58], v[99:100], 0
	v_fma_f64 v[97:98], v[8:9], v[59:60], v[101:102]
	v_fma_f64 v[59:60], v[6:7], v[59:60], -v[61:62]
	v_fma_f64 v[85:86], v[85:86], v[63:64], v[95:96]
	v_fma_f64 v[63:64], v[83:84], v[63:64], -v[65:66]
	v_add_f64 v[2:3], v[2:3], v[55:56]
	v_add_f64 v[10:11], v[57:58], v[10:11]
	ds_load_b128 v[6:9], v1 offset:368
	ds_load_b128 v[55:58], v1 offset:384
	s_waitcnt vmcnt(5) lgkmcnt(1)
	v_mul_f64 v[61:62], v[6:7], v[69:70]
	v_mul_f64 v[69:70], v[8:9], v[69:70]
	s_waitcnt vmcnt(4) lgkmcnt(0)
	v_mul_f64 v[65:66], v[55:56], v[73:74]
	v_mul_f64 v[73:74], v[57:58], v[73:74]
	v_add_f64 v[2:3], v[2:3], v[59:60]
	v_add_f64 v[10:11], v[10:11], v[97:98]
	v_fma_f64 v[83:84], v[8:9], v[67:68], v[61:62]
	v_fma_f64 v[67:68], v[6:7], v[67:68], -v[69:70]
	ds_load_b128 v[6:9], v1 offset:400
	ds_load_b128 v[59:62], v1 offset:416
	v_fma_f64 v[57:58], v[57:58], v[71:72], v[65:66]
	v_fma_f64 v[55:56], v[55:56], v[71:72], -v[73:74]
	v_add_f64 v[2:3], v[2:3], v[63:64]
	v_add_f64 v[10:11], v[10:11], v[85:86]
	s_waitcnt vmcnt(3) lgkmcnt(1)
	v_mul_f64 v[63:64], v[6:7], v[77:78]
	v_mul_f64 v[69:70], v[8:9], v[77:78]
	s_waitcnt vmcnt(2) lgkmcnt(0)
	v_mul_f64 v[65:66], v[59:60], v[81:82]
	v_add_f64 v[2:3], v[2:3], v[67:68]
	v_add_f64 v[10:11], v[10:11], v[83:84]
	v_mul_f64 v[67:68], v[61:62], v[81:82]
	v_fma_f64 v[63:64], v[8:9], v[75:76], v[63:64]
	v_fma_f64 v[69:70], v[6:7], v[75:76], -v[69:70]
	ds_load_b128 v[6:9], v1 offset:432
	v_fma_f64 v[61:62], v[61:62], v[79:80], v[65:66]
	v_add_f64 v[2:3], v[2:3], v[55:56]
	v_add_f64 v[10:11], v[10:11], v[57:58]
	s_waitcnt vmcnt(1) lgkmcnt(0)
	v_mul_f64 v[55:56], v[6:7], v[89:90]
	v_mul_f64 v[57:58], v[8:9], v[89:90]
	v_fma_f64 v[59:60], v[59:60], v[79:80], -v[67:68]
	v_add_f64 v[2:3], v[2:3], v[69:70]
	v_add_f64 v[10:11], v[10:11], v[63:64]
	v_fma_f64 v[8:9], v[8:9], v[87:88], v[55:56]
	v_fma_f64 v[6:7], v[6:7], v[87:88], -v[57:58]
	s_delay_alu instid0(VALU_DEP_4) | instskip(NEXT) | instid1(VALU_DEP_4)
	v_add_f64 v[2:3], v[2:3], v[59:60]
	v_add_f64 v[10:11], v[10:11], v[61:62]
	s_delay_alu instid0(VALU_DEP_2) | instskip(NEXT) | instid1(VALU_DEP_2)
	v_add_f64 v[2:3], v[2:3], v[6:7]
	v_add_f64 v[8:9], v[10:11], v[8:9]
	s_waitcnt vmcnt(0)
	s_delay_alu instid0(VALU_DEP_2) | instskip(NEXT) | instid1(VALU_DEP_2)
	v_add_f64 v[6:7], v[91:92], -v[2:3]
	v_add_f64 v[8:9], v[93:94], -v[8:9]
	scratch_store_b128 off, v[6:9], off offset:64
	v_cmpx_lt_u32_e32 3, v41
	s_cbranch_execz .LBB77_91
; %bb.90:
	scratch_load_b128 v[6:9], v42, off
	v_mov_b32_e32 v2, v1
	v_mov_b32_e32 v3, v1
	;; [unrolled: 1-line block ×3, first 2 shown]
	scratch_store_b128 off, v[1:4], off offset:48
	s_waitcnt vmcnt(0)
	ds_store_b128 v5, v[6:9]
.LBB77_91:
	s_or_b32 exec_lo, exec_lo, s2
	s_waitcnt lgkmcnt(0)
	s_waitcnt_vscnt null, 0x0
	s_barrier
	buffer_gl0_inv
	s_clause 0x8
	scratch_load_b128 v[6:9], off, off offset:64
	scratch_load_b128 v[55:58], off, off offset:80
	;; [unrolled: 1-line block ×9, first 2 shown]
	ds_load_b128 v[87:90], v1 offset:288
	ds_load_b128 v[91:94], v1 offset:304
	scratch_load_b128 v[95:98], off, off offset:48
	s_mov_b32 s2, exec_lo
	s_waitcnt vmcnt(9) lgkmcnt(1)
	v_mul_f64 v[2:3], v[89:90], v[8:9]
	v_mul_f64 v[99:100], v[87:88], v[8:9]
	scratch_load_b128 v[8:11], off, off offset:208
	s_waitcnt vmcnt(9) lgkmcnt(0)
	v_mul_f64 v[103:104], v[91:92], v[57:58]
	v_mul_f64 v[57:58], v[93:94], v[57:58]
	v_fma_f64 v[2:3], v[87:88], v[6:7], -v[2:3]
	v_fma_f64 v[6:7], v[89:90], v[6:7], v[99:100]
	ds_load_b128 v[87:90], v1 offset:320
	ds_load_b128 v[99:102], v1 offset:336
	v_fma_f64 v[93:94], v[93:94], v[55:56], v[103:104]
	v_fma_f64 v[55:56], v[91:92], v[55:56], -v[57:58]
	s_waitcnt vmcnt(8) lgkmcnt(1)
	v_mul_f64 v[105:106], v[87:88], v[61:62]
	v_mul_f64 v[61:62], v[89:90], v[61:62]
	s_waitcnt vmcnt(7) lgkmcnt(0)
	v_mul_f64 v[91:92], v[99:100], v[65:66]
	v_mul_f64 v[65:66], v[101:102], v[65:66]
	v_add_f64 v[2:3], v[2:3], 0
	v_add_f64 v[6:7], v[6:7], 0
	v_fma_f64 v[89:90], v[89:90], v[59:60], v[105:106]
	v_fma_f64 v[87:88], v[87:88], v[59:60], -v[61:62]
	v_fma_f64 v[91:92], v[101:102], v[63:64], v[91:92]
	v_fma_f64 v[63:64], v[99:100], v[63:64], -v[65:66]
	v_add_f64 v[2:3], v[2:3], v[55:56]
	v_add_f64 v[6:7], v[6:7], v[93:94]
	ds_load_b128 v[55:58], v1 offset:352
	ds_load_b128 v[59:62], v1 offset:368
	s_waitcnt vmcnt(6) lgkmcnt(1)
	v_mul_f64 v[93:94], v[55:56], v[69:70]
	v_mul_f64 v[69:70], v[57:58], v[69:70]
	v_add_f64 v[2:3], v[2:3], v[87:88]
	v_add_f64 v[6:7], v[6:7], v[89:90]
	s_waitcnt vmcnt(5) lgkmcnt(0)
	v_mul_f64 v[87:88], v[59:60], v[73:74]
	v_mul_f64 v[73:74], v[61:62], v[73:74]
	v_fma_f64 v[89:90], v[57:58], v[67:68], v[93:94]
	v_fma_f64 v[67:68], v[55:56], v[67:68], -v[69:70]
	v_add_f64 v[2:3], v[2:3], v[63:64]
	v_add_f64 v[6:7], v[6:7], v[91:92]
	ds_load_b128 v[55:58], v1 offset:384
	ds_load_b128 v[63:66], v1 offset:400
	v_fma_f64 v[61:62], v[61:62], v[71:72], v[87:88]
	v_fma_f64 v[59:60], v[59:60], v[71:72], -v[73:74]
	s_waitcnt vmcnt(4) lgkmcnt(1)
	v_mul_f64 v[69:70], v[55:56], v[77:78]
	v_mul_f64 v[77:78], v[57:58], v[77:78]
	s_waitcnt vmcnt(3) lgkmcnt(0)
	v_mul_f64 v[71:72], v[65:66], v[81:82]
	v_add_f64 v[2:3], v[2:3], v[67:68]
	v_add_f64 v[6:7], v[6:7], v[89:90]
	v_mul_f64 v[67:68], v[63:64], v[81:82]
	v_fma_f64 v[69:70], v[57:58], v[75:76], v[69:70]
	v_fma_f64 v[73:74], v[55:56], v[75:76], -v[77:78]
	v_fma_f64 v[63:64], v[63:64], v[79:80], -v[71:72]
	v_add_f64 v[59:60], v[2:3], v[59:60]
	v_add_f64 v[6:7], v[6:7], v[61:62]
	ds_load_b128 v[55:58], v1 offset:416
	ds_load_b128 v[1:4], v1 offset:432
	v_fma_f64 v[65:66], v[65:66], v[79:80], v[67:68]
	s_waitcnt vmcnt(2) lgkmcnt(1)
	v_mul_f64 v[61:62], v[55:56], v[85:86]
	v_mul_f64 v[75:76], v[57:58], v[85:86]
	v_add_f64 v[59:60], v[59:60], v[73:74]
	v_add_f64 v[6:7], v[6:7], v[69:70]
	s_waitcnt vmcnt(0) lgkmcnt(0)
	v_mul_f64 v[67:68], v[1:2], v[10:11]
	v_mul_f64 v[10:11], v[3:4], v[10:11]
	v_fma_f64 v[57:58], v[57:58], v[83:84], v[61:62]
	v_fma_f64 v[55:56], v[55:56], v[83:84], -v[75:76]
	v_add_f64 v[59:60], v[59:60], v[63:64]
	v_add_f64 v[6:7], v[6:7], v[65:66]
	v_fma_f64 v[3:4], v[3:4], v[8:9], v[67:68]
	v_fma_f64 v[1:2], v[1:2], v[8:9], -v[10:11]
	s_delay_alu instid0(VALU_DEP_4) | instskip(NEXT) | instid1(VALU_DEP_4)
	v_add_f64 v[8:9], v[59:60], v[55:56]
	v_add_f64 v[6:7], v[6:7], v[57:58]
	s_delay_alu instid0(VALU_DEP_2) | instskip(NEXT) | instid1(VALU_DEP_2)
	v_add_f64 v[1:2], v[8:9], v[1:2]
	v_add_f64 v[3:4], v[6:7], v[3:4]
	s_delay_alu instid0(VALU_DEP_2) | instskip(NEXT) | instid1(VALU_DEP_2)
	v_add_f64 v[1:2], v[95:96], -v[1:2]
	v_add_f64 v[3:4], v[97:98], -v[3:4]
	scratch_store_b128 off, v[1:4], off offset:48
	v_cmpx_lt_u32_e32 2, v41
	s_cbranch_execz .LBB77_93
; %bb.92:
	scratch_load_b128 v[1:4], v45, off
	v_mov_b32_e32 v6, 0
	s_delay_alu instid0(VALU_DEP_1)
	v_mov_b32_e32 v7, v6
	v_mov_b32_e32 v8, v6
	;; [unrolled: 1-line block ×3, first 2 shown]
	scratch_store_b128 off, v[6:9], off offset:32
	s_waitcnt vmcnt(0)
	ds_store_b128 v5, v[1:4]
.LBB77_93:
	s_or_b32 exec_lo, exec_lo, s2
	s_waitcnt lgkmcnt(0)
	s_waitcnt_vscnt null, 0x0
	s_barrier
	buffer_gl0_inv
	s_clause 0x7
	scratch_load_b128 v[6:9], off, off offset:48
	scratch_load_b128 v[55:58], off, off offset:64
	;; [unrolled: 1-line block ×8, first 2 shown]
	v_mov_b32_e32 v1, 0
	s_mov_b32 s2, exec_lo
	ds_load_b128 v[83:86], v1 offset:272
	s_clause 0x1
	scratch_load_b128 v[87:90], off, off offset:176
	scratch_load_b128 v[91:94], off, off offset:32
	ds_load_b128 v[95:98], v1 offset:288
	ds_load_b128 v[103:106], v1 offset:320
	s_waitcnt vmcnt(9) lgkmcnt(2)
	v_mul_f64 v[2:3], v[85:86], v[8:9]
	v_mul_f64 v[99:100], v[83:84], v[8:9]
	scratch_load_b128 v[8:11], off, off offset:192
	v_fma_f64 v[2:3], v[83:84], v[6:7], -v[2:3]
	v_fma_f64 v[6:7], v[85:86], v[6:7], v[99:100]
	scratch_load_b128 v[99:102], off, off offset:208
	ds_load_b128 v[83:86], v1 offset:304
	s_waitcnt vmcnt(10) lgkmcnt(2)
	v_mul_f64 v[107:108], v[95:96], v[57:58]
	v_mul_f64 v[57:58], v[97:98], v[57:58]
	s_waitcnt vmcnt(9) lgkmcnt(0)
	v_mul_f64 v[109:110], v[83:84], v[61:62]
	v_mul_f64 v[61:62], v[85:86], v[61:62]
	v_add_f64 v[2:3], v[2:3], 0
	v_add_f64 v[6:7], v[6:7], 0
	v_fma_f64 v[97:98], v[97:98], v[55:56], v[107:108]
	v_fma_f64 v[55:56], v[95:96], v[55:56], -v[57:58]
	s_waitcnt vmcnt(8)
	v_mul_f64 v[95:96], v[103:104], v[65:66]
	v_mul_f64 v[65:66], v[105:106], v[65:66]
	v_fma_f64 v[85:86], v[85:86], v[59:60], v[109:110]
	v_fma_f64 v[83:84], v[83:84], v[59:60], -v[61:62]
	v_add_f64 v[6:7], v[6:7], v[97:98]
	v_add_f64 v[2:3], v[2:3], v[55:56]
	ds_load_b128 v[55:58], v1 offset:336
	ds_load_b128 v[59:62], v1 offset:352
	v_fma_f64 v[95:96], v[105:106], v[63:64], v[95:96]
	v_fma_f64 v[63:64], v[103:104], v[63:64], -v[65:66]
	s_waitcnt vmcnt(7) lgkmcnt(1)
	v_mul_f64 v[97:98], v[55:56], v[69:70]
	v_mul_f64 v[69:70], v[57:58], v[69:70]
	v_add_f64 v[6:7], v[6:7], v[85:86]
	v_add_f64 v[2:3], v[2:3], v[83:84]
	s_waitcnt vmcnt(6) lgkmcnt(0)
	v_mul_f64 v[83:84], v[59:60], v[73:74]
	v_mul_f64 v[73:74], v[61:62], v[73:74]
	v_fma_f64 v[85:86], v[57:58], v[67:68], v[97:98]
	v_fma_f64 v[67:68], v[55:56], v[67:68], -v[69:70]
	v_add_f64 v[6:7], v[6:7], v[95:96]
	v_add_f64 v[2:3], v[2:3], v[63:64]
	ds_load_b128 v[55:58], v1 offset:368
	ds_load_b128 v[63:66], v1 offset:384
	v_fma_f64 v[61:62], v[61:62], v[71:72], v[83:84]
	v_fma_f64 v[59:60], v[59:60], v[71:72], -v[73:74]
	s_waitcnt vmcnt(5) lgkmcnt(1)
	v_mul_f64 v[69:70], v[55:56], v[77:78]
	v_mul_f64 v[77:78], v[57:58], v[77:78]
	s_waitcnt vmcnt(4) lgkmcnt(0)
	v_mul_f64 v[71:72], v[65:66], v[81:82]
	v_add_f64 v[6:7], v[6:7], v[85:86]
	v_add_f64 v[2:3], v[2:3], v[67:68]
	v_mul_f64 v[67:68], v[63:64], v[81:82]
	v_fma_f64 v[69:70], v[57:58], v[75:76], v[69:70]
	v_fma_f64 v[73:74], v[55:56], v[75:76], -v[77:78]
	v_fma_f64 v[63:64], v[63:64], v[79:80], -v[71:72]
	v_add_f64 v[6:7], v[6:7], v[61:62]
	v_add_f64 v[2:3], v[2:3], v[59:60]
	ds_load_b128 v[55:58], v1 offset:400
	ds_load_b128 v[59:62], v1 offset:416
	v_fma_f64 v[65:66], v[65:66], v[79:80], v[67:68]
	s_waitcnt vmcnt(3) lgkmcnt(1)
	v_mul_f64 v[75:76], v[55:56], v[89:90]
	v_mul_f64 v[77:78], v[57:58], v[89:90]
	v_add_f64 v[6:7], v[6:7], v[69:70]
	v_add_f64 v[2:3], v[2:3], v[73:74]
	s_waitcnt vmcnt(1) lgkmcnt(0)
	v_mul_f64 v[67:68], v[59:60], v[10:11]
	v_mul_f64 v[10:11], v[61:62], v[10:11]
	v_fma_f64 v[69:70], v[57:58], v[87:88], v[75:76]
	v_fma_f64 v[71:72], v[55:56], v[87:88], -v[77:78]
	ds_load_b128 v[55:58], v1 offset:432
	v_add_f64 v[6:7], v[6:7], v[65:66]
	v_add_f64 v[2:3], v[2:3], v[63:64]
	s_waitcnt vmcnt(0) lgkmcnt(0)
	v_mul_f64 v[63:64], v[55:56], v[101:102]
	v_mul_f64 v[65:66], v[57:58], v[101:102]
	v_fma_f64 v[61:62], v[61:62], v[8:9], v[67:68]
	v_fma_f64 v[8:9], v[59:60], v[8:9], -v[10:11]
	v_add_f64 v[6:7], v[6:7], v[69:70]
	v_add_f64 v[2:3], v[2:3], v[71:72]
	v_fma_f64 v[10:11], v[57:58], v[99:100], v[63:64]
	v_fma_f64 v[55:56], v[55:56], v[99:100], -v[65:66]
	s_delay_alu instid0(VALU_DEP_4) | instskip(NEXT) | instid1(VALU_DEP_4)
	v_add_f64 v[6:7], v[6:7], v[61:62]
	v_add_f64 v[2:3], v[2:3], v[8:9]
	s_delay_alu instid0(VALU_DEP_2) | instskip(NEXT) | instid1(VALU_DEP_2)
	v_add_f64 v[8:9], v[6:7], v[10:11]
	v_add_f64 v[2:3], v[2:3], v[55:56]
	s_delay_alu instid0(VALU_DEP_2) | instskip(NEXT) | instid1(VALU_DEP_2)
	v_add_f64 v[8:9], v[93:94], -v[8:9]
	v_add_f64 v[6:7], v[91:92], -v[2:3]
	scratch_store_b128 off, v[6:9], off offset:32
	v_cmpx_lt_u32_e32 1, v41
	s_cbranch_execz .LBB77_95
; %bb.94:
	scratch_load_b128 v[6:9], v43, off
	v_mov_b32_e32 v2, v1
	v_mov_b32_e32 v3, v1
	;; [unrolled: 1-line block ×3, first 2 shown]
	scratch_store_b128 off, v[1:4], off offset:16
	s_waitcnt vmcnt(0)
	ds_store_b128 v5, v[6:9]
.LBB77_95:
	s_or_b32 exec_lo, exec_lo, s2
	s_waitcnt lgkmcnt(0)
	s_waitcnt_vscnt null, 0x0
	s_barrier
	buffer_gl0_inv
	s_clause 0x8
	scratch_load_b128 v[6:9], off, off offset:32
	scratch_load_b128 v[55:58], off, off offset:48
	;; [unrolled: 1-line block ×9, first 2 shown]
	ds_load_b128 v[87:90], v1 offset:256
	ds_load_b128 v[91:94], v1 offset:272
	scratch_load_b128 v[95:98], off, off offset:16
	s_mov_b32 s2, exec_lo
	ds_load_b128 v[103:106], v1 offset:304
	s_waitcnt vmcnt(9) lgkmcnt(2)
	v_mul_f64 v[2:3], v[89:90], v[8:9]
	v_mul_f64 v[99:100], v[87:88], v[8:9]
	scratch_load_b128 v[8:11], off, off offset:176
	s_waitcnt vmcnt(9) lgkmcnt(1)
	v_mul_f64 v[107:108], v[91:92], v[57:58]
	v_mul_f64 v[57:58], v[93:94], v[57:58]
	v_fma_f64 v[2:3], v[87:88], v[6:7], -v[2:3]
	v_fma_f64 v[6:7], v[89:90], v[6:7], v[99:100]
	ds_load_b128 v[87:90], v1 offset:288
	scratch_load_b128 v[99:102], off, off offset:192
	v_fma_f64 v[93:94], v[93:94], v[55:56], v[107:108]
	v_fma_f64 v[91:92], v[91:92], v[55:56], -v[57:58]
	scratch_load_b128 v[55:58], off, off offset:208
	s_waitcnt vmcnt(9) lgkmcnt(1)
	v_mul_f64 v[107:108], v[103:104], v[65:66]
	v_mul_f64 v[65:66], v[105:106], v[65:66]
	s_waitcnt lgkmcnt(0)
	v_mul_f64 v[109:110], v[87:88], v[61:62]
	v_mul_f64 v[61:62], v[89:90], v[61:62]
	v_add_f64 v[2:3], v[2:3], 0
	v_add_f64 v[6:7], v[6:7], 0
	s_delay_alu instid0(VALU_DEP_4) | instskip(NEXT) | instid1(VALU_DEP_4)
	v_fma_f64 v[109:110], v[89:90], v[59:60], v[109:110]
	v_fma_f64 v[111:112], v[87:88], v[59:60], -v[61:62]
	ds_load_b128 v[59:62], v1 offset:320
	ds_load_b128 v[87:90], v1 offset:336
	v_add_f64 v[2:3], v[2:3], v[91:92]
	v_add_f64 v[6:7], v[6:7], v[93:94]
	v_fma_f64 v[93:94], v[105:106], v[63:64], v[107:108]
	v_fma_f64 v[63:64], v[103:104], v[63:64], -v[65:66]
	s_waitcnt vmcnt(8) lgkmcnt(1)
	v_mul_f64 v[91:92], v[59:60], v[69:70]
	v_mul_f64 v[69:70], v[61:62], v[69:70]
	s_waitcnt vmcnt(7) lgkmcnt(0)
	v_mul_f64 v[103:104], v[87:88], v[73:74]
	v_mul_f64 v[73:74], v[89:90], v[73:74]
	v_add_f64 v[2:3], v[2:3], v[111:112]
	v_add_f64 v[6:7], v[6:7], v[109:110]
	v_fma_f64 v[91:92], v[61:62], v[67:68], v[91:92]
	v_fma_f64 v[67:68], v[59:60], v[67:68], -v[69:70]
	v_fma_f64 v[89:90], v[89:90], v[71:72], v[103:104]
	v_fma_f64 v[71:72], v[87:88], v[71:72], -v[73:74]
	v_add_f64 v[2:3], v[2:3], v[63:64]
	v_add_f64 v[6:7], v[6:7], v[93:94]
	ds_load_b128 v[59:62], v1 offset:352
	ds_load_b128 v[63:66], v1 offset:368
	s_waitcnt vmcnt(6) lgkmcnt(1)
	v_mul_f64 v[69:70], v[59:60], v[77:78]
	v_mul_f64 v[77:78], v[61:62], v[77:78]
	s_waitcnt vmcnt(5) lgkmcnt(0)
	v_mul_f64 v[73:74], v[63:64], v[81:82]
	v_mul_f64 v[81:82], v[65:66], v[81:82]
	v_add_f64 v[2:3], v[2:3], v[67:68]
	v_add_f64 v[6:7], v[6:7], v[91:92]
	v_fma_f64 v[87:88], v[61:62], v[75:76], v[69:70]
	v_fma_f64 v[75:76], v[59:60], v[75:76], -v[77:78]
	ds_load_b128 v[59:62], v1 offset:384
	ds_load_b128 v[67:70], v1 offset:400
	v_fma_f64 v[65:66], v[65:66], v[79:80], v[73:74]
	v_fma_f64 v[63:64], v[63:64], v[79:80], -v[81:82]
	v_add_f64 v[2:3], v[2:3], v[71:72]
	v_add_f64 v[6:7], v[6:7], v[89:90]
	s_waitcnt vmcnt(4) lgkmcnt(1)
	v_mul_f64 v[71:72], v[59:60], v[85:86]
	v_mul_f64 v[77:78], v[61:62], v[85:86]
	s_delay_alu instid0(VALU_DEP_4) | instskip(NEXT) | instid1(VALU_DEP_4)
	v_add_f64 v[2:3], v[2:3], v[75:76]
	v_add_f64 v[6:7], v[6:7], v[87:88]
	s_delay_alu instid0(VALU_DEP_4) | instskip(NEXT) | instid1(VALU_DEP_4)
	v_fma_f64 v[71:72], v[61:62], v[83:84], v[71:72]
	v_fma_f64 v[75:76], v[59:60], v[83:84], -v[77:78]
	s_waitcnt vmcnt(2) lgkmcnt(0)
	v_mul_f64 v[73:74], v[67:68], v[10:11]
	v_mul_f64 v[10:11], v[69:70], v[10:11]
	v_add_f64 v[63:64], v[2:3], v[63:64]
	v_add_f64 v[6:7], v[6:7], v[65:66]
	ds_load_b128 v[59:62], v1 offset:416
	ds_load_b128 v[1:4], v1 offset:432
	v_fma_f64 v[69:70], v[69:70], v[8:9], v[73:74]
	v_fma_f64 v[8:9], v[67:68], v[8:9], -v[10:11]
	s_waitcnt vmcnt(1) lgkmcnt(1)
	v_mul_f64 v[65:66], v[59:60], v[101:102]
	v_mul_f64 v[77:78], v[61:62], v[101:102]
	v_add_f64 v[10:11], v[63:64], v[75:76]
	v_add_f64 v[6:7], v[6:7], v[71:72]
	s_waitcnt vmcnt(0) lgkmcnt(0)
	v_mul_f64 v[63:64], v[1:2], v[57:58]
	v_mul_f64 v[57:58], v[3:4], v[57:58]
	v_fma_f64 v[61:62], v[61:62], v[99:100], v[65:66]
	v_fma_f64 v[59:60], v[59:60], v[99:100], -v[77:78]
	v_add_f64 v[8:9], v[10:11], v[8:9]
	v_add_f64 v[6:7], v[6:7], v[69:70]
	v_fma_f64 v[3:4], v[3:4], v[55:56], v[63:64]
	v_fma_f64 v[1:2], v[1:2], v[55:56], -v[57:58]
	s_delay_alu instid0(VALU_DEP_4) | instskip(NEXT) | instid1(VALU_DEP_4)
	v_add_f64 v[8:9], v[8:9], v[59:60]
	v_add_f64 v[6:7], v[6:7], v[61:62]
	s_delay_alu instid0(VALU_DEP_2) | instskip(NEXT) | instid1(VALU_DEP_2)
	v_add_f64 v[1:2], v[8:9], v[1:2]
	v_add_f64 v[3:4], v[6:7], v[3:4]
	s_delay_alu instid0(VALU_DEP_2) | instskip(NEXT) | instid1(VALU_DEP_2)
	v_add_f64 v[1:2], v[95:96], -v[1:2]
	v_add_f64 v[3:4], v[97:98], -v[3:4]
	scratch_store_b128 off, v[1:4], off offset:16
	v_cmpx_ne_u32_e32 0, v41
	s_cbranch_execz .LBB77_97
; %bb.96:
	scratch_load_b128 v[1:4], off, off
	v_mov_b32_e32 v6, 0
	s_delay_alu instid0(VALU_DEP_1)
	v_mov_b32_e32 v7, v6
	v_mov_b32_e32 v8, v6
	;; [unrolled: 1-line block ×3, first 2 shown]
	scratch_store_b128 off, v[6:9], off
	s_waitcnt vmcnt(0)
	ds_store_b128 v5, v[1:4]
.LBB77_97:
	s_or_b32 exec_lo, exec_lo, s2
	s_waitcnt lgkmcnt(0)
	s_waitcnt_vscnt null, 0x0
	s_barrier
	buffer_gl0_inv
	s_clause 0x7
	scratch_load_b128 v[1:4], off, off offset:16
	scratch_load_b128 v[5:8], off, off offset:32
	;; [unrolled: 1-line block ×8, first 2 shown]
	v_mov_b32_e32 v111, 0
	s_and_b32 vcc_lo, exec_lo, s14
	ds_load_b128 v[75:78], v111 offset:240
	s_clause 0x1
	scratch_load_b128 v[79:82], off, off offset:144
	scratch_load_b128 v[83:86], off, off
	ds_load_b128 v[87:90], v111 offset:256
	scratch_load_b128 v[91:94], off, off offset:160
	s_waitcnt vmcnt(10) lgkmcnt(1)
	v_mul_f64 v[95:96], v[77:78], v[3:4]
	v_mul_f64 v[3:4], v[75:76], v[3:4]
	s_delay_alu instid0(VALU_DEP_2) | instskip(NEXT) | instid1(VALU_DEP_2)
	v_fma_f64 v[101:102], v[75:76], v[1:2], -v[95:96]
	v_fma_f64 v[103:104], v[77:78], v[1:2], v[3:4]
	scratch_load_b128 v[75:78], off, off offset:176
	ds_load_b128 v[1:4], v111 offset:272
	s_waitcnt vmcnt(10) lgkmcnt(1)
	v_mul_f64 v[99:100], v[87:88], v[7:8]
	v_mul_f64 v[7:8], v[89:90], v[7:8]
	ds_load_b128 v[95:98], v111 offset:288
	s_waitcnt vmcnt(9) lgkmcnt(1)
	v_mul_f64 v[105:106], v[1:2], v[11:12]
	v_mul_f64 v[11:12], v[3:4], v[11:12]
	v_fma_f64 v[89:90], v[89:90], v[5:6], v[99:100]
	v_fma_f64 v[87:88], v[87:88], v[5:6], -v[7:8]
	v_add_f64 v[99:100], v[101:102], 0
	v_add_f64 v[101:102], v[103:104], 0
	scratch_load_b128 v[5:8], off, off offset:192
	v_fma_f64 v[105:106], v[3:4], v[9:10], v[105:106]
	v_fma_f64 v[107:108], v[1:2], v[9:10], -v[11:12]
	scratch_load_b128 v[9:12], off, off offset:208
	ds_load_b128 v[1:4], v111 offset:304
	s_waitcnt vmcnt(10) lgkmcnt(1)
	v_mul_f64 v[103:104], v[95:96], v[57:58]
	v_mul_f64 v[57:58], v[97:98], v[57:58]
	v_add_f64 v[99:100], v[99:100], v[87:88]
	v_add_f64 v[101:102], v[101:102], v[89:90]
	s_waitcnt vmcnt(9) lgkmcnt(0)
	v_mul_f64 v[109:110], v[1:2], v[61:62]
	v_mul_f64 v[61:62], v[3:4], v[61:62]
	ds_load_b128 v[87:90], v111 offset:320
	v_fma_f64 v[97:98], v[97:98], v[55:56], v[103:104]
	v_fma_f64 v[55:56], v[95:96], v[55:56], -v[57:58]
	v_add_f64 v[57:58], v[99:100], v[107:108]
	v_add_f64 v[95:96], v[101:102], v[105:106]
	s_waitcnt vmcnt(8) lgkmcnt(0)
	v_mul_f64 v[99:100], v[87:88], v[65:66]
	v_mul_f64 v[65:66], v[89:90], v[65:66]
	v_fma_f64 v[101:102], v[3:4], v[59:60], v[109:110]
	v_fma_f64 v[59:60], v[1:2], v[59:60], -v[61:62]
	v_add_f64 v[61:62], v[57:58], v[55:56]
	v_add_f64 v[95:96], v[95:96], v[97:98]
	ds_load_b128 v[1:4], v111 offset:336
	ds_load_b128 v[55:58], v111 offset:352
	v_fma_f64 v[89:90], v[89:90], v[63:64], v[99:100]
	v_fma_f64 v[63:64], v[87:88], v[63:64], -v[65:66]
	s_waitcnt vmcnt(7) lgkmcnt(1)
	v_mul_f64 v[97:98], v[1:2], v[69:70]
	v_mul_f64 v[69:70], v[3:4], v[69:70]
	s_waitcnt vmcnt(6) lgkmcnt(0)
	v_mul_f64 v[65:66], v[55:56], v[73:74]
	v_mul_f64 v[73:74], v[57:58], v[73:74]
	v_add_f64 v[59:60], v[61:62], v[59:60]
	v_add_f64 v[61:62], v[95:96], v[101:102]
	v_fma_f64 v[87:88], v[3:4], v[67:68], v[97:98]
	v_fma_f64 v[67:68], v[1:2], v[67:68], -v[69:70]
	v_fma_f64 v[57:58], v[57:58], v[71:72], v[65:66]
	v_fma_f64 v[55:56], v[55:56], v[71:72], -v[73:74]
	v_add_f64 v[63:64], v[59:60], v[63:64]
	v_add_f64 v[69:70], v[61:62], v[89:90]
	ds_load_b128 v[1:4], v111 offset:368
	ds_load_b128 v[59:62], v111 offset:384
	s_waitcnt vmcnt(5) lgkmcnt(1)
	v_mul_f64 v[89:90], v[1:2], v[81:82]
	v_mul_f64 v[81:82], v[3:4], v[81:82]
	v_add_f64 v[63:64], v[63:64], v[67:68]
	v_add_f64 v[65:66], v[69:70], v[87:88]
	s_waitcnt vmcnt(3) lgkmcnt(0)
	v_mul_f64 v[67:68], v[59:60], v[93:94]
	v_mul_f64 v[69:70], v[61:62], v[93:94]
	v_fma_f64 v[71:72], v[3:4], v[79:80], v[89:90]
	v_fma_f64 v[73:74], v[1:2], v[79:80], -v[81:82]
	v_add_f64 v[63:64], v[63:64], v[55:56]
	v_add_f64 v[65:66], v[65:66], v[57:58]
	ds_load_b128 v[1:4], v111 offset:400
	ds_load_b128 v[55:58], v111 offset:416
	v_fma_f64 v[61:62], v[61:62], v[91:92], v[67:68]
	v_fma_f64 v[59:60], v[59:60], v[91:92], -v[69:70]
	s_waitcnt vmcnt(2) lgkmcnt(1)
	v_mul_f64 v[79:80], v[1:2], v[77:78]
	v_mul_f64 v[77:78], v[3:4], v[77:78]
	v_add_f64 v[63:64], v[63:64], v[73:74]
	v_add_f64 v[65:66], v[65:66], v[71:72]
	s_waitcnt vmcnt(1) lgkmcnt(0)
	v_mul_f64 v[67:68], v[55:56], v[7:8]
	v_mul_f64 v[7:8], v[57:58], v[7:8]
	v_fma_f64 v[69:70], v[3:4], v[75:76], v[79:80]
	v_fma_f64 v[71:72], v[1:2], v[75:76], -v[77:78]
	ds_load_b128 v[1:4], v111 offset:432
	v_add_f64 v[59:60], v[63:64], v[59:60]
	v_add_f64 v[61:62], v[65:66], v[61:62]
	s_waitcnt vmcnt(0) lgkmcnt(0)
	v_mul_f64 v[63:64], v[1:2], v[11:12]
	v_mul_f64 v[11:12], v[3:4], v[11:12]
	v_fma_f64 v[57:58], v[57:58], v[5:6], v[67:68]
	v_fma_f64 v[5:6], v[55:56], v[5:6], -v[7:8]
	v_add_f64 v[7:8], v[59:60], v[71:72]
	v_add_f64 v[55:56], v[61:62], v[69:70]
	v_fma_f64 v[3:4], v[3:4], v[9:10], v[63:64]
	v_fma_f64 v[1:2], v[1:2], v[9:10], -v[11:12]
	s_delay_alu instid0(VALU_DEP_4) | instskip(NEXT) | instid1(VALU_DEP_4)
	v_add_f64 v[5:6], v[7:8], v[5:6]
	v_add_f64 v[7:8], v[55:56], v[57:58]
	s_delay_alu instid0(VALU_DEP_2) | instskip(NEXT) | instid1(VALU_DEP_2)
	v_add_f64 v[1:2], v[5:6], v[1:2]
	v_add_f64 v[3:4], v[7:8], v[3:4]
	s_delay_alu instid0(VALU_DEP_2) | instskip(NEXT) | instid1(VALU_DEP_2)
	v_add_f64 v[1:2], v[83:84], -v[1:2]
	v_add_f64 v[3:4], v[85:86], -v[3:4]
	scratch_store_b128 off, v[1:4], off
	s_cbranch_vccz .LBB77_125
; %bb.98:
	v_dual_mov_b32 v1, s8 :: v_dual_mov_b32 v2, s9
	s_load_b64 s[0:1], s[0:1], 0x4
	flat_load_b32 v1, v[1:2] offset:48
	v_bfe_u32 v2, v0, 10, 10
	v_bfe_u32 v0, v0, 20, 10
	s_waitcnt lgkmcnt(0)
	s_lshr_b32 s0, s0, 16
	s_delay_alu instid0(VALU_DEP_2) | instskip(SKIP_1) | instid1(SALU_CYCLE_1)
	v_mul_u32_u24_e32 v2, s1, v2
	s_mul_i32 s0, s0, s1
	v_mul_u32_u24_e32 v3, s0, v41
	s_mov_b32 s0, exec_lo
	s_delay_alu instid0(VALU_DEP_1) | instskip(NEXT) | instid1(VALU_DEP_1)
	v_add3_u32 v0, v3, v2, v0
	v_lshl_add_u32 v0, v0, 4, 0x1c8
	s_waitcnt vmcnt(0)
	v_cmpx_ne_u32_e32 13, v1
	s_cbranch_execz .LBB77_100
; %bb.99:
	v_lshl_add_u32 v9, v1, 4, 0
	s_clause 0x1
	scratch_load_b128 v[1:4], v54, off
	scratch_load_b128 v[5:8], v9, off offset:-16
	s_waitcnt vmcnt(1)
	ds_store_2addr_b64 v0, v[1:2], v[3:4] offset1:1
	s_waitcnt vmcnt(0)
	s_clause 0x1
	scratch_store_b128 v54, v[5:8], off
	scratch_store_b128 v9, v[1:4], off offset:-16
.LBB77_100:
	s_or_b32 exec_lo, exec_lo, s0
	v_dual_mov_b32 v1, s8 :: v_dual_mov_b32 v2, s9
	s_mov_b32 s0, exec_lo
	flat_load_b32 v1, v[1:2] offset:44
	s_waitcnt vmcnt(0) lgkmcnt(0)
	v_cmpx_ne_u32_e32 12, v1
	s_cbranch_execz .LBB77_102
; %bb.101:
	v_lshl_add_u32 v9, v1, 4, 0
	s_clause 0x1
	scratch_load_b128 v[1:4], v51, off
	scratch_load_b128 v[5:8], v9, off offset:-16
	s_waitcnt vmcnt(1)
	ds_store_2addr_b64 v0, v[1:2], v[3:4] offset1:1
	s_waitcnt vmcnt(0)
	s_clause 0x1
	scratch_store_b128 v51, v[5:8], off
	scratch_store_b128 v9, v[1:4], off offset:-16
.LBB77_102:
	s_or_b32 exec_lo, exec_lo, s0
	v_dual_mov_b32 v1, s8 :: v_dual_mov_b32 v2, s9
	s_mov_b32 s0, exec_lo
	flat_load_b32 v1, v[1:2] offset:40
	s_waitcnt vmcnt(0) lgkmcnt(0)
	;; [unrolled: 19-line block ×11, first 2 shown]
	v_cmpx_ne_u32_e32 2, v1
	s_cbranch_execz .LBB77_122
; %bb.121:
	v_lshl_add_u32 v9, v1, 4, 0
	s_clause 0x1
	scratch_load_b128 v[1:4], v43, off
	scratch_load_b128 v[5:8], v9, off offset:-16
	s_waitcnt vmcnt(1)
	ds_store_2addr_b64 v0, v[1:2], v[3:4] offset1:1
	s_waitcnt vmcnt(0)
	s_clause 0x1
	scratch_store_b128 v43, v[5:8], off
	scratch_store_b128 v9, v[1:4], off offset:-16
.LBB77_122:
	s_or_b32 exec_lo, exec_lo, s0
	v_dual_mov_b32 v1, s8 :: v_dual_mov_b32 v2, s9
	s_mov_b32 s0, exec_lo
	flat_load_b32 v1, v[1:2]
	s_waitcnt vmcnt(0) lgkmcnt(0)
	v_cmpx_ne_u32_e32 1, v1
	s_cbranch_execz .LBB77_124
; %bb.123:
	v_lshl_add_u32 v9, v1, 4, 0
	scratch_load_b128 v[1:4], off, off
	scratch_load_b128 v[5:8], v9, off offset:-16
	s_waitcnt vmcnt(1)
	ds_store_2addr_b64 v0, v[1:2], v[3:4] offset1:1
	s_waitcnt vmcnt(0)
	scratch_store_b128 off, v[5:8], off
	scratch_store_b128 v9, v[1:4], off offset:-16
.LBB77_124:
	s_or_b32 exec_lo, exec_lo, s0
.LBB77_125:
	scratch_load_b128 v[0:3], off, off
	s_clause 0xc
	scratch_load_b128 v[4:7], v43, off
	scratch_load_b128 v[8:11], v45, off
	;; [unrolled: 1-line block ×13, first 2 shown]
	s_waitcnt vmcnt(13)
	global_store_b128 v[13:14], v[0:3], off
	s_waitcnt vmcnt(12)
	global_store_b128 v[15:16], v[4:7], off
	;; [unrolled: 2-line block ×14, first 2 shown]
	s_endpgm
	.section	.rodata,"a",@progbits
	.p2align	6, 0x0
	.amdhsa_kernel _ZN9rocsolver6v33100L18getri_kernel_smallILi14E19rocblas_complex_numIdEPKPS3_EEvT1_iilPiilS8_bb
		.amdhsa_group_segment_fixed_size 1480
		.amdhsa_private_segment_fixed_size 240
		.amdhsa_kernarg_size 60
		.amdhsa_user_sgpr_count 15
		.amdhsa_user_sgpr_dispatch_ptr 1
		.amdhsa_user_sgpr_queue_ptr 0
		.amdhsa_user_sgpr_kernarg_segment_ptr 1
		.amdhsa_user_sgpr_dispatch_id 0
		.amdhsa_user_sgpr_private_segment_size 0
		.amdhsa_wavefront_size32 1
		.amdhsa_uses_dynamic_stack 0
		.amdhsa_enable_private_segment 1
		.amdhsa_system_sgpr_workgroup_id_x 1
		.amdhsa_system_sgpr_workgroup_id_y 0
		.amdhsa_system_sgpr_workgroup_id_z 0
		.amdhsa_system_sgpr_workgroup_info 0
		.amdhsa_system_vgpr_workitem_id 2
		.amdhsa_next_free_vgpr 113
		.amdhsa_next_free_sgpr 19
		.amdhsa_reserve_vcc 1
		.amdhsa_float_round_mode_32 0
		.amdhsa_float_round_mode_16_64 0
		.amdhsa_float_denorm_mode_32 3
		.amdhsa_float_denorm_mode_16_64 3
		.amdhsa_dx10_clamp 1
		.amdhsa_ieee_mode 1
		.amdhsa_fp16_overflow 0
		.amdhsa_workgroup_processor_mode 1
		.amdhsa_memory_ordered 1
		.amdhsa_forward_progress 0
		.amdhsa_shared_vgpr_count 0
		.amdhsa_exception_fp_ieee_invalid_op 0
		.amdhsa_exception_fp_denorm_src 0
		.amdhsa_exception_fp_ieee_div_zero 0
		.amdhsa_exception_fp_ieee_overflow 0
		.amdhsa_exception_fp_ieee_underflow 0
		.amdhsa_exception_fp_ieee_inexact 0
		.amdhsa_exception_int_div_zero 0
	.end_amdhsa_kernel
	.section	.text._ZN9rocsolver6v33100L18getri_kernel_smallILi14E19rocblas_complex_numIdEPKPS3_EEvT1_iilPiilS8_bb,"axG",@progbits,_ZN9rocsolver6v33100L18getri_kernel_smallILi14E19rocblas_complex_numIdEPKPS3_EEvT1_iilPiilS8_bb,comdat
.Lfunc_end77:
	.size	_ZN9rocsolver6v33100L18getri_kernel_smallILi14E19rocblas_complex_numIdEPKPS3_EEvT1_iilPiilS8_bb, .Lfunc_end77-_ZN9rocsolver6v33100L18getri_kernel_smallILi14E19rocblas_complex_numIdEPKPS3_EEvT1_iilPiilS8_bb
                                        ; -- End function
	.section	.AMDGPU.csdata,"",@progbits
; Kernel info:
; codeLenInByte = 15304
; NumSgprs: 21
; NumVgprs: 113
; ScratchSize: 240
; MemoryBound: 0
; FloatMode: 240
; IeeeMode: 1
; LDSByteSize: 1480 bytes/workgroup (compile time only)
; SGPRBlocks: 2
; VGPRBlocks: 14
; NumSGPRsForWavesPerEU: 21
; NumVGPRsForWavesPerEU: 113
; Occupancy: 12
; WaveLimiterHint : 1
; COMPUTE_PGM_RSRC2:SCRATCH_EN: 1
; COMPUTE_PGM_RSRC2:USER_SGPR: 15
; COMPUTE_PGM_RSRC2:TRAP_HANDLER: 0
; COMPUTE_PGM_RSRC2:TGID_X_EN: 1
; COMPUTE_PGM_RSRC2:TGID_Y_EN: 0
; COMPUTE_PGM_RSRC2:TGID_Z_EN: 0
; COMPUTE_PGM_RSRC2:TIDIG_COMP_CNT: 2
	.section	.text._ZN9rocsolver6v33100L18getri_kernel_smallILi15E19rocblas_complex_numIdEPKPS3_EEvT1_iilPiilS8_bb,"axG",@progbits,_ZN9rocsolver6v33100L18getri_kernel_smallILi15E19rocblas_complex_numIdEPKPS3_EEvT1_iilPiilS8_bb,comdat
	.globl	_ZN9rocsolver6v33100L18getri_kernel_smallILi15E19rocblas_complex_numIdEPKPS3_EEvT1_iilPiilS8_bb ; -- Begin function _ZN9rocsolver6v33100L18getri_kernel_smallILi15E19rocblas_complex_numIdEPKPS3_EEvT1_iilPiilS8_bb
	.p2align	8
	.type	_ZN9rocsolver6v33100L18getri_kernel_smallILi15E19rocblas_complex_numIdEPKPS3_EEvT1_iilPiilS8_bb,@function
_ZN9rocsolver6v33100L18getri_kernel_smallILi15E19rocblas_complex_numIdEPKPS3_EEvT1_iilPiilS8_bb: ; @_ZN9rocsolver6v33100L18getri_kernel_smallILi15E19rocblas_complex_numIdEPKPS3_EEvT1_iilPiilS8_bb
; %bb.0:
	v_and_b32_e32 v43, 0x3ff, v0
	s_mov_b32 s4, exec_lo
	s_delay_alu instid0(VALU_DEP_1)
	v_cmpx_gt_u32_e32 15, v43
	s_cbranch_execz .LBB78_74
; %bb.1:
	s_mov_b32 s10, s15
	s_clause 0x2
	s_load_b32 s15, s[2:3], 0x38
	s_load_b64 s[8:9], s[2:3], 0x0
	s_load_b128 s[4:7], s[2:3], 0x28
	s_waitcnt lgkmcnt(0)
	s_bitcmp1_b32 s15, 8
	s_cselect_b32 s14, -1, 0
	s_ashr_i32 s11, s10, 31
	s_delay_alu instid0(SALU_CYCLE_1) | instskip(NEXT) | instid1(SALU_CYCLE_1)
	s_lshl_b64 s[12:13], s[10:11], 3
	s_add_u32 s8, s8, s12
	s_addc_u32 s9, s9, s13
	s_load_b64 s[12:13], s[8:9], 0x0
	s_bfe_u32 s8, s15, 0x10008
	s_delay_alu instid0(SALU_CYCLE_1)
	s_cmp_eq_u32 s8, 0
                                        ; implicit-def: $sgpr8_sgpr9
	s_cbranch_scc1 .LBB78_3
; %bb.2:
	s_clause 0x1
	s_load_b32 s8, s[2:3], 0x20
	s_load_b64 s[16:17], s[2:3], 0x18
	s_mul_i32 s5, s10, s5
	s_mul_hi_u32 s9, s10, s4
	s_mul_i32 s18, s11, s4
	s_add_i32 s5, s9, s5
	s_mul_i32 s4, s10, s4
	s_add_i32 s5, s5, s18
	s_delay_alu instid0(SALU_CYCLE_1)
	s_lshl_b64 s[4:5], s[4:5], 2
	s_waitcnt lgkmcnt(0)
	s_ashr_i32 s9, s8, 31
	s_add_u32 s16, s16, s4
	s_addc_u32 s17, s17, s5
	s_lshl_b64 s[4:5], s[8:9], 2
	s_delay_alu instid0(SALU_CYCLE_1)
	s_add_u32 s8, s16, s4
	s_addc_u32 s9, s17, s5
.LBB78_3:
	s_load_b64 s[2:3], s[2:3], 0x8
	v_lshlrev_b32_e32 v58, 4, v43
	v_add_nc_u32_e64 v47, 0, 32
	s_waitcnt lgkmcnt(0)
	v_add3_u32 v5, s3, s3, v43
	s_ashr_i32 s5, s2, 31
	s_mov_b32 s4, s2
	s_mov_b32 s16, s3
	s_lshl_b64 s[4:5], s[4:5], 4
	v_add_nc_u32_e32 v7, s3, v5
	v_ashrrev_i32_e32 v6, 31, v5
	s_add_u32 s4, s12, s4
	s_addc_u32 s5, s13, s5
	v_add_co_u32 v13, s2, s4, v58
	v_add_nc_u32_e32 v9, s3, v7
	v_ashrrev_i32_e32 v8, 31, v7
	s_ashr_i32 s17, s3, 31
	v_add_co_ci_u32_e64 v14, null, s5, 0, s2
	s_delay_alu instid0(VALU_DEP_3)
	v_add_nc_u32_e32 v21, s3, v9
	v_lshlrev_b64 v[5:6], 4, v[5:6]
	s_lshl_b64 s[12:13], s[16:17], 4
	v_ashrrev_i32_e32 v10, 31, v9
	v_add_co_u32 v15, vcc_lo, v13, s12
	v_add_nc_u32_e32 v25, s3, v21
	v_lshlrev_b64 v[19:20], 4, v[7:8]
	v_ashrrev_i32_e32 v22, 31, v21
	v_add_co_ci_u32_e32 v16, vcc_lo, s13, v14, vcc_lo
	s_delay_alu instid0(VALU_DEP_4) | instskip(SKIP_3) | instid1(VALU_DEP_4)
	v_add_nc_u32_e32 v29, s3, v25
	v_add_co_u32 v17, vcc_lo, s4, v5
	v_lshlrev_b64 v[23:24], 4, v[9:10]
	v_add_co_ci_u32_e32 v18, vcc_lo, s5, v6, vcc_lo
	v_add_nc_u32_e32 v31, s3, v29
	v_add_co_u32 v19, vcc_lo, s4, v19
	v_lshlrev_b64 v[27:28], 4, v[21:22]
	v_add_co_ci_u32_e32 v20, vcc_lo, s5, v20, vcc_lo
	v_add_co_u32 v21, vcc_lo, s4, v23
	v_ashrrev_i32_e32 v30, 31, v29
	v_ashrrev_i32_e32 v32, 31, v31
	v_add_co_ci_u32_e32 v22, vcc_lo, s5, v24, vcc_lo
	v_add_co_u32 v23, vcc_lo, s4, v27
	v_ashrrev_i32_e32 v26, 31, v25
	v_add_co_ci_u32_e32 v24, vcc_lo, s5, v28, vcc_lo
	v_lshlrev_b64 v[27:28], 4, v[29:30]
	v_lshlrev_b64 v[29:30], 4, v[31:32]
	v_add_nc_u32_e32 v31, s3, v31
	v_lshlrev_b64 v[25:26], 4, v[25:26]
	s_clause 0x4
	global_load_b128 v[1:4], v58, s[4:5]
	global_load_b128 v[5:8], v[15:16], off
	global_load_b128 v[9:12], v[17:18], off
	;; [unrolled: 1-line block ×4, first 2 shown]
	v_add_nc_u32_e32 v33, s3, v31
	v_ashrrev_i32_e32 v32, 31, v31
	v_add_co_u32 v25, vcc_lo, s4, v25
	v_add_co_ci_u32_e32 v26, vcc_lo, s5, v26, vcc_lo
	s_delay_alu instid0(VALU_DEP_4) | instskip(SKIP_3) | instid1(VALU_DEP_4)
	v_add_nc_u32_e32 v35, s3, v33
	v_ashrrev_i32_e32 v34, 31, v33
	v_add_co_u32 v27, vcc_lo, s4, v27
	v_lshlrev_b64 v[31:32], 4, v[31:32]
	v_ashrrev_i32_e32 v36, 31, v35
	v_add_co_ci_u32_e32 v28, vcc_lo, s5, v28, vcc_lo
	v_add_co_u32 v29, vcc_lo, s4, v29
	v_lshlrev_b64 v[33:34], 4, v[33:34]
	v_add_nc_u32_e32 v38, s3, v35
	v_add_co_ci_u32_e32 v30, vcc_lo, s5, v30, vcc_lo
	v_add_co_u32 v31, vcc_lo, s4, v31
	v_lshlrev_b64 v[36:37], 4, v[35:36]
	v_add_co_ci_u32_e32 v32, vcc_lo, s5, v32, vcc_lo
	v_add_co_u32 v33, vcc_lo, s4, v33
	v_ashrrev_i32_e32 v39, 31, v38
	v_add_nc_u32_e32 v40, s3, v38
	v_add_co_ci_u32_e32 v34, vcc_lo, s5, v34, vcc_lo
	v_add_co_u32 v35, vcc_lo, s4, v36
	v_add_co_ci_u32_e32 v36, vcc_lo, s5, v37, vcc_lo
	v_lshlrev_b64 v[37:38], 4, v[38:39]
	v_ashrrev_i32_e32 v41, 31, v40
	v_add_nc_u32_e32 v39, s3, v40
	s_clause 0x6
	global_load_b128 v[59:62], v[23:24], off
	global_load_b128 v[63:66], v[25:26], off
	;; [unrolled: 1-line block ×7, first 2 shown]
	v_lshlrev_b64 v[41:42], 4, v[40:41]
	v_ashrrev_i32_e32 v40, 31, v39
	v_add_co_u32 v37, vcc_lo, s4, v37
	v_add_co_ci_u32_e32 v38, vcc_lo, s5, v38, vcc_lo
	s_delay_alu instid0(VALU_DEP_3) | instskip(SKIP_3) | instid1(VALU_DEP_3)
	v_lshlrev_b64 v[44:45], 4, v[39:40]
	v_add_co_u32 v39, vcc_lo, s4, v41
	v_add_co_ci_u32_e32 v40, vcc_lo, s5, v42, vcc_lo
	s_movk_i32 s2, 0x50
	v_add_co_u32 v41, vcc_lo, s4, v44
	s_delay_alu instid0(VALU_DEP_4)
	v_add_co_ci_u32_e32 v42, vcc_lo, s5, v45, vcc_lo
	s_clause 0x2
	global_load_b128 v[87:90], v[37:38], off
	global_load_b128 v[91:94], v[39:40], off
	;; [unrolled: 1-line block ×3, first 2 shown]
	v_add_nc_u32_e64 v46, s2, 0
	s_movk_i32 s2, 0x60
	s_movk_i32 s3, 0x70
	v_add_nc_u32_e64 v45, 0, 16
	v_add_nc_u32_e64 v44, 0, 48
	s_bitcmp0_b32 s15, 0
	s_waitcnt vmcnt(14)
	scratch_store_b128 off, v[1:4], off
	s_waitcnt vmcnt(13)
	scratch_store_b128 off, v[5:8], off offset:16
	s_waitcnt vmcnt(12)
	scratch_store_b128 off, v[9:12], off offset:32
	;; [unrolled: 2-line block ×3, first 2 shown]
	v_add_nc_u32_e64 v50, s2, 0
	s_movk_i32 s2, 0x80
	s_waitcnt vmcnt(10)
	scratch_store_b128 off, v[52:55], off offset:64
	s_waitcnt vmcnt(9)
	scratch_store_b128 off, v[59:62], off offset:80
	v_add_nc_u32_e64 v49, s3, 0
	s_movk_i32 s3, 0x90
	v_add_nc_u32_e64 v52, s2, 0
	s_movk_i32 s2, 0xa0
	;; [unrolled: 2-line block ×4, first 2 shown]
	v_add_nc_u32_e64 v53, s3, 0
	v_add_nc_u32_e64 v56, s2, 0
	s_movk_i32 s2, 0xd0
	s_movk_i32 s3, 0xe0
	v_add_nc_u32_e64 v48, 0, 64
	v_add_nc_u32_e64 v57, s2, 0
	;; [unrolled: 1-line block ×3, first 2 shown]
	s_mov_b32 s3, -1
	s_waitcnt vmcnt(8)
	scratch_store_b128 off, v[63:66], off offset:96
	s_waitcnt vmcnt(7)
	scratch_store_b128 off, v[67:70], off offset:112
	;; [unrolled: 2-line block ×9, first 2 shown]
	s_cbranch_scc1 .LBB78_72
; %bb.4:
	v_cmp_eq_u32_e64 s2, 0, v43
	s_delay_alu instid0(VALU_DEP_1)
	s_and_saveexec_b32 s3, s2
	s_cbranch_execz .LBB78_6
; %bb.5:
	v_mov_b32_e32 v1, 0
	ds_store_b32 v1, v1 offset:480
.LBB78_6:
	s_or_b32 exec_lo, exec_lo, s3
	s_waitcnt lgkmcnt(0)
	s_waitcnt_vscnt null, 0x0
	s_barrier
	buffer_gl0_inv
	scratch_load_b128 v[1:4], v58, off
	s_waitcnt vmcnt(0)
	v_cmp_eq_f64_e32 vcc_lo, 0, v[1:2]
	v_cmp_eq_f64_e64 s3, 0, v[3:4]
	s_delay_alu instid0(VALU_DEP_1) | instskip(NEXT) | instid1(SALU_CYCLE_1)
	s_and_b32 s3, vcc_lo, s3
	s_and_saveexec_b32 s4, s3
	s_cbranch_execz .LBB78_10
; %bb.7:
	v_mov_b32_e32 v1, 0
	s_mov_b32 s5, 0
	ds_load_b32 v2, v1 offset:480
	s_waitcnt lgkmcnt(0)
	v_readfirstlane_b32 s3, v2
	v_add_nc_u32_e32 v2, 1, v43
	s_delay_alu instid0(VALU_DEP_2) | instskip(NEXT) | instid1(VALU_DEP_1)
	s_cmp_eq_u32 s3, 0
	v_cmp_gt_i32_e32 vcc_lo, s3, v2
	s_cselect_b32 s12, -1, 0
	s_delay_alu instid0(SALU_CYCLE_1) | instskip(NEXT) | instid1(SALU_CYCLE_1)
	s_or_b32 s12, s12, vcc_lo
	s_and_b32 exec_lo, exec_lo, s12
	s_cbranch_execz .LBB78_10
; %bb.8:
	v_mov_b32_e32 v3, s3
.LBB78_9:                               ; =>This Inner Loop Header: Depth=1
	ds_cmpstore_rtn_b32 v3, v1, v2, v3 offset:480
	s_waitcnt lgkmcnt(0)
	v_cmp_ne_u32_e32 vcc_lo, 0, v3
	v_cmp_le_i32_e64 s3, v3, v2
	s_delay_alu instid0(VALU_DEP_1) | instskip(NEXT) | instid1(SALU_CYCLE_1)
	s_and_b32 s3, vcc_lo, s3
	s_and_b32 s3, exec_lo, s3
	s_delay_alu instid0(SALU_CYCLE_1) | instskip(NEXT) | instid1(SALU_CYCLE_1)
	s_or_b32 s5, s3, s5
	s_and_not1_b32 exec_lo, exec_lo, s5
	s_cbranch_execnz .LBB78_9
.LBB78_10:
	s_or_b32 exec_lo, exec_lo, s4
	v_mov_b32_e32 v1, 0
	s_barrier
	buffer_gl0_inv
	ds_load_b32 v2, v1 offset:480
	s_and_saveexec_b32 s3, s2
	s_cbranch_execz .LBB78_12
; %bb.11:
	s_lshl_b64 s[4:5], s[10:11], 2
	s_delay_alu instid0(SALU_CYCLE_1)
	s_add_u32 s4, s6, s4
	s_addc_u32 s5, s7, s5
	s_waitcnt lgkmcnt(0)
	global_store_b32 v1, v2, s[4:5]
.LBB78_12:
	s_or_b32 exec_lo, exec_lo, s3
	s_waitcnt lgkmcnt(0)
	v_cmp_ne_u32_e32 vcc_lo, 0, v2
	s_mov_b32 s3, 0
	s_cbranch_vccnz .LBB78_72
; %bb.13:
	v_add_nc_u32_e32 v59, 0, v58
                                        ; implicit-def: $vgpr9_vgpr10
	scratch_load_b128 v[1:4], v59, off
	s_waitcnt vmcnt(0)
	v_cmp_gt_f64_e32 vcc_lo, 0, v[1:2]
	v_xor_b32_e32 v6, 0x80000000, v2
	v_mov_b32_e32 v5, v1
	v_xor_b32_e32 v7, 0x80000000, v4
	s_delay_alu instid0(VALU_DEP_3) | instskip(SKIP_1) | instid1(VALU_DEP_3)
	v_cndmask_b32_e32 v6, v2, v6, vcc_lo
	v_cmp_gt_f64_e32 vcc_lo, 0, v[3:4]
	v_dual_cndmask_b32 v8, v4, v7 :: v_dual_mov_b32 v7, v3
	s_delay_alu instid0(VALU_DEP_1) | instskip(SKIP_1) | instid1(SALU_CYCLE_1)
	v_cmp_ngt_f64_e32 vcc_lo, v[5:6], v[7:8]
                                        ; implicit-def: $vgpr5_vgpr6
	s_and_saveexec_b32 s3, vcc_lo
	s_xor_b32 s3, exec_lo, s3
	s_cbranch_execz .LBB78_15
; %bb.14:
	v_div_scale_f64 v[5:6], null, v[3:4], v[3:4], v[1:2]
	v_div_scale_f64 v[11:12], vcc_lo, v[1:2], v[3:4], v[1:2]
	s_delay_alu instid0(VALU_DEP_2) | instskip(SKIP_2) | instid1(VALU_DEP_1)
	v_rcp_f64_e32 v[7:8], v[5:6]
	s_waitcnt_depctr 0xfff
	v_fma_f64 v[9:10], -v[5:6], v[7:8], 1.0
	v_fma_f64 v[7:8], v[7:8], v[9:10], v[7:8]
	s_delay_alu instid0(VALU_DEP_1) | instskip(NEXT) | instid1(VALU_DEP_1)
	v_fma_f64 v[9:10], -v[5:6], v[7:8], 1.0
	v_fma_f64 v[7:8], v[7:8], v[9:10], v[7:8]
	s_delay_alu instid0(VALU_DEP_1) | instskip(NEXT) | instid1(VALU_DEP_1)
	v_mul_f64 v[9:10], v[11:12], v[7:8]
	v_fma_f64 v[5:6], -v[5:6], v[9:10], v[11:12]
	s_delay_alu instid0(VALU_DEP_1) | instskip(NEXT) | instid1(VALU_DEP_1)
	v_div_fmas_f64 v[5:6], v[5:6], v[7:8], v[9:10]
	v_div_fixup_f64 v[5:6], v[5:6], v[3:4], v[1:2]
	s_delay_alu instid0(VALU_DEP_1) | instskip(NEXT) | instid1(VALU_DEP_1)
	v_fma_f64 v[1:2], v[1:2], v[5:6], v[3:4]
	v_div_scale_f64 v[3:4], null, v[1:2], v[1:2], 1.0
	v_div_scale_f64 v[11:12], vcc_lo, 1.0, v[1:2], 1.0
	s_delay_alu instid0(VALU_DEP_2) | instskip(SKIP_2) | instid1(VALU_DEP_1)
	v_rcp_f64_e32 v[7:8], v[3:4]
	s_waitcnt_depctr 0xfff
	v_fma_f64 v[9:10], -v[3:4], v[7:8], 1.0
	v_fma_f64 v[7:8], v[7:8], v[9:10], v[7:8]
	s_delay_alu instid0(VALU_DEP_1) | instskip(NEXT) | instid1(VALU_DEP_1)
	v_fma_f64 v[9:10], -v[3:4], v[7:8], 1.0
	v_fma_f64 v[7:8], v[7:8], v[9:10], v[7:8]
	s_delay_alu instid0(VALU_DEP_1) | instskip(NEXT) | instid1(VALU_DEP_1)
	v_mul_f64 v[9:10], v[11:12], v[7:8]
	v_fma_f64 v[3:4], -v[3:4], v[9:10], v[11:12]
	s_delay_alu instid0(VALU_DEP_1) | instskip(NEXT) | instid1(VALU_DEP_1)
	v_div_fmas_f64 v[3:4], v[3:4], v[7:8], v[9:10]
	v_div_fixup_f64 v[7:8], v[3:4], v[1:2], 1.0
                                        ; implicit-def: $vgpr1_vgpr2
	s_delay_alu instid0(VALU_DEP_1) | instskip(SKIP_1) | instid1(VALU_DEP_2)
	v_mul_f64 v[5:6], v[5:6], v[7:8]
	v_xor_b32_e32 v8, 0x80000000, v8
	v_xor_b32_e32 v10, 0x80000000, v6
	s_delay_alu instid0(VALU_DEP_3)
	v_mov_b32_e32 v9, v5
.LBB78_15:
	s_and_not1_saveexec_b32 s3, s3
	s_cbranch_execz .LBB78_17
; %bb.16:
	v_div_scale_f64 v[5:6], null, v[1:2], v[1:2], v[3:4]
	v_div_scale_f64 v[11:12], vcc_lo, v[3:4], v[1:2], v[3:4]
	s_delay_alu instid0(VALU_DEP_2) | instskip(SKIP_2) | instid1(VALU_DEP_1)
	v_rcp_f64_e32 v[7:8], v[5:6]
	s_waitcnt_depctr 0xfff
	v_fma_f64 v[9:10], -v[5:6], v[7:8], 1.0
	v_fma_f64 v[7:8], v[7:8], v[9:10], v[7:8]
	s_delay_alu instid0(VALU_DEP_1) | instskip(NEXT) | instid1(VALU_DEP_1)
	v_fma_f64 v[9:10], -v[5:6], v[7:8], 1.0
	v_fma_f64 v[7:8], v[7:8], v[9:10], v[7:8]
	s_delay_alu instid0(VALU_DEP_1) | instskip(NEXT) | instid1(VALU_DEP_1)
	v_mul_f64 v[9:10], v[11:12], v[7:8]
	v_fma_f64 v[5:6], -v[5:6], v[9:10], v[11:12]
	s_delay_alu instid0(VALU_DEP_1) | instskip(NEXT) | instid1(VALU_DEP_1)
	v_div_fmas_f64 v[5:6], v[5:6], v[7:8], v[9:10]
	v_div_fixup_f64 v[7:8], v[5:6], v[1:2], v[3:4]
	s_delay_alu instid0(VALU_DEP_1) | instskip(NEXT) | instid1(VALU_DEP_1)
	v_fma_f64 v[1:2], v[3:4], v[7:8], v[1:2]
	v_div_scale_f64 v[3:4], null, v[1:2], v[1:2], 1.0
	s_delay_alu instid0(VALU_DEP_1) | instskip(SKIP_2) | instid1(VALU_DEP_1)
	v_rcp_f64_e32 v[5:6], v[3:4]
	s_waitcnt_depctr 0xfff
	v_fma_f64 v[9:10], -v[3:4], v[5:6], 1.0
	v_fma_f64 v[5:6], v[5:6], v[9:10], v[5:6]
	s_delay_alu instid0(VALU_DEP_1) | instskip(NEXT) | instid1(VALU_DEP_1)
	v_fma_f64 v[9:10], -v[3:4], v[5:6], 1.0
	v_fma_f64 v[5:6], v[5:6], v[9:10], v[5:6]
	v_div_scale_f64 v[9:10], vcc_lo, 1.0, v[1:2], 1.0
	s_delay_alu instid0(VALU_DEP_1) | instskip(NEXT) | instid1(VALU_DEP_1)
	v_mul_f64 v[11:12], v[9:10], v[5:6]
	v_fma_f64 v[3:4], -v[3:4], v[11:12], v[9:10]
	s_delay_alu instid0(VALU_DEP_1) | instskip(NEXT) | instid1(VALU_DEP_1)
	v_div_fmas_f64 v[3:4], v[3:4], v[5:6], v[11:12]
	v_div_fixup_f64 v[5:6], v[3:4], v[1:2], 1.0
	s_delay_alu instid0(VALU_DEP_1)
	v_mul_f64 v[7:8], v[7:8], -v[5:6]
	v_xor_b32_e32 v10, 0x80000000, v6
	v_mov_b32_e32 v9, v5
.LBB78_17:
	s_or_b32 exec_lo, exec_lo, s3
	scratch_store_b128 v59, v[5:8], off
	scratch_load_b128 v[1:4], v45, off
	v_xor_b32_e32 v12, 0x80000000, v8
	v_mov_b32_e32 v11, v7
	v_add_nc_u32_e32 v5, 0xf0, v58
	ds_store_b128 v58, v[9:12]
	s_waitcnt vmcnt(0)
	ds_store_b128 v58, v[1:4] offset:240
	s_waitcnt lgkmcnt(0)
	s_waitcnt_vscnt null, 0x0
	s_barrier
	buffer_gl0_inv
	s_and_saveexec_b32 s3, s2
	s_cbranch_execz .LBB78_19
; %bb.18:
	scratch_load_b128 v[1:4], v59, off
	ds_load_b128 v[6:9], v5
	v_mov_b32_e32 v10, 0
	ds_load_b128 v[60:63], v10 offset:16
	s_waitcnt vmcnt(0) lgkmcnt(1)
	v_mul_f64 v[10:11], v[6:7], v[3:4]
	v_mul_f64 v[3:4], v[8:9], v[3:4]
	s_delay_alu instid0(VALU_DEP_2) | instskip(NEXT) | instid1(VALU_DEP_2)
	v_fma_f64 v[8:9], v[8:9], v[1:2], v[10:11]
	v_fma_f64 v[1:2], v[6:7], v[1:2], -v[3:4]
	s_delay_alu instid0(VALU_DEP_2) | instskip(NEXT) | instid1(VALU_DEP_2)
	v_add_f64 v[3:4], v[8:9], 0
	v_add_f64 v[1:2], v[1:2], 0
	s_waitcnt lgkmcnt(0)
	s_delay_alu instid0(VALU_DEP_2) | instskip(NEXT) | instid1(VALU_DEP_2)
	v_mul_f64 v[6:7], v[3:4], v[62:63]
	v_mul_f64 v[8:9], v[1:2], v[62:63]
	s_delay_alu instid0(VALU_DEP_2) | instskip(NEXT) | instid1(VALU_DEP_2)
	v_fma_f64 v[1:2], v[1:2], v[60:61], -v[6:7]
	v_fma_f64 v[3:4], v[3:4], v[60:61], v[8:9]
	scratch_store_b128 off, v[1:4], off offset:16
.LBB78_19:
	s_or_b32 exec_lo, exec_lo, s3
	s_waitcnt_vscnt null, 0x0
	s_barrier
	buffer_gl0_inv
	scratch_load_b128 v[1:4], v47, off
	s_mov_b32 s3, exec_lo
	s_waitcnt vmcnt(0)
	ds_store_b128 v5, v[1:4]
	s_waitcnt lgkmcnt(0)
	s_barrier
	buffer_gl0_inv
	v_cmpx_gt_u32_e32 2, v43
	s_cbranch_execz .LBB78_23
; %bb.20:
	scratch_load_b128 v[1:4], v59, off
	ds_load_b128 v[6:9], v5
	s_waitcnt vmcnt(0) lgkmcnt(0)
	v_mul_f64 v[10:11], v[8:9], v[3:4]
	v_mul_f64 v[3:4], v[6:7], v[3:4]
	s_delay_alu instid0(VALU_DEP_2) | instskip(NEXT) | instid1(VALU_DEP_2)
	v_fma_f64 v[6:7], v[6:7], v[1:2], -v[10:11]
	v_fma_f64 v[3:4], v[8:9], v[1:2], v[3:4]
	s_delay_alu instid0(VALU_DEP_2) | instskip(NEXT) | instid1(VALU_DEP_2)
	v_add_f64 v[1:2], v[6:7], 0
	v_add_f64 v[3:4], v[3:4], 0
	s_and_saveexec_b32 s4, s2
	s_cbranch_execz .LBB78_22
; %bb.21:
	scratch_load_b128 v[6:9], off, off offset:16
	v_mov_b32_e32 v10, 0
	ds_load_b128 v[60:63], v10 offset:256
	s_waitcnt vmcnt(0) lgkmcnt(0)
	v_mul_f64 v[10:11], v[60:61], v[8:9]
	v_mul_f64 v[8:9], v[62:63], v[8:9]
	s_delay_alu instid0(VALU_DEP_2) | instskip(NEXT) | instid1(VALU_DEP_2)
	v_fma_f64 v[10:11], v[62:63], v[6:7], v[10:11]
	v_fma_f64 v[6:7], v[60:61], v[6:7], -v[8:9]
	s_delay_alu instid0(VALU_DEP_2) | instskip(NEXT) | instid1(VALU_DEP_2)
	v_add_f64 v[3:4], v[3:4], v[10:11]
	v_add_f64 v[1:2], v[1:2], v[6:7]
.LBB78_22:
	s_or_b32 exec_lo, exec_lo, s4
	v_mov_b32_e32 v6, 0
	ds_load_b128 v[6:9], v6 offset:32
	s_waitcnt lgkmcnt(0)
	v_mul_f64 v[10:11], v[3:4], v[8:9]
	v_mul_f64 v[8:9], v[1:2], v[8:9]
	s_delay_alu instid0(VALU_DEP_2) | instskip(NEXT) | instid1(VALU_DEP_2)
	v_fma_f64 v[1:2], v[1:2], v[6:7], -v[10:11]
	v_fma_f64 v[3:4], v[3:4], v[6:7], v[8:9]
	scratch_store_b128 off, v[1:4], off offset:32
.LBB78_23:
	s_or_b32 exec_lo, exec_lo, s3
	s_waitcnt_vscnt null, 0x0
	s_barrier
	buffer_gl0_inv
	scratch_load_b128 v[1:4], v44, off
	v_add_nc_u32_e32 v6, -1, v43
	s_mov_b32 s2, exec_lo
	s_waitcnt vmcnt(0)
	ds_store_b128 v5, v[1:4]
	s_waitcnt lgkmcnt(0)
	s_barrier
	buffer_gl0_inv
	v_cmpx_gt_u32_e32 3, v43
	s_cbranch_execz .LBB78_27
; %bb.24:
	v_dual_mov_b32 v1, 0 :: v_dual_add_nc_u32 v8, 0xf0, v58
	v_dual_mov_b32 v2, 0 :: v_dual_add_nc_u32 v7, -1, v43
	v_or_b32_e32 v9, 8, v59
	s_mov_b32 s3, 0
	s_delay_alu instid0(VALU_DEP_2)
	v_dual_mov_b32 v4, v2 :: v_dual_mov_b32 v3, v1
	.p2align	6
.LBB78_25:                              ; =>This Inner Loop Header: Depth=1
	scratch_load_b128 v[60:63], v9, off offset:-8
	ds_load_b128 v[64:67], v8
	v_add_nc_u32_e32 v7, 1, v7
	v_add_nc_u32_e32 v8, 16, v8
	;; [unrolled: 1-line block ×3, first 2 shown]
	s_delay_alu instid0(VALU_DEP_3) | instskip(SKIP_4) | instid1(VALU_DEP_2)
	v_cmp_lt_u32_e32 vcc_lo, 1, v7
	s_or_b32 s3, vcc_lo, s3
	s_waitcnt vmcnt(0) lgkmcnt(0)
	v_mul_f64 v[10:11], v[66:67], v[62:63]
	v_mul_f64 v[62:63], v[64:65], v[62:63]
	v_fma_f64 v[10:11], v[64:65], v[60:61], -v[10:11]
	s_delay_alu instid0(VALU_DEP_2) | instskip(NEXT) | instid1(VALU_DEP_2)
	v_fma_f64 v[60:61], v[66:67], v[60:61], v[62:63]
	v_add_f64 v[3:4], v[3:4], v[10:11]
	s_delay_alu instid0(VALU_DEP_2)
	v_add_f64 v[1:2], v[1:2], v[60:61]
	s_and_not1_b32 exec_lo, exec_lo, s3
	s_cbranch_execnz .LBB78_25
; %bb.26:
	s_or_b32 exec_lo, exec_lo, s3
	v_mov_b32_e32 v7, 0
	ds_load_b128 v[7:10], v7 offset:48
	s_waitcnt lgkmcnt(0)
	v_mul_f64 v[11:12], v[1:2], v[9:10]
	v_mul_f64 v[60:61], v[3:4], v[9:10]
	s_delay_alu instid0(VALU_DEP_2) | instskip(NEXT) | instid1(VALU_DEP_2)
	v_fma_f64 v[9:10], v[3:4], v[7:8], -v[11:12]
	v_fma_f64 v[11:12], v[1:2], v[7:8], v[60:61]
	scratch_store_b128 off, v[9:12], off offset:48
.LBB78_27:
	s_or_b32 exec_lo, exec_lo, s2
	s_waitcnt_vscnt null, 0x0
	s_barrier
	buffer_gl0_inv
	scratch_load_b128 v[1:4], v48, off
	s_mov_b32 s2, exec_lo
	s_waitcnt vmcnt(0)
	ds_store_b128 v5, v[1:4]
	s_waitcnt lgkmcnt(0)
	s_barrier
	buffer_gl0_inv
	v_cmpx_gt_u32_e32 4, v43
	s_cbranch_execz .LBB78_31
; %bb.28:
	v_dual_mov_b32 v1, 0 :: v_dual_add_nc_u32 v8, 0xf0, v58
	v_dual_mov_b32 v2, 0 :: v_dual_add_nc_u32 v7, -1, v43
	v_or_b32_e32 v9, 8, v59
	s_mov_b32 s3, 0
	s_delay_alu instid0(VALU_DEP_2)
	v_dual_mov_b32 v4, v2 :: v_dual_mov_b32 v3, v1
	.p2align	6
.LBB78_29:                              ; =>This Inner Loop Header: Depth=1
	scratch_load_b128 v[60:63], v9, off offset:-8
	ds_load_b128 v[64:67], v8
	v_add_nc_u32_e32 v7, 1, v7
	v_add_nc_u32_e32 v8, 16, v8
	;; [unrolled: 1-line block ×3, first 2 shown]
	s_delay_alu instid0(VALU_DEP_3) | instskip(SKIP_4) | instid1(VALU_DEP_2)
	v_cmp_lt_u32_e32 vcc_lo, 2, v7
	s_or_b32 s3, vcc_lo, s3
	s_waitcnt vmcnt(0) lgkmcnt(0)
	v_mul_f64 v[10:11], v[66:67], v[62:63]
	v_mul_f64 v[62:63], v[64:65], v[62:63]
	v_fma_f64 v[10:11], v[64:65], v[60:61], -v[10:11]
	s_delay_alu instid0(VALU_DEP_2) | instskip(NEXT) | instid1(VALU_DEP_2)
	v_fma_f64 v[60:61], v[66:67], v[60:61], v[62:63]
	v_add_f64 v[3:4], v[3:4], v[10:11]
	s_delay_alu instid0(VALU_DEP_2)
	v_add_f64 v[1:2], v[1:2], v[60:61]
	s_and_not1_b32 exec_lo, exec_lo, s3
	s_cbranch_execnz .LBB78_29
; %bb.30:
	s_or_b32 exec_lo, exec_lo, s3
	v_mov_b32_e32 v7, 0
	ds_load_b128 v[7:10], v7 offset:64
	s_waitcnt lgkmcnt(0)
	v_mul_f64 v[11:12], v[1:2], v[9:10]
	v_mul_f64 v[60:61], v[3:4], v[9:10]
	s_delay_alu instid0(VALU_DEP_2) | instskip(NEXT) | instid1(VALU_DEP_2)
	v_fma_f64 v[9:10], v[3:4], v[7:8], -v[11:12]
	v_fma_f64 v[11:12], v[1:2], v[7:8], v[60:61]
	scratch_store_b128 off, v[9:12], off offset:64
.LBB78_31:
	s_or_b32 exec_lo, exec_lo, s2
	s_waitcnt_vscnt null, 0x0
	s_barrier
	buffer_gl0_inv
	scratch_load_b128 v[1:4], v46, off
	s_mov_b32 s2, exec_lo
	s_waitcnt vmcnt(0)
	ds_store_b128 v5, v[1:4]
	s_waitcnt lgkmcnt(0)
	s_barrier
	buffer_gl0_inv
	v_cmpx_gt_u32_e32 5, v43
	s_cbranch_execz .LBB78_35
; %bb.32:
	v_dual_mov_b32 v1, 0 :: v_dual_add_nc_u32 v8, 0xf0, v58
	v_dual_mov_b32 v2, 0 :: v_dual_add_nc_u32 v7, -1, v43
	v_or_b32_e32 v9, 8, v59
	s_mov_b32 s3, 0
	s_delay_alu instid0(VALU_DEP_2)
	v_dual_mov_b32 v4, v2 :: v_dual_mov_b32 v3, v1
	.p2align	6
.LBB78_33:                              ; =>This Inner Loop Header: Depth=1
	scratch_load_b128 v[60:63], v9, off offset:-8
	ds_load_b128 v[64:67], v8
	v_add_nc_u32_e32 v7, 1, v7
	v_add_nc_u32_e32 v8, 16, v8
	;; [unrolled: 1-line block ×3, first 2 shown]
	s_delay_alu instid0(VALU_DEP_3) | instskip(SKIP_4) | instid1(VALU_DEP_2)
	v_cmp_lt_u32_e32 vcc_lo, 3, v7
	s_or_b32 s3, vcc_lo, s3
	s_waitcnt vmcnt(0) lgkmcnt(0)
	v_mul_f64 v[10:11], v[66:67], v[62:63]
	v_mul_f64 v[62:63], v[64:65], v[62:63]
	v_fma_f64 v[10:11], v[64:65], v[60:61], -v[10:11]
	s_delay_alu instid0(VALU_DEP_2) | instskip(NEXT) | instid1(VALU_DEP_2)
	v_fma_f64 v[60:61], v[66:67], v[60:61], v[62:63]
	v_add_f64 v[3:4], v[3:4], v[10:11]
	s_delay_alu instid0(VALU_DEP_2)
	v_add_f64 v[1:2], v[1:2], v[60:61]
	s_and_not1_b32 exec_lo, exec_lo, s3
	s_cbranch_execnz .LBB78_33
; %bb.34:
	s_or_b32 exec_lo, exec_lo, s3
	v_mov_b32_e32 v7, 0
	ds_load_b128 v[7:10], v7 offset:80
	s_waitcnt lgkmcnt(0)
	v_mul_f64 v[11:12], v[1:2], v[9:10]
	v_mul_f64 v[60:61], v[3:4], v[9:10]
	s_delay_alu instid0(VALU_DEP_2) | instskip(NEXT) | instid1(VALU_DEP_2)
	v_fma_f64 v[9:10], v[3:4], v[7:8], -v[11:12]
	v_fma_f64 v[11:12], v[1:2], v[7:8], v[60:61]
	scratch_store_b128 off, v[9:12], off offset:80
.LBB78_35:
	s_or_b32 exec_lo, exec_lo, s2
	s_waitcnt_vscnt null, 0x0
	s_barrier
	buffer_gl0_inv
	scratch_load_b128 v[1:4], v50, off
	s_mov_b32 s2, exec_lo
	s_waitcnt vmcnt(0)
	ds_store_b128 v5, v[1:4]
	s_waitcnt lgkmcnt(0)
	s_barrier
	buffer_gl0_inv
	v_cmpx_gt_u32_e32 6, v43
	s_cbranch_execz .LBB78_39
; %bb.36:
	v_dual_mov_b32 v1, 0 :: v_dual_add_nc_u32 v8, 0xf0, v58
	v_dual_mov_b32 v2, 0 :: v_dual_add_nc_u32 v7, -1, v43
	v_or_b32_e32 v9, 8, v59
	s_mov_b32 s3, 0
	s_delay_alu instid0(VALU_DEP_2)
	v_dual_mov_b32 v4, v2 :: v_dual_mov_b32 v3, v1
	.p2align	6
.LBB78_37:                              ; =>This Inner Loop Header: Depth=1
	scratch_load_b128 v[60:63], v9, off offset:-8
	ds_load_b128 v[64:67], v8
	v_add_nc_u32_e32 v7, 1, v7
	v_add_nc_u32_e32 v8, 16, v8
	;; [unrolled: 1-line block ×3, first 2 shown]
	s_delay_alu instid0(VALU_DEP_3) | instskip(SKIP_4) | instid1(VALU_DEP_2)
	v_cmp_lt_u32_e32 vcc_lo, 4, v7
	s_or_b32 s3, vcc_lo, s3
	s_waitcnt vmcnt(0) lgkmcnt(0)
	v_mul_f64 v[10:11], v[66:67], v[62:63]
	v_mul_f64 v[62:63], v[64:65], v[62:63]
	v_fma_f64 v[10:11], v[64:65], v[60:61], -v[10:11]
	s_delay_alu instid0(VALU_DEP_2) | instskip(NEXT) | instid1(VALU_DEP_2)
	v_fma_f64 v[60:61], v[66:67], v[60:61], v[62:63]
	v_add_f64 v[3:4], v[3:4], v[10:11]
	s_delay_alu instid0(VALU_DEP_2)
	v_add_f64 v[1:2], v[1:2], v[60:61]
	s_and_not1_b32 exec_lo, exec_lo, s3
	s_cbranch_execnz .LBB78_37
; %bb.38:
	s_or_b32 exec_lo, exec_lo, s3
	v_mov_b32_e32 v7, 0
	ds_load_b128 v[7:10], v7 offset:96
	s_waitcnt lgkmcnt(0)
	v_mul_f64 v[11:12], v[1:2], v[9:10]
	v_mul_f64 v[60:61], v[3:4], v[9:10]
	s_delay_alu instid0(VALU_DEP_2) | instskip(NEXT) | instid1(VALU_DEP_2)
	v_fma_f64 v[9:10], v[3:4], v[7:8], -v[11:12]
	v_fma_f64 v[11:12], v[1:2], v[7:8], v[60:61]
	scratch_store_b128 off, v[9:12], off offset:96
.LBB78_39:
	s_or_b32 exec_lo, exec_lo, s2
	s_waitcnt_vscnt null, 0x0
	s_barrier
	buffer_gl0_inv
	scratch_load_b128 v[1:4], v49, off
	s_mov_b32 s2, exec_lo
	s_waitcnt vmcnt(0)
	ds_store_b128 v5, v[1:4]
	s_waitcnt lgkmcnt(0)
	s_barrier
	buffer_gl0_inv
	v_cmpx_gt_u32_e32 7, v43
	s_cbranch_execz .LBB78_43
; %bb.40:
	v_dual_mov_b32 v1, 0 :: v_dual_add_nc_u32 v8, 0xf0, v58
	v_dual_mov_b32 v2, 0 :: v_dual_add_nc_u32 v7, -1, v43
	v_or_b32_e32 v9, 8, v59
	s_mov_b32 s3, 0
	s_delay_alu instid0(VALU_DEP_2)
	v_dual_mov_b32 v4, v2 :: v_dual_mov_b32 v3, v1
	.p2align	6
.LBB78_41:                              ; =>This Inner Loop Header: Depth=1
	scratch_load_b128 v[60:63], v9, off offset:-8
	ds_load_b128 v[64:67], v8
	v_add_nc_u32_e32 v7, 1, v7
	v_add_nc_u32_e32 v8, 16, v8
	;; [unrolled: 1-line block ×3, first 2 shown]
	s_delay_alu instid0(VALU_DEP_3) | instskip(SKIP_4) | instid1(VALU_DEP_2)
	v_cmp_lt_u32_e32 vcc_lo, 5, v7
	s_or_b32 s3, vcc_lo, s3
	s_waitcnt vmcnt(0) lgkmcnt(0)
	v_mul_f64 v[10:11], v[66:67], v[62:63]
	v_mul_f64 v[62:63], v[64:65], v[62:63]
	v_fma_f64 v[10:11], v[64:65], v[60:61], -v[10:11]
	s_delay_alu instid0(VALU_DEP_2) | instskip(NEXT) | instid1(VALU_DEP_2)
	v_fma_f64 v[60:61], v[66:67], v[60:61], v[62:63]
	v_add_f64 v[3:4], v[3:4], v[10:11]
	s_delay_alu instid0(VALU_DEP_2)
	v_add_f64 v[1:2], v[1:2], v[60:61]
	s_and_not1_b32 exec_lo, exec_lo, s3
	s_cbranch_execnz .LBB78_41
; %bb.42:
	s_or_b32 exec_lo, exec_lo, s3
	v_mov_b32_e32 v7, 0
	ds_load_b128 v[7:10], v7 offset:112
	s_waitcnt lgkmcnt(0)
	v_mul_f64 v[11:12], v[1:2], v[9:10]
	v_mul_f64 v[60:61], v[3:4], v[9:10]
	s_delay_alu instid0(VALU_DEP_2) | instskip(NEXT) | instid1(VALU_DEP_2)
	v_fma_f64 v[9:10], v[3:4], v[7:8], -v[11:12]
	v_fma_f64 v[11:12], v[1:2], v[7:8], v[60:61]
	scratch_store_b128 off, v[9:12], off offset:112
.LBB78_43:
	s_or_b32 exec_lo, exec_lo, s2
	s_waitcnt_vscnt null, 0x0
	s_barrier
	buffer_gl0_inv
	scratch_load_b128 v[1:4], v52, off
	s_mov_b32 s2, exec_lo
	s_waitcnt vmcnt(0)
	ds_store_b128 v5, v[1:4]
	s_waitcnt lgkmcnt(0)
	s_barrier
	buffer_gl0_inv
	v_cmpx_gt_u32_e32 8, v43
	s_cbranch_execz .LBB78_47
; %bb.44:
	v_dual_mov_b32 v1, 0 :: v_dual_add_nc_u32 v8, 0xf0, v58
	v_dual_mov_b32 v2, 0 :: v_dual_add_nc_u32 v7, -1, v43
	v_or_b32_e32 v9, 8, v59
	s_mov_b32 s3, 0
	s_delay_alu instid0(VALU_DEP_2)
	v_dual_mov_b32 v4, v2 :: v_dual_mov_b32 v3, v1
	.p2align	6
.LBB78_45:                              ; =>This Inner Loop Header: Depth=1
	scratch_load_b128 v[60:63], v9, off offset:-8
	ds_load_b128 v[64:67], v8
	v_add_nc_u32_e32 v7, 1, v7
	v_add_nc_u32_e32 v8, 16, v8
	;; [unrolled: 1-line block ×3, first 2 shown]
	s_delay_alu instid0(VALU_DEP_3) | instskip(SKIP_4) | instid1(VALU_DEP_2)
	v_cmp_lt_u32_e32 vcc_lo, 6, v7
	s_or_b32 s3, vcc_lo, s3
	s_waitcnt vmcnt(0) lgkmcnt(0)
	v_mul_f64 v[10:11], v[66:67], v[62:63]
	v_mul_f64 v[62:63], v[64:65], v[62:63]
	v_fma_f64 v[10:11], v[64:65], v[60:61], -v[10:11]
	s_delay_alu instid0(VALU_DEP_2) | instskip(NEXT) | instid1(VALU_DEP_2)
	v_fma_f64 v[60:61], v[66:67], v[60:61], v[62:63]
	v_add_f64 v[3:4], v[3:4], v[10:11]
	s_delay_alu instid0(VALU_DEP_2)
	v_add_f64 v[1:2], v[1:2], v[60:61]
	s_and_not1_b32 exec_lo, exec_lo, s3
	s_cbranch_execnz .LBB78_45
; %bb.46:
	s_or_b32 exec_lo, exec_lo, s3
	v_mov_b32_e32 v7, 0
	ds_load_b128 v[7:10], v7 offset:128
	s_waitcnt lgkmcnt(0)
	v_mul_f64 v[11:12], v[1:2], v[9:10]
	v_mul_f64 v[60:61], v[3:4], v[9:10]
	s_delay_alu instid0(VALU_DEP_2) | instskip(NEXT) | instid1(VALU_DEP_2)
	v_fma_f64 v[9:10], v[3:4], v[7:8], -v[11:12]
	v_fma_f64 v[11:12], v[1:2], v[7:8], v[60:61]
	scratch_store_b128 off, v[9:12], off offset:128
.LBB78_47:
	s_or_b32 exec_lo, exec_lo, s2
	s_waitcnt_vscnt null, 0x0
	s_barrier
	buffer_gl0_inv
	scratch_load_b128 v[1:4], v51, off
	s_mov_b32 s2, exec_lo
	s_waitcnt vmcnt(0)
	ds_store_b128 v5, v[1:4]
	s_waitcnt lgkmcnt(0)
	s_barrier
	buffer_gl0_inv
	v_cmpx_gt_u32_e32 9, v43
	s_cbranch_execz .LBB78_51
; %bb.48:
	v_dual_mov_b32 v1, 0 :: v_dual_add_nc_u32 v8, 0xf0, v58
	v_dual_mov_b32 v2, 0 :: v_dual_add_nc_u32 v7, -1, v43
	v_or_b32_e32 v9, 8, v59
	s_mov_b32 s3, 0
	s_delay_alu instid0(VALU_DEP_2)
	v_dual_mov_b32 v4, v2 :: v_dual_mov_b32 v3, v1
	.p2align	6
.LBB78_49:                              ; =>This Inner Loop Header: Depth=1
	scratch_load_b128 v[60:63], v9, off offset:-8
	ds_load_b128 v[64:67], v8
	v_add_nc_u32_e32 v7, 1, v7
	v_add_nc_u32_e32 v8, 16, v8
	;; [unrolled: 1-line block ×3, first 2 shown]
	s_delay_alu instid0(VALU_DEP_3) | instskip(SKIP_4) | instid1(VALU_DEP_2)
	v_cmp_lt_u32_e32 vcc_lo, 7, v7
	s_or_b32 s3, vcc_lo, s3
	s_waitcnt vmcnt(0) lgkmcnt(0)
	v_mul_f64 v[10:11], v[66:67], v[62:63]
	v_mul_f64 v[62:63], v[64:65], v[62:63]
	v_fma_f64 v[10:11], v[64:65], v[60:61], -v[10:11]
	s_delay_alu instid0(VALU_DEP_2) | instskip(NEXT) | instid1(VALU_DEP_2)
	v_fma_f64 v[60:61], v[66:67], v[60:61], v[62:63]
	v_add_f64 v[3:4], v[3:4], v[10:11]
	s_delay_alu instid0(VALU_DEP_2)
	v_add_f64 v[1:2], v[1:2], v[60:61]
	s_and_not1_b32 exec_lo, exec_lo, s3
	s_cbranch_execnz .LBB78_49
; %bb.50:
	s_or_b32 exec_lo, exec_lo, s3
	v_mov_b32_e32 v7, 0
	ds_load_b128 v[7:10], v7 offset:144
	s_waitcnt lgkmcnt(0)
	v_mul_f64 v[11:12], v[1:2], v[9:10]
	v_mul_f64 v[60:61], v[3:4], v[9:10]
	s_delay_alu instid0(VALU_DEP_2) | instskip(NEXT) | instid1(VALU_DEP_2)
	v_fma_f64 v[9:10], v[3:4], v[7:8], -v[11:12]
	v_fma_f64 v[11:12], v[1:2], v[7:8], v[60:61]
	scratch_store_b128 off, v[9:12], off offset:144
.LBB78_51:
	s_or_b32 exec_lo, exec_lo, s2
	s_waitcnt_vscnt null, 0x0
	s_barrier
	buffer_gl0_inv
	scratch_load_b128 v[1:4], v54, off
	s_mov_b32 s2, exec_lo
	s_waitcnt vmcnt(0)
	ds_store_b128 v5, v[1:4]
	s_waitcnt lgkmcnt(0)
	s_barrier
	buffer_gl0_inv
	v_cmpx_gt_u32_e32 10, v43
	s_cbranch_execz .LBB78_55
; %bb.52:
	v_dual_mov_b32 v1, 0 :: v_dual_add_nc_u32 v8, 0xf0, v58
	v_dual_mov_b32 v2, 0 :: v_dual_add_nc_u32 v7, -1, v43
	v_or_b32_e32 v9, 8, v59
	s_mov_b32 s3, 0
	s_delay_alu instid0(VALU_DEP_2)
	v_dual_mov_b32 v4, v2 :: v_dual_mov_b32 v3, v1
	.p2align	6
.LBB78_53:                              ; =>This Inner Loop Header: Depth=1
	scratch_load_b128 v[60:63], v9, off offset:-8
	ds_load_b128 v[64:67], v8
	v_add_nc_u32_e32 v7, 1, v7
	v_add_nc_u32_e32 v8, 16, v8
	;; [unrolled: 1-line block ×3, first 2 shown]
	s_delay_alu instid0(VALU_DEP_3) | instskip(SKIP_4) | instid1(VALU_DEP_2)
	v_cmp_lt_u32_e32 vcc_lo, 8, v7
	s_or_b32 s3, vcc_lo, s3
	s_waitcnt vmcnt(0) lgkmcnt(0)
	v_mul_f64 v[10:11], v[66:67], v[62:63]
	v_mul_f64 v[62:63], v[64:65], v[62:63]
	v_fma_f64 v[10:11], v[64:65], v[60:61], -v[10:11]
	s_delay_alu instid0(VALU_DEP_2) | instskip(NEXT) | instid1(VALU_DEP_2)
	v_fma_f64 v[60:61], v[66:67], v[60:61], v[62:63]
	v_add_f64 v[3:4], v[3:4], v[10:11]
	s_delay_alu instid0(VALU_DEP_2)
	v_add_f64 v[1:2], v[1:2], v[60:61]
	s_and_not1_b32 exec_lo, exec_lo, s3
	s_cbranch_execnz .LBB78_53
; %bb.54:
	s_or_b32 exec_lo, exec_lo, s3
	v_mov_b32_e32 v7, 0
	ds_load_b128 v[7:10], v7 offset:160
	s_waitcnt lgkmcnt(0)
	v_mul_f64 v[11:12], v[1:2], v[9:10]
	v_mul_f64 v[60:61], v[3:4], v[9:10]
	s_delay_alu instid0(VALU_DEP_2) | instskip(NEXT) | instid1(VALU_DEP_2)
	v_fma_f64 v[9:10], v[3:4], v[7:8], -v[11:12]
	v_fma_f64 v[11:12], v[1:2], v[7:8], v[60:61]
	scratch_store_b128 off, v[9:12], off offset:160
.LBB78_55:
	s_or_b32 exec_lo, exec_lo, s2
	s_waitcnt_vscnt null, 0x0
	s_barrier
	buffer_gl0_inv
	scratch_load_b128 v[1:4], v53, off
	s_mov_b32 s2, exec_lo
	s_waitcnt vmcnt(0)
	ds_store_b128 v5, v[1:4]
	s_waitcnt lgkmcnt(0)
	s_barrier
	buffer_gl0_inv
	v_cmpx_gt_u32_e32 11, v43
	s_cbranch_execz .LBB78_59
; %bb.56:
	v_dual_mov_b32 v1, 0 :: v_dual_add_nc_u32 v8, 0xf0, v58
	v_dual_mov_b32 v2, 0 :: v_dual_add_nc_u32 v7, -1, v43
	v_or_b32_e32 v9, 8, v59
	s_mov_b32 s3, 0
	s_delay_alu instid0(VALU_DEP_2)
	v_dual_mov_b32 v4, v2 :: v_dual_mov_b32 v3, v1
	.p2align	6
.LBB78_57:                              ; =>This Inner Loop Header: Depth=1
	scratch_load_b128 v[60:63], v9, off offset:-8
	ds_load_b128 v[64:67], v8
	v_add_nc_u32_e32 v7, 1, v7
	v_add_nc_u32_e32 v8, 16, v8
	;; [unrolled: 1-line block ×3, first 2 shown]
	s_delay_alu instid0(VALU_DEP_3) | instskip(SKIP_4) | instid1(VALU_DEP_2)
	v_cmp_lt_u32_e32 vcc_lo, 9, v7
	s_or_b32 s3, vcc_lo, s3
	s_waitcnt vmcnt(0) lgkmcnt(0)
	v_mul_f64 v[10:11], v[66:67], v[62:63]
	v_mul_f64 v[62:63], v[64:65], v[62:63]
	v_fma_f64 v[10:11], v[64:65], v[60:61], -v[10:11]
	s_delay_alu instid0(VALU_DEP_2) | instskip(NEXT) | instid1(VALU_DEP_2)
	v_fma_f64 v[60:61], v[66:67], v[60:61], v[62:63]
	v_add_f64 v[3:4], v[3:4], v[10:11]
	s_delay_alu instid0(VALU_DEP_2)
	v_add_f64 v[1:2], v[1:2], v[60:61]
	s_and_not1_b32 exec_lo, exec_lo, s3
	s_cbranch_execnz .LBB78_57
; %bb.58:
	s_or_b32 exec_lo, exec_lo, s3
	v_mov_b32_e32 v7, 0
	ds_load_b128 v[7:10], v7 offset:176
	s_waitcnt lgkmcnt(0)
	v_mul_f64 v[11:12], v[1:2], v[9:10]
	v_mul_f64 v[60:61], v[3:4], v[9:10]
	s_delay_alu instid0(VALU_DEP_2) | instskip(NEXT) | instid1(VALU_DEP_2)
	v_fma_f64 v[9:10], v[3:4], v[7:8], -v[11:12]
	v_fma_f64 v[11:12], v[1:2], v[7:8], v[60:61]
	scratch_store_b128 off, v[9:12], off offset:176
.LBB78_59:
	s_or_b32 exec_lo, exec_lo, s2
	s_waitcnt_vscnt null, 0x0
	s_barrier
	buffer_gl0_inv
	scratch_load_b128 v[1:4], v56, off
	s_mov_b32 s2, exec_lo
	s_waitcnt vmcnt(0)
	ds_store_b128 v5, v[1:4]
	s_waitcnt lgkmcnt(0)
	s_barrier
	buffer_gl0_inv
	v_cmpx_gt_u32_e32 12, v43
	s_cbranch_execz .LBB78_63
; %bb.60:
	v_dual_mov_b32 v1, 0 :: v_dual_add_nc_u32 v8, 0xf0, v58
	v_dual_mov_b32 v2, 0 :: v_dual_add_nc_u32 v7, -1, v43
	v_or_b32_e32 v9, 8, v59
	s_mov_b32 s3, 0
	s_delay_alu instid0(VALU_DEP_2)
	v_dual_mov_b32 v4, v2 :: v_dual_mov_b32 v3, v1
	.p2align	6
.LBB78_61:                              ; =>This Inner Loop Header: Depth=1
	scratch_load_b128 v[60:63], v9, off offset:-8
	ds_load_b128 v[64:67], v8
	v_add_nc_u32_e32 v7, 1, v7
	v_add_nc_u32_e32 v8, 16, v8
	;; [unrolled: 1-line block ×3, first 2 shown]
	s_delay_alu instid0(VALU_DEP_3) | instskip(SKIP_4) | instid1(VALU_DEP_2)
	v_cmp_lt_u32_e32 vcc_lo, 10, v7
	s_or_b32 s3, vcc_lo, s3
	s_waitcnt vmcnt(0) lgkmcnt(0)
	v_mul_f64 v[10:11], v[66:67], v[62:63]
	v_mul_f64 v[62:63], v[64:65], v[62:63]
	v_fma_f64 v[10:11], v[64:65], v[60:61], -v[10:11]
	s_delay_alu instid0(VALU_DEP_2) | instskip(NEXT) | instid1(VALU_DEP_2)
	v_fma_f64 v[60:61], v[66:67], v[60:61], v[62:63]
	v_add_f64 v[3:4], v[3:4], v[10:11]
	s_delay_alu instid0(VALU_DEP_2)
	v_add_f64 v[1:2], v[1:2], v[60:61]
	s_and_not1_b32 exec_lo, exec_lo, s3
	s_cbranch_execnz .LBB78_61
; %bb.62:
	s_or_b32 exec_lo, exec_lo, s3
	v_mov_b32_e32 v7, 0
	ds_load_b128 v[7:10], v7 offset:192
	s_waitcnt lgkmcnt(0)
	v_mul_f64 v[11:12], v[1:2], v[9:10]
	v_mul_f64 v[60:61], v[3:4], v[9:10]
	s_delay_alu instid0(VALU_DEP_2) | instskip(NEXT) | instid1(VALU_DEP_2)
	v_fma_f64 v[9:10], v[3:4], v[7:8], -v[11:12]
	v_fma_f64 v[11:12], v[1:2], v[7:8], v[60:61]
	scratch_store_b128 off, v[9:12], off offset:192
.LBB78_63:
	s_or_b32 exec_lo, exec_lo, s2
	s_waitcnt_vscnt null, 0x0
	s_barrier
	buffer_gl0_inv
	scratch_load_b128 v[1:4], v57, off
	s_mov_b32 s2, exec_lo
	s_waitcnt vmcnt(0)
	ds_store_b128 v5, v[1:4]
	s_waitcnt lgkmcnt(0)
	s_barrier
	buffer_gl0_inv
	v_cmpx_gt_u32_e32 13, v43
	s_cbranch_execz .LBB78_67
; %bb.64:
	v_dual_mov_b32 v1, 0 :: v_dual_add_nc_u32 v8, 0xf0, v58
	v_dual_mov_b32 v2, 0 :: v_dual_add_nc_u32 v7, -1, v43
	v_or_b32_e32 v9, 8, v59
	s_mov_b32 s3, 0
	s_delay_alu instid0(VALU_DEP_2)
	v_dual_mov_b32 v4, v2 :: v_dual_mov_b32 v3, v1
	.p2align	6
.LBB78_65:                              ; =>This Inner Loop Header: Depth=1
	scratch_load_b128 v[60:63], v9, off offset:-8
	ds_load_b128 v[64:67], v8
	v_add_nc_u32_e32 v7, 1, v7
	v_add_nc_u32_e32 v8, 16, v8
	;; [unrolled: 1-line block ×3, first 2 shown]
	s_delay_alu instid0(VALU_DEP_3) | instskip(SKIP_4) | instid1(VALU_DEP_2)
	v_cmp_lt_u32_e32 vcc_lo, 11, v7
	s_or_b32 s3, vcc_lo, s3
	s_waitcnt vmcnt(0) lgkmcnt(0)
	v_mul_f64 v[10:11], v[66:67], v[62:63]
	v_mul_f64 v[62:63], v[64:65], v[62:63]
	v_fma_f64 v[10:11], v[64:65], v[60:61], -v[10:11]
	s_delay_alu instid0(VALU_DEP_2) | instskip(NEXT) | instid1(VALU_DEP_2)
	v_fma_f64 v[60:61], v[66:67], v[60:61], v[62:63]
	v_add_f64 v[3:4], v[3:4], v[10:11]
	s_delay_alu instid0(VALU_DEP_2)
	v_add_f64 v[1:2], v[1:2], v[60:61]
	s_and_not1_b32 exec_lo, exec_lo, s3
	s_cbranch_execnz .LBB78_65
; %bb.66:
	s_or_b32 exec_lo, exec_lo, s3
	v_mov_b32_e32 v7, 0
	ds_load_b128 v[7:10], v7 offset:208
	s_waitcnt lgkmcnt(0)
	v_mul_f64 v[11:12], v[1:2], v[9:10]
	v_mul_f64 v[60:61], v[3:4], v[9:10]
	s_delay_alu instid0(VALU_DEP_2) | instskip(NEXT) | instid1(VALU_DEP_2)
	v_fma_f64 v[9:10], v[3:4], v[7:8], -v[11:12]
	v_fma_f64 v[11:12], v[1:2], v[7:8], v[60:61]
	scratch_store_b128 off, v[9:12], off offset:208
.LBB78_67:
	s_or_b32 exec_lo, exec_lo, s2
	s_waitcnt_vscnt null, 0x0
	s_barrier
	buffer_gl0_inv
	scratch_load_b128 v[1:4], v55, off
	s_mov_b32 s2, exec_lo
	s_waitcnt vmcnt(0)
	ds_store_b128 v5, v[1:4]
	s_waitcnt lgkmcnt(0)
	s_barrier
	buffer_gl0_inv
	v_cmpx_ne_u32_e32 14, v43
	s_cbranch_execz .LBB78_71
; %bb.68:
	v_mov_b32_e32 v1, 0
	v_mov_b32_e32 v2, 0
	v_or_b32_e32 v7, 8, v59
	s_mov_b32 s3, 0
	s_delay_alu instid0(VALU_DEP_2)
	v_dual_mov_b32 v4, v2 :: v_dual_mov_b32 v3, v1
	.p2align	6
.LBB78_69:                              ; =>This Inner Loop Header: Depth=1
	scratch_load_b128 v[8:11], v7, off offset:-8
	ds_load_b128 v[58:61], v5
	v_add_nc_u32_e32 v6, 1, v6
	v_add_nc_u32_e32 v5, 16, v5
	;; [unrolled: 1-line block ×3, first 2 shown]
	s_delay_alu instid0(VALU_DEP_3) | instskip(SKIP_4) | instid1(VALU_DEP_2)
	v_cmp_lt_u32_e32 vcc_lo, 12, v6
	s_or_b32 s3, vcc_lo, s3
	s_waitcnt vmcnt(0) lgkmcnt(0)
	v_mul_f64 v[62:63], v[60:61], v[10:11]
	v_mul_f64 v[10:11], v[58:59], v[10:11]
	v_fma_f64 v[58:59], v[58:59], v[8:9], -v[62:63]
	s_delay_alu instid0(VALU_DEP_2) | instskip(NEXT) | instid1(VALU_DEP_2)
	v_fma_f64 v[8:9], v[60:61], v[8:9], v[10:11]
	v_add_f64 v[3:4], v[3:4], v[58:59]
	s_delay_alu instid0(VALU_DEP_2)
	v_add_f64 v[1:2], v[1:2], v[8:9]
	s_and_not1_b32 exec_lo, exec_lo, s3
	s_cbranch_execnz .LBB78_69
; %bb.70:
	s_or_b32 exec_lo, exec_lo, s3
	v_mov_b32_e32 v5, 0
	ds_load_b128 v[5:8], v5 offset:224
	s_waitcnt lgkmcnt(0)
	v_mul_f64 v[9:10], v[1:2], v[7:8]
	v_mul_f64 v[7:8], v[3:4], v[7:8]
	s_delay_alu instid0(VALU_DEP_2) | instskip(NEXT) | instid1(VALU_DEP_2)
	v_fma_f64 v[3:4], v[3:4], v[5:6], -v[9:10]
	v_fma_f64 v[5:6], v[1:2], v[5:6], v[7:8]
	scratch_store_b128 off, v[3:6], off offset:224
.LBB78_71:
	s_or_b32 exec_lo, exec_lo, s2
	s_mov_b32 s3, -1
	s_waitcnt_vscnt null, 0x0
	s_barrier
	buffer_gl0_inv
.LBB78_72:
	s_and_b32 vcc_lo, exec_lo, s3
	s_cbranch_vccz .LBB78_74
; %bb.73:
	s_lshl_b64 s[2:3], s[10:11], 2
	v_mov_b32_e32 v1, 0
	s_add_u32 s2, s6, s2
	s_addc_u32 s3, s7, s3
	global_load_b32 v1, v1, s[2:3]
	s_waitcnt vmcnt(0)
	v_cmp_ne_u32_e32 vcc_lo, 0, v1
	s_cbranch_vccz .LBB78_75
.LBB78_74:
	s_endpgm
.LBB78_75:
	v_lshl_add_u32 v5, v43, 4, 0xf0
	s_mov_b32 s2, exec_lo
	v_cmpx_eq_u32_e32 14, v43
	s_cbranch_execz .LBB78_77
; %bb.76:
	scratch_load_b128 v[1:4], v57, off
	v_mov_b32_e32 v6, 0
	s_delay_alu instid0(VALU_DEP_1)
	v_mov_b32_e32 v7, v6
	v_mov_b32_e32 v8, v6
	;; [unrolled: 1-line block ×3, first 2 shown]
	scratch_store_b128 off, v[6:9], off offset:208
	s_waitcnt vmcnt(0)
	ds_store_b128 v5, v[1:4]
.LBB78_77:
	s_or_b32 exec_lo, exec_lo, s2
	s_waitcnt lgkmcnt(0)
	s_waitcnt_vscnt null, 0x0
	s_barrier
	buffer_gl0_inv
	s_clause 0x1
	scratch_load_b128 v[6:9], off, off offset:224
	scratch_load_b128 v[58:61], off, off offset:208
	v_mov_b32_e32 v1, 0
	s_mov_b32 s2, exec_lo
	ds_load_b128 v[62:65], v1 offset:464
	s_waitcnt vmcnt(1) lgkmcnt(0)
	v_mul_f64 v[2:3], v[64:65], v[8:9]
	v_mul_f64 v[8:9], v[62:63], v[8:9]
	s_delay_alu instid0(VALU_DEP_2) | instskip(NEXT) | instid1(VALU_DEP_2)
	v_fma_f64 v[2:3], v[62:63], v[6:7], -v[2:3]
	v_fma_f64 v[6:7], v[64:65], v[6:7], v[8:9]
	s_delay_alu instid0(VALU_DEP_2) | instskip(NEXT) | instid1(VALU_DEP_2)
	v_add_f64 v[2:3], v[2:3], 0
	v_add_f64 v[8:9], v[6:7], 0
	s_waitcnt vmcnt(0)
	s_delay_alu instid0(VALU_DEP_2) | instskip(NEXT) | instid1(VALU_DEP_2)
	v_add_f64 v[6:7], v[58:59], -v[2:3]
	v_add_f64 v[8:9], v[60:61], -v[8:9]
	scratch_store_b128 off, v[6:9], off offset:208
	v_cmpx_lt_u32_e32 12, v43
	s_cbranch_execz .LBB78_79
; %bb.78:
	scratch_load_b128 v[6:9], v56, off
	v_mov_b32_e32 v2, v1
	v_mov_b32_e32 v3, v1
	;; [unrolled: 1-line block ×3, first 2 shown]
	scratch_store_b128 off, v[1:4], off offset:192
	s_waitcnt vmcnt(0)
	ds_store_b128 v5, v[6:9]
.LBB78_79:
	s_or_b32 exec_lo, exec_lo, s2
	s_waitcnt lgkmcnt(0)
	s_waitcnt_vscnt null, 0x0
	s_barrier
	buffer_gl0_inv
	s_clause 0x2
	scratch_load_b128 v[6:9], off, off offset:208
	scratch_load_b128 v[58:61], off, off offset:224
	;; [unrolled: 1-line block ×3, first 2 shown]
	ds_load_b128 v[66:69], v1 offset:448
	ds_load_b128 v[1:4], v1 offset:464
	s_mov_b32 s2, exec_lo
	s_waitcnt vmcnt(2) lgkmcnt(1)
	v_mul_f64 v[10:11], v[68:69], v[8:9]
	v_mul_f64 v[8:9], v[66:67], v[8:9]
	s_waitcnt vmcnt(1) lgkmcnt(0)
	v_mul_f64 v[70:71], v[1:2], v[60:61]
	v_mul_f64 v[60:61], v[3:4], v[60:61]
	s_delay_alu instid0(VALU_DEP_4) | instskip(NEXT) | instid1(VALU_DEP_4)
	v_fma_f64 v[10:11], v[66:67], v[6:7], -v[10:11]
	v_fma_f64 v[6:7], v[68:69], v[6:7], v[8:9]
	s_delay_alu instid0(VALU_DEP_4) | instskip(NEXT) | instid1(VALU_DEP_4)
	v_fma_f64 v[3:4], v[3:4], v[58:59], v[70:71]
	v_fma_f64 v[1:2], v[1:2], v[58:59], -v[60:61]
	s_delay_alu instid0(VALU_DEP_4) | instskip(NEXT) | instid1(VALU_DEP_4)
	v_add_f64 v[8:9], v[10:11], 0
	v_add_f64 v[6:7], v[6:7], 0
	s_delay_alu instid0(VALU_DEP_2) | instskip(NEXT) | instid1(VALU_DEP_2)
	v_add_f64 v[1:2], v[8:9], v[1:2]
	v_add_f64 v[3:4], v[6:7], v[3:4]
	s_waitcnt vmcnt(0)
	s_delay_alu instid0(VALU_DEP_2) | instskip(NEXT) | instid1(VALU_DEP_2)
	v_add_f64 v[1:2], v[62:63], -v[1:2]
	v_add_f64 v[3:4], v[64:65], -v[3:4]
	scratch_store_b128 off, v[1:4], off offset:192
	v_cmpx_lt_u32_e32 11, v43
	s_cbranch_execz .LBB78_81
; %bb.80:
	scratch_load_b128 v[1:4], v53, off
	v_mov_b32_e32 v6, 0
	s_delay_alu instid0(VALU_DEP_1)
	v_mov_b32_e32 v7, v6
	v_mov_b32_e32 v8, v6
	;; [unrolled: 1-line block ×3, first 2 shown]
	scratch_store_b128 off, v[6:9], off offset:176
	s_waitcnt vmcnt(0)
	ds_store_b128 v5, v[1:4]
.LBB78_81:
	s_or_b32 exec_lo, exec_lo, s2
	s_waitcnt lgkmcnt(0)
	s_waitcnt_vscnt null, 0x0
	s_barrier
	buffer_gl0_inv
	s_clause 0x3
	scratch_load_b128 v[6:9], off, off offset:192
	scratch_load_b128 v[58:61], off, off offset:208
	;; [unrolled: 1-line block ×4, first 2 shown]
	v_mov_b32_e32 v1, 0
	ds_load_b128 v[70:73], v1 offset:432
	ds_load_b128 v[74:77], v1 offset:448
	s_mov_b32 s2, exec_lo
	s_waitcnt vmcnt(3) lgkmcnt(1)
	v_mul_f64 v[2:3], v[72:73], v[8:9]
	v_mul_f64 v[8:9], v[70:71], v[8:9]
	s_waitcnt vmcnt(2) lgkmcnt(0)
	v_mul_f64 v[10:11], v[74:75], v[60:61]
	v_mul_f64 v[60:61], v[76:77], v[60:61]
	s_delay_alu instid0(VALU_DEP_4) | instskip(NEXT) | instid1(VALU_DEP_4)
	v_fma_f64 v[2:3], v[70:71], v[6:7], -v[2:3]
	v_fma_f64 v[70:71], v[72:73], v[6:7], v[8:9]
	ds_load_b128 v[6:9], v1 offset:464
	v_fma_f64 v[10:11], v[76:77], v[58:59], v[10:11]
	v_fma_f64 v[58:59], v[74:75], v[58:59], -v[60:61]
	s_waitcnt vmcnt(1) lgkmcnt(0)
	v_mul_f64 v[72:73], v[6:7], v[64:65]
	v_mul_f64 v[64:65], v[8:9], v[64:65]
	v_add_f64 v[2:3], v[2:3], 0
	v_add_f64 v[60:61], v[70:71], 0
	s_delay_alu instid0(VALU_DEP_4) | instskip(NEXT) | instid1(VALU_DEP_4)
	v_fma_f64 v[8:9], v[8:9], v[62:63], v[72:73]
	v_fma_f64 v[6:7], v[6:7], v[62:63], -v[64:65]
	s_delay_alu instid0(VALU_DEP_4) | instskip(NEXT) | instid1(VALU_DEP_4)
	v_add_f64 v[2:3], v[2:3], v[58:59]
	v_add_f64 v[10:11], v[60:61], v[10:11]
	s_delay_alu instid0(VALU_DEP_2) | instskip(NEXT) | instid1(VALU_DEP_2)
	v_add_f64 v[2:3], v[2:3], v[6:7]
	v_add_f64 v[8:9], v[10:11], v[8:9]
	s_waitcnt vmcnt(0)
	s_delay_alu instid0(VALU_DEP_2) | instskip(NEXT) | instid1(VALU_DEP_2)
	v_add_f64 v[6:7], v[66:67], -v[2:3]
	v_add_f64 v[8:9], v[68:69], -v[8:9]
	scratch_store_b128 off, v[6:9], off offset:176
	v_cmpx_lt_u32_e32 10, v43
	s_cbranch_execz .LBB78_83
; %bb.82:
	scratch_load_b128 v[6:9], v54, off
	v_mov_b32_e32 v2, v1
	v_mov_b32_e32 v3, v1
	;; [unrolled: 1-line block ×3, first 2 shown]
	scratch_store_b128 off, v[1:4], off offset:160
	s_waitcnt vmcnt(0)
	ds_store_b128 v5, v[6:9]
.LBB78_83:
	s_or_b32 exec_lo, exec_lo, s2
	s_waitcnt lgkmcnt(0)
	s_waitcnt_vscnt null, 0x0
	s_barrier
	buffer_gl0_inv
	s_clause 0x4
	scratch_load_b128 v[6:9], off, off offset:176
	scratch_load_b128 v[58:61], off, off offset:192
	;; [unrolled: 1-line block ×5, first 2 shown]
	ds_load_b128 v[74:77], v1 offset:416
	ds_load_b128 v[78:81], v1 offset:432
	s_mov_b32 s2, exec_lo
	s_waitcnt vmcnt(4) lgkmcnt(1)
	v_mul_f64 v[2:3], v[76:77], v[8:9]
	v_mul_f64 v[8:9], v[74:75], v[8:9]
	s_waitcnt vmcnt(3) lgkmcnt(0)
	v_mul_f64 v[10:11], v[78:79], v[60:61]
	v_mul_f64 v[60:61], v[80:81], v[60:61]
	s_delay_alu instid0(VALU_DEP_4) | instskip(NEXT) | instid1(VALU_DEP_4)
	v_fma_f64 v[74:75], v[74:75], v[6:7], -v[2:3]
	v_fma_f64 v[76:77], v[76:77], v[6:7], v[8:9]
	ds_load_b128 v[6:9], v1 offset:448
	ds_load_b128 v[1:4], v1 offset:464
	v_fma_f64 v[10:11], v[80:81], v[58:59], v[10:11]
	v_fma_f64 v[58:59], v[78:79], v[58:59], -v[60:61]
	s_waitcnt vmcnt(2) lgkmcnt(1)
	v_mul_f64 v[82:83], v[6:7], v[64:65]
	v_mul_f64 v[64:65], v[8:9], v[64:65]
	v_add_f64 v[60:61], v[74:75], 0
	v_add_f64 v[74:75], v[76:77], 0
	s_waitcnt vmcnt(1) lgkmcnt(0)
	v_mul_f64 v[76:77], v[1:2], v[68:69]
	v_mul_f64 v[68:69], v[3:4], v[68:69]
	v_fma_f64 v[8:9], v[8:9], v[62:63], v[82:83]
	v_fma_f64 v[6:7], v[6:7], v[62:63], -v[64:65]
	v_add_f64 v[58:59], v[60:61], v[58:59]
	v_add_f64 v[10:11], v[74:75], v[10:11]
	v_fma_f64 v[3:4], v[3:4], v[66:67], v[76:77]
	v_fma_f64 v[1:2], v[1:2], v[66:67], -v[68:69]
	s_delay_alu instid0(VALU_DEP_4) | instskip(NEXT) | instid1(VALU_DEP_4)
	v_add_f64 v[6:7], v[58:59], v[6:7]
	v_add_f64 v[8:9], v[10:11], v[8:9]
	s_delay_alu instid0(VALU_DEP_2) | instskip(NEXT) | instid1(VALU_DEP_2)
	v_add_f64 v[1:2], v[6:7], v[1:2]
	v_add_f64 v[3:4], v[8:9], v[3:4]
	s_waitcnt vmcnt(0)
	s_delay_alu instid0(VALU_DEP_2) | instskip(NEXT) | instid1(VALU_DEP_2)
	v_add_f64 v[1:2], v[70:71], -v[1:2]
	v_add_f64 v[3:4], v[72:73], -v[3:4]
	scratch_store_b128 off, v[1:4], off offset:160
	v_cmpx_lt_u32_e32 9, v43
	s_cbranch_execz .LBB78_85
; %bb.84:
	scratch_load_b128 v[1:4], v51, off
	v_mov_b32_e32 v6, 0
	s_delay_alu instid0(VALU_DEP_1)
	v_mov_b32_e32 v7, v6
	v_mov_b32_e32 v8, v6
	;; [unrolled: 1-line block ×3, first 2 shown]
	scratch_store_b128 off, v[6:9], off offset:144
	s_waitcnt vmcnt(0)
	ds_store_b128 v5, v[1:4]
.LBB78_85:
	s_or_b32 exec_lo, exec_lo, s2
	s_waitcnt lgkmcnt(0)
	s_waitcnt_vscnt null, 0x0
	s_barrier
	buffer_gl0_inv
	s_clause 0x5
	scratch_load_b128 v[6:9], off, off offset:160
	scratch_load_b128 v[58:61], off, off offset:176
	;; [unrolled: 1-line block ×6, first 2 shown]
	v_mov_b32_e32 v1, 0
	ds_load_b128 v[78:81], v1 offset:400
	ds_load_b128 v[82:85], v1 offset:416
	s_mov_b32 s2, exec_lo
	s_waitcnt vmcnt(5) lgkmcnt(1)
	v_mul_f64 v[2:3], v[80:81], v[8:9]
	v_mul_f64 v[8:9], v[78:79], v[8:9]
	s_waitcnt vmcnt(4) lgkmcnt(0)
	v_mul_f64 v[10:11], v[82:83], v[60:61]
	v_mul_f64 v[60:61], v[84:85], v[60:61]
	s_delay_alu instid0(VALU_DEP_4) | instskip(NEXT) | instid1(VALU_DEP_4)
	v_fma_f64 v[2:3], v[78:79], v[6:7], -v[2:3]
	v_fma_f64 v[86:87], v[80:81], v[6:7], v[8:9]
	ds_load_b128 v[6:9], v1 offset:432
	ds_load_b128 v[78:81], v1 offset:448
	v_fma_f64 v[10:11], v[84:85], v[58:59], v[10:11]
	v_fma_f64 v[58:59], v[82:83], v[58:59], -v[60:61]
	s_waitcnt vmcnt(3) lgkmcnt(1)
	v_mul_f64 v[88:89], v[6:7], v[64:65]
	v_mul_f64 v[64:65], v[8:9], v[64:65]
	s_waitcnt vmcnt(2) lgkmcnt(0)
	v_mul_f64 v[82:83], v[78:79], v[68:69]
	v_mul_f64 v[68:69], v[80:81], v[68:69]
	v_add_f64 v[2:3], v[2:3], 0
	v_add_f64 v[60:61], v[86:87], 0
	v_fma_f64 v[84:85], v[8:9], v[62:63], v[88:89]
	v_fma_f64 v[62:63], v[6:7], v[62:63], -v[64:65]
	ds_load_b128 v[6:9], v1 offset:464
	v_fma_f64 v[64:65], v[80:81], v[66:67], v[82:83]
	v_fma_f64 v[66:67], v[78:79], v[66:67], -v[68:69]
	v_add_f64 v[2:3], v[2:3], v[58:59]
	v_add_f64 v[10:11], v[60:61], v[10:11]
	s_waitcnt vmcnt(1) lgkmcnt(0)
	v_mul_f64 v[58:59], v[6:7], v[72:73]
	v_mul_f64 v[60:61], v[8:9], v[72:73]
	s_delay_alu instid0(VALU_DEP_4) | instskip(NEXT) | instid1(VALU_DEP_4)
	v_add_f64 v[2:3], v[2:3], v[62:63]
	v_add_f64 v[10:11], v[10:11], v[84:85]
	s_delay_alu instid0(VALU_DEP_4) | instskip(NEXT) | instid1(VALU_DEP_4)
	v_fma_f64 v[8:9], v[8:9], v[70:71], v[58:59]
	v_fma_f64 v[6:7], v[6:7], v[70:71], -v[60:61]
	s_delay_alu instid0(VALU_DEP_4) | instskip(NEXT) | instid1(VALU_DEP_4)
	v_add_f64 v[2:3], v[2:3], v[66:67]
	v_add_f64 v[10:11], v[10:11], v[64:65]
	s_delay_alu instid0(VALU_DEP_2) | instskip(NEXT) | instid1(VALU_DEP_2)
	v_add_f64 v[2:3], v[2:3], v[6:7]
	v_add_f64 v[8:9], v[10:11], v[8:9]
	s_waitcnt vmcnt(0)
	s_delay_alu instid0(VALU_DEP_2) | instskip(NEXT) | instid1(VALU_DEP_2)
	v_add_f64 v[6:7], v[74:75], -v[2:3]
	v_add_f64 v[8:9], v[76:77], -v[8:9]
	scratch_store_b128 off, v[6:9], off offset:144
	v_cmpx_lt_u32_e32 8, v43
	s_cbranch_execz .LBB78_87
; %bb.86:
	scratch_load_b128 v[6:9], v52, off
	v_mov_b32_e32 v2, v1
	v_mov_b32_e32 v3, v1
	;; [unrolled: 1-line block ×3, first 2 shown]
	scratch_store_b128 off, v[1:4], off offset:128
	s_waitcnt vmcnt(0)
	ds_store_b128 v5, v[6:9]
.LBB78_87:
	s_or_b32 exec_lo, exec_lo, s2
	s_waitcnt lgkmcnt(0)
	s_waitcnt_vscnt null, 0x0
	s_barrier
	buffer_gl0_inv
	s_clause 0x5
	scratch_load_b128 v[6:9], off, off offset:144
	scratch_load_b128 v[58:61], off, off offset:160
	;; [unrolled: 1-line block ×6, first 2 shown]
	ds_load_b128 v[78:81], v1 offset:384
	ds_load_b128 v[86:89], v1 offset:400
	scratch_load_b128 v[82:85], off, off offset:128
	s_mov_b32 s2, exec_lo
	s_waitcnt vmcnt(6) lgkmcnt(1)
	v_mul_f64 v[2:3], v[80:81], v[8:9]
	v_mul_f64 v[8:9], v[78:79], v[8:9]
	s_waitcnt vmcnt(5) lgkmcnt(0)
	v_mul_f64 v[10:11], v[86:87], v[60:61]
	v_mul_f64 v[60:61], v[88:89], v[60:61]
	s_delay_alu instid0(VALU_DEP_4) | instskip(NEXT) | instid1(VALU_DEP_4)
	v_fma_f64 v[2:3], v[78:79], v[6:7], -v[2:3]
	v_fma_f64 v[90:91], v[80:81], v[6:7], v[8:9]
	ds_load_b128 v[6:9], v1 offset:416
	ds_load_b128 v[78:81], v1 offset:432
	v_fma_f64 v[10:11], v[88:89], v[58:59], v[10:11]
	v_fma_f64 v[58:59], v[86:87], v[58:59], -v[60:61]
	s_waitcnt vmcnt(4) lgkmcnt(1)
	v_mul_f64 v[92:93], v[6:7], v[64:65]
	v_mul_f64 v[64:65], v[8:9], v[64:65]
	s_waitcnt vmcnt(3) lgkmcnt(0)
	v_mul_f64 v[86:87], v[78:79], v[68:69]
	v_mul_f64 v[68:69], v[80:81], v[68:69]
	v_add_f64 v[2:3], v[2:3], 0
	v_add_f64 v[60:61], v[90:91], 0
	v_fma_f64 v[88:89], v[8:9], v[62:63], v[92:93]
	v_fma_f64 v[62:63], v[6:7], v[62:63], -v[64:65]
	s_delay_alu instid0(VALU_DEP_4) | instskip(NEXT) | instid1(VALU_DEP_4)
	v_add_f64 v[58:59], v[2:3], v[58:59]
	v_add_f64 v[10:11], v[60:61], v[10:11]
	ds_load_b128 v[6:9], v1 offset:448
	ds_load_b128 v[1:4], v1 offset:464
	s_waitcnt vmcnt(2) lgkmcnt(1)
	v_mul_f64 v[60:61], v[6:7], v[72:73]
	v_mul_f64 v[64:65], v[8:9], v[72:73]
	v_fma_f64 v[72:73], v[80:81], v[66:67], v[86:87]
	v_fma_f64 v[66:67], v[78:79], v[66:67], -v[68:69]
	s_waitcnt vmcnt(1) lgkmcnt(0)
	v_mul_f64 v[68:69], v[3:4], v[76:77]
	v_add_f64 v[58:59], v[58:59], v[62:63]
	v_add_f64 v[10:11], v[10:11], v[88:89]
	v_mul_f64 v[62:63], v[1:2], v[76:77]
	v_fma_f64 v[8:9], v[8:9], v[70:71], v[60:61]
	v_fma_f64 v[6:7], v[6:7], v[70:71], -v[64:65]
	v_fma_f64 v[1:2], v[1:2], v[74:75], -v[68:69]
	v_add_f64 v[58:59], v[58:59], v[66:67]
	v_add_f64 v[10:11], v[10:11], v[72:73]
	v_fma_f64 v[3:4], v[3:4], v[74:75], v[62:63]
	s_delay_alu instid0(VALU_DEP_3) | instskip(NEXT) | instid1(VALU_DEP_3)
	v_add_f64 v[6:7], v[58:59], v[6:7]
	v_add_f64 v[8:9], v[10:11], v[8:9]
	s_delay_alu instid0(VALU_DEP_2) | instskip(NEXT) | instid1(VALU_DEP_2)
	v_add_f64 v[1:2], v[6:7], v[1:2]
	v_add_f64 v[3:4], v[8:9], v[3:4]
	s_waitcnt vmcnt(0)
	s_delay_alu instid0(VALU_DEP_2) | instskip(NEXT) | instid1(VALU_DEP_2)
	v_add_f64 v[1:2], v[82:83], -v[1:2]
	v_add_f64 v[3:4], v[84:85], -v[3:4]
	scratch_store_b128 off, v[1:4], off offset:128
	v_cmpx_lt_u32_e32 7, v43
	s_cbranch_execz .LBB78_89
; %bb.88:
	scratch_load_b128 v[1:4], v49, off
	v_mov_b32_e32 v6, 0
	s_delay_alu instid0(VALU_DEP_1)
	v_mov_b32_e32 v7, v6
	v_mov_b32_e32 v8, v6
	;; [unrolled: 1-line block ×3, first 2 shown]
	scratch_store_b128 off, v[6:9], off offset:112
	s_waitcnt vmcnt(0)
	ds_store_b128 v5, v[1:4]
.LBB78_89:
	s_or_b32 exec_lo, exec_lo, s2
	s_waitcnt lgkmcnt(0)
	s_waitcnt_vscnt null, 0x0
	s_barrier
	buffer_gl0_inv
	s_clause 0x6
	scratch_load_b128 v[6:9], off, off offset:128
	scratch_load_b128 v[58:61], off, off offset:144
	;; [unrolled: 1-line block ×7, first 2 shown]
	v_mov_b32_e32 v1, 0
	scratch_load_b128 v[86:89], off, off offset:112
	s_mov_b32 s2, exec_lo
	ds_load_b128 v[82:85], v1 offset:368
	s_waitcnt vmcnt(7) lgkmcnt(0)
	v_mul_f64 v[2:3], v[84:85], v[8:9]
	v_mul_f64 v[90:91], v[82:83], v[8:9]
	ds_load_b128 v[8:11], v1 offset:384
	v_fma_f64 v[2:3], v[82:83], v[6:7], -v[2:3]
	v_fma_f64 v[6:7], v[84:85], v[6:7], v[90:91]
	ds_load_b128 v[82:85], v1 offset:400
	s_waitcnt vmcnt(6) lgkmcnt(1)
	v_mul_f64 v[92:93], v[8:9], v[60:61]
	v_mul_f64 v[60:61], v[10:11], v[60:61]
	s_waitcnt vmcnt(5) lgkmcnt(0)
	v_mul_f64 v[90:91], v[82:83], v[64:65]
	v_mul_f64 v[64:65], v[84:85], v[64:65]
	v_add_f64 v[2:3], v[2:3], 0
	v_fma_f64 v[10:11], v[10:11], v[58:59], v[92:93]
	v_fma_f64 v[58:59], v[8:9], v[58:59], -v[60:61]
	v_add_f64 v[60:61], v[6:7], 0
	ds_load_b128 v[6:9], v1 offset:416
	v_fma_f64 v[84:85], v[84:85], v[62:63], v[90:91]
	v_fma_f64 v[62:63], v[82:83], v[62:63], -v[64:65]
	v_add_f64 v[2:3], v[2:3], v[58:59]
	v_add_f64 v[10:11], v[60:61], v[10:11]
	ds_load_b128 v[58:61], v1 offset:432
	s_waitcnt vmcnt(4) lgkmcnt(1)
	v_mul_f64 v[92:93], v[6:7], v[68:69]
	v_mul_f64 v[68:69], v[8:9], v[68:69]
	s_waitcnt vmcnt(3) lgkmcnt(0)
	v_mul_f64 v[64:65], v[58:59], v[72:73]
	v_mul_f64 v[72:73], v[60:61], v[72:73]
	v_add_f64 v[2:3], v[2:3], v[62:63]
	v_add_f64 v[10:11], v[10:11], v[84:85]
	v_fma_f64 v[82:83], v[8:9], v[66:67], v[92:93]
	v_fma_f64 v[66:67], v[6:7], v[66:67], -v[68:69]
	ds_load_b128 v[6:9], v1 offset:448
	v_fma_f64 v[64:65], v[60:61], v[70:71], v[64:65]
	v_fma_f64 v[70:71], v[58:59], v[70:71], -v[72:73]
	ds_load_b128 v[58:61], v1 offset:464
	s_waitcnt vmcnt(2) lgkmcnt(1)
	v_mul_f64 v[62:63], v[6:7], v[76:77]
	v_mul_f64 v[68:69], v[8:9], v[76:77]
	v_add_f64 v[10:11], v[10:11], v[82:83]
	v_add_f64 v[2:3], v[2:3], v[66:67]
	s_waitcnt vmcnt(1) lgkmcnt(0)
	v_mul_f64 v[66:67], v[58:59], v[80:81]
	v_mul_f64 v[72:73], v[60:61], v[80:81]
	v_fma_f64 v[8:9], v[8:9], v[74:75], v[62:63]
	v_fma_f64 v[6:7], v[6:7], v[74:75], -v[68:69]
	v_add_f64 v[10:11], v[10:11], v[64:65]
	v_add_f64 v[2:3], v[2:3], v[70:71]
	v_fma_f64 v[60:61], v[60:61], v[78:79], v[66:67]
	v_fma_f64 v[58:59], v[58:59], v[78:79], -v[72:73]
	s_delay_alu instid0(VALU_DEP_3) | instskip(SKIP_1) | instid1(VALU_DEP_2)
	v_add_f64 v[2:3], v[2:3], v[6:7]
	v_add_f64 v[6:7], v[10:11], v[8:9]
	;; [unrolled: 1-line block ×3, first 2 shown]
	s_delay_alu instid0(VALU_DEP_2) | instskip(SKIP_1) | instid1(VALU_DEP_2)
	v_add_f64 v[8:9], v[6:7], v[60:61]
	s_waitcnt vmcnt(0)
	v_add_f64 v[6:7], v[86:87], -v[2:3]
	s_delay_alu instid0(VALU_DEP_2)
	v_add_f64 v[8:9], v[88:89], -v[8:9]
	scratch_store_b128 off, v[6:9], off offset:112
	v_cmpx_lt_u32_e32 6, v43
	s_cbranch_execz .LBB78_91
; %bb.90:
	scratch_load_b128 v[6:9], v50, off
	v_mov_b32_e32 v2, v1
	v_mov_b32_e32 v3, v1
	;; [unrolled: 1-line block ×3, first 2 shown]
	scratch_store_b128 off, v[1:4], off offset:96
	s_waitcnt vmcnt(0)
	ds_store_b128 v5, v[6:9]
.LBB78_91:
	s_or_b32 exec_lo, exec_lo, s2
	s_waitcnt lgkmcnt(0)
	s_waitcnt_vscnt null, 0x0
	s_barrier
	buffer_gl0_inv
	s_clause 0x7
	scratch_load_b128 v[6:9], off, off offset:112
	scratch_load_b128 v[58:61], off, off offset:128
	;; [unrolled: 1-line block ×8, first 2 shown]
	ds_load_b128 v[86:89], v1 offset:352
	s_mov_b32 s2, exec_lo
	s_waitcnt vmcnt(7) lgkmcnt(0)
	v_mul_f64 v[2:3], v[88:89], v[8:9]
	v_mul_f64 v[90:91], v[86:87], v[8:9]
	ds_load_b128 v[8:11], v1 offset:368
	v_fma_f64 v[2:3], v[86:87], v[6:7], -v[2:3]
	v_fma_f64 v[6:7], v[88:89], v[6:7], v[90:91]
	ds_load_b128 v[86:89], v1 offset:384
	s_waitcnt vmcnt(6) lgkmcnt(1)
	v_mul_f64 v[94:95], v[8:9], v[60:61]
	v_mul_f64 v[60:61], v[10:11], v[60:61]
	scratch_load_b128 v[90:93], off, off offset:96
	s_waitcnt vmcnt(6) lgkmcnt(0)
	v_mul_f64 v[96:97], v[86:87], v[64:65]
	v_mul_f64 v[64:65], v[88:89], v[64:65]
	v_add_f64 v[2:3], v[2:3], 0
	v_fma_f64 v[10:11], v[10:11], v[58:59], v[94:95]
	v_fma_f64 v[58:59], v[8:9], v[58:59], -v[60:61]
	v_add_f64 v[60:61], v[6:7], 0
	ds_load_b128 v[6:9], v1 offset:400
	v_fma_f64 v[88:89], v[88:89], v[62:63], v[96:97]
	v_fma_f64 v[62:63], v[86:87], v[62:63], -v[64:65]
	v_add_f64 v[2:3], v[2:3], v[58:59]
	v_add_f64 v[10:11], v[60:61], v[10:11]
	ds_load_b128 v[58:61], v1 offset:416
	s_waitcnt vmcnt(5) lgkmcnt(1)
	v_mul_f64 v[94:95], v[6:7], v[68:69]
	v_mul_f64 v[68:69], v[8:9], v[68:69]
	s_waitcnt vmcnt(4) lgkmcnt(0)
	v_mul_f64 v[64:65], v[58:59], v[72:73]
	v_mul_f64 v[72:73], v[60:61], v[72:73]
	v_add_f64 v[2:3], v[2:3], v[62:63]
	v_add_f64 v[10:11], v[10:11], v[88:89]
	v_fma_f64 v[86:87], v[8:9], v[66:67], v[94:95]
	v_fma_f64 v[66:67], v[6:7], v[66:67], -v[68:69]
	ds_load_b128 v[6:9], v1 offset:432
	v_fma_f64 v[64:65], v[60:61], v[70:71], v[64:65]
	v_fma_f64 v[70:71], v[58:59], v[70:71], -v[72:73]
	ds_load_b128 v[58:61], v1 offset:448
	s_waitcnt vmcnt(3) lgkmcnt(1)
	v_mul_f64 v[62:63], v[6:7], v[76:77]
	v_mul_f64 v[68:69], v[8:9], v[76:77]
	v_add_f64 v[10:11], v[10:11], v[86:87]
	v_add_f64 v[2:3], v[2:3], v[66:67]
	s_waitcnt vmcnt(2) lgkmcnt(0)
	v_mul_f64 v[66:67], v[58:59], v[80:81]
	v_mul_f64 v[72:73], v[60:61], v[80:81]
	v_fma_f64 v[8:9], v[8:9], v[74:75], v[62:63]
	v_fma_f64 v[6:7], v[6:7], v[74:75], -v[68:69]
	v_add_f64 v[10:11], v[10:11], v[64:65]
	v_add_f64 v[62:63], v[2:3], v[70:71]
	ds_load_b128 v[1:4], v1 offset:464
	v_fma_f64 v[60:61], v[60:61], v[78:79], v[66:67]
	v_fma_f64 v[58:59], v[58:59], v[78:79], -v[72:73]
	s_waitcnt vmcnt(1) lgkmcnt(0)
	v_mul_f64 v[64:65], v[1:2], v[84:85]
	v_mul_f64 v[68:69], v[3:4], v[84:85]
	v_add_f64 v[8:9], v[10:11], v[8:9]
	v_add_f64 v[6:7], v[62:63], v[6:7]
	s_delay_alu instid0(VALU_DEP_4) | instskip(NEXT) | instid1(VALU_DEP_4)
	v_fma_f64 v[3:4], v[3:4], v[82:83], v[64:65]
	v_fma_f64 v[1:2], v[1:2], v[82:83], -v[68:69]
	s_delay_alu instid0(VALU_DEP_4) | instskip(NEXT) | instid1(VALU_DEP_4)
	v_add_f64 v[8:9], v[8:9], v[60:61]
	v_add_f64 v[6:7], v[6:7], v[58:59]
	s_delay_alu instid0(VALU_DEP_2) | instskip(NEXT) | instid1(VALU_DEP_2)
	v_add_f64 v[3:4], v[8:9], v[3:4]
	v_add_f64 v[1:2], v[6:7], v[1:2]
	s_waitcnt vmcnt(0)
	s_delay_alu instid0(VALU_DEP_2) | instskip(NEXT) | instid1(VALU_DEP_2)
	v_add_f64 v[3:4], v[92:93], -v[3:4]
	v_add_f64 v[1:2], v[90:91], -v[1:2]
	scratch_store_b128 off, v[1:4], off offset:96
	v_cmpx_lt_u32_e32 5, v43
	s_cbranch_execz .LBB78_93
; %bb.92:
	scratch_load_b128 v[1:4], v46, off
	v_mov_b32_e32 v6, 0
	s_delay_alu instid0(VALU_DEP_1)
	v_mov_b32_e32 v7, v6
	v_mov_b32_e32 v8, v6
	;; [unrolled: 1-line block ×3, first 2 shown]
	scratch_store_b128 off, v[6:9], off offset:80
	s_waitcnt vmcnt(0)
	ds_store_b128 v5, v[1:4]
.LBB78_93:
	s_or_b32 exec_lo, exec_lo, s2
	s_waitcnt lgkmcnt(0)
	s_waitcnt_vscnt null, 0x0
	s_barrier
	buffer_gl0_inv
	s_clause 0x7
	scratch_load_b128 v[6:9], off, off offset:96
	scratch_load_b128 v[58:61], off, off offset:112
	;; [unrolled: 1-line block ×8, first 2 shown]
	v_mov_b32_e32 v1, 0
	s_mov_b32 s2, exec_lo
	ds_load_b128 v[86:89], v1 offset:336
	s_clause 0x1
	scratch_load_b128 v[90:93], off, off offset:224
	scratch_load_b128 v[94:97], off, off offset:80
	ds_load_b128 v[98:101], v1 offset:352
	s_waitcnt vmcnt(9) lgkmcnt(1)
	v_mul_f64 v[2:3], v[88:89], v[8:9]
	v_mul_f64 v[8:9], v[86:87], v[8:9]
	s_waitcnt vmcnt(8) lgkmcnt(0)
	v_mul_f64 v[10:11], v[98:99], v[60:61]
	v_mul_f64 v[60:61], v[100:101], v[60:61]
	s_delay_alu instid0(VALU_DEP_4) | instskip(NEXT) | instid1(VALU_DEP_4)
	v_fma_f64 v[2:3], v[86:87], v[6:7], -v[2:3]
	v_fma_f64 v[102:103], v[88:89], v[6:7], v[8:9]
	ds_load_b128 v[6:9], v1 offset:368
	ds_load_b128 v[86:89], v1 offset:384
	v_fma_f64 v[10:11], v[100:101], v[58:59], v[10:11]
	v_fma_f64 v[58:59], v[98:99], v[58:59], -v[60:61]
	s_waitcnt vmcnt(7) lgkmcnt(1)
	v_mul_f64 v[104:105], v[6:7], v[64:65]
	v_mul_f64 v[64:65], v[8:9], v[64:65]
	s_waitcnt vmcnt(6) lgkmcnt(0)
	v_mul_f64 v[98:99], v[86:87], v[68:69]
	v_mul_f64 v[68:69], v[88:89], v[68:69]
	v_add_f64 v[2:3], v[2:3], 0
	v_add_f64 v[60:61], v[102:103], 0
	v_fma_f64 v[100:101], v[8:9], v[62:63], v[104:105]
	v_fma_f64 v[62:63], v[6:7], v[62:63], -v[64:65]
	v_fma_f64 v[88:89], v[88:89], v[66:67], v[98:99]
	v_fma_f64 v[66:67], v[86:87], v[66:67], -v[68:69]
	v_add_f64 v[2:3], v[2:3], v[58:59]
	v_add_f64 v[10:11], v[60:61], v[10:11]
	ds_load_b128 v[6:9], v1 offset:400
	ds_load_b128 v[58:61], v1 offset:416
	s_waitcnt vmcnt(5) lgkmcnt(1)
	v_mul_f64 v[64:65], v[6:7], v[72:73]
	v_mul_f64 v[72:73], v[8:9], v[72:73]
	s_waitcnt vmcnt(4) lgkmcnt(0)
	v_mul_f64 v[68:69], v[58:59], v[76:77]
	v_mul_f64 v[76:77], v[60:61], v[76:77]
	v_add_f64 v[2:3], v[2:3], v[62:63]
	v_add_f64 v[10:11], v[10:11], v[100:101]
	v_fma_f64 v[86:87], v[8:9], v[70:71], v[64:65]
	v_fma_f64 v[70:71], v[6:7], v[70:71], -v[72:73]
	ds_load_b128 v[6:9], v1 offset:432
	ds_load_b128 v[62:65], v1 offset:448
	v_fma_f64 v[60:61], v[60:61], v[74:75], v[68:69]
	v_fma_f64 v[58:59], v[58:59], v[74:75], -v[76:77]
	v_add_f64 v[2:3], v[2:3], v[66:67]
	v_add_f64 v[10:11], v[10:11], v[88:89]
	s_waitcnt vmcnt(3) lgkmcnt(1)
	v_mul_f64 v[66:67], v[6:7], v[80:81]
	v_mul_f64 v[72:73], v[8:9], v[80:81]
	s_waitcnt vmcnt(2) lgkmcnt(0)
	v_mul_f64 v[68:69], v[62:63], v[84:85]
	v_add_f64 v[2:3], v[2:3], v[70:71]
	v_add_f64 v[10:11], v[10:11], v[86:87]
	v_mul_f64 v[70:71], v[64:65], v[84:85]
	v_fma_f64 v[66:67], v[8:9], v[78:79], v[66:67]
	v_fma_f64 v[72:73], v[6:7], v[78:79], -v[72:73]
	ds_load_b128 v[6:9], v1 offset:464
	v_fma_f64 v[64:65], v[64:65], v[82:83], v[68:69]
	v_add_f64 v[2:3], v[2:3], v[58:59]
	v_add_f64 v[10:11], v[10:11], v[60:61]
	s_waitcnt vmcnt(1) lgkmcnt(0)
	v_mul_f64 v[58:59], v[6:7], v[92:93]
	v_mul_f64 v[60:61], v[8:9], v[92:93]
	v_fma_f64 v[62:63], v[62:63], v[82:83], -v[70:71]
	v_add_f64 v[2:3], v[2:3], v[72:73]
	v_add_f64 v[10:11], v[10:11], v[66:67]
	v_fma_f64 v[8:9], v[8:9], v[90:91], v[58:59]
	v_fma_f64 v[6:7], v[6:7], v[90:91], -v[60:61]
	s_delay_alu instid0(VALU_DEP_4) | instskip(NEXT) | instid1(VALU_DEP_4)
	v_add_f64 v[2:3], v[2:3], v[62:63]
	v_add_f64 v[10:11], v[10:11], v[64:65]
	s_delay_alu instid0(VALU_DEP_2) | instskip(NEXT) | instid1(VALU_DEP_2)
	v_add_f64 v[2:3], v[2:3], v[6:7]
	v_add_f64 v[8:9], v[10:11], v[8:9]
	s_waitcnt vmcnt(0)
	s_delay_alu instid0(VALU_DEP_2) | instskip(NEXT) | instid1(VALU_DEP_2)
	v_add_f64 v[6:7], v[94:95], -v[2:3]
	v_add_f64 v[8:9], v[96:97], -v[8:9]
	scratch_store_b128 off, v[6:9], off offset:80
	v_cmpx_lt_u32_e32 4, v43
	s_cbranch_execz .LBB78_95
; %bb.94:
	scratch_load_b128 v[6:9], v48, off
	v_mov_b32_e32 v2, v1
	v_mov_b32_e32 v3, v1
	;; [unrolled: 1-line block ×3, first 2 shown]
	scratch_store_b128 off, v[1:4], off offset:64
	s_waitcnt vmcnt(0)
	ds_store_b128 v5, v[6:9]
.LBB78_95:
	s_or_b32 exec_lo, exec_lo, s2
	s_waitcnt lgkmcnt(0)
	s_waitcnt_vscnt null, 0x0
	s_barrier
	buffer_gl0_inv
	s_clause 0x8
	scratch_load_b128 v[6:9], off, off offset:80
	scratch_load_b128 v[58:61], off, off offset:96
	;; [unrolled: 1-line block ×9, first 2 shown]
	ds_load_b128 v[90:93], v1 offset:320
	ds_load_b128 v[94:97], v1 offset:336
	scratch_load_b128 v[98:101], off, off offset:64
	s_mov_b32 s2, exec_lo
	s_waitcnt vmcnt(9) lgkmcnt(1)
	v_mul_f64 v[2:3], v[92:93], v[8:9]
	v_mul_f64 v[102:103], v[90:91], v[8:9]
	scratch_load_b128 v[8:11], off, off offset:224
	s_waitcnt vmcnt(9) lgkmcnt(0)
	v_mul_f64 v[106:107], v[94:95], v[60:61]
	v_mul_f64 v[60:61], v[96:97], v[60:61]
	v_fma_f64 v[2:3], v[90:91], v[6:7], -v[2:3]
	v_fma_f64 v[6:7], v[92:93], v[6:7], v[102:103]
	ds_load_b128 v[90:93], v1 offset:352
	ds_load_b128 v[102:105], v1 offset:368
	v_fma_f64 v[96:97], v[96:97], v[58:59], v[106:107]
	v_fma_f64 v[58:59], v[94:95], v[58:59], -v[60:61]
	s_waitcnt vmcnt(8) lgkmcnt(1)
	v_mul_f64 v[108:109], v[90:91], v[64:65]
	v_mul_f64 v[64:65], v[92:93], v[64:65]
	s_waitcnt vmcnt(7) lgkmcnt(0)
	v_mul_f64 v[94:95], v[102:103], v[68:69]
	v_mul_f64 v[68:69], v[104:105], v[68:69]
	v_add_f64 v[2:3], v[2:3], 0
	v_add_f64 v[6:7], v[6:7], 0
	v_fma_f64 v[92:93], v[92:93], v[62:63], v[108:109]
	v_fma_f64 v[90:91], v[90:91], v[62:63], -v[64:65]
	v_fma_f64 v[94:95], v[104:105], v[66:67], v[94:95]
	v_fma_f64 v[66:67], v[102:103], v[66:67], -v[68:69]
	v_add_f64 v[2:3], v[2:3], v[58:59]
	v_add_f64 v[6:7], v[6:7], v[96:97]
	ds_load_b128 v[58:61], v1 offset:384
	ds_load_b128 v[62:65], v1 offset:400
	s_waitcnt vmcnt(6) lgkmcnt(1)
	v_mul_f64 v[96:97], v[58:59], v[72:73]
	v_mul_f64 v[72:73], v[60:61], v[72:73]
	v_add_f64 v[2:3], v[2:3], v[90:91]
	v_add_f64 v[6:7], v[6:7], v[92:93]
	s_waitcnt vmcnt(5) lgkmcnt(0)
	v_mul_f64 v[90:91], v[62:63], v[76:77]
	v_mul_f64 v[76:77], v[64:65], v[76:77]
	v_fma_f64 v[92:93], v[60:61], v[70:71], v[96:97]
	v_fma_f64 v[70:71], v[58:59], v[70:71], -v[72:73]
	v_add_f64 v[2:3], v[2:3], v[66:67]
	v_add_f64 v[6:7], v[6:7], v[94:95]
	ds_load_b128 v[58:61], v1 offset:416
	ds_load_b128 v[66:69], v1 offset:432
	v_fma_f64 v[64:65], v[64:65], v[74:75], v[90:91]
	v_fma_f64 v[62:63], v[62:63], v[74:75], -v[76:77]
	s_waitcnt vmcnt(4) lgkmcnt(1)
	v_mul_f64 v[72:73], v[58:59], v[80:81]
	v_mul_f64 v[80:81], v[60:61], v[80:81]
	s_waitcnt vmcnt(3) lgkmcnt(0)
	v_mul_f64 v[74:75], v[68:69], v[84:85]
	v_add_f64 v[2:3], v[2:3], v[70:71]
	v_add_f64 v[6:7], v[6:7], v[92:93]
	v_mul_f64 v[70:71], v[66:67], v[84:85]
	v_fma_f64 v[72:73], v[60:61], v[78:79], v[72:73]
	v_fma_f64 v[76:77], v[58:59], v[78:79], -v[80:81]
	v_fma_f64 v[66:67], v[66:67], v[82:83], -v[74:75]
	v_add_f64 v[62:63], v[2:3], v[62:63]
	v_add_f64 v[6:7], v[6:7], v[64:65]
	ds_load_b128 v[58:61], v1 offset:448
	ds_load_b128 v[1:4], v1 offset:464
	v_fma_f64 v[68:69], v[68:69], v[82:83], v[70:71]
	s_waitcnt vmcnt(2) lgkmcnt(1)
	v_mul_f64 v[64:65], v[58:59], v[88:89]
	v_mul_f64 v[78:79], v[60:61], v[88:89]
	v_add_f64 v[62:63], v[62:63], v[76:77]
	v_add_f64 v[6:7], v[6:7], v[72:73]
	s_waitcnt vmcnt(0) lgkmcnt(0)
	v_mul_f64 v[70:71], v[1:2], v[10:11]
	v_mul_f64 v[10:11], v[3:4], v[10:11]
	v_fma_f64 v[60:61], v[60:61], v[86:87], v[64:65]
	v_fma_f64 v[58:59], v[58:59], v[86:87], -v[78:79]
	v_add_f64 v[62:63], v[62:63], v[66:67]
	v_add_f64 v[6:7], v[6:7], v[68:69]
	v_fma_f64 v[3:4], v[3:4], v[8:9], v[70:71]
	v_fma_f64 v[1:2], v[1:2], v[8:9], -v[10:11]
	s_delay_alu instid0(VALU_DEP_4) | instskip(NEXT) | instid1(VALU_DEP_4)
	v_add_f64 v[8:9], v[62:63], v[58:59]
	v_add_f64 v[6:7], v[6:7], v[60:61]
	s_delay_alu instid0(VALU_DEP_2) | instskip(NEXT) | instid1(VALU_DEP_2)
	v_add_f64 v[1:2], v[8:9], v[1:2]
	v_add_f64 v[3:4], v[6:7], v[3:4]
	s_delay_alu instid0(VALU_DEP_2) | instskip(NEXT) | instid1(VALU_DEP_2)
	v_add_f64 v[1:2], v[98:99], -v[1:2]
	v_add_f64 v[3:4], v[100:101], -v[3:4]
	scratch_store_b128 off, v[1:4], off offset:64
	v_cmpx_lt_u32_e32 3, v43
	s_cbranch_execz .LBB78_97
; %bb.96:
	scratch_load_b128 v[1:4], v44, off
	v_mov_b32_e32 v6, 0
	s_delay_alu instid0(VALU_DEP_1)
	v_mov_b32_e32 v7, v6
	v_mov_b32_e32 v8, v6
	;; [unrolled: 1-line block ×3, first 2 shown]
	scratch_store_b128 off, v[6:9], off offset:48
	s_waitcnt vmcnt(0)
	ds_store_b128 v5, v[1:4]
.LBB78_97:
	s_or_b32 exec_lo, exec_lo, s2
	s_waitcnt lgkmcnt(0)
	s_waitcnt_vscnt null, 0x0
	s_barrier
	buffer_gl0_inv
	s_clause 0x7
	scratch_load_b128 v[6:9], off, off offset:64
	scratch_load_b128 v[58:61], off, off offset:80
	;; [unrolled: 1-line block ×8, first 2 shown]
	v_mov_b32_e32 v1, 0
	s_mov_b32 s2, exec_lo
	ds_load_b128 v[86:89], v1 offset:304
	s_clause 0x1
	scratch_load_b128 v[90:93], off, off offset:192
	scratch_load_b128 v[94:97], off, off offset:48
	ds_load_b128 v[98:101], v1 offset:320
	ds_load_b128 v[106:109], v1 offset:352
	s_waitcnt vmcnt(9) lgkmcnt(2)
	v_mul_f64 v[2:3], v[88:89], v[8:9]
	v_mul_f64 v[102:103], v[86:87], v[8:9]
	scratch_load_b128 v[8:11], off, off offset:208
	v_fma_f64 v[2:3], v[86:87], v[6:7], -v[2:3]
	v_fma_f64 v[6:7], v[88:89], v[6:7], v[102:103]
	scratch_load_b128 v[102:105], off, off offset:224
	ds_load_b128 v[86:89], v1 offset:336
	s_waitcnt vmcnt(10) lgkmcnt(2)
	v_mul_f64 v[110:111], v[98:99], v[60:61]
	v_mul_f64 v[60:61], v[100:101], v[60:61]
	s_waitcnt vmcnt(9) lgkmcnt(0)
	v_mul_f64 v[112:113], v[86:87], v[64:65]
	v_mul_f64 v[64:65], v[88:89], v[64:65]
	v_add_f64 v[2:3], v[2:3], 0
	v_add_f64 v[6:7], v[6:7], 0
	v_fma_f64 v[100:101], v[100:101], v[58:59], v[110:111]
	v_fma_f64 v[58:59], v[98:99], v[58:59], -v[60:61]
	s_waitcnt vmcnt(8)
	v_mul_f64 v[98:99], v[106:107], v[68:69]
	v_mul_f64 v[68:69], v[108:109], v[68:69]
	v_fma_f64 v[88:89], v[88:89], v[62:63], v[112:113]
	v_fma_f64 v[86:87], v[86:87], v[62:63], -v[64:65]
	v_add_f64 v[6:7], v[6:7], v[100:101]
	v_add_f64 v[2:3], v[2:3], v[58:59]
	ds_load_b128 v[58:61], v1 offset:368
	ds_load_b128 v[62:65], v1 offset:384
	v_fma_f64 v[98:99], v[108:109], v[66:67], v[98:99]
	v_fma_f64 v[66:67], v[106:107], v[66:67], -v[68:69]
	s_waitcnt vmcnt(7) lgkmcnt(1)
	v_mul_f64 v[100:101], v[58:59], v[72:73]
	v_mul_f64 v[72:73], v[60:61], v[72:73]
	v_add_f64 v[6:7], v[6:7], v[88:89]
	v_add_f64 v[2:3], v[2:3], v[86:87]
	s_waitcnt vmcnt(6) lgkmcnt(0)
	v_mul_f64 v[86:87], v[62:63], v[76:77]
	v_mul_f64 v[76:77], v[64:65], v[76:77]
	v_fma_f64 v[88:89], v[60:61], v[70:71], v[100:101]
	v_fma_f64 v[70:71], v[58:59], v[70:71], -v[72:73]
	v_add_f64 v[6:7], v[6:7], v[98:99]
	v_add_f64 v[2:3], v[2:3], v[66:67]
	ds_load_b128 v[58:61], v1 offset:400
	ds_load_b128 v[66:69], v1 offset:416
	v_fma_f64 v[64:65], v[64:65], v[74:75], v[86:87]
	v_fma_f64 v[62:63], v[62:63], v[74:75], -v[76:77]
	s_waitcnt vmcnt(5) lgkmcnt(1)
	v_mul_f64 v[72:73], v[58:59], v[80:81]
	v_mul_f64 v[80:81], v[60:61], v[80:81]
	s_waitcnt vmcnt(4) lgkmcnt(0)
	v_mul_f64 v[74:75], v[68:69], v[84:85]
	v_add_f64 v[6:7], v[6:7], v[88:89]
	v_add_f64 v[2:3], v[2:3], v[70:71]
	v_mul_f64 v[70:71], v[66:67], v[84:85]
	v_fma_f64 v[72:73], v[60:61], v[78:79], v[72:73]
	v_fma_f64 v[76:77], v[58:59], v[78:79], -v[80:81]
	v_fma_f64 v[66:67], v[66:67], v[82:83], -v[74:75]
	v_add_f64 v[6:7], v[6:7], v[64:65]
	v_add_f64 v[2:3], v[2:3], v[62:63]
	ds_load_b128 v[58:61], v1 offset:432
	ds_load_b128 v[62:65], v1 offset:448
	v_fma_f64 v[68:69], v[68:69], v[82:83], v[70:71]
	s_waitcnt vmcnt(3) lgkmcnt(1)
	v_mul_f64 v[78:79], v[58:59], v[92:93]
	v_mul_f64 v[80:81], v[60:61], v[92:93]
	v_add_f64 v[6:7], v[6:7], v[72:73]
	v_add_f64 v[2:3], v[2:3], v[76:77]
	s_waitcnt vmcnt(1) lgkmcnt(0)
	v_mul_f64 v[70:71], v[62:63], v[10:11]
	v_mul_f64 v[10:11], v[64:65], v[10:11]
	v_fma_f64 v[72:73], v[60:61], v[90:91], v[78:79]
	v_fma_f64 v[74:75], v[58:59], v[90:91], -v[80:81]
	ds_load_b128 v[58:61], v1 offset:464
	v_add_f64 v[6:7], v[6:7], v[68:69]
	v_add_f64 v[2:3], v[2:3], v[66:67]
	s_waitcnt vmcnt(0) lgkmcnt(0)
	v_mul_f64 v[66:67], v[58:59], v[104:105]
	v_mul_f64 v[68:69], v[60:61], v[104:105]
	v_fma_f64 v[64:65], v[64:65], v[8:9], v[70:71]
	v_fma_f64 v[8:9], v[62:63], v[8:9], -v[10:11]
	v_add_f64 v[6:7], v[6:7], v[72:73]
	v_add_f64 v[2:3], v[2:3], v[74:75]
	v_fma_f64 v[10:11], v[60:61], v[102:103], v[66:67]
	v_fma_f64 v[58:59], v[58:59], v[102:103], -v[68:69]
	s_delay_alu instid0(VALU_DEP_4) | instskip(NEXT) | instid1(VALU_DEP_4)
	v_add_f64 v[6:7], v[6:7], v[64:65]
	v_add_f64 v[2:3], v[2:3], v[8:9]
	s_delay_alu instid0(VALU_DEP_2) | instskip(NEXT) | instid1(VALU_DEP_2)
	v_add_f64 v[8:9], v[6:7], v[10:11]
	v_add_f64 v[2:3], v[2:3], v[58:59]
	s_delay_alu instid0(VALU_DEP_2) | instskip(NEXT) | instid1(VALU_DEP_2)
	v_add_f64 v[8:9], v[96:97], -v[8:9]
	v_add_f64 v[6:7], v[94:95], -v[2:3]
	scratch_store_b128 off, v[6:9], off offset:48
	v_cmpx_lt_u32_e32 2, v43
	s_cbranch_execz .LBB78_99
; %bb.98:
	scratch_load_b128 v[6:9], v47, off
	v_mov_b32_e32 v2, v1
	v_mov_b32_e32 v3, v1
	;; [unrolled: 1-line block ×3, first 2 shown]
	scratch_store_b128 off, v[1:4], off offset:32
	s_waitcnt vmcnt(0)
	ds_store_b128 v5, v[6:9]
.LBB78_99:
	s_or_b32 exec_lo, exec_lo, s2
	s_waitcnt lgkmcnt(0)
	s_waitcnt_vscnt null, 0x0
	s_barrier
	buffer_gl0_inv
	s_clause 0x8
	scratch_load_b128 v[6:9], off, off offset:48
	scratch_load_b128 v[58:61], off, off offset:64
	;; [unrolled: 1-line block ×9, first 2 shown]
	ds_load_b128 v[90:93], v1 offset:288
	ds_load_b128 v[94:97], v1 offset:304
	scratch_load_b128 v[98:101], off, off offset:32
	s_mov_b32 s2, exec_lo
	ds_load_b128 v[106:109], v1 offset:336
	s_waitcnt vmcnt(9) lgkmcnt(2)
	v_mul_f64 v[2:3], v[92:93], v[8:9]
	v_mul_f64 v[102:103], v[90:91], v[8:9]
	scratch_load_b128 v[8:11], off, off offset:192
	s_waitcnt vmcnt(9) lgkmcnt(1)
	v_mul_f64 v[110:111], v[94:95], v[60:61]
	v_mul_f64 v[60:61], v[96:97], v[60:61]
	v_fma_f64 v[2:3], v[90:91], v[6:7], -v[2:3]
	v_fma_f64 v[6:7], v[92:93], v[6:7], v[102:103]
	ds_load_b128 v[90:93], v1 offset:320
	scratch_load_b128 v[102:105], off, off offset:208
	v_fma_f64 v[96:97], v[96:97], v[58:59], v[110:111]
	v_fma_f64 v[94:95], v[94:95], v[58:59], -v[60:61]
	scratch_load_b128 v[58:61], off, off offset:224
	s_waitcnt vmcnt(9) lgkmcnt(1)
	v_mul_f64 v[110:111], v[106:107], v[68:69]
	v_mul_f64 v[68:69], v[108:109], v[68:69]
	s_waitcnt lgkmcnt(0)
	v_mul_f64 v[112:113], v[90:91], v[64:65]
	v_mul_f64 v[64:65], v[92:93], v[64:65]
	v_add_f64 v[2:3], v[2:3], 0
	v_add_f64 v[6:7], v[6:7], 0
	s_delay_alu instid0(VALU_DEP_4) | instskip(NEXT) | instid1(VALU_DEP_4)
	v_fma_f64 v[112:113], v[92:93], v[62:63], v[112:113]
	v_fma_f64 v[114:115], v[90:91], v[62:63], -v[64:65]
	ds_load_b128 v[62:65], v1 offset:352
	ds_load_b128 v[90:93], v1 offset:368
	v_add_f64 v[2:3], v[2:3], v[94:95]
	v_add_f64 v[6:7], v[6:7], v[96:97]
	v_fma_f64 v[96:97], v[108:109], v[66:67], v[110:111]
	v_fma_f64 v[66:67], v[106:107], v[66:67], -v[68:69]
	s_waitcnt vmcnt(8) lgkmcnt(1)
	v_mul_f64 v[94:95], v[62:63], v[72:73]
	v_mul_f64 v[72:73], v[64:65], v[72:73]
	s_waitcnt vmcnt(7) lgkmcnt(0)
	v_mul_f64 v[106:107], v[90:91], v[76:77]
	v_mul_f64 v[76:77], v[92:93], v[76:77]
	v_add_f64 v[2:3], v[2:3], v[114:115]
	v_add_f64 v[6:7], v[6:7], v[112:113]
	v_fma_f64 v[94:95], v[64:65], v[70:71], v[94:95]
	v_fma_f64 v[70:71], v[62:63], v[70:71], -v[72:73]
	v_fma_f64 v[92:93], v[92:93], v[74:75], v[106:107]
	v_fma_f64 v[74:75], v[90:91], v[74:75], -v[76:77]
	v_add_f64 v[2:3], v[2:3], v[66:67]
	v_add_f64 v[6:7], v[6:7], v[96:97]
	ds_load_b128 v[62:65], v1 offset:384
	ds_load_b128 v[66:69], v1 offset:400
	s_waitcnt vmcnt(6) lgkmcnt(1)
	v_mul_f64 v[72:73], v[62:63], v[80:81]
	v_mul_f64 v[80:81], v[64:65], v[80:81]
	s_waitcnt vmcnt(5) lgkmcnt(0)
	v_mul_f64 v[76:77], v[66:67], v[84:85]
	v_mul_f64 v[84:85], v[68:69], v[84:85]
	v_add_f64 v[2:3], v[2:3], v[70:71]
	v_add_f64 v[6:7], v[6:7], v[94:95]
	v_fma_f64 v[90:91], v[64:65], v[78:79], v[72:73]
	v_fma_f64 v[78:79], v[62:63], v[78:79], -v[80:81]
	ds_load_b128 v[62:65], v1 offset:416
	ds_load_b128 v[70:73], v1 offset:432
	v_fma_f64 v[68:69], v[68:69], v[82:83], v[76:77]
	v_fma_f64 v[66:67], v[66:67], v[82:83], -v[84:85]
	v_add_f64 v[2:3], v[2:3], v[74:75]
	v_add_f64 v[6:7], v[6:7], v[92:93]
	s_waitcnt vmcnt(4) lgkmcnt(1)
	v_mul_f64 v[74:75], v[62:63], v[88:89]
	v_mul_f64 v[80:81], v[64:65], v[88:89]
	s_delay_alu instid0(VALU_DEP_4) | instskip(NEXT) | instid1(VALU_DEP_4)
	v_add_f64 v[2:3], v[2:3], v[78:79]
	v_add_f64 v[6:7], v[6:7], v[90:91]
	s_delay_alu instid0(VALU_DEP_4) | instskip(NEXT) | instid1(VALU_DEP_4)
	v_fma_f64 v[74:75], v[64:65], v[86:87], v[74:75]
	v_fma_f64 v[78:79], v[62:63], v[86:87], -v[80:81]
	s_waitcnt vmcnt(2) lgkmcnt(0)
	v_mul_f64 v[76:77], v[70:71], v[10:11]
	v_mul_f64 v[10:11], v[72:73], v[10:11]
	v_add_f64 v[66:67], v[2:3], v[66:67]
	v_add_f64 v[6:7], v[6:7], v[68:69]
	ds_load_b128 v[62:65], v1 offset:448
	ds_load_b128 v[1:4], v1 offset:464
	v_fma_f64 v[72:73], v[72:73], v[8:9], v[76:77]
	v_fma_f64 v[8:9], v[70:71], v[8:9], -v[10:11]
	s_waitcnt vmcnt(1) lgkmcnt(1)
	v_mul_f64 v[68:69], v[62:63], v[104:105]
	v_mul_f64 v[80:81], v[64:65], v[104:105]
	v_add_f64 v[10:11], v[66:67], v[78:79]
	v_add_f64 v[6:7], v[6:7], v[74:75]
	s_waitcnt vmcnt(0) lgkmcnt(0)
	v_mul_f64 v[66:67], v[1:2], v[60:61]
	v_mul_f64 v[60:61], v[3:4], v[60:61]
	v_fma_f64 v[64:65], v[64:65], v[102:103], v[68:69]
	v_fma_f64 v[62:63], v[62:63], v[102:103], -v[80:81]
	v_add_f64 v[8:9], v[10:11], v[8:9]
	v_add_f64 v[6:7], v[6:7], v[72:73]
	v_fma_f64 v[3:4], v[3:4], v[58:59], v[66:67]
	v_fma_f64 v[1:2], v[1:2], v[58:59], -v[60:61]
	s_delay_alu instid0(VALU_DEP_4) | instskip(NEXT) | instid1(VALU_DEP_4)
	v_add_f64 v[8:9], v[8:9], v[62:63]
	v_add_f64 v[6:7], v[6:7], v[64:65]
	s_delay_alu instid0(VALU_DEP_2) | instskip(NEXT) | instid1(VALU_DEP_2)
	v_add_f64 v[1:2], v[8:9], v[1:2]
	v_add_f64 v[3:4], v[6:7], v[3:4]
	s_delay_alu instid0(VALU_DEP_2) | instskip(NEXT) | instid1(VALU_DEP_2)
	v_add_f64 v[1:2], v[98:99], -v[1:2]
	v_add_f64 v[3:4], v[100:101], -v[3:4]
	scratch_store_b128 off, v[1:4], off offset:32
	v_cmpx_lt_u32_e32 1, v43
	s_cbranch_execz .LBB78_101
; %bb.100:
	scratch_load_b128 v[1:4], v45, off
	v_mov_b32_e32 v6, 0
	s_delay_alu instid0(VALU_DEP_1)
	v_mov_b32_e32 v7, v6
	v_mov_b32_e32 v8, v6
	;; [unrolled: 1-line block ×3, first 2 shown]
	scratch_store_b128 off, v[6:9], off offset:16
	s_waitcnt vmcnt(0)
	ds_store_b128 v5, v[1:4]
.LBB78_101:
	s_or_b32 exec_lo, exec_lo, s2
	s_waitcnt lgkmcnt(0)
	s_waitcnt_vscnt null, 0x0
	s_barrier
	buffer_gl0_inv
	s_clause 0x7
	scratch_load_b128 v[6:9], off, off offset:32
	scratch_load_b128 v[58:61], off, off offset:48
	;; [unrolled: 1-line block ×8, first 2 shown]
	v_mov_b32_e32 v1, 0
	s_mov_b32 s2, exec_lo
	ds_load_b128 v[86:89], v1 offset:272
	s_clause 0x1
	scratch_load_b128 v[90:93], off, off offset:160
	scratch_load_b128 v[94:97], off, off offset:16
	ds_load_b128 v[98:101], v1 offset:288
	ds_load_b128 v[106:109], v1 offset:320
	s_waitcnt vmcnt(9) lgkmcnt(2)
	v_mul_f64 v[2:3], v[88:89], v[8:9]
	v_mul_f64 v[102:103], v[86:87], v[8:9]
	scratch_load_b128 v[8:11], off, off offset:176
	v_fma_f64 v[2:3], v[86:87], v[6:7], -v[2:3]
	v_fma_f64 v[6:7], v[88:89], v[6:7], v[102:103]
	scratch_load_b128 v[102:105], off, off offset:192
	ds_load_b128 v[86:89], v1 offset:304
	s_waitcnt vmcnt(10) lgkmcnt(2)
	v_mul_f64 v[110:111], v[98:99], v[60:61]
	v_mul_f64 v[60:61], v[100:101], v[60:61]
	s_waitcnt vmcnt(9) lgkmcnt(0)
	v_mul_f64 v[112:113], v[86:87], v[64:65]
	v_mul_f64 v[64:65], v[88:89], v[64:65]
	v_add_f64 v[2:3], v[2:3], 0
	v_add_f64 v[6:7], v[6:7], 0
	v_fma_f64 v[100:101], v[100:101], v[58:59], v[110:111]
	v_fma_f64 v[98:99], v[98:99], v[58:59], -v[60:61]
	scratch_load_b128 v[58:61], off, off offset:208
	v_fma_f64 v[112:113], v[88:89], v[62:63], v[112:113]
	v_fma_f64 v[114:115], v[86:87], v[62:63], -v[64:65]
	scratch_load_b128 v[86:89], off, off offset:224
	ds_load_b128 v[62:65], v1 offset:336
	s_waitcnt vmcnt(10)
	v_mul_f64 v[110:111], v[106:107], v[68:69]
	v_mul_f64 v[68:69], v[108:109], v[68:69]
	v_add_f64 v[6:7], v[6:7], v[100:101]
	v_add_f64 v[2:3], v[2:3], v[98:99]
	ds_load_b128 v[98:101], v1 offset:352
	s_waitcnt vmcnt(9) lgkmcnt(1)
	v_mul_f64 v[116:117], v[62:63], v[72:73]
	v_mul_f64 v[72:73], v[64:65], v[72:73]
	v_fma_f64 v[108:109], v[108:109], v[66:67], v[110:111]
	v_fma_f64 v[66:67], v[106:107], v[66:67], -v[68:69]
	s_waitcnt vmcnt(8) lgkmcnt(0)
	v_mul_f64 v[106:107], v[98:99], v[76:77]
	v_mul_f64 v[76:77], v[100:101], v[76:77]
	v_add_f64 v[6:7], v[6:7], v[112:113]
	v_add_f64 v[2:3], v[2:3], v[114:115]
	v_fma_f64 v[110:111], v[64:65], v[70:71], v[116:117]
	v_fma_f64 v[70:71], v[62:63], v[70:71], -v[72:73]
	v_fma_f64 v[100:101], v[100:101], v[74:75], v[106:107]
	v_fma_f64 v[74:75], v[98:99], v[74:75], -v[76:77]
	v_add_f64 v[6:7], v[6:7], v[108:109]
	v_add_f64 v[2:3], v[2:3], v[66:67]
	ds_load_b128 v[62:65], v1 offset:368
	ds_load_b128 v[66:69], v1 offset:384
	s_waitcnt vmcnt(7) lgkmcnt(1)
	v_mul_f64 v[72:73], v[62:63], v[80:81]
	v_mul_f64 v[80:81], v[64:65], v[80:81]
	s_waitcnt vmcnt(6) lgkmcnt(0)
	v_mul_f64 v[76:77], v[66:67], v[84:85]
	v_mul_f64 v[84:85], v[68:69], v[84:85]
	v_add_f64 v[6:7], v[6:7], v[110:111]
	v_add_f64 v[2:3], v[2:3], v[70:71]
	v_fma_f64 v[98:99], v[64:65], v[78:79], v[72:73]
	v_fma_f64 v[78:79], v[62:63], v[78:79], -v[80:81]
	ds_load_b128 v[62:65], v1 offset:400
	ds_load_b128 v[70:73], v1 offset:416
	v_fma_f64 v[68:69], v[68:69], v[82:83], v[76:77]
	v_fma_f64 v[66:67], v[66:67], v[82:83], -v[84:85]
	v_add_f64 v[6:7], v[6:7], v[100:101]
	v_add_f64 v[2:3], v[2:3], v[74:75]
	s_waitcnt vmcnt(5) lgkmcnt(1)
	v_mul_f64 v[74:75], v[62:63], v[92:93]
	v_mul_f64 v[80:81], v[64:65], v[92:93]
	s_delay_alu instid0(VALU_DEP_4) | instskip(NEXT) | instid1(VALU_DEP_4)
	v_add_f64 v[6:7], v[6:7], v[98:99]
	v_add_f64 v[2:3], v[2:3], v[78:79]
	s_delay_alu instid0(VALU_DEP_4) | instskip(NEXT) | instid1(VALU_DEP_4)
	v_fma_f64 v[74:75], v[64:65], v[90:91], v[74:75]
	v_fma_f64 v[78:79], v[62:63], v[90:91], -v[80:81]
	s_waitcnt vmcnt(3) lgkmcnt(0)
	v_mul_f64 v[76:77], v[70:71], v[10:11]
	v_mul_f64 v[10:11], v[72:73], v[10:11]
	v_add_f64 v[6:7], v[6:7], v[68:69]
	v_add_f64 v[2:3], v[2:3], v[66:67]
	ds_load_b128 v[62:65], v1 offset:432
	ds_load_b128 v[66:69], v1 offset:448
	v_fma_f64 v[72:73], v[72:73], v[8:9], v[76:77]
	v_fma_f64 v[8:9], v[70:71], v[8:9], -v[10:11]
	s_waitcnt vmcnt(2) lgkmcnt(1)
	v_mul_f64 v[80:81], v[62:63], v[104:105]
	v_mul_f64 v[82:83], v[64:65], v[104:105]
	v_add_f64 v[6:7], v[6:7], v[74:75]
	v_add_f64 v[2:3], v[2:3], v[78:79]
	s_waitcnt vmcnt(1) lgkmcnt(0)
	v_mul_f64 v[10:11], v[66:67], v[60:61]
	v_mul_f64 v[60:61], v[68:69], v[60:61]
	v_fma_f64 v[64:65], v[64:65], v[102:103], v[80:81]
	v_fma_f64 v[62:63], v[62:63], v[102:103], -v[82:83]
	v_add_f64 v[70:71], v[6:7], v[72:73]
	v_add_f64 v[2:3], v[2:3], v[8:9]
	ds_load_b128 v[6:9], v1 offset:464
	v_fma_f64 v[10:11], v[68:69], v[58:59], v[10:11]
	v_fma_f64 v[58:59], v[66:67], v[58:59], -v[60:61]
	s_waitcnt vmcnt(0) lgkmcnt(0)
	v_mul_f64 v[72:73], v[6:7], v[88:89]
	v_mul_f64 v[74:75], v[8:9], v[88:89]
	v_add_f64 v[60:61], v[70:71], v[64:65]
	v_add_f64 v[2:3], v[2:3], v[62:63]
	s_delay_alu instid0(VALU_DEP_4) | instskip(NEXT) | instid1(VALU_DEP_4)
	v_fma_f64 v[8:9], v[8:9], v[86:87], v[72:73]
	v_fma_f64 v[6:7], v[6:7], v[86:87], -v[74:75]
	s_delay_alu instid0(VALU_DEP_4) | instskip(NEXT) | instid1(VALU_DEP_4)
	v_add_f64 v[10:11], v[60:61], v[10:11]
	v_add_f64 v[2:3], v[2:3], v[58:59]
	s_delay_alu instid0(VALU_DEP_2) | instskip(NEXT) | instid1(VALU_DEP_2)
	v_add_f64 v[8:9], v[10:11], v[8:9]
	v_add_f64 v[2:3], v[2:3], v[6:7]
	s_delay_alu instid0(VALU_DEP_2) | instskip(NEXT) | instid1(VALU_DEP_2)
	v_add_f64 v[8:9], v[96:97], -v[8:9]
	v_add_f64 v[6:7], v[94:95], -v[2:3]
	scratch_store_b128 off, v[6:9], off offset:16
	v_cmpx_ne_u32_e32 0, v43
	s_cbranch_execz .LBB78_103
; %bb.102:
	scratch_load_b128 v[6:9], off, off
	v_mov_b32_e32 v2, v1
	v_mov_b32_e32 v3, v1
	;; [unrolled: 1-line block ×3, first 2 shown]
	scratch_store_b128 off, v[1:4], off
	s_waitcnt vmcnt(0)
	ds_store_b128 v5, v[6:9]
.LBB78_103:
	s_or_b32 exec_lo, exec_lo, s2
	s_waitcnt lgkmcnt(0)
	s_waitcnt_vscnt null, 0x0
	s_barrier
	buffer_gl0_inv
	s_clause 0x8
	scratch_load_b128 v[2:5], off, off offset:16
	scratch_load_b128 v[6:9], off, off offset:32
	;; [unrolled: 1-line block ×9, first 2 shown]
	ds_load_b128 v[86:89], v1 offset:256
	ds_load_b128 v[90:93], v1 offset:272
	s_clause 0x1
	scratch_load_b128 v[94:97], off, off
	scratch_load_b128 v[98:101], off, off offset:160
	s_and_b32 vcc_lo, exec_lo, s14
	s_waitcnt vmcnt(10) lgkmcnt(1)
	v_mul_f64 v[10:11], v[88:89], v[4:5]
	v_mul_f64 v[4:5], v[86:87], v[4:5]
	s_waitcnt vmcnt(9) lgkmcnt(0)
	v_mul_f64 v[102:103], v[90:91], v[8:9]
	v_mul_f64 v[104:105], v[92:93], v[8:9]
	s_delay_alu instid0(VALU_DEP_4) | instskip(NEXT) | instid1(VALU_DEP_4)
	v_fma_f64 v[106:107], v[86:87], v[2:3], -v[10:11]
	v_fma_f64 v[108:109], v[88:89], v[2:3], v[4:5]
	ds_load_b128 v[2:5], v1 offset:288
	ds_load_b128 v[86:89], v1 offset:304
	scratch_load_b128 v[8:11], off, off offset:176
	v_fma_f64 v[102:103], v[92:93], v[6:7], v[102:103]
	v_fma_f64 v[6:7], v[90:91], v[6:7], -v[104:105]
	scratch_load_b128 v[90:93], off, off offset:192
	s_waitcnt vmcnt(10) lgkmcnt(1)
	v_mul_f64 v[110:111], v[2:3], v[60:61]
	v_mul_f64 v[60:61], v[4:5], v[60:61]
	v_add_f64 v[104:105], v[106:107], 0
	v_add_f64 v[106:107], v[108:109], 0
	s_waitcnt vmcnt(9) lgkmcnt(0)
	v_mul_f64 v[108:109], v[86:87], v[64:65]
	v_mul_f64 v[64:65], v[88:89], v[64:65]
	v_fma_f64 v[110:111], v[4:5], v[58:59], v[110:111]
	v_fma_f64 v[112:113], v[2:3], v[58:59], -v[60:61]
	ds_load_b128 v[2:5], v1 offset:320
	scratch_load_b128 v[58:61], off, off offset:208
	v_add_f64 v[6:7], v[104:105], v[6:7]
	v_add_f64 v[106:107], v[106:107], v[102:103]
	ds_load_b128 v[102:105], v1 offset:336
	v_fma_f64 v[88:89], v[88:89], v[62:63], v[108:109]
	v_fma_f64 v[86:87], v[86:87], v[62:63], -v[64:65]
	scratch_load_b128 v[62:65], off, off offset:224
	s_waitcnt vmcnt(10) lgkmcnt(1)
	v_mul_f64 v[114:115], v[2:3], v[68:69]
	v_mul_f64 v[68:69], v[4:5], v[68:69]
	s_waitcnt vmcnt(9) lgkmcnt(0)
	v_mul_f64 v[108:109], v[102:103], v[72:73]
	v_mul_f64 v[72:73], v[104:105], v[72:73]
	v_add_f64 v[6:7], v[6:7], v[112:113]
	v_add_f64 v[106:107], v[106:107], v[110:111]
	v_fma_f64 v[110:111], v[4:5], v[66:67], v[114:115]
	v_fma_f64 v[112:113], v[2:3], v[66:67], -v[68:69]
	ds_load_b128 v[2:5], v1 offset:352
	ds_load_b128 v[66:69], v1 offset:368
	v_fma_f64 v[104:105], v[104:105], v[70:71], v[108:109]
	v_fma_f64 v[70:71], v[102:103], v[70:71], -v[72:73]
	v_add_f64 v[6:7], v[6:7], v[86:87]
	v_add_f64 v[86:87], v[106:107], v[88:89]
	s_waitcnt vmcnt(8) lgkmcnt(1)
	v_mul_f64 v[88:89], v[2:3], v[76:77]
	v_mul_f64 v[76:77], v[4:5], v[76:77]
	s_delay_alu instid0(VALU_DEP_4) | instskip(NEXT) | instid1(VALU_DEP_4)
	v_add_f64 v[6:7], v[6:7], v[112:113]
	v_add_f64 v[72:73], v[86:87], v[110:111]
	s_waitcnt vmcnt(7) lgkmcnt(0)
	v_mul_f64 v[86:87], v[66:67], v[80:81]
	v_mul_f64 v[80:81], v[68:69], v[80:81]
	v_fma_f64 v[88:89], v[4:5], v[74:75], v[88:89]
	v_fma_f64 v[74:75], v[2:3], v[74:75], -v[76:77]
	v_add_f64 v[6:7], v[6:7], v[70:71]
	v_add_f64 v[76:77], v[72:73], v[104:105]
	ds_load_b128 v[2:5], v1 offset:384
	ds_load_b128 v[70:73], v1 offset:400
	v_fma_f64 v[68:69], v[68:69], v[78:79], v[86:87]
	v_fma_f64 v[66:67], v[66:67], v[78:79], -v[80:81]
	s_waitcnt vmcnt(6) lgkmcnt(1)
	v_mul_f64 v[102:103], v[2:3], v[84:85]
	v_mul_f64 v[84:85], v[4:5], v[84:85]
	s_waitcnt vmcnt(4) lgkmcnt(0)
	v_mul_f64 v[78:79], v[72:73], v[100:101]
	v_add_f64 v[6:7], v[6:7], v[74:75]
	v_add_f64 v[74:75], v[76:77], v[88:89]
	v_mul_f64 v[76:77], v[70:71], v[100:101]
	v_fma_f64 v[80:81], v[4:5], v[82:83], v[102:103]
	v_fma_f64 v[82:83], v[2:3], v[82:83], -v[84:85]
	v_fma_f64 v[70:71], v[70:71], v[98:99], -v[78:79]
	v_add_f64 v[6:7], v[6:7], v[66:67]
	v_add_f64 v[74:75], v[74:75], v[68:69]
	ds_load_b128 v[2:5], v1 offset:416
	ds_load_b128 v[66:69], v1 offset:432
	v_fma_f64 v[72:73], v[72:73], v[98:99], v[76:77]
	s_waitcnt vmcnt(3) lgkmcnt(1)
	v_mul_f64 v[84:85], v[2:3], v[10:11]
	v_mul_f64 v[10:11], v[4:5], v[10:11]
	s_waitcnt vmcnt(2) lgkmcnt(0)
	v_mul_f64 v[76:77], v[66:67], v[92:93]
	v_mul_f64 v[78:79], v[68:69], v[92:93]
	v_add_f64 v[6:7], v[6:7], v[82:83]
	v_add_f64 v[74:75], v[74:75], v[80:81]
	v_fma_f64 v[80:81], v[4:5], v[8:9], v[84:85]
	v_fma_f64 v[10:11], v[2:3], v[8:9], -v[10:11]
	v_fma_f64 v[68:69], v[68:69], v[90:91], v[76:77]
	v_fma_f64 v[66:67], v[66:67], v[90:91], -v[78:79]
	v_add_f64 v[70:71], v[6:7], v[70:71]
	v_add_f64 v[72:73], v[74:75], v[72:73]
	ds_load_b128 v[2:5], v1 offset:448
	ds_load_b128 v[6:9], v1 offset:464
	s_waitcnt vmcnt(1) lgkmcnt(1)
	v_mul_f64 v[74:75], v[2:3], v[60:61]
	v_mul_f64 v[60:61], v[4:5], v[60:61]
	v_add_f64 v[10:11], v[70:71], v[10:11]
	v_add_f64 v[70:71], v[72:73], v[80:81]
	s_waitcnt vmcnt(0) lgkmcnt(0)
	v_mul_f64 v[72:73], v[6:7], v[64:65]
	v_mul_f64 v[64:65], v[8:9], v[64:65]
	v_fma_f64 v[4:5], v[4:5], v[58:59], v[74:75]
	v_fma_f64 v[1:2], v[2:3], v[58:59], -v[60:61]
	v_add_f64 v[10:11], v[10:11], v[66:67]
	v_add_f64 v[58:59], v[70:71], v[68:69]
	v_fma_f64 v[8:9], v[8:9], v[62:63], v[72:73]
	v_fma_f64 v[6:7], v[6:7], v[62:63], -v[64:65]
	s_delay_alu instid0(VALU_DEP_4) | instskip(NEXT) | instid1(VALU_DEP_4)
	v_add_f64 v[1:2], v[10:11], v[1:2]
	v_add_f64 v[3:4], v[58:59], v[4:5]
	s_delay_alu instid0(VALU_DEP_2) | instskip(NEXT) | instid1(VALU_DEP_2)
	v_add_f64 v[1:2], v[1:2], v[6:7]
	v_add_f64 v[3:4], v[3:4], v[8:9]
	s_delay_alu instid0(VALU_DEP_2) | instskip(NEXT) | instid1(VALU_DEP_2)
	v_add_f64 v[1:2], v[94:95], -v[1:2]
	v_add_f64 v[3:4], v[96:97], -v[3:4]
	scratch_store_b128 off, v[1:4], off
	s_cbranch_vccz .LBB78_133
; %bb.104:
	v_dual_mov_b32 v1, s8 :: v_dual_mov_b32 v2, s9
	s_load_b64 s[0:1], s[0:1], 0x4
	flat_load_b32 v1, v[1:2] offset:52
	v_bfe_u32 v2, v0, 10, 10
	v_bfe_u32 v0, v0, 20, 10
	s_waitcnt lgkmcnt(0)
	s_lshr_b32 s0, s0, 16
	s_delay_alu instid0(VALU_DEP_2) | instskip(SKIP_1) | instid1(SALU_CYCLE_1)
	v_mul_u32_u24_e32 v2, s1, v2
	s_mul_i32 s0, s0, s1
	v_mul_u32_u24_e32 v3, s0, v43
	s_mov_b32 s0, exec_lo
	s_delay_alu instid0(VALU_DEP_1) | instskip(NEXT) | instid1(VALU_DEP_1)
	v_add3_u32 v0, v3, v2, v0
	v_lshl_add_u32 v0, v0, 4, 0x1e8
	s_waitcnt vmcnt(0)
	v_cmpx_ne_u32_e32 14, v1
	s_cbranch_execz .LBB78_106
; %bb.105:
	v_lshl_add_u32 v9, v1, 4, 0
	s_clause 0x1
	scratch_load_b128 v[1:4], v57, off
	scratch_load_b128 v[5:8], v9, off offset:-16
	s_waitcnt vmcnt(1)
	ds_store_2addr_b64 v0, v[1:2], v[3:4] offset1:1
	s_waitcnt vmcnt(0)
	s_clause 0x1
	scratch_store_b128 v57, v[5:8], off
	scratch_store_b128 v9, v[1:4], off offset:-16
.LBB78_106:
	s_or_b32 exec_lo, exec_lo, s0
	v_dual_mov_b32 v1, s8 :: v_dual_mov_b32 v2, s9
	s_mov_b32 s0, exec_lo
	flat_load_b32 v1, v[1:2] offset:48
	s_waitcnt vmcnt(0) lgkmcnt(0)
	v_cmpx_ne_u32_e32 13, v1
	s_cbranch_execz .LBB78_108
; %bb.107:
	v_lshl_add_u32 v9, v1, 4, 0
	s_clause 0x1
	scratch_load_b128 v[1:4], v56, off
	scratch_load_b128 v[5:8], v9, off offset:-16
	s_waitcnt vmcnt(1)
	ds_store_2addr_b64 v0, v[1:2], v[3:4] offset1:1
	s_waitcnt vmcnt(0)
	s_clause 0x1
	scratch_store_b128 v56, v[5:8], off
	scratch_store_b128 v9, v[1:4], off offset:-16
.LBB78_108:
	s_or_b32 exec_lo, exec_lo, s0
	v_dual_mov_b32 v1, s8 :: v_dual_mov_b32 v2, s9
	s_mov_b32 s0, exec_lo
	flat_load_b32 v1, v[1:2] offset:44
	s_waitcnt vmcnt(0) lgkmcnt(0)
	;; [unrolled: 19-line block ×12, first 2 shown]
	v_cmpx_ne_u32_e32 2, v1
	s_cbranch_execz .LBB78_130
; %bb.129:
	v_lshl_add_u32 v9, v1, 4, 0
	s_clause 0x1
	scratch_load_b128 v[1:4], v45, off
	scratch_load_b128 v[5:8], v9, off offset:-16
	s_waitcnt vmcnt(1)
	ds_store_2addr_b64 v0, v[1:2], v[3:4] offset1:1
	s_waitcnt vmcnt(0)
	s_clause 0x1
	scratch_store_b128 v45, v[5:8], off
	scratch_store_b128 v9, v[1:4], off offset:-16
.LBB78_130:
	s_or_b32 exec_lo, exec_lo, s0
	v_dual_mov_b32 v1, s8 :: v_dual_mov_b32 v2, s9
	s_mov_b32 s0, exec_lo
	flat_load_b32 v1, v[1:2]
	s_waitcnt vmcnt(0) lgkmcnt(0)
	v_cmpx_ne_u32_e32 1, v1
	s_cbranch_execz .LBB78_132
; %bb.131:
	v_lshl_add_u32 v9, v1, 4, 0
	scratch_load_b128 v[1:4], off, off
	scratch_load_b128 v[5:8], v9, off offset:-16
	s_waitcnt vmcnt(1)
	ds_store_2addr_b64 v0, v[1:2], v[3:4] offset1:1
	s_waitcnt vmcnt(0)
	scratch_store_b128 off, v[5:8], off
	scratch_store_b128 v9, v[1:4], off offset:-16
.LBB78_132:
	s_or_b32 exec_lo, exec_lo, s0
.LBB78_133:
	scratch_load_b128 v[0:3], off, off
	s_clause 0xd
	scratch_load_b128 v[4:7], v45, off
	scratch_load_b128 v[8:11], v47, off
	scratch_load_b128 v[58:61], v44, off
	scratch_load_b128 v[62:65], v48, off
	scratch_load_b128 v[43:46], v46, off
	scratch_load_b128 v[66:69], v50, off
	scratch_load_b128 v[47:50], v49, off
	scratch_load_b128 v[70:73], v52, off
	scratch_load_b128 v[74:77], v51, off
	scratch_load_b128 v[78:81], v54, off
	scratch_load_b128 v[51:54], v53, off
	scratch_load_b128 v[82:85], v56, off
	scratch_load_b128 v[86:89], v57, off
	scratch_load_b128 v[90:93], v55, off
	s_waitcnt vmcnt(14)
	global_store_b128 v[13:14], v[0:3], off
	s_waitcnt vmcnt(13)
	global_store_b128 v[15:16], v[4:7], off
	s_waitcnt vmcnt(12)
	global_store_b128 v[17:18], v[8:11], off
	s_waitcnt vmcnt(11)
	global_store_b128 v[19:20], v[58:61], off
	s_waitcnt vmcnt(10)
	global_store_b128 v[21:22], v[62:65], off
	s_waitcnt vmcnt(9)
	global_store_b128 v[23:24], v[43:46], off
	s_waitcnt vmcnt(8)
	global_store_b128 v[25:26], v[66:69], off
	s_waitcnt vmcnt(7)
	global_store_b128 v[27:28], v[47:50], off
	s_waitcnt vmcnt(6)
	global_store_b128 v[29:30], v[70:73], off
	s_waitcnt vmcnt(5)
	global_store_b128 v[31:32], v[74:77], off
	s_waitcnt vmcnt(4)
	global_store_b128 v[33:34], v[78:81], off
	s_waitcnt vmcnt(3)
	global_store_b128 v[35:36], v[51:54], off
	s_waitcnt vmcnt(2)
	global_store_b128 v[37:38], v[82:85], off
	s_waitcnt vmcnt(1)
	global_store_b128 v[39:40], v[86:89], off
	s_waitcnt vmcnt(0)
	global_store_b128 v[41:42], v[90:93], off
	s_endpgm
	.section	.rodata,"a",@progbits
	.p2align	6, 0x0
	.amdhsa_kernel _ZN9rocsolver6v33100L18getri_kernel_smallILi15E19rocblas_complex_numIdEPKPS3_EEvT1_iilPiilS8_bb
		.amdhsa_group_segment_fixed_size 1512
		.amdhsa_private_segment_fixed_size 256
		.amdhsa_kernarg_size 60
		.amdhsa_user_sgpr_count 15
		.amdhsa_user_sgpr_dispatch_ptr 1
		.amdhsa_user_sgpr_queue_ptr 0
		.amdhsa_user_sgpr_kernarg_segment_ptr 1
		.amdhsa_user_sgpr_dispatch_id 0
		.amdhsa_user_sgpr_private_segment_size 0
		.amdhsa_wavefront_size32 1
		.amdhsa_uses_dynamic_stack 0
		.amdhsa_enable_private_segment 1
		.amdhsa_system_sgpr_workgroup_id_x 1
		.amdhsa_system_sgpr_workgroup_id_y 0
		.amdhsa_system_sgpr_workgroup_id_z 0
		.amdhsa_system_sgpr_workgroup_info 0
		.amdhsa_system_vgpr_workitem_id 2
		.amdhsa_next_free_vgpr 118
		.amdhsa_next_free_sgpr 19
		.amdhsa_reserve_vcc 1
		.amdhsa_float_round_mode_32 0
		.amdhsa_float_round_mode_16_64 0
		.amdhsa_float_denorm_mode_32 3
		.amdhsa_float_denorm_mode_16_64 3
		.amdhsa_dx10_clamp 1
		.amdhsa_ieee_mode 1
		.amdhsa_fp16_overflow 0
		.amdhsa_workgroup_processor_mode 1
		.amdhsa_memory_ordered 1
		.amdhsa_forward_progress 0
		.amdhsa_shared_vgpr_count 0
		.amdhsa_exception_fp_ieee_invalid_op 0
		.amdhsa_exception_fp_denorm_src 0
		.amdhsa_exception_fp_ieee_div_zero 0
		.amdhsa_exception_fp_ieee_overflow 0
		.amdhsa_exception_fp_ieee_underflow 0
		.amdhsa_exception_fp_ieee_inexact 0
		.amdhsa_exception_int_div_zero 0
	.end_amdhsa_kernel
	.section	.text._ZN9rocsolver6v33100L18getri_kernel_smallILi15E19rocblas_complex_numIdEPKPS3_EEvT1_iilPiilS8_bb,"axG",@progbits,_ZN9rocsolver6v33100L18getri_kernel_smallILi15E19rocblas_complex_numIdEPKPS3_EEvT1_iilPiilS8_bb,comdat
.Lfunc_end78:
	.size	_ZN9rocsolver6v33100L18getri_kernel_smallILi15E19rocblas_complex_numIdEPKPS3_EEvT1_iilPiilS8_bb, .Lfunc_end78-_ZN9rocsolver6v33100L18getri_kernel_smallILi15E19rocblas_complex_numIdEPKPS3_EEvT1_iilPiilS8_bb
                                        ; -- End function
	.section	.AMDGPU.csdata,"",@progbits
; Kernel info:
; codeLenInByte = 16856
; NumSgprs: 21
; NumVgprs: 118
; ScratchSize: 256
; MemoryBound: 0
; FloatMode: 240
; IeeeMode: 1
; LDSByteSize: 1512 bytes/workgroup (compile time only)
; SGPRBlocks: 2
; VGPRBlocks: 14
; NumSGPRsForWavesPerEU: 21
; NumVGPRsForWavesPerEU: 118
; Occupancy: 12
; WaveLimiterHint : 1
; COMPUTE_PGM_RSRC2:SCRATCH_EN: 1
; COMPUTE_PGM_RSRC2:USER_SGPR: 15
; COMPUTE_PGM_RSRC2:TRAP_HANDLER: 0
; COMPUTE_PGM_RSRC2:TGID_X_EN: 1
; COMPUTE_PGM_RSRC2:TGID_Y_EN: 0
; COMPUTE_PGM_RSRC2:TGID_Z_EN: 0
; COMPUTE_PGM_RSRC2:TIDIG_COMP_CNT: 2
	.section	.text._ZN9rocsolver6v33100L18getri_kernel_smallILi16E19rocblas_complex_numIdEPKPS3_EEvT1_iilPiilS8_bb,"axG",@progbits,_ZN9rocsolver6v33100L18getri_kernel_smallILi16E19rocblas_complex_numIdEPKPS3_EEvT1_iilPiilS8_bb,comdat
	.globl	_ZN9rocsolver6v33100L18getri_kernel_smallILi16E19rocblas_complex_numIdEPKPS3_EEvT1_iilPiilS8_bb ; -- Begin function _ZN9rocsolver6v33100L18getri_kernel_smallILi16E19rocblas_complex_numIdEPKPS3_EEvT1_iilPiilS8_bb
	.p2align	8
	.type	_ZN9rocsolver6v33100L18getri_kernel_smallILi16E19rocblas_complex_numIdEPKPS3_EEvT1_iilPiilS8_bb,@function
_ZN9rocsolver6v33100L18getri_kernel_smallILi16E19rocblas_complex_numIdEPKPS3_EEvT1_iilPiilS8_bb: ; @_ZN9rocsolver6v33100L18getri_kernel_smallILi16E19rocblas_complex_numIdEPKPS3_EEvT1_iilPiilS8_bb
; %bb.0:
	v_and_b32_e32 v45, 0x3ff, v0
	s_mov_b32 s4, exec_lo
	s_delay_alu instid0(VALU_DEP_1)
	v_cmpx_gt_u32_e32 16, v45
	s_cbranch_execz .LBB79_78
; %bb.1:
	s_mov_b32 s10, s15
	s_clause 0x2
	s_load_b32 s15, s[2:3], 0x38
	s_load_b64 s[8:9], s[2:3], 0x0
	s_load_b128 s[4:7], s[2:3], 0x28
	s_waitcnt lgkmcnt(0)
	s_bitcmp1_b32 s15, 8
	s_cselect_b32 s14, -1, 0
	s_ashr_i32 s11, s10, 31
	s_delay_alu instid0(SALU_CYCLE_1) | instskip(NEXT) | instid1(SALU_CYCLE_1)
	s_lshl_b64 s[12:13], s[10:11], 3
	s_add_u32 s8, s8, s12
	s_addc_u32 s9, s9, s13
	s_load_b64 s[12:13], s[8:9], 0x0
	s_bfe_u32 s8, s15, 0x10008
	s_delay_alu instid0(SALU_CYCLE_1)
	s_cmp_eq_u32 s8, 0
                                        ; implicit-def: $sgpr8_sgpr9
	s_cbranch_scc1 .LBB79_3
; %bb.2:
	s_clause 0x1
	s_load_b32 s8, s[2:3], 0x20
	s_load_b64 s[16:17], s[2:3], 0x18
	s_mul_i32 s5, s10, s5
	s_mul_hi_u32 s9, s10, s4
	s_mul_i32 s18, s11, s4
	s_add_i32 s5, s9, s5
	s_mul_i32 s4, s10, s4
	s_add_i32 s5, s5, s18
	s_delay_alu instid0(SALU_CYCLE_1)
	s_lshl_b64 s[4:5], s[4:5], 2
	s_waitcnt lgkmcnt(0)
	s_ashr_i32 s9, s8, 31
	s_add_u32 s16, s16, s4
	s_addc_u32 s17, s17, s5
	s_lshl_b64 s[4:5], s[8:9], 2
	s_delay_alu instid0(SALU_CYCLE_1)
	s_add_u32 s8, s16, s4
	s_addc_u32 s9, s17, s5
.LBB79_3:
	s_load_b64 s[2:3], s[2:3], 0x8
	v_lshlrev_b32_e32 v61, 4, v45
	v_add_nc_u32_e64 v49, 0, 16
	s_waitcnt lgkmcnt(0)
	v_add3_u32 v5, s3, s3, v45
	s_ashr_i32 s5, s2, 31
	s_mov_b32 s4, s2
	s_mov_b32 s16, s3
	s_lshl_b64 s[4:5], s[4:5], 4
	v_add_nc_u32_e32 v7, s3, v5
	v_ashrrev_i32_e32 v6, 31, v5
	s_add_u32 s4, s12, s4
	s_addc_u32 s5, s13, s5
	v_add_co_u32 v13, s2, s4, v61
	v_add_nc_u32_e32 v9, s3, v7
	v_ashrrev_i32_e32 v8, 31, v7
	s_ashr_i32 s17, s3, 31
	v_add_co_ci_u32_e64 v14, null, s5, 0, s2
	s_delay_alu instid0(VALU_DEP_3)
	v_add_nc_u32_e32 v21, s3, v9
	v_lshlrev_b64 v[5:6], 4, v[5:6]
	s_lshl_b64 s[12:13], s[16:17], 4
	v_ashrrev_i32_e32 v10, 31, v9
	v_add_co_u32 v15, vcc_lo, v13, s12
	v_add_nc_u32_e32 v25, s3, v21
	v_lshlrev_b64 v[19:20], 4, v[7:8]
	v_ashrrev_i32_e32 v22, 31, v21
	v_add_co_ci_u32_e32 v16, vcc_lo, s13, v14, vcc_lo
	v_add_co_u32 v17, vcc_lo, s4, v5
	v_lshlrev_b64 v[23:24], 4, v[9:10]
	v_add_nc_u32_e32 v29, s3, v25
	v_add_co_ci_u32_e32 v18, vcc_lo, s5, v6, vcc_lo
	v_add_co_u32 v19, vcc_lo, s4, v19
	v_lshlrev_b64 v[27:28], 4, v[21:22]
	v_add_co_ci_u32_e32 v20, vcc_lo, s5, v20, vcc_lo
	v_add_co_u32 v21, vcc_lo, s4, v23
	v_ashrrev_i32_e32 v30, 31, v29
	v_add_nc_u32_e32 v31, s3, v29
	v_add_co_ci_u32_e32 v22, vcc_lo, s5, v24, vcc_lo
	v_add_co_u32 v23, vcc_lo, s4, v27
	v_add_co_ci_u32_e32 v24, vcc_lo, s5, v28, vcc_lo
	v_lshlrev_b64 v[27:28], 4, v[29:30]
	v_add_nc_u32_e32 v29, s3, v31
	v_ashrrev_i32_e32 v26, 31, v25
	v_ashrrev_i32_e32 v32, 31, v31
	s_clause 0x2
	global_load_b128 v[1:4], v61, s[4:5]
	global_load_b128 v[5:8], v[15:16], off
	global_load_b128 v[9:12], v[17:18], off
	v_add_nc_u32_e32 v33, s3, v29
	v_lshlrev_b64 v[25:26], 4, v[25:26]
	v_ashrrev_i32_e32 v30, 31, v29
	v_lshlrev_b64 v[31:32], 4, v[31:32]
	s_clause 0x1
	global_load_b128 v[50:53], v[19:20], off
	global_load_b128 v[54:57], v[21:22], off
	v_add_nc_u32_e32 v37, s3, v33
	v_ashrrev_i32_e32 v34, 31, v33
	v_add_co_u32 v25, vcc_lo, s4, v25
	v_add_co_ci_u32_e32 v26, vcc_lo, s5, v26, vcc_lo
	s_delay_alu instid0(VALU_DEP_4) | instskip(SKIP_3) | instid1(VALU_DEP_4)
	v_add_nc_u32_e32 v39, s3, v37
	v_add_co_u32 v27, vcc_lo, s4, v27
	v_lshlrev_b64 v[35:36], 4, v[29:30]
	v_add_co_ci_u32_e32 v28, vcc_lo, s5, v28, vcc_lo
	v_add_nc_u32_e32 v41, s3, v39
	v_add_co_u32 v29, vcc_lo, s4, v31
	v_ashrrev_i32_e32 v38, 31, v37
	v_add_co_ci_u32_e32 v30, vcc_lo, s5, v32, vcc_lo
	v_lshlrev_b64 v[33:34], 4, v[33:34]
	v_add_nc_u32_e32 v43, s3, v41
	v_add_co_u32 v31, vcc_lo, s4, v35
	v_ashrrev_i32_e32 v40, 31, v39
	v_add_co_ci_u32_e32 v32, vcc_lo, s5, v36, vcc_lo
	v_lshlrev_b64 v[35:36], 4, v[37:38]
	v_ashrrev_i32_e32 v42, 31, v41
	v_add_nc_u32_e32 v46, s3, v43
	v_add_co_u32 v33, vcc_lo, s4, v33
	v_lshlrev_b64 v[37:38], 4, v[39:40]
	v_ashrrev_i32_e32 v44, 31, v43
	v_add_co_ci_u32_e32 v34, vcc_lo, s5, v34, vcc_lo
	v_add_co_u32 v35, vcc_lo, s4, v35
	v_lshlrev_b64 v[39:40], 4, v[41:42]
	v_ashrrev_i32_e32 v47, 31, v46
	v_add_co_ci_u32_e32 v36, vcc_lo, s5, v36, vcc_lo
	v_add_co_u32 v37, vcc_lo, s4, v37
	v_lshlrev_b64 v[41:42], 4, v[43:44]
	v_add_co_ci_u32_e32 v38, vcc_lo, s5, v38, vcc_lo
	v_add_co_u32 v39, vcc_lo, s4, v39
	v_lshlrev_b64 v[43:44], 4, v[46:47]
	s_clause 0x1
	global_load_b128 v[62:65], v[23:24], off
	global_load_b128 v[66:69], v[25:26], off
	v_add_co_ci_u32_e32 v40, vcc_lo, s5, v40, vcc_lo
	v_add_co_u32 v41, vcc_lo, s4, v41
	v_add_co_ci_u32_e32 v42, vcc_lo, s5, v42, vcc_lo
	v_add_co_u32 v43, vcc_lo, s4, v43
	v_add_co_ci_u32_e32 v44, vcc_lo, s5, v44, vcc_lo
	s_clause 0x8
	global_load_b128 v[70:73], v[27:28], off
	global_load_b128 v[74:77], v[29:30], off
	;; [unrolled: 1-line block ×9, first 2 shown]
	s_movk_i32 s2, 0x50
	s_movk_i32 s3, 0x70
	v_add_nc_u32_e64 v48, s2, 0
	s_movk_i32 s2, 0x60
	v_add_nc_u32_e64 v47, 0, 32
	v_add_nc_u32_e64 v46, 0, 48
	s_bitcmp0_b32 s15, 0
	s_waitcnt vmcnt(15)
	scratch_store_b128 off, v[1:4], off
	s_waitcnt vmcnt(14)
	scratch_store_b128 off, v[5:8], off offset:16
	s_waitcnt vmcnt(13)
	scratch_store_b128 off, v[9:12], off offset:32
	;; [unrolled: 2-line block ×3, first 2 shown]
	v_add_nc_u32_e64 v52, s2, 0
	v_add_nc_u32_e64 v51, s3, 0
	s_movk_i32 s2, 0x80
	s_movk_i32 s3, 0x90
	s_waitcnt vmcnt(11)
	scratch_store_b128 off, v[54:57], off offset:64
	s_waitcnt vmcnt(10)
	scratch_store_b128 off, v[62:65], off offset:80
	v_add_nc_u32_e64 v54, s2, 0
	v_add_nc_u32_e64 v53, s3, 0
	s_movk_i32 s2, 0xa0
	s_movk_i32 s3, 0xb0
	v_add_nc_u32_e64 v56, s2, 0
	v_add_nc_u32_e64 v55, s3, 0
	s_movk_i32 s2, 0xc0
	s_movk_i32 s3, 0xd0
	;; [unrolled: 4-line block ×3, first 2 shown]
	v_add_nc_u32_e64 v50, 0, 64
	v_add_nc_u32_e64 v60, s2, 0
	;; [unrolled: 1-line block ×3, first 2 shown]
	s_mov_b32 s3, -1
	s_waitcnt vmcnt(9)
	scratch_store_b128 off, v[66:69], off offset:96
	s_waitcnt vmcnt(8)
	scratch_store_b128 off, v[70:73], off offset:112
	;; [unrolled: 2-line block ×10, first 2 shown]
	s_cbranch_scc1 .LBB79_76
; %bb.4:
	v_cmp_eq_u32_e64 s2, 0, v45
	s_delay_alu instid0(VALU_DEP_1)
	s_and_saveexec_b32 s3, s2
	s_cbranch_execz .LBB79_6
; %bb.5:
	v_mov_b32_e32 v1, 0
	ds_store_b32 v1, v1 offset:512
.LBB79_6:
	s_or_b32 exec_lo, exec_lo, s3
	s_waitcnt lgkmcnt(0)
	s_waitcnt_vscnt null, 0x0
	s_barrier
	buffer_gl0_inv
	scratch_load_b128 v[1:4], v61, off
	s_waitcnt vmcnt(0)
	v_cmp_eq_f64_e32 vcc_lo, 0, v[1:2]
	v_cmp_eq_f64_e64 s3, 0, v[3:4]
	s_delay_alu instid0(VALU_DEP_1) | instskip(NEXT) | instid1(SALU_CYCLE_1)
	s_and_b32 s3, vcc_lo, s3
	s_and_saveexec_b32 s4, s3
	s_cbranch_execz .LBB79_10
; %bb.7:
	v_mov_b32_e32 v1, 0
	s_mov_b32 s5, 0
	ds_load_b32 v2, v1 offset:512
	s_waitcnt lgkmcnt(0)
	v_readfirstlane_b32 s3, v2
	v_add_nc_u32_e32 v2, 1, v45
	s_delay_alu instid0(VALU_DEP_2) | instskip(NEXT) | instid1(VALU_DEP_1)
	s_cmp_eq_u32 s3, 0
	v_cmp_gt_i32_e32 vcc_lo, s3, v2
	s_cselect_b32 s12, -1, 0
	s_delay_alu instid0(SALU_CYCLE_1) | instskip(NEXT) | instid1(SALU_CYCLE_1)
	s_or_b32 s12, s12, vcc_lo
	s_and_b32 exec_lo, exec_lo, s12
	s_cbranch_execz .LBB79_10
; %bb.8:
	v_mov_b32_e32 v3, s3
.LBB79_9:                               ; =>This Inner Loop Header: Depth=1
	ds_cmpstore_rtn_b32 v3, v1, v2, v3 offset:512
	s_waitcnt lgkmcnt(0)
	v_cmp_ne_u32_e32 vcc_lo, 0, v3
	v_cmp_le_i32_e64 s3, v3, v2
	s_delay_alu instid0(VALU_DEP_1) | instskip(NEXT) | instid1(SALU_CYCLE_1)
	s_and_b32 s3, vcc_lo, s3
	s_and_b32 s3, exec_lo, s3
	s_delay_alu instid0(SALU_CYCLE_1) | instskip(NEXT) | instid1(SALU_CYCLE_1)
	s_or_b32 s5, s3, s5
	s_and_not1_b32 exec_lo, exec_lo, s5
	s_cbranch_execnz .LBB79_9
.LBB79_10:
	s_or_b32 exec_lo, exec_lo, s4
	v_mov_b32_e32 v1, 0
	s_barrier
	buffer_gl0_inv
	ds_load_b32 v2, v1 offset:512
	s_and_saveexec_b32 s3, s2
	s_cbranch_execz .LBB79_12
; %bb.11:
	s_lshl_b64 s[4:5], s[10:11], 2
	s_delay_alu instid0(SALU_CYCLE_1)
	s_add_u32 s4, s6, s4
	s_addc_u32 s5, s7, s5
	s_waitcnt lgkmcnt(0)
	global_store_b32 v1, v2, s[4:5]
.LBB79_12:
	s_or_b32 exec_lo, exec_lo, s3
	s_waitcnt lgkmcnt(0)
	v_cmp_ne_u32_e32 vcc_lo, 0, v2
	s_mov_b32 s3, 0
	s_cbranch_vccnz .LBB79_76
; %bb.13:
	v_add_nc_u32_e32 v62, 0, v61
                                        ; implicit-def: $vgpr9_vgpr10
	scratch_load_b128 v[1:4], v62, off
	s_waitcnt vmcnt(0)
	v_mov_b32_e32 v5, v1
	v_cmp_gt_f64_e32 vcc_lo, 0, v[1:2]
	v_xor_b32_e32 v6, 0x80000000, v2
	v_xor_b32_e32 v7, 0x80000000, v4
	s_delay_alu instid0(VALU_DEP_2) | instskip(SKIP_1) | instid1(VALU_DEP_3)
	v_cndmask_b32_e32 v6, v2, v6, vcc_lo
	v_cmp_gt_f64_e32 vcc_lo, 0, v[3:4]
	v_dual_cndmask_b32 v8, v4, v7 :: v_dual_mov_b32 v7, v3
	s_delay_alu instid0(VALU_DEP_1) | instskip(SKIP_1) | instid1(SALU_CYCLE_1)
	v_cmp_ngt_f64_e32 vcc_lo, v[5:6], v[7:8]
                                        ; implicit-def: $vgpr5_vgpr6
	s_and_saveexec_b32 s3, vcc_lo
	s_xor_b32 s3, exec_lo, s3
	s_cbranch_execz .LBB79_15
; %bb.14:
	v_div_scale_f64 v[5:6], null, v[3:4], v[3:4], v[1:2]
	v_div_scale_f64 v[11:12], vcc_lo, v[1:2], v[3:4], v[1:2]
	s_delay_alu instid0(VALU_DEP_2) | instskip(SKIP_2) | instid1(VALU_DEP_1)
	v_rcp_f64_e32 v[7:8], v[5:6]
	s_waitcnt_depctr 0xfff
	v_fma_f64 v[9:10], -v[5:6], v[7:8], 1.0
	v_fma_f64 v[7:8], v[7:8], v[9:10], v[7:8]
	s_delay_alu instid0(VALU_DEP_1) | instskip(NEXT) | instid1(VALU_DEP_1)
	v_fma_f64 v[9:10], -v[5:6], v[7:8], 1.0
	v_fma_f64 v[7:8], v[7:8], v[9:10], v[7:8]
	s_delay_alu instid0(VALU_DEP_1) | instskip(NEXT) | instid1(VALU_DEP_1)
	v_mul_f64 v[9:10], v[11:12], v[7:8]
	v_fma_f64 v[5:6], -v[5:6], v[9:10], v[11:12]
	s_delay_alu instid0(VALU_DEP_1) | instskip(NEXT) | instid1(VALU_DEP_1)
	v_div_fmas_f64 v[5:6], v[5:6], v[7:8], v[9:10]
	v_div_fixup_f64 v[5:6], v[5:6], v[3:4], v[1:2]
	s_delay_alu instid0(VALU_DEP_1) | instskip(NEXT) | instid1(VALU_DEP_1)
	v_fma_f64 v[1:2], v[1:2], v[5:6], v[3:4]
	v_div_scale_f64 v[3:4], null, v[1:2], v[1:2], 1.0
	v_div_scale_f64 v[11:12], vcc_lo, 1.0, v[1:2], 1.0
	s_delay_alu instid0(VALU_DEP_2) | instskip(SKIP_2) | instid1(VALU_DEP_1)
	v_rcp_f64_e32 v[7:8], v[3:4]
	s_waitcnt_depctr 0xfff
	v_fma_f64 v[9:10], -v[3:4], v[7:8], 1.0
	v_fma_f64 v[7:8], v[7:8], v[9:10], v[7:8]
	s_delay_alu instid0(VALU_DEP_1) | instskip(NEXT) | instid1(VALU_DEP_1)
	v_fma_f64 v[9:10], -v[3:4], v[7:8], 1.0
	v_fma_f64 v[7:8], v[7:8], v[9:10], v[7:8]
	s_delay_alu instid0(VALU_DEP_1) | instskip(NEXT) | instid1(VALU_DEP_1)
	v_mul_f64 v[9:10], v[11:12], v[7:8]
	v_fma_f64 v[3:4], -v[3:4], v[9:10], v[11:12]
	s_delay_alu instid0(VALU_DEP_1) | instskip(NEXT) | instid1(VALU_DEP_1)
	v_div_fmas_f64 v[3:4], v[3:4], v[7:8], v[9:10]
	v_div_fixup_f64 v[7:8], v[3:4], v[1:2], 1.0
                                        ; implicit-def: $vgpr1_vgpr2
	s_delay_alu instid0(VALU_DEP_1) | instskip(SKIP_1) | instid1(VALU_DEP_2)
	v_mul_f64 v[5:6], v[5:6], v[7:8]
	v_xor_b32_e32 v8, 0x80000000, v8
	v_xor_b32_e32 v10, 0x80000000, v6
	s_delay_alu instid0(VALU_DEP_3)
	v_mov_b32_e32 v9, v5
.LBB79_15:
	s_and_not1_saveexec_b32 s3, s3
	s_cbranch_execz .LBB79_17
; %bb.16:
	v_div_scale_f64 v[5:6], null, v[1:2], v[1:2], v[3:4]
	v_div_scale_f64 v[11:12], vcc_lo, v[3:4], v[1:2], v[3:4]
	s_delay_alu instid0(VALU_DEP_2) | instskip(SKIP_2) | instid1(VALU_DEP_1)
	v_rcp_f64_e32 v[7:8], v[5:6]
	s_waitcnt_depctr 0xfff
	v_fma_f64 v[9:10], -v[5:6], v[7:8], 1.0
	v_fma_f64 v[7:8], v[7:8], v[9:10], v[7:8]
	s_delay_alu instid0(VALU_DEP_1) | instskip(NEXT) | instid1(VALU_DEP_1)
	v_fma_f64 v[9:10], -v[5:6], v[7:8], 1.0
	v_fma_f64 v[7:8], v[7:8], v[9:10], v[7:8]
	s_delay_alu instid0(VALU_DEP_1) | instskip(NEXT) | instid1(VALU_DEP_1)
	v_mul_f64 v[9:10], v[11:12], v[7:8]
	v_fma_f64 v[5:6], -v[5:6], v[9:10], v[11:12]
	s_delay_alu instid0(VALU_DEP_1) | instskip(NEXT) | instid1(VALU_DEP_1)
	v_div_fmas_f64 v[5:6], v[5:6], v[7:8], v[9:10]
	v_div_fixup_f64 v[7:8], v[5:6], v[1:2], v[3:4]
	s_delay_alu instid0(VALU_DEP_1) | instskip(NEXT) | instid1(VALU_DEP_1)
	v_fma_f64 v[1:2], v[3:4], v[7:8], v[1:2]
	v_div_scale_f64 v[3:4], null, v[1:2], v[1:2], 1.0
	s_delay_alu instid0(VALU_DEP_1) | instskip(SKIP_2) | instid1(VALU_DEP_1)
	v_rcp_f64_e32 v[5:6], v[3:4]
	s_waitcnt_depctr 0xfff
	v_fma_f64 v[9:10], -v[3:4], v[5:6], 1.0
	v_fma_f64 v[5:6], v[5:6], v[9:10], v[5:6]
	s_delay_alu instid0(VALU_DEP_1) | instskip(NEXT) | instid1(VALU_DEP_1)
	v_fma_f64 v[9:10], -v[3:4], v[5:6], 1.0
	v_fma_f64 v[5:6], v[5:6], v[9:10], v[5:6]
	v_div_scale_f64 v[9:10], vcc_lo, 1.0, v[1:2], 1.0
	s_delay_alu instid0(VALU_DEP_1) | instskip(NEXT) | instid1(VALU_DEP_1)
	v_mul_f64 v[11:12], v[9:10], v[5:6]
	v_fma_f64 v[3:4], -v[3:4], v[11:12], v[9:10]
	s_delay_alu instid0(VALU_DEP_1) | instskip(NEXT) | instid1(VALU_DEP_1)
	v_div_fmas_f64 v[3:4], v[3:4], v[5:6], v[11:12]
	v_div_fixup_f64 v[5:6], v[3:4], v[1:2], 1.0
	s_delay_alu instid0(VALU_DEP_1)
	v_mul_f64 v[7:8], v[7:8], -v[5:6]
	v_xor_b32_e32 v10, 0x80000000, v6
	v_mov_b32_e32 v9, v5
.LBB79_17:
	s_or_b32 exec_lo, exec_lo, s3
	scratch_store_b128 v62, v[5:8], off
	scratch_load_b128 v[1:4], v49, off
	v_xor_b32_e32 v12, 0x80000000, v8
	v_mov_b32_e32 v11, v7
	v_add_nc_u32_e32 v5, 0x100, v61
	ds_store_b128 v61, v[9:12]
	s_waitcnt vmcnt(0)
	ds_store_b128 v61, v[1:4] offset:256
	s_waitcnt lgkmcnt(0)
	s_waitcnt_vscnt null, 0x0
	s_barrier
	buffer_gl0_inv
	s_and_saveexec_b32 s3, s2
	s_cbranch_execz .LBB79_19
; %bb.18:
	scratch_load_b128 v[1:4], v62, off
	ds_load_b128 v[6:9], v5
	v_mov_b32_e32 v10, 0
	ds_load_b128 v[63:66], v10 offset:16
	s_waitcnt vmcnt(0) lgkmcnt(1)
	v_mul_f64 v[10:11], v[6:7], v[3:4]
	v_mul_f64 v[3:4], v[8:9], v[3:4]
	s_delay_alu instid0(VALU_DEP_2) | instskip(NEXT) | instid1(VALU_DEP_2)
	v_fma_f64 v[8:9], v[8:9], v[1:2], v[10:11]
	v_fma_f64 v[1:2], v[6:7], v[1:2], -v[3:4]
	s_delay_alu instid0(VALU_DEP_2) | instskip(NEXT) | instid1(VALU_DEP_2)
	v_add_f64 v[3:4], v[8:9], 0
	v_add_f64 v[1:2], v[1:2], 0
	s_waitcnt lgkmcnt(0)
	s_delay_alu instid0(VALU_DEP_2) | instskip(NEXT) | instid1(VALU_DEP_2)
	v_mul_f64 v[6:7], v[3:4], v[65:66]
	v_mul_f64 v[8:9], v[1:2], v[65:66]
	s_delay_alu instid0(VALU_DEP_2) | instskip(NEXT) | instid1(VALU_DEP_2)
	v_fma_f64 v[1:2], v[1:2], v[63:64], -v[6:7]
	v_fma_f64 v[3:4], v[3:4], v[63:64], v[8:9]
	scratch_store_b128 off, v[1:4], off offset:16
.LBB79_19:
	s_or_b32 exec_lo, exec_lo, s3
	s_waitcnt_vscnt null, 0x0
	s_barrier
	buffer_gl0_inv
	scratch_load_b128 v[1:4], v47, off
	s_mov_b32 s3, exec_lo
	s_waitcnt vmcnt(0)
	ds_store_b128 v5, v[1:4]
	s_waitcnt lgkmcnt(0)
	s_barrier
	buffer_gl0_inv
	v_cmpx_gt_u32_e32 2, v45
	s_cbranch_execz .LBB79_23
; %bb.20:
	scratch_load_b128 v[1:4], v62, off
	ds_load_b128 v[6:9], v5
	s_waitcnt vmcnt(0) lgkmcnt(0)
	v_mul_f64 v[10:11], v[8:9], v[3:4]
	v_mul_f64 v[3:4], v[6:7], v[3:4]
	s_delay_alu instid0(VALU_DEP_2) | instskip(NEXT) | instid1(VALU_DEP_2)
	v_fma_f64 v[6:7], v[6:7], v[1:2], -v[10:11]
	v_fma_f64 v[3:4], v[8:9], v[1:2], v[3:4]
	s_delay_alu instid0(VALU_DEP_2) | instskip(NEXT) | instid1(VALU_DEP_2)
	v_add_f64 v[1:2], v[6:7], 0
	v_add_f64 v[3:4], v[3:4], 0
	s_and_saveexec_b32 s4, s2
	s_cbranch_execz .LBB79_22
; %bb.21:
	scratch_load_b128 v[6:9], off, off offset:16
	v_mov_b32_e32 v10, 0
	ds_load_b128 v[63:66], v10 offset:272
	s_waitcnt vmcnt(0) lgkmcnt(0)
	v_mul_f64 v[10:11], v[63:64], v[8:9]
	v_mul_f64 v[8:9], v[65:66], v[8:9]
	s_delay_alu instid0(VALU_DEP_2) | instskip(NEXT) | instid1(VALU_DEP_2)
	v_fma_f64 v[10:11], v[65:66], v[6:7], v[10:11]
	v_fma_f64 v[6:7], v[63:64], v[6:7], -v[8:9]
	s_delay_alu instid0(VALU_DEP_2) | instskip(NEXT) | instid1(VALU_DEP_2)
	v_add_f64 v[3:4], v[3:4], v[10:11]
	v_add_f64 v[1:2], v[1:2], v[6:7]
.LBB79_22:
	s_or_b32 exec_lo, exec_lo, s4
	v_mov_b32_e32 v6, 0
	ds_load_b128 v[6:9], v6 offset:32
	s_waitcnt lgkmcnt(0)
	v_mul_f64 v[10:11], v[3:4], v[8:9]
	v_mul_f64 v[8:9], v[1:2], v[8:9]
	s_delay_alu instid0(VALU_DEP_2) | instskip(NEXT) | instid1(VALU_DEP_2)
	v_fma_f64 v[1:2], v[1:2], v[6:7], -v[10:11]
	v_fma_f64 v[3:4], v[3:4], v[6:7], v[8:9]
	scratch_store_b128 off, v[1:4], off offset:32
.LBB79_23:
	s_or_b32 exec_lo, exec_lo, s3
	s_waitcnt_vscnt null, 0x0
	s_barrier
	buffer_gl0_inv
	scratch_load_b128 v[1:4], v46, off
	v_add_nc_u32_e32 v6, -1, v45
	s_mov_b32 s2, exec_lo
	s_waitcnt vmcnt(0)
	ds_store_b128 v5, v[1:4]
	s_waitcnt lgkmcnt(0)
	s_barrier
	buffer_gl0_inv
	v_cmpx_gt_u32_e32 3, v45
	s_cbranch_execz .LBB79_27
; %bb.24:
	v_dual_mov_b32 v1, 0 :: v_dual_add_nc_u32 v8, 0x100, v61
	v_dual_mov_b32 v2, 0 :: v_dual_add_nc_u32 v7, -1, v45
	v_or_b32_e32 v9, 8, v62
	s_mov_b32 s3, 0
	s_delay_alu instid0(VALU_DEP_2)
	v_dual_mov_b32 v4, v2 :: v_dual_mov_b32 v3, v1
	.p2align	6
.LBB79_25:                              ; =>This Inner Loop Header: Depth=1
	scratch_load_b128 v[63:66], v9, off offset:-8
	ds_load_b128 v[67:70], v8
	v_add_nc_u32_e32 v7, 1, v7
	v_add_nc_u32_e32 v8, 16, v8
	;; [unrolled: 1-line block ×3, first 2 shown]
	s_delay_alu instid0(VALU_DEP_3) | instskip(SKIP_4) | instid1(VALU_DEP_2)
	v_cmp_lt_u32_e32 vcc_lo, 1, v7
	s_or_b32 s3, vcc_lo, s3
	s_waitcnt vmcnt(0) lgkmcnt(0)
	v_mul_f64 v[10:11], v[69:70], v[65:66]
	v_mul_f64 v[65:66], v[67:68], v[65:66]
	v_fma_f64 v[10:11], v[67:68], v[63:64], -v[10:11]
	s_delay_alu instid0(VALU_DEP_2) | instskip(NEXT) | instid1(VALU_DEP_2)
	v_fma_f64 v[63:64], v[69:70], v[63:64], v[65:66]
	v_add_f64 v[3:4], v[3:4], v[10:11]
	s_delay_alu instid0(VALU_DEP_2)
	v_add_f64 v[1:2], v[1:2], v[63:64]
	s_and_not1_b32 exec_lo, exec_lo, s3
	s_cbranch_execnz .LBB79_25
; %bb.26:
	s_or_b32 exec_lo, exec_lo, s3
	v_mov_b32_e32 v7, 0
	ds_load_b128 v[7:10], v7 offset:48
	s_waitcnt lgkmcnt(0)
	v_mul_f64 v[11:12], v[1:2], v[9:10]
	v_mul_f64 v[63:64], v[3:4], v[9:10]
	s_delay_alu instid0(VALU_DEP_2) | instskip(NEXT) | instid1(VALU_DEP_2)
	v_fma_f64 v[9:10], v[3:4], v[7:8], -v[11:12]
	v_fma_f64 v[11:12], v[1:2], v[7:8], v[63:64]
	scratch_store_b128 off, v[9:12], off offset:48
.LBB79_27:
	s_or_b32 exec_lo, exec_lo, s2
	s_waitcnt_vscnt null, 0x0
	s_barrier
	buffer_gl0_inv
	scratch_load_b128 v[1:4], v50, off
	s_mov_b32 s2, exec_lo
	s_waitcnt vmcnt(0)
	ds_store_b128 v5, v[1:4]
	s_waitcnt lgkmcnt(0)
	s_barrier
	buffer_gl0_inv
	v_cmpx_gt_u32_e32 4, v45
	s_cbranch_execz .LBB79_31
; %bb.28:
	v_dual_mov_b32 v1, 0 :: v_dual_add_nc_u32 v8, 0x100, v61
	v_dual_mov_b32 v2, 0 :: v_dual_add_nc_u32 v7, -1, v45
	v_or_b32_e32 v9, 8, v62
	s_mov_b32 s3, 0
	s_delay_alu instid0(VALU_DEP_2)
	v_dual_mov_b32 v4, v2 :: v_dual_mov_b32 v3, v1
	.p2align	6
.LBB79_29:                              ; =>This Inner Loop Header: Depth=1
	scratch_load_b128 v[63:66], v9, off offset:-8
	ds_load_b128 v[67:70], v8
	v_add_nc_u32_e32 v7, 1, v7
	v_add_nc_u32_e32 v8, 16, v8
	;; [unrolled: 1-line block ×3, first 2 shown]
	s_delay_alu instid0(VALU_DEP_3) | instskip(SKIP_4) | instid1(VALU_DEP_2)
	v_cmp_lt_u32_e32 vcc_lo, 2, v7
	s_or_b32 s3, vcc_lo, s3
	s_waitcnt vmcnt(0) lgkmcnt(0)
	v_mul_f64 v[10:11], v[69:70], v[65:66]
	v_mul_f64 v[65:66], v[67:68], v[65:66]
	v_fma_f64 v[10:11], v[67:68], v[63:64], -v[10:11]
	s_delay_alu instid0(VALU_DEP_2) | instskip(NEXT) | instid1(VALU_DEP_2)
	v_fma_f64 v[63:64], v[69:70], v[63:64], v[65:66]
	v_add_f64 v[3:4], v[3:4], v[10:11]
	s_delay_alu instid0(VALU_DEP_2)
	v_add_f64 v[1:2], v[1:2], v[63:64]
	s_and_not1_b32 exec_lo, exec_lo, s3
	s_cbranch_execnz .LBB79_29
; %bb.30:
	s_or_b32 exec_lo, exec_lo, s3
	v_mov_b32_e32 v7, 0
	ds_load_b128 v[7:10], v7 offset:64
	s_waitcnt lgkmcnt(0)
	v_mul_f64 v[11:12], v[1:2], v[9:10]
	v_mul_f64 v[63:64], v[3:4], v[9:10]
	s_delay_alu instid0(VALU_DEP_2) | instskip(NEXT) | instid1(VALU_DEP_2)
	v_fma_f64 v[9:10], v[3:4], v[7:8], -v[11:12]
	v_fma_f64 v[11:12], v[1:2], v[7:8], v[63:64]
	scratch_store_b128 off, v[9:12], off offset:64
.LBB79_31:
	s_or_b32 exec_lo, exec_lo, s2
	s_waitcnt_vscnt null, 0x0
	s_barrier
	buffer_gl0_inv
	scratch_load_b128 v[1:4], v48, off
	s_mov_b32 s2, exec_lo
	s_waitcnt vmcnt(0)
	ds_store_b128 v5, v[1:4]
	s_waitcnt lgkmcnt(0)
	s_barrier
	buffer_gl0_inv
	v_cmpx_gt_u32_e32 5, v45
	s_cbranch_execz .LBB79_35
; %bb.32:
	v_dual_mov_b32 v1, 0 :: v_dual_add_nc_u32 v8, 0x100, v61
	v_dual_mov_b32 v2, 0 :: v_dual_add_nc_u32 v7, -1, v45
	v_or_b32_e32 v9, 8, v62
	s_mov_b32 s3, 0
	s_delay_alu instid0(VALU_DEP_2)
	v_dual_mov_b32 v4, v2 :: v_dual_mov_b32 v3, v1
	.p2align	6
.LBB79_33:                              ; =>This Inner Loop Header: Depth=1
	scratch_load_b128 v[63:66], v9, off offset:-8
	ds_load_b128 v[67:70], v8
	v_add_nc_u32_e32 v7, 1, v7
	v_add_nc_u32_e32 v8, 16, v8
	;; [unrolled: 1-line block ×3, first 2 shown]
	s_delay_alu instid0(VALU_DEP_3) | instskip(SKIP_4) | instid1(VALU_DEP_2)
	v_cmp_lt_u32_e32 vcc_lo, 3, v7
	s_or_b32 s3, vcc_lo, s3
	s_waitcnt vmcnt(0) lgkmcnt(0)
	v_mul_f64 v[10:11], v[69:70], v[65:66]
	v_mul_f64 v[65:66], v[67:68], v[65:66]
	v_fma_f64 v[10:11], v[67:68], v[63:64], -v[10:11]
	s_delay_alu instid0(VALU_DEP_2) | instskip(NEXT) | instid1(VALU_DEP_2)
	v_fma_f64 v[63:64], v[69:70], v[63:64], v[65:66]
	v_add_f64 v[3:4], v[3:4], v[10:11]
	s_delay_alu instid0(VALU_DEP_2)
	v_add_f64 v[1:2], v[1:2], v[63:64]
	s_and_not1_b32 exec_lo, exec_lo, s3
	s_cbranch_execnz .LBB79_33
; %bb.34:
	s_or_b32 exec_lo, exec_lo, s3
	v_mov_b32_e32 v7, 0
	ds_load_b128 v[7:10], v7 offset:80
	s_waitcnt lgkmcnt(0)
	v_mul_f64 v[11:12], v[1:2], v[9:10]
	v_mul_f64 v[63:64], v[3:4], v[9:10]
	s_delay_alu instid0(VALU_DEP_2) | instskip(NEXT) | instid1(VALU_DEP_2)
	v_fma_f64 v[9:10], v[3:4], v[7:8], -v[11:12]
	v_fma_f64 v[11:12], v[1:2], v[7:8], v[63:64]
	scratch_store_b128 off, v[9:12], off offset:80
.LBB79_35:
	s_or_b32 exec_lo, exec_lo, s2
	s_waitcnt_vscnt null, 0x0
	s_barrier
	buffer_gl0_inv
	scratch_load_b128 v[1:4], v52, off
	s_mov_b32 s2, exec_lo
	s_waitcnt vmcnt(0)
	ds_store_b128 v5, v[1:4]
	s_waitcnt lgkmcnt(0)
	s_barrier
	buffer_gl0_inv
	v_cmpx_gt_u32_e32 6, v45
	s_cbranch_execz .LBB79_39
; %bb.36:
	v_dual_mov_b32 v1, 0 :: v_dual_add_nc_u32 v8, 0x100, v61
	v_dual_mov_b32 v2, 0 :: v_dual_add_nc_u32 v7, -1, v45
	v_or_b32_e32 v9, 8, v62
	s_mov_b32 s3, 0
	s_delay_alu instid0(VALU_DEP_2)
	v_dual_mov_b32 v4, v2 :: v_dual_mov_b32 v3, v1
	.p2align	6
.LBB79_37:                              ; =>This Inner Loop Header: Depth=1
	scratch_load_b128 v[63:66], v9, off offset:-8
	ds_load_b128 v[67:70], v8
	v_add_nc_u32_e32 v7, 1, v7
	v_add_nc_u32_e32 v8, 16, v8
	;; [unrolled: 1-line block ×3, first 2 shown]
	s_delay_alu instid0(VALU_DEP_3) | instskip(SKIP_4) | instid1(VALU_DEP_2)
	v_cmp_lt_u32_e32 vcc_lo, 4, v7
	s_or_b32 s3, vcc_lo, s3
	s_waitcnt vmcnt(0) lgkmcnt(0)
	v_mul_f64 v[10:11], v[69:70], v[65:66]
	v_mul_f64 v[65:66], v[67:68], v[65:66]
	v_fma_f64 v[10:11], v[67:68], v[63:64], -v[10:11]
	s_delay_alu instid0(VALU_DEP_2) | instskip(NEXT) | instid1(VALU_DEP_2)
	v_fma_f64 v[63:64], v[69:70], v[63:64], v[65:66]
	v_add_f64 v[3:4], v[3:4], v[10:11]
	s_delay_alu instid0(VALU_DEP_2)
	v_add_f64 v[1:2], v[1:2], v[63:64]
	s_and_not1_b32 exec_lo, exec_lo, s3
	s_cbranch_execnz .LBB79_37
; %bb.38:
	s_or_b32 exec_lo, exec_lo, s3
	v_mov_b32_e32 v7, 0
	ds_load_b128 v[7:10], v7 offset:96
	s_waitcnt lgkmcnt(0)
	v_mul_f64 v[11:12], v[1:2], v[9:10]
	v_mul_f64 v[63:64], v[3:4], v[9:10]
	s_delay_alu instid0(VALU_DEP_2) | instskip(NEXT) | instid1(VALU_DEP_2)
	v_fma_f64 v[9:10], v[3:4], v[7:8], -v[11:12]
	v_fma_f64 v[11:12], v[1:2], v[7:8], v[63:64]
	scratch_store_b128 off, v[9:12], off offset:96
.LBB79_39:
	s_or_b32 exec_lo, exec_lo, s2
	s_waitcnt_vscnt null, 0x0
	s_barrier
	buffer_gl0_inv
	scratch_load_b128 v[1:4], v51, off
	s_mov_b32 s2, exec_lo
	s_waitcnt vmcnt(0)
	ds_store_b128 v5, v[1:4]
	s_waitcnt lgkmcnt(0)
	s_barrier
	buffer_gl0_inv
	v_cmpx_gt_u32_e32 7, v45
	s_cbranch_execz .LBB79_43
; %bb.40:
	v_dual_mov_b32 v1, 0 :: v_dual_add_nc_u32 v8, 0x100, v61
	v_dual_mov_b32 v2, 0 :: v_dual_add_nc_u32 v7, -1, v45
	v_or_b32_e32 v9, 8, v62
	s_mov_b32 s3, 0
	s_delay_alu instid0(VALU_DEP_2)
	v_dual_mov_b32 v4, v2 :: v_dual_mov_b32 v3, v1
	.p2align	6
.LBB79_41:                              ; =>This Inner Loop Header: Depth=1
	scratch_load_b128 v[63:66], v9, off offset:-8
	ds_load_b128 v[67:70], v8
	v_add_nc_u32_e32 v7, 1, v7
	v_add_nc_u32_e32 v8, 16, v8
	;; [unrolled: 1-line block ×3, first 2 shown]
	s_delay_alu instid0(VALU_DEP_3) | instskip(SKIP_4) | instid1(VALU_DEP_2)
	v_cmp_lt_u32_e32 vcc_lo, 5, v7
	s_or_b32 s3, vcc_lo, s3
	s_waitcnt vmcnt(0) lgkmcnt(0)
	v_mul_f64 v[10:11], v[69:70], v[65:66]
	v_mul_f64 v[65:66], v[67:68], v[65:66]
	v_fma_f64 v[10:11], v[67:68], v[63:64], -v[10:11]
	s_delay_alu instid0(VALU_DEP_2) | instskip(NEXT) | instid1(VALU_DEP_2)
	v_fma_f64 v[63:64], v[69:70], v[63:64], v[65:66]
	v_add_f64 v[3:4], v[3:4], v[10:11]
	s_delay_alu instid0(VALU_DEP_2)
	v_add_f64 v[1:2], v[1:2], v[63:64]
	s_and_not1_b32 exec_lo, exec_lo, s3
	s_cbranch_execnz .LBB79_41
; %bb.42:
	s_or_b32 exec_lo, exec_lo, s3
	v_mov_b32_e32 v7, 0
	ds_load_b128 v[7:10], v7 offset:112
	s_waitcnt lgkmcnt(0)
	v_mul_f64 v[11:12], v[1:2], v[9:10]
	v_mul_f64 v[63:64], v[3:4], v[9:10]
	s_delay_alu instid0(VALU_DEP_2) | instskip(NEXT) | instid1(VALU_DEP_2)
	v_fma_f64 v[9:10], v[3:4], v[7:8], -v[11:12]
	v_fma_f64 v[11:12], v[1:2], v[7:8], v[63:64]
	scratch_store_b128 off, v[9:12], off offset:112
.LBB79_43:
	s_or_b32 exec_lo, exec_lo, s2
	s_waitcnt_vscnt null, 0x0
	s_barrier
	buffer_gl0_inv
	scratch_load_b128 v[1:4], v54, off
	s_mov_b32 s2, exec_lo
	s_waitcnt vmcnt(0)
	ds_store_b128 v5, v[1:4]
	s_waitcnt lgkmcnt(0)
	s_barrier
	buffer_gl0_inv
	v_cmpx_gt_u32_e32 8, v45
	s_cbranch_execz .LBB79_47
; %bb.44:
	v_dual_mov_b32 v1, 0 :: v_dual_add_nc_u32 v8, 0x100, v61
	v_dual_mov_b32 v2, 0 :: v_dual_add_nc_u32 v7, -1, v45
	v_or_b32_e32 v9, 8, v62
	s_mov_b32 s3, 0
	s_delay_alu instid0(VALU_DEP_2)
	v_dual_mov_b32 v4, v2 :: v_dual_mov_b32 v3, v1
	.p2align	6
.LBB79_45:                              ; =>This Inner Loop Header: Depth=1
	scratch_load_b128 v[63:66], v9, off offset:-8
	ds_load_b128 v[67:70], v8
	v_add_nc_u32_e32 v7, 1, v7
	v_add_nc_u32_e32 v8, 16, v8
	v_add_nc_u32_e32 v9, 16, v9
	s_delay_alu instid0(VALU_DEP_3) | instskip(SKIP_4) | instid1(VALU_DEP_2)
	v_cmp_lt_u32_e32 vcc_lo, 6, v7
	s_or_b32 s3, vcc_lo, s3
	s_waitcnt vmcnt(0) lgkmcnt(0)
	v_mul_f64 v[10:11], v[69:70], v[65:66]
	v_mul_f64 v[65:66], v[67:68], v[65:66]
	v_fma_f64 v[10:11], v[67:68], v[63:64], -v[10:11]
	s_delay_alu instid0(VALU_DEP_2) | instskip(NEXT) | instid1(VALU_DEP_2)
	v_fma_f64 v[63:64], v[69:70], v[63:64], v[65:66]
	v_add_f64 v[3:4], v[3:4], v[10:11]
	s_delay_alu instid0(VALU_DEP_2)
	v_add_f64 v[1:2], v[1:2], v[63:64]
	s_and_not1_b32 exec_lo, exec_lo, s3
	s_cbranch_execnz .LBB79_45
; %bb.46:
	s_or_b32 exec_lo, exec_lo, s3
	v_mov_b32_e32 v7, 0
	ds_load_b128 v[7:10], v7 offset:128
	s_waitcnt lgkmcnt(0)
	v_mul_f64 v[11:12], v[1:2], v[9:10]
	v_mul_f64 v[63:64], v[3:4], v[9:10]
	s_delay_alu instid0(VALU_DEP_2) | instskip(NEXT) | instid1(VALU_DEP_2)
	v_fma_f64 v[9:10], v[3:4], v[7:8], -v[11:12]
	v_fma_f64 v[11:12], v[1:2], v[7:8], v[63:64]
	scratch_store_b128 off, v[9:12], off offset:128
.LBB79_47:
	s_or_b32 exec_lo, exec_lo, s2
	s_waitcnt_vscnt null, 0x0
	s_barrier
	buffer_gl0_inv
	scratch_load_b128 v[1:4], v53, off
	s_mov_b32 s2, exec_lo
	s_waitcnt vmcnt(0)
	ds_store_b128 v5, v[1:4]
	s_waitcnt lgkmcnt(0)
	s_barrier
	buffer_gl0_inv
	v_cmpx_gt_u32_e32 9, v45
	s_cbranch_execz .LBB79_51
; %bb.48:
	v_dual_mov_b32 v1, 0 :: v_dual_add_nc_u32 v8, 0x100, v61
	v_dual_mov_b32 v2, 0 :: v_dual_add_nc_u32 v7, -1, v45
	v_or_b32_e32 v9, 8, v62
	s_mov_b32 s3, 0
	s_delay_alu instid0(VALU_DEP_2)
	v_dual_mov_b32 v4, v2 :: v_dual_mov_b32 v3, v1
	.p2align	6
.LBB79_49:                              ; =>This Inner Loop Header: Depth=1
	scratch_load_b128 v[63:66], v9, off offset:-8
	ds_load_b128 v[67:70], v8
	v_add_nc_u32_e32 v7, 1, v7
	v_add_nc_u32_e32 v8, 16, v8
	;; [unrolled: 1-line block ×3, first 2 shown]
	s_delay_alu instid0(VALU_DEP_3) | instskip(SKIP_4) | instid1(VALU_DEP_2)
	v_cmp_lt_u32_e32 vcc_lo, 7, v7
	s_or_b32 s3, vcc_lo, s3
	s_waitcnt vmcnt(0) lgkmcnt(0)
	v_mul_f64 v[10:11], v[69:70], v[65:66]
	v_mul_f64 v[65:66], v[67:68], v[65:66]
	v_fma_f64 v[10:11], v[67:68], v[63:64], -v[10:11]
	s_delay_alu instid0(VALU_DEP_2) | instskip(NEXT) | instid1(VALU_DEP_2)
	v_fma_f64 v[63:64], v[69:70], v[63:64], v[65:66]
	v_add_f64 v[3:4], v[3:4], v[10:11]
	s_delay_alu instid0(VALU_DEP_2)
	v_add_f64 v[1:2], v[1:2], v[63:64]
	s_and_not1_b32 exec_lo, exec_lo, s3
	s_cbranch_execnz .LBB79_49
; %bb.50:
	s_or_b32 exec_lo, exec_lo, s3
	v_mov_b32_e32 v7, 0
	ds_load_b128 v[7:10], v7 offset:144
	s_waitcnt lgkmcnt(0)
	v_mul_f64 v[11:12], v[1:2], v[9:10]
	v_mul_f64 v[63:64], v[3:4], v[9:10]
	s_delay_alu instid0(VALU_DEP_2) | instskip(NEXT) | instid1(VALU_DEP_2)
	v_fma_f64 v[9:10], v[3:4], v[7:8], -v[11:12]
	v_fma_f64 v[11:12], v[1:2], v[7:8], v[63:64]
	scratch_store_b128 off, v[9:12], off offset:144
.LBB79_51:
	s_or_b32 exec_lo, exec_lo, s2
	s_waitcnt_vscnt null, 0x0
	s_barrier
	buffer_gl0_inv
	scratch_load_b128 v[1:4], v56, off
	s_mov_b32 s2, exec_lo
	s_waitcnt vmcnt(0)
	ds_store_b128 v5, v[1:4]
	s_waitcnt lgkmcnt(0)
	s_barrier
	buffer_gl0_inv
	v_cmpx_gt_u32_e32 10, v45
	s_cbranch_execz .LBB79_55
; %bb.52:
	v_dual_mov_b32 v1, 0 :: v_dual_add_nc_u32 v8, 0x100, v61
	v_dual_mov_b32 v2, 0 :: v_dual_add_nc_u32 v7, -1, v45
	v_or_b32_e32 v9, 8, v62
	s_mov_b32 s3, 0
	s_delay_alu instid0(VALU_DEP_2)
	v_dual_mov_b32 v4, v2 :: v_dual_mov_b32 v3, v1
	.p2align	6
.LBB79_53:                              ; =>This Inner Loop Header: Depth=1
	scratch_load_b128 v[63:66], v9, off offset:-8
	ds_load_b128 v[67:70], v8
	v_add_nc_u32_e32 v7, 1, v7
	v_add_nc_u32_e32 v8, 16, v8
	;; [unrolled: 1-line block ×3, first 2 shown]
	s_delay_alu instid0(VALU_DEP_3) | instskip(SKIP_4) | instid1(VALU_DEP_2)
	v_cmp_lt_u32_e32 vcc_lo, 8, v7
	s_or_b32 s3, vcc_lo, s3
	s_waitcnt vmcnt(0) lgkmcnt(0)
	v_mul_f64 v[10:11], v[69:70], v[65:66]
	v_mul_f64 v[65:66], v[67:68], v[65:66]
	v_fma_f64 v[10:11], v[67:68], v[63:64], -v[10:11]
	s_delay_alu instid0(VALU_DEP_2) | instskip(NEXT) | instid1(VALU_DEP_2)
	v_fma_f64 v[63:64], v[69:70], v[63:64], v[65:66]
	v_add_f64 v[3:4], v[3:4], v[10:11]
	s_delay_alu instid0(VALU_DEP_2)
	v_add_f64 v[1:2], v[1:2], v[63:64]
	s_and_not1_b32 exec_lo, exec_lo, s3
	s_cbranch_execnz .LBB79_53
; %bb.54:
	s_or_b32 exec_lo, exec_lo, s3
	v_mov_b32_e32 v7, 0
	ds_load_b128 v[7:10], v7 offset:160
	s_waitcnt lgkmcnt(0)
	v_mul_f64 v[11:12], v[1:2], v[9:10]
	v_mul_f64 v[63:64], v[3:4], v[9:10]
	s_delay_alu instid0(VALU_DEP_2) | instskip(NEXT) | instid1(VALU_DEP_2)
	v_fma_f64 v[9:10], v[3:4], v[7:8], -v[11:12]
	v_fma_f64 v[11:12], v[1:2], v[7:8], v[63:64]
	scratch_store_b128 off, v[9:12], off offset:160
.LBB79_55:
	s_or_b32 exec_lo, exec_lo, s2
	s_waitcnt_vscnt null, 0x0
	s_barrier
	buffer_gl0_inv
	scratch_load_b128 v[1:4], v55, off
	s_mov_b32 s2, exec_lo
	s_waitcnt vmcnt(0)
	ds_store_b128 v5, v[1:4]
	s_waitcnt lgkmcnt(0)
	s_barrier
	buffer_gl0_inv
	v_cmpx_gt_u32_e32 11, v45
	s_cbranch_execz .LBB79_59
; %bb.56:
	v_dual_mov_b32 v1, 0 :: v_dual_add_nc_u32 v8, 0x100, v61
	v_dual_mov_b32 v2, 0 :: v_dual_add_nc_u32 v7, -1, v45
	v_or_b32_e32 v9, 8, v62
	s_mov_b32 s3, 0
	s_delay_alu instid0(VALU_DEP_2)
	v_dual_mov_b32 v4, v2 :: v_dual_mov_b32 v3, v1
	.p2align	6
.LBB79_57:                              ; =>This Inner Loop Header: Depth=1
	scratch_load_b128 v[63:66], v9, off offset:-8
	ds_load_b128 v[67:70], v8
	v_add_nc_u32_e32 v7, 1, v7
	v_add_nc_u32_e32 v8, 16, v8
	v_add_nc_u32_e32 v9, 16, v9
	s_delay_alu instid0(VALU_DEP_3) | instskip(SKIP_4) | instid1(VALU_DEP_2)
	v_cmp_lt_u32_e32 vcc_lo, 9, v7
	s_or_b32 s3, vcc_lo, s3
	s_waitcnt vmcnt(0) lgkmcnt(0)
	v_mul_f64 v[10:11], v[69:70], v[65:66]
	v_mul_f64 v[65:66], v[67:68], v[65:66]
	v_fma_f64 v[10:11], v[67:68], v[63:64], -v[10:11]
	s_delay_alu instid0(VALU_DEP_2) | instskip(NEXT) | instid1(VALU_DEP_2)
	v_fma_f64 v[63:64], v[69:70], v[63:64], v[65:66]
	v_add_f64 v[3:4], v[3:4], v[10:11]
	s_delay_alu instid0(VALU_DEP_2)
	v_add_f64 v[1:2], v[1:2], v[63:64]
	s_and_not1_b32 exec_lo, exec_lo, s3
	s_cbranch_execnz .LBB79_57
; %bb.58:
	s_or_b32 exec_lo, exec_lo, s3
	v_mov_b32_e32 v7, 0
	ds_load_b128 v[7:10], v7 offset:176
	s_waitcnt lgkmcnt(0)
	v_mul_f64 v[11:12], v[1:2], v[9:10]
	v_mul_f64 v[63:64], v[3:4], v[9:10]
	s_delay_alu instid0(VALU_DEP_2) | instskip(NEXT) | instid1(VALU_DEP_2)
	v_fma_f64 v[9:10], v[3:4], v[7:8], -v[11:12]
	v_fma_f64 v[11:12], v[1:2], v[7:8], v[63:64]
	scratch_store_b128 off, v[9:12], off offset:176
.LBB79_59:
	s_or_b32 exec_lo, exec_lo, s2
	s_waitcnt_vscnt null, 0x0
	s_barrier
	buffer_gl0_inv
	scratch_load_b128 v[1:4], v58, off
	s_mov_b32 s2, exec_lo
	s_waitcnt vmcnt(0)
	ds_store_b128 v5, v[1:4]
	s_waitcnt lgkmcnt(0)
	s_barrier
	buffer_gl0_inv
	v_cmpx_gt_u32_e32 12, v45
	s_cbranch_execz .LBB79_63
; %bb.60:
	v_dual_mov_b32 v1, 0 :: v_dual_add_nc_u32 v8, 0x100, v61
	v_dual_mov_b32 v2, 0 :: v_dual_add_nc_u32 v7, -1, v45
	v_or_b32_e32 v9, 8, v62
	s_mov_b32 s3, 0
	s_delay_alu instid0(VALU_DEP_2)
	v_dual_mov_b32 v4, v2 :: v_dual_mov_b32 v3, v1
	.p2align	6
.LBB79_61:                              ; =>This Inner Loop Header: Depth=1
	scratch_load_b128 v[63:66], v9, off offset:-8
	ds_load_b128 v[67:70], v8
	v_add_nc_u32_e32 v7, 1, v7
	v_add_nc_u32_e32 v8, 16, v8
	;; [unrolled: 1-line block ×3, first 2 shown]
	s_delay_alu instid0(VALU_DEP_3) | instskip(SKIP_4) | instid1(VALU_DEP_2)
	v_cmp_lt_u32_e32 vcc_lo, 10, v7
	s_or_b32 s3, vcc_lo, s3
	s_waitcnt vmcnt(0) lgkmcnt(0)
	v_mul_f64 v[10:11], v[69:70], v[65:66]
	v_mul_f64 v[65:66], v[67:68], v[65:66]
	v_fma_f64 v[10:11], v[67:68], v[63:64], -v[10:11]
	s_delay_alu instid0(VALU_DEP_2) | instskip(NEXT) | instid1(VALU_DEP_2)
	v_fma_f64 v[63:64], v[69:70], v[63:64], v[65:66]
	v_add_f64 v[3:4], v[3:4], v[10:11]
	s_delay_alu instid0(VALU_DEP_2)
	v_add_f64 v[1:2], v[1:2], v[63:64]
	s_and_not1_b32 exec_lo, exec_lo, s3
	s_cbranch_execnz .LBB79_61
; %bb.62:
	s_or_b32 exec_lo, exec_lo, s3
	v_mov_b32_e32 v7, 0
	ds_load_b128 v[7:10], v7 offset:192
	s_waitcnt lgkmcnt(0)
	v_mul_f64 v[11:12], v[1:2], v[9:10]
	v_mul_f64 v[63:64], v[3:4], v[9:10]
	s_delay_alu instid0(VALU_DEP_2) | instskip(NEXT) | instid1(VALU_DEP_2)
	v_fma_f64 v[9:10], v[3:4], v[7:8], -v[11:12]
	v_fma_f64 v[11:12], v[1:2], v[7:8], v[63:64]
	scratch_store_b128 off, v[9:12], off offset:192
.LBB79_63:
	s_or_b32 exec_lo, exec_lo, s2
	s_waitcnt_vscnt null, 0x0
	s_barrier
	buffer_gl0_inv
	scratch_load_b128 v[1:4], v57, off
	s_mov_b32 s2, exec_lo
	s_waitcnt vmcnt(0)
	ds_store_b128 v5, v[1:4]
	s_waitcnt lgkmcnt(0)
	s_barrier
	buffer_gl0_inv
	v_cmpx_gt_u32_e32 13, v45
	s_cbranch_execz .LBB79_67
; %bb.64:
	v_dual_mov_b32 v1, 0 :: v_dual_add_nc_u32 v8, 0x100, v61
	v_dual_mov_b32 v2, 0 :: v_dual_add_nc_u32 v7, -1, v45
	v_or_b32_e32 v9, 8, v62
	s_mov_b32 s3, 0
	s_delay_alu instid0(VALU_DEP_2)
	v_dual_mov_b32 v4, v2 :: v_dual_mov_b32 v3, v1
	.p2align	6
.LBB79_65:                              ; =>This Inner Loop Header: Depth=1
	scratch_load_b128 v[63:66], v9, off offset:-8
	ds_load_b128 v[67:70], v8
	v_add_nc_u32_e32 v7, 1, v7
	v_add_nc_u32_e32 v8, 16, v8
	;; [unrolled: 1-line block ×3, first 2 shown]
	s_delay_alu instid0(VALU_DEP_3) | instskip(SKIP_4) | instid1(VALU_DEP_2)
	v_cmp_lt_u32_e32 vcc_lo, 11, v7
	s_or_b32 s3, vcc_lo, s3
	s_waitcnt vmcnt(0) lgkmcnt(0)
	v_mul_f64 v[10:11], v[69:70], v[65:66]
	v_mul_f64 v[65:66], v[67:68], v[65:66]
	v_fma_f64 v[10:11], v[67:68], v[63:64], -v[10:11]
	s_delay_alu instid0(VALU_DEP_2) | instskip(NEXT) | instid1(VALU_DEP_2)
	v_fma_f64 v[63:64], v[69:70], v[63:64], v[65:66]
	v_add_f64 v[3:4], v[3:4], v[10:11]
	s_delay_alu instid0(VALU_DEP_2)
	v_add_f64 v[1:2], v[1:2], v[63:64]
	s_and_not1_b32 exec_lo, exec_lo, s3
	s_cbranch_execnz .LBB79_65
; %bb.66:
	s_or_b32 exec_lo, exec_lo, s3
	v_mov_b32_e32 v7, 0
	ds_load_b128 v[7:10], v7 offset:208
	s_waitcnt lgkmcnt(0)
	v_mul_f64 v[11:12], v[1:2], v[9:10]
	v_mul_f64 v[63:64], v[3:4], v[9:10]
	s_delay_alu instid0(VALU_DEP_2) | instskip(NEXT) | instid1(VALU_DEP_2)
	v_fma_f64 v[9:10], v[3:4], v[7:8], -v[11:12]
	v_fma_f64 v[11:12], v[1:2], v[7:8], v[63:64]
	scratch_store_b128 off, v[9:12], off offset:208
.LBB79_67:
	s_or_b32 exec_lo, exec_lo, s2
	s_waitcnt_vscnt null, 0x0
	s_barrier
	buffer_gl0_inv
	scratch_load_b128 v[1:4], v60, off
	s_mov_b32 s2, exec_lo
	s_waitcnt vmcnt(0)
	ds_store_b128 v5, v[1:4]
	s_waitcnt lgkmcnt(0)
	s_barrier
	buffer_gl0_inv
	v_cmpx_gt_u32_e32 14, v45
	s_cbranch_execz .LBB79_71
; %bb.68:
	v_dual_mov_b32 v1, 0 :: v_dual_add_nc_u32 v8, 0x100, v61
	v_dual_mov_b32 v2, 0 :: v_dual_add_nc_u32 v7, -1, v45
	v_or_b32_e32 v9, 8, v62
	s_mov_b32 s3, 0
	s_delay_alu instid0(VALU_DEP_2)
	v_dual_mov_b32 v4, v2 :: v_dual_mov_b32 v3, v1
	.p2align	6
.LBB79_69:                              ; =>This Inner Loop Header: Depth=1
	scratch_load_b128 v[63:66], v9, off offset:-8
	ds_load_b128 v[67:70], v8
	v_add_nc_u32_e32 v7, 1, v7
	v_add_nc_u32_e32 v8, 16, v8
	;; [unrolled: 1-line block ×3, first 2 shown]
	s_delay_alu instid0(VALU_DEP_3) | instskip(SKIP_4) | instid1(VALU_DEP_2)
	v_cmp_lt_u32_e32 vcc_lo, 12, v7
	s_or_b32 s3, vcc_lo, s3
	s_waitcnt vmcnt(0) lgkmcnt(0)
	v_mul_f64 v[10:11], v[69:70], v[65:66]
	v_mul_f64 v[65:66], v[67:68], v[65:66]
	v_fma_f64 v[10:11], v[67:68], v[63:64], -v[10:11]
	s_delay_alu instid0(VALU_DEP_2) | instskip(NEXT) | instid1(VALU_DEP_2)
	v_fma_f64 v[63:64], v[69:70], v[63:64], v[65:66]
	v_add_f64 v[3:4], v[3:4], v[10:11]
	s_delay_alu instid0(VALU_DEP_2)
	v_add_f64 v[1:2], v[1:2], v[63:64]
	s_and_not1_b32 exec_lo, exec_lo, s3
	s_cbranch_execnz .LBB79_69
; %bb.70:
	s_or_b32 exec_lo, exec_lo, s3
	v_mov_b32_e32 v7, 0
	ds_load_b128 v[7:10], v7 offset:224
	s_waitcnt lgkmcnt(0)
	v_mul_f64 v[11:12], v[1:2], v[9:10]
	v_mul_f64 v[63:64], v[3:4], v[9:10]
	s_delay_alu instid0(VALU_DEP_2) | instskip(NEXT) | instid1(VALU_DEP_2)
	v_fma_f64 v[9:10], v[3:4], v[7:8], -v[11:12]
	v_fma_f64 v[11:12], v[1:2], v[7:8], v[63:64]
	scratch_store_b128 off, v[9:12], off offset:224
.LBB79_71:
	s_or_b32 exec_lo, exec_lo, s2
	s_waitcnt_vscnt null, 0x0
	s_barrier
	buffer_gl0_inv
	scratch_load_b128 v[1:4], v59, off
	s_mov_b32 s2, exec_lo
	s_waitcnt vmcnt(0)
	ds_store_b128 v5, v[1:4]
	s_waitcnt lgkmcnt(0)
	s_barrier
	buffer_gl0_inv
	v_cmpx_ne_u32_e32 15, v45
	s_cbranch_execz .LBB79_75
; %bb.72:
	v_mov_b32_e32 v1, 0
	v_mov_b32_e32 v2, 0
	v_or_b32_e32 v7, 8, v62
	s_mov_b32 s3, 0
	s_delay_alu instid0(VALU_DEP_2)
	v_dual_mov_b32 v4, v2 :: v_dual_mov_b32 v3, v1
	.p2align	6
.LBB79_73:                              ; =>This Inner Loop Header: Depth=1
	scratch_load_b128 v[8:11], v7, off offset:-8
	ds_load_b128 v[61:64], v5
	v_add_nc_u32_e32 v6, 1, v6
	v_add_nc_u32_e32 v5, 16, v5
	;; [unrolled: 1-line block ×3, first 2 shown]
	s_delay_alu instid0(VALU_DEP_3) | instskip(SKIP_4) | instid1(VALU_DEP_2)
	v_cmp_lt_u32_e32 vcc_lo, 13, v6
	s_or_b32 s3, vcc_lo, s3
	s_waitcnt vmcnt(0) lgkmcnt(0)
	v_mul_f64 v[65:66], v[63:64], v[10:11]
	v_mul_f64 v[10:11], v[61:62], v[10:11]
	v_fma_f64 v[61:62], v[61:62], v[8:9], -v[65:66]
	s_delay_alu instid0(VALU_DEP_2) | instskip(NEXT) | instid1(VALU_DEP_2)
	v_fma_f64 v[8:9], v[63:64], v[8:9], v[10:11]
	v_add_f64 v[3:4], v[3:4], v[61:62]
	s_delay_alu instid0(VALU_DEP_2)
	v_add_f64 v[1:2], v[1:2], v[8:9]
	s_and_not1_b32 exec_lo, exec_lo, s3
	s_cbranch_execnz .LBB79_73
; %bb.74:
	s_or_b32 exec_lo, exec_lo, s3
	v_mov_b32_e32 v5, 0
	ds_load_b128 v[5:8], v5 offset:240
	s_waitcnt lgkmcnt(0)
	v_mul_f64 v[9:10], v[1:2], v[7:8]
	v_mul_f64 v[7:8], v[3:4], v[7:8]
	s_delay_alu instid0(VALU_DEP_2) | instskip(NEXT) | instid1(VALU_DEP_2)
	v_fma_f64 v[3:4], v[3:4], v[5:6], -v[9:10]
	v_fma_f64 v[5:6], v[1:2], v[5:6], v[7:8]
	scratch_store_b128 off, v[3:6], off offset:240
.LBB79_75:
	s_or_b32 exec_lo, exec_lo, s2
	s_mov_b32 s3, -1
	s_waitcnt_vscnt null, 0x0
	s_barrier
	buffer_gl0_inv
.LBB79_76:
	s_and_b32 vcc_lo, exec_lo, s3
	s_cbranch_vccz .LBB79_78
; %bb.77:
	s_lshl_b64 s[2:3], s[10:11], 2
	v_mov_b32_e32 v1, 0
	s_add_u32 s2, s6, s2
	s_addc_u32 s3, s7, s3
	global_load_b32 v1, v1, s[2:3]
	s_waitcnt vmcnt(0)
	v_cmp_ne_u32_e32 vcc_lo, 0, v1
	s_cbranch_vccz .LBB79_79
.LBB79_78:
	s_endpgm
.LBB79_79:
	v_lshl_add_u32 v5, v45, 4, 0x100
	s_mov_b32 s2, exec_lo
	v_cmpx_eq_u32_e32 15, v45
	s_cbranch_execz .LBB79_81
; %bb.80:
	scratch_load_b128 v[1:4], v60, off
	v_mov_b32_e32 v6, 0
	s_delay_alu instid0(VALU_DEP_1)
	v_mov_b32_e32 v7, v6
	v_mov_b32_e32 v8, v6
	;; [unrolled: 1-line block ×3, first 2 shown]
	scratch_store_b128 off, v[6:9], off offset:224
	s_waitcnt vmcnt(0)
	ds_store_b128 v5, v[1:4]
.LBB79_81:
	s_or_b32 exec_lo, exec_lo, s2
	s_waitcnt lgkmcnt(0)
	s_waitcnt_vscnt null, 0x0
	s_barrier
	buffer_gl0_inv
	s_clause 0x1
	scratch_load_b128 v[6:9], off, off offset:240
	scratch_load_b128 v[61:64], off, off offset:224
	v_mov_b32_e32 v1, 0
	s_mov_b32 s2, exec_lo
	ds_load_b128 v[65:68], v1 offset:496
	s_waitcnt vmcnt(1) lgkmcnt(0)
	v_mul_f64 v[2:3], v[67:68], v[8:9]
	v_mul_f64 v[8:9], v[65:66], v[8:9]
	s_delay_alu instid0(VALU_DEP_2) | instskip(NEXT) | instid1(VALU_DEP_2)
	v_fma_f64 v[2:3], v[65:66], v[6:7], -v[2:3]
	v_fma_f64 v[6:7], v[67:68], v[6:7], v[8:9]
	s_delay_alu instid0(VALU_DEP_2) | instskip(NEXT) | instid1(VALU_DEP_2)
	v_add_f64 v[2:3], v[2:3], 0
	v_add_f64 v[8:9], v[6:7], 0
	s_waitcnt vmcnt(0)
	s_delay_alu instid0(VALU_DEP_2) | instskip(NEXT) | instid1(VALU_DEP_2)
	v_add_f64 v[6:7], v[61:62], -v[2:3]
	v_add_f64 v[8:9], v[63:64], -v[8:9]
	scratch_store_b128 off, v[6:9], off offset:224
	v_cmpx_lt_u32_e32 13, v45
	s_cbranch_execz .LBB79_83
; %bb.82:
	scratch_load_b128 v[6:9], v57, off
	v_mov_b32_e32 v2, v1
	v_mov_b32_e32 v3, v1
	;; [unrolled: 1-line block ×3, first 2 shown]
	scratch_store_b128 off, v[1:4], off offset:208
	s_waitcnt vmcnt(0)
	ds_store_b128 v5, v[6:9]
.LBB79_83:
	s_or_b32 exec_lo, exec_lo, s2
	s_waitcnt lgkmcnt(0)
	s_waitcnt_vscnt null, 0x0
	s_barrier
	buffer_gl0_inv
	s_clause 0x2
	scratch_load_b128 v[6:9], off, off offset:224
	scratch_load_b128 v[61:64], off, off offset:240
	;; [unrolled: 1-line block ×3, first 2 shown]
	ds_load_b128 v[69:72], v1 offset:480
	ds_load_b128 v[1:4], v1 offset:496
	s_mov_b32 s2, exec_lo
	s_waitcnt vmcnt(2) lgkmcnt(1)
	v_mul_f64 v[10:11], v[71:72], v[8:9]
	v_mul_f64 v[8:9], v[69:70], v[8:9]
	s_waitcnt vmcnt(1) lgkmcnt(0)
	v_mul_f64 v[73:74], v[1:2], v[63:64]
	v_mul_f64 v[63:64], v[3:4], v[63:64]
	s_delay_alu instid0(VALU_DEP_4) | instskip(NEXT) | instid1(VALU_DEP_4)
	v_fma_f64 v[10:11], v[69:70], v[6:7], -v[10:11]
	v_fma_f64 v[6:7], v[71:72], v[6:7], v[8:9]
	s_delay_alu instid0(VALU_DEP_4) | instskip(NEXT) | instid1(VALU_DEP_4)
	v_fma_f64 v[3:4], v[3:4], v[61:62], v[73:74]
	v_fma_f64 v[1:2], v[1:2], v[61:62], -v[63:64]
	s_delay_alu instid0(VALU_DEP_4) | instskip(NEXT) | instid1(VALU_DEP_4)
	v_add_f64 v[8:9], v[10:11], 0
	v_add_f64 v[6:7], v[6:7], 0
	s_delay_alu instid0(VALU_DEP_2) | instskip(NEXT) | instid1(VALU_DEP_2)
	v_add_f64 v[1:2], v[8:9], v[1:2]
	v_add_f64 v[3:4], v[6:7], v[3:4]
	s_waitcnt vmcnt(0)
	s_delay_alu instid0(VALU_DEP_2) | instskip(NEXT) | instid1(VALU_DEP_2)
	v_add_f64 v[1:2], v[65:66], -v[1:2]
	v_add_f64 v[3:4], v[67:68], -v[3:4]
	scratch_store_b128 off, v[1:4], off offset:208
	v_cmpx_lt_u32_e32 12, v45
	s_cbranch_execz .LBB79_85
; %bb.84:
	scratch_load_b128 v[1:4], v58, off
	v_mov_b32_e32 v6, 0
	s_delay_alu instid0(VALU_DEP_1)
	v_mov_b32_e32 v7, v6
	v_mov_b32_e32 v8, v6
	;; [unrolled: 1-line block ×3, first 2 shown]
	scratch_store_b128 off, v[6:9], off offset:192
	s_waitcnt vmcnt(0)
	ds_store_b128 v5, v[1:4]
.LBB79_85:
	s_or_b32 exec_lo, exec_lo, s2
	s_waitcnt lgkmcnt(0)
	s_waitcnt_vscnt null, 0x0
	s_barrier
	buffer_gl0_inv
	s_clause 0x3
	scratch_load_b128 v[6:9], off, off offset:208
	scratch_load_b128 v[61:64], off, off offset:224
	;; [unrolled: 1-line block ×4, first 2 shown]
	v_mov_b32_e32 v1, 0
	ds_load_b128 v[73:76], v1 offset:464
	ds_load_b128 v[77:80], v1 offset:480
	s_mov_b32 s2, exec_lo
	s_waitcnt vmcnt(3) lgkmcnt(1)
	v_mul_f64 v[2:3], v[75:76], v[8:9]
	v_mul_f64 v[8:9], v[73:74], v[8:9]
	s_waitcnt vmcnt(2) lgkmcnt(0)
	v_mul_f64 v[10:11], v[77:78], v[63:64]
	v_mul_f64 v[63:64], v[79:80], v[63:64]
	s_delay_alu instid0(VALU_DEP_4) | instskip(NEXT) | instid1(VALU_DEP_4)
	v_fma_f64 v[2:3], v[73:74], v[6:7], -v[2:3]
	v_fma_f64 v[73:74], v[75:76], v[6:7], v[8:9]
	ds_load_b128 v[6:9], v1 offset:496
	v_fma_f64 v[10:11], v[79:80], v[61:62], v[10:11]
	v_fma_f64 v[61:62], v[77:78], v[61:62], -v[63:64]
	s_waitcnt vmcnt(1) lgkmcnt(0)
	v_mul_f64 v[75:76], v[6:7], v[67:68]
	v_mul_f64 v[67:68], v[8:9], v[67:68]
	v_add_f64 v[2:3], v[2:3], 0
	v_add_f64 v[63:64], v[73:74], 0
	s_delay_alu instid0(VALU_DEP_4) | instskip(NEXT) | instid1(VALU_DEP_4)
	v_fma_f64 v[8:9], v[8:9], v[65:66], v[75:76]
	v_fma_f64 v[6:7], v[6:7], v[65:66], -v[67:68]
	s_delay_alu instid0(VALU_DEP_4) | instskip(NEXT) | instid1(VALU_DEP_4)
	v_add_f64 v[2:3], v[2:3], v[61:62]
	v_add_f64 v[10:11], v[63:64], v[10:11]
	s_delay_alu instid0(VALU_DEP_2) | instskip(NEXT) | instid1(VALU_DEP_2)
	v_add_f64 v[2:3], v[2:3], v[6:7]
	v_add_f64 v[8:9], v[10:11], v[8:9]
	s_waitcnt vmcnt(0)
	s_delay_alu instid0(VALU_DEP_2) | instskip(NEXT) | instid1(VALU_DEP_2)
	v_add_f64 v[6:7], v[69:70], -v[2:3]
	v_add_f64 v[8:9], v[71:72], -v[8:9]
	scratch_store_b128 off, v[6:9], off offset:192
	v_cmpx_lt_u32_e32 11, v45
	s_cbranch_execz .LBB79_87
; %bb.86:
	scratch_load_b128 v[6:9], v55, off
	v_mov_b32_e32 v2, v1
	v_mov_b32_e32 v3, v1
	;; [unrolled: 1-line block ×3, first 2 shown]
	scratch_store_b128 off, v[1:4], off offset:176
	s_waitcnt vmcnt(0)
	ds_store_b128 v5, v[6:9]
.LBB79_87:
	s_or_b32 exec_lo, exec_lo, s2
	s_waitcnt lgkmcnt(0)
	s_waitcnt_vscnt null, 0x0
	s_barrier
	buffer_gl0_inv
	s_clause 0x4
	scratch_load_b128 v[6:9], off, off offset:192
	scratch_load_b128 v[61:64], off, off offset:208
	;; [unrolled: 1-line block ×5, first 2 shown]
	ds_load_b128 v[77:80], v1 offset:448
	ds_load_b128 v[81:84], v1 offset:464
	s_mov_b32 s2, exec_lo
	s_waitcnt vmcnt(4) lgkmcnt(1)
	v_mul_f64 v[2:3], v[79:80], v[8:9]
	v_mul_f64 v[8:9], v[77:78], v[8:9]
	s_waitcnt vmcnt(3) lgkmcnt(0)
	v_mul_f64 v[10:11], v[81:82], v[63:64]
	v_mul_f64 v[63:64], v[83:84], v[63:64]
	s_delay_alu instid0(VALU_DEP_4) | instskip(NEXT) | instid1(VALU_DEP_4)
	v_fma_f64 v[77:78], v[77:78], v[6:7], -v[2:3]
	v_fma_f64 v[79:80], v[79:80], v[6:7], v[8:9]
	ds_load_b128 v[6:9], v1 offset:480
	ds_load_b128 v[1:4], v1 offset:496
	v_fma_f64 v[10:11], v[83:84], v[61:62], v[10:11]
	v_fma_f64 v[61:62], v[81:82], v[61:62], -v[63:64]
	s_waitcnt vmcnt(2) lgkmcnt(1)
	v_mul_f64 v[85:86], v[6:7], v[67:68]
	v_mul_f64 v[67:68], v[8:9], v[67:68]
	v_add_f64 v[63:64], v[77:78], 0
	v_add_f64 v[77:78], v[79:80], 0
	s_waitcnt vmcnt(1) lgkmcnt(0)
	v_mul_f64 v[79:80], v[1:2], v[71:72]
	v_mul_f64 v[71:72], v[3:4], v[71:72]
	v_fma_f64 v[8:9], v[8:9], v[65:66], v[85:86]
	v_fma_f64 v[6:7], v[6:7], v[65:66], -v[67:68]
	v_add_f64 v[61:62], v[63:64], v[61:62]
	v_add_f64 v[10:11], v[77:78], v[10:11]
	v_fma_f64 v[3:4], v[3:4], v[69:70], v[79:80]
	v_fma_f64 v[1:2], v[1:2], v[69:70], -v[71:72]
	s_delay_alu instid0(VALU_DEP_4) | instskip(NEXT) | instid1(VALU_DEP_4)
	v_add_f64 v[6:7], v[61:62], v[6:7]
	v_add_f64 v[8:9], v[10:11], v[8:9]
	s_delay_alu instid0(VALU_DEP_2) | instskip(NEXT) | instid1(VALU_DEP_2)
	v_add_f64 v[1:2], v[6:7], v[1:2]
	v_add_f64 v[3:4], v[8:9], v[3:4]
	s_waitcnt vmcnt(0)
	s_delay_alu instid0(VALU_DEP_2) | instskip(NEXT) | instid1(VALU_DEP_2)
	v_add_f64 v[1:2], v[73:74], -v[1:2]
	v_add_f64 v[3:4], v[75:76], -v[3:4]
	scratch_store_b128 off, v[1:4], off offset:176
	v_cmpx_lt_u32_e32 10, v45
	s_cbranch_execz .LBB79_89
; %bb.88:
	scratch_load_b128 v[1:4], v56, off
	v_mov_b32_e32 v6, 0
	s_delay_alu instid0(VALU_DEP_1)
	v_mov_b32_e32 v7, v6
	v_mov_b32_e32 v8, v6
	;; [unrolled: 1-line block ×3, first 2 shown]
	scratch_store_b128 off, v[6:9], off offset:160
	s_waitcnt vmcnt(0)
	ds_store_b128 v5, v[1:4]
.LBB79_89:
	s_or_b32 exec_lo, exec_lo, s2
	s_waitcnt lgkmcnt(0)
	s_waitcnt_vscnt null, 0x0
	s_barrier
	buffer_gl0_inv
	s_clause 0x5
	scratch_load_b128 v[6:9], off, off offset:176
	scratch_load_b128 v[61:64], off, off offset:192
	;; [unrolled: 1-line block ×6, first 2 shown]
	v_mov_b32_e32 v1, 0
	ds_load_b128 v[81:84], v1 offset:432
	ds_load_b128 v[85:88], v1 offset:448
	s_mov_b32 s2, exec_lo
	s_waitcnt vmcnt(5) lgkmcnt(1)
	v_mul_f64 v[2:3], v[83:84], v[8:9]
	v_mul_f64 v[8:9], v[81:82], v[8:9]
	s_waitcnt vmcnt(4) lgkmcnt(0)
	v_mul_f64 v[10:11], v[85:86], v[63:64]
	v_mul_f64 v[63:64], v[87:88], v[63:64]
	s_delay_alu instid0(VALU_DEP_4) | instskip(NEXT) | instid1(VALU_DEP_4)
	v_fma_f64 v[2:3], v[81:82], v[6:7], -v[2:3]
	v_fma_f64 v[89:90], v[83:84], v[6:7], v[8:9]
	ds_load_b128 v[6:9], v1 offset:464
	ds_load_b128 v[81:84], v1 offset:480
	v_fma_f64 v[10:11], v[87:88], v[61:62], v[10:11]
	v_fma_f64 v[61:62], v[85:86], v[61:62], -v[63:64]
	s_waitcnt vmcnt(3) lgkmcnt(1)
	v_mul_f64 v[91:92], v[6:7], v[67:68]
	v_mul_f64 v[67:68], v[8:9], v[67:68]
	s_waitcnt vmcnt(2) lgkmcnt(0)
	v_mul_f64 v[85:86], v[81:82], v[71:72]
	v_mul_f64 v[71:72], v[83:84], v[71:72]
	v_add_f64 v[2:3], v[2:3], 0
	v_add_f64 v[63:64], v[89:90], 0
	v_fma_f64 v[87:88], v[8:9], v[65:66], v[91:92]
	v_fma_f64 v[65:66], v[6:7], v[65:66], -v[67:68]
	ds_load_b128 v[6:9], v1 offset:496
	v_fma_f64 v[67:68], v[83:84], v[69:70], v[85:86]
	v_fma_f64 v[69:70], v[81:82], v[69:70], -v[71:72]
	v_add_f64 v[2:3], v[2:3], v[61:62]
	v_add_f64 v[10:11], v[63:64], v[10:11]
	s_waitcnt vmcnt(1) lgkmcnt(0)
	v_mul_f64 v[61:62], v[6:7], v[75:76]
	v_mul_f64 v[63:64], v[8:9], v[75:76]
	s_delay_alu instid0(VALU_DEP_4) | instskip(NEXT) | instid1(VALU_DEP_4)
	v_add_f64 v[2:3], v[2:3], v[65:66]
	v_add_f64 v[10:11], v[10:11], v[87:88]
	s_delay_alu instid0(VALU_DEP_4) | instskip(NEXT) | instid1(VALU_DEP_4)
	v_fma_f64 v[8:9], v[8:9], v[73:74], v[61:62]
	v_fma_f64 v[6:7], v[6:7], v[73:74], -v[63:64]
	s_delay_alu instid0(VALU_DEP_4) | instskip(NEXT) | instid1(VALU_DEP_4)
	v_add_f64 v[2:3], v[2:3], v[69:70]
	v_add_f64 v[10:11], v[10:11], v[67:68]
	s_delay_alu instid0(VALU_DEP_2) | instskip(NEXT) | instid1(VALU_DEP_2)
	v_add_f64 v[2:3], v[2:3], v[6:7]
	v_add_f64 v[8:9], v[10:11], v[8:9]
	s_waitcnt vmcnt(0)
	s_delay_alu instid0(VALU_DEP_2) | instskip(NEXT) | instid1(VALU_DEP_2)
	v_add_f64 v[6:7], v[77:78], -v[2:3]
	v_add_f64 v[8:9], v[79:80], -v[8:9]
	scratch_store_b128 off, v[6:9], off offset:160
	v_cmpx_lt_u32_e32 9, v45
	s_cbranch_execz .LBB79_91
; %bb.90:
	scratch_load_b128 v[6:9], v53, off
	v_mov_b32_e32 v2, v1
	v_mov_b32_e32 v3, v1
	;; [unrolled: 1-line block ×3, first 2 shown]
	scratch_store_b128 off, v[1:4], off offset:144
	s_waitcnt vmcnt(0)
	ds_store_b128 v5, v[6:9]
.LBB79_91:
	s_or_b32 exec_lo, exec_lo, s2
	s_waitcnt lgkmcnt(0)
	s_waitcnt_vscnt null, 0x0
	s_barrier
	buffer_gl0_inv
	s_clause 0x5
	scratch_load_b128 v[6:9], off, off offset:160
	scratch_load_b128 v[61:64], off, off offset:176
	;; [unrolled: 1-line block ×6, first 2 shown]
	ds_load_b128 v[81:84], v1 offset:416
	ds_load_b128 v[89:92], v1 offset:432
	scratch_load_b128 v[85:88], off, off offset:144
	s_mov_b32 s2, exec_lo
	s_waitcnt vmcnt(6) lgkmcnt(1)
	v_mul_f64 v[2:3], v[83:84], v[8:9]
	v_mul_f64 v[8:9], v[81:82], v[8:9]
	s_waitcnt vmcnt(5) lgkmcnt(0)
	v_mul_f64 v[10:11], v[89:90], v[63:64]
	v_mul_f64 v[63:64], v[91:92], v[63:64]
	s_delay_alu instid0(VALU_DEP_4) | instskip(NEXT) | instid1(VALU_DEP_4)
	v_fma_f64 v[2:3], v[81:82], v[6:7], -v[2:3]
	v_fma_f64 v[93:94], v[83:84], v[6:7], v[8:9]
	ds_load_b128 v[6:9], v1 offset:448
	ds_load_b128 v[81:84], v1 offset:464
	v_fma_f64 v[10:11], v[91:92], v[61:62], v[10:11]
	v_fma_f64 v[61:62], v[89:90], v[61:62], -v[63:64]
	s_waitcnt vmcnt(4) lgkmcnt(1)
	v_mul_f64 v[95:96], v[6:7], v[67:68]
	v_mul_f64 v[67:68], v[8:9], v[67:68]
	s_waitcnt vmcnt(3) lgkmcnt(0)
	v_mul_f64 v[89:90], v[81:82], v[71:72]
	v_mul_f64 v[71:72], v[83:84], v[71:72]
	v_add_f64 v[2:3], v[2:3], 0
	v_add_f64 v[63:64], v[93:94], 0
	v_fma_f64 v[91:92], v[8:9], v[65:66], v[95:96]
	v_fma_f64 v[65:66], v[6:7], v[65:66], -v[67:68]
	s_delay_alu instid0(VALU_DEP_4) | instskip(NEXT) | instid1(VALU_DEP_4)
	v_add_f64 v[61:62], v[2:3], v[61:62]
	v_add_f64 v[10:11], v[63:64], v[10:11]
	ds_load_b128 v[6:9], v1 offset:480
	ds_load_b128 v[1:4], v1 offset:496
	s_waitcnt vmcnt(2) lgkmcnt(1)
	v_mul_f64 v[63:64], v[6:7], v[75:76]
	v_mul_f64 v[67:68], v[8:9], v[75:76]
	v_fma_f64 v[75:76], v[83:84], v[69:70], v[89:90]
	v_fma_f64 v[69:70], v[81:82], v[69:70], -v[71:72]
	s_waitcnt vmcnt(1) lgkmcnt(0)
	v_mul_f64 v[71:72], v[3:4], v[79:80]
	v_add_f64 v[61:62], v[61:62], v[65:66]
	v_add_f64 v[10:11], v[10:11], v[91:92]
	v_mul_f64 v[65:66], v[1:2], v[79:80]
	v_fma_f64 v[8:9], v[8:9], v[73:74], v[63:64]
	v_fma_f64 v[6:7], v[6:7], v[73:74], -v[67:68]
	v_fma_f64 v[1:2], v[1:2], v[77:78], -v[71:72]
	v_add_f64 v[61:62], v[61:62], v[69:70]
	v_add_f64 v[10:11], v[10:11], v[75:76]
	v_fma_f64 v[3:4], v[3:4], v[77:78], v[65:66]
	s_delay_alu instid0(VALU_DEP_3) | instskip(NEXT) | instid1(VALU_DEP_3)
	v_add_f64 v[6:7], v[61:62], v[6:7]
	v_add_f64 v[8:9], v[10:11], v[8:9]
	s_delay_alu instid0(VALU_DEP_2) | instskip(NEXT) | instid1(VALU_DEP_2)
	v_add_f64 v[1:2], v[6:7], v[1:2]
	v_add_f64 v[3:4], v[8:9], v[3:4]
	s_waitcnt vmcnt(0)
	s_delay_alu instid0(VALU_DEP_2) | instskip(NEXT) | instid1(VALU_DEP_2)
	v_add_f64 v[1:2], v[85:86], -v[1:2]
	v_add_f64 v[3:4], v[87:88], -v[3:4]
	scratch_store_b128 off, v[1:4], off offset:144
	v_cmpx_lt_u32_e32 8, v45
	s_cbranch_execz .LBB79_93
; %bb.92:
	scratch_load_b128 v[1:4], v54, off
	v_mov_b32_e32 v6, 0
	s_delay_alu instid0(VALU_DEP_1)
	v_mov_b32_e32 v7, v6
	v_mov_b32_e32 v8, v6
	;; [unrolled: 1-line block ×3, first 2 shown]
	scratch_store_b128 off, v[6:9], off offset:128
	s_waitcnt vmcnt(0)
	ds_store_b128 v5, v[1:4]
.LBB79_93:
	s_or_b32 exec_lo, exec_lo, s2
	s_waitcnt lgkmcnt(0)
	s_waitcnt_vscnt null, 0x0
	s_barrier
	buffer_gl0_inv
	s_clause 0x6
	scratch_load_b128 v[6:9], off, off offset:144
	scratch_load_b128 v[61:64], off, off offset:160
	;; [unrolled: 1-line block ×7, first 2 shown]
	v_mov_b32_e32 v1, 0
	scratch_load_b128 v[89:92], off, off offset:128
	s_mov_b32 s2, exec_lo
	ds_load_b128 v[85:88], v1 offset:400
	ds_load_b128 v[93:96], v1 offset:416
	s_waitcnt vmcnt(7) lgkmcnt(1)
	v_mul_f64 v[2:3], v[87:88], v[8:9]
	v_mul_f64 v[8:9], v[85:86], v[8:9]
	s_waitcnt vmcnt(6) lgkmcnt(0)
	v_mul_f64 v[10:11], v[93:94], v[63:64]
	v_mul_f64 v[63:64], v[95:96], v[63:64]
	s_delay_alu instid0(VALU_DEP_4) | instskip(NEXT) | instid1(VALU_DEP_4)
	v_fma_f64 v[2:3], v[85:86], v[6:7], -v[2:3]
	v_fma_f64 v[97:98], v[87:88], v[6:7], v[8:9]
	ds_load_b128 v[6:9], v1 offset:432
	ds_load_b128 v[85:88], v1 offset:448
	v_fma_f64 v[10:11], v[95:96], v[61:62], v[10:11]
	v_fma_f64 v[61:62], v[93:94], v[61:62], -v[63:64]
	s_waitcnt vmcnt(5) lgkmcnt(1)
	v_mul_f64 v[99:100], v[6:7], v[67:68]
	v_mul_f64 v[67:68], v[8:9], v[67:68]
	s_waitcnt vmcnt(4) lgkmcnt(0)
	v_mul_f64 v[93:94], v[85:86], v[71:72]
	v_mul_f64 v[71:72], v[87:88], v[71:72]
	v_add_f64 v[2:3], v[2:3], 0
	v_add_f64 v[63:64], v[97:98], 0
	v_fma_f64 v[95:96], v[8:9], v[65:66], v[99:100]
	v_fma_f64 v[65:66], v[6:7], v[65:66], -v[67:68]
	v_fma_f64 v[87:88], v[87:88], v[69:70], v[93:94]
	v_fma_f64 v[69:70], v[85:86], v[69:70], -v[71:72]
	v_add_f64 v[2:3], v[2:3], v[61:62]
	v_add_f64 v[10:11], v[63:64], v[10:11]
	ds_load_b128 v[6:9], v1 offset:464
	ds_load_b128 v[61:64], v1 offset:480
	s_waitcnt vmcnt(3) lgkmcnt(1)
	v_mul_f64 v[67:68], v[6:7], v[75:76]
	v_mul_f64 v[75:76], v[8:9], v[75:76]
	s_waitcnt vmcnt(2) lgkmcnt(0)
	v_mul_f64 v[71:72], v[63:64], v[79:80]
	v_add_f64 v[2:3], v[2:3], v[65:66]
	v_add_f64 v[10:11], v[10:11], v[95:96]
	v_mul_f64 v[65:66], v[61:62], v[79:80]
	v_fma_f64 v[67:68], v[8:9], v[73:74], v[67:68]
	v_fma_f64 v[73:74], v[6:7], v[73:74], -v[75:76]
	ds_load_b128 v[6:9], v1 offset:496
	v_fma_f64 v[61:62], v[61:62], v[77:78], -v[71:72]
	v_add_f64 v[2:3], v[2:3], v[69:70]
	v_add_f64 v[10:11], v[10:11], v[87:88]
	v_fma_f64 v[63:64], v[63:64], v[77:78], v[65:66]
	s_waitcnt vmcnt(1) lgkmcnt(0)
	v_mul_f64 v[69:70], v[6:7], v[83:84]
	v_mul_f64 v[75:76], v[8:9], v[83:84]
	v_add_f64 v[2:3], v[2:3], v[73:74]
	v_add_f64 v[10:11], v[10:11], v[67:68]
	s_delay_alu instid0(VALU_DEP_4) | instskip(NEXT) | instid1(VALU_DEP_4)
	v_fma_f64 v[8:9], v[8:9], v[81:82], v[69:70]
	v_fma_f64 v[6:7], v[6:7], v[81:82], -v[75:76]
	s_delay_alu instid0(VALU_DEP_4) | instskip(NEXT) | instid1(VALU_DEP_4)
	v_add_f64 v[2:3], v[2:3], v[61:62]
	v_add_f64 v[10:11], v[10:11], v[63:64]
	s_delay_alu instid0(VALU_DEP_2) | instskip(NEXT) | instid1(VALU_DEP_2)
	v_add_f64 v[2:3], v[2:3], v[6:7]
	v_add_f64 v[8:9], v[10:11], v[8:9]
	s_waitcnt vmcnt(0)
	s_delay_alu instid0(VALU_DEP_2) | instskip(NEXT) | instid1(VALU_DEP_2)
	v_add_f64 v[6:7], v[89:90], -v[2:3]
	v_add_f64 v[8:9], v[91:92], -v[8:9]
	scratch_store_b128 off, v[6:9], off offset:128
	v_cmpx_lt_u32_e32 7, v45
	s_cbranch_execz .LBB79_95
; %bb.94:
	scratch_load_b128 v[6:9], v51, off
	v_mov_b32_e32 v2, v1
	v_mov_b32_e32 v3, v1
	;; [unrolled: 1-line block ×3, first 2 shown]
	scratch_store_b128 off, v[1:4], off offset:112
	s_waitcnt vmcnt(0)
	ds_store_b128 v5, v[6:9]
.LBB79_95:
	s_or_b32 exec_lo, exec_lo, s2
	s_waitcnt lgkmcnt(0)
	s_waitcnt_vscnt null, 0x0
	s_barrier
	buffer_gl0_inv
	s_clause 0x7
	scratch_load_b128 v[6:9], off, off offset:128
	scratch_load_b128 v[61:64], off, off offset:144
	;; [unrolled: 1-line block ×8, first 2 shown]
	ds_load_b128 v[89:92], v1 offset:384
	ds_load_b128 v[93:96], v1 offset:400
	scratch_load_b128 v[97:100], off, off offset:112
	s_mov_b32 s2, exec_lo
	s_waitcnt vmcnt(8) lgkmcnt(1)
	v_mul_f64 v[2:3], v[91:92], v[8:9]
	v_mul_f64 v[8:9], v[89:90], v[8:9]
	s_waitcnt vmcnt(7) lgkmcnt(0)
	v_mul_f64 v[10:11], v[93:94], v[63:64]
	v_mul_f64 v[63:64], v[95:96], v[63:64]
	s_delay_alu instid0(VALU_DEP_4) | instskip(NEXT) | instid1(VALU_DEP_4)
	v_fma_f64 v[2:3], v[89:90], v[6:7], -v[2:3]
	v_fma_f64 v[101:102], v[91:92], v[6:7], v[8:9]
	ds_load_b128 v[6:9], v1 offset:416
	ds_load_b128 v[89:92], v1 offset:432
	v_fma_f64 v[10:11], v[95:96], v[61:62], v[10:11]
	v_fma_f64 v[61:62], v[93:94], v[61:62], -v[63:64]
	s_waitcnt vmcnt(6) lgkmcnt(1)
	v_mul_f64 v[103:104], v[6:7], v[67:68]
	v_mul_f64 v[67:68], v[8:9], v[67:68]
	s_waitcnt vmcnt(5) lgkmcnt(0)
	v_mul_f64 v[93:94], v[89:90], v[71:72]
	v_mul_f64 v[71:72], v[91:92], v[71:72]
	v_add_f64 v[2:3], v[2:3], 0
	v_add_f64 v[63:64], v[101:102], 0
	v_fma_f64 v[95:96], v[8:9], v[65:66], v[103:104]
	v_fma_f64 v[65:66], v[6:7], v[65:66], -v[67:68]
	v_fma_f64 v[91:92], v[91:92], v[69:70], v[93:94]
	v_fma_f64 v[69:70], v[89:90], v[69:70], -v[71:72]
	v_add_f64 v[2:3], v[2:3], v[61:62]
	v_add_f64 v[10:11], v[63:64], v[10:11]
	ds_load_b128 v[6:9], v1 offset:448
	ds_load_b128 v[61:64], v1 offset:464
	s_waitcnt vmcnt(4) lgkmcnt(1)
	v_mul_f64 v[67:68], v[6:7], v[75:76]
	v_mul_f64 v[75:76], v[8:9], v[75:76]
	s_waitcnt vmcnt(3) lgkmcnt(0)
	v_mul_f64 v[71:72], v[63:64], v[79:80]
	v_add_f64 v[2:3], v[2:3], v[65:66]
	v_add_f64 v[10:11], v[10:11], v[95:96]
	v_mul_f64 v[65:66], v[61:62], v[79:80]
	v_fma_f64 v[67:68], v[8:9], v[73:74], v[67:68]
	v_fma_f64 v[73:74], v[6:7], v[73:74], -v[75:76]
	v_fma_f64 v[61:62], v[61:62], v[77:78], -v[71:72]
	v_add_f64 v[69:70], v[2:3], v[69:70]
	v_add_f64 v[10:11], v[10:11], v[91:92]
	ds_load_b128 v[6:9], v1 offset:480
	ds_load_b128 v[1:4], v1 offset:496
	v_fma_f64 v[63:64], v[63:64], v[77:78], v[65:66]
	s_waitcnt vmcnt(2) lgkmcnt(1)
	v_mul_f64 v[75:76], v[6:7], v[83:84]
	v_mul_f64 v[79:80], v[8:9], v[83:84]
	v_add_f64 v[65:66], v[69:70], v[73:74]
	v_add_f64 v[10:11], v[10:11], v[67:68]
	s_waitcnt vmcnt(1) lgkmcnt(0)
	v_mul_f64 v[67:68], v[1:2], v[87:88]
	v_mul_f64 v[69:70], v[3:4], v[87:88]
	v_fma_f64 v[8:9], v[8:9], v[81:82], v[75:76]
	v_fma_f64 v[6:7], v[6:7], v[81:82], -v[79:80]
	v_add_f64 v[61:62], v[65:66], v[61:62]
	v_add_f64 v[10:11], v[10:11], v[63:64]
	v_fma_f64 v[3:4], v[3:4], v[85:86], v[67:68]
	v_fma_f64 v[1:2], v[1:2], v[85:86], -v[69:70]
	s_delay_alu instid0(VALU_DEP_4) | instskip(NEXT) | instid1(VALU_DEP_4)
	v_add_f64 v[6:7], v[61:62], v[6:7]
	v_add_f64 v[8:9], v[10:11], v[8:9]
	s_delay_alu instid0(VALU_DEP_2) | instskip(NEXT) | instid1(VALU_DEP_2)
	v_add_f64 v[1:2], v[6:7], v[1:2]
	v_add_f64 v[3:4], v[8:9], v[3:4]
	s_waitcnt vmcnt(0)
	s_delay_alu instid0(VALU_DEP_2) | instskip(NEXT) | instid1(VALU_DEP_2)
	v_add_f64 v[1:2], v[97:98], -v[1:2]
	v_add_f64 v[3:4], v[99:100], -v[3:4]
	scratch_store_b128 off, v[1:4], off offset:112
	v_cmpx_lt_u32_e32 6, v45
	s_cbranch_execz .LBB79_97
; %bb.96:
	scratch_load_b128 v[1:4], v52, off
	v_mov_b32_e32 v6, 0
	s_delay_alu instid0(VALU_DEP_1)
	v_mov_b32_e32 v7, v6
	v_mov_b32_e32 v8, v6
	;; [unrolled: 1-line block ×3, first 2 shown]
	scratch_store_b128 off, v[6:9], off offset:96
	s_waitcnt vmcnt(0)
	ds_store_b128 v5, v[1:4]
.LBB79_97:
	s_or_b32 exec_lo, exec_lo, s2
	s_waitcnt lgkmcnt(0)
	s_waitcnt_vscnt null, 0x0
	s_barrier
	buffer_gl0_inv
	s_clause 0x7
	scratch_load_b128 v[6:9], off, off offset:112
	scratch_load_b128 v[61:64], off, off offset:128
	;; [unrolled: 1-line block ×8, first 2 shown]
	v_mov_b32_e32 v1, 0
	s_mov_b32 s2, exec_lo
	ds_load_b128 v[89:92], v1 offset:368
	s_clause 0x1
	scratch_load_b128 v[93:96], off, off offset:240
	scratch_load_b128 v[97:100], off, off offset:96
	ds_load_b128 v[101:104], v1 offset:384
	s_waitcnt vmcnt(9) lgkmcnt(1)
	v_mul_f64 v[2:3], v[91:92], v[8:9]
	v_mul_f64 v[8:9], v[89:90], v[8:9]
	s_waitcnt vmcnt(8) lgkmcnt(0)
	v_mul_f64 v[10:11], v[101:102], v[63:64]
	v_mul_f64 v[63:64], v[103:104], v[63:64]
	s_delay_alu instid0(VALU_DEP_4) | instskip(NEXT) | instid1(VALU_DEP_4)
	v_fma_f64 v[2:3], v[89:90], v[6:7], -v[2:3]
	v_fma_f64 v[105:106], v[91:92], v[6:7], v[8:9]
	ds_load_b128 v[6:9], v1 offset:400
	ds_load_b128 v[89:92], v1 offset:416
	v_fma_f64 v[10:11], v[103:104], v[61:62], v[10:11]
	v_fma_f64 v[61:62], v[101:102], v[61:62], -v[63:64]
	s_waitcnt vmcnt(7) lgkmcnt(1)
	v_mul_f64 v[107:108], v[6:7], v[67:68]
	v_mul_f64 v[67:68], v[8:9], v[67:68]
	s_waitcnt vmcnt(6) lgkmcnt(0)
	v_mul_f64 v[101:102], v[89:90], v[71:72]
	v_mul_f64 v[71:72], v[91:92], v[71:72]
	v_add_f64 v[2:3], v[2:3], 0
	v_add_f64 v[63:64], v[105:106], 0
	v_fma_f64 v[103:104], v[8:9], v[65:66], v[107:108]
	v_fma_f64 v[65:66], v[6:7], v[65:66], -v[67:68]
	v_fma_f64 v[91:92], v[91:92], v[69:70], v[101:102]
	v_fma_f64 v[69:70], v[89:90], v[69:70], -v[71:72]
	v_add_f64 v[2:3], v[2:3], v[61:62]
	v_add_f64 v[10:11], v[63:64], v[10:11]
	ds_load_b128 v[6:9], v1 offset:432
	ds_load_b128 v[61:64], v1 offset:448
	s_waitcnt vmcnt(5) lgkmcnt(1)
	v_mul_f64 v[67:68], v[6:7], v[75:76]
	v_mul_f64 v[75:76], v[8:9], v[75:76]
	s_waitcnt vmcnt(4) lgkmcnt(0)
	v_mul_f64 v[71:72], v[61:62], v[79:80]
	v_mul_f64 v[79:80], v[63:64], v[79:80]
	v_add_f64 v[2:3], v[2:3], v[65:66]
	v_add_f64 v[10:11], v[10:11], v[103:104]
	v_fma_f64 v[89:90], v[8:9], v[73:74], v[67:68]
	v_fma_f64 v[73:74], v[6:7], v[73:74], -v[75:76]
	ds_load_b128 v[6:9], v1 offset:464
	ds_load_b128 v[65:68], v1 offset:480
	v_fma_f64 v[63:64], v[63:64], v[77:78], v[71:72]
	v_fma_f64 v[61:62], v[61:62], v[77:78], -v[79:80]
	v_add_f64 v[2:3], v[2:3], v[69:70]
	v_add_f64 v[10:11], v[10:11], v[91:92]
	s_waitcnt vmcnt(3) lgkmcnt(1)
	v_mul_f64 v[69:70], v[6:7], v[83:84]
	v_mul_f64 v[75:76], v[8:9], v[83:84]
	s_waitcnt vmcnt(2) lgkmcnt(0)
	v_mul_f64 v[71:72], v[65:66], v[87:88]
	v_add_f64 v[2:3], v[2:3], v[73:74]
	v_add_f64 v[10:11], v[10:11], v[89:90]
	v_mul_f64 v[73:74], v[67:68], v[87:88]
	v_fma_f64 v[69:70], v[8:9], v[81:82], v[69:70]
	v_fma_f64 v[75:76], v[6:7], v[81:82], -v[75:76]
	ds_load_b128 v[6:9], v1 offset:496
	v_fma_f64 v[67:68], v[67:68], v[85:86], v[71:72]
	v_add_f64 v[2:3], v[2:3], v[61:62]
	v_add_f64 v[10:11], v[10:11], v[63:64]
	s_waitcnt vmcnt(1) lgkmcnt(0)
	v_mul_f64 v[61:62], v[6:7], v[95:96]
	v_mul_f64 v[63:64], v[8:9], v[95:96]
	v_fma_f64 v[65:66], v[65:66], v[85:86], -v[73:74]
	v_add_f64 v[2:3], v[2:3], v[75:76]
	v_add_f64 v[10:11], v[10:11], v[69:70]
	v_fma_f64 v[8:9], v[8:9], v[93:94], v[61:62]
	v_fma_f64 v[6:7], v[6:7], v[93:94], -v[63:64]
	s_delay_alu instid0(VALU_DEP_4) | instskip(NEXT) | instid1(VALU_DEP_4)
	v_add_f64 v[2:3], v[2:3], v[65:66]
	v_add_f64 v[10:11], v[10:11], v[67:68]
	s_delay_alu instid0(VALU_DEP_2) | instskip(NEXT) | instid1(VALU_DEP_2)
	v_add_f64 v[2:3], v[2:3], v[6:7]
	v_add_f64 v[8:9], v[10:11], v[8:9]
	s_waitcnt vmcnt(0)
	s_delay_alu instid0(VALU_DEP_2) | instskip(NEXT) | instid1(VALU_DEP_2)
	v_add_f64 v[6:7], v[97:98], -v[2:3]
	v_add_f64 v[8:9], v[99:100], -v[8:9]
	scratch_store_b128 off, v[6:9], off offset:96
	v_cmpx_lt_u32_e32 5, v45
	s_cbranch_execz .LBB79_99
; %bb.98:
	scratch_load_b128 v[6:9], v48, off
	v_mov_b32_e32 v2, v1
	v_mov_b32_e32 v3, v1
	;; [unrolled: 1-line block ×3, first 2 shown]
	scratch_store_b128 off, v[1:4], off offset:80
	s_waitcnt vmcnt(0)
	ds_store_b128 v5, v[6:9]
.LBB79_99:
	s_or_b32 exec_lo, exec_lo, s2
	s_waitcnt lgkmcnt(0)
	s_waitcnt_vscnt null, 0x0
	s_barrier
	buffer_gl0_inv
	s_clause 0x8
	scratch_load_b128 v[6:9], off, off offset:96
	scratch_load_b128 v[61:64], off, off offset:112
	;; [unrolled: 1-line block ×9, first 2 shown]
	ds_load_b128 v[93:96], v1 offset:352
	ds_load_b128 v[97:100], v1 offset:368
	scratch_load_b128 v[101:104], off, off offset:80
	s_mov_b32 s2, exec_lo
	s_waitcnt vmcnt(9) lgkmcnt(1)
	v_mul_f64 v[2:3], v[95:96], v[8:9]
	v_mul_f64 v[105:106], v[93:94], v[8:9]
	scratch_load_b128 v[8:11], off, off offset:240
	s_waitcnt vmcnt(9) lgkmcnt(0)
	v_mul_f64 v[109:110], v[97:98], v[63:64]
	v_mul_f64 v[63:64], v[99:100], v[63:64]
	v_fma_f64 v[2:3], v[93:94], v[6:7], -v[2:3]
	v_fma_f64 v[6:7], v[95:96], v[6:7], v[105:106]
	ds_load_b128 v[93:96], v1 offset:384
	ds_load_b128 v[105:108], v1 offset:400
	v_fma_f64 v[99:100], v[99:100], v[61:62], v[109:110]
	v_fma_f64 v[61:62], v[97:98], v[61:62], -v[63:64]
	s_waitcnt vmcnt(8) lgkmcnt(1)
	v_mul_f64 v[111:112], v[93:94], v[67:68]
	v_mul_f64 v[67:68], v[95:96], v[67:68]
	s_waitcnt vmcnt(7) lgkmcnt(0)
	v_mul_f64 v[97:98], v[105:106], v[71:72]
	v_mul_f64 v[71:72], v[107:108], v[71:72]
	v_add_f64 v[2:3], v[2:3], 0
	v_add_f64 v[6:7], v[6:7], 0
	v_fma_f64 v[95:96], v[95:96], v[65:66], v[111:112]
	v_fma_f64 v[93:94], v[93:94], v[65:66], -v[67:68]
	v_fma_f64 v[97:98], v[107:108], v[69:70], v[97:98]
	v_fma_f64 v[69:70], v[105:106], v[69:70], -v[71:72]
	v_add_f64 v[2:3], v[2:3], v[61:62]
	v_add_f64 v[6:7], v[6:7], v[99:100]
	ds_load_b128 v[61:64], v1 offset:416
	ds_load_b128 v[65:68], v1 offset:432
	s_waitcnt vmcnt(6) lgkmcnt(1)
	v_mul_f64 v[99:100], v[61:62], v[75:76]
	v_mul_f64 v[75:76], v[63:64], v[75:76]
	v_add_f64 v[2:3], v[2:3], v[93:94]
	v_add_f64 v[6:7], v[6:7], v[95:96]
	s_waitcnt vmcnt(5) lgkmcnt(0)
	v_mul_f64 v[93:94], v[65:66], v[79:80]
	v_mul_f64 v[79:80], v[67:68], v[79:80]
	v_fma_f64 v[95:96], v[63:64], v[73:74], v[99:100]
	v_fma_f64 v[73:74], v[61:62], v[73:74], -v[75:76]
	v_add_f64 v[2:3], v[2:3], v[69:70]
	v_add_f64 v[6:7], v[6:7], v[97:98]
	ds_load_b128 v[61:64], v1 offset:448
	ds_load_b128 v[69:72], v1 offset:464
	v_fma_f64 v[67:68], v[67:68], v[77:78], v[93:94]
	v_fma_f64 v[65:66], v[65:66], v[77:78], -v[79:80]
	s_waitcnt vmcnt(4) lgkmcnt(1)
	v_mul_f64 v[75:76], v[61:62], v[83:84]
	v_mul_f64 v[83:84], v[63:64], v[83:84]
	s_waitcnt vmcnt(3) lgkmcnt(0)
	v_mul_f64 v[77:78], v[71:72], v[87:88]
	v_add_f64 v[2:3], v[2:3], v[73:74]
	v_add_f64 v[6:7], v[6:7], v[95:96]
	v_mul_f64 v[73:74], v[69:70], v[87:88]
	v_fma_f64 v[75:76], v[63:64], v[81:82], v[75:76]
	v_fma_f64 v[79:80], v[61:62], v[81:82], -v[83:84]
	v_fma_f64 v[69:70], v[69:70], v[85:86], -v[77:78]
	v_add_f64 v[65:66], v[2:3], v[65:66]
	v_add_f64 v[6:7], v[6:7], v[67:68]
	ds_load_b128 v[61:64], v1 offset:480
	ds_load_b128 v[1:4], v1 offset:496
	v_fma_f64 v[71:72], v[71:72], v[85:86], v[73:74]
	s_waitcnt vmcnt(2) lgkmcnt(1)
	v_mul_f64 v[67:68], v[61:62], v[91:92]
	v_mul_f64 v[81:82], v[63:64], v[91:92]
	v_add_f64 v[65:66], v[65:66], v[79:80]
	v_add_f64 v[6:7], v[6:7], v[75:76]
	s_waitcnt vmcnt(0) lgkmcnt(0)
	v_mul_f64 v[73:74], v[1:2], v[10:11]
	v_mul_f64 v[10:11], v[3:4], v[10:11]
	v_fma_f64 v[63:64], v[63:64], v[89:90], v[67:68]
	v_fma_f64 v[61:62], v[61:62], v[89:90], -v[81:82]
	v_add_f64 v[65:66], v[65:66], v[69:70]
	v_add_f64 v[6:7], v[6:7], v[71:72]
	v_fma_f64 v[3:4], v[3:4], v[8:9], v[73:74]
	v_fma_f64 v[1:2], v[1:2], v[8:9], -v[10:11]
	s_delay_alu instid0(VALU_DEP_4) | instskip(NEXT) | instid1(VALU_DEP_4)
	v_add_f64 v[8:9], v[65:66], v[61:62]
	v_add_f64 v[6:7], v[6:7], v[63:64]
	s_delay_alu instid0(VALU_DEP_2) | instskip(NEXT) | instid1(VALU_DEP_2)
	v_add_f64 v[1:2], v[8:9], v[1:2]
	v_add_f64 v[3:4], v[6:7], v[3:4]
	s_delay_alu instid0(VALU_DEP_2) | instskip(NEXT) | instid1(VALU_DEP_2)
	v_add_f64 v[1:2], v[101:102], -v[1:2]
	v_add_f64 v[3:4], v[103:104], -v[3:4]
	scratch_store_b128 off, v[1:4], off offset:80
	v_cmpx_lt_u32_e32 4, v45
	s_cbranch_execz .LBB79_101
; %bb.100:
	scratch_load_b128 v[1:4], v50, off
	v_mov_b32_e32 v6, 0
	s_delay_alu instid0(VALU_DEP_1)
	v_mov_b32_e32 v7, v6
	v_mov_b32_e32 v8, v6
	;; [unrolled: 1-line block ×3, first 2 shown]
	scratch_store_b128 off, v[6:9], off offset:64
	s_waitcnt vmcnt(0)
	ds_store_b128 v5, v[1:4]
.LBB79_101:
	s_or_b32 exec_lo, exec_lo, s2
	s_waitcnt lgkmcnt(0)
	s_waitcnt_vscnt null, 0x0
	s_barrier
	buffer_gl0_inv
	s_clause 0x7
	scratch_load_b128 v[6:9], off, off offset:80
	scratch_load_b128 v[61:64], off, off offset:96
	scratch_load_b128 v[65:68], off, off offset:112
	scratch_load_b128 v[69:72], off, off offset:128
	scratch_load_b128 v[73:76], off, off offset:144
	scratch_load_b128 v[77:80], off, off offset:160
	scratch_load_b128 v[81:84], off, off offset:176
	scratch_load_b128 v[85:88], off, off offset:192
	v_mov_b32_e32 v1, 0
	s_mov_b32 s2, exec_lo
	ds_load_b128 v[89:92], v1 offset:336
	s_clause 0x1
	scratch_load_b128 v[93:96], off, off offset:208
	scratch_load_b128 v[97:100], off, off offset:64
	ds_load_b128 v[101:104], v1 offset:352
	ds_load_b128 v[109:112], v1 offset:384
	s_waitcnt vmcnt(9) lgkmcnt(2)
	v_mul_f64 v[2:3], v[91:92], v[8:9]
	v_mul_f64 v[105:106], v[89:90], v[8:9]
	scratch_load_b128 v[8:11], off, off offset:224
	v_fma_f64 v[2:3], v[89:90], v[6:7], -v[2:3]
	v_fma_f64 v[6:7], v[91:92], v[6:7], v[105:106]
	scratch_load_b128 v[105:108], off, off offset:240
	ds_load_b128 v[89:92], v1 offset:368
	s_waitcnt vmcnt(10) lgkmcnt(2)
	v_mul_f64 v[113:114], v[101:102], v[63:64]
	v_mul_f64 v[63:64], v[103:104], v[63:64]
	s_waitcnt vmcnt(9) lgkmcnt(0)
	v_mul_f64 v[115:116], v[89:90], v[67:68]
	v_mul_f64 v[67:68], v[91:92], v[67:68]
	v_add_f64 v[2:3], v[2:3], 0
	v_add_f64 v[6:7], v[6:7], 0
	v_fma_f64 v[103:104], v[103:104], v[61:62], v[113:114]
	v_fma_f64 v[61:62], v[101:102], v[61:62], -v[63:64]
	s_waitcnt vmcnt(8)
	v_mul_f64 v[101:102], v[109:110], v[71:72]
	v_mul_f64 v[71:72], v[111:112], v[71:72]
	v_fma_f64 v[91:92], v[91:92], v[65:66], v[115:116]
	v_fma_f64 v[89:90], v[89:90], v[65:66], -v[67:68]
	v_add_f64 v[6:7], v[6:7], v[103:104]
	v_add_f64 v[2:3], v[2:3], v[61:62]
	ds_load_b128 v[61:64], v1 offset:400
	ds_load_b128 v[65:68], v1 offset:416
	v_fma_f64 v[101:102], v[111:112], v[69:70], v[101:102]
	v_fma_f64 v[69:70], v[109:110], v[69:70], -v[71:72]
	s_waitcnt vmcnt(7) lgkmcnt(1)
	v_mul_f64 v[103:104], v[61:62], v[75:76]
	v_mul_f64 v[75:76], v[63:64], v[75:76]
	v_add_f64 v[6:7], v[6:7], v[91:92]
	v_add_f64 v[2:3], v[2:3], v[89:90]
	s_waitcnt vmcnt(6) lgkmcnt(0)
	v_mul_f64 v[89:90], v[65:66], v[79:80]
	v_mul_f64 v[79:80], v[67:68], v[79:80]
	v_fma_f64 v[91:92], v[63:64], v[73:74], v[103:104]
	v_fma_f64 v[73:74], v[61:62], v[73:74], -v[75:76]
	v_add_f64 v[6:7], v[6:7], v[101:102]
	v_add_f64 v[2:3], v[2:3], v[69:70]
	ds_load_b128 v[61:64], v1 offset:432
	ds_load_b128 v[69:72], v1 offset:448
	v_fma_f64 v[67:68], v[67:68], v[77:78], v[89:90]
	v_fma_f64 v[65:66], v[65:66], v[77:78], -v[79:80]
	s_waitcnt vmcnt(5) lgkmcnt(1)
	v_mul_f64 v[75:76], v[61:62], v[83:84]
	v_mul_f64 v[83:84], v[63:64], v[83:84]
	s_waitcnt vmcnt(4) lgkmcnt(0)
	v_mul_f64 v[77:78], v[71:72], v[87:88]
	v_add_f64 v[6:7], v[6:7], v[91:92]
	v_add_f64 v[2:3], v[2:3], v[73:74]
	v_mul_f64 v[73:74], v[69:70], v[87:88]
	v_fma_f64 v[75:76], v[63:64], v[81:82], v[75:76]
	v_fma_f64 v[79:80], v[61:62], v[81:82], -v[83:84]
	v_fma_f64 v[69:70], v[69:70], v[85:86], -v[77:78]
	v_add_f64 v[6:7], v[6:7], v[67:68]
	v_add_f64 v[2:3], v[2:3], v[65:66]
	ds_load_b128 v[61:64], v1 offset:464
	ds_load_b128 v[65:68], v1 offset:480
	v_fma_f64 v[71:72], v[71:72], v[85:86], v[73:74]
	s_waitcnt vmcnt(3) lgkmcnt(1)
	v_mul_f64 v[81:82], v[61:62], v[95:96]
	v_mul_f64 v[83:84], v[63:64], v[95:96]
	v_add_f64 v[6:7], v[6:7], v[75:76]
	v_add_f64 v[2:3], v[2:3], v[79:80]
	s_waitcnt vmcnt(1) lgkmcnt(0)
	v_mul_f64 v[73:74], v[65:66], v[10:11]
	v_mul_f64 v[10:11], v[67:68], v[10:11]
	v_fma_f64 v[75:76], v[63:64], v[93:94], v[81:82]
	v_fma_f64 v[77:78], v[61:62], v[93:94], -v[83:84]
	ds_load_b128 v[61:64], v1 offset:496
	v_add_f64 v[6:7], v[6:7], v[71:72]
	v_add_f64 v[2:3], v[2:3], v[69:70]
	s_waitcnt vmcnt(0) lgkmcnt(0)
	v_mul_f64 v[69:70], v[61:62], v[107:108]
	v_mul_f64 v[71:72], v[63:64], v[107:108]
	v_fma_f64 v[67:68], v[67:68], v[8:9], v[73:74]
	v_fma_f64 v[8:9], v[65:66], v[8:9], -v[10:11]
	v_add_f64 v[6:7], v[6:7], v[75:76]
	v_add_f64 v[2:3], v[2:3], v[77:78]
	v_fma_f64 v[10:11], v[63:64], v[105:106], v[69:70]
	v_fma_f64 v[61:62], v[61:62], v[105:106], -v[71:72]
	s_delay_alu instid0(VALU_DEP_4) | instskip(NEXT) | instid1(VALU_DEP_4)
	v_add_f64 v[6:7], v[6:7], v[67:68]
	v_add_f64 v[2:3], v[2:3], v[8:9]
	s_delay_alu instid0(VALU_DEP_2) | instskip(NEXT) | instid1(VALU_DEP_2)
	v_add_f64 v[8:9], v[6:7], v[10:11]
	v_add_f64 v[2:3], v[2:3], v[61:62]
	s_delay_alu instid0(VALU_DEP_2) | instskip(NEXT) | instid1(VALU_DEP_2)
	v_add_f64 v[8:9], v[99:100], -v[8:9]
	v_add_f64 v[6:7], v[97:98], -v[2:3]
	scratch_store_b128 off, v[6:9], off offset:64
	v_cmpx_lt_u32_e32 3, v45
	s_cbranch_execz .LBB79_103
; %bb.102:
	scratch_load_b128 v[6:9], v46, off
	v_mov_b32_e32 v2, v1
	v_mov_b32_e32 v3, v1
	;; [unrolled: 1-line block ×3, first 2 shown]
	scratch_store_b128 off, v[1:4], off offset:48
	s_waitcnt vmcnt(0)
	ds_store_b128 v5, v[6:9]
.LBB79_103:
	s_or_b32 exec_lo, exec_lo, s2
	s_waitcnt lgkmcnt(0)
	s_waitcnt_vscnt null, 0x0
	s_barrier
	buffer_gl0_inv
	s_clause 0x8
	scratch_load_b128 v[6:9], off, off offset:64
	scratch_load_b128 v[61:64], off, off offset:80
	;; [unrolled: 1-line block ×9, first 2 shown]
	ds_load_b128 v[93:96], v1 offset:320
	ds_load_b128 v[97:100], v1 offset:336
	scratch_load_b128 v[101:104], off, off offset:48
	s_mov_b32 s2, exec_lo
	ds_load_b128 v[109:112], v1 offset:368
	s_waitcnt vmcnt(9) lgkmcnt(2)
	v_mul_f64 v[2:3], v[95:96], v[8:9]
	v_mul_f64 v[105:106], v[93:94], v[8:9]
	scratch_load_b128 v[8:11], off, off offset:208
	s_waitcnt vmcnt(9) lgkmcnt(1)
	v_mul_f64 v[113:114], v[97:98], v[63:64]
	v_mul_f64 v[63:64], v[99:100], v[63:64]
	v_fma_f64 v[2:3], v[93:94], v[6:7], -v[2:3]
	v_fma_f64 v[6:7], v[95:96], v[6:7], v[105:106]
	ds_load_b128 v[93:96], v1 offset:352
	scratch_load_b128 v[105:108], off, off offset:224
	v_fma_f64 v[99:100], v[99:100], v[61:62], v[113:114]
	v_fma_f64 v[97:98], v[97:98], v[61:62], -v[63:64]
	scratch_load_b128 v[61:64], off, off offset:240
	s_waitcnt vmcnt(9) lgkmcnt(1)
	v_mul_f64 v[113:114], v[109:110], v[71:72]
	v_mul_f64 v[71:72], v[111:112], v[71:72]
	s_waitcnt lgkmcnt(0)
	v_mul_f64 v[115:116], v[93:94], v[67:68]
	v_mul_f64 v[67:68], v[95:96], v[67:68]
	v_add_f64 v[2:3], v[2:3], 0
	v_add_f64 v[6:7], v[6:7], 0
	s_delay_alu instid0(VALU_DEP_4) | instskip(NEXT) | instid1(VALU_DEP_4)
	v_fma_f64 v[115:116], v[95:96], v[65:66], v[115:116]
	v_fma_f64 v[117:118], v[93:94], v[65:66], -v[67:68]
	ds_load_b128 v[65:68], v1 offset:384
	ds_load_b128 v[93:96], v1 offset:400
	v_add_f64 v[2:3], v[2:3], v[97:98]
	v_add_f64 v[6:7], v[6:7], v[99:100]
	v_fma_f64 v[99:100], v[111:112], v[69:70], v[113:114]
	v_fma_f64 v[69:70], v[109:110], v[69:70], -v[71:72]
	s_waitcnt vmcnt(8) lgkmcnt(1)
	v_mul_f64 v[97:98], v[65:66], v[75:76]
	v_mul_f64 v[75:76], v[67:68], v[75:76]
	s_waitcnt vmcnt(7) lgkmcnt(0)
	v_mul_f64 v[109:110], v[93:94], v[79:80]
	v_mul_f64 v[79:80], v[95:96], v[79:80]
	v_add_f64 v[2:3], v[2:3], v[117:118]
	v_add_f64 v[6:7], v[6:7], v[115:116]
	v_fma_f64 v[97:98], v[67:68], v[73:74], v[97:98]
	v_fma_f64 v[73:74], v[65:66], v[73:74], -v[75:76]
	v_fma_f64 v[95:96], v[95:96], v[77:78], v[109:110]
	v_fma_f64 v[77:78], v[93:94], v[77:78], -v[79:80]
	v_add_f64 v[2:3], v[2:3], v[69:70]
	v_add_f64 v[6:7], v[6:7], v[99:100]
	ds_load_b128 v[65:68], v1 offset:416
	ds_load_b128 v[69:72], v1 offset:432
	s_waitcnt vmcnt(6) lgkmcnt(1)
	v_mul_f64 v[75:76], v[65:66], v[83:84]
	v_mul_f64 v[83:84], v[67:68], v[83:84]
	s_waitcnt vmcnt(5) lgkmcnt(0)
	v_mul_f64 v[79:80], v[69:70], v[87:88]
	v_mul_f64 v[87:88], v[71:72], v[87:88]
	v_add_f64 v[2:3], v[2:3], v[73:74]
	v_add_f64 v[6:7], v[6:7], v[97:98]
	v_fma_f64 v[93:94], v[67:68], v[81:82], v[75:76]
	v_fma_f64 v[81:82], v[65:66], v[81:82], -v[83:84]
	ds_load_b128 v[65:68], v1 offset:448
	ds_load_b128 v[73:76], v1 offset:464
	v_fma_f64 v[71:72], v[71:72], v[85:86], v[79:80]
	v_fma_f64 v[69:70], v[69:70], v[85:86], -v[87:88]
	v_add_f64 v[2:3], v[2:3], v[77:78]
	v_add_f64 v[6:7], v[6:7], v[95:96]
	s_waitcnt vmcnt(4) lgkmcnt(1)
	v_mul_f64 v[77:78], v[65:66], v[91:92]
	v_mul_f64 v[83:84], v[67:68], v[91:92]
	s_delay_alu instid0(VALU_DEP_4) | instskip(NEXT) | instid1(VALU_DEP_4)
	v_add_f64 v[2:3], v[2:3], v[81:82]
	v_add_f64 v[6:7], v[6:7], v[93:94]
	s_delay_alu instid0(VALU_DEP_4) | instskip(NEXT) | instid1(VALU_DEP_4)
	v_fma_f64 v[77:78], v[67:68], v[89:90], v[77:78]
	v_fma_f64 v[81:82], v[65:66], v[89:90], -v[83:84]
	s_waitcnt vmcnt(2) lgkmcnt(0)
	v_mul_f64 v[79:80], v[73:74], v[10:11]
	v_mul_f64 v[10:11], v[75:76], v[10:11]
	v_add_f64 v[69:70], v[2:3], v[69:70]
	v_add_f64 v[6:7], v[6:7], v[71:72]
	ds_load_b128 v[65:68], v1 offset:480
	ds_load_b128 v[1:4], v1 offset:496
	v_fma_f64 v[75:76], v[75:76], v[8:9], v[79:80]
	v_fma_f64 v[8:9], v[73:74], v[8:9], -v[10:11]
	s_waitcnt vmcnt(1) lgkmcnt(1)
	v_mul_f64 v[71:72], v[65:66], v[107:108]
	v_mul_f64 v[83:84], v[67:68], v[107:108]
	v_add_f64 v[10:11], v[69:70], v[81:82]
	v_add_f64 v[6:7], v[6:7], v[77:78]
	s_waitcnt vmcnt(0) lgkmcnt(0)
	v_mul_f64 v[69:70], v[1:2], v[63:64]
	v_mul_f64 v[63:64], v[3:4], v[63:64]
	v_fma_f64 v[67:68], v[67:68], v[105:106], v[71:72]
	v_fma_f64 v[65:66], v[65:66], v[105:106], -v[83:84]
	v_add_f64 v[8:9], v[10:11], v[8:9]
	v_add_f64 v[6:7], v[6:7], v[75:76]
	v_fma_f64 v[3:4], v[3:4], v[61:62], v[69:70]
	v_fma_f64 v[1:2], v[1:2], v[61:62], -v[63:64]
	s_delay_alu instid0(VALU_DEP_4) | instskip(NEXT) | instid1(VALU_DEP_4)
	v_add_f64 v[8:9], v[8:9], v[65:66]
	v_add_f64 v[6:7], v[6:7], v[67:68]
	s_delay_alu instid0(VALU_DEP_2) | instskip(NEXT) | instid1(VALU_DEP_2)
	v_add_f64 v[1:2], v[8:9], v[1:2]
	v_add_f64 v[3:4], v[6:7], v[3:4]
	s_delay_alu instid0(VALU_DEP_2) | instskip(NEXT) | instid1(VALU_DEP_2)
	v_add_f64 v[1:2], v[101:102], -v[1:2]
	v_add_f64 v[3:4], v[103:104], -v[3:4]
	scratch_store_b128 off, v[1:4], off offset:48
	v_cmpx_lt_u32_e32 2, v45
	s_cbranch_execz .LBB79_105
; %bb.104:
	scratch_load_b128 v[1:4], v47, off
	v_mov_b32_e32 v6, 0
	s_delay_alu instid0(VALU_DEP_1)
	v_mov_b32_e32 v7, v6
	v_mov_b32_e32 v8, v6
	;; [unrolled: 1-line block ×3, first 2 shown]
	scratch_store_b128 off, v[6:9], off offset:32
	s_waitcnt vmcnt(0)
	ds_store_b128 v5, v[1:4]
.LBB79_105:
	s_or_b32 exec_lo, exec_lo, s2
	s_waitcnt lgkmcnt(0)
	s_waitcnt_vscnt null, 0x0
	s_barrier
	buffer_gl0_inv
	s_clause 0x7
	scratch_load_b128 v[6:9], off, off offset:48
	scratch_load_b128 v[61:64], off, off offset:64
	;; [unrolled: 1-line block ×8, first 2 shown]
	v_mov_b32_e32 v1, 0
	s_clause 0x1
	scratch_load_b128 v[93:96], off, off offset:176
	scratch_load_b128 v[97:100], off, off offset:192
	s_mov_b32 s2, exec_lo
	ds_load_b128 v[89:92], v1 offset:304
	s_waitcnt vmcnt(9) lgkmcnt(0)
	v_mul_f64 v[2:3], v[91:92], v[8:9]
	v_mul_f64 v[101:102], v[89:90], v[8:9]
	ds_load_b128 v[8:11], v1 offset:320
	v_fma_f64 v[2:3], v[89:90], v[6:7], -v[2:3]
	v_fma_f64 v[6:7], v[91:92], v[6:7], v[101:102]
	ds_load_b128 v[89:92], v1 offset:336
	s_waitcnt vmcnt(8) lgkmcnt(1)
	v_mul_f64 v[105:106], v[8:9], v[63:64]
	v_mul_f64 v[63:64], v[10:11], v[63:64]
	scratch_load_b128 v[101:104], off, off offset:208
	s_waitcnt vmcnt(8) lgkmcnt(0)
	v_mul_f64 v[107:108], v[89:90], v[67:68]
	v_mul_f64 v[67:68], v[91:92], v[67:68]
	v_add_f64 v[2:3], v[2:3], 0
	v_add_f64 v[109:110], v[6:7], 0
	v_fma_f64 v[10:11], v[10:11], v[61:62], v[105:106]
	v_fma_f64 v[105:106], v[8:9], v[61:62], -v[63:64]
	ds_load_b128 v[6:9], v1 offset:352
	scratch_load_b128 v[61:64], off, off offset:224
	v_fma_f64 v[107:108], v[91:92], v[65:66], v[107:108]
	v_fma_f64 v[113:114], v[89:90], v[65:66], -v[67:68]
	scratch_load_b128 v[89:92], off, off offset:240
	ds_load_b128 v[65:68], v1 offset:368
	s_waitcnt vmcnt(9) lgkmcnt(1)
	v_mul_f64 v[111:112], v[6:7], v[71:72]
	v_mul_f64 v[71:72], v[8:9], v[71:72]
	v_add_f64 v[10:11], v[109:110], v[10:11]
	v_add_f64 v[2:3], v[2:3], v[105:106]
	s_waitcnt vmcnt(8) lgkmcnt(0)
	v_mul_f64 v[105:106], v[65:66], v[75:76]
	v_mul_f64 v[75:76], v[67:68], v[75:76]
	v_fma_f64 v[109:110], v[8:9], v[69:70], v[111:112]
	v_fma_f64 v[69:70], v[6:7], v[69:70], -v[71:72]
	ds_load_b128 v[6:9], v1 offset:384
	v_add_f64 v[10:11], v[10:11], v[107:108]
	v_add_f64 v[2:3], v[2:3], v[113:114]
	v_fma_f64 v[105:106], v[67:68], v[73:74], v[105:106]
	v_fma_f64 v[73:74], v[65:66], v[73:74], -v[75:76]
	ds_load_b128 v[65:68], v1 offset:400
	s_waitcnt vmcnt(7) lgkmcnt(1)
	v_mul_f64 v[71:72], v[6:7], v[79:80]
	v_mul_f64 v[79:80], v[8:9], v[79:80]
	s_waitcnt vmcnt(6) lgkmcnt(0)
	v_mul_f64 v[75:76], v[65:66], v[83:84]
	v_mul_f64 v[83:84], v[67:68], v[83:84]
	v_add_f64 v[10:11], v[10:11], v[109:110]
	v_add_f64 v[2:3], v[2:3], v[69:70]
	v_fma_f64 v[107:108], v[8:9], v[77:78], v[71:72]
	v_fma_f64 v[77:78], v[6:7], v[77:78], -v[79:80]
	ds_load_b128 v[6:9], v1 offset:416
	scratch_load_b128 v[69:72], off, off offset:32
	v_fma_f64 v[75:76], v[67:68], v[81:82], v[75:76]
	v_fma_f64 v[81:82], v[65:66], v[81:82], -v[83:84]
	ds_load_b128 v[65:68], v1 offset:432
	s_waitcnt vmcnt(6) lgkmcnt(1)
	v_mul_f64 v[79:80], v[8:9], v[87:88]
	v_add_f64 v[10:11], v[10:11], v[105:106]
	v_add_f64 v[2:3], v[2:3], v[73:74]
	v_mul_f64 v[73:74], v[6:7], v[87:88]
	s_waitcnt vmcnt(5) lgkmcnt(0)
	v_mul_f64 v[83:84], v[67:68], v[95:96]
	v_fma_f64 v[79:80], v[6:7], v[85:86], -v[79:80]
	v_add_f64 v[10:11], v[10:11], v[107:108]
	v_add_f64 v[2:3], v[2:3], v[77:78]
	v_mul_f64 v[77:78], v[65:66], v[95:96]
	v_fma_f64 v[73:74], v[8:9], v[85:86], v[73:74]
	ds_load_b128 v[6:9], v1 offset:448
	v_fma_f64 v[83:84], v[65:66], v[93:94], -v[83:84]
	v_add_f64 v[10:11], v[10:11], v[75:76]
	v_add_f64 v[2:3], v[2:3], v[81:82]
	v_fma_f64 v[77:78], v[67:68], v[93:94], v[77:78]
	ds_load_b128 v[65:68], v1 offset:464
	s_waitcnt vmcnt(4) lgkmcnt(1)
	v_mul_f64 v[75:76], v[6:7], v[99:100]
	v_mul_f64 v[81:82], v[8:9], v[99:100]
	v_add_f64 v[10:11], v[10:11], v[73:74]
	v_add_f64 v[2:3], v[2:3], v[79:80]
	s_delay_alu instid0(VALU_DEP_4) | instskip(NEXT) | instid1(VALU_DEP_4)
	v_fma_f64 v[75:76], v[8:9], v[97:98], v[75:76]
	v_fma_f64 v[81:82], v[6:7], v[97:98], -v[81:82]
	ds_load_b128 v[6:9], v1 offset:480
	s_waitcnt vmcnt(3) lgkmcnt(1)
	v_mul_f64 v[73:74], v[65:66], v[103:104]
	v_mul_f64 v[79:80], v[67:68], v[103:104]
	v_add_f64 v[10:11], v[10:11], v[77:78]
	v_add_f64 v[2:3], v[2:3], v[83:84]
	s_delay_alu instid0(VALU_DEP_4)
	v_fma_f64 v[67:68], v[67:68], v[101:102], v[73:74]
	s_waitcnt vmcnt(2) lgkmcnt(0)
	v_mul_f64 v[77:78], v[6:7], v[63:64]
	v_mul_f64 v[83:84], v[8:9], v[63:64]
	v_fma_f64 v[73:74], v[65:66], v[101:102], -v[79:80]
	ds_load_b128 v[63:66], v1 offset:496
	v_add_f64 v[10:11], v[10:11], v[75:76]
	v_add_f64 v[2:3], v[2:3], v[81:82]
	s_waitcnt vmcnt(1) lgkmcnt(0)
	v_mul_f64 v[75:76], v[63:64], v[91:92]
	v_mul_f64 v[79:80], v[65:66], v[91:92]
	v_fma_f64 v[8:9], v[8:9], v[61:62], v[77:78]
	v_fma_f64 v[6:7], v[6:7], v[61:62], -v[83:84]
	v_add_f64 v[10:11], v[10:11], v[67:68]
	v_add_f64 v[2:3], v[2:3], v[73:74]
	v_fma_f64 v[61:62], v[65:66], v[89:90], v[75:76]
	v_fma_f64 v[63:64], v[63:64], v[89:90], -v[79:80]
	s_delay_alu instid0(VALU_DEP_3) | instskip(SKIP_1) | instid1(VALU_DEP_2)
	v_add_f64 v[2:3], v[2:3], v[6:7]
	v_add_f64 v[6:7], v[10:11], v[8:9]
	;; [unrolled: 1-line block ×3, first 2 shown]
	s_delay_alu instid0(VALU_DEP_2) | instskip(SKIP_1) | instid1(VALU_DEP_2)
	v_add_f64 v[8:9], v[6:7], v[61:62]
	s_waitcnt vmcnt(0)
	v_add_f64 v[6:7], v[69:70], -v[2:3]
	s_delay_alu instid0(VALU_DEP_2)
	v_add_f64 v[8:9], v[71:72], -v[8:9]
	scratch_store_b128 off, v[6:9], off offset:32
	v_cmpx_lt_u32_e32 1, v45
	s_cbranch_execz .LBB79_107
; %bb.106:
	scratch_load_b128 v[6:9], v49, off
	v_mov_b32_e32 v2, v1
	v_mov_b32_e32 v3, v1
	;; [unrolled: 1-line block ×3, first 2 shown]
	scratch_store_b128 off, v[1:4], off offset:16
	s_waitcnt vmcnt(0)
	ds_store_b128 v5, v[6:9]
.LBB79_107:
	s_or_b32 exec_lo, exec_lo, s2
	s_waitcnt lgkmcnt(0)
	s_waitcnt_vscnt null, 0x0
	s_barrier
	buffer_gl0_inv
	s_clause 0x7
	scratch_load_b128 v[6:9], off, off offset:32
	scratch_load_b128 v[61:64], off, off offset:48
	;; [unrolled: 1-line block ×8, first 2 shown]
	ds_load_b128 v[89:92], v1 offset:288
	s_clause 0x1
	scratch_load_b128 v[93:96], off, off offset:160
	scratch_load_b128 v[97:100], off, off offset:176
	s_mov_b32 s2, exec_lo
	s_waitcnt vmcnt(9) lgkmcnt(0)
	v_mul_f64 v[2:3], v[91:92], v[8:9]
	v_mul_f64 v[101:102], v[89:90], v[8:9]
	ds_load_b128 v[8:11], v1 offset:304
	v_fma_f64 v[2:3], v[89:90], v[6:7], -v[2:3]
	v_fma_f64 v[6:7], v[91:92], v[6:7], v[101:102]
	ds_load_b128 v[89:92], v1 offset:320
	s_waitcnt vmcnt(8) lgkmcnt(1)
	v_mul_f64 v[105:106], v[8:9], v[63:64]
	v_mul_f64 v[63:64], v[10:11], v[63:64]
	scratch_load_b128 v[101:104], off, off offset:192
	s_waitcnt vmcnt(8) lgkmcnt(0)
	v_mul_f64 v[107:108], v[89:90], v[67:68]
	v_mul_f64 v[67:68], v[91:92], v[67:68]
	v_add_f64 v[2:3], v[2:3], 0
	v_add_f64 v[109:110], v[6:7], 0
	v_fma_f64 v[10:11], v[10:11], v[61:62], v[105:106]
	v_fma_f64 v[105:106], v[8:9], v[61:62], -v[63:64]
	ds_load_b128 v[6:9], v1 offset:336
	scratch_load_b128 v[61:64], off, off offset:208
	v_fma_f64 v[107:108], v[91:92], v[65:66], v[107:108]
	v_fma_f64 v[113:114], v[89:90], v[65:66], -v[67:68]
	scratch_load_b128 v[89:92], off, off offset:224
	ds_load_b128 v[65:68], v1 offset:352
	s_waitcnt vmcnt(9) lgkmcnt(1)
	v_mul_f64 v[111:112], v[6:7], v[71:72]
	v_mul_f64 v[71:72], v[8:9], v[71:72]
	v_add_f64 v[10:11], v[109:110], v[10:11]
	v_add_f64 v[2:3], v[2:3], v[105:106]
	s_waitcnt vmcnt(8) lgkmcnt(0)
	v_mul_f64 v[105:106], v[65:66], v[75:76]
	v_mul_f64 v[75:76], v[67:68], v[75:76]
	v_fma_f64 v[109:110], v[8:9], v[69:70], v[111:112]
	v_fma_f64 v[111:112], v[6:7], v[69:70], -v[71:72]
	ds_load_b128 v[6:9], v1 offset:368
	scratch_load_b128 v[69:72], off, off offset:240
	v_add_f64 v[10:11], v[10:11], v[107:108]
	v_add_f64 v[2:3], v[2:3], v[113:114]
	v_fma_f64 v[105:106], v[67:68], v[73:74], v[105:106]
	v_fma_f64 v[73:74], v[65:66], v[73:74], -v[75:76]
	ds_load_b128 v[65:68], v1 offset:384
	s_waitcnt vmcnt(8) lgkmcnt(1)
	v_mul_f64 v[107:108], v[6:7], v[79:80]
	v_mul_f64 v[79:80], v[8:9], v[79:80]
	s_waitcnt vmcnt(7) lgkmcnt(0)
	v_mul_f64 v[75:76], v[65:66], v[83:84]
	v_mul_f64 v[83:84], v[67:68], v[83:84]
	v_add_f64 v[10:11], v[10:11], v[109:110]
	v_add_f64 v[2:3], v[2:3], v[111:112]
	v_fma_f64 v[107:108], v[8:9], v[77:78], v[107:108]
	v_fma_f64 v[77:78], v[6:7], v[77:78], -v[79:80]
	ds_load_b128 v[6:9], v1 offset:400
	v_add_f64 v[10:11], v[10:11], v[105:106]
	v_add_f64 v[2:3], v[2:3], v[73:74]
	v_fma_f64 v[105:106], v[67:68], v[81:82], v[75:76]
	v_fma_f64 v[81:82], v[65:66], v[81:82], -v[83:84]
	ds_load_b128 v[65:68], v1 offset:416
	s_waitcnt vmcnt(6) lgkmcnt(1)
	v_mul_f64 v[79:80], v[6:7], v[87:88]
	v_mul_f64 v[87:88], v[8:9], v[87:88]
	scratch_load_b128 v[73:76], off, off offset:16
	s_waitcnt vmcnt(6) lgkmcnt(0)
	v_mul_f64 v[83:84], v[67:68], v[95:96]
	v_add_f64 v[10:11], v[10:11], v[107:108]
	v_add_f64 v[2:3], v[2:3], v[77:78]
	v_mul_f64 v[77:78], v[65:66], v[95:96]
	v_fma_f64 v[79:80], v[8:9], v[85:86], v[79:80]
	v_fma_f64 v[85:86], v[6:7], v[85:86], -v[87:88]
	ds_load_b128 v[6:9], v1 offset:432
	v_fma_f64 v[83:84], v[65:66], v[93:94], -v[83:84]
	v_add_f64 v[10:11], v[10:11], v[105:106]
	v_add_f64 v[2:3], v[2:3], v[81:82]
	v_fma_f64 v[77:78], v[67:68], v[93:94], v[77:78]
	ds_load_b128 v[65:68], v1 offset:448
	s_waitcnt vmcnt(5) lgkmcnt(1)
	v_mul_f64 v[81:82], v[6:7], v[99:100]
	v_mul_f64 v[87:88], v[8:9], v[99:100]
	v_add_f64 v[10:11], v[10:11], v[79:80]
	v_add_f64 v[2:3], v[2:3], v[85:86]
	s_delay_alu instid0(VALU_DEP_4) | instskip(NEXT) | instid1(VALU_DEP_4)
	v_fma_f64 v[81:82], v[8:9], v[97:98], v[81:82]
	v_fma_f64 v[87:88], v[6:7], v[97:98], -v[87:88]
	ds_load_b128 v[6:9], v1 offset:464
	s_waitcnt vmcnt(4) lgkmcnt(1)
	v_mul_f64 v[79:80], v[65:66], v[103:104]
	v_mul_f64 v[85:86], v[67:68], v[103:104]
	v_add_f64 v[10:11], v[10:11], v[77:78]
	v_add_f64 v[2:3], v[2:3], v[83:84]
	s_delay_alu instid0(VALU_DEP_4)
	v_fma_f64 v[67:68], v[67:68], v[101:102], v[79:80]
	s_waitcnt vmcnt(3) lgkmcnt(0)
	v_mul_f64 v[77:78], v[6:7], v[63:64]
	v_mul_f64 v[83:84], v[8:9], v[63:64]
	v_fma_f64 v[79:80], v[65:66], v[101:102], -v[85:86]
	ds_load_b128 v[63:66], v1 offset:480
	v_add_f64 v[10:11], v[10:11], v[81:82]
	v_add_f64 v[2:3], v[2:3], v[87:88]
	s_waitcnt vmcnt(2) lgkmcnt(0)
	v_mul_f64 v[81:82], v[63:64], v[91:92]
	v_mul_f64 v[85:86], v[65:66], v[91:92]
	v_fma_f64 v[8:9], v[8:9], v[61:62], v[77:78]
	v_fma_f64 v[6:7], v[6:7], v[61:62], -v[83:84]
	v_add_f64 v[10:11], v[10:11], v[67:68]
	v_add_f64 v[61:62], v[2:3], v[79:80]
	ds_load_b128 v[1:4], v1 offset:496
	v_fma_f64 v[65:66], v[65:66], v[89:90], v[81:82]
	v_fma_f64 v[63:64], v[63:64], v[89:90], -v[85:86]
	s_waitcnt vmcnt(1) lgkmcnt(0)
	v_mul_f64 v[67:68], v[1:2], v[71:72]
	v_mul_f64 v[71:72], v[3:4], v[71:72]
	v_add_f64 v[8:9], v[10:11], v[8:9]
	v_add_f64 v[6:7], v[61:62], v[6:7]
	s_delay_alu instid0(VALU_DEP_4) | instskip(NEXT) | instid1(VALU_DEP_4)
	v_fma_f64 v[3:4], v[3:4], v[69:70], v[67:68]
	v_fma_f64 v[1:2], v[1:2], v[69:70], -v[71:72]
	s_delay_alu instid0(VALU_DEP_4) | instskip(NEXT) | instid1(VALU_DEP_4)
	v_add_f64 v[8:9], v[8:9], v[65:66]
	v_add_f64 v[6:7], v[6:7], v[63:64]
	s_delay_alu instid0(VALU_DEP_2) | instskip(NEXT) | instid1(VALU_DEP_2)
	v_add_f64 v[3:4], v[8:9], v[3:4]
	v_add_f64 v[1:2], v[6:7], v[1:2]
	s_waitcnt vmcnt(0)
	s_delay_alu instid0(VALU_DEP_2) | instskip(NEXT) | instid1(VALU_DEP_2)
	v_add_f64 v[3:4], v[75:76], -v[3:4]
	v_add_f64 v[1:2], v[73:74], -v[1:2]
	scratch_store_b128 off, v[1:4], off offset:16
	v_cmpx_ne_u32_e32 0, v45
	s_cbranch_execz .LBB79_109
; %bb.108:
	scratch_load_b128 v[1:4], off, off
	v_mov_b32_e32 v6, 0
	s_delay_alu instid0(VALU_DEP_1)
	v_mov_b32_e32 v7, v6
	v_mov_b32_e32 v8, v6
	;; [unrolled: 1-line block ×3, first 2 shown]
	scratch_store_b128 off, v[6:9], off
	s_waitcnt vmcnt(0)
	ds_store_b128 v5, v[1:4]
.LBB79_109:
	s_or_b32 exec_lo, exec_lo, s2
	s_waitcnt lgkmcnt(0)
	s_waitcnt_vscnt null, 0x0
	s_barrier
	buffer_gl0_inv
	s_clause 0x7
	scratch_load_b128 v[1:4], off, off offset:16
	scratch_load_b128 v[5:8], off, off offset:32
	;; [unrolled: 1-line block ×8, first 2 shown]
	v_mov_b32_e32 v117, 0
	s_and_b32 vcc_lo, exec_lo, s14
	ds_load_b128 v[81:84], v117 offset:272
	s_clause 0x1
	scratch_load_b128 v[85:88], off, off offset:144
	scratch_load_b128 v[89:92], off, off
	ds_load_b128 v[93:96], v117 offset:288
	scratch_load_b128 v[97:100], off, off offset:160
	s_waitcnt vmcnt(10) lgkmcnt(1)
	v_mul_f64 v[101:102], v[83:84], v[3:4]
	v_mul_f64 v[3:4], v[81:82], v[3:4]
	s_delay_alu instid0(VALU_DEP_2) | instskip(NEXT) | instid1(VALU_DEP_2)
	v_fma_f64 v[107:108], v[81:82], v[1:2], -v[101:102]
	v_fma_f64 v[109:110], v[83:84], v[1:2], v[3:4]
	scratch_load_b128 v[81:84], off, off offset:176
	ds_load_b128 v[1:4], v117 offset:304
	s_waitcnt vmcnt(10) lgkmcnt(1)
	v_mul_f64 v[105:106], v[93:94], v[7:8]
	v_mul_f64 v[7:8], v[95:96], v[7:8]
	ds_load_b128 v[101:104], v117 offset:320
	s_waitcnt vmcnt(9) lgkmcnt(1)
	v_mul_f64 v[111:112], v[1:2], v[11:12]
	v_mul_f64 v[11:12], v[3:4], v[11:12]
	v_fma_f64 v[95:96], v[95:96], v[5:6], v[105:106]
	v_fma_f64 v[93:94], v[93:94], v[5:6], -v[7:8]
	v_add_f64 v[105:106], v[107:108], 0
	v_add_f64 v[107:108], v[109:110], 0
	scratch_load_b128 v[5:8], off, off offset:192
	v_fma_f64 v[111:112], v[3:4], v[9:10], v[111:112]
	v_fma_f64 v[113:114], v[1:2], v[9:10], -v[11:12]
	scratch_load_b128 v[9:12], off, off offset:208
	ds_load_b128 v[1:4], v117 offset:336
	s_waitcnt vmcnt(10) lgkmcnt(1)
	v_mul_f64 v[109:110], v[101:102], v[63:64]
	v_mul_f64 v[63:64], v[103:104], v[63:64]
	v_add_f64 v[105:106], v[105:106], v[93:94]
	v_add_f64 v[107:108], v[107:108], v[95:96]
	s_waitcnt vmcnt(9) lgkmcnt(0)
	v_mul_f64 v[115:116], v[1:2], v[67:68]
	v_mul_f64 v[67:68], v[3:4], v[67:68]
	ds_load_b128 v[93:96], v117 offset:352
	v_fma_f64 v[103:104], v[103:104], v[61:62], v[109:110]
	v_fma_f64 v[101:102], v[101:102], v[61:62], -v[63:64]
	scratch_load_b128 v[61:64], off, off offset:224
	v_add_f64 v[105:106], v[105:106], v[113:114]
	v_add_f64 v[107:108], v[107:108], v[111:112]
	v_fma_f64 v[111:112], v[3:4], v[65:66], v[115:116]
	v_fma_f64 v[113:114], v[1:2], v[65:66], -v[67:68]
	scratch_load_b128 v[65:68], off, off offset:240
	ds_load_b128 v[1:4], v117 offset:368
	s_waitcnt vmcnt(10) lgkmcnt(1)
	v_mul_f64 v[109:110], v[93:94], v[71:72]
	v_mul_f64 v[71:72], v[95:96], v[71:72]
	s_waitcnt vmcnt(9) lgkmcnt(0)
	v_mul_f64 v[115:116], v[1:2], v[75:76]
	v_mul_f64 v[75:76], v[3:4], v[75:76]
	v_add_f64 v[105:106], v[105:106], v[101:102]
	v_add_f64 v[107:108], v[107:108], v[103:104]
	ds_load_b128 v[101:104], v117 offset:384
	v_fma_f64 v[95:96], v[95:96], v[69:70], v[109:110]
	v_fma_f64 v[69:70], v[93:94], v[69:70], -v[71:72]
	v_add_f64 v[71:72], v[105:106], v[113:114]
	v_add_f64 v[93:94], v[107:108], v[111:112]
	s_waitcnt vmcnt(8) lgkmcnt(0)
	v_mul_f64 v[105:106], v[101:102], v[79:80]
	v_mul_f64 v[79:80], v[103:104], v[79:80]
	v_fma_f64 v[107:108], v[3:4], v[73:74], v[115:116]
	v_fma_f64 v[73:74], v[1:2], v[73:74], -v[75:76]
	v_add_f64 v[75:76], v[71:72], v[69:70]
	v_add_f64 v[93:94], v[93:94], v[95:96]
	ds_load_b128 v[1:4], v117 offset:400
	ds_load_b128 v[69:72], v117 offset:416
	v_fma_f64 v[103:104], v[103:104], v[77:78], v[105:106]
	v_fma_f64 v[77:78], v[101:102], v[77:78], -v[79:80]
	s_waitcnt vmcnt(7) lgkmcnt(1)
	v_mul_f64 v[95:96], v[1:2], v[87:88]
	v_mul_f64 v[87:88], v[3:4], v[87:88]
	s_waitcnt vmcnt(5) lgkmcnt(0)
	v_mul_f64 v[79:80], v[69:70], v[99:100]
	v_add_f64 v[73:74], v[75:76], v[73:74]
	v_add_f64 v[75:76], v[93:94], v[107:108]
	v_mul_f64 v[93:94], v[71:72], v[99:100]
	v_fma_f64 v[95:96], v[3:4], v[85:86], v[95:96]
	v_fma_f64 v[85:86], v[1:2], v[85:86], -v[87:88]
	v_fma_f64 v[71:72], v[71:72], v[97:98], v[79:80]
	v_add_f64 v[77:78], v[73:74], v[77:78]
	v_add_f64 v[87:88], v[75:76], v[103:104]
	ds_load_b128 v[1:4], v117 offset:432
	ds_load_b128 v[73:76], v117 offset:448
	v_fma_f64 v[69:70], v[69:70], v[97:98], -v[93:94]
	s_waitcnt vmcnt(4) lgkmcnt(1)
	v_mul_f64 v[99:100], v[1:2], v[83:84]
	v_mul_f64 v[83:84], v[3:4], v[83:84]
	v_add_f64 v[77:78], v[77:78], v[85:86]
	v_add_f64 v[79:80], v[87:88], v[95:96]
	s_waitcnt vmcnt(3) lgkmcnt(0)
	v_mul_f64 v[85:86], v[73:74], v[7:8]
	v_mul_f64 v[7:8], v[75:76], v[7:8]
	v_fma_f64 v[87:88], v[3:4], v[81:82], v[99:100]
	v_fma_f64 v[81:82], v[1:2], v[81:82], -v[83:84]
	v_add_f64 v[77:78], v[77:78], v[69:70]
	v_add_f64 v[79:80], v[79:80], v[71:72]
	ds_load_b128 v[1:4], v117 offset:464
	ds_load_b128 v[69:72], v117 offset:480
	v_fma_f64 v[75:76], v[75:76], v[5:6], v[85:86]
	v_fma_f64 v[5:6], v[73:74], v[5:6], -v[7:8]
	s_waitcnt vmcnt(2) lgkmcnt(1)
	v_mul_f64 v[83:84], v[1:2], v[11:12]
	v_mul_f64 v[11:12], v[3:4], v[11:12]
	v_add_f64 v[7:8], v[77:78], v[81:82]
	v_add_f64 v[73:74], v[79:80], v[87:88]
	s_waitcnt vmcnt(1) lgkmcnt(0)
	v_mul_f64 v[77:78], v[69:70], v[63:64]
	v_mul_f64 v[63:64], v[71:72], v[63:64]
	v_fma_f64 v[79:80], v[3:4], v[9:10], v[83:84]
	v_fma_f64 v[9:10], v[1:2], v[9:10], -v[11:12]
	ds_load_b128 v[1:4], v117 offset:496
	v_add_f64 v[5:6], v[7:8], v[5:6]
	v_add_f64 v[7:8], v[73:74], v[75:76]
	v_fma_f64 v[71:72], v[71:72], v[61:62], v[77:78]
	v_fma_f64 v[61:62], v[69:70], v[61:62], -v[63:64]
	s_waitcnt vmcnt(0) lgkmcnt(0)
	v_mul_f64 v[11:12], v[1:2], v[67:68]
	v_mul_f64 v[67:68], v[3:4], v[67:68]
	v_add_f64 v[5:6], v[5:6], v[9:10]
	v_add_f64 v[7:8], v[7:8], v[79:80]
	s_delay_alu instid0(VALU_DEP_4) | instskip(NEXT) | instid1(VALU_DEP_4)
	v_fma_f64 v[3:4], v[3:4], v[65:66], v[11:12]
	v_fma_f64 v[1:2], v[1:2], v[65:66], -v[67:68]
	s_delay_alu instid0(VALU_DEP_4) | instskip(NEXT) | instid1(VALU_DEP_4)
	v_add_f64 v[5:6], v[5:6], v[61:62]
	v_add_f64 v[7:8], v[7:8], v[71:72]
	s_delay_alu instid0(VALU_DEP_2) | instskip(NEXT) | instid1(VALU_DEP_2)
	v_add_f64 v[1:2], v[5:6], v[1:2]
	v_add_f64 v[3:4], v[7:8], v[3:4]
	s_delay_alu instid0(VALU_DEP_2) | instskip(NEXT) | instid1(VALU_DEP_2)
	v_add_f64 v[1:2], v[89:90], -v[1:2]
	v_add_f64 v[3:4], v[91:92], -v[3:4]
	scratch_store_b128 off, v[1:4], off
	s_cbranch_vccz .LBB79_141
; %bb.110:
	v_dual_mov_b32 v1, s8 :: v_dual_mov_b32 v2, s9
	s_load_b64 s[0:1], s[0:1], 0x4
	flat_load_b32 v1, v[1:2] offset:56
	v_bfe_u32 v2, v0, 10, 10
	v_bfe_u32 v0, v0, 20, 10
	s_waitcnt lgkmcnt(0)
	s_lshr_b32 s0, s0, 16
	s_delay_alu instid0(VALU_DEP_2) | instskip(SKIP_1) | instid1(SALU_CYCLE_1)
	v_mul_u32_u24_e32 v2, s1, v2
	s_mul_i32 s0, s0, s1
	v_mul_u32_u24_e32 v3, s0, v45
	s_mov_b32 s0, exec_lo
	s_delay_alu instid0(VALU_DEP_1) | instskip(NEXT) | instid1(VALU_DEP_1)
	v_add3_u32 v0, v3, v2, v0
	v_lshl_add_u32 v0, v0, 4, 0x208
	s_waitcnt vmcnt(0)
	v_cmpx_ne_u32_e32 15, v1
	s_cbranch_execz .LBB79_112
; %bb.111:
	v_lshl_add_u32 v9, v1, 4, 0
	s_clause 0x1
	scratch_load_b128 v[1:4], v60, off
	scratch_load_b128 v[5:8], v9, off offset:-16
	s_waitcnt vmcnt(1)
	ds_store_2addr_b64 v0, v[1:2], v[3:4] offset1:1
	s_waitcnt vmcnt(0)
	s_clause 0x1
	scratch_store_b128 v60, v[5:8], off
	scratch_store_b128 v9, v[1:4], off offset:-16
.LBB79_112:
	s_or_b32 exec_lo, exec_lo, s0
	v_dual_mov_b32 v1, s8 :: v_dual_mov_b32 v2, s9
	s_mov_b32 s0, exec_lo
	flat_load_b32 v1, v[1:2] offset:52
	s_waitcnt vmcnt(0) lgkmcnt(0)
	v_cmpx_ne_u32_e32 14, v1
	s_cbranch_execz .LBB79_114
; %bb.113:
	v_lshl_add_u32 v9, v1, 4, 0
	s_clause 0x1
	scratch_load_b128 v[1:4], v57, off
	scratch_load_b128 v[5:8], v9, off offset:-16
	s_waitcnt vmcnt(1)
	ds_store_2addr_b64 v0, v[1:2], v[3:4] offset1:1
	s_waitcnt vmcnt(0)
	s_clause 0x1
	scratch_store_b128 v57, v[5:8], off
	scratch_store_b128 v9, v[1:4], off offset:-16
.LBB79_114:
	s_or_b32 exec_lo, exec_lo, s0
	v_dual_mov_b32 v1, s8 :: v_dual_mov_b32 v2, s9
	s_mov_b32 s0, exec_lo
	flat_load_b32 v1, v[1:2] offset:48
	s_waitcnt vmcnt(0) lgkmcnt(0)
	;; [unrolled: 19-line block ×13, first 2 shown]
	v_cmpx_ne_u32_e32 2, v1
	s_cbranch_execz .LBB79_138
; %bb.137:
	v_lshl_add_u32 v9, v1, 4, 0
	s_clause 0x1
	scratch_load_b128 v[1:4], v49, off
	scratch_load_b128 v[5:8], v9, off offset:-16
	s_waitcnt vmcnt(1)
	ds_store_2addr_b64 v0, v[1:2], v[3:4] offset1:1
	s_waitcnt vmcnt(0)
	s_clause 0x1
	scratch_store_b128 v49, v[5:8], off
	scratch_store_b128 v9, v[1:4], off offset:-16
.LBB79_138:
	s_or_b32 exec_lo, exec_lo, s0
	v_dual_mov_b32 v1, s8 :: v_dual_mov_b32 v2, s9
	s_mov_b32 s0, exec_lo
	flat_load_b32 v1, v[1:2]
	s_waitcnt vmcnt(0) lgkmcnt(0)
	v_cmpx_ne_u32_e32 1, v1
	s_cbranch_execz .LBB79_140
; %bb.139:
	v_lshl_add_u32 v9, v1, 4, 0
	scratch_load_b128 v[1:4], off, off
	scratch_load_b128 v[5:8], v9, off offset:-16
	s_waitcnt vmcnt(1)
	ds_store_2addr_b64 v0, v[1:2], v[3:4] offset1:1
	s_waitcnt vmcnt(0)
	scratch_store_b128 off, v[5:8], off
	scratch_store_b128 v9, v[1:4], off offset:-16
.LBB79_140:
	s_or_b32 exec_lo, exec_lo, s0
.LBB79_141:
	scratch_load_b128 v[0:3], off, off
	s_clause 0xe
	scratch_load_b128 v[4:7], v49, off
	scratch_load_b128 v[8:11], v47, off
	;; [unrolled: 1-line block ×15, first 2 shown]
	s_waitcnt vmcnt(15)
	global_store_b128 v[13:14], v[0:3], off
	s_waitcnt vmcnt(14)
	global_store_b128 v[15:16], v[4:7], off
	;; [unrolled: 2-line block ×16, first 2 shown]
	s_endpgm
	.section	.rodata,"a",@progbits
	.p2align	6, 0x0
	.amdhsa_kernel _ZN9rocsolver6v33100L18getri_kernel_smallILi16E19rocblas_complex_numIdEPKPS3_EEvT1_iilPiilS8_bb
		.amdhsa_group_segment_fixed_size 1544
		.amdhsa_private_segment_fixed_size 272
		.amdhsa_kernarg_size 60
		.amdhsa_user_sgpr_count 15
		.amdhsa_user_sgpr_dispatch_ptr 1
		.amdhsa_user_sgpr_queue_ptr 0
		.amdhsa_user_sgpr_kernarg_segment_ptr 1
		.amdhsa_user_sgpr_dispatch_id 0
		.amdhsa_user_sgpr_private_segment_size 0
		.amdhsa_wavefront_size32 1
		.amdhsa_uses_dynamic_stack 0
		.amdhsa_enable_private_segment 1
		.amdhsa_system_sgpr_workgroup_id_x 1
		.amdhsa_system_sgpr_workgroup_id_y 0
		.amdhsa_system_sgpr_workgroup_id_z 0
		.amdhsa_system_sgpr_workgroup_info 0
		.amdhsa_system_vgpr_workitem_id 2
		.amdhsa_next_free_vgpr 119
		.amdhsa_next_free_sgpr 19
		.amdhsa_reserve_vcc 1
		.amdhsa_float_round_mode_32 0
		.amdhsa_float_round_mode_16_64 0
		.amdhsa_float_denorm_mode_32 3
		.amdhsa_float_denorm_mode_16_64 3
		.amdhsa_dx10_clamp 1
		.amdhsa_ieee_mode 1
		.amdhsa_fp16_overflow 0
		.amdhsa_workgroup_processor_mode 1
		.amdhsa_memory_ordered 1
		.amdhsa_forward_progress 0
		.amdhsa_shared_vgpr_count 0
		.amdhsa_exception_fp_ieee_invalid_op 0
		.amdhsa_exception_fp_denorm_src 0
		.amdhsa_exception_fp_ieee_div_zero 0
		.amdhsa_exception_fp_ieee_overflow 0
		.amdhsa_exception_fp_ieee_underflow 0
		.amdhsa_exception_fp_ieee_inexact 0
		.amdhsa_exception_int_div_zero 0
	.end_amdhsa_kernel
	.section	.text._ZN9rocsolver6v33100L18getri_kernel_smallILi16E19rocblas_complex_numIdEPKPS3_EEvT1_iilPiilS8_bb,"axG",@progbits,_ZN9rocsolver6v33100L18getri_kernel_smallILi16E19rocblas_complex_numIdEPKPS3_EEvT1_iilPiilS8_bb,comdat
.Lfunc_end79:
	.size	_ZN9rocsolver6v33100L18getri_kernel_smallILi16E19rocblas_complex_numIdEPKPS3_EEvT1_iilPiilS8_bb, .Lfunc_end79-_ZN9rocsolver6v33100L18getri_kernel_smallILi16E19rocblas_complex_numIdEPKPS3_EEvT1_iilPiilS8_bb
                                        ; -- End function
	.section	.AMDGPU.csdata,"",@progbits
; Kernel info:
; codeLenInByte = 18492
; NumSgprs: 21
; NumVgprs: 119
; ScratchSize: 272
; MemoryBound: 0
; FloatMode: 240
; IeeeMode: 1
; LDSByteSize: 1544 bytes/workgroup (compile time only)
; SGPRBlocks: 2
; VGPRBlocks: 14
; NumSGPRsForWavesPerEU: 21
; NumVGPRsForWavesPerEU: 119
; Occupancy: 12
; WaveLimiterHint : 1
; COMPUTE_PGM_RSRC2:SCRATCH_EN: 1
; COMPUTE_PGM_RSRC2:USER_SGPR: 15
; COMPUTE_PGM_RSRC2:TRAP_HANDLER: 0
; COMPUTE_PGM_RSRC2:TGID_X_EN: 1
; COMPUTE_PGM_RSRC2:TGID_Y_EN: 0
; COMPUTE_PGM_RSRC2:TGID_Z_EN: 0
; COMPUTE_PGM_RSRC2:TIDIG_COMP_CNT: 2
	.section	.text._ZN9rocsolver6v33100L18getri_kernel_smallILi17E19rocblas_complex_numIdEPKPS3_EEvT1_iilPiilS8_bb,"axG",@progbits,_ZN9rocsolver6v33100L18getri_kernel_smallILi17E19rocblas_complex_numIdEPKPS3_EEvT1_iilPiilS8_bb,comdat
	.globl	_ZN9rocsolver6v33100L18getri_kernel_smallILi17E19rocblas_complex_numIdEPKPS3_EEvT1_iilPiilS8_bb ; -- Begin function _ZN9rocsolver6v33100L18getri_kernel_smallILi17E19rocblas_complex_numIdEPKPS3_EEvT1_iilPiilS8_bb
	.p2align	8
	.type	_ZN9rocsolver6v33100L18getri_kernel_smallILi17E19rocblas_complex_numIdEPKPS3_EEvT1_iilPiilS8_bb,@function
_ZN9rocsolver6v33100L18getri_kernel_smallILi17E19rocblas_complex_numIdEPKPS3_EEvT1_iilPiilS8_bb: ; @_ZN9rocsolver6v33100L18getri_kernel_smallILi17E19rocblas_complex_numIdEPKPS3_EEvT1_iilPiilS8_bb
; %bb.0:
	v_and_b32_e32 v47, 0x3ff, v0
	s_mov_b32 s4, exec_lo
	s_delay_alu instid0(VALU_DEP_1)
	v_cmpx_gt_u32_e32 17, v47
	s_cbranch_execz .LBB80_82
; %bb.1:
	s_mov_b32 s10, s15
	s_clause 0x2
	s_load_b32 s15, s[2:3], 0x38
	s_load_b64 s[8:9], s[2:3], 0x0
	s_load_b128 s[4:7], s[2:3], 0x28
	s_waitcnt lgkmcnt(0)
	s_bitcmp1_b32 s15, 8
	s_cselect_b32 s14, -1, 0
	s_ashr_i32 s11, s10, 31
	s_delay_alu instid0(SALU_CYCLE_1) | instskip(NEXT) | instid1(SALU_CYCLE_1)
	s_lshl_b64 s[12:13], s[10:11], 3
	s_add_u32 s8, s8, s12
	s_addc_u32 s9, s9, s13
	s_load_b64 s[12:13], s[8:9], 0x0
	s_bfe_u32 s8, s15, 0x10008
	s_delay_alu instid0(SALU_CYCLE_1)
	s_cmp_eq_u32 s8, 0
                                        ; implicit-def: $sgpr8_sgpr9
	s_cbranch_scc1 .LBB80_3
; %bb.2:
	s_clause 0x1
	s_load_b32 s8, s[2:3], 0x20
	s_load_b64 s[16:17], s[2:3], 0x18
	s_mul_i32 s5, s10, s5
	s_mul_hi_u32 s9, s10, s4
	s_mul_i32 s18, s11, s4
	s_add_i32 s5, s9, s5
	s_mul_i32 s4, s10, s4
	s_add_i32 s5, s5, s18
	s_delay_alu instid0(SALU_CYCLE_1)
	s_lshl_b64 s[4:5], s[4:5], 2
	s_waitcnt lgkmcnt(0)
	s_ashr_i32 s9, s8, 31
	s_add_u32 s16, s16, s4
	s_addc_u32 s17, s17, s5
	s_lshl_b64 s[4:5], s[8:9], 2
	s_delay_alu instid0(SALU_CYCLE_1)
	s_add_u32 s8, s16, s4
	s_addc_u32 s9, s17, s5
.LBB80_3:
	s_load_b64 s[2:3], s[2:3], 0x8
	v_lshlrev_b32_e32 v64, 4, v47
	v_add_nc_u32_e64 v52, 0, 16
	s_waitcnt lgkmcnt(0)
	v_add3_u32 v5, s3, s3, v47
	s_ashr_i32 s5, s2, 31
	s_mov_b32 s4, s2
	s_mov_b32 s16, s3
	s_lshl_b64 s[4:5], s[4:5], 4
	v_add_nc_u32_e32 v7, s3, v5
	v_ashrrev_i32_e32 v6, 31, v5
	s_add_u32 s4, s12, s4
	s_addc_u32 s5, s13, s5
	v_add_co_u32 v13, s2, s4, v64
	v_add_nc_u32_e32 v9, s3, v7
	v_ashrrev_i32_e32 v8, 31, v7
	s_ashr_i32 s17, s3, 31
	v_add_co_ci_u32_e64 v14, null, s5, 0, s2
	s_delay_alu instid0(VALU_DEP_3)
	v_add_nc_u32_e32 v21, s3, v9
	v_lshlrev_b64 v[5:6], 4, v[5:6]
	s_lshl_b64 s[12:13], s[16:17], 4
	v_ashrrev_i32_e32 v10, 31, v9
	v_add_co_u32 v15, vcc_lo, v13, s12
	v_add_nc_u32_e32 v25, s3, v21
	v_lshlrev_b64 v[19:20], 4, v[7:8]
	v_ashrrev_i32_e32 v22, 31, v21
	v_add_co_ci_u32_e32 v16, vcc_lo, s13, v14, vcc_lo
	v_add_co_u32 v17, vcc_lo, s4, v5
	v_lshlrev_b64 v[23:24], 4, v[9:10]
	v_add_nc_u32_e32 v29, s3, v25
	v_add_co_ci_u32_e32 v18, vcc_lo, s5, v6, vcc_lo
	v_add_co_u32 v19, vcc_lo, s4, v19
	v_lshlrev_b64 v[27:28], 4, v[21:22]
	v_add_co_ci_u32_e32 v20, vcc_lo, s5, v20, vcc_lo
	v_add_co_u32 v21, vcc_lo, s4, v23
	v_ashrrev_i32_e32 v30, 31, v29
	v_add_nc_u32_e32 v31, s3, v29
	v_add_co_ci_u32_e32 v22, vcc_lo, s5, v24, vcc_lo
	v_ashrrev_i32_e32 v26, 31, v25
	v_add_co_u32 v23, vcc_lo, s4, v27
	v_add_co_ci_u32_e32 v24, vcc_lo, s5, v28, vcc_lo
	v_lshlrev_b64 v[27:28], 4, v[29:30]
	v_add_nc_u32_e32 v29, s3, v31
	v_lshlrev_b64 v[25:26], 4, v[25:26]
	v_ashrrev_i32_e32 v32, 31, v31
	s_clause 0x2
	global_load_b128 v[1:4], v64, s[4:5]
	global_load_b128 v[5:8], v[15:16], off
	global_load_b128 v[9:12], v[17:18], off
	v_add_nc_u32_e32 v33, s3, v29
	v_ashrrev_i32_e32 v30, 31, v29
	v_add_co_u32 v25, vcc_lo, s4, v25
	v_lshlrev_b64 v[31:32], 4, v[31:32]
	s_delay_alu instid0(VALU_DEP_4)
	v_add_nc_u32_e32 v37, s3, v33
	v_add_co_ci_u32_e32 v26, vcc_lo, s5, v26, vcc_lo
	v_add_co_u32 v27, vcc_lo, s4, v27
	v_lshlrev_b64 v[35:36], 4, v[29:30]
	v_add_co_ci_u32_e32 v28, vcc_lo, s5, v28, vcc_lo
	v_add_co_u32 v29, vcc_lo, s4, v31
	v_ashrrev_i32_e32 v38, 31, v37
	v_add_nc_u32_e32 v39, s3, v37
	v_add_co_ci_u32_e32 v30, vcc_lo, s5, v32, vcc_lo
	v_add_co_u32 v31, vcc_lo, s4, v35
	v_ashrrev_i32_e32 v34, 31, v33
	v_add_co_ci_u32_e32 v32, vcc_lo, s5, v36, vcc_lo
	v_lshlrev_b64 v[35:36], 4, v[37:38]
	v_add_nc_u32_e32 v37, s3, v39
	s_delay_alu instid0(VALU_DEP_4)
	v_lshlrev_b64 v[33:34], 4, v[33:34]
	v_ashrrev_i32_e32 v40, 31, v39
	s_clause 0x3
	global_load_b128 v[48:51], v[19:20], off
	global_load_b128 v[53:56], v[21:22], off
	;; [unrolled: 1-line block ×4, first 2 shown]
	v_add_nc_u32_e32 v41, s3, v37
	v_ashrrev_i32_e32 v38, 31, v37
	v_add_co_u32 v33, vcc_lo, s4, v33
	v_lshlrev_b64 v[39:40], 4, v[39:40]
	s_delay_alu instid0(VALU_DEP_4)
	v_add_nc_u32_e32 v45, s3, v41
	v_add_co_ci_u32_e32 v34, vcc_lo, s5, v34, vcc_lo
	v_add_co_u32 v35, vcc_lo, s4, v35
	v_lshlrev_b64 v[43:44], 4, v[37:38]
	v_ashrrev_i32_e32 v42, 31, v41
	v_add_nc_u32_e32 v61, s3, v45
	v_add_co_ci_u32_e32 v36, vcc_lo, s5, v36, vcc_lo
	v_add_co_u32 v37, vcc_lo, s4, v39
	v_ashrrev_i32_e32 v46, 31, v45
	v_add_co_ci_u32_e32 v38, vcc_lo, s5, v40, vcc_lo
	v_lshlrev_b64 v[41:42], 4, v[41:42]
	v_add_co_u32 v39, vcc_lo, s4, v43
	v_ashrrev_i32_e32 v62, 31, v61
	v_add_co_ci_u32_e32 v40, vcc_lo, s5, v44, vcc_lo
	v_lshlrev_b64 v[43:44], 4, v[45:46]
	v_add_co_u32 v41, vcc_lo, s4, v41
	s_delay_alu instid0(VALU_DEP_4) | instskip(SKIP_1) | instid1(VALU_DEP_4)
	v_lshlrev_b64 v[45:46], 4, v[61:62]
	v_add_co_ci_u32_e32 v42, vcc_lo, s5, v42, vcc_lo
	v_add_co_u32 v43, vcc_lo, s4, v43
	v_add_co_ci_u32_e32 v44, vcc_lo, s5, v44, vcc_lo
	s_delay_alu instid0(VALU_DEP_4)
	v_add_co_u32 v45, vcc_lo, s4, v45
	v_add_co_ci_u32_e32 v46, vcc_lo, s5, v46, vcc_lo
	s_clause 0x9
	global_load_b128 v[69:72], v[27:28], off
	global_load_b128 v[73:76], v[29:30], off
	;; [unrolled: 1-line block ×10, first 2 shown]
	s_movk_i32 s2, 0x50
	s_movk_i32 s3, 0x70
	s_bitcmp0_b32 s15, 0
	s_waitcnt vmcnt(16)
	scratch_store_b128 off, v[1:4], off
	s_waitcnt vmcnt(15)
	scratch_store_b128 off, v[5:8], off offset:16
	s_waitcnt vmcnt(14)
	scratch_store_b128 off, v[9:12], off offset:32
	;; [unrolled: 2-line block ×3, first 2 shown]
	v_add_nc_u32_e64 v49, s2, 0
	s_movk_i32 s2, 0x60
	s_waitcnt vmcnt(12)
	scratch_store_b128 off, v[53:56], off offset:64
	s_waitcnt vmcnt(11)
	scratch_store_b128 off, v[57:60], off offset:80
	v_add_nc_u32_e64 v54, s2, 0
	s_movk_i32 s2, 0x80
	v_add_nc_u32_e64 v53, s3, 0
	s_movk_i32 s3, 0x90
	;; [unrolled: 2-line block ×7, first 2 shown]
	v_add_nc_u32_e64 v59, s3, 0
	v_add_nc_u32_e64 v62, s2, 0
	s_movk_i32 s2, 0xf0
	s_movk_i32 s3, 0x100
	v_add_nc_u32_e64 v51, 0, 32
	v_add_nc_u32_e64 v48, 0, 48
	;; [unrolled: 1-line block ×5, first 2 shown]
	s_mov_b32 s3, -1
	s_waitcnt vmcnt(10)
	scratch_store_b128 off, v[65:68], off offset:96
	s_waitcnt vmcnt(9)
	scratch_store_b128 off, v[69:72], off offset:112
	;; [unrolled: 2-line block ×11, first 2 shown]
	s_cbranch_scc1 .LBB80_80
; %bb.4:
	v_cmp_eq_u32_e64 s2, 0, v47
	s_delay_alu instid0(VALU_DEP_1)
	s_and_saveexec_b32 s3, s2
	s_cbranch_execz .LBB80_6
; %bb.5:
	v_mov_b32_e32 v1, 0
	ds_store_b32 v1, v1 offset:544
.LBB80_6:
	s_or_b32 exec_lo, exec_lo, s3
	s_waitcnt lgkmcnt(0)
	s_waitcnt_vscnt null, 0x0
	s_barrier
	buffer_gl0_inv
	scratch_load_b128 v[1:4], v64, off
	s_waitcnt vmcnt(0)
	v_cmp_eq_f64_e32 vcc_lo, 0, v[1:2]
	v_cmp_eq_f64_e64 s3, 0, v[3:4]
	s_delay_alu instid0(VALU_DEP_1) | instskip(NEXT) | instid1(SALU_CYCLE_1)
	s_and_b32 s3, vcc_lo, s3
	s_and_saveexec_b32 s4, s3
	s_cbranch_execz .LBB80_10
; %bb.7:
	v_mov_b32_e32 v1, 0
	s_mov_b32 s5, 0
	ds_load_b32 v2, v1 offset:544
	s_waitcnt lgkmcnt(0)
	v_readfirstlane_b32 s3, v2
	v_add_nc_u32_e32 v2, 1, v47
	s_delay_alu instid0(VALU_DEP_2) | instskip(NEXT) | instid1(VALU_DEP_1)
	s_cmp_eq_u32 s3, 0
	v_cmp_gt_i32_e32 vcc_lo, s3, v2
	s_cselect_b32 s12, -1, 0
	s_delay_alu instid0(SALU_CYCLE_1) | instskip(NEXT) | instid1(SALU_CYCLE_1)
	s_or_b32 s12, s12, vcc_lo
	s_and_b32 exec_lo, exec_lo, s12
	s_cbranch_execz .LBB80_10
; %bb.8:
	v_mov_b32_e32 v3, s3
.LBB80_9:                               ; =>This Inner Loop Header: Depth=1
	ds_cmpstore_rtn_b32 v3, v1, v2, v3 offset:544
	s_waitcnt lgkmcnt(0)
	v_cmp_ne_u32_e32 vcc_lo, 0, v3
	v_cmp_le_i32_e64 s3, v3, v2
	s_delay_alu instid0(VALU_DEP_1) | instskip(NEXT) | instid1(SALU_CYCLE_1)
	s_and_b32 s3, vcc_lo, s3
	s_and_b32 s3, exec_lo, s3
	s_delay_alu instid0(SALU_CYCLE_1) | instskip(NEXT) | instid1(SALU_CYCLE_1)
	s_or_b32 s5, s3, s5
	s_and_not1_b32 exec_lo, exec_lo, s5
	s_cbranch_execnz .LBB80_9
.LBB80_10:
	s_or_b32 exec_lo, exec_lo, s4
	v_mov_b32_e32 v1, 0
	s_barrier
	buffer_gl0_inv
	ds_load_b32 v2, v1 offset:544
	s_and_saveexec_b32 s3, s2
	s_cbranch_execz .LBB80_12
; %bb.11:
	s_lshl_b64 s[4:5], s[10:11], 2
	s_delay_alu instid0(SALU_CYCLE_1)
	s_add_u32 s4, s6, s4
	s_addc_u32 s5, s7, s5
	s_waitcnt lgkmcnt(0)
	global_store_b32 v1, v2, s[4:5]
.LBB80_12:
	s_or_b32 exec_lo, exec_lo, s3
	s_waitcnt lgkmcnt(0)
	v_cmp_ne_u32_e32 vcc_lo, 0, v2
	s_mov_b32 s3, 0
	s_cbranch_vccnz .LBB80_80
; %bb.13:
	v_add_nc_u32_e32 v65, 0, v64
                                        ; implicit-def: $vgpr9_vgpr10
	scratch_load_b128 v[1:4], v65, off
	s_waitcnt vmcnt(0)
	v_cmp_gt_f64_e32 vcc_lo, 0, v[1:2]
	v_xor_b32_e32 v6, 0x80000000, v2
	v_xor_b32_e32 v7, 0x80000000, v4
	s_delay_alu instid0(VALU_DEP_2) | instskip(SKIP_1) | instid1(VALU_DEP_3)
	v_cndmask_b32_e32 v6, v2, v6, vcc_lo
	v_cmp_gt_f64_e32 vcc_lo, 0, v[3:4]
	v_dual_mov_b32 v5, v1 :: v_dual_cndmask_b32 v8, v4, v7
	v_mov_b32_e32 v7, v3
	s_delay_alu instid0(VALU_DEP_1) | instskip(SKIP_1) | instid1(SALU_CYCLE_1)
	v_cmp_ngt_f64_e32 vcc_lo, v[5:6], v[7:8]
                                        ; implicit-def: $vgpr5_vgpr6
	s_and_saveexec_b32 s3, vcc_lo
	s_xor_b32 s3, exec_lo, s3
	s_cbranch_execz .LBB80_15
; %bb.14:
	v_div_scale_f64 v[5:6], null, v[3:4], v[3:4], v[1:2]
	v_div_scale_f64 v[11:12], vcc_lo, v[1:2], v[3:4], v[1:2]
	s_delay_alu instid0(VALU_DEP_2) | instskip(SKIP_2) | instid1(VALU_DEP_1)
	v_rcp_f64_e32 v[7:8], v[5:6]
	s_waitcnt_depctr 0xfff
	v_fma_f64 v[9:10], -v[5:6], v[7:8], 1.0
	v_fma_f64 v[7:8], v[7:8], v[9:10], v[7:8]
	s_delay_alu instid0(VALU_DEP_1) | instskip(NEXT) | instid1(VALU_DEP_1)
	v_fma_f64 v[9:10], -v[5:6], v[7:8], 1.0
	v_fma_f64 v[7:8], v[7:8], v[9:10], v[7:8]
	s_delay_alu instid0(VALU_DEP_1) | instskip(NEXT) | instid1(VALU_DEP_1)
	v_mul_f64 v[9:10], v[11:12], v[7:8]
	v_fma_f64 v[5:6], -v[5:6], v[9:10], v[11:12]
	s_delay_alu instid0(VALU_DEP_1) | instskip(NEXT) | instid1(VALU_DEP_1)
	v_div_fmas_f64 v[5:6], v[5:6], v[7:8], v[9:10]
	v_div_fixup_f64 v[5:6], v[5:6], v[3:4], v[1:2]
	s_delay_alu instid0(VALU_DEP_1) | instskip(NEXT) | instid1(VALU_DEP_1)
	v_fma_f64 v[1:2], v[1:2], v[5:6], v[3:4]
	v_div_scale_f64 v[3:4], null, v[1:2], v[1:2], 1.0
	v_div_scale_f64 v[11:12], vcc_lo, 1.0, v[1:2], 1.0
	s_delay_alu instid0(VALU_DEP_2) | instskip(SKIP_2) | instid1(VALU_DEP_1)
	v_rcp_f64_e32 v[7:8], v[3:4]
	s_waitcnt_depctr 0xfff
	v_fma_f64 v[9:10], -v[3:4], v[7:8], 1.0
	v_fma_f64 v[7:8], v[7:8], v[9:10], v[7:8]
	s_delay_alu instid0(VALU_DEP_1) | instskip(NEXT) | instid1(VALU_DEP_1)
	v_fma_f64 v[9:10], -v[3:4], v[7:8], 1.0
	v_fma_f64 v[7:8], v[7:8], v[9:10], v[7:8]
	s_delay_alu instid0(VALU_DEP_1) | instskip(NEXT) | instid1(VALU_DEP_1)
	v_mul_f64 v[9:10], v[11:12], v[7:8]
	v_fma_f64 v[3:4], -v[3:4], v[9:10], v[11:12]
	s_delay_alu instid0(VALU_DEP_1) | instskip(NEXT) | instid1(VALU_DEP_1)
	v_div_fmas_f64 v[3:4], v[3:4], v[7:8], v[9:10]
	v_div_fixup_f64 v[7:8], v[3:4], v[1:2], 1.0
                                        ; implicit-def: $vgpr1_vgpr2
	s_delay_alu instid0(VALU_DEP_1) | instskip(SKIP_1) | instid1(VALU_DEP_2)
	v_mul_f64 v[5:6], v[5:6], v[7:8]
	v_xor_b32_e32 v8, 0x80000000, v8
	v_xor_b32_e32 v10, 0x80000000, v6
	s_delay_alu instid0(VALU_DEP_3)
	v_mov_b32_e32 v9, v5
.LBB80_15:
	s_and_not1_saveexec_b32 s3, s3
	s_cbranch_execz .LBB80_17
; %bb.16:
	v_div_scale_f64 v[5:6], null, v[1:2], v[1:2], v[3:4]
	v_div_scale_f64 v[11:12], vcc_lo, v[3:4], v[1:2], v[3:4]
	s_delay_alu instid0(VALU_DEP_2) | instskip(SKIP_2) | instid1(VALU_DEP_1)
	v_rcp_f64_e32 v[7:8], v[5:6]
	s_waitcnt_depctr 0xfff
	v_fma_f64 v[9:10], -v[5:6], v[7:8], 1.0
	v_fma_f64 v[7:8], v[7:8], v[9:10], v[7:8]
	s_delay_alu instid0(VALU_DEP_1) | instskip(NEXT) | instid1(VALU_DEP_1)
	v_fma_f64 v[9:10], -v[5:6], v[7:8], 1.0
	v_fma_f64 v[7:8], v[7:8], v[9:10], v[7:8]
	s_delay_alu instid0(VALU_DEP_1) | instskip(NEXT) | instid1(VALU_DEP_1)
	v_mul_f64 v[9:10], v[11:12], v[7:8]
	v_fma_f64 v[5:6], -v[5:6], v[9:10], v[11:12]
	s_delay_alu instid0(VALU_DEP_1) | instskip(NEXT) | instid1(VALU_DEP_1)
	v_div_fmas_f64 v[5:6], v[5:6], v[7:8], v[9:10]
	v_div_fixup_f64 v[7:8], v[5:6], v[1:2], v[3:4]
	s_delay_alu instid0(VALU_DEP_1) | instskip(NEXT) | instid1(VALU_DEP_1)
	v_fma_f64 v[1:2], v[3:4], v[7:8], v[1:2]
	v_div_scale_f64 v[3:4], null, v[1:2], v[1:2], 1.0
	s_delay_alu instid0(VALU_DEP_1) | instskip(SKIP_2) | instid1(VALU_DEP_1)
	v_rcp_f64_e32 v[5:6], v[3:4]
	s_waitcnt_depctr 0xfff
	v_fma_f64 v[9:10], -v[3:4], v[5:6], 1.0
	v_fma_f64 v[5:6], v[5:6], v[9:10], v[5:6]
	s_delay_alu instid0(VALU_DEP_1) | instskip(NEXT) | instid1(VALU_DEP_1)
	v_fma_f64 v[9:10], -v[3:4], v[5:6], 1.0
	v_fma_f64 v[5:6], v[5:6], v[9:10], v[5:6]
	v_div_scale_f64 v[9:10], vcc_lo, 1.0, v[1:2], 1.0
	s_delay_alu instid0(VALU_DEP_1) | instskip(NEXT) | instid1(VALU_DEP_1)
	v_mul_f64 v[11:12], v[9:10], v[5:6]
	v_fma_f64 v[3:4], -v[3:4], v[11:12], v[9:10]
	s_delay_alu instid0(VALU_DEP_1) | instskip(NEXT) | instid1(VALU_DEP_1)
	v_div_fmas_f64 v[3:4], v[3:4], v[5:6], v[11:12]
	v_div_fixup_f64 v[5:6], v[3:4], v[1:2], 1.0
	s_delay_alu instid0(VALU_DEP_1)
	v_mul_f64 v[7:8], v[7:8], -v[5:6]
	v_xor_b32_e32 v10, 0x80000000, v6
	v_mov_b32_e32 v9, v5
.LBB80_17:
	s_or_b32 exec_lo, exec_lo, s3
	scratch_store_b128 v65, v[5:8], off
	scratch_load_b128 v[1:4], v52, off
	v_xor_b32_e32 v12, 0x80000000, v8
	v_mov_b32_e32 v11, v7
	v_add_nc_u32_e32 v5, 0x110, v64
	ds_store_b128 v64, v[9:12]
	s_waitcnt vmcnt(0)
	ds_store_b128 v64, v[1:4] offset:272
	s_waitcnt lgkmcnt(0)
	s_waitcnt_vscnt null, 0x0
	s_barrier
	buffer_gl0_inv
	s_and_saveexec_b32 s3, s2
	s_cbranch_execz .LBB80_19
; %bb.18:
	scratch_load_b128 v[1:4], v65, off
	ds_load_b128 v[6:9], v5
	v_mov_b32_e32 v10, 0
	ds_load_b128 v[66:69], v10 offset:16
	s_waitcnt vmcnt(0) lgkmcnt(1)
	v_mul_f64 v[10:11], v[6:7], v[3:4]
	v_mul_f64 v[3:4], v[8:9], v[3:4]
	s_delay_alu instid0(VALU_DEP_2) | instskip(NEXT) | instid1(VALU_DEP_2)
	v_fma_f64 v[8:9], v[8:9], v[1:2], v[10:11]
	v_fma_f64 v[1:2], v[6:7], v[1:2], -v[3:4]
	s_delay_alu instid0(VALU_DEP_2) | instskip(NEXT) | instid1(VALU_DEP_2)
	v_add_f64 v[3:4], v[8:9], 0
	v_add_f64 v[1:2], v[1:2], 0
	s_waitcnt lgkmcnt(0)
	s_delay_alu instid0(VALU_DEP_2) | instskip(NEXT) | instid1(VALU_DEP_2)
	v_mul_f64 v[6:7], v[3:4], v[68:69]
	v_mul_f64 v[8:9], v[1:2], v[68:69]
	s_delay_alu instid0(VALU_DEP_2) | instskip(NEXT) | instid1(VALU_DEP_2)
	v_fma_f64 v[1:2], v[1:2], v[66:67], -v[6:7]
	v_fma_f64 v[3:4], v[3:4], v[66:67], v[8:9]
	scratch_store_b128 off, v[1:4], off offset:16
.LBB80_19:
	s_or_b32 exec_lo, exec_lo, s3
	s_waitcnt_vscnt null, 0x0
	s_barrier
	buffer_gl0_inv
	scratch_load_b128 v[1:4], v51, off
	s_mov_b32 s3, exec_lo
	s_waitcnt vmcnt(0)
	ds_store_b128 v5, v[1:4]
	s_waitcnt lgkmcnt(0)
	s_barrier
	buffer_gl0_inv
	v_cmpx_gt_u32_e32 2, v47
	s_cbranch_execz .LBB80_23
; %bb.20:
	scratch_load_b128 v[1:4], v65, off
	ds_load_b128 v[6:9], v5
	s_waitcnt vmcnt(0) lgkmcnt(0)
	v_mul_f64 v[10:11], v[8:9], v[3:4]
	v_mul_f64 v[3:4], v[6:7], v[3:4]
	s_delay_alu instid0(VALU_DEP_2) | instskip(NEXT) | instid1(VALU_DEP_2)
	v_fma_f64 v[6:7], v[6:7], v[1:2], -v[10:11]
	v_fma_f64 v[3:4], v[8:9], v[1:2], v[3:4]
	s_delay_alu instid0(VALU_DEP_2) | instskip(NEXT) | instid1(VALU_DEP_2)
	v_add_f64 v[1:2], v[6:7], 0
	v_add_f64 v[3:4], v[3:4], 0
	s_and_saveexec_b32 s4, s2
	s_cbranch_execz .LBB80_22
; %bb.21:
	scratch_load_b128 v[6:9], off, off offset:16
	v_mov_b32_e32 v10, 0
	ds_load_b128 v[66:69], v10 offset:288
	s_waitcnt vmcnt(0) lgkmcnt(0)
	v_mul_f64 v[10:11], v[66:67], v[8:9]
	v_mul_f64 v[8:9], v[68:69], v[8:9]
	s_delay_alu instid0(VALU_DEP_2) | instskip(NEXT) | instid1(VALU_DEP_2)
	v_fma_f64 v[10:11], v[68:69], v[6:7], v[10:11]
	v_fma_f64 v[6:7], v[66:67], v[6:7], -v[8:9]
	s_delay_alu instid0(VALU_DEP_2) | instskip(NEXT) | instid1(VALU_DEP_2)
	v_add_f64 v[3:4], v[3:4], v[10:11]
	v_add_f64 v[1:2], v[1:2], v[6:7]
.LBB80_22:
	s_or_b32 exec_lo, exec_lo, s4
	v_mov_b32_e32 v6, 0
	ds_load_b128 v[6:9], v6 offset:32
	s_waitcnt lgkmcnt(0)
	v_mul_f64 v[10:11], v[3:4], v[8:9]
	v_mul_f64 v[8:9], v[1:2], v[8:9]
	s_delay_alu instid0(VALU_DEP_2) | instskip(NEXT) | instid1(VALU_DEP_2)
	v_fma_f64 v[1:2], v[1:2], v[6:7], -v[10:11]
	v_fma_f64 v[3:4], v[3:4], v[6:7], v[8:9]
	scratch_store_b128 off, v[1:4], off offset:32
.LBB80_23:
	s_or_b32 exec_lo, exec_lo, s3
	s_waitcnt_vscnt null, 0x0
	s_barrier
	buffer_gl0_inv
	scratch_load_b128 v[1:4], v48, off
	v_add_nc_u32_e32 v6, -1, v47
	s_mov_b32 s2, exec_lo
	s_waitcnt vmcnt(0)
	ds_store_b128 v5, v[1:4]
	s_waitcnt lgkmcnt(0)
	s_barrier
	buffer_gl0_inv
	v_cmpx_gt_u32_e32 3, v47
	s_cbranch_execz .LBB80_27
; %bb.24:
	v_dual_mov_b32 v1, 0 :: v_dual_add_nc_u32 v8, 0x110, v64
	v_dual_mov_b32 v2, 0 :: v_dual_add_nc_u32 v7, -1, v47
	v_or_b32_e32 v9, 8, v65
	s_mov_b32 s3, 0
	s_delay_alu instid0(VALU_DEP_2)
	v_dual_mov_b32 v4, v2 :: v_dual_mov_b32 v3, v1
	.p2align	6
.LBB80_25:                              ; =>This Inner Loop Header: Depth=1
	scratch_load_b128 v[66:69], v9, off offset:-8
	ds_load_b128 v[70:73], v8
	v_add_nc_u32_e32 v7, 1, v7
	v_add_nc_u32_e32 v8, 16, v8
	;; [unrolled: 1-line block ×3, first 2 shown]
	s_delay_alu instid0(VALU_DEP_3) | instskip(SKIP_4) | instid1(VALU_DEP_2)
	v_cmp_lt_u32_e32 vcc_lo, 1, v7
	s_or_b32 s3, vcc_lo, s3
	s_waitcnt vmcnt(0) lgkmcnt(0)
	v_mul_f64 v[10:11], v[72:73], v[68:69]
	v_mul_f64 v[68:69], v[70:71], v[68:69]
	v_fma_f64 v[10:11], v[70:71], v[66:67], -v[10:11]
	s_delay_alu instid0(VALU_DEP_2) | instskip(NEXT) | instid1(VALU_DEP_2)
	v_fma_f64 v[66:67], v[72:73], v[66:67], v[68:69]
	v_add_f64 v[3:4], v[3:4], v[10:11]
	s_delay_alu instid0(VALU_DEP_2)
	v_add_f64 v[1:2], v[1:2], v[66:67]
	s_and_not1_b32 exec_lo, exec_lo, s3
	s_cbranch_execnz .LBB80_25
; %bb.26:
	s_or_b32 exec_lo, exec_lo, s3
	v_mov_b32_e32 v7, 0
	ds_load_b128 v[7:10], v7 offset:48
	s_waitcnt lgkmcnt(0)
	v_mul_f64 v[11:12], v[1:2], v[9:10]
	v_mul_f64 v[66:67], v[3:4], v[9:10]
	s_delay_alu instid0(VALU_DEP_2) | instskip(NEXT) | instid1(VALU_DEP_2)
	v_fma_f64 v[9:10], v[3:4], v[7:8], -v[11:12]
	v_fma_f64 v[11:12], v[1:2], v[7:8], v[66:67]
	scratch_store_b128 off, v[9:12], off offset:48
.LBB80_27:
	s_or_b32 exec_lo, exec_lo, s2
	s_waitcnt_vscnt null, 0x0
	s_barrier
	buffer_gl0_inv
	scratch_load_b128 v[1:4], v50, off
	s_mov_b32 s2, exec_lo
	s_waitcnt vmcnt(0)
	ds_store_b128 v5, v[1:4]
	s_waitcnt lgkmcnt(0)
	s_barrier
	buffer_gl0_inv
	v_cmpx_gt_u32_e32 4, v47
	s_cbranch_execz .LBB80_31
; %bb.28:
	v_dual_mov_b32 v1, 0 :: v_dual_add_nc_u32 v8, 0x110, v64
	v_dual_mov_b32 v2, 0 :: v_dual_add_nc_u32 v7, -1, v47
	v_or_b32_e32 v9, 8, v65
	s_mov_b32 s3, 0
	s_delay_alu instid0(VALU_DEP_2)
	v_dual_mov_b32 v4, v2 :: v_dual_mov_b32 v3, v1
	.p2align	6
.LBB80_29:                              ; =>This Inner Loop Header: Depth=1
	scratch_load_b128 v[66:69], v9, off offset:-8
	ds_load_b128 v[70:73], v8
	v_add_nc_u32_e32 v7, 1, v7
	v_add_nc_u32_e32 v8, 16, v8
	;; [unrolled: 1-line block ×3, first 2 shown]
	s_delay_alu instid0(VALU_DEP_3) | instskip(SKIP_4) | instid1(VALU_DEP_2)
	v_cmp_lt_u32_e32 vcc_lo, 2, v7
	s_or_b32 s3, vcc_lo, s3
	s_waitcnt vmcnt(0) lgkmcnt(0)
	v_mul_f64 v[10:11], v[72:73], v[68:69]
	v_mul_f64 v[68:69], v[70:71], v[68:69]
	v_fma_f64 v[10:11], v[70:71], v[66:67], -v[10:11]
	s_delay_alu instid0(VALU_DEP_2) | instskip(NEXT) | instid1(VALU_DEP_2)
	v_fma_f64 v[66:67], v[72:73], v[66:67], v[68:69]
	v_add_f64 v[3:4], v[3:4], v[10:11]
	s_delay_alu instid0(VALU_DEP_2)
	v_add_f64 v[1:2], v[1:2], v[66:67]
	s_and_not1_b32 exec_lo, exec_lo, s3
	s_cbranch_execnz .LBB80_29
; %bb.30:
	s_or_b32 exec_lo, exec_lo, s3
	v_mov_b32_e32 v7, 0
	ds_load_b128 v[7:10], v7 offset:64
	s_waitcnt lgkmcnt(0)
	v_mul_f64 v[11:12], v[1:2], v[9:10]
	v_mul_f64 v[66:67], v[3:4], v[9:10]
	s_delay_alu instid0(VALU_DEP_2) | instskip(NEXT) | instid1(VALU_DEP_2)
	v_fma_f64 v[9:10], v[3:4], v[7:8], -v[11:12]
	v_fma_f64 v[11:12], v[1:2], v[7:8], v[66:67]
	scratch_store_b128 off, v[9:12], off offset:64
.LBB80_31:
	s_or_b32 exec_lo, exec_lo, s2
	s_waitcnt_vscnt null, 0x0
	s_barrier
	buffer_gl0_inv
	scratch_load_b128 v[1:4], v49, off
	s_mov_b32 s2, exec_lo
	s_waitcnt vmcnt(0)
	ds_store_b128 v5, v[1:4]
	s_waitcnt lgkmcnt(0)
	s_barrier
	buffer_gl0_inv
	v_cmpx_gt_u32_e32 5, v47
	s_cbranch_execz .LBB80_35
; %bb.32:
	v_dual_mov_b32 v1, 0 :: v_dual_add_nc_u32 v8, 0x110, v64
	v_dual_mov_b32 v2, 0 :: v_dual_add_nc_u32 v7, -1, v47
	v_or_b32_e32 v9, 8, v65
	s_mov_b32 s3, 0
	s_delay_alu instid0(VALU_DEP_2)
	v_dual_mov_b32 v4, v2 :: v_dual_mov_b32 v3, v1
	.p2align	6
.LBB80_33:                              ; =>This Inner Loop Header: Depth=1
	scratch_load_b128 v[66:69], v9, off offset:-8
	ds_load_b128 v[70:73], v8
	v_add_nc_u32_e32 v7, 1, v7
	v_add_nc_u32_e32 v8, 16, v8
	;; [unrolled: 1-line block ×3, first 2 shown]
	s_delay_alu instid0(VALU_DEP_3) | instskip(SKIP_4) | instid1(VALU_DEP_2)
	v_cmp_lt_u32_e32 vcc_lo, 3, v7
	s_or_b32 s3, vcc_lo, s3
	s_waitcnt vmcnt(0) lgkmcnt(0)
	v_mul_f64 v[10:11], v[72:73], v[68:69]
	v_mul_f64 v[68:69], v[70:71], v[68:69]
	v_fma_f64 v[10:11], v[70:71], v[66:67], -v[10:11]
	s_delay_alu instid0(VALU_DEP_2) | instskip(NEXT) | instid1(VALU_DEP_2)
	v_fma_f64 v[66:67], v[72:73], v[66:67], v[68:69]
	v_add_f64 v[3:4], v[3:4], v[10:11]
	s_delay_alu instid0(VALU_DEP_2)
	v_add_f64 v[1:2], v[1:2], v[66:67]
	s_and_not1_b32 exec_lo, exec_lo, s3
	s_cbranch_execnz .LBB80_33
; %bb.34:
	s_or_b32 exec_lo, exec_lo, s3
	v_mov_b32_e32 v7, 0
	ds_load_b128 v[7:10], v7 offset:80
	s_waitcnt lgkmcnt(0)
	v_mul_f64 v[11:12], v[1:2], v[9:10]
	v_mul_f64 v[66:67], v[3:4], v[9:10]
	s_delay_alu instid0(VALU_DEP_2) | instskip(NEXT) | instid1(VALU_DEP_2)
	v_fma_f64 v[9:10], v[3:4], v[7:8], -v[11:12]
	v_fma_f64 v[11:12], v[1:2], v[7:8], v[66:67]
	scratch_store_b128 off, v[9:12], off offset:80
.LBB80_35:
	s_or_b32 exec_lo, exec_lo, s2
	s_waitcnt_vscnt null, 0x0
	s_barrier
	buffer_gl0_inv
	scratch_load_b128 v[1:4], v54, off
	s_mov_b32 s2, exec_lo
	s_waitcnt vmcnt(0)
	ds_store_b128 v5, v[1:4]
	s_waitcnt lgkmcnt(0)
	s_barrier
	buffer_gl0_inv
	v_cmpx_gt_u32_e32 6, v47
	s_cbranch_execz .LBB80_39
; %bb.36:
	v_dual_mov_b32 v1, 0 :: v_dual_add_nc_u32 v8, 0x110, v64
	v_dual_mov_b32 v2, 0 :: v_dual_add_nc_u32 v7, -1, v47
	v_or_b32_e32 v9, 8, v65
	s_mov_b32 s3, 0
	s_delay_alu instid0(VALU_DEP_2)
	v_dual_mov_b32 v4, v2 :: v_dual_mov_b32 v3, v1
	.p2align	6
.LBB80_37:                              ; =>This Inner Loop Header: Depth=1
	scratch_load_b128 v[66:69], v9, off offset:-8
	ds_load_b128 v[70:73], v8
	v_add_nc_u32_e32 v7, 1, v7
	v_add_nc_u32_e32 v8, 16, v8
	;; [unrolled: 1-line block ×3, first 2 shown]
	s_delay_alu instid0(VALU_DEP_3) | instskip(SKIP_4) | instid1(VALU_DEP_2)
	v_cmp_lt_u32_e32 vcc_lo, 4, v7
	s_or_b32 s3, vcc_lo, s3
	s_waitcnt vmcnt(0) lgkmcnt(0)
	v_mul_f64 v[10:11], v[72:73], v[68:69]
	v_mul_f64 v[68:69], v[70:71], v[68:69]
	v_fma_f64 v[10:11], v[70:71], v[66:67], -v[10:11]
	s_delay_alu instid0(VALU_DEP_2) | instskip(NEXT) | instid1(VALU_DEP_2)
	v_fma_f64 v[66:67], v[72:73], v[66:67], v[68:69]
	v_add_f64 v[3:4], v[3:4], v[10:11]
	s_delay_alu instid0(VALU_DEP_2)
	v_add_f64 v[1:2], v[1:2], v[66:67]
	s_and_not1_b32 exec_lo, exec_lo, s3
	s_cbranch_execnz .LBB80_37
; %bb.38:
	s_or_b32 exec_lo, exec_lo, s3
	v_mov_b32_e32 v7, 0
	ds_load_b128 v[7:10], v7 offset:96
	s_waitcnt lgkmcnt(0)
	v_mul_f64 v[11:12], v[1:2], v[9:10]
	v_mul_f64 v[66:67], v[3:4], v[9:10]
	s_delay_alu instid0(VALU_DEP_2) | instskip(NEXT) | instid1(VALU_DEP_2)
	v_fma_f64 v[9:10], v[3:4], v[7:8], -v[11:12]
	v_fma_f64 v[11:12], v[1:2], v[7:8], v[66:67]
	scratch_store_b128 off, v[9:12], off offset:96
.LBB80_39:
	s_or_b32 exec_lo, exec_lo, s2
	s_waitcnt_vscnt null, 0x0
	s_barrier
	buffer_gl0_inv
	scratch_load_b128 v[1:4], v53, off
	s_mov_b32 s2, exec_lo
	s_waitcnt vmcnt(0)
	ds_store_b128 v5, v[1:4]
	s_waitcnt lgkmcnt(0)
	s_barrier
	buffer_gl0_inv
	v_cmpx_gt_u32_e32 7, v47
	s_cbranch_execz .LBB80_43
; %bb.40:
	v_dual_mov_b32 v1, 0 :: v_dual_add_nc_u32 v8, 0x110, v64
	v_dual_mov_b32 v2, 0 :: v_dual_add_nc_u32 v7, -1, v47
	v_or_b32_e32 v9, 8, v65
	s_mov_b32 s3, 0
	s_delay_alu instid0(VALU_DEP_2)
	v_dual_mov_b32 v4, v2 :: v_dual_mov_b32 v3, v1
	.p2align	6
.LBB80_41:                              ; =>This Inner Loop Header: Depth=1
	scratch_load_b128 v[66:69], v9, off offset:-8
	ds_load_b128 v[70:73], v8
	v_add_nc_u32_e32 v7, 1, v7
	v_add_nc_u32_e32 v8, 16, v8
	;; [unrolled: 1-line block ×3, first 2 shown]
	s_delay_alu instid0(VALU_DEP_3) | instskip(SKIP_4) | instid1(VALU_DEP_2)
	v_cmp_lt_u32_e32 vcc_lo, 5, v7
	s_or_b32 s3, vcc_lo, s3
	s_waitcnt vmcnt(0) lgkmcnt(0)
	v_mul_f64 v[10:11], v[72:73], v[68:69]
	v_mul_f64 v[68:69], v[70:71], v[68:69]
	v_fma_f64 v[10:11], v[70:71], v[66:67], -v[10:11]
	s_delay_alu instid0(VALU_DEP_2) | instskip(NEXT) | instid1(VALU_DEP_2)
	v_fma_f64 v[66:67], v[72:73], v[66:67], v[68:69]
	v_add_f64 v[3:4], v[3:4], v[10:11]
	s_delay_alu instid0(VALU_DEP_2)
	v_add_f64 v[1:2], v[1:2], v[66:67]
	s_and_not1_b32 exec_lo, exec_lo, s3
	s_cbranch_execnz .LBB80_41
; %bb.42:
	s_or_b32 exec_lo, exec_lo, s3
	v_mov_b32_e32 v7, 0
	ds_load_b128 v[7:10], v7 offset:112
	s_waitcnt lgkmcnt(0)
	v_mul_f64 v[11:12], v[1:2], v[9:10]
	v_mul_f64 v[66:67], v[3:4], v[9:10]
	s_delay_alu instid0(VALU_DEP_2) | instskip(NEXT) | instid1(VALU_DEP_2)
	v_fma_f64 v[9:10], v[3:4], v[7:8], -v[11:12]
	v_fma_f64 v[11:12], v[1:2], v[7:8], v[66:67]
	scratch_store_b128 off, v[9:12], off offset:112
.LBB80_43:
	s_or_b32 exec_lo, exec_lo, s2
	s_waitcnt_vscnt null, 0x0
	s_barrier
	buffer_gl0_inv
	scratch_load_b128 v[1:4], v56, off
	s_mov_b32 s2, exec_lo
	s_waitcnt vmcnt(0)
	ds_store_b128 v5, v[1:4]
	s_waitcnt lgkmcnt(0)
	s_barrier
	buffer_gl0_inv
	v_cmpx_gt_u32_e32 8, v47
	s_cbranch_execz .LBB80_47
; %bb.44:
	v_dual_mov_b32 v1, 0 :: v_dual_add_nc_u32 v8, 0x110, v64
	v_dual_mov_b32 v2, 0 :: v_dual_add_nc_u32 v7, -1, v47
	v_or_b32_e32 v9, 8, v65
	s_mov_b32 s3, 0
	s_delay_alu instid0(VALU_DEP_2)
	v_dual_mov_b32 v4, v2 :: v_dual_mov_b32 v3, v1
	.p2align	6
.LBB80_45:                              ; =>This Inner Loop Header: Depth=1
	scratch_load_b128 v[66:69], v9, off offset:-8
	ds_load_b128 v[70:73], v8
	v_add_nc_u32_e32 v7, 1, v7
	v_add_nc_u32_e32 v8, 16, v8
	;; [unrolled: 1-line block ×3, first 2 shown]
	s_delay_alu instid0(VALU_DEP_3) | instskip(SKIP_4) | instid1(VALU_DEP_2)
	v_cmp_lt_u32_e32 vcc_lo, 6, v7
	s_or_b32 s3, vcc_lo, s3
	s_waitcnt vmcnt(0) lgkmcnt(0)
	v_mul_f64 v[10:11], v[72:73], v[68:69]
	v_mul_f64 v[68:69], v[70:71], v[68:69]
	v_fma_f64 v[10:11], v[70:71], v[66:67], -v[10:11]
	s_delay_alu instid0(VALU_DEP_2) | instskip(NEXT) | instid1(VALU_DEP_2)
	v_fma_f64 v[66:67], v[72:73], v[66:67], v[68:69]
	v_add_f64 v[3:4], v[3:4], v[10:11]
	s_delay_alu instid0(VALU_DEP_2)
	v_add_f64 v[1:2], v[1:2], v[66:67]
	s_and_not1_b32 exec_lo, exec_lo, s3
	s_cbranch_execnz .LBB80_45
; %bb.46:
	s_or_b32 exec_lo, exec_lo, s3
	v_mov_b32_e32 v7, 0
	ds_load_b128 v[7:10], v7 offset:128
	s_waitcnt lgkmcnt(0)
	v_mul_f64 v[11:12], v[1:2], v[9:10]
	v_mul_f64 v[66:67], v[3:4], v[9:10]
	s_delay_alu instid0(VALU_DEP_2) | instskip(NEXT) | instid1(VALU_DEP_2)
	v_fma_f64 v[9:10], v[3:4], v[7:8], -v[11:12]
	v_fma_f64 v[11:12], v[1:2], v[7:8], v[66:67]
	scratch_store_b128 off, v[9:12], off offset:128
.LBB80_47:
	s_or_b32 exec_lo, exec_lo, s2
	s_waitcnt_vscnt null, 0x0
	s_barrier
	buffer_gl0_inv
	scratch_load_b128 v[1:4], v55, off
	s_mov_b32 s2, exec_lo
	s_waitcnt vmcnt(0)
	ds_store_b128 v5, v[1:4]
	s_waitcnt lgkmcnt(0)
	s_barrier
	buffer_gl0_inv
	v_cmpx_gt_u32_e32 9, v47
	s_cbranch_execz .LBB80_51
; %bb.48:
	v_dual_mov_b32 v1, 0 :: v_dual_add_nc_u32 v8, 0x110, v64
	v_dual_mov_b32 v2, 0 :: v_dual_add_nc_u32 v7, -1, v47
	v_or_b32_e32 v9, 8, v65
	s_mov_b32 s3, 0
	s_delay_alu instid0(VALU_DEP_2)
	v_dual_mov_b32 v4, v2 :: v_dual_mov_b32 v3, v1
	.p2align	6
.LBB80_49:                              ; =>This Inner Loop Header: Depth=1
	scratch_load_b128 v[66:69], v9, off offset:-8
	ds_load_b128 v[70:73], v8
	v_add_nc_u32_e32 v7, 1, v7
	v_add_nc_u32_e32 v8, 16, v8
	;; [unrolled: 1-line block ×3, first 2 shown]
	s_delay_alu instid0(VALU_DEP_3) | instskip(SKIP_4) | instid1(VALU_DEP_2)
	v_cmp_lt_u32_e32 vcc_lo, 7, v7
	s_or_b32 s3, vcc_lo, s3
	s_waitcnt vmcnt(0) lgkmcnt(0)
	v_mul_f64 v[10:11], v[72:73], v[68:69]
	v_mul_f64 v[68:69], v[70:71], v[68:69]
	v_fma_f64 v[10:11], v[70:71], v[66:67], -v[10:11]
	s_delay_alu instid0(VALU_DEP_2) | instskip(NEXT) | instid1(VALU_DEP_2)
	v_fma_f64 v[66:67], v[72:73], v[66:67], v[68:69]
	v_add_f64 v[3:4], v[3:4], v[10:11]
	s_delay_alu instid0(VALU_DEP_2)
	v_add_f64 v[1:2], v[1:2], v[66:67]
	s_and_not1_b32 exec_lo, exec_lo, s3
	s_cbranch_execnz .LBB80_49
; %bb.50:
	s_or_b32 exec_lo, exec_lo, s3
	v_mov_b32_e32 v7, 0
	ds_load_b128 v[7:10], v7 offset:144
	s_waitcnt lgkmcnt(0)
	v_mul_f64 v[11:12], v[1:2], v[9:10]
	v_mul_f64 v[66:67], v[3:4], v[9:10]
	s_delay_alu instid0(VALU_DEP_2) | instskip(NEXT) | instid1(VALU_DEP_2)
	v_fma_f64 v[9:10], v[3:4], v[7:8], -v[11:12]
	v_fma_f64 v[11:12], v[1:2], v[7:8], v[66:67]
	scratch_store_b128 off, v[9:12], off offset:144
.LBB80_51:
	s_or_b32 exec_lo, exec_lo, s2
	s_waitcnt_vscnt null, 0x0
	s_barrier
	buffer_gl0_inv
	scratch_load_b128 v[1:4], v58, off
	s_mov_b32 s2, exec_lo
	s_waitcnt vmcnt(0)
	ds_store_b128 v5, v[1:4]
	s_waitcnt lgkmcnt(0)
	s_barrier
	buffer_gl0_inv
	v_cmpx_gt_u32_e32 10, v47
	s_cbranch_execz .LBB80_55
; %bb.52:
	v_dual_mov_b32 v1, 0 :: v_dual_add_nc_u32 v8, 0x110, v64
	v_dual_mov_b32 v2, 0 :: v_dual_add_nc_u32 v7, -1, v47
	v_or_b32_e32 v9, 8, v65
	s_mov_b32 s3, 0
	s_delay_alu instid0(VALU_DEP_2)
	v_dual_mov_b32 v4, v2 :: v_dual_mov_b32 v3, v1
	.p2align	6
.LBB80_53:                              ; =>This Inner Loop Header: Depth=1
	scratch_load_b128 v[66:69], v9, off offset:-8
	ds_load_b128 v[70:73], v8
	v_add_nc_u32_e32 v7, 1, v7
	v_add_nc_u32_e32 v8, 16, v8
	;; [unrolled: 1-line block ×3, first 2 shown]
	s_delay_alu instid0(VALU_DEP_3) | instskip(SKIP_4) | instid1(VALU_DEP_2)
	v_cmp_lt_u32_e32 vcc_lo, 8, v7
	s_or_b32 s3, vcc_lo, s3
	s_waitcnt vmcnt(0) lgkmcnt(0)
	v_mul_f64 v[10:11], v[72:73], v[68:69]
	v_mul_f64 v[68:69], v[70:71], v[68:69]
	v_fma_f64 v[10:11], v[70:71], v[66:67], -v[10:11]
	s_delay_alu instid0(VALU_DEP_2) | instskip(NEXT) | instid1(VALU_DEP_2)
	v_fma_f64 v[66:67], v[72:73], v[66:67], v[68:69]
	v_add_f64 v[3:4], v[3:4], v[10:11]
	s_delay_alu instid0(VALU_DEP_2)
	v_add_f64 v[1:2], v[1:2], v[66:67]
	s_and_not1_b32 exec_lo, exec_lo, s3
	s_cbranch_execnz .LBB80_53
; %bb.54:
	s_or_b32 exec_lo, exec_lo, s3
	v_mov_b32_e32 v7, 0
	ds_load_b128 v[7:10], v7 offset:160
	s_waitcnt lgkmcnt(0)
	v_mul_f64 v[11:12], v[1:2], v[9:10]
	v_mul_f64 v[66:67], v[3:4], v[9:10]
	s_delay_alu instid0(VALU_DEP_2) | instskip(NEXT) | instid1(VALU_DEP_2)
	v_fma_f64 v[9:10], v[3:4], v[7:8], -v[11:12]
	v_fma_f64 v[11:12], v[1:2], v[7:8], v[66:67]
	scratch_store_b128 off, v[9:12], off offset:160
.LBB80_55:
	s_or_b32 exec_lo, exec_lo, s2
	s_waitcnt_vscnt null, 0x0
	s_barrier
	buffer_gl0_inv
	scratch_load_b128 v[1:4], v57, off
	s_mov_b32 s2, exec_lo
	s_waitcnt vmcnt(0)
	ds_store_b128 v5, v[1:4]
	s_waitcnt lgkmcnt(0)
	s_barrier
	buffer_gl0_inv
	v_cmpx_gt_u32_e32 11, v47
	s_cbranch_execz .LBB80_59
; %bb.56:
	v_dual_mov_b32 v1, 0 :: v_dual_add_nc_u32 v8, 0x110, v64
	v_dual_mov_b32 v2, 0 :: v_dual_add_nc_u32 v7, -1, v47
	v_or_b32_e32 v9, 8, v65
	s_mov_b32 s3, 0
	s_delay_alu instid0(VALU_DEP_2)
	v_dual_mov_b32 v4, v2 :: v_dual_mov_b32 v3, v1
	.p2align	6
.LBB80_57:                              ; =>This Inner Loop Header: Depth=1
	scratch_load_b128 v[66:69], v9, off offset:-8
	ds_load_b128 v[70:73], v8
	v_add_nc_u32_e32 v7, 1, v7
	v_add_nc_u32_e32 v8, 16, v8
	;; [unrolled: 1-line block ×3, first 2 shown]
	s_delay_alu instid0(VALU_DEP_3) | instskip(SKIP_4) | instid1(VALU_DEP_2)
	v_cmp_lt_u32_e32 vcc_lo, 9, v7
	s_or_b32 s3, vcc_lo, s3
	s_waitcnt vmcnt(0) lgkmcnt(0)
	v_mul_f64 v[10:11], v[72:73], v[68:69]
	v_mul_f64 v[68:69], v[70:71], v[68:69]
	v_fma_f64 v[10:11], v[70:71], v[66:67], -v[10:11]
	s_delay_alu instid0(VALU_DEP_2) | instskip(NEXT) | instid1(VALU_DEP_2)
	v_fma_f64 v[66:67], v[72:73], v[66:67], v[68:69]
	v_add_f64 v[3:4], v[3:4], v[10:11]
	s_delay_alu instid0(VALU_DEP_2)
	v_add_f64 v[1:2], v[1:2], v[66:67]
	s_and_not1_b32 exec_lo, exec_lo, s3
	s_cbranch_execnz .LBB80_57
; %bb.58:
	s_or_b32 exec_lo, exec_lo, s3
	v_mov_b32_e32 v7, 0
	ds_load_b128 v[7:10], v7 offset:176
	s_waitcnt lgkmcnt(0)
	v_mul_f64 v[11:12], v[1:2], v[9:10]
	v_mul_f64 v[66:67], v[3:4], v[9:10]
	s_delay_alu instid0(VALU_DEP_2) | instskip(NEXT) | instid1(VALU_DEP_2)
	v_fma_f64 v[9:10], v[3:4], v[7:8], -v[11:12]
	v_fma_f64 v[11:12], v[1:2], v[7:8], v[66:67]
	scratch_store_b128 off, v[9:12], off offset:176
.LBB80_59:
	s_or_b32 exec_lo, exec_lo, s2
	s_waitcnt_vscnt null, 0x0
	s_barrier
	buffer_gl0_inv
	scratch_load_b128 v[1:4], v60, off
	s_mov_b32 s2, exec_lo
	s_waitcnt vmcnt(0)
	ds_store_b128 v5, v[1:4]
	s_waitcnt lgkmcnt(0)
	s_barrier
	buffer_gl0_inv
	v_cmpx_gt_u32_e32 12, v47
	s_cbranch_execz .LBB80_63
; %bb.60:
	v_dual_mov_b32 v1, 0 :: v_dual_add_nc_u32 v8, 0x110, v64
	v_dual_mov_b32 v2, 0 :: v_dual_add_nc_u32 v7, -1, v47
	v_or_b32_e32 v9, 8, v65
	s_mov_b32 s3, 0
	s_delay_alu instid0(VALU_DEP_2)
	v_dual_mov_b32 v4, v2 :: v_dual_mov_b32 v3, v1
	.p2align	6
.LBB80_61:                              ; =>This Inner Loop Header: Depth=1
	scratch_load_b128 v[66:69], v9, off offset:-8
	ds_load_b128 v[70:73], v8
	v_add_nc_u32_e32 v7, 1, v7
	v_add_nc_u32_e32 v8, 16, v8
	;; [unrolled: 1-line block ×3, first 2 shown]
	s_delay_alu instid0(VALU_DEP_3) | instskip(SKIP_4) | instid1(VALU_DEP_2)
	v_cmp_lt_u32_e32 vcc_lo, 10, v7
	s_or_b32 s3, vcc_lo, s3
	s_waitcnt vmcnt(0) lgkmcnt(0)
	v_mul_f64 v[10:11], v[72:73], v[68:69]
	v_mul_f64 v[68:69], v[70:71], v[68:69]
	v_fma_f64 v[10:11], v[70:71], v[66:67], -v[10:11]
	s_delay_alu instid0(VALU_DEP_2) | instskip(NEXT) | instid1(VALU_DEP_2)
	v_fma_f64 v[66:67], v[72:73], v[66:67], v[68:69]
	v_add_f64 v[3:4], v[3:4], v[10:11]
	s_delay_alu instid0(VALU_DEP_2)
	v_add_f64 v[1:2], v[1:2], v[66:67]
	s_and_not1_b32 exec_lo, exec_lo, s3
	s_cbranch_execnz .LBB80_61
; %bb.62:
	s_or_b32 exec_lo, exec_lo, s3
	v_mov_b32_e32 v7, 0
	ds_load_b128 v[7:10], v7 offset:192
	s_waitcnt lgkmcnt(0)
	v_mul_f64 v[11:12], v[1:2], v[9:10]
	v_mul_f64 v[66:67], v[3:4], v[9:10]
	s_delay_alu instid0(VALU_DEP_2) | instskip(NEXT) | instid1(VALU_DEP_2)
	v_fma_f64 v[9:10], v[3:4], v[7:8], -v[11:12]
	v_fma_f64 v[11:12], v[1:2], v[7:8], v[66:67]
	scratch_store_b128 off, v[9:12], off offset:192
.LBB80_63:
	s_or_b32 exec_lo, exec_lo, s2
	s_waitcnt_vscnt null, 0x0
	s_barrier
	buffer_gl0_inv
	scratch_load_b128 v[1:4], v59, off
	s_mov_b32 s2, exec_lo
	s_waitcnt vmcnt(0)
	ds_store_b128 v5, v[1:4]
	s_waitcnt lgkmcnt(0)
	s_barrier
	buffer_gl0_inv
	v_cmpx_gt_u32_e32 13, v47
	s_cbranch_execz .LBB80_67
; %bb.64:
	v_dual_mov_b32 v1, 0 :: v_dual_add_nc_u32 v8, 0x110, v64
	v_dual_mov_b32 v2, 0 :: v_dual_add_nc_u32 v7, -1, v47
	v_or_b32_e32 v9, 8, v65
	s_mov_b32 s3, 0
	s_delay_alu instid0(VALU_DEP_2)
	v_dual_mov_b32 v4, v2 :: v_dual_mov_b32 v3, v1
	.p2align	6
.LBB80_65:                              ; =>This Inner Loop Header: Depth=1
	scratch_load_b128 v[66:69], v9, off offset:-8
	ds_load_b128 v[70:73], v8
	v_add_nc_u32_e32 v7, 1, v7
	v_add_nc_u32_e32 v8, 16, v8
	;; [unrolled: 1-line block ×3, first 2 shown]
	s_delay_alu instid0(VALU_DEP_3) | instskip(SKIP_4) | instid1(VALU_DEP_2)
	v_cmp_lt_u32_e32 vcc_lo, 11, v7
	s_or_b32 s3, vcc_lo, s3
	s_waitcnt vmcnt(0) lgkmcnt(0)
	v_mul_f64 v[10:11], v[72:73], v[68:69]
	v_mul_f64 v[68:69], v[70:71], v[68:69]
	v_fma_f64 v[10:11], v[70:71], v[66:67], -v[10:11]
	s_delay_alu instid0(VALU_DEP_2) | instskip(NEXT) | instid1(VALU_DEP_2)
	v_fma_f64 v[66:67], v[72:73], v[66:67], v[68:69]
	v_add_f64 v[3:4], v[3:4], v[10:11]
	s_delay_alu instid0(VALU_DEP_2)
	v_add_f64 v[1:2], v[1:2], v[66:67]
	s_and_not1_b32 exec_lo, exec_lo, s3
	s_cbranch_execnz .LBB80_65
; %bb.66:
	s_or_b32 exec_lo, exec_lo, s3
	v_mov_b32_e32 v7, 0
	ds_load_b128 v[7:10], v7 offset:208
	s_waitcnt lgkmcnt(0)
	v_mul_f64 v[11:12], v[1:2], v[9:10]
	v_mul_f64 v[66:67], v[3:4], v[9:10]
	s_delay_alu instid0(VALU_DEP_2) | instskip(NEXT) | instid1(VALU_DEP_2)
	v_fma_f64 v[9:10], v[3:4], v[7:8], -v[11:12]
	v_fma_f64 v[11:12], v[1:2], v[7:8], v[66:67]
	scratch_store_b128 off, v[9:12], off offset:208
.LBB80_67:
	s_or_b32 exec_lo, exec_lo, s2
	s_waitcnt_vscnt null, 0x0
	s_barrier
	buffer_gl0_inv
	scratch_load_b128 v[1:4], v62, off
	s_mov_b32 s2, exec_lo
	s_waitcnt vmcnt(0)
	ds_store_b128 v5, v[1:4]
	s_waitcnt lgkmcnt(0)
	s_barrier
	buffer_gl0_inv
	v_cmpx_gt_u32_e32 14, v47
	s_cbranch_execz .LBB80_71
; %bb.68:
	v_dual_mov_b32 v1, 0 :: v_dual_add_nc_u32 v8, 0x110, v64
	v_dual_mov_b32 v2, 0 :: v_dual_add_nc_u32 v7, -1, v47
	v_or_b32_e32 v9, 8, v65
	s_mov_b32 s3, 0
	s_delay_alu instid0(VALU_DEP_2)
	v_dual_mov_b32 v4, v2 :: v_dual_mov_b32 v3, v1
	.p2align	6
.LBB80_69:                              ; =>This Inner Loop Header: Depth=1
	scratch_load_b128 v[66:69], v9, off offset:-8
	ds_load_b128 v[70:73], v8
	v_add_nc_u32_e32 v7, 1, v7
	v_add_nc_u32_e32 v8, 16, v8
	;; [unrolled: 1-line block ×3, first 2 shown]
	s_delay_alu instid0(VALU_DEP_3) | instskip(SKIP_4) | instid1(VALU_DEP_2)
	v_cmp_lt_u32_e32 vcc_lo, 12, v7
	s_or_b32 s3, vcc_lo, s3
	s_waitcnt vmcnt(0) lgkmcnt(0)
	v_mul_f64 v[10:11], v[72:73], v[68:69]
	v_mul_f64 v[68:69], v[70:71], v[68:69]
	v_fma_f64 v[10:11], v[70:71], v[66:67], -v[10:11]
	s_delay_alu instid0(VALU_DEP_2) | instskip(NEXT) | instid1(VALU_DEP_2)
	v_fma_f64 v[66:67], v[72:73], v[66:67], v[68:69]
	v_add_f64 v[3:4], v[3:4], v[10:11]
	s_delay_alu instid0(VALU_DEP_2)
	v_add_f64 v[1:2], v[1:2], v[66:67]
	s_and_not1_b32 exec_lo, exec_lo, s3
	s_cbranch_execnz .LBB80_69
; %bb.70:
	s_or_b32 exec_lo, exec_lo, s3
	v_mov_b32_e32 v7, 0
	ds_load_b128 v[7:10], v7 offset:224
	s_waitcnt lgkmcnt(0)
	v_mul_f64 v[11:12], v[1:2], v[9:10]
	v_mul_f64 v[66:67], v[3:4], v[9:10]
	s_delay_alu instid0(VALU_DEP_2) | instskip(NEXT) | instid1(VALU_DEP_2)
	v_fma_f64 v[9:10], v[3:4], v[7:8], -v[11:12]
	v_fma_f64 v[11:12], v[1:2], v[7:8], v[66:67]
	scratch_store_b128 off, v[9:12], off offset:224
.LBB80_71:
	s_or_b32 exec_lo, exec_lo, s2
	s_waitcnt_vscnt null, 0x0
	s_barrier
	buffer_gl0_inv
	scratch_load_b128 v[1:4], v63, off
	s_mov_b32 s2, exec_lo
	s_waitcnt vmcnt(0)
	ds_store_b128 v5, v[1:4]
	s_waitcnt lgkmcnt(0)
	s_barrier
	buffer_gl0_inv
	v_cmpx_gt_u32_e32 15, v47
	s_cbranch_execz .LBB80_75
; %bb.72:
	v_dual_mov_b32 v1, 0 :: v_dual_add_nc_u32 v8, 0x110, v64
	v_dual_mov_b32 v2, 0 :: v_dual_add_nc_u32 v7, -1, v47
	v_or_b32_e32 v9, 8, v65
	s_mov_b32 s3, 0
	s_delay_alu instid0(VALU_DEP_2)
	v_dual_mov_b32 v4, v2 :: v_dual_mov_b32 v3, v1
	.p2align	6
.LBB80_73:                              ; =>This Inner Loop Header: Depth=1
	scratch_load_b128 v[66:69], v9, off offset:-8
	ds_load_b128 v[70:73], v8
	v_add_nc_u32_e32 v7, 1, v7
	v_add_nc_u32_e32 v8, 16, v8
	;; [unrolled: 1-line block ×3, first 2 shown]
	s_delay_alu instid0(VALU_DEP_3) | instskip(SKIP_4) | instid1(VALU_DEP_2)
	v_cmp_lt_u32_e32 vcc_lo, 13, v7
	s_or_b32 s3, vcc_lo, s3
	s_waitcnt vmcnt(0) lgkmcnt(0)
	v_mul_f64 v[10:11], v[72:73], v[68:69]
	v_mul_f64 v[68:69], v[70:71], v[68:69]
	v_fma_f64 v[10:11], v[70:71], v[66:67], -v[10:11]
	s_delay_alu instid0(VALU_DEP_2) | instskip(NEXT) | instid1(VALU_DEP_2)
	v_fma_f64 v[66:67], v[72:73], v[66:67], v[68:69]
	v_add_f64 v[3:4], v[3:4], v[10:11]
	s_delay_alu instid0(VALU_DEP_2)
	v_add_f64 v[1:2], v[1:2], v[66:67]
	s_and_not1_b32 exec_lo, exec_lo, s3
	s_cbranch_execnz .LBB80_73
; %bb.74:
	s_or_b32 exec_lo, exec_lo, s3
	v_mov_b32_e32 v7, 0
	ds_load_b128 v[7:10], v7 offset:240
	s_waitcnt lgkmcnt(0)
	v_mul_f64 v[11:12], v[1:2], v[9:10]
	v_mul_f64 v[66:67], v[3:4], v[9:10]
	s_delay_alu instid0(VALU_DEP_2) | instskip(NEXT) | instid1(VALU_DEP_2)
	v_fma_f64 v[9:10], v[3:4], v[7:8], -v[11:12]
	v_fma_f64 v[11:12], v[1:2], v[7:8], v[66:67]
	scratch_store_b128 off, v[9:12], off offset:240
.LBB80_75:
	s_or_b32 exec_lo, exec_lo, s2
	s_waitcnt_vscnt null, 0x0
	s_barrier
	buffer_gl0_inv
	scratch_load_b128 v[1:4], v61, off
	s_mov_b32 s2, exec_lo
	s_waitcnt vmcnt(0)
	ds_store_b128 v5, v[1:4]
	s_waitcnt lgkmcnt(0)
	s_barrier
	buffer_gl0_inv
	v_cmpx_ne_u32_e32 16, v47
	s_cbranch_execz .LBB80_79
; %bb.76:
	v_mov_b32_e32 v1, 0
	v_mov_b32_e32 v2, 0
	v_or_b32_e32 v7, 8, v65
	s_mov_b32 s3, 0
	s_delay_alu instid0(VALU_DEP_2)
	v_dual_mov_b32 v4, v2 :: v_dual_mov_b32 v3, v1
	.p2align	6
.LBB80_77:                              ; =>This Inner Loop Header: Depth=1
	scratch_load_b128 v[8:11], v7, off offset:-8
	ds_load_b128 v[64:67], v5
	v_add_nc_u32_e32 v6, 1, v6
	v_add_nc_u32_e32 v5, 16, v5
	;; [unrolled: 1-line block ×3, first 2 shown]
	s_delay_alu instid0(VALU_DEP_3) | instskip(SKIP_4) | instid1(VALU_DEP_2)
	v_cmp_lt_u32_e32 vcc_lo, 14, v6
	s_or_b32 s3, vcc_lo, s3
	s_waitcnt vmcnt(0) lgkmcnt(0)
	v_mul_f64 v[68:69], v[66:67], v[10:11]
	v_mul_f64 v[10:11], v[64:65], v[10:11]
	v_fma_f64 v[64:65], v[64:65], v[8:9], -v[68:69]
	s_delay_alu instid0(VALU_DEP_2) | instskip(NEXT) | instid1(VALU_DEP_2)
	v_fma_f64 v[8:9], v[66:67], v[8:9], v[10:11]
	v_add_f64 v[3:4], v[3:4], v[64:65]
	s_delay_alu instid0(VALU_DEP_2)
	v_add_f64 v[1:2], v[1:2], v[8:9]
	s_and_not1_b32 exec_lo, exec_lo, s3
	s_cbranch_execnz .LBB80_77
; %bb.78:
	s_or_b32 exec_lo, exec_lo, s3
	v_mov_b32_e32 v5, 0
	ds_load_b128 v[5:8], v5 offset:256
	s_waitcnt lgkmcnt(0)
	v_mul_f64 v[9:10], v[1:2], v[7:8]
	v_mul_f64 v[7:8], v[3:4], v[7:8]
	s_delay_alu instid0(VALU_DEP_2) | instskip(NEXT) | instid1(VALU_DEP_2)
	v_fma_f64 v[3:4], v[3:4], v[5:6], -v[9:10]
	v_fma_f64 v[5:6], v[1:2], v[5:6], v[7:8]
	scratch_store_b128 off, v[3:6], off offset:256
.LBB80_79:
	s_or_b32 exec_lo, exec_lo, s2
	s_mov_b32 s3, -1
	s_waitcnt_vscnt null, 0x0
	s_barrier
	buffer_gl0_inv
.LBB80_80:
	s_and_b32 vcc_lo, exec_lo, s3
	s_cbranch_vccz .LBB80_82
; %bb.81:
	s_lshl_b64 s[2:3], s[10:11], 2
	v_mov_b32_e32 v1, 0
	s_add_u32 s2, s6, s2
	s_addc_u32 s3, s7, s3
	global_load_b32 v1, v1, s[2:3]
	s_waitcnt vmcnt(0)
	v_cmp_ne_u32_e32 vcc_lo, 0, v1
	s_cbranch_vccz .LBB80_83
.LBB80_82:
	s_endpgm
.LBB80_83:
	v_lshl_add_u32 v5, v47, 4, 0x110
	s_mov_b32 s2, exec_lo
	v_cmpx_eq_u32_e32 16, v47
	s_cbranch_execz .LBB80_85
; %bb.84:
	scratch_load_b128 v[1:4], v63, off
	v_mov_b32_e32 v6, 0
	s_delay_alu instid0(VALU_DEP_1)
	v_mov_b32_e32 v7, v6
	v_mov_b32_e32 v8, v6
	;; [unrolled: 1-line block ×3, first 2 shown]
	scratch_store_b128 off, v[6:9], off offset:240
	s_waitcnt vmcnt(0)
	ds_store_b128 v5, v[1:4]
.LBB80_85:
	s_or_b32 exec_lo, exec_lo, s2
	s_waitcnt lgkmcnt(0)
	s_waitcnt_vscnt null, 0x0
	s_barrier
	buffer_gl0_inv
	s_clause 0x1
	scratch_load_b128 v[6:9], off, off offset:256
	scratch_load_b128 v[64:67], off, off offset:240
	v_mov_b32_e32 v1, 0
	s_mov_b32 s2, exec_lo
	ds_load_b128 v[68:71], v1 offset:528
	s_waitcnt vmcnt(1) lgkmcnt(0)
	v_mul_f64 v[2:3], v[70:71], v[8:9]
	v_mul_f64 v[8:9], v[68:69], v[8:9]
	s_delay_alu instid0(VALU_DEP_2) | instskip(NEXT) | instid1(VALU_DEP_2)
	v_fma_f64 v[2:3], v[68:69], v[6:7], -v[2:3]
	v_fma_f64 v[6:7], v[70:71], v[6:7], v[8:9]
	s_delay_alu instid0(VALU_DEP_2) | instskip(NEXT) | instid1(VALU_DEP_2)
	v_add_f64 v[2:3], v[2:3], 0
	v_add_f64 v[8:9], v[6:7], 0
	s_waitcnt vmcnt(0)
	s_delay_alu instid0(VALU_DEP_2) | instskip(NEXT) | instid1(VALU_DEP_2)
	v_add_f64 v[6:7], v[64:65], -v[2:3]
	v_add_f64 v[8:9], v[66:67], -v[8:9]
	scratch_store_b128 off, v[6:9], off offset:240
	v_cmpx_lt_u32_e32 14, v47
	s_cbranch_execz .LBB80_87
; %bb.86:
	scratch_load_b128 v[6:9], v62, off
	v_mov_b32_e32 v2, v1
	v_mov_b32_e32 v3, v1
	;; [unrolled: 1-line block ×3, first 2 shown]
	scratch_store_b128 off, v[1:4], off offset:224
	s_waitcnt vmcnt(0)
	ds_store_b128 v5, v[6:9]
.LBB80_87:
	s_or_b32 exec_lo, exec_lo, s2
	s_waitcnt lgkmcnt(0)
	s_waitcnt_vscnt null, 0x0
	s_barrier
	buffer_gl0_inv
	s_clause 0x2
	scratch_load_b128 v[6:9], off, off offset:240
	scratch_load_b128 v[64:67], off, off offset:256
	;; [unrolled: 1-line block ×3, first 2 shown]
	ds_load_b128 v[72:75], v1 offset:512
	ds_load_b128 v[1:4], v1 offset:528
	s_mov_b32 s2, exec_lo
	s_waitcnt vmcnt(2) lgkmcnt(1)
	v_mul_f64 v[10:11], v[74:75], v[8:9]
	v_mul_f64 v[8:9], v[72:73], v[8:9]
	s_waitcnt vmcnt(1) lgkmcnt(0)
	v_mul_f64 v[76:77], v[1:2], v[66:67]
	v_mul_f64 v[66:67], v[3:4], v[66:67]
	s_delay_alu instid0(VALU_DEP_4) | instskip(NEXT) | instid1(VALU_DEP_4)
	v_fma_f64 v[10:11], v[72:73], v[6:7], -v[10:11]
	v_fma_f64 v[6:7], v[74:75], v[6:7], v[8:9]
	s_delay_alu instid0(VALU_DEP_4) | instskip(NEXT) | instid1(VALU_DEP_4)
	v_fma_f64 v[3:4], v[3:4], v[64:65], v[76:77]
	v_fma_f64 v[1:2], v[1:2], v[64:65], -v[66:67]
	s_delay_alu instid0(VALU_DEP_4) | instskip(NEXT) | instid1(VALU_DEP_4)
	v_add_f64 v[8:9], v[10:11], 0
	v_add_f64 v[6:7], v[6:7], 0
	s_delay_alu instid0(VALU_DEP_2) | instskip(NEXT) | instid1(VALU_DEP_2)
	v_add_f64 v[1:2], v[8:9], v[1:2]
	v_add_f64 v[3:4], v[6:7], v[3:4]
	s_waitcnt vmcnt(0)
	s_delay_alu instid0(VALU_DEP_2) | instskip(NEXT) | instid1(VALU_DEP_2)
	v_add_f64 v[1:2], v[68:69], -v[1:2]
	v_add_f64 v[3:4], v[70:71], -v[3:4]
	scratch_store_b128 off, v[1:4], off offset:224
	v_cmpx_lt_u32_e32 13, v47
	s_cbranch_execz .LBB80_89
; %bb.88:
	scratch_load_b128 v[1:4], v59, off
	v_mov_b32_e32 v6, 0
	s_delay_alu instid0(VALU_DEP_1)
	v_mov_b32_e32 v7, v6
	v_mov_b32_e32 v8, v6
	;; [unrolled: 1-line block ×3, first 2 shown]
	scratch_store_b128 off, v[6:9], off offset:208
	s_waitcnt vmcnt(0)
	ds_store_b128 v5, v[1:4]
.LBB80_89:
	s_or_b32 exec_lo, exec_lo, s2
	s_waitcnt lgkmcnt(0)
	s_waitcnt_vscnt null, 0x0
	s_barrier
	buffer_gl0_inv
	s_clause 0x3
	scratch_load_b128 v[6:9], off, off offset:224
	scratch_load_b128 v[64:67], off, off offset:240
	;; [unrolled: 1-line block ×4, first 2 shown]
	v_mov_b32_e32 v1, 0
	ds_load_b128 v[76:79], v1 offset:496
	ds_load_b128 v[80:83], v1 offset:512
	s_mov_b32 s2, exec_lo
	s_waitcnt vmcnt(3) lgkmcnt(1)
	v_mul_f64 v[2:3], v[78:79], v[8:9]
	v_mul_f64 v[8:9], v[76:77], v[8:9]
	s_waitcnt vmcnt(2) lgkmcnt(0)
	v_mul_f64 v[10:11], v[80:81], v[66:67]
	v_mul_f64 v[66:67], v[82:83], v[66:67]
	s_delay_alu instid0(VALU_DEP_4) | instskip(NEXT) | instid1(VALU_DEP_4)
	v_fma_f64 v[2:3], v[76:77], v[6:7], -v[2:3]
	v_fma_f64 v[76:77], v[78:79], v[6:7], v[8:9]
	ds_load_b128 v[6:9], v1 offset:528
	v_fma_f64 v[10:11], v[82:83], v[64:65], v[10:11]
	v_fma_f64 v[64:65], v[80:81], v[64:65], -v[66:67]
	s_waitcnt vmcnt(1) lgkmcnt(0)
	v_mul_f64 v[78:79], v[6:7], v[70:71]
	v_mul_f64 v[70:71], v[8:9], v[70:71]
	v_add_f64 v[2:3], v[2:3], 0
	v_add_f64 v[66:67], v[76:77], 0
	s_delay_alu instid0(VALU_DEP_4) | instskip(NEXT) | instid1(VALU_DEP_4)
	v_fma_f64 v[8:9], v[8:9], v[68:69], v[78:79]
	v_fma_f64 v[6:7], v[6:7], v[68:69], -v[70:71]
	s_delay_alu instid0(VALU_DEP_4) | instskip(NEXT) | instid1(VALU_DEP_4)
	v_add_f64 v[2:3], v[2:3], v[64:65]
	v_add_f64 v[10:11], v[66:67], v[10:11]
	s_delay_alu instid0(VALU_DEP_2) | instskip(NEXT) | instid1(VALU_DEP_2)
	v_add_f64 v[2:3], v[2:3], v[6:7]
	v_add_f64 v[8:9], v[10:11], v[8:9]
	s_waitcnt vmcnt(0)
	s_delay_alu instid0(VALU_DEP_2) | instskip(NEXT) | instid1(VALU_DEP_2)
	v_add_f64 v[6:7], v[72:73], -v[2:3]
	v_add_f64 v[8:9], v[74:75], -v[8:9]
	scratch_store_b128 off, v[6:9], off offset:208
	v_cmpx_lt_u32_e32 12, v47
	s_cbranch_execz .LBB80_91
; %bb.90:
	scratch_load_b128 v[6:9], v60, off
	v_mov_b32_e32 v2, v1
	v_mov_b32_e32 v3, v1
	v_mov_b32_e32 v4, v1
	scratch_store_b128 off, v[1:4], off offset:192
	s_waitcnt vmcnt(0)
	ds_store_b128 v5, v[6:9]
.LBB80_91:
	s_or_b32 exec_lo, exec_lo, s2
	s_waitcnt lgkmcnt(0)
	s_waitcnt_vscnt null, 0x0
	s_barrier
	buffer_gl0_inv
	s_clause 0x4
	scratch_load_b128 v[6:9], off, off offset:208
	scratch_load_b128 v[64:67], off, off offset:224
	;; [unrolled: 1-line block ×5, first 2 shown]
	ds_load_b128 v[80:83], v1 offset:480
	ds_load_b128 v[84:87], v1 offset:496
	s_mov_b32 s2, exec_lo
	s_waitcnt vmcnt(4) lgkmcnt(1)
	v_mul_f64 v[2:3], v[82:83], v[8:9]
	v_mul_f64 v[8:9], v[80:81], v[8:9]
	s_waitcnt vmcnt(3) lgkmcnt(0)
	v_mul_f64 v[10:11], v[84:85], v[66:67]
	v_mul_f64 v[66:67], v[86:87], v[66:67]
	s_delay_alu instid0(VALU_DEP_4) | instskip(NEXT) | instid1(VALU_DEP_4)
	v_fma_f64 v[80:81], v[80:81], v[6:7], -v[2:3]
	v_fma_f64 v[82:83], v[82:83], v[6:7], v[8:9]
	ds_load_b128 v[6:9], v1 offset:512
	ds_load_b128 v[1:4], v1 offset:528
	v_fma_f64 v[10:11], v[86:87], v[64:65], v[10:11]
	v_fma_f64 v[64:65], v[84:85], v[64:65], -v[66:67]
	s_waitcnt vmcnt(2) lgkmcnt(1)
	v_mul_f64 v[88:89], v[6:7], v[70:71]
	v_mul_f64 v[70:71], v[8:9], v[70:71]
	v_add_f64 v[66:67], v[80:81], 0
	v_add_f64 v[80:81], v[82:83], 0
	s_waitcnt vmcnt(1) lgkmcnt(0)
	v_mul_f64 v[82:83], v[1:2], v[74:75]
	v_mul_f64 v[74:75], v[3:4], v[74:75]
	v_fma_f64 v[8:9], v[8:9], v[68:69], v[88:89]
	v_fma_f64 v[6:7], v[6:7], v[68:69], -v[70:71]
	v_add_f64 v[64:65], v[66:67], v[64:65]
	v_add_f64 v[10:11], v[80:81], v[10:11]
	v_fma_f64 v[3:4], v[3:4], v[72:73], v[82:83]
	v_fma_f64 v[1:2], v[1:2], v[72:73], -v[74:75]
	s_delay_alu instid0(VALU_DEP_4) | instskip(NEXT) | instid1(VALU_DEP_4)
	v_add_f64 v[6:7], v[64:65], v[6:7]
	v_add_f64 v[8:9], v[10:11], v[8:9]
	s_delay_alu instid0(VALU_DEP_2) | instskip(NEXT) | instid1(VALU_DEP_2)
	v_add_f64 v[1:2], v[6:7], v[1:2]
	v_add_f64 v[3:4], v[8:9], v[3:4]
	s_waitcnt vmcnt(0)
	s_delay_alu instid0(VALU_DEP_2) | instskip(NEXT) | instid1(VALU_DEP_2)
	v_add_f64 v[1:2], v[76:77], -v[1:2]
	v_add_f64 v[3:4], v[78:79], -v[3:4]
	scratch_store_b128 off, v[1:4], off offset:192
	v_cmpx_lt_u32_e32 11, v47
	s_cbranch_execz .LBB80_93
; %bb.92:
	scratch_load_b128 v[1:4], v57, off
	v_mov_b32_e32 v6, 0
	s_delay_alu instid0(VALU_DEP_1)
	v_mov_b32_e32 v7, v6
	v_mov_b32_e32 v8, v6
	;; [unrolled: 1-line block ×3, first 2 shown]
	scratch_store_b128 off, v[6:9], off offset:176
	s_waitcnt vmcnt(0)
	ds_store_b128 v5, v[1:4]
.LBB80_93:
	s_or_b32 exec_lo, exec_lo, s2
	s_waitcnt lgkmcnt(0)
	s_waitcnt_vscnt null, 0x0
	s_barrier
	buffer_gl0_inv
	s_clause 0x5
	scratch_load_b128 v[6:9], off, off offset:192
	scratch_load_b128 v[64:67], off, off offset:208
	;; [unrolled: 1-line block ×6, first 2 shown]
	v_mov_b32_e32 v1, 0
	ds_load_b128 v[84:87], v1 offset:464
	ds_load_b128 v[88:91], v1 offset:480
	s_mov_b32 s2, exec_lo
	s_waitcnt vmcnt(5) lgkmcnt(1)
	v_mul_f64 v[2:3], v[86:87], v[8:9]
	v_mul_f64 v[8:9], v[84:85], v[8:9]
	s_waitcnt vmcnt(4) lgkmcnt(0)
	v_mul_f64 v[10:11], v[88:89], v[66:67]
	v_mul_f64 v[66:67], v[90:91], v[66:67]
	s_delay_alu instid0(VALU_DEP_4) | instskip(NEXT) | instid1(VALU_DEP_4)
	v_fma_f64 v[2:3], v[84:85], v[6:7], -v[2:3]
	v_fma_f64 v[92:93], v[86:87], v[6:7], v[8:9]
	ds_load_b128 v[6:9], v1 offset:496
	ds_load_b128 v[84:87], v1 offset:512
	v_fma_f64 v[10:11], v[90:91], v[64:65], v[10:11]
	v_fma_f64 v[64:65], v[88:89], v[64:65], -v[66:67]
	s_waitcnt vmcnt(3) lgkmcnt(1)
	v_mul_f64 v[94:95], v[6:7], v[70:71]
	v_mul_f64 v[70:71], v[8:9], v[70:71]
	s_waitcnt vmcnt(2) lgkmcnt(0)
	v_mul_f64 v[88:89], v[84:85], v[74:75]
	v_mul_f64 v[74:75], v[86:87], v[74:75]
	v_add_f64 v[2:3], v[2:3], 0
	v_add_f64 v[66:67], v[92:93], 0
	v_fma_f64 v[90:91], v[8:9], v[68:69], v[94:95]
	v_fma_f64 v[68:69], v[6:7], v[68:69], -v[70:71]
	ds_load_b128 v[6:9], v1 offset:528
	v_fma_f64 v[70:71], v[86:87], v[72:73], v[88:89]
	v_fma_f64 v[72:73], v[84:85], v[72:73], -v[74:75]
	v_add_f64 v[2:3], v[2:3], v[64:65]
	v_add_f64 v[10:11], v[66:67], v[10:11]
	s_waitcnt vmcnt(1) lgkmcnt(0)
	v_mul_f64 v[64:65], v[6:7], v[78:79]
	v_mul_f64 v[66:67], v[8:9], v[78:79]
	s_delay_alu instid0(VALU_DEP_4) | instskip(NEXT) | instid1(VALU_DEP_4)
	v_add_f64 v[2:3], v[2:3], v[68:69]
	v_add_f64 v[10:11], v[10:11], v[90:91]
	s_delay_alu instid0(VALU_DEP_4) | instskip(NEXT) | instid1(VALU_DEP_4)
	v_fma_f64 v[8:9], v[8:9], v[76:77], v[64:65]
	v_fma_f64 v[6:7], v[6:7], v[76:77], -v[66:67]
	s_delay_alu instid0(VALU_DEP_4) | instskip(NEXT) | instid1(VALU_DEP_4)
	v_add_f64 v[2:3], v[2:3], v[72:73]
	v_add_f64 v[10:11], v[10:11], v[70:71]
	s_delay_alu instid0(VALU_DEP_2) | instskip(NEXT) | instid1(VALU_DEP_2)
	v_add_f64 v[2:3], v[2:3], v[6:7]
	v_add_f64 v[8:9], v[10:11], v[8:9]
	s_waitcnt vmcnt(0)
	s_delay_alu instid0(VALU_DEP_2) | instskip(NEXT) | instid1(VALU_DEP_2)
	v_add_f64 v[6:7], v[80:81], -v[2:3]
	v_add_f64 v[8:9], v[82:83], -v[8:9]
	scratch_store_b128 off, v[6:9], off offset:176
	v_cmpx_lt_u32_e32 10, v47
	s_cbranch_execz .LBB80_95
; %bb.94:
	scratch_load_b128 v[6:9], v58, off
	v_mov_b32_e32 v2, v1
	v_mov_b32_e32 v3, v1
	;; [unrolled: 1-line block ×3, first 2 shown]
	scratch_store_b128 off, v[1:4], off offset:160
	s_waitcnt vmcnt(0)
	ds_store_b128 v5, v[6:9]
.LBB80_95:
	s_or_b32 exec_lo, exec_lo, s2
	s_waitcnt lgkmcnt(0)
	s_waitcnt_vscnt null, 0x0
	s_barrier
	buffer_gl0_inv
	s_clause 0x5
	scratch_load_b128 v[6:9], off, off offset:176
	scratch_load_b128 v[64:67], off, off offset:192
	;; [unrolled: 1-line block ×6, first 2 shown]
	ds_load_b128 v[84:87], v1 offset:448
	ds_load_b128 v[92:95], v1 offset:464
	scratch_load_b128 v[88:91], off, off offset:160
	s_mov_b32 s2, exec_lo
	s_waitcnt vmcnt(6) lgkmcnt(1)
	v_mul_f64 v[2:3], v[86:87], v[8:9]
	v_mul_f64 v[8:9], v[84:85], v[8:9]
	s_waitcnt vmcnt(5) lgkmcnt(0)
	v_mul_f64 v[10:11], v[92:93], v[66:67]
	v_mul_f64 v[66:67], v[94:95], v[66:67]
	s_delay_alu instid0(VALU_DEP_4) | instskip(NEXT) | instid1(VALU_DEP_4)
	v_fma_f64 v[2:3], v[84:85], v[6:7], -v[2:3]
	v_fma_f64 v[96:97], v[86:87], v[6:7], v[8:9]
	ds_load_b128 v[6:9], v1 offset:480
	ds_load_b128 v[84:87], v1 offset:496
	v_fma_f64 v[10:11], v[94:95], v[64:65], v[10:11]
	v_fma_f64 v[64:65], v[92:93], v[64:65], -v[66:67]
	s_waitcnt vmcnt(4) lgkmcnt(1)
	v_mul_f64 v[98:99], v[6:7], v[70:71]
	v_mul_f64 v[70:71], v[8:9], v[70:71]
	s_waitcnt vmcnt(3) lgkmcnt(0)
	v_mul_f64 v[92:93], v[84:85], v[74:75]
	v_mul_f64 v[74:75], v[86:87], v[74:75]
	v_add_f64 v[2:3], v[2:3], 0
	v_add_f64 v[66:67], v[96:97], 0
	v_fma_f64 v[94:95], v[8:9], v[68:69], v[98:99]
	v_fma_f64 v[68:69], v[6:7], v[68:69], -v[70:71]
	s_delay_alu instid0(VALU_DEP_4) | instskip(NEXT) | instid1(VALU_DEP_4)
	v_add_f64 v[64:65], v[2:3], v[64:65]
	v_add_f64 v[10:11], v[66:67], v[10:11]
	ds_load_b128 v[6:9], v1 offset:512
	ds_load_b128 v[1:4], v1 offset:528
	s_waitcnt vmcnt(2) lgkmcnt(1)
	v_mul_f64 v[66:67], v[6:7], v[78:79]
	v_mul_f64 v[70:71], v[8:9], v[78:79]
	v_fma_f64 v[78:79], v[86:87], v[72:73], v[92:93]
	v_fma_f64 v[72:73], v[84:85], v[72:73], -v[74:75]
	s_waitcnt vmcnt(1) lgkmcnt(0)
	v_mul_f64 v[74:75], v[3:4], v[82:83]
	v_add_f64 v[64:65], v[64:65], v[68:69]
	v_add_f64 v[10:11], v[10:11], v[94:95]
	v_mul_f64 v[68:69], v[1:2], v[82:83]
	v_fma_f64 v[8:9], v[8:9], v[76:77], v[66:67]
	v_fma_f64 v[6:7], v[6:7], v[76:77], -v[70:71]
	v_fma_f64 v[1:2], v[1:2], v[80:81], -v[74:75]
	v_add_f64 v[64:65], v[64:65], v[72:73]
	v_add_f64 v[10:11], v[10:11], v[78:79]
	v_fma_f64 v[3:4], v[3:4], v[80:81], v[68:69]
	s_delay_alu instid0(VALU_DEP_3) | instskip(NEXT) | instid1(VALU_DEP_3)
	v_add_f64 v[6:7], v[64:65], v[6:7]
	v_add_f64 v[8:9], v[10:11], v[8:9]
	s_delay_alu instid0(VALU_DEP_2) | instskip(NEXT) | instid1(VALU_DEP_2)
	v_add_f64 v[1:2], v[6:7], v[1:2]
	v_add_f64 v[3:4], v[8:9], v[3:4]
	s_waitcnt vmcnt(0)
	s_delay_alu instid0(VALU_DEP_2) | instskip(NEXT) | instid1(VALU_DEP_2)
	v_add_f64 v[1:2], v[88:89], -v[1:2]
	v_add_f64 v[3:4], v[90:91], -v[3:4]
	scratch_store_b128 off, v[1:4], off offset:160
	v_cmpx_lt_u32_e32 9, v47
	s_cbranch_execz .LBB80_97
; %bb.96:
	scratch_load_b128 v[1:4], v55, off
	v_mov_b32_e32 v6, 0
	s_delay_alu instid0(VALU_DEP_1)
	v_mov_b32_e32 v7, v6
	v_mov_b32_e32 v8, v6
	;; [unrolled: 1-line block ×3, first 2 shown]
	scratch_store_b128 off, v[6:9], off offset:144
	s_waitcnt vmcnt(0)
	ds_store_b128 v5, v[1:4]
.LBB80_97:
	s_or_b32 exec_lo, exec_lo, s2
	s_waitcnt lgkmcnt(0)
	s_waitcnt_vscnt null, 0x0
	s_barrier
	buffer_gl0_inv
	s_clause 0x6
	scratch_load_b128 v[6:9], off, off offset:160
	scratch_load_b128 v[64:67], off, off offset:176
	;; [unrolled: 1-line block ×7, first 2 shown]
	v_mov_b32_e32 v1, 0
	scratch_load_b128 v[92:95], off, off offset:144
	s_mov_b32 s2, exec_lo
	ds_load_b128 v[88:91], v1 offset:432
	ds_load_b128 v[96:99], v1 offset:448
	s_waitcnt vmcnt(7) lgkmcnt(1)
	v_mul_f64 v[2:3], v[90:91], v[8:9]
	v_mul_f64 v[8:9], v[88:89], v[8:9]
	s_waitcnt vmcnt(6) lgkmcnt(0)
	v_mul_f64 v[10:11], v[96:97], v[66:67]
	v_mul_f64 v[66:67], v[98:99], v[66:67]
	s_delay_alu instid0(VALU_DEP_4) | instskip(NEXT) | instid1(VALU_DEP_4)
	v_fma_f64 v[2:3], v[88:89], v[6:7], -v[2:3]
	v_fma_f64 v[100:101], v[90:91], v[6:7], v[8:9]
	ds_load_b128 v[6:9], v1 offset:464
	ds_load_b128 v[88:91], v1 offset:480
	v_fma_f64 v[10:11], v[98:99], v[64:65], v[10:11]
	v_fma_f64 v[64:65], v[96:97], v[64:65], -v[66:67]
	s_waitcnt vmcnt(5) lgkmcnt(1)
	v_mul_f64 v[102:103], v[6:7], v[70:71]
	v_mul_f64 v[70:71], v[8:9], v[70:71]
	s_waitcnt vmcnt(4) lgkmcnt(0)
	v_mul_f64 v[96:97], v[88:89], v[74:75]
	v_mul_f64 v[74:75], v[90:91], v[74:75]
	v_add_f64 v[2:3], v[2:3], 0
	v_add_f64 v[66:67], v[100:101], 0
	v_fma_f64 v[98:99], v[8:9], v[68:69], v[102:103]
	v_fma_f64 v[68:69], v[6:7], v[68:69], -v[70:71]
	v_fma_f64 v[90:91], v[90:91], v[72:73], v[96:97]
	v_fma_f64 v[72:73], v[88:89], v[72:73], -v[74:75]
	v_add_f64 v[2:3], v[2:3], v[64:65]
	v_add_f64 v[10:11], v[66:67], v[10:11]
	ds_load_b128 v[6:9], v1 offset:496
	ds_load_b128 v[64:67], v1 offset:512
	s_waitcnt vmcnt(3) lgkmcnt(1)
	v_mul_f64 v[70:71], v[6:7], v[78:79]
	v_mul_f64 v[78:79], v[8:9], v[78:79]
	s_waitcnt vmcnt(2) lgkmcnt(0)
	v_mul_f64 v[74:75], v[66:67], v[82:83]
	v_add_f64 v[2:3], v[2:3], v[68:69]
	v_add_f64 v[10:11], v[10:11], v[98:99]
	v_mul_f64 v[68:69], v[64:65], v[82:83]
	v_fma_f64 v[70:71], v[8:9], v[76:77], v[70:71]
	v_fma_f64 v[76:77], v[6:7], v[76:77], -v[78:79]
	ds_load_b128 v[6:9], v1 offset:528
	v_fma_f64 v[64:65], v[64:65], v[80:81], -v[74:75]
	v_add_f64 v[2:3], v[2:3], v[72:73]
	v_add_f64 v[10:11], v[10:11], v[90:91]
	v_fma_f64 v[66:67], v[66:67], v[80:81], v[68:69]
	s_waitcnt vmcnt(1) lgkmcnt(0)
	v_mul_f64 v[72:73], v[6:7], v[86:87]
	v_mul_f64 v[78:79], v[8:9], v[86:87]
	v_add_f64 v[2:3], v[2:3], v[76:77]
	v_add_f64 v[10:11], v[10:11], v[70:71]
	s_delay_alu instid0(VALU_DEP_4) | instskip(NEXT) | instid1(VALU_DEP_4)
	v_fma_f64 v[8:9], v[8:9], v[84:85], v[72:73]
	v_fma_f64 v[6:7], v[6:7], v[84:85], -v[78:79]
	s_delay_alu instid0(VALU_DEP_4) | instskip(NEXT) | instid1(VALU_DEP_4)
	v_add_f64 v[2:3], v[2:3], v[64:65]
	v_add_f64 v[10:11], v[10:11], v[66:67]
	s_delay_alu instid0(VALU_DEP_2) | instskip(NEXT) | instid1(VALU_DEP_2)
	v_add_f64 v[2:3], v[2:3], v[6:7]
	v_add_f64 v[8:9], v[10:11], v[8:9]
	s_waitcnt vmcnt(0)
	s_delay_alu instid0(VALU_DEP_2) | instskip(NEXT) | instid1(VALU_DEP_2)
	v_add_f64 v[6:7], v[92:93], -v[2:3]
	v_add_f64 v[8:9], v[94:95], -v[8:9]
	scratch_store_b128 off, v[6:9], off offset:144
	v_cmpx_lt_u32_e32 8, v47
	s_cbranch_execz .LBB80_99
; %bb.98:
	scratch_load_b128 v[6:9], v56, off
	v_mov_b32_e32 v2, v1
	v_mov_b32_e32 v3, v1
	;; [unrolled: 1-line block ×3, first 2 shown]
	scratch_store_b128 off, v[1:4], off offset:128
	s_waitcnt vmcnt(0)
	ds_store_b128 v5, v[6:9]
.LBB80_99:
	s_or_b32 exec_lo, exec_lo, s2
	s_waitcnt lgkmcnt(0)
	s_waitcnt_vscnt null, 0x0
	s_barrier
	buffer_gl0_inv
	s_clause 0x7
	scratch_load_b128 v[6:9], off, off offset:144
	scratch_load_b128 v[64:67], off, off offset:160
	;; [unrolled: 1-line block ×8, first 2 shown]
	ds_load_b128 v[92:95], v1 offset:416
	ds_load_b128 v[96:99], v1 offset:432
	scratch_load_b128 v[100:103], off, off offset:128
	s_mov_b32 s2, exec_lo
	s_waitcnt vmcnt(8) lgkmcnt(1)
	v_mul_f64 v[2:3], v[94:95], v[8:9]
	v_mul_f64 v[8:9], v[92:93], v[8:9]
	s_waitcnt vmcnt(7) lgkmcnt(0)
	v_mul_f64 v[10:11], v[96:97], v[66:67]
	v_mul_f64 v[66:67], v[98:99], v[66:67]
	s_delay_alu instid0(VALU_DEP_4) | instskip(NEXT) | instid1(VALU_DEP_4)
	v_fma_f64 v[2:3], v[92:93], v[6:7], -v[2:3]
	v_fma_f64 v[104:105], v[94:95], v[6:7], v[8:9]
	ds_load_b128 v[6:9], v1 offset:448
	ds_load_b128 v[92:95], v1 offset:464
	v_fma_f64 v[10:11], v[98:99], v[64:65], v[10:11]
	v_fma_f64 v[64:65], v[96:97], v[64:65], -v[66:67]
	s_waitcnt vmcnt(6) lgkmcnt(1)
	v_mul_f64 v[106:107], v[6:7], v[70:71]
	v_mul_f64 v[70:71], v[8:9], v[70:71]
	s_waitcnt vmcnt(5) lgkmcnt(0)
	v_mul_f64 v[96:97], v[92:93], v[74:75]
	v_mul_f64 v[74:75], v[94:95], v[74:75]
	v_add_f64 v[2:3], v[2:3], 0
	v_add_f64 v[66:67], v[104:105], 0
	v_fma_f64 v[98:99], v[8:9], v[68:69], v[106:107]
	v_fma_f64 v[68:69], v[6:7], v[68:69], -v[70:71]
	v_fma_f64 v[94:95], v[94:95], v[72:73], v[96:97]
	v_fma_f64 v[72:73], v[92:93], v[72:73], -v[74:75]
	v_add_f64 v[2:3], v[2:3], v[64:65]
	v_add_f64 v[10:11], v[66:67], v[10:11]
	ds_load_b128 v[6:9], v1 offset:480
	ds_load_b128 v[64:67], v1 offset:496
	s_waitcnt vmcnt(4) lgkmcnt(1)
	v_mul_f64 v[70:71], v[6:7], v[78:79]
	v_mul_f64 v[78:79], v[8:9], v[78:79]
	s_waitcnt vmcnt(3) lgkmcnt(0)
	v_mul_f64 v[74:75], v[66:67], v[82:83]
	v_add_f64 v[2:3], v[2:3], v[68:69]
	v_add_f64 v[10:11], v[10:11], v[98:99]
	v_mul_f64 v[68:69], v[64:65], v[82:83]
	v_fma_f64 v[70:71], v[8:9], v[76:77], v[70:71]
	v_fma_f64 v[76:77], v[6:7], v[76:77], -v[78:79]
	v_fma_f64 v[64:65], v[64:65], v[80:81], -v[74:75]
	v_add_f64 v[72:73], v[2:3], v[72:73]
	v_add_f64 v[10:11], v[10:11], v[94:95]
	ds_load_b128 v[6:9], v1 offset:512
	ds_load_b128 v[1:4], v1 offset:528
	v_fma_f64 v[66:67], v[66:67], v[80:81], v[68:69]
	s_waitcnt vmcnt(2) lgkmcnt(1)
	v_mul_f64 v[78:79], v[6:7], v[86:87]
	v_mul_f64 v[82:83], v[8:9], v[86:87]
	v_add_f64 v[68:69], v[72:73], v[76:77]
	v_add_f64 v[10:11], v[10:11], v[70:71]
	s_waitcnt vmcnt(1) lgkmcnt(0)
	v_mul_f64 v[70:71], v[1:2], v[90:91]
	v_mul_f64 v[72:73], v[3:4], v[90:91]
	v_fma_f64 v[8:9], v[8:9], v[84:85], v[78:79]
	v_fma_f64 v[6:7], v[6:7], v[84:85], -v[82:83]
	v_add_f64 v[64:65], v[68:69], v[64:65]
	v_add_f64 v[10:11], v[10:11], v[66:67]
	v_fma_f64 v[3:4], v[3:4], v[88:89], v[70:71]
	v_fma_f64 v[1:2], v[1:2], v[88:89], -v[72:73]
	s_delay_alu instid0(VALU_DEP_4) | instskip(NEXT) | instid1(VALU_DEP_4)
	v_add_f64 v[6:7], v[64:65], v[6:7]
	v_add_f64 v[8:9], v[10:11], v[8:9]
	s_delay_alu instid0(VALU_DEP_2) | instskip(NEXT) | instid1(VALU_DEP_2)
	v_add_f64 v[1:2], v[6:7], v[1:2]
	v_add_f64 v[3:4], v[8:9], v[3:4]
	s_waitcnt vmcnt(0)
	s_delay_alu instid0(VALU_DEP_2) | instskip(NEXT) | instid1(VALU_DEP_2)
	v_add_f64 v[1:2], v[100:101], -v[1:2]
	v_add_f64 v[3:4], v[102:103], -v[3:4]
	scratch_store_b128 off, v[1:4], off offset:128
	v_cmpx_lt_u32_e32 7, v47
	s_cbranch_execz .LBB80_101
; %bb.100:
	scratch_load_b128 v[1:4], v53, off
	v_mov_b32_e32 v6, 0
	s_delay_alu instid0(VALU_DEP_1)
	v_mov_b32_e32 v7, v6
	v_mov_b32_e32 v8, v6
	;; [unrolled: 1-line block ×3, first 2 shown]
	scratch_store_b128 off, v[6:9], off offset:112
	s_waitcnt vmcnt(0)
	ds_store_b128 v5, v[1:4]
.LBB80_101:
	s_or_b32 exec_lo, exec_lo, s2
	s_waitcnt lgkmcnt(0)
	s_waitcnt_vscnt null, 0x0
	s_barrier
	buffer_gl0_inv
	s_clause 0x7
	scratch_load_b128 v[6:9], off, off offset:128
	scratch_load_b128 v[64:67], off, off offset:144
	;; [unrolled: 1-line block ×8, first 2 shown]
	v_mov_b32_e32 v1, 0
	s_mov_b32 s2, exec_lo
	ds_load_b128 v[92:95], v1 offset:400
	s_clause 0x1
	scratch_load_b128 v[96:99], off, off offset:256
	scratch_load_b128 v[100:103], off, off offset:112
	ds_load_b128 v[104:107], v1 offset:416
	s_waitcnt vmcnt(9) lgkmcnt(1)
	v_mul_f64 v[2:3], v[94:95], v[8:9]
	v_mul_f64 v[8:9], v[92:93], v[8:9]
	s_waitcnt vmcnt(8) lgkmcnt(0)
	v_mul_f64 v[10:11], v[104:105], v[66:67]
	v_mul_f64 v[66:67], v[106:107], v[66:67]
	s_delay_alu instid0(VALU_DEP_4) | instskip(NEXT) | instid1(VALU_DEP_4)
	v_fma_f64 v[2:3], v[92:93], v[6:7], -v[2:3]
	v_fma_f64 v[108:109], v[94:95], v[6:7], v[8:9]
	ds_load_b128 v[6:9], v1 offset:432
	ds_load_b128 v[92:95], v1 offset:448
	v_fma_f64 v[10:11], v[106:107], v[64:65], v[10:11]
	v_fma_f64 v[64:65], v[104:105], v[64:65], -v[66:67]
	s_waitcnt vmcnt(7) lgkmcnt(1)
	v_mul_f64 v[110:111], v[6:7], v[70:71]
	v_mul_f64 v[70:71], v[8:9], v[70:71]
	s_waitcnt vmcnt(6) lgkmcnt(0)
	v_mul_f64 v[104:105], v[92:93], v[74:75]
	v_mul_f64 v[74:75], v[94:95], v[74:75]
	v_add_f64 v[2:3], v[2:3], 0
	v_add_f64 v[66:67], v[108:109], 0
	v_fma_f64 v[106:107], v[8:9], v[68:69], v[110:111]
	v_fma_f64 v[68:69], v[6:7], v[68:69], -v[70:71]
	v_fma_f64 v[94:95], v[94:95], v[72:73], v[104:105]
	v_fma_f64 v[72:73], v[92:93], v[72:73], -v[74:75]
	v_add_f64 v[2:3], v[2:3], v[64:65]
	v_add_f64 v[10:11], v[66:67], v[10:11]
	ds_load_b128 v[6:9], v1 offset:464
	ds_load_b128 v[64:67], v1 offset:480
	s_waitcnt vmcnt(5) lgkmcnt(1)
	v_mul_f64 v[70:71], v[6:7], v[78:79]
	v_mul_f64 v[78:79], v[8:9], v[78:79]
	s_waitcnt vmcnt(4) lgkmcnt(0)
	v_mul_f64 v[74:75], v[64:65], v[82:83]
	v_mul_f64 v[82:83], v[66:67], v[82:83]
	v_add_f64 v[2:3], v[2:3], v[68:69]
	v_add_f64 v[10:11], v[10:11], v[106:107]
	v_fma_f64 v[92:93], v[8:9], v[76:77], v[70:71]
	v_fma_f64 v[76:77], v[6:7], v[76:77], -v[78:79]
	ds_load_b128 v[6:9], v1 offset:496
	ds_load_b128 v[68:71], v1 offset:512
	v_fma_f64 v[66:67], v[66:67], v[80:81], v[74:75]
	v_fma_f64 v[64:65], v[64:65], v[80:81], -v[82:83]
	v_add_f64 v[2:3], v[2:3], v[72:73]
	v_add_f64 v[10:11], v[10:11], v[94:95]
	s_waitcnt vmcnt(3) lgkmcnt(1)
	v_mul_f64 v[72:73], v[6:7], v[86:87]
	v_mul_f64 v[78:79], v[8:9], v[86:87]
	s_waitcnt vmcnt(2) lgkmcnt(0)
	v_mul_f64 v[74:75], v[68:69], v[90:91]
	v_add_f64 v[2:3], v[2:3], v[76:77]
	v_add_f64 v[10:11], v[10:11], v[92:93]
	v_mul_f64 v[76:77], v[70:71], v[90:91]
	v_fma_f64 v[72:73], v[8:9], v[84:85], v[72:73]
	v_fma_f64 v[78:79], v[6:7], v[84:85], -v[78:79]
	ds_load_b128 v[6:9], v1 offset:528
	v_fma_f64 v[70:71], v[70:71], v[88:89], v[74:75]
	v_add_f64 v[2:3], v[2:3], v[64:65]
	v_add_f64 v[10:11], v[10:11], v[66:67]
	s_waitcnt vmcnt(1) lgkmcnt(0)
	v_mul_f64 v[64:65], v[6:7], v[98:99]
	v_mul_f64 v[66:67], v[8:9], v[98:99]
	v_fma_f64 v[68:69], v[68:69], v[88:89], -v[76:77]
	v_add_f64 v[2:3], v[2:3], v[78:79]
	v_add_f64 v[10:11], v[10:11], v[72:73]
	v_fma_f64 v[8:9], v[8:9], v[96:97], v[64:65]
	v_fma_f64 v[6:7], v[6:7], v[96:97], -v[66:67]
	s_delay_alu instid0(VALU_DEP_4) | instskip(NEXT) | instid1(VALU_DEP_4)
	v_add_f64 v[2:3], v[2:3], v[68:69]
	v_add_f64 v[10:11], v[10:11], v[70:71]
	s_delay_alu instid0(VALU_DEP_2) | instskip(NEXT) | instid1(VALU_DEP_2)
	v_add_f64 v[2:3], v[2:3], v[6:7]
	v_add_f64 v[8:9], v[10:11], v[8:9]
	s_waitcnt vmcnt(0)
	s_delay_alu instid0(VALU_DEP_2) | instskip(NEXT) | instid1(VALU_DEP_2)
	v_add_f64 v[6:7], v[100:101], -v[2:3]
	v_add_f64 v[8:9], v[102:103], -v[8:9]
	scratch_store_b128 off, v[6:9], off offset:112
	v_cmpx_lt_u32_e32 6, v47
	s_cbranch_execz .LBB80_103
; %bb.102:
	scratch_load_b128 v[6:9], v54, off
	v_mov_b32_e32 v2, v1
	v_mov_b32_e32 v3, v1
	;; [unrolled: 1-line block ×3, first 2 shown]
	scratch_store_b128 off, v[1:4], off offset:96
	s_waitcnt vmcnt(0)
	ds_store_b128 v5, v[6:9]
.LBB80_103:
	s_or_b32 exec_lo, exec_lo, s2
	s_waitcnt lgkmcnt(0)
	s_waitcnt_vscnt null, 0x0
	s_barrier
	buffer_gl0_inv
	s_clause 0x8
	scratch_load_b128 v[6:9], off, off offset:112
	scratch_load_b128 v[64:67], off, off offset:128
	;; [unrolled: 1-line block ×9, first 2 shown]
	ds_load_b128 v[96:99], v1 offset:384
	ds_load_b128 v[100:103], v1 offset:400
	scratch_load_b128 v[104:107], off, off offset:96
	s_mov_b32 s2, exec_lo
	s_waitcnt vmcnt(9) lgkmcnt(1)
	v_mul_f64 v[2:3], v[98:99], v[8:9]
	v_mul_f64 v[108:109], v[96:97], v[8:9]
	scratch_load_b128 v[8:11], off, off offset:256
	s_waitcnt vmcnt(9) lgkmcnt(0)
	v_mul_f64 v[112:113], v[100:101], v[66:67]
	v_mul_f64 v[66:67], v[102:103], v[66:67]
	v_fma_f64 v[2:3], v[96:97], v[6:7], -v[2:3]
	v_fma_f64 v[6:7], v[98:99], v[6:7], v[108:109]
	ds_load_b128 v[96:99], v1 offset:416
	ds_load_b128 v[108:111], v1 offset:432
	v_fma_f64 v[102:103], v[102:103], v[64:65], v[112:113]
	v_fma_f64 v[64:65], v[100:101], v[64:65], -v[66:67]
	s_waitcnt vmcnt(8) lgkmcnt(1)
	v_mul_f64 v[114:115], v[96:97], v[70:71]
	v_mul_f64 v[70:71], v[98:99], v[70:71]
	s_waitcnt vmcnt(7) lgkmcnt(0)
	v_mul_f64 v[100:101], v[108:109], v[74:75]
	v_mul_f64 v[74:75], v[110:111], v[74:75]
	v_add_f64 v[2:3], v[2:3], 0
	v_add_f64 v[6:7], v[6:7], 0
	v_fma_f64 v[98:99], v[98:99], v[68:69], v[114:115]
	v_fma_f64 v[96:97], v[96:97], v[68:69], -v[70:71]
	v_fma_f64 v[100:101], v[110:111], v[72:73], v[100:101]
	v_fma_f64 v[72:73], v[108:109], v[72:73], -v[74:75]
	v_add_f64 v[2:3], v[2:3], v[64:65]
	v_add_f64 v[6:7], v[6:7], v[102:103]
	ds_load_b128 v[64:67], v1 offset:448
	ds_load_b128 v[68:71], v1 offset:464
	s_waitcnt vmcnt(6) lgkmcnt(1)
	v_mul_f64 v[102:103], v[64:65], v[78:79]
	v_mul_f64 v[78:79], v[66:67], v[78:79]
	v_add_f64 v[2:3], v[2:3], v[96:97]
	v_add_f64 v[6:7], v[6:7], v[98:99]
	s_waitcnt vmcnt(5) lgkmcnt(0)
	v_mul_f64 v[96:97], v[68:69], v[82:83]
	v_mul_f64 v[82:83], v[70:71], v[82:83]
	v_fma_f64 v[98:99], v[66:67], v[76:77], v[102:103]
	v_fma_f64 v[76:77], v[64:65], v[76:77], -v[78:79]
	v_add_f64 v[2:3], v[2:3], v[72:73]
	v_add_f64 v[6:7], v[6:7], v[100:101]
	ds_load_b128 v[64:67], v1 offset:480
	ds_load_b128 v[72:75], v1 offset:496
	v_fma_f64 v[70:71], v[70:71], v[80:81], v[96:97]
	v_fma_f64 v[68:69], v[68:69], v[80:81], -v[82:83]
	s_waitcnt vmcnt(4) lgkmcnt(1)
	v_mul_f64 v[78:79], v[64:65], v[86:87]
	v_mul_f64 v[86:87], v[66:67], v[86:87]
	s_waitcnt vmcnt(3) lgkmcnt(0)
	v_mul_f64 v[80:81], v[74:75], v[90:91]
	v_add_f64 v[2:3], v[2:3], v[76:77]
	v_add_f64 v[6:7], v[6:7], v[98:99]
	v_mul_f64 v[76:77], v[72:73], v[90:91]
	v_fma_f64 v[78:79], v[66:67], v[84:85], v[78:79]
	v_fma_f64 v[82:83], v[64:65], v[84:85], -v[86:87]
	v_fma_f64 v[72:73], v[72:73], v[88:89], -v[80:81]
	v_add_f64 v[68:69], v[2:3], v[68:69]
	v_add_f64 v[6:7], v[6:7], v[70:71]
	ds_load_b128 v[64:67], v1 offset:512
	ds_load_b128 v[1:4], v1 offset:528
	v_fma_f64 v[74:75], v[74:75], v[88:89], v[76:77]
	s_waitcnt vmcnt(2) lgkmcnt(1)
	v_mul_f64 v[70:71], v[64:65], v[94:95]
	v_mul_f64 v[84:85], v[66:67], v[94:95]
	v_add_f64 v[68:69], v[68:69], v[82:83]
	v_add_f64 v[6:7], v[6:7], v[78:79]
	s_waitcnt vmcnt(0) lgkmcnt(0)
	v_mul_f64 v[76:77], v[1:2], v[10:11]
	v_mul_f64 v[10:11], v[3:4], v[10:11]
	v_fma_f64 v[66:67], v[66:67], v[92:93], v[70:71]
	v_fma_f64 v[64:65], v[64:65], v[92:93], -v[84:85]
	v_add_f64 v[68:69], v[68:69], v[72:73]
	v_add_f64 v[6:7], v[6:7], v[74:75]
	v_fma_f64 v[3:4], v[3:4], v[8:9], v[76:77]
	v_fma_f64 v[1:2], v[1:2], v[8:9], -v[10:11]
	s_delay_alu instid0(VALU_DEP_4) | instskip(NEXT) | instid1(VALU_DEP_4)
	v_add_f64 v[8:9], v[68:69], v[64:65]
	v_add_f64 v[6:7], v[6:7], v[66:67]
	s_delay_alu instid0(VALU_DEP_2) | instskip(NEXT) | instid1(VALU_DEP_2)
	v_add_f64 v[1:2], v[8:9], v[1:2]
	v_add_f64 v[3:4], v[6:7], v[3:4]
	s_delay_alu instid0(VALU_DEP_2) | instskip(NEXT) | instid1(VALU_DEP_2)
	v_add_f64 v[1:2], v[104:105], -v[1:2]
	v_add_f64 v[3:4], v[106:107], -v[3:4]
	scratch_store_b128 off, v[1:4], off offset:96
	v_cmpx_lt_u32_e32 5, v47
	s_cbranch_execz .LBB80_105
; %bb.104:
	scratch_load_b128 v[1:4], v49, off
	v_mov_b32_e32 v6, 0
	s_delay_alu instid0(VALU_DEP_1)
	v_mov_b32_e32 v7, v6
	v_mov_b32_e32 v8, v6
	;; [unrolled: 1-line block ×3, first 2 shown]
	scratch_store_b128 off, v[6:9], off offset:80
	s_waitcnt vmcnt(0)
	ds_store_b128 v5, v[1:4]
.LBB80_105:
	s_or_b32 exec_lo, exec_lo, s2
	s_waitcnt lgkmcnt(0)
	s_waitcnt_vscnt null, 0x0
	s_barrier
	buffer_gl0_inv
	s_clause 0x7
	scratch_load_b128 v[6:9], off, off offset:96
	scratch_load_b128 v[64:67], off, off offset:112
	;; [unrolled: 1-line block ×8, first 2 shown]
	v_mov_b32_e32 v1, 0
	s_mov_b32 s2, exec_lo
	ds_load_b128 v[92:95], v1 offset:368
	s_clause 0x1
	scratch_load_b128 v[96:99], off, off offset:224
	scratch_load_b128 v[100:103], off, off offset:80
	ds_load_b128 v[104:107], v1 offset:384
	ds_load_b128 v[112:115], v1 offset:416
	s_waitcnt vmcnt(9) lgkmcnt(2)
	v_mul_f64 v[2:3], v[94:95], v[8:9]
	v_mul_f64 v[108:109], v[92:93], v[8:9]
	scratch_load_b128 v[8:11], off, off offset:240
	v_fma_f64 v[2:3], v[92:93], v[6:7], -v[2:3]
	v_fma_f64 v[6:7], v[94:95], v[6:7], v[108:109]
	scratch_load_b128 v[108:111], off, off offset:256
	ds_load_b128 v[92:95], v1 offset:400
	s_waitcnt vmcnt(10) lgkmcnt(2)
	v_mul_f64 v[116:117], v[104:105], v[66:67]
	v_mul_f64 v[66:67], v[106:107], v[66:67]
	s_waitcnt vmcnt(9) lgkmcnt(0)
	v_mul_f64 v[118:119], v[92:93], v[70:71]
	v_mul_f64 v[70:71], v[94:95], v[70:71]
	v_add_f64 v[2:3], v[2:3], 0
	v_add_f64 v[6:7], v[6:7], 0
	v_fma_f64 v[106:107], v[106:107], v[64:65], v[116:117]
	v_fma_f64 v[64:65], v[104:105], v[64:65], -v[66:67]
	s_waitcnt vmcnt(8)
	v_mul_f64 v[104:105], v[112:113], v[74:75]
	v_mul_f64 v[74:75], v[114:115], v[74:75]
	v_fma_f64 v[94:95], v[94:95], v[68:69], v[118:119]
	v_fma_f64 v[92:93], v[92:93], v[68:69], -v[70:71]
	v_add_f64 v[6:7], v[6:7], v[106:107]
	v_add_f64 v[2:3], v[2:3], v[64:65]
	ds_load_b128 v[64:67], v1 offset:432
	ds_load_b128 v[68:71], v1 offset:448
	v_fma_f64 v[104:105], v[114:115], v[72:73], v[104:105]
	v_fma_f64 v[72:73], v[112:113], v[72:73], -v[74:75]
	s_waitcnt vmcnt(7) lgkmcnt(1)
	v_mul_f64 v[106:107], v[64:65], v[78:79]
	v_mul_f64 v[78:79], v[66:67], v[78:79]
	v_add_f64 v[6:7], v[6:7], v[94:95]
	v_add_f64 v[2:3], v[2:3], v[92:93]
	s_waitcnt vmcnt(6) lgkmcnt(0)
	v_mul_f64 v[92:93], v[68:69], v[82:83]
	v_mul_f64 v[82:83], v[70:71], v[82:83]
	v_fma_f64 v[94:95], v[66:67], v[76:77], v[106:107]
	v_fma_f64 v[76:77], v[64:65], v[76:77], -v[78:79]
	v_add_f64 v[6:7], v[6:7], v[104:105]
	v_add_f64 v[2:3], v[2:3], v[72:73]
	ds_load_b128 v[64:67], v1 offset:464
	ds_load_b128 v[72:75], v1 offset:480
	v_fma_f64 v[70:71], v[70:71], v[80:81], v[92:93]
	v_fma_f64 v[68:69], v[68:69], v[80:81], -v[82:83]
	s_waitcnt vmcnt(5) lgkmcnt(1)
	v_mul_f64 v[78:79], v[64:65], v[86:87]
	v_mul_f64 v[86:87], v[66:67], v[86:87]
	s_waitcnt vmcnt(4) lgkmcnt(0)
	v_mul_f64 v[80:81], v[74:75], v[90:91]
	v_add_f64 v[6:7], v[6:7], v[94:95]
	v_add_f64 v[2:3], v[2:3], v[76:77]
	v_mul_f64 v[76:77], v[72:73], v[90:91]
	v_fma_f64 v[78:79], v[66:67], v[84:85], v[78:79]
	v_fma_f64 v[82:83], v[64:65], v[84:85], -v[86:87]
	v_fma_f64 v[72:73], v[72:73], v[88:89], -v[80:81]
	v_add_f64 v[6:7], v[6:7], v[70:71]
	v_add_f64 v[2:3], v[2:3], v[68:69]
	ds_load_b128 v[64:67], v1 offset:496
	ds_load_b128 v[68:71], v1 offset:512
	v_fma_f64 v[74:75], v[74:75], v[88:89], v[76:77]
	s_waitcnt vmcnt(3) lgkmcnt(1)
	v_mul_f64 v[84:85], v[64:65], v[98:99]
	v_mul_f64 v[86:87], v[66:67], v[98:99]
	v_add_f64 v[6:7], v[6:7], v[78:79]
	v_add_f64 v[2:3], v[2:3], v[82:83]
	s_waitcnt vmcnt(1) lgkmcnt(0)
	v_mul_f64 v[76:77], v[68:69], v[10:11]
	v_mul_f64 v[10:11], v[70:71], v[10:11]
	v_fma_f64 v[78:79], v[66:67], v[96:97], v[84:85]
	v_fma_f64 v[80:81], v[64:65], v[96:97], -v[86:87]
	ds_load_b128 v[64:67], v1 offset:528
	v_add_f64 v[6:7], v[6:7], v[74:75]
	v_add_f64 v[2:3], v[2:3], v[72:73]
	s_waitcnt vmcnt(0) lgkmcnt(0)
	v_mul_f64 v[72:73], v[64:65], v[110:111]
	v_mul_f64 v[74:75], v[66:67], v[110:111]
	v_fma_f64 v[70:71], v[70:71], v[8:9], v[76:77]
	v_fma_f64 v[8:9], v[68:69], v[8:9], -v[10:11]
	v_add_f64 v[6:7], v[6:7], v[78:79]
	v_add_f64 v[2:3], v[2:3], v[80:81]
	v_fma_f64 v[10:11], v[66:67], v[108:109], v[72:73]
	v_fma_f64 v[64:65], v[64:65], v[108:109], -v[74:75]
	s_delay_alu instid0(VALU_DEP_4) | instskip(NEXT) | instid1(VALU_DEP_4)
	v_add_f64 v[6:7], v[6:7], v[70:71]
	v_add_f64 v[2:3], v[2:3], v[8:9]
	s_delay_alu instid0(VALU_DEP_2) | instskip(NEXT) | instid1(VALU_DEP_2)
	v_add_f64 v[8:9], v[6:7], v[10:11]
	v_add_f64 v[2:3], v[2:3], v[64:65]
	s_delay_alu instid0(VALU_DEP_2) | instskip(NEXT) | instid1(VALU_DEP_2)
	v_add_f64 v[8:9], v[102:103], -v[8:9]
	v_add_f64 v[6:7], v[100:101], -v[2:3]
	scratch_store_b128 off, v[6:9], off offset:80
	v_cmpx_lt_u32_e32 4, v47
	s_cbranch_execz .LBB80_107
; %bb.106:
	scratch_load_b128 v[6:9], v50, off
	v_mov_b32_e32 v2, v1
	v_mov_b32_e32 v3, v1
	;; [unrolled: 1-line block ×3, first 2 shown]
	scratch_store_b128 off, v[1:4], off offset:64
	s_waitcnt vmcnt(0)
	ds_store_b128 v5, v[6:9]
.LBB80_107:
	s_or_b32 exec_lo, exec_lo, s2
	s_waitcnt lgkmcnt(0)
	s_waitcnt_vscnt null, 0x0
	s_barrier
	buffer_gl0_inv
	s_clause 0x8
	scratch_load_b128 v[6:9], off, off offset:80
	scratch_load_b128 v[64:67], off, off offset:96
	;; [unrolled: 1-line block ×9, first 2 shown]
	ds_load_b128 v[96:99], v1 offset:352
	ds_load_b128 v[100:103], v1 offset:368
	scratch_load_b128 v[104:107], off, off offset:64
	s_mov_b32 s2, exec_lo
	ds_load_b128 v[112:115], v1 offset:400
	s_waitcnt vmcnt(9) lgkmcnt(2)
	v_mul_f64 v[2:3], v[98:99], v[8:9]
	v_mul_f64 v[108:109], v[96:97], v[8:9]
	scratch_load_b128 v[8:11], off, off offset:224
	s_waitcnt vmcnt(9) lgkmcnt(1)
	v_mul_f64 v[116:117], v[100:101], v[66:67]
	v_mul_f64 v[66:67], v[102:103], v[66:67]
	v_fma_f64 v[2:3], v[96:97], v[6:7], -v[2:3]
	v_fma_f64 v[6:7], v[98:99], v[6:7], v[108:109]
	ds_load_b128 v[96:99], v1 offset:384
	scratch_load_b128 v[108:111], off, off offset:240
	v_fma_f64 v[102:103], v[102:103], v[64:65], v[116:117]
	v_fma_f64 v[100:101], v[100:101], v[64:65], -v[66:67]
	scratch_load_b128 v[64:67], off, off offset:256
	s_waitcnt vmcnt(9) lgkmcnt(1)
	v_mul_f64 v[116:117], v[112:113], v[74:75]
	v_mul_f64 v[74:75], v[114:115], v[74:75]
	s_waitcnt lgkmcnt(0)
	v_mul_f64 v[118:119], v[96:97], v[70:71]
	v_mul_f64 v[70:71], v[98:99], v[70:71]
	v_add_f64 v[2:3], v[2:3], 0
	v_add_f64 v[6:7], v[6:7], 0
	s_delay_alu instid0(VALU_DEP_4) | instskip(NEXT) | instid1(VALU_DEP_4)
	v_fma_f64 v[118:119], v[98:99], v[68:69], v[118:119]
	v_fma_f64 v[120:121], v[96:97], v[68:69], -v[70:71]
	ds_load_b128 v[68:71], v1 offset:416
	ds_load_b128 v[96:99], v1 offset:432
	v_add_f64 v[2:3], v[2:3], v[100:101]
	v_add_f64 v[6:7], v[6:7], v[102:103]
	v_fma_f64 v[102:103], v[114:115], v[72:73], v[116:117]
	v_fma_f64 v[72:73], v[112:113], v[72:73], -v[74:75]
	s_waitcnt vmcnt(8) lgkmcnt(1)
	v_mul_f64 v[100:101], v[68:69], v[78:79]
	v_mul_f64 v[78:79], v[70:71], v[78:79]
	s_waitcnt vmcnt(7) lgkmcnt(0)
	v_mul_f64 v[112:113], v[96:97], v[82:83]
	v_mul_f64 v[82:83], v[98:99], v[82:83]
	v_add_f64 v[2:3], v[2:3], v[120:121]
	v_add_f64 v[6:7], v[6:7], v[118:119]
	v_fma_f64 v[100:101], v[70:71], v[76:77], v[100:101]
	v_fma_f64 v[76:77], v[68:69], v[76:77], -v[78:79]
	v_fma_f64 v[98:99], v[98:99], v[80:81], v[112:113]
	v_fma_f64 v[80:81], v[96:97], v[80:81], -v[82:83]
	v_add_f64 v[2:3], v[2:3], v[72:73]
	v_add_f64 v[6:7], v[6:7], v[102:103]
	ds_load_b128 v[68:71], v1 offset:448
	ds_load_b128 v[72:75], v1 offset:464
	s_waitcnt vmcnt(6) lgkmcnt(1)
	v_mul_f64 v[78:79], v[68:69], v[86:87]
	v_mul_f64 v[86:87], v[70:71], v[86:87]
	s_waitcnt vmcnt(5) lgkmcnt(0)
	v_mul_f64 v[82:83], v[72:73], v[90:91]
	v_mul_f64 v[90:91], v[74:75], v[90:91]
	v_add_f64 v[2:3], v[2:3], v[76:77]
	v_add_f64 v[6:7], v[6:7], v[100:101]
	v_fma_f64 v[96:97], v[70:71], v[84:85], v[78:79]
	v_fma_f64 v[84:85], v[68:69], v[84:85], -v[86:87]
	ds_load_b128 v[68:71], v1 offset:480
	ds_load_b128 v[76:79], v1 offset:496
	v_fma_f64 v[74:75], v[74:75], v[88:89], v[82:83]
	v_fma_f64 v[72:73], v[72:73], v[88:89], -v[90:91]
	v_add_f64 v[2:3], v[2:3], v[80:81]
	v_add_f64 v[6:7], v[6:7], v[98:99]
	s_waitcnt vmcnt(4) lgkmcnt(1)
	v_mul_f64 v[80:81], v[68:69], v[94:95]
	v_mul_f64 v[86:87], v[70:71], v[94:95]
	s_delay_alu instid0(VALU_DEP_4) | instskip(NEXT) | instid1(VALU_DEP_4)
	v_add_f64 v[2:3], v[2:3], v[84:85]
	v_add_f64 v[6:7], v[6:7], v[96:97]
	s_delay_alu instid0(VALU_DEP_4) | instskip(NEXT) | instid1(VALU_DEP_4)
	v_fma_f64 v[80:81], v[70:71], v[92:93], v[80:81]
	v_fma_f64 v[84:85], v[68:69], v[92:93], -v[86:87]
	s_waitcnt vmcnt(2) lgkmcnt(0)
	v_mul_f64 v[82:83], v[76:77], v[10:11]
	v_mul_f64 v[10:11], v[78:79], v[10:11]
	v_add_f64 v[72:73], v[2:3], v[72:73]
	v_add_f64 v[6:7], v[6:7], v[74:75]
	ds_load_b128 v[68:71], v1 offset:512
	ds_load_b128 v[1:4], v1 offset:528
	v_fma_f64 v[78:79], v[78:79], v[8:9], v[82:83]
	v_fma_f64 v[8:9], v[76:77], v[8:9], -v[10:11]
	s_waitcnt vmcnt(1) lgkmcnt(1)
	v_mul_f64 v[74:75], v[68:69], v[110:111]
	v_mul_f64 v[86:87], v[70:71], v[110:111]
	v_add_f64 v[10:11], v[72:73], v[84:85]
	v_add_f64 v[6:7], v[6:7], v[80:81]
	s_waitcnt vmcnt(0) lgkmcnt(0)
	v_mul_f64 v[72:73], v[1:2], v[66:67]
	v_mul_f64 v[66:67], v[3:4], v[66:67]
	v_fma_f64 v[70:71], v[70:71], v[108:109], v[74:75]
	v_fma_f64 v[68:69], v[68:69], v[108:109], -v[86:87]
	v_add_f64 v[8:9], v[10:11], v[8:9]
	v_add_f64 v[6:7], v[6:7], v[78:79]
	v_fma_f64 v[3:4], v[3:4], v[64:65], v[72:73]
	v_fma_f64 v[1:2], v[1:2], v[64:65], -v[66:67]
	s_delay_alu instid0(VALU_DEP_4) | instskip(NEXT) | instid1(VALU_DEP_4)
	v_add_f64 v[8:9], v[8:9], v[68:69]
	v_add_f64 v[6:7], v[6:7], v[70:71]
	s_delay_alu instid0(VALU_DEP_2) | instskip(NEXT) | instid1(VALU_DEP_2)
	v_add_f64 v[1:2], v[8:9], v[1:2]
	v_add_f64 v[3:4], v[6:7], v[3:4]
	s_delay_alu instid0(VALU_DEP_2) | instskip(NEXT) | instid1(VALU_DEP_2)
	v_add_f64 v[1:2], v[104:105], -v[1:2]
	v_add_f64 v[3:4], v[106:107], -v[3:4]
	scratch_store_b128 off, v[1:4], off offset:64
	v_cmpx_lt_u32_e32 3, v47
	s_cbranch_execz .LBB80_109
; %bb.108:
	scratch_load_b128 v[1:4], v48, off
	v_mov_b32_e32 v6, 0
	s_delay_alu instid0(VALU_DEP_1)
	v_mov_b32_e32 v7, v6
	v_mov_b32_e32 v8, v6
	;; [unrolled: 1-line block ×3, first 2 shown]
	scratch_store_b128 off, v[6:9], off offset:48
	s_waitcnt vmcnt(0)
	ds_store_b128 v5, v[1:4]
.LBB80_109:
	s_or_b32 exec_lo, exec_lo, s2
	s_waitcnt lgkmcnt(0)
	s_waitcnt_vscnt null, 0x0
	s_barrier
	buffer_gl0_inv
	s_clause 0x7
	scratch_load_b128 v[6:9], off, off offset:64
	scratch_load_b128 v[64:67], off, off offset:80
	;; [unrolled: 1-line block ×8, first 2 shown]
	v_mov_b32_e32 v1, 0
	s_clause 0x1
	scratch_load_b128 v[96:99], off, off offset:192
	scratch_load_b128 v[100:103], off, off offset:208
	s_mov_b32 s2, exec_lo
	ds_load_b128 v[92:95], v1 offset:336
	s_waitcnt vmcnt(9) lgkmcnt(0)
	v_mul_f64 v[2:3], v[94:95], v[8:9]
	v_mul_f64 v[104:105], v[92:93], v[8:9]
	ds_load_b128 v[8:11], v1 offset:352
	v_fma_f64 v[2:3], v[92:93], v[6:7], -v[2:3]
	v_fma_f64 v[6:7], v[94:95], v[6:7], v[104:105]
	ds_load_b128 v[92:95], v1 offset:368
	s_waitcnt vmcnt(8) lgkmcnt(1)
	v_mul_f64 v[108:109], v[8:9], v[66:67]
	v_mul_f64 v[66:67], v[10:11], v[66:67]
	scratch_load_b128 v[104:107], off, off offset:224
	s_waitcnt vmcnt(8) lgkmcnt(0)
	v_mul_f64 v[110:111], v[92:93], v[70:71]
	v_mul_f64 v[70:71], v[94:95], v[70:71]
	v_add_f64 v[2:3], v[2:3], 0
	v_add_f64 v[112:113], v[6:7], 0
	v_fma_f64 v[10:11], v[10:11], v[64:65], v[108:109]
	v_fma_f64 v[108:109], v[8:9], v[64:65], -v[66:67]
	ds_load_b128 v[6:9], v1 offset:384
	scratch_load_b128 v[64:67], off, off offset:240
	v_fma_f64 v[110:111], v[94:95], v[68:69], v[110:111]
	v_fma_f64 v[116:117], v[92:93], v[68:69], -v[70:71]
	scratch_load_b128 v[92:95], off, off offset:256
	ds_load_b128 v[68:71], v1 offset:400
	s_waitcnt vmcnt(9) lgkmcnt(1)
	v_mul_f64 v[114:115], v[6:7], v[74:75]
	v_mul_f64 v[74:75], v[8:9], v[74:75]
	v_add_f64 v[10:11], v[112:113], v[10:11]
	v_add_f64 v[2:3], v[2:3], v[108:109]
	s_waitcnt vmcnt(8) lgkmcnt(0)
	v_mul_f64 v[108:109], v[68:69], v[78:79]
	v_mul_f64 v[78:79], v[70:71], v[78:79]
	v_fma_f64 v[112:113], v[8:9], v[72:73], v[114:115]
	v_fma_f64 v[72:73], v[6:7], v[72:73], -v[74:75]
	ds_load_b128 v[6:9], v1 offset:416
	v_add_f64 v[10:11], v[10:11], v[110:111]
	v_add_f64 v[2:3], v[2:3], v[116:117]
	v_fma_f64 v[108:109], v[70:71], v[76:77], v[108:109]
	v_fma_f64 v[76:77], v[68:69], v[76:77], -v[78:79]
	ds_load_b128 v[68:71], v1 offset:432
	s_waitcnt vmcnt(7) lgkmcnt(1)
	v_mul_f64 v[74:75], v[6:7], v[82:83]
	v_mul_f64 v[82:83], v[8:9], v[82:83]
	s_waitcnt vmcnt(6) lgkmcnt(0)
	v_mul_f64 v[78:79], v[68:69], v[86:87]
	v_mul_f64 v[86:87], v[70:71], v[86:87]
	v_add_f64 v[10:11], v[10:11], v[112:113]
	v_add_f64 v[2:3], v[2:3], v[72:73]
	v_fma_f64 v[110:111], v[8:9], v[80:81], v[74:75]
	v_fma_f64 v[80:81], v[6:7], v[80:81], -v[82:83]
	ds_load_b128 v[6:9], v1 offset:448
	scratch_load_b128 v[72:75], off, off offset:48
	v_fma_f64 v[78:79], v[70:71], v[84:85], v[78:79]
	v_fma_f64 v[84:85], v[68:69], v[84:85], -v[86:87]
	ds_load_b128 v[68:71], v1 offset:464
	s_waitcnt vmcnt(6) lgkmcnt(1)
	v_mul_f64 v[82:83], v[8:9], v[90:91]
	v_add_f64 v[10:11], v[10:11], v[108:109]
	v_add_f64 v[2:3], v[2:3], v[76:77]
	v_mul_f64 v[76:77], v[6:7], v[90:91]
	s_waitcnt vmcnt(5) lgkmcnt(0)
	v_mul_f64 v[86:87], v[70:71], v[98:99]
	v_fma_f64 v[82:83], v[6:7], v[88:89], -v[82:83]
	v_add_f64 v[10:11], v[10:11], v[110:111]
	v_add_f64 v[2:3], v[2:3], v[80:81]
	v_mul_f64 v[80:81], v[68:69], v[98:99]
	v_fma_f64 v[76:77], v[8:9], v[88:89], v[76:77]
	ds_load_b128 v[6:9], v1 offset:480
	v_fma_f64 v[86:87], v[68:69], v[96:97], -v[86:87]
	v_add_f64 v[10:11], v[10:11], v[78:79]
	v_add_f64 v[2:3], v[2:3], v[84:85]
	v_fma_f64 v[80:81], v[70:71], v[96:97], v[80:81]
	ds_load_b128 v[68:71], v1 offset:496
	s_waitcnt vmcnt(4) lgkmcnt(1)
	v_mul_f64 v[78:79], v[6:7], v[102:103]
	v_mul_f64 v[84:85], v[8:9], v[102:103]
	v_add_f64 v[10:11], v[10:11], v[76:77]
	v_add_f64 v[2:3], v[2:3], v[82:83]
	s_delay_alu instid0(VALU_DEP_4) | instskip(NEXT) | instid1(VALU_DEP_4)
	v_fma_f64 v[78:79], v[8:9], v[100:101], v[78:79]
	v_fma_f64 v[84:85], v[6:7], v[100:101], -v[84:85]
	ds_load_b128 v[6:9], v1 offset:512
	s_waitcnt vmcnt(3) lgkmcnt(1)
	v_mul_f64 v[76:77], v[68:69], v[106:107]
	v_mul_f64 v[82:83], v[70:71], v[106:107]
	v_add_f64 v[10:11], v[10:11], v[80:81]
	v_add_f64 v[2:3], v[2:3], v[86:87]
	s_delay_alu instid0(VALU_DEP_4)
	v_fma_f64 v[70:71], v[70:71], v[104:105], v[76:77]
	s_waitcnt vmcnt(2) lgkmcnt(0)
	v_mul_f64 v[80:81], v[6:7], v[66:67]
	v_mul_f64 v[86:87], v[8:9], v[66:67]
	v_fma_f64 v[76:77], v[68:69], v[104:105], -v[82:83]
	ds_load_b128 v[66:69], v1 offset:528
	v_add_f64 v[10:11], v[10:11], v[78:79]
	v_add_f64 v[2:3], v[2:3], v[84:85]
	s_waitcnt vmcnt(1) lgkmcnt(0)
	v_mul_f64 v[78:79], v[66:67], v[94:95]
	v_mul_f64 v[82:83], v[68:69], v[94:95]
	v_fma_f64 v[8:9], v[8:9], v[64:65], v[80:81]
	v_fma_f64 v[6:7], v[6:7], v[64:65], -v[86:87]
	v_add_f64 v[10:11], v[10:11], v[70:71]
	v_add_f64 v[2:3], v[2:3], v[76:77]
	v_fma_f64 v[64:65], v[68:69], v[92:93], v[78:79]
	v_fma_f64 v[66:67], v[66:67], v[92:93], -v[82:83]
	s_delay_alu instid0(VALU_DEP_3) | instskip(SKIP_1) | instid1(VALU_DEP_2)
	v_add_f64 v[2:3], v[2:3], v[6:7]
	v_add_f64 v[6:7], v[10:11], v[8:9]
	;; [unrolled: 1-line block ×3, first 2 shown]
	s_delay_alu instid0(VALU_DEP_2) | instskip(SKIP_1) | instid1(VALU_DEP_2)
	v_add_f64 v[8:9], v[6:7], v[64:65]
	s_waitcnt vmcnt(0)
	v_add_f64 v[6:7], v[72:73], -v[2:3]
	s_delay_alu instid0(VALU_DEP_2)
	v_add_f64 v[8:9], v[74:75], -v[8:9]
	scratch_store_b128 off, v[6:9], off offset:48
	v_cmpx_lt_u32_e32 2, v47
	s_cbranch_execz .LBB80_111
; %bb.110:
	scratch_load_b128 v[6:9], v51, off
	v_mov_b32_e32 v2, v1
	v_mov_b32_e32 v3, v1
	;; [unrolled: 1-line block ×3, first 2 shown]
	scratch_store_b128 off, v[1:4], off offset:32
	s_waitcnt vmcnt(0)
	ds_store_b128 v5, v[6:9]
.LBB80_111:
	s_or_b32 exec_lo, exec_lo, s2
	s_waitcnt lgkmcnt(0)
	s_waitcnt_vscnt null, 0x0
	s_barrier
	buffer_gl0_inv
	s_clause 0x7
	scratch_load_b128 v[6:9], off, off offset:48
	scratch_load_b128 v[64:67], off, off offset:64
	;; [unrolled: 1-line block ×8, first 2 shown]
	ds_load_b128 v[92:95], v1 offset:320
	s_clause 0x1
	scratch_load_b128 v[96:99], off, off offset:176
	scratch_load_b128 v[100:103], off, off offset:192
	s_mov_b32 s2, exec_lo
	s_waitcnt vmcnt(9) lgkmcnt(0)
	v_mul_f64 v[2:3], v[94:95], v[8:9]
	v_mul_f64 v[104:105], v[92:93], v[8:9]
	ds_load_b128 v[8:11], v1 offset:336
	v_fma_f64 v[2:3], v[92:93], v[6:7], -v[2:3]
	v_fma_f64 v[6:7], v[94:95], v[6:7], v[104:105]
	ds_load_b128 v[92:95], v1 offset:352
	s_waitcnt vmcnt(8) lgkmcnt(1)
	v_mul_f64 v[108:109], v[8:9], v[66:67]
	v_mul_f64 v[66:67], v[10:11], v[66:67]
	scratch_load_b128 v[104:107], off, off offset:208
	s_waitcnt vmcnt(8) lgkmcnt(0)
	v_mul_f64 v[110:111], v[92:93], v[70:71]
	v_mul_f64 v[70:71], v[94:95], v[70:71]
	v_add_f64 v[2:3], v[2:3], 0
	v_add_f64 v[112:113], v[6:7], 0
	v_fma_f64 v[10:11], v[10:11], v[64:65], v[108:109]
	v_fma_f64 v[108:109], v[8:9], v[64:65], -v[66:67]
	ds_load_b128 v[6:9], v1 offset:368
	scratch_load_b128 v[64:67], off, off offset:224
	v_fma_f64 v[110:111], v[94:95], v[68:69], v[110:111]
	v_fma_f64 v[116:117], v[92:93], v[68:69], -v[70:71]
	scratch_load_b128 v[92:95], off, off offset:240
	ds_load_b128 v[68:71], v1 offset:384
	s_waitcnt vmcnt(9) lgkmcnt(1)
	v_mul_f64 v[114:115], v[6:7], v[74:75]
	v_mul_f64 v[74:75], v[8:9], v[74:75]
	v_add_f64 v[10:11], v[112:113], v[10:11]
	v_add_f64 v[2:3], v[2:3], v[108:109]
	s_waitcnt vmcnt(8) lgkmcnt(0)
	v_mul_f64 v[108:109], v[68:69], v[78:79]
	v_mul_f64 v[78:79], v[70:71], v[78:79]
	v_fma_f64 v[112:113], v[8:9], v[72:73], v[114:115]
	v_fma_f64 v[114:115], v[6:7], v[72:73], -v[74:75]
	ds_load_b128 v[6:9], v1 offset:400
	scratch_load_b128 v[72:75], off, off offset:256
	v_add_f64 v[10:11], v[10:11], v[110:111]
	v_add_f64 v[2:3], v[2:3], v[116:117]
	v_fma_f64 v[108:109], v[70:71], v[76:77], v[108:109]
	v_fma_f64 v[76:77], v[68:69], v[76:77], -v[78:79]
	ds_load_b128 v[68:71], v1 offset:416
	s_waitcnt vmcnt(8) lgkmcnt(1)
	v_mul_f64 v[110:111], v[6:7], v[82:83]
	v_mul_f64 v[82:83], v[8:9], v[82:83]
	s_waitcnt vmcnt(7) lgkmcnt(0)
	v_mul_f64 v[78:79], v[68:69], v[86:87]
	v_mul_f64 v[86:87], v[70:71], v[86:87]
	v_add_f64 v[10:11], v[10:11], v[112:113]
	v_add_f64 v[2:3], v[2:3], v[114:115]
	v_fma_f64 v[110:111], v[8:9], v[80:81], v[110:111]
	v_fma_f64 v[80:81], v[6:7], v[80:81], -v[82:83]
	ds_load_b128 v[6:9], v1 offset:432
	v_add_f64 v[10:11], v[10:11], v[108:109]
	v_add_f64 v[2:3], v[2:3], v[76:77]
	v_fma_f64 v[108:109], v[70:71], v[84:85], v[78:79]
	v_fma_f64 v[84:85], v[68:69], v[84:85], -v[86:87]
	ds_load_b128 v[68:71], v1 offset:448
	s_waitcnt vmcnt(6) lgkmcnt(1)
	v_mul_f64 v[82:83], v[6:7], v[90:91]
	v_mul_f64 v[90:91], v[8:9], v[90:91]
	scratch_load_b128 v[76:79], off, off offset:32
	s_waitcnt vmcnt(6) lgkmcnt(0)
	v_mul_f64 v[86:87], v[70:71], v[98:99]
	v_add_f64 v[10:11], v[10:11], v[110:111]
	v_add_f64 v[2:3], v[2:3], v[80:81]
	v_mul_f64 v[80:81], v[68:69], v[98:99]
	v_fma_f64 v[82:83], v[8:9], v[88:89], v[82:83]
	v_fma_f64 v[88:89], v[6:7], v[88:89], -v[90:91]
	ds_load_b128 v[6:9], v1 offset:464
	v_fma_f64 v[86:87], v[68:69], v[96:97], -v[86:87]
	v_add_f64 v[10:11], v[10:11], v[108:109]
	v_add_f64 v[2:3], v[2:3], v[84:85]
	v_fma_f64 v[80:81], v[70:71], v[96:97], v[80:81]
	ds_load_b128 v[68:71], v1 offset:480
	s_waitcnt vmcnt(5) lgkmcnt(1)
	v_mul_f64 v[84:85], v[6:7], v[102:103]
	v_mul_f64 v[90:91], v[8:9], v[102:103]
	v_add_f64 v[10:11], v[10:11], v[82:83]
	v_add_f64 v[2:3], v[2:3], v[88:89]
	s_delay_alu instid0(VALU_DEP_4) | instskip(NEXT) | instid1(VALU_DEP_4)
	v_fma_f64 v[84:85], v[8:9], v[100:101], v[84:85]
	v_fma_f64 v[90:91], v[6:7], v[100:101], -v[90:91]
	ds_load_b128 v[6:9], v1 offset:496
	s_waitcnt vmcnt(4) lgkmcnt(1)
	v_mul_f64 v[82:83], v[68:69], v[106:107]
	v_mul_f64 v[88:89], v[70:71], v[106:107]
	v_add_f64 v[10:11], v[10:11], v[80:81]
	v_add_f64 v[2:3], v[2:3], v[86:87]
	s_delay_alu instid0(VALU_DEP_4)
	v_fma_f64 v[70:71], v[70:71], v[104:105], v[82:83]
	s_waitcnt vmcnt(3) lgkmcnt(0)
	v_mul_f64 v[80:81], v[6:7], v[66:67]
	v_mul_f64 v[86:87], v[8:9], v[66:67]
	v_fma_f64 v[82:83], v[68:69], v[104:105], -v[88:89]
	ds_load_b128 v[66:69], v1 offset:512
	v_add_f64 v[10:11], v[10:11], v[84:85]
	v_add_f64 v[2:3], v[2:3], v[90:91]
	s_waitcnt vmcnt(2) lgkmcnt(0)
	v_mul_f64 v[84:85], v[66:67], v[94:95]
	v_mul_f64 v[88:89], v[68:69], v[94:95]
	v_fma_f64 v[8:9], v[8:9], v[64:65], v[80:81]
	v_fma_f64 v[6:7], v[6:7], v[64:65], -v[86:87]
	v_add_f64 v[10:11], v[10:11], v[70:71]
	v_add_f64 v[64:65], v[2:3], v[82:83]
	ds_load_b128 v[1:4], v1 offset:528
	v_fma_f64 v[68:69], v[68:69], v[92:93], v[84:85]
	v_fma_f64 v[66:67], v[66:67], v[92:93], -v[88:89]
	s_waitcnt vmcnt(1) lgkmcnt(0)
	v_mul_f64 v[70:71], v[1:2], v[74:75]
	v_mul_f64 v[74:75], v[3:4], v[74:75]
	v_add_f64 v[8:9], v[10:11], v[8:9]
	v_add_f64 v[6:7], v[64:65], v[6:7]
	s_delay_alu instid0(VALU_DEP_4) | instskip(NEXT) | instid1(VALU_DEP_4)
	v_fma_f64 v[3:4], v[3:4], v[72:73], v[70:71]
	v_fma_f64 v[1:2], v[1:2], v[72:73], -v[74:75]
	s_delay_alu instid0(VALU_DEP_4) | instskip(NEXT) | instid1(VALU_DEP_4)
	v_add_f64 v[8:9], v[8:9], v[68:69]
	v_add_f64 v[6:7], v[6:7], v[66:67]
	s_delay_alu instid0(VALU_DEP_2) | instskip(NEXT) | instid1(VALU_DEP_2)
	v_add_f64 v[3:4], v[8:9], v[3:4]
	v_add_f64 v[1:2], v[6:7], v[1:2]
	s_waitcnt vmcnt(0)
	s_delay_alu instid0(VALU_DEP_2) | instskip(NEXT) | instid1(VALU_DEP_2)
	v_add_f64 v[3:4], v[78:79], -v[3:4]
	v_add_f64 v[1:2], v[76:77], -v[1:2]
	scratch_store_b128 off, v[1:4], off offset:32
	v_cmpx_lt_u32_e32 1, v47
	s_cbranch_execz .LBB80_113
; %bb.112:
	scratch_load_b128 v[1:4], v52, off
	v_mov_b32_e32 v6, 0
	s_delay_alu instid0(VALU_DEP_1)
	v_mov_b32_e32 v7, v6
	v_mov_b32_e32 v8, v6
	;; [unrolled: 1-line block ×3, first 2 shown]
	scratch_store_b128 off, v[6:9], off offset:16
	s_waitcnt vmcnt(0)
	ds_store_b128 v5, v[1:4]
.LBB80_113:
	s_or_b32 exec_lo, exec_lo, s2
	s_waitcnt lgkmcnt(0)
	s_waitcnt_vscnt null, 0x0
	s_barrier
	buffer_gl0_inv
	s_clause 0x7
	scratch_load_b128 v[6:9], off, off offset:32
	scratch_load_b128 v[64:67], off, off offset:48
	;; [unrolled: 1-line block ×8, first 2 shown]
	v_mov_b32_e32 v1, 0
	s_clause 0x1
	scratch_load_b128 v[96:99], off, off offset:160
	scratch_load_b128 v[100:103], off, off offset:176
	s_mov_b32 s2, exec_lo
	ds_load_b128 v[92:95], v1 offset:304
	s_waitcnt vmcnt(9) lgkmcnt(0)
	v_mul_f64 v[2:3], v[94:95], v[8:9]
	v_mul_f64 v[104:105], v[92:93], v[8:9]
	ds_load_b128 v[8:11], v1 offset:320
	v_fma_f64 v[2:3], v[92:93], v[6:7], -v[2:3]
	v_fma_f64 v[6:7], v[94:95], v[6:7], v[104:105]
	ds_load_b128 v[92:95], v1 offset:336
	s_waitcnt vmcnt(8) lgkmcnt(1)
	v_mul_f64 v[108:109], v[8:9], v[66:67]
	v_mul_f64 v[66:67], v[10:11], v[66:67]
	scratch_load_b128 v[104:107], off, off offset:192
	s_waitcnt vmcnt(8) lgkmcnt(0)
	v_mul_f64 v[110:111], v[92:93], v[70:71]
	v_mul_f64 v[70:71], v[94:95], v[70:71]
	v_add_f64 v[2:3], v[2:3], 0
	v_add_f64 v[112:113], v[6:7], 0
	v_fma_f64 v[10:11], v[10:11], v[64:65], v[108:109]
	v_fma_f64 v[108:109], v[8:9], v[64:65], -v[66:67]
	ds_load_b128 v[6:9], v1 offset:352
	scratch_load_b128 v[64:67], off, off offset:208
	v_fma_f64 v[110:111], v[94:95], v[68:69], v[110:111]
	v_fma_f64 v[116:117], v[92:93], v[68:69], -v[70:71]
	scratch_load_b128 v[92:95], off, off offset:224
	ds_load_b128 v[68:71], v1 offset:368
	s_waitcnt vmcnt(9) lgkmcnt(1)
	v_mul_f64 v[114:115], v[6:7], v[74:75]
	v_mul_f64 v[74:75], v[8:9], v[74:75]
	v_add_f64 v[10:11], v[112:113], v[10:11]
	v_add_f64 v[2:3], v[2:3], v[108:109]
	s_waitcnt vmcnt(8) lgkmcnt(0)
	v_mul_f64 v[108:109], v[68:69], v[78:79]
	v_mul_f64 v[78:79], v[70:71], v[78:79]
	v_fma_f64 v[112:113], v[8:9], v[72:73], v[114:115]
	v_fma_f64 v[114:115], v[6:7], v[72:73], -v[74:75]
	ds_load_b128 v[6:9], v1 offset:384
	scratch_load_b128 v[72:75], off, off offset:240
	v_add_f64 v[10:11], v[10:11], v[110:111]
	v_add_f64 v[2:3], v[2:3], v[116:117]
	v_fma_f64 v[108:109], v[70:71], v[76:77], v[108:109]
	v_fma_f64 v[116:117], v[68:69], v[76:77], -v[78:79]
	scratch_load_b128 v[76:79], off, off offset:256
	ds_load_b128 v[68:71], v1 offset:400
	s_waitcnt vmcnt(9) lgkmcnt(1)
	v_mul_f64 v[110:111], v[6:7], v[82:83]
	v_mul_f64 v[82:83], v[8:9], v[82:83]
	v_add_f64 v[10:11], v[10:11], v[112:113]
	v_add_f64 v[2:3], v[2:3], v[114:115]
	s_waitcnt vmcnt(8) lgkmcnt(0)
	v_mul_f64 v[112:113], v[68:69], v[86:87]
	v_mul_f64 v[86:87], v[70:71], v[86:87]
	v_fma_f64 v[110:111], v[8:9], v[80:81], v[110:111]
	v_fma_f64 v[80:81], v[6:7], v[80:81], -v[82:83]
	ds_load_b128 v[6:9], v1 offset:416
	v_add_f64 v[10:11], v[10:11], v[108:109]
	v_add_f64 v[2:3], v[2:3], v[116:117]
	v_fma_f64 v[108:109], v[70:71], v[84:85], v[112:113]
	v_fma_f64 v[84:85], v[68:69], v[84:85], -v[86:87]
	ds_load_b128 v[68:71], v1 offset:432
	s_waitcnt vmcnt(7) lgkmcnt(1)
	v_mul_f64 v[82:83], v[6:7], v[90:91]
	v_mul_f64 v[90:91], v[8:9], v[90:91]
	v_add_f64 v[10:11], v[10:11], v[110:111]
	v_add_f64 v[2:3], v[2:3], v[80:81]
	s_delay_alu instid0(VALU_DEP_4) | instskip(NEXT) | instid1(VALU_DEP_4)
	v_fma_f64 v[110:111], v[8:9], v[88:89], v[82:83]
	v_fma_f64 v[88:89], v[6:7], v[88:89], -v[90:91]
	scratch_load_b128 v[80:83], off, off offset:16
	s_waitcnt vmcnt(7) lgkmcnt(0)
	v_mul_f64 v[86:87], v[68:69], v[98:99]
	v_mul_f64 v[98:99], v[70:71], v[98:99]
	ds_load_b128 v[6:9], v1 offset:448
	v_add_f64 v[10:11], v[10:11], v[108:109]
	v_add_f64 v[2:3], v[2:3], v[84:85]
	v_fma_f64 v[86:87], v[70:71], v[96:97], v[86:87]
	v_fma_f64 v[96:97], v[68:69], v[96:97], -v[98:99]
	ds_load_b128 v[68:71], v1 offset:464
	s_waitcnt vmcnt(6) lgkmcnt(1)
	v_mul_f64 v[84:85], v[6:7], v[102:103]
	v_mul_f64 v[90:91], v[8:9], v[102:103]
	v_add_f64 v[10:11], v[10:11], v[110:111]
	v_add_f64 v[2:3], v[2:3], v[88:89]
	s_delay_alu instid0(VALU_DEP_4) | instskip(NEXT) | instid1(VALU_DEP_4)
	v_fma_f64 v[84:85], v[8:9], v[100:101], v[84:85]
	v_fma_f64 v[90:91], v[6:7], v[100:101], -v[90:91]
	ds_load_b128 v[6:9], v1 offset:480
	s_waitcnt vmcnt(5) lgkmcnt(1)
	v_mul_f64 v[88:89], v[68:69], v[106:107]
	v_mul_f64 v[98:99], v[70:71], v[106:107]
	v_add_f64 v[10:11], v[10:11], v[86:87]
	v_add_f64 v[2:3], v[2:3], v[96:97]
	s_delay_alu instid0(VALU_DEP_4)
	v_fma_f64 v[70:71], v[70:71], v[104:105], v[88:89]
	s_waitcnt vmcnt(4) lgkmcnt(0)
	v_mul_f64 v[86:87], v[6:7], v[66:67]
	v_mul_f64 v[96:97], v[8:9], v[66:67]
	v_fma_f64 v[88:89], v[68:69], v[104:105], -v[98:99]
	ds_load_b128 v[66:69], v1 offset:496
	v_add_f64 v[10:11], v[10:11], v[84:85]
	v_add_f64 v[2:3], v[2:3], v[90:91]
	v_fma_f64 v[86:87], v[8:9], v[64:65], v[86:87]
	v_fma_f64 v[64:65], v[6:7], v[64:65], -v[96:97]
	ds_load_b128 v[6:9], v1 offset:512
	s_waitcnt vmcnt(3) lgkmcnt(1)
	v_mul_f64 v[84:85], v[66:67], v[94:95]
	v_mul_f64 v[90:91], v[68:69], v[94:95]
	v_add_f64 v[10:11], v[10:11], v[70:71]
	v_add_f64 v[2:3], v[2:3], v[88:89]
	s_waitcnt vmcnt(2) lgkmcnt(0)
	v_mul_f64 v[70:71], v[6:7], v[74:75]
	v_mul_f64 v[74:75], v[8:9], v[74:75]
	v_fma_f64 v[68:69], v[68:69], v[92:93], v[84:85]
	v_fma_f64 v[84:85], v[66:67], v[92:93], -v[90:91]
	v_add_f64 v[10:11], v[10:11], v[86:87]
	v_add_f64 v[2:3], v[2:3], v[64:65]
	ds_load_b128 v[64:67], v1 offset:528
	v_fma_f64 v[8:9], v[8:9], v[72:73], v[70:71]
	v_fma_f64 v[6:7], v[6:7], v[72:73], -v[74:75]
	s_waitcnt vmcnt(1) lgkmcnt(0)
	v_mul_f64 v[86:87], v[64:65], v[78:79]
	v_mul_f64 v[78:79], v[66:67], v[78:79]
	v_add_f64 v[10:11], v[10:11], v[68:69]
	v_add_f64 v[2:3], v[2:3], v[84:85]
	s_delay_alu instid0(VALU_DEP_4) | instskip(NEXT) | instid1(VALU_DEP_4)
	v_fma_f64 v[66:67], v[66:67], v[76:77], v[86:87]
	v_fma_f64 v[64:65], v[64:65], v[76:77], -v[78:79]
	s_delay_alu instid0(VALU_DEP_3) | instskip(SKIP_1) | instid1(VALU_DEP_2)
	v_add_f64 v[2:3], v[2:3], v[6:7]
	v_add_f64 v[6:7], v[10:11], v[8:9]
	;; [unrolled: 1-line block ×3, first 2 shown]
	s_delay_alu instid0(VALU_DEP_2) | instskip(SKIP_1) | instid1(VALU_DEP_2)
	v_add_f64 v[8:9], v[6:7], v[66:67]
	s_waitcnt vmcnt(0)
	v_add_f64 v[6:7], v[80:81], -v[2:3]
	s_delay_alu instid0(VALU_DEP_2)
	v_add_f64 v[8:9], v[82:83], -v[8:9]
	scratch_store_b128 off, v[6:9], off offset:16
	v_cmpx_ne_u32_e32 0, v47
	s_cbranch_execz .LBB80_115
; %bb.114:
	scratch_load_b128 v[6:9], off, off
	v_mov_b32_e32 v2, v1
	v_mov_b32_e32 v3, v1
	;; [unrolled: 1-line block ×3, first 2 shown]
	scratch_store_b128 off, v[1:4], off
	s_waitcnt vmcnt(0)
	ds_store_b128 v5, v[6:9]
.LBB80_115:
	s_or_b32 exec_lo, exec_lo, s2
	s_waitcnt lgkmcnt(0)
	s_waitcnt_vscnt null, 0x0
	s_barrier
	buffer_gl0_inv
	s_clause 0x7
	scratch_load_b128 v[2:5], off, off offset:16
	scratch_load_b128 v[6:9], off, off offset:32
	;; [unrolled: 1-line block ×8, first 2 shown]
	ds_load_b128 v[88:91], v1 offset:288
	ds_load_b128 v[96:99], v1 offset:304
	s_clause 0x1
	scratch_load_b128 v[92:95], off, off offset:144
	scratch_load_b128 v[100:103], off, off offset:160
	s_and_b32 vcc_lo, exec_lo, s14
	s_waitcnt vmcnt(9) lgkmcnt(1)
	v_mul_f64 v[10:11], v[90:91], v[4:5]
	v_mul_f64 v[4:5], v[88:89], v[4:5]
	s_waitcnt vmcnt(8) lgkmcnt(0)
	v_mul_f64 v[104:105], v[96:97], v[8:9]
	v_mul_f64 v[106:107], v[98:99], v[8:9]
	s_delay_alu instid0(VALU_DEP_4)
	v_fma_f64 v[88:89], v[88:89], v[2:3], -v[10:11]
	scratch_load_b128 v[8:11], off, off offset:176
	v_fma_f64 v[90:91], v[90:91], v[2:3], v[4:5]
	ds_load_b128 v[2:5], v1 offset:320
	v_fma_f64 v[104:105], v[98:99], v[6:7], v[104:105]
	v_fma_f64 v[6:7], v[96:97], v[6:7], -v[106:107]
	scratch_load_b128 v[96:99], off, off offset:192
	v_add_f64 v[106:107], v[88:89], 0
	v_add_f64 v[110:111], v[90:91], 0
	ds_load_b128 v[88:91], v1 offset:336
	s_waitcnt vmcnt(9) lgkmcnt(1)
	v_mul_f64 v[108:109], v[2:3], v[66:67]
	v_mul_f64 v[66:67], v[4:5], v[66:67]
	s_waitcnt vmcnt(8) lgkmcnt(0)
	v_mul_f64 v[112:113], v[88:89], v[70:71]
	v_mul_f64 v[70:71], v[90:91], v[70:71]
	v_add_f64 v[6:7], v[106:107], v[6:7]
	v_add_f64 v[104:105], v[110:111], v[104:105]
	v_fma_f64 v[108:109], v[4:5], v[64:65], v[108:109]
	v_fma_f64 v[114:115], v[2:3], v[64:65], -v[66:67]
	scratch_load_b128 v[64:67], off, off offset:208
	ds_load_b128 v[2:5], v1 offset:352
	v_fma_f64 v[110:111], v[90:91], v[68:69], v[112:113]
	v_fma_f64 v[112:113], v[88:89], v[68:69], -v[70:71]
	ds_load_b128 v[68:71], v1 offset:368
	scratch_load_b128 v[88:91], off, off offset:224
	s_waitcnt vmcnt(9) lgkmcnt(1)
	v_mul_f64 v[106:107], v[2:3], v[74:75]
	v_mul_f64 v[74:75], v[4:5], v[74:75]
	v_add_f64 v[104:105], v[104:105], v[108:109]
	v_add_f64 v[6:7], v[6:7], v[114:115]
	s_waitcnt vmcnt(8) lgkmcnt(0)
	v_mul_f64 v[108:109], v[68:69], v[78:79]
	v_mul_f64 v[78:79], v[70:71], v[78:79]
	v_fma_f64 v[106:107], v[4:5], v[72:73], v[106:107]
	v_fma_f64 v[114:115], v[2:3], v[72:73], -v[74:75]
	scratch_load_b128 v[72:75], off, off offset:240
	ds_load_b128 v[2:5], v1 offset:384
	v_add_f64 v[104:105], v[104:105], v[110:111]
	v_add_f64 v[6:7], v[6:7], v[112:113]
	v_fma_f64 v[108:109], v[70:71], v[76:77], v[108:109]
	v_fma_f64 v[112:113], v[68:69], v[76:77], -v[78:79]
	ds_load_b128 v[68:71], v1 offset:400
	scratch_load_b128 v[76:79], off, off offset:256
	s_waitcnt vmcnt(9) lgkmcnt(1)
	v_mul_f64 v[110:111], v[2:3], v[82:83]
	v_mul_f64 v[82:83], v[4:5], v[82:83]
	v_add_f64 v[104:105], v[104:105], v[106:107]
	v_add_f64 v[6:7], v[6:7], v[114:115]
	s_waitcnt vmcnt(8) lgkmcnt(0)
	v_mul_f64 v[106:107], v[68:69], v[86:87]
	v_mul_f64 v[86:87], v[70:71], v[86:87]
	v_fma_f64 v[110:111], v[4:5], v[80:81], v[110:111]
	v_fma_f64 v[80:81], v[2:3], v[80:81], -v[82:83]
	ds_load_b128 v[2:5], v1 offset:416
	v_add_f64 v[82:83], v[104:105], v[108:109]
	v_add_f64 v[6:7], v[6:7], v[112:113]
	v_fma_f64 v[106:107], v[70:71], v[84:85], v[106:107]
	v_fma_f64 v[84:85], v[68:69], v[84:85], -v[86:87]
	ds_load_b128 v[68:71], v1 offset:432
	s_waitcnt vmcnt(6) lgkmcnt(0)
	v_mul_f64 v[86:87], v[68:69], v[102:103]
	v_mul_f64 v[102:103], v[70:71], v[102:103]
	v_add_f64 v[6:7], v[6:7], v[80:81]
	v_add_f64 v[80:81], v[82:83], v[110:111]
	s_delay_alu instid0(VALU_DEP_4) | instskip(NEXT) | instid1(VALU_DEP_4)
	v_fma_f64 v[86:87], v[70:71], v[100:101], v[86:87]
	v_fma_f64 v[100:101], v[68:69], v[100:101], -v[102:103]
	ds_load_b128 v[68:71], v1 offset:464
	v_add_f64 v[6:7], v[6:7], v[84:85]
	v_add_f64 v[84:85], v[80:81], v[106:107]
	scratch_load_b128 v[80:83], off, off
	v_mul_f64 v[104:105], v[2:3], v[94:95]
	v_mul_f64 v[94:95], v[4:5], v[94:95]
	s_delay_alu instid0(VALU_DEP_2) | instskip(NEXT) | instid1(VALU_DEP_2)
	v_fma_f64 v[104:105], v[4:5], v[92:93], v[104:105]
	v_fma_f64 v[92:93], v[2:3], v[92:93], -v[94:95]
	ds_load_b128 v[2:5], v1 offset:448
	s_waitcnt vmcnt(6) lgkmcnt(0)
	v_mul_f64 v[94:95], v[2:3], v[10:11]
	v_mul_f64 v[10:11], v[4:5], v[10:11]
	v_add_f64 v[84:85], v[84:85], v[104:105]
	v_add_f64 v[6:7], v[6:7], v[92:93]
	s_waitcnt vmcnt(5)
	v_mul_f64 v[92:93], v[68:69], v[98:99]
	v_mul_f64 v[98:99], v[70:71], v[98:99]
	v_fma_f64 v[94:95], v[4:5], v[8:9], v[94:95]
	v_fma_f64 v[8:9], v[2:3], v[8:9], -v[10:11]
	ds_load_b128 v[2:5], v1 offset:480
	v_add_f64 v[10:11], v[84:85], v[86:87]
	v_add_f64 v[6:7], v[6:7], v[100:101]
	v_fma_f64 v[70:71], v[70:71], v[96:97], v[92:93]
	v_fma_f64 v[68:69], v[68:69], v[96:97], -v[98:99]
	s_delay_alu instid0(VALU_DEP_4) | instskip(NEXT) | instid1(VALU_DEP_4)
	v_add_f64 v[10:11], v[10:11], v[94:95]
	v_add_f64 v[86:87], v[6:7], v[8:9]
	ds_load_b128 v[6:9], v1 offset:496
	s_waitcnt vmcnt(4) lgkmcnt(1)
	v_mul_f64 v[84:85], v[2:3], v[66:67]
	v_mul_f64 v[66:67], v[4:5], v[66:67]
	s_waitcnt vmcnt(3) lgkmcnt(0)
	v_mul_f64 v[92:93], v[6:7], v[90:91]
	v_mul_f64 v[90:91], v[8:9], v[90:91]
	v_add_f64 v[10:11], v[10:11], v[70:71]
	v_fma_f64 v[84:85], v[4:5], v[64:65], v[84:85]
	v_fma_f64 v[64:65], v[2:3], v[64:65], -v[66:67]
	v_add_f64 v[66:67], v[86:87], v[68:69]
	ds_load_b128 v[2:5], v1 offset:512
	v_fma_f64 v[86:87], v[6:7], v[88:89], -v[90:91]
	s_waitcnt vmcnt(2) lgkmcnt(0)
	v_mul_f64 v[68:69], v[2:3], v[74:75]
	v_mul_f64 v[70:71], v[4:5], v[74:75]
	v_fma_f64 v[74:75], v[8:9], v[88:89], v[92:93]
	ds_load_b128 v[6:9], v1 offset:528
	v_add_f64 v[10:11], v[10:11], v[84:85]
	v_add_f64 v[64:65], v[66:67], v[64:65]
	s_waitcnt vmcnt(1) lgkmcnt(0)
	v_mul_f64 v[66:67], v[6:7], v[78:79]
	v_mul_f64 v[78:79], v[8:9], v[78:79]
	v_fma_f64 v[4:5], v[4:5], v[72:73], v[68:69]
	v_fma_f64 v[1:2], v[2:3], v[72:73], -v[70:71]
	v_add_f64 v[10:11], v[10:11], v[74:75]
	v_add_f64 v[64:65], v[64:65], v[86:87]
	v_fma_f64 v[8:9], v[8:9], v[76:77], v[66:67]
	v_fma_f64 v[6:7], v[6:7], v[76:77], -v[78:79]
	s_delay_alu instid0(VALU_DEP_4) | instskip(NEXT) | instid1(VALU_DEP_4)
	v_add_f64 v[3:4], v[10:11], v[4:5]
	v_add_f64 v[1:2], v[64:65], v[1:2]
	s_delay_alu instid0(VALU_DEP_2) | instskip(NEXT) | instid1(VALU_DEP_2)
	v_add_f64 v[3:4], v[3:4], v[8:9]
	v_add_f64 v[1:2], v[1:2], v[6:7]
	s_waitcnt vmcnt(0)
	s_delay_alu instid0(VALU_DEP_2) | instskip(NEXT) | instid1(VALU_DEP_2)
	v_add_f64 v[3:4], v[82:83], -v[3:4]
	v_add_f64 v[1:2], v[80:81], -v[1:2]
	scratch_store_b128 off, v[1:4], off
	s_cbranch_vccz .LBB80_149
; %bb.116:
	v_dual_mov_b32 v1, s8 :: v_dual_mov_b32 v2, s9
	s_load_b64 s[0:1], s[0:1], 0x4
	flat_load_b32 v1, v[1:2] offset:60
	v_bfe_u32 v2, v0, 10, 10
	v_bfe_u32 v0, v0, 20, 10
	s_waitcnt lgkmcnt(0)
	s_lshr_b32 s0, s0, 16
	s_delay_alu instid0(VALU_DEP_2) | instskip(SKIP_1) | instid1(SALU_CYCLE_1)
	v_mul_u32_u24_e32 v2, s1, v2
	s_mul_i32 s0, s0, s1
	v_mul_u32_u24_e32 v3, s0, v47
	s_mov_b32 s0, exec_lo
	s_delay_alu instid0(VALU_DEP_1) | instskip(NEXT) | instid1(VALU_DEP_1)
	v_add3_u32 v0, v3, v2, v0
	v_lshl_add_u32 v0, v0, 4, 0x228
	s_waitcnt vmcnt(0)
	v_cmpx_ne_u32_e32 16, v1
	s_cbranch_execz .LBB80_118
; %bb.117:
	v_lshl_add_u32 v9, v1, 4, 0
	s_clause 0x1
	scratch_load_b128 v[1:4], v63, off
	scratch_load_b128 v[5:8], v9, off offset:-16
	s_waitcnt vmcnt(1)
	ds_store_2addr_b64 v0, v[1:2], v[3:4] offset1:1
	s_waitcnt vmcnt(0)
	s_clause 0x1
	scratch_store_b128 v63, v[5:8], off
	scratch_store_b128 v9, v[1:4], off offset:-16
.LBB80_118:
	s_or_b32 exec_lo, exec_lo, s0
	v_dual_mov_b32 v1, s8 :: v_dual_mov_b32 v2, s9
	s_mov_b32 s0, exec_lo
	flat_load_b32 v1, v[1:2] offset:56
	s_waitcnt vmcnt(0) lgkmcnt(0)
	v_cmpx_ne_u32_e32 15, v1
	s_cbranch_execz .LBB80_120
; %bb.119:
	v_lshl_add_u32 v9, v1, 4, 0
	s_clause 0x1
	scratch_load_b128 v[1:4], v62, off
	scratch_load_b128 v[5:8], v9, off offset:-16
	s_waitcnt vmcnt(1)
	ds_store_2addr_b64 v0, v[1:2], v[3:4] offset1:1
	s_waitcnt vmcnt(0)
	s_clause 0x1
	scratch_store_b128 v62, v[5:8], off
	scratch_store_b128 v9, v[1:4], off offset:-16
.LBB80_120:
	s_or_b32 exec_lo, exec_lo, s0
	v_dual_mov_b32 v1, s8 :: v_dual_mov_b32 v2, s9
	s_mov_b32 s0, exec_lo
	flat_load_b32 v1, v[1:2] offset:52
	s_waitcnt vmcnt(0) lgkmcnt(0)
	;; [unrolled: 19-line block ×14, first 2 shown]
	v_cmpx_ne_u32_e32 2, v1
	s_cbranch_execz .LBB80_146
; %bb.145:
	v_lshl_add_u32 v9, v1, 4, 0
	s_clause 0x1
	scratch_load_b128 v[1:4], v52, off
	scratch_load_b128 v[5:8], v9, off offset:-16
	s_waitcnt vmcnt(1)
	ds_store_2addr_b64 v0, v[1:2], v[3:4] offset1:1
	s_waitcnt vmcnt(0)
	s_clause 0x1
	scratch_store_b128 v52, v[5:8], off
	scratch_store_b128 v9, v[1:4], off offset:-16
.LBB80_146:
	s_or_b32 exec_lo, exec_lo, s0
	v_dual_mov_b32 v1, s8 :: v_dual_mov_b32 v2, s9
	s_mov_b32 s0, exec_lo
	flat_load_b32 v1, v[1:2]
	s_waitcnt vmcnt(0) lgkmcnt(0)
	v_cmpx_ne_u32_e32 1, v1
	s_cbranch_execz .LBB80_148
; %bb.147:
	v_lshl_add_u32 v9, v1, 4, 0
	scratch_load_b128 v[1:4], off, off
	scratch_load_b128 v[5:8], v9, off offset:-16
	s_waitcnt vmcnt(1)
	ds_store_2addr_b64 v0, v[1:2], v[3:4] offset1:1
	s_waitcnt vmcnt(0)
	scratch_store_b128 off, v[5:8], off
	scratch_store_b128 v9, v[1:4], off offset:-16
.LBB80_148:
	s_or_b32 exec_lo, exec_lo, s0
.LBB80_149:
	scratch_load_b128 v[0:3], off, off
	s_clause 0xf
	scratch_load_b128 v[4:7], v52, off
	scratch_load_b128 v[8:11], v51, off
	;; [unrolled: 1-line block ×16, first 2 shown]
	s_waitcnt vmcnt(16)
	global_store_b128 v[13:14], v[0:3], off
	s_waitcnt vmcnt(15)
	global_store_b128 v[15:16], v[4:7], off
	;; [unrolled: 2-line block ×17, first 2 shown]
	s_endpgm
	.section	.rodata,"a",@progbits
	.p2align	6, 0x0
	.amdhsa_kernel _ZN9rocsolver6v33100L18getri_kernel_smallILi17E19rocblas_complex_numIdEPKPS3_EEvT1_iilPiilS8_bb
		.amdhsa_group_segment_fixed_size 1576
		.amdhsa_private_segment_fixed_size 288
		.amdhsa_kernarg_size 60
		.amdhsa_user_sgpr_count 15
		.amdhsa_user_sgpr_dispatch_ptr 1
		.amdhsa_user_sgpr_queue_ptr 0
		.amdhsa_user_sgpr_kernarg_segment_ptr 1
		.amdhsa_user_sgpr_dispatch_id 0
		.amdhsa_user_sgpr_private_segment_size 0
		.amdhsa_wavefront_size32 1
		.amdhsa_uses_dynamic_stack 0
		.amdhsa_enable_private_segment 1
		.amdhsa_system_sgpr_workgroup_id_x 1
		.amdhsa_system_sgpr_workgroup_id_y 0
		.amdhsa_system_sgpr_workgroup_id_z 0
		.amdhsa_system_sgpr_workgroup_info 0
		.amdhsa_system_vgpr_workitem_id 2
		.amdhsa_next_free_vgpr 122
		.amdhsa_next_free_sgpr 19
		.amdhsa_reserve_vcc 1
		.amdhsa_float_round_mode_32 0
		.amdhsa_float_round_mode_16_64 0
		.amdhsa_float_denorm_mode_32 3
		.amdhsa_float_denorm_mode_16_64 3
		.amdhsa_dx10_clamp 1
		.amdhsa_ieee_mode 1
		.amdhsa_fp16_overflow 0
		.amdhsa_workgroup_processor_mode 1
		.amdhsa_memory_ordered 1
		.amdhsa_forward_progress 0
		.amdhsa_shared_vgpr_count 0
		.amdhsa_exception_fp_ieee_invalid_op 0
		.amdhsa_exception_fp_denorm_src 0
		.amdhsa_exception_fp_ieee_div_zero 0
		.amdhsa_exception_fp_ieee_overflow 0
		.amdhsa_exception_fp_ieee_underflow 0
		.amdhsa_exception_fp_ieee_inexact 0
		.amdhsa_exception_int_div_zero 0
	.end_amdhsa_kernel
	.section	.text._ZN9rocsolver6v33100L18getri_kernel_smallILi17E19rocblas_complex_numIdEPKPS3_EEvT1_iilPiilS8_bb,"axG",@progbits,_ZN9rocsolver6v33100L18getri_kernel_smallILi17E19rocblas_complex_numIdEPKPS3_EEvT1_iilPiilS8_bb,comdat
.Lfunc_end80:
	.size	_ZN9rocsolver6v33100L18getri_kernel_smallILi17E19rocblas_complex_numIdEPKPS3_EEvT1_iilPiilS8_bb, .Lfunc_end80-_ZN9rocsolver6v33100L18getri_kernel_smallILi17E19rocblas_complex_numIdEPKPS3_EEvT1_iilPiilS8_bb
                                        ; -- End function
	.section	.AMDGPU.csdata,"",@progbits
; Kernel info:
; codeLenInByte = 20208
; NumSgprs: 21
; NumVgprs: 122
; ScratchSize: 288
; MemoryBound: 0
; FloatMode: 240
; IeeeMode: 1
; LDSByteSize: 1576 bytes/workgroup (compile time only)
; SGPRBlocks: 2
; VGPRBlocks: 15
; NumSGPRsForWavesPerEU: 21
; NumVGPRsForWavesPerEU: 122
; Occupancy: 10
; WaveLimiterHint : 1
; COMPUTE_PGM_RSRC2:SCRATCH_EN: 1
; COMPUTE_PGM_RSRC2:USER_SGPR: 15
; COMPUTE_PGM_RSRC2:TRAP_HANDLER: 0
; COMPUTE_PGM_RSRC2:TGID_X_EN: 1
; COMPUTE_PGM_RSRC2:TGID_Y_EN: 0
; COMPUTE_PGM_RSRC2:TGID_Z_EN: 0
; COMPUTE_PGM_RSRC2:TIDIG_COMP_CNT: 2
	.section	.text._ZN9rocsolver6v33100L18getri_kernel_smallILi18E19rocblas_complex_numIdEPKPS3_EEvT1_iilPiilS8_bb,"axG",@progbits,_ZN9rocsolver6v33100L18getri_kernel_smallILi18E19rocblas_complex_numIdEPKPS3_EEvT1_iilPiilS8_bb,comdat
	.globl	_ZN9rocsolver6v33100L18getri_kernel_smallILi18E19rocblas_complex_numIdEPKPS3_EEvT1_iilPiilS8_bb ; -- Begin function _ZN9rocsolver6v33100L18getri_kernel_smallILi18E19rocblas_complex_numIdEPKPS3_EEvT1_iilPiilS8_bb
	.p2align	8
	.type	_ZN9rocsolver6v33100L18getri_kernel_smallILi18E19rocblas_complex_numIdEPKPS3_EEvT1_iilPiilS8_bb,@function
_ZN9rocsolver6v33100L18getri_kernel_smallILi18E19rocblas_complex_numIdEPKPS3_EEvT1_iilPiilS8_bb: ; @_ZN9rocsolver6v33100L18getri_kernel_smallILi18E19rocblas_complex_numIdEPKPS3_EEvT1_iilPiilS8_bb
; %bb.0:
	v_and_b32_e32 v49, 0x3ff, v0
	s_mov_b32 s4, exec_lo
	s_delay_alu instid0(VALU_DEP_1)
	v_cmpx_gt_u32_e32 18, v49
	s_cbranch_execz .LBB81_86
; %bb.1:
	s_mov_b32 s10, s15
	s_clause 0x2
	s_load_b32 s15, s[2:3], 0x38
	s_load_b64 s[8:9], s[2:3], 0x0
	s_load_b128 s[4:7], s[2:3], 0x28
	s_waitcnt lgkmcnt(0)
	s_bitcmp1_b32 s15, 8
	s_cselect_b32 s14, -1, 0
	s_ashr_i32 s11, s10, 31
	s_delay_alu instid0(SALU_CYCLE_1) | instskip(NEXT) | instid1(SALU_CYCLE_1)
	s_lshl_b64 s[12:13], s[10:11], 3
	s_add_u32 s8, s8, s12
	s_addc_u32 s9, s9, s13
	s_load_b64 s[12:13], s[8:9], 0x0
	s_bfe_u32 s8, s15, 0x10008
	s_delay_alu instid0(SALU_CYCLE_1)
	s_cmp_eq_u32 s8, 0
                                        ; implicit-def: $sgpr8_sgpr9
	s_cbranch_scc1 .LBB81_3
; %bb.2:
	s_clause 0x1
	s_load_b32 s8, s[2:3], 0x20
	s_load_b64 s[16:17], s[2:3], 0x18
	s_mul_i32 s5, s10, s5
	s_mul_hi_u32 s9, s10, s4
	s_mul_i32 s18, s11, s4
	s_add_i32 s5, s9, s5
	s_mul_i32 s4, s10, s4
	s_add_i32 s5, s5, s18
	s_delay_alu instid0(SALU_CYCLE_1)
	s_lshl_b64 s[4:5], s[4:5], 2
	s_waitcnt lgkmcnt(0)
	s_ashr_i32 s9, s8, 31
	s_add_u32 s16, s16, s4
	s_addc_u32 s17, s17, s5
	s_lshl_b64 s[4:5], s[8:9], 2
	s_delay_alu instid0(SALU_CYCLE_1)
	s_add_u32 s8, s16, s4
	s_addc_u32 s9, s17, s5
.LBB81_3:
	s_load_b64 s[4:5], s[2:3], 0x8
	v_lshlrev_b32_e32 v67, 4, v49
	v_add_nc_u32_e64 v54, 0, 16
	s_waitcnt lgkmcnt(0)
	v_add3_u32 v5, s5, s5, v49
	s_ashr_i32 s3, s4, 31
	s_mov_b32 s2, s4
	s_mov_b32 s16, s5
	s_lshl_b64 s[2:3], s[2:3], 4
	v_add_nc_u32_e32 v7, s5, v5
	v_ashrrev_i32_e32 v6, 31, v5
	s_add_u32 s2, s12, s2
	s_addc_u32 s3, s13, s3
	v_add_co_u32 v13, s4, s2, v67
	v_add_nc_u32_e32 v9, s5, v7
	v_ashrrev_i32_e32 v8, 31, v7
	s_ashr_i32 s17, s5, 31
	v_add_co_ci_u32_e64 v14, null, s3, 0, s4
	s_delay_alu instid0(VALU_DEP_3)
	v_add_nc_u32_e32 v21, s5, v9
	v_lshlrev_b64 v[5:6], 4, v[5:6]
	s_lshl_b64 s[12:13], s[16:17], 4
	v_ashrrev_i32_e32 v10, 31, v9
	v_add_co_u32 v15, vcc_lo, v13, s12
	v_add_nc_u32_e32 v25, s5, v21
	v_lshlrev_b64 v[7:8], 4, v[7:8]
	v_ashrrev_i32_e32 v22, 31, v21
	v_add_co_ci_u32_e32 v16, vcc_lo, s13, v14, vcc_lo
	s_delay_alu instid0(VALU_DEP_4) | instskip(SKIP_3) | instid1(VALU_DEP_4)
	v_add_nc_u32_e32 v27, s5, v25
	v_add_co_u32 v17, vcc_lo, s2, v5
	v_lshlrev_b64 v[23:24], 4, v[9:10]
	v_ashrrev_i32_e32 v26, 31, v25
	v_add_nc_u32_e32 v31, s5, v27
	v_add_co_ci_u32_e32 v18, vcc_lo, s3, v6, vcc_lo
	v_add_co_u32 v19, vcc_lo, s2, v7
	s_delay_alu instid0(VALU_DEP_3) | instskip(SKIP_3) | instid1(VALU_DEP_4)
	v_add_nc_u32_e32 v33, s5, v31
	v_lshlrev_b64 v[29:30], 4, v[21:22]
	v_ashrrev_i32_e32 v28, 31, v27
	v_add_co_ci_u32_e32 v20, vcc_lo, s3, v8, vcc_lo
	v_add_nc_u32_e32 v35, s5, v33
	v_add_co_u32 v21, vcc_lo, s2, v23
	v_lshlrev_b64 v[25:26], 4, v[25:26]
	v_ashrrev_i32_e32 v32, 31, v31
	s_delay_alu instid0(VALU_DEP_4) | instskip(SKIP_2) | instid1(VALU_DEP_3)
	v_add_nc_u32_e32 v37, s5, v35
	v_add_co_ci_u32_e32 v22, vcc_lo, s3, v24, vcc_lo
	v_add_co_u32 v23, vcc_lo, s2, v29
	v_add_nc_u32_e32 v39, s5, v37
	v_lshlrev_b64 v[27:28], 4, v[27:28]
	v_ashrrev_i32_e32 v34, 31, v33
	v_add_co_ci_u32_e32 v24, vcc_lo, s3, v30, vcc_lo
	s_delay_alu instid0(VALU_DEP_4) | instskip(SKIP_3) | instid1(VALU_DEP_4)
	v_add_nc_u32_e32 v41, s5, v39
	v_add_co_u32 v25, vcc_lo, s2, v25
	v_lshlrev_b64 v[29:30], 4, v[31:32]
	v_ashrrev_i32_e32 v36, 31, v35
	v_add_nc_u32_e32 v43, s5, v41
	v_add_co_ci_u32_e32 v26, vcc_lo, s3, v26, vcc_lo
	v_add_co_u32 v27, vcc_lo, s2, v27
	s_delay_alu instid0(VALU_DEP_3) | instskip(SKIP_3) | instid1(VALU_DEP_4)
	v_add_nc_u32_e32 v45, s5, v43
	v_lshlrev_b64 v[31:32], 4, v[33:34]
	v_ashrrev_i32_e32 v38, 31, v37
	v_add_co_ci_u32_e32 v28, vcc_lo, s3, v28, vcc_lo
	v_add_nc_u32_e32 v47, s5, v45
	v_add_co_u32 v29, vcc_lo, s2, v29
	v_lshlrev_b64 v[33:34], 4, v[35:36]
	v_ashrrev_i32_e32 v40, 31, v39
	v_add_co_ci_u32_e32 v30, vcc_lo, s3, v30, vcc_lo
	v_lshlrev_b64 v[35:36], 4, v[37:38]
	v_add_nc_u32_e32 v37, s5, v47
	v_add_co_u32 v31, vcc_lo, s2, v31
	v_ashrrev_i32_e32 v42, 31, v41
	v_add_co_ci_u32_e32 v32, vcc_lo, s3, v32, vcc_lo
	v_add_co_u32 v33, vcc_lo, s2, v33
	v_lshlrev_b64 v[39:40], 4, v[39:40]
	v_ashrrev_i32_e32 v38, 31, v37
	v_ashrrev_i32_e32 v44, 31, v43
	v_add_co_ci_u32_e32 v34, vcc_lo, s3, v34, vcc_lo
	v_add_co_u32 v35, vcc_lo, s2, v35
	v_lshlrev_b64 v[41:42], 4, v[41:42]
	v_ashrrev_i32_e32 v46, 31, v45
	v_add_co_ci_u32_e32 v36, vcc_lo, s3, v36, vcc_lo
	v_lshlrev_b64 v[104:105], 4, v[37:38]
	v_add_co_u32 v37, vcc_lo, s2, v39
	v_lshlrev_b64 v[43:44], 4, v[43:44]
	v_add_co_ci_u32_e32 v38, vcc_lo, s3, v40, vcc_lo
	v_add_co_u32 v39, vcc_lo, s2, v41
	v_lshlrev_b64 v[45:46], 4, v[45:46]
	v_add_co_ci_u32_e32 v40, vcc_lo, s3, v42, vcc_lo
	v_ashrrev_i32_e32 v48, 31, v47
	v_add_co_u32 v41, vcc_lo, s2, v43
	v_add_co_ci_u32_e32 v42, vcc_lo, s3, v44, vcc_lo
	s_clause 0x2
	global_load_b128 v[1:4], v67, s[2:3]
	global_load_b128 v[5:8], v[15:16], off
	global_load_b128 v[9:12], v[17:18], off
	v_add_co_u32 v43, vcc_lo, s2, v45
	s_clause 0x1
	global_load_b128 v[50:53], v[19:20], off
	global_load_b128 v[55:58], v[21:22], off
	v_add_co_ci_u32_e32 v44, vcc_lo, s3, v46, vcc_lo
	v_lshlrev_b64 v[45:46], 4, v[47:48]
	s_clause 0xa
	global_load_b128 v[59:62], v[23:24], off
	global_load_b128 v[63:66], v[25:26], off
	;; [unrolled: 1-line block ×11, first 2 shown]
	v_add_co_u32 v45, vcc_lo, s2, v45
	v_add_co_ci_u32_e32 v46, vcc_lo, s3, v46, vcc_lo
	v_add_co_u32 v47, vcc_lo, s2, v104
	v_add_co_ci_u32_e32 v48, vcc_lo, s3, v105, vcc_lo
	s_clause 0x1
	global_load_b128 v[104:107], v[45:46], off
	global_load_b128 v[108:111], v[47:48], off
	s_movk_i32 s2, 0x50
	s_movk_i32 s3, 0x60
	s_bitcmp0_b32 s15, 0
	s_waitcnt vmcnt(17)
	scratch_store_b128 off, v[1:4], off
	s_waitcnt vmcnt(16)
	scratch_store_b128 off, v[5:8], off offset:16
	s_waitcnt vmcnt(15)
	scratch_store_b128 off, v[9:12], off offset:32
	;; [unrolled: 2-line block ×3, first 2 shown]
	v_add_nc_u32_e64 v52, s2, 0
	s_movk_i32 s2, 0x70
	s_waitcnt vmcnt(13)
	scratch_store_b128 off, v[55:58], off offset:64
	s_waitcnt vmcnt(12)
	scratch_store_b128 off, v[59:62], off offset:80
	v_add_nc_u32_e64 v56, s3, 0
	v_add_nc_u32_e64 v55, s2, 0
	s_movk_i32 s2, 0x80
	s_movk_i32 s3, 0x90
	v_add_nc_u32_e64 v58, s2, 0
	v_add_nc_u32_e64 v57, s3, 0
	s_movk_i32 s2, 0xa0
	s_movk_i32 s3, 0xb0
	;; [unrolled: 4-line block ×4, first 2 shown]
	s_waitcnt vmcnt(11)
	scratch_store_b128 off, v[63:66], off offset:96
	s_waitcnt vmcnt(10)
	scratch_store_b128 off, v[68:71], off offset:112
	v_add_nc_u32_e64 v64, s2, 0
	v_add_nc_u32_e64 v63, s3, 0
	s_movk_i32 s2, 0x100
	s_movk_i32 s3, 0x110
	v_add_nc_u32_e64 v51, 0, 32
	v_add_nc_u32_e64 v53, 0, 48
	;; [unrolled: 1-line block ×5, first 2 shown]
	s_mov_b32 s3, -1
	s_waitcnt vmcnt(9)
	scratch_store_b128 off, v[72:75], off offset:128
	s_waitcnt vmcnt(8)
	scratch_store_b128 off, v[76:79], off offset:144
	;; [unrolled: 2-line block ×10, first 2 shown]
	s_cbranch_scc1 .LBB81_84
; %bb.4:
	v_cmp_eq_u32_e64 s2, 0, v49
	s_delay_alu instid0(VALU_DEP_1)
	s_and_saveexec_b32 s3, s2
	s_cbranch_execz .LBB81_6
; %bb.5:
	v_mov_b32_e32 v1, 0
	ds_store_b32 v1, v1 offset:576
.LBB81_6:
	s_or_b32 exec_lo, exec_lo, s3
	s_waitcnt lgkmcnt(0)
	s_waitcnt_vscnt null, 0x0
	s_barrier
	buffer_gl0_inv
	scratch_load_b128 v[1:4], v67, off
	s_waitcnt vmcnt(0)
	v_cmp_eq_f64_e32 vcc_lo, 0, v[1:2]
	v_cmp_eq_f64_e64 s3, 0, v[3:4]
	s_delay_alu instid0(VALU_DEP_1) | instskip(NEXT) | instid1(SALU_CYCLE_1)
	s_and_b32 s3, vcc_lo, s3
	s_and_saveexec_b32 s4, s3
	s_cbranch_execz .LBB81_10
; %bb.7:
	v_mov_b32_e32 v1, 0
	s_mov_b32 s5, 0
	ds_load_b32 v2, v1 offset:576
	s_waitcnt lgkmcnt(0)
	v_readfirstlane_b32 s3, v2
	v_add_nc_u32_e32 v2, 1, v49
	s_delay_alu instid0(VALU_DEP_2) | instskip(NEXT) | instid1(VALU_DEP_1)
	s_cmp_eq_u32 s3, 0
	v_cmp_gt_i32_e32 vcc_lo, s3, v2
	s_cselect_b32 s12, -1, 0
	s_delay_alu instid0(SALU_CYCLE_1) | instskip(NEXT) | instid1(SALU_CYCLE_1)
	s_or_b32 s12, s12, vcc_lo
	s_and_b32 exec_lo, exec_lo, s12
	s_cbranch_execz .LBB81_10
; %bb.8:
	v_mov_b32_e32 v3, s3
.LBB81_9:                               ; =>This Inner Loop Header: Depth=1
	ds_cmpstore_rtn_b32 v3, v1, v2, v3 offset:576
	s_waitcnt lgkmcnt(0)
	v_cmp_ne_u32_e32 vcc_lo, 0, v3
	v_cmp_le_i32_e64 s3, v3, v2
	s_delay_alu instid0(VALU_DEP_1) | instskip(NEXT) | instid1(SALU_CYCLE_1)
	s_and_b32 s3, vcc_lo, s3
	s_and_b32 s3, exec_lo, s3
	s_delay_alu instid0(SALU_CYCLE_1) | instskip(NEXT) | instid1(SALU_CYCLE_1)
	s_or_b32 s5, s3, s5
	s_and_not1_b32 exec_lo, exec_lo, s5
	s_cbranch_execnz .LBB81_9
.LBB81_10:
	s_or_b32 exec_lo, exec_lo, s4
	v_mov_b32_e32 v1, 0
	s_barrier
	buffer_gl0_inv
	ds_load_b32 v2, v1 offset:576
	s_and_saveexec_b32 s3, s2
	s_cbranch_execz .LBB81_12
; %bb.11:
	s_lshl_b64 s[4:5], s[10:11], 2
	s_delay_alu instid0(SALU_CYCLE_1)
	s_add_u32 s4, s6, s4
	s_addc_u32 s5, s7, s5
	s_waitcnt lgkmcnt(0)
	global_store_b32 v1, v2, s[4:5]
.LBB81_12:
	s_or_b32 exec_lo, exec_lo, s3
	s_waitcnt lgkmcnt(0)
	v_cmp_ne_u32_e32 vcc_lo, 0, v2
	s_mov_b32 s3, 0
	s_cbranch_vccnz .LBB81_84
; %bb.13:
	v_add_nc_u32_e32 v68, 0, v67
                                        ; implicit-def: $vgpr9_vgpr10
	scratch_load_b128 v[1:4], v68, off
	s_waitcnt vmcnt(0)
	v_mov_b32_e32 v5, v1
	v_cmp_gt_f64_e32 vcc_lo, 0, v[1:2]
	v_xor_b32_e32 v6, 0x80000000, v2
	v_xor_b32_e32 v7, 0x80000000, v4
	s_delay_alu instid0(VALU_DEP_2) | instskip(SKIP_1) | instid1(VALU_DEP_3)
	v_cndmask_b32_e32 v6, v2, v6, vcc_lo
	v_cmp_gt_f64_e32 vcc_lo, 0, v[3:4]
	v_dual_cndmask_b32 v8, v4, v7 :: v_dual_mov_b32 v7, v3
	s_delay_alu instid0(VALU_DEP_1) | instskip(SKIP_1) | instid1(SALU_CYCLE_1)
	v_cmp_ngt_f64_e32 vcc_lo, v[5:6], v[7:8]
                                        ; implicit-def: $vgpr5_vgpr6
	s_and_saveexec_b32 s3, vcc_lo
	s_xor_b32 s3, exec_lo, s3
	s_cbranch_execz .LBB81_15
; %bb.14:
	v_div_scale_f64 v[5:6], null, v[3:4], v[3:4], v[1:2]
	v_div_scale_f64 v[11:12], vcc_lo, v[1:2], v[3:4], v[1:2]
	s_delay_alu instid0(VALU_DEP_2) | instskip(SKIP_2) | instid1(VALU_DEP_1)
	v_rcp_f64_e32 v[7:8], v[5:6]
	s_waitcnt_depctr 0xfff
	v_fma_f64 v[9:10], -v[5:6], v[7:8], 1.0
	v_fma_f64 v[7:8], v[7:8], v[9:10], v[7:8]
	s_delay_alu instid0(VALU_DEP_1) | instskip(NEXT) | instid1(VALU_DEP_1)
	v_fma_f64 v[9:10], -v[5:6], v[7:8], 1.0
	v_fma_f64 v[7:8], v[7:8], v[9:10], v[7:8]
	s_delay_alu instid0(VALU_DEP_1) | instskip(NEXT) | instid1(VALU_DEP_1)
	v_mul_f64 v[9:10], v[11:12], v[7:8]
	v_fma_f64 v[5:6], -v[5:6], v[9:10], v[11:12]
	s_delay_alu instid0(VALU_DEP_1) | instskip(NEXT) | instid1(VALU_DEP_1)
	v_div_fmas_f64 v[5:6], v[5:6], v[7:8], v[9:10]
	v_div_fixup_f64 v[5:6], v[5:6], v[3:4], v[1:2]
	s_delay_alu instid0(VALU_DEP_1) | instskip(NEXT) | instid1(VALU_DEP_1)
	v_fma_f64 v[1:2], v[1:2], v[5:6], v[3:4]
	v_div_scale_f64 v[3:4], null, v[1:2], v[1:2], 1.0
	v_div_scale_f64 v[11:12], vcc_lo, 1.0, v[1:2], 1.0
	s_delay_alu instid0(VALU_DEP_2) | instskip(SKIP_2) | instid1(VALU_DEP_1)
	v_rcp_f64_e32 v[7:8], v[3:4]
	s_waitcnt_depctr 0xfff
	v_fma_f64 v[9:10], -v[3:4], v[7:8], 1.0
	v_fma_f64 v[7:8], v[7:8], v[9:10], v[7:8]
	s_delay_alu instid0(VALU_DEP_1) | instskip(NEXT) | instid1(VALU_DEP_1)
	v_fma_f64 v[9:10], -v[3:4], v[7:8], 1.0
	v_fma_f64 v[7:8], v[7:8], v[9:10], v[7:8]
	s_delay_alu instid0(VALU_DEP_1) | instskip(NEXT) | instid1(VALU_DEP_1)
	v_mul_f64 v[9:10], v[11:12], v[7:8]
	v_fma_f64 v[3:4], -v[3:4], v[9:10], v[11:12]
	s_delay_alu instid0(VALU_DEP_1) | instskip(NEXT) | instid1(VALU_DEP_1)
	v_div_fmas_f64 v[3:4], v[3:4], v[7:8], v[9:10]
	v_div_fixup_f64 v[7:8], v[3:4], v[1:2], 1.0
                                        ; implicit-def: $vgpr1_vgpr2
	s_delay_alu instid0(VALU_DEP_1) | instskip(SKIP_1) | instid1(VALU_DEP_2)
	v_mul_f64 v[5:6], v[5:6], v[7:8]
	v_xor_b32_e32 v8, 0x80000000, v8
	v_xor_b32_e32 v10, 0x80000000, v6
	s_delay_alu instid0(VALU_DEP_3)
	v_mov_b32_e32 v9, v5
.LBB81_15:
	s_and_not1_saveexec_b32 s3, s3
	s_cbranch_execz .LBB81_17
; %bb.16:
	v_div_scale_f64 v[5:6], null, v[1:2], v[1:2], v[3:4]
	v_div_scale_f64 v[11:12], vcc_lo, v[3:4], v[1:2], v[3:4]
	s_delay_alu instid0(VALU_DEP_2) | instskip(SKIP_2) | instid1(VALU_DEP_1)
	v_rcp_f64_e32 v[7:8], v[5:6]
	s_waitcnt_depctr 0xfff
	v_fma_f64 v[9:10], -v[5:6], v[7:8], 1.0
	v_fma_f64 v[7:8], v[7:8], v[9:10], v[7:8]
	s_delay_alu instid0(VALU_DEP_1) | instskip(NEXT) | instid1(VALU_DEP_1)
	v_fma_f64 v[9:10], -v[5:6], v[7:8], 1.0
	v_fma_f64 v[7:8], v[7:8], v[9:10], v[7:8]
	s_delay_alu instid0(VALU_DEP_1) | instskip(NEXT) | instid1(VALU_DEP_1)
	v_mul_f64 v[9:10], v[11:12], v[7:8]
	v_fma_f64 v[5:6], -v[5:6], v[9:10], v[11:12]
	s_delay_alu instid0(VALU_DEP_1) | instskip(NEXT) | instid1(VALU_DEP_1)
	v_div_fmas_f64 v[5:6], v[5:6], v[7:8], v[9:10]
	v_div_fixup_f64 v[7:8], v[5:6], v[1:2], v[3:4]
	s_delay_alu instid0(VALU_DEP_1) | instskip(NEXT) | instid1(VALU_DEP_1)
	v_fma_f64 v[1:2], v[3:4], v[7:8], v[1:2]
	v_div_scale_f64 v[3:4], null, v[1:2], v[1:2], 1.0
	s_delay_alu instid0(VALU_DEP_1) | instskip(SKIP_2) | instid1(VALU_DEP_1)
	v_rcp_f64_e32 v[5:6], v[3:4]
	s_waitcnt_depctr 0xfff
	v_fma_f64 v[9:10], -v[3:4], v[5:6], 1.0
	v_fma_f64 v[5:6], v[5:6], v[9:10], v[5:6]
	s_delay_alu instid0(VALU_DEP_1) | instskip(NEXT) | instid1(VALU_DEP_1)
	v_fma_f64 v[9:10], -v[3:4], v[5:6], 1.0
	v_fma_f64 v[5:6], v[5:6], v[9:10], v[5:6]
	v_div_scale_f64 v[9:10], vcc_lo, 1.0, v[1:2], 1.0
	s_delay_alu instid0(VALU_DEP_1) | instskip(NEXT) | instid1(VALU_DEP_1)
	v_mul_f64 v[11:12], v[9:10], v[5:6]
	v_fma_f64 v[3:4], -v[3:4], v[11:12], v[9:10]
	s_delay_alu instid0(VALU_DEP_1) | instskip(NEXT) | instid1(VALU_DEP_1)
	v_div_fmas_f64 v[3:4], v[3:4], v[5:6], v[11:12]
	v_div_fixup_f64 v[5:6], v[3:4], v[1:2], 1.0
	s_delay_alu instid0(VALU_DEP_1)
	v_mul_f64 v[7:8], v[7:8], -v[5:6]
	v_xor_b32_e32 v10, 0x80000000, v6
	v_mov_b32_e32 v9, v5
.LBB81_17:
	s_or_b32 exec_lo, exec_lo, s3
	scratch_store_b128 v68, v[5:8], off
	scratch_load_b128 v[1:4], v54, off
	v_xor_b32_e32 v12, 0x80000000, v8
	v_mov_b32_e32 v11, v7
	v_add_nc_u32_e32 v5, 0x120, v67
	ds_store_b128 v67, v[9:12]
	s_waitcnt vmcnt(0)
	ds_store_b128 v67, v[1:4] offset:288
	s_waitcnt lgkmcnt(0)
	s_waitcnt_vscnt null, 0x0
	s_barrier
	buffer_gl0_inv
	s_and_saveexec_b32 s3, s2
	s_cbranch_execz .LBB81_19
; %bb.18:
	scratch_load_b128 v[1:4], v68, off
	ds_load_b128 v[6:9], v5
	v_mov_b32_e32 v10, 0
	ds_load_b128 v[69:72], v10 offset:16
	s_waitcnt vmcnt(0) lgkmcnt(1)
	v_mul_f64 v[10:11], v[6:7], v[3:4]
	v_mul_f64 v[3:4], v[8:9], v[3:4]
	s_delay_alu instid0(VALU_DEP_2) | instskip(NEXT) | instid1(VALU_DEP_2)
	v_fma_f64 v[8:9], v[8:9], v[1:2], v[10:11]
	v_fma_f64 v[1:2], v[6:7], v[1:2], -v[3:4]
	s_delay_alu instid0(VALU_DEP_2) | instskip(NEXT) | instid1(VALU_DEP_2)
	v_add_f64 v[3:4], v[8:9], 0
	v_add_f64 v[1:2], v[1:2], 0
	s_waitcnt lgkmcnt(0)
	s_delay_alu instid0(VALU_DEP_2) | instskip(NEXT) | instid1(VALU_DEP_2)
	v_mul_f64 v[6:7], v[3:4], v[71:72]
	v_mul_f64 v[8:9], v[1:2], v[71:72]
	s_delay_alu instid0(VALU_DEP_2) | instskip(NEXT) | instid1(VALU_DEP_2)
	v_fma_f64 v[1:2], v[1:2], v[69:70], -v[6:7]
	v_fma_f64 v[3:4], v[3:4], v[69:70], v[8:9]
	scratch_store_b128 off, v[1:4], off offset:16
.LBB81_19:
	s_or_b32 exec_lo, exec_lo, s3
	s_waitcnt_vscnt null, 0x0
	s_barrier
	buffer_gl0_inv
	scratch_load_b128 v[1:4], v51, off
	s_mov_b32 s3, exec_lo
	s_waitcnt vmcnt(0)
	ds_store_b128 v5, v[1:4]
	s_waitcnt lgkmcnt(0)
	s_barrier
	buffer_gl0_inv
	v_cmpx_gt_u32_e32 2, v49
	s_cbranch_execz .LBB81_23
; %bb.20:
	scratch_load_b128 v[1:4], v68, off
	ds_load_b128 v[6:9], v5
	s_waitcnt vmcnt(0) lgkmcnt(0)
	v_mul_f64 v[10:11], v[8:9], v[3:4]
	v_mul_f64 v[3:4], v[6:7], v[3:4]
	s_delay_alu instid0(VALU_DEP_2) | instskip(NEXT) | instid1(VALU_DEP_2)
	v_fma_f64 v[6:7], v[6:7], v[1:2], -v[10:11]
	v_fma_f64 v[3:4], v[8:9], v[1:2], v[3:4]
	s_delay_alu instid0(VALU_DEP_2) | instskip(NEXT) | instid1(VALU_DEP_2)
	v_add_f64 v[1:2], v[6:7], 0
	v_add_f64 v[3:4], v[3:4], 0
	s_and_saveexec_b32 s4, s2
	s_cbranch_execz .LBB81_22
; %bb.21:
	scratch_load_b128 v[6:9], off, off offset:16
	v_mov_b32_e32 v10, 0
	ds_load_b128 v[69:72], v10 offset:304
	s_waitcnt vmcnt(0) lgkmcnt(0)
	v_mul_f64 v[10:11], v[69:70], v[8:9]
	v_mul_f64 v[8:9], v[71:72], v[8:9]
	s_delay_alu instid0(VALU_DEP_2) | instskip(NEXT) | instid1(VALU_DEP_2)
	v_fma_f64 v[10:11], v[71:72], v[6:7], v[10:11]
	v_fma_f64 v[6:7], v[69:70], v[6:7], -v[8:9]
	s_delay_alu instid0(VALU_DEP_2) | instskip(NEXT) | instid1(VALU_DEP_2)
	v_add_f64 v[3:4], v[3:4], v[10:11]
	v_add_f64 v[1:2], v[1:2], v[6:7]
.LBB81_22:
	s_or_b32 exec_lo, exec_lo, s4
	v_mov_b32_e32 v6, 0
	ds_load_b128 v[6:9], v6 offset:32
	s_waitcnt lgkmcnt(0)
	v_mul_f64 v[10:11], v[3:4], v[8:9]
	v_mul_f64 v[8:9], v[1:2], v[8:9]
	s_delay_alu instid0(VALU_DEP_2) | instskip(NEXT) | instid1(VALU_DEP_2)
	v_fma_f64 v[1:2], v[1:2], v[6:7], -v[10:11]
	v_fma_f64 v[3:4], v[3:4], v[6:7], v[8:9]
	scratch_store_b128 off, v[1:4], off offset:32
.LBB81_23:
	s_or_b32 exec_lo, exec_lo, s3
	s_waitcnt_vscnt null, 0x0
	s_barrier
	buffer_gl0_inv
	scratch_load_b128 v[1:4], v53, off
	v_add_nc_u32_e32 v6, -1, v49
	s_mov_b32 s2, exec_lo
	s_waitcnt vmcnt(0)
	ds_store_b128 v5, v[1:4]
	s_waitcnt lgkmcnt(0)
	s_barrier
	buffer_gl0_inv
	v_cmpx_gt_u32_e32 3, v49
	s_cbranch_execz .LBB81_27
; %bb.24:
	v_dual_mov_b32 v1, 0 :: v_dual_add_nc_u32 v8, 0x120, v67
	v_dual_mov_b32 v2, 0 :: v_dual_add_nc_u32 v7, -1, v49
	v_or_b32_e32 v9, 8, v68
	s_mov_b32 s3, 0
	s_delay_alu instid0(VALU_DEP_2)
	v_dual_mov_b32 v4, v2 :: v_dual_mov_b32 v3, v1
	.p2align	6
.LBB81_25:                              ; =>This Inner Loop Header: Depth=1
	scratch_load_b128 v[69:72], v9, off offset:-8
	ds_load_b128 v[73:76], v8
	v_add_nc_u32_e32 v7, 1, v7
	v_add_nc_u32_e32 v8, 16, v8
	;; [unrolled: 1-line block ×3, first 2 shown]
	s_delay_alu instid0(VALU_DEP_3) | instskip(SKIP_4) | instid1(VALU_DEP_2)
	v_cmp_lt_u32_e32 vcc_lo, 1, v7
	s_or_b32 s3, vcc_lo, s3
	s_waitcnt vmcnt(0) lgkmcnt(0)
	v_mul_f64 v[10:11], v[75:76], v[71:72]
	v_mul_f64 v[71:72], v[73:74], v[71:72]
	v_fma_f64 v[10:11], v[73:74], v[69:70], -v[10:11]
	s_delay_alu instid0(VALU_DEP_2) | instskip(NEXT) | instid1(VALU_DEP_2)
	v_fma_f64 v[69:70], v[75:76], v[69:70], v[71:72]
	v_add_f64 v[3:4], v[3:4], v[10:11]
	s_delay_alu instid0(VALU_DEP_2)
	v_add_f64 v[1:2], v[1:2], v[69:70]
	s_and_not1_b32 exec_lo, exec_lo, s3
	s_cbranch_execnz .LBB81_25
; %bb.26:
	s_or_b32 exec_lo, exec_lo, s3
	v_mov_b32_e32 v7, 0
	ds_load_b128 v[7:10], v7 offset:48
	s_waitcnt lgkmcnt(0)
	v_mul_f64 v[11:12], v[1:2], v[9:10]
	v_mul_f64 v[69:70], v[3:4], v[9:10]
	s_delay_alu instid0(VALU_DEP_2) | instskip(NEXT) | instid1(VALU_DEP_2)
	v_fma_f64 v[9:10], v[3:4], v[7:8], -v[11:12]
	v_fma_f64 v[11:12], v[1:2], v[7:8], v[69:70]
	scratch_store_b128 off, v[9:12], off offset:48
.LBB81_27:
	s_or_b32 exec_lo, exec_lo, s2
	s_waitcnt_vscnt null, 0x0
	s_barrier
	buffer_gl0_inv
	scratch_load_b128 v[1:4], v50, off
	s_mov_b32 s2, exec_lo
	s_waitcnt vmcnt(0)
	ds_store_b128 v5, v[1:4]
	s_waitcnt lgkmcnt(0)
	s_barrier
	buffer_gl0_inv
	v_cmpx_gt_u32_e32 4, v49
	s_cbranch_execz .LBB81_31
; %bb.28:
	v_dual_mov_b32 v1, 0 :: v_dual_add_nc_u32 v8, 0x120, v67
	v_dual_mov_b32 v2, 0 :: v_dual_add_nc_u32 v7, -1, v49
	v_or_b32_e32 v9, 8, v68
	s_mov_b32 s3, 0
	s_delay_alu instid0(VALU_DEP_2)
	v_dual_mov_b32 v4, v2 :: v_dual_mov_b32 v3, v1
	.p2align	6
.LBB81_29:                              ; =>This Inner Loop Header: Depth=1
	scratch_load_b128 v[69:72], v9, off offset:-8
	ds_load_b128 v[73:76], v8
	v_add_nc_u32_e32 v7, 1, v7
	v_add_nc_u32_e32 v8, 16, v8
	;; [unrolled: 1-line block ×3, first 2 shown]
	s_delay_alu instid0(VALU_DEP_3) | instskip(SKIP_4) | instid1(VALU_DEP_2)
	v_cmp_lt_u32_e32 vcc_lo, 2, v7
	s_or_b32 s3, vcc_lo, s3
	s_waitcnt vmcnt(0) lgkmcnt(0)
	v_mul_f64 v[10:11], v[75:76], v[71:72]
	v_mul_f64 v[71:72], v[73:74], v[71:72]
	v_fma_f64 v[10:11], v[73:74], v[69:70], -v[10:11]
	s_delay_alu instid0(VALU_DEP_2) | instskip(NEXT) | instid1(VALU_DEP_2)
	v_fma_f64 v[69:70], v[75:76], v[69:70], v[71:72]
	v_add_f64 v[3:4], v[3:4], v[10:11]
	s_delay_alu instid0(VALU_DEP_2)
	v_add_f64 v[1:2], v[1:2], v[69:70]
	s_and_not1_b32 exec_lo, exec_lo, s3
	s_cbranch_execnz .LBB81_29
; %bb.30:
	s_or_b32 exec_lo, exec_lo, s3
	v_mov_b32_e32 v7, 0
	ds_load_b128 v[7:10], v7 offset:64
	s_waitcnt lgkmcnt(0)
	v_mul_f64 v[11:12], v[1:2], v[9:10]
	v_mul_f64 v[69:70], v[3:4], v[9:10]
	s_delay_alu instid0(VALU_DEP_2) | instskip(NEXT) | instid1(VALU_DEP_2)
	v_fma_f64 v[9:10], v[3:4], v[7:8], -v[11:12]
	v_fma_f64 v[11:12], v[1:2], v[7:8], v[69:70]
	scratch_store_b128 off, v[9:12], off offset:64
.LBB81_31:
	s_or_b32 exec_lo, exec_lo, s2
	s_waitcnt_vscnt null, 0x0
	s_barrier
	buffer_gl0_inv
	scratch_load_b128 v[1:4], v52, off
	s_mov_b32 s2, exec_lo
	s_waitcnt vmcnt(0)
	ds_store_b128 v5, v[1:4]
	s_waitcnt lgkmcnt(0)
	s_barrier
	buffer_gl0_inv
	v_cmpx_gt_u32_e32 5, v49
	s_cbranch_execz .LBB81_35
; %bb.32:
	v_dual_mov_b32 v1, 0 :: v_dual_add_nc_u32 v8, 0x120, v67
	v_dual_mov_b32 v2, 0 :: v_dual_add_nc_u32 v7, -1, v49
	v_or_b32_e32 v9, 8, v68
	s_mov_b32 s3, 0
	s_delay_alu instid0(VALU_DEP_2)
	v_dual_mov_b32 v4, v2 :: v_dual_mov_b32 v3, v1
	.p2align	6
.LBB81_33:                              ; =>This Inner Loop Header: Depth=1
	scratch_load_b128 v[69:72], v9, off offset:-8
	ds_load_b128 v[73:76], v8
	v_add_nc_u32_e32 v7, 1, v7
	v_add_nc_u32_e32 v8, 16, v8
	;; [unrolled: 1-line block ×3, first 2 shown]
	s_delay_alu instid0(VALU_DEP_3) | instskip(SKIP_4) | instid1(VALU_DEP_2)
	v_cmp_lt_u32_e32 vcc_lo, 3, v7
	s_or_b32 s3, vcc_lo, s3
	s_waitcnt vmcnt(0) lgkmcnt(0)
	v_mul_f64 v[10:11], v[75:76], v[71:72]
	v_mul_f64 v[71:72], v[73:74], v[71:72]
	v_fma_f64 v[10:11], v[73:74], v[69:70], -v[10:11]
	s_delay_alu instid0(VALU_DEP_2) | instskip(NEXT) | instid1(VALU_DEP_2)
	v_fma_f64 v[69:70], v[75:76], v[69:70], v[71:72]
	v_add_f64 v[3:4], v[3:4], v[10:11]
	s_delay_alu instid0(VALU_DEP_2)
	v_add_f64 v[1:2], v[1:2], v[69:70]
	s_and_not1_b32 exec_lo, exec_lo, s3
	s_cbranch_execnz .LBB81_33
; %bb.34:
	s_or_b32 exec_lo, exec_lo, s3
	v_mov_b32_e32 v7, 0
	ds_load_b128 v[7:10], v7 offset:80
	s_waitcnt lgkmcnt(0)
	v_mul_f64 v[11:12], v[1:2], v[9:10]
	v_mul_f64 v[69:70], v[3:4], v[9:10]
	s_delay_alu instid0(VALU_DEP_2) | instskip(NEXT) | instid1(VALU_DEP_2)
	v_fma_f64 v[9:10], v[3:4], v[7:8], -v[11:12]
	v_fma_f64 v[11:12], v[1:2], v[7:8], v[69:70]
	scratch_store_b128 off, v[9:12], off offset:80
.LBB81_35:
	s_or_b32 exec_lo, exec_lo, s2
	s_waitcnt_vscnt null, 0x0
	s_barrier
	buffer_gl0_inv
	scratch_load_b128 v[1:4], v56, off
	s_mov_b32 s2, exec_lo
	s_waitcnt vmcnt(0)
	ds_store_b128 v5, v[1:4]
	s_waitcnt lgkmcnt(0)
	s_barrier
	buffer_gl0_inv
	v_cmpx_gt_u32_e32 6, v49
	s_cbranch_execz .LBB81_39
; %bb.36:
	v_dual_mov_b32 v1, 0 :: v_dual_add_nc_u32 v8, 0x120, v67
	v_dual_mov_b32 v2, 0 :: v_dual_add_nc_u32 v7, -1, v49
	v_or_b32_e32 v9, 8, v68
	s_mov_b32 s3, 0
	s_delay_alu instid0(VALU_DEP_2)
	v_dual_mov_b32 v4, v2 :: v_dual_mov_b32 v3, v1
	.p2align	6
.LBB81_37:                              ; =>This Inner Loop Header: Depth=1
	scratch_load_b128 v[69:72], v9, off offset:-8
	ds_load_b128 v[73:76], v8
	v_add_nc_u32_e32 v7, 1, v7
	v_add_nc_u32_e32 v8, 16, v8
	;; [unrolled: 1-line block ×3, first 2 shown]
	s_delay_alu instid0(VALU_DEP_3) | instskip(SKIP_4) | instid1(VALU_DEP_2)
	v_cmp_lt_u32_e32 vcc_lo, 4, v7
	s_or_b32 s3, vcc_lo, s3
	s_waitcnt vmcnt(0) lgkmcnt(0)
	v_mul_f64 v[10:11], v[75:76], v[71:72]
	v_mul_f64 v[71:72], v[73:74], v[71:72]
	v_fma_f64 v[10:11], v[73:74], v[69:70], -v[10:11]
	s_delay_alu instid0(VALU_DEP_2) | instskip(NEXT) | instid1(VALU_DEP_2)
	v_fma_f64 v[69:70], v[75:76], v[69:70], v[71:72]
	v_add_f64 v[3:4], v[3:4], v[10:11]
	s_delay_alu instid0(VALU_DEP_2)
	v_add_f64 v[1:2], v[1:2], v[69:70]
	s_and_not1_b32 exec_lo, exec_lo, s3
	s_cbranch_execnz .LBB81_37
; %bb.38:
	s_or_b32 exec_lo, exec_lo, s3
	v_mov_b32_e32 v7, 0
	ds_load_b128 v[7:10], v7 offset:96
	s_waitcnt lgkmcnt(0)
	v_mul_f64 v[11:12], v[1:2], v[9:10]
	v_mul_f64 v[69:70], v[3:4], v[9:10]
	s_delay_alu instid0(VALU_DEP_2) | instskip(NEXT) | instid1(VALU_DEP_2)
	v_fma_f64 v[9:10], v[3:4], v[7:8], -v[11:12]
	v_fma_f64 v[11:12], v[1:2], v[7:8], v[69:70]
	scratch_store_b128 off, v[9:12], off offset:96
.LBB81_39:
	s_or_b32 exec_lo, exec_lo, s2
	s_waitcnt_vscnt null, 0x0
	s_barrier
	buffer_gl0_inv
	scratch_load_b128 v[1:4], v55, off
	s_mov_b32 s2, exec_lo
	s_waitcnt vmcnt(0)
	ds_store_b128 v5, v[1:4]
	s_waitcnt lgkmcnt(0)
	s_barrier
	buffer_gl0_inv
	v_cmpx_gt_u32_e32 7, v49
	s_cbranch_execz .LBB81_43
; %bb.40:
	v_dual_mov_b32 v1, 0 :: v_dual_add_nc_u32 v8, 0x120, v67
	v_dual_mov_b32 v2, 0 :: v_dual_add_nc_u32 v7, -1, v49
	v_or_b32_e32 v9, 8, v68
	s_mov_b32 s3, 0
	s_delay_alu instid0(VALU_DEP_2)
	v_dual_mov_b32 v4, v2 :: v_dual_mov_b32 v3, v1
	.p2align	6
.LBB81_41:                              ; =>This Inner Loop Header: Depth=1
	scratch_load_b128 v[69:72], v9, off offset:-8
	ds_load_b128 v[73:76], v8
	v_add_nc_u32_e32 v7, 1, v7
	v_add_nc_u32_e32 v8, 16, v8
	;; [unrolled: 1-line block ×3, first 2 shown]
	s_delay_alu instid0(VALU_DEP_3) | instskip(SKIP_4) | instid1(VALU_DEP_2)
	v_cmp_lt_u32_e32 vcc_lo, 5, v7
	s_or_b32 s3, vcc_lo, s3
	s_waitcnt vmcnt(0) lgkmcnt(0)
	v_mul_f64 v[10:11], v[75:76], v[71:72]
	v_mul_f64 v[71:72], v[73:74], v[71:72]
	v_fma_f64 v[10:11], v[73:74], v[69:70], -v[10:11]
	s_delay_alu instid0(VALU_DEP_2) | instskip(NEXT) | instid1(VALU_DEP_2)
	v_fma_f64 v[69:70], v[75:76], v[69:70], v[71:72]
	v_add_f64 v[3:4], v[3:4], v[10:11]
	s_delay_alu instid0(VALU_DEP_2)
	v_add_f64 v[1:2], v[1:2], v[69:70]
	s_and_not1_b32 exec_lo, exec_lo, s3
	s_cbranch_execnz .LBB81_41
; %bb.42:
	s_or_b32 exec_lo, exec_lo, s3
	v_mov_b32_e32 v7, 0
	ds_load_b128 v[7:10], v7 offset:112
	s_waitcnt lgkmcnt(0)
	v_mul_f64 v[11:12], v[1:2], v[9:10]
	v_mul_f64 v[69:70], v[3:4], v[9:10]
	s_delay_alu instid0(VALU_DEP_2) | instskip(NEXT) | instid1(VALU_DEP_2)
	v_fma_f64 v[9:10], v[3:4], v[7:8], -v[11:12]
	v_fma_f64 v[11:12], v[1:2], v[7:8], v[69:70]
	scratch_store_b128 off, v[9:12], off offset:112
.LBB81_43:
	s_or_b32 exec_lo, exec_lo, s2
	s_waitcnt_vscnt null, 0x0
	s_barrier
	buffer_gl0_inv
	scratch_load_b128 v[1:4], v58, off
	s_mov_b32 s2, exec_lo
	s_waitcnt vmcnt(0)
	ds_store_b128 v5, v[1:4]
	s_waitcnt lgkmcnt(0)
	s_barrier
	buffer_gl0_inv
	v_cmpx_gt_u32_e32 8, v49
	s_cbranch_execz .LBB81_47
; %bb.44:
	v_dual_mov_b32 v1, 0 :: v_dual_add_nc_u32 v8, 0x120, v67
	v_dual_mov_b32 v2, 0 :: v_dual_add_nc_u32 v7, -1, v49
	v_or_b32_e32 v9, 8, v68
	s_mov_b32 s3, 0
	s_delay_alu instid0(VALU_DEP_2)
	v_dual_mov_b32 v4, v2 :: v_dual_mov_b32 v3, v1
	.p2align	6
.LBB81_45:                              ; =>This Inner Loop Header: Depth=1
	scratch_load_b128 v[69:72], v9, off offset:-8
	ds_load_b128 v[73:76], v8
	v_add_nc_u32_e32 v7, 1, v7
	v_add_nc_u32_e32 v8, 16, v8
	;; [unrolled: 1-line block ×3, first 2 shown]
	s_delay_alu instid0(VALU_DEP_3) | instskip(SKIP_4) | instid1(VALU_DEP_2)
	v_cmp_lt_u32_e32 vcc_lo, 6, v7
	s_or_b32 s3, vcc_lo, s3
	s_waitcnt vmcnt(0) lgkmcnt(0)
	v_mul_f64 v[10:11], v[75:76], v[71:72]
	v_mul_f64 v[71:72], v[73:74], v[71:72]
	v_fma_f64 v[10:11], v[73:74], v[69:70], -v[10:11]
	s_delay_alu instid0(VALU_DEP_2) | instskip(NEXT) | instid1(VALU_DEP_2)
	v_fma_f64 v[69:70], v[75:76], v[69:70], v[71:72]
	v_add_f64 v[3:4], v[3:4], v[10:11]
	s_delay_alu instid0(VALU_DEP_2)
	v_add_f64 v[1:2], v[1:2], v[69:70]
	s_and_not1_b32 exec_lo, exec_lo, s3
	s_cbranch_execnz .LBB81_45
; %bb.46:
	s_or_b32 exec_lo, exec_lo, s3
	v_mov_b32_e32 v7, 0
	ds_load_b128 v[7:10], v7 offset:128
	s_waitcnt lgkmcnt(0)
	v_mul_f64 v[11:12], v[1:2], v[9:10]
	v_mul_f64 v[69:70], v[3:4], v[9:10]
	s_delay_alu instid0(VALU_DEP_2) | instskip(NEXT) | instid1(VALU_DEP_2)
	v_fma_f64 v[9:10], v[3:4], v[7:8], -v[11:12]
	v_fma_f64 v[11:12], v[1:2], v[7:8], v[69:70]
	scratch_store_b128 off, v[9:12], off offset:128
.LBB81_47:
	s_or_b32 exec_lo, exec_lo, s2
	s_waitcnt_vscnt null, 0x0
	s_barrier
	buffer_gl0_inv
	scratch_load_b128 v[1:4], v57, off
	s_mov_b32 s2, exec_lo
	s_waitcnt vmcnt(0)
	ds_store_b128 v5, v[1:4]
	s_waitcnt lgkmcnt(0)
	s_barrier
	buffer_gl0_inv
	v_cmpx_gt_u32_e32 9, v49
	s_cbranch_execz .LBB81_51
; %bb.48:
	v_dual_mov_b32 v1, 0 :: v_dual_add_nc_u32 v8, 0x120, v67
	v_dual_mov_b32 v2, 0 :: v_dual_add_nc_u32 v7, -1, v49
	v_or_b32_e32 v9, 8, v68
	s_mov_b32 s3, 0
	s_delay_alu instid0(VALU_DEP_2)
	v_dual_mov_b32 v4, v2 :: v_dual_mov_b32 v3, v1
	.p2align	6
.LBB81_49:                              ; =>This Inner Loop Header: Depth=1
	scratch_load_b128 v[69:72], v9, off offset:-8
	ds_load_b128 v[73:76], v8
	v_add_nc_u32_e32 v7, 1, v7
	v_add_nc_u32_e32 v8, 16, v8
	;; [unrolled: 1-line block ×3, first 2 shown]
	s_delay_alu instid0(VALU_DEP_3) | instskip(SKIP_4) | instid1(VALU_DEP_2)
	v_cmp_lt_u32_e32 vcc_lo, 7, v7
	s_or_b32 s3, vcc_lo, s3
	s_waitcnt vmcnt(0) lgkmcnt(0)
	v_mul_f64 v[10:11], v[75:76], v[71:72]
	v_mul_f64 v[71:72], v[73:74], v[71:72]
	v_fma_f64 v[10:11], v[73:74], v[69:70], -v[10:11]
	s_delay_alu instid0(VALU_DEP_2) | instskip(NEXT) | instid1(VALU_DEP_2)
	v_fma_f64 v[69:70], v[75:76], v[69:70], v[71:72]
	v_add_f64 v[3:4], v[3:4], v[10:11]
	s_delay_alu instid0(VALU_DEP_2)
	v_add_f64 v[1:2], v[1:2], v[69:70]
	s_and_not1_b32 exec_lo, exec_lo, s3
	s_cbranch_execnz .LBB81_49
; %bb.50:
	s_or_b32 exec_lo, exec_lo, s3
	v_mov_b32_e32 v7, 0
	ds_load_b128 v[7:10], v7 offset:144
	s_waitcnt lgkmcnt(0)
	v_mul_f64 v[11:12], v[1:2], v[9:10]
	v_mul_f64 v[69:70], v[3:4], v[9:10]
	s_delay_alu instid0(VALU_DEP_2) | instskip(NEXT) | instid1(VALU_DEP_2)
	v_fma_f64 v[9:10], v[3:4], v[7:8], -v[11:12]
	v_fma_f64 v[11:12], v[1:2], v[7:8], v[69:70]
	scratch_store_b128 off, v[9:12], off offset:144
.LBB81_51:
	s_or_b32 exec_lo, exec_lo, s2
	s_waitcnt_vscnt null, 0x0
	s_barrier
	buffer_gl0_inv
	scratch_load_b128 v[1:4], v60, off
	s_mov_b32 s2, exec_lo
	s_waitcnt vmcnt(0)
	ds_store_b128 v5, v[1:4]
	s_waitcnt lgkmcnt(0)
	s_barrier
	buffer_gl0_inv
	v_cmpx_gt_u32_e32 10, v49
	s_cbranch_execz .LBB81_55
; %bb.52:
	v_dual_mov_b32 v1, 0 :: v_dual_add_nc_u32 v8, 0x120, v67
	v_dual_mov_b32 v2, 0 :: v_dual_add_nc_u32 v7, -1, v49
	v_or_b32_e32 v9, 8, v68
	s_mov_b32 s3, 0
	s_delay_alu instid0(VALU_DEP_2)
	v_dual_mov_b32 v4, v2 :: v_dual_mov_b32 v3, v1
	.p2align	6
.LBB81_53:                              ; =>This Inner Loop Header: Depth=1
	scratch_load_b128 v[69:72], v9, off offset:-8
	ds_load_b128 v[73:76], v8
	v_add_nc_u32_e32 v7, 1, v7
	v_add_nc_u32_e32 v8, 16, v8
	;; [unrolled: 1-line block ×3, first 2 shown]
	s_delay_alu instid0(VALU_DEP_3) | instskip(SKIP_4) | instid1(VALU_DEP_2)
	v_cmp_lt_u32_e32 vcc_lo, 8, v7
	s_or_b32 s3, vcc_lo, s3
	s_waitcnt vmcnt(0) lgkmcnt(0)
	v_mul_f64 v[10:11], v[75:76], v[71:72]
	v_mul_f64 v[71:72], v[73:74], v[71:72]
	v_fma_f64 v[10:11], v[73:74], v[69:70], -v[10:11]
	s_delay_alu instid0(VALU_DEP_2) | instskip(NEXT) | instid1(VALU_DEP_2)
	v_fma_f64 v[69:70], v[75:76], v[69:70], v[71:72]
	v_add_f64 v[3:4], v[3:4], v[10:11]
	s_delay_alu instid0(VALU_DEP_2)
	v_add_f64 v[1:2], v[1:2], v[69:70]
	s_and_not1_b32 exec_lo, exec_lo, s3
	s_cbranch_execnz .LBB81_53
; %bb.54:
	s_or_b32 exec_lo, exec_lo, s3
	v_mov_b32_e32 v7, 0
	ds_load_b128 v[7:10], v7 offset:160
	s_waitcnt lgkmcnt(0)
	v_mul_f64 v[11:12], v[1:2], v[9:10]
	v_mul_f64 v[69:70], v[3:4], v[9:10]
	s_delay_alu instid0(VALU_DEP_2) | instskip(NEXT) | instid1(VALU_DEP_2)
	v_fma_f64 v[9:10], v[3:4], v[7:8], -v[11:12]
	v_fma_f64 v[11:12], v[1:2], v[7:8], v[69:70]
	scratch_store_b128 off, v[9:12], off offset:160
.LBB81_55:
	s_or_b32 exec_lo, exec_lo, s2
	s_waitcnt_vscnt null, 0x0
	s_barrier
	buffer_gl0_inv
	scratch_load_b128 v[1:4], v59, off
	s_mov_b32 s2, exec_lo
	s_waitcnt vmcnt(0)
	ds_store_b128 v5, v[1:4]
	s_waitcnt lgkmcnt(0)
	s_barrier
	buffer_gl0_inv
	v_cmpx_gt_u32_e32 11, v49
	s_cbranch_execz .LBB81_59
; %bb.56:
	v_dual_mov_b32 v1, 0 :: v_dual_add_nc_u32 v8, 0x120, v67
	v_dual_mov_b32 v2, 0 :: v_dual_add_nc_u32 v7, -1, v49
	v_or_b32_e32 v9, 8, v68
	s_mov_b32 s3, 0
	s_delay_alu instid0(VALU_DEP_2)
	v_dual_mov_b32 v4, v2 :: v_dual_mov_b32 v3, v1
	.p2align	6
.LBB81_57:                              ; =>This Inner Loop Header: Depth=1
	scratch_load_b128 v[69:72], v9, off offset:-8
	ds_load_b128 v[73:76], v8
	v_add_nc_u32_e32 v7, 1, v7
	v_add_nc_u32_e32 v8, 16, v8
	v_add_nc_u32_e32 v9, 16, v9
	s_delay_alu instid0(VALU_DEP_3) | instskip(SKIP_4) | instid1(VALU_DEP_2)
	v_cmp_lt_u32_e32 vcc_lo, 9, v7
	s_or_b32 s3, vcc_lo, s3
	s_waitcnt vmcnt(0) lgkmcnt(0)
	v_mul_f64 v[10:11], v[75:76], v[71:72]
	v_mul_f64 v[71:72], v[73:74], v[71:72]
	v_fma_f64 v[10:11], v[73:74], v[69:70], -v[10:11]
	s_delay_alu instid0(VALU_DEP_2) | instskip(NEXT) | instid1(VALU_DEP_2)
	v_fma_f64 v[69:70], v[75:76], v[69:70], v[71:72]
	v_add_f64 v[3:4], v[3:4], v[10:11]
	s_delay_alu instid0(VALU_DEP_2)
	v_add_f64 v[1:2], v[1:2], v[69:70]
	s_and_not1_b32 exec_lo, exec_lo, s3
	s_cbranch_execnz .LBB81_57
; %bb.58:
	s_or_b32 exec_lo, exec_lo, s3
	v_mov_b32_e32 v7, 0
	ds_load_b128 v[7:10], v7 offset:176
	s_waitcnt lgkmcnt(0)
	v_mul_f64 v[11:12], v[1:2], v[9:10]
	v_mul_f64 v[69:70], v[3:4], v[9:10]
	s_delay_alu instid0(VALU_DEP_2) | instskip(NEXT) | instid1(VALU_DEP_2)
	v_fma_f64 v[9:10], v[3:4], v[7:8], -v[11:12]
	v_fma_f64 v[11:12], v[1:2], v[7:8], v[69:70]
	scratch_store_b128 off, v[9:12], off offset:176
.LBB81_59:
	s_or_b32 exec_lo, exec_lo, s2
	s_waitcnt_vscnt null, 0x0
	s_barrier
	buffer_gl0_inv
	scratch_load_b128 v[1:4], v62, off
	s_mov_b32 s2, exec_lo
	s_waitcnt vmcnt(0)
	ds_store_b128 v5, v[1:4]
	s_waitcnt lgkmcnt(0)
	s_barrier
	buffer_gl0_inv
	v_cmpx_gt_u32_e32 12, v49
	s_cbranch_execz .LBB81_63
; %bb.60:
	v_dual_mov_b32 v1, 0 :: v_dual_add_nc_u32 v8, 0x120, v67
	v_dual_mov_b32 v2, 0 :: v_dual_add_nc_u32 v7, -1, v49
	v_or_b32_e32 v9, 8, v68
	s_mov_b32 s3, 0
	s_delay_alu instid0(VALU_DEP_2)
	v_dual_mov_b32 v4, v2 :: v_dual_mov_b32 v3, v1
	.p2align	6
.LBB81_61:                              ; =>This Inner Loop Header: Depth=1
	scratch_load_b128 v[69:72], v9, off offset:-8
	ds_load_b128 v[73:76], v8
	v_add_nc_u32_e32 v7, 1, v7
	v_add_nc_u32_e32 v8, 16, v8
	;; [unrolled: 1-line block ×3, first 2 shown]
	s_delay_alu instid0(VALU_DEP_3) | instskip(SKIP_4) | instid1(VALU_DEP_2)
	v_cmp_lt_u32_e32 vcc_lo, 10, v7
	s_or_b32 s3, vcc_lo, s3
	s_waitcnt vmcnt(0) lgkmcnt(0)
	v_mul_f64 v[10:11], v[75:76], v[71:72]
	v_mul_f64 v[71:72], v[73:74], v[71:72]
	v_fma_f64 v[10:11], v[73:74], v[69:70], -v[10:11]
	s_delay_alu instid0(VALU_DEP_2) | instskip(NEXT) | instid1(VALU_DEP_2)
	v_fma_f64 v[69:70], v[75:76], v[69:70], v[71:72]
	v_add_f64 v[3:4], v[3:4], v[10:11]
	s_delay_alu instid0(VALU_DEP_2)
	v_add_f64 v[1:2], v[1:2], v[69:70]
	s_and_not1_b32 exec_lo, exec_lo, s3
	s_cbranch_execnz .LBB81_61
; %bb.62:
	s_or_b32 exec_lo, exec_lo, s3
	v_mov_b32_e32 v7, 0
	ds_load_b128 v[7:10], v7 offset:192
	s_waitcnt lgkmcnt(0)
	v_mul_f64 v[11:12], v[1:2], v[9:10]
	v_mul_f64 v[69:70], v[3:4], v[9:10]
	s_delay_alu instid0(VALU_DEP_2) | instskip(NEXT) | instid1(VALU_DEP_2)
	v_fma_f64 v[9:10], v[3:4], v[7:8], -v[11:12]
	v_fma_f64 v[11:12], v[1:2], v[7:8], v[69:70]
	scratch_store_b128 off, v[9:12], off offset:192
.LBB81_63:
	s_or_b32 exec_lo, exec_lo, s2
	s_waitcnt_vscnt null, 0x0
	s_barrier
	buffer_gl0_inv
	scratch_load_b128 v[1:4], v61, off
	s_mov_b32 s2, exec_lo
	s_waitcnt vmcnt(0)
	ds_store_b128 v5, v[1:4]
	s_waitcnt lgkmcnt(0)
	s_barrier
	buffer_gl0_inv
	v_cmpx_gt_u32_e32 13, v49
	s_cbranch_execz .LBB81_67
; %bb.64:
	v_dual_mov_b32 v1, 0 :: v_dual_add_nc_u32 v8, 0x120, v67
	v_dual_mov_b32 v2, 0 :: v_dual_add_nc_u32 v7, -1, v49
	v_or_b32_e32 v9, 8, v68
	s_mov_b32 s3, 0
	s_delay_alu instid0(VALU_DEP_2)
	v_dual_mov_b32 v4, v2 :: v_dual_mov_b32 v3, v1
	.p2align	6
.LBB81_65:                              ; =>This Inner Loop Header: Depth=1
	scratch_load_b128 v[69:72], v9, off offset:-8
	ds_load_b128 v[73:76], v8
	v_add_nc_u32_e32 v7, 1, v7
	v_add_nc_u32_e32 v8, 16, v8
	;; [unrolled: 1-line block ×3, first 2 shown]
	s_delay_alu instid0(VALU_DEP_3) | instskip(SKIP_4) | instid1(VALU_DEP_2)
	v_cmp_lt_u32_e32 vcc_lo, 11, v7
	s_or_b32 s3, vcc_lo, s3
	s_waitcnt vmcnt(0) lgkmcnt(0)
	v_mul_f64 v[10:11], v[75:76], v[71:72]
	v_mul_f64 v[71:72], v[73:74], v[71:72]
	v_fma_f64 v[10:11], v[73:74], v[69:70], -v[10:11]
	s_delay_alu instid0(VALU_DEP_2) | instskip(NEXT) | instid1(VALU_DEP_2)
	v_fma_f64 v[69:70], v[75:76], v[69:70], v[71:72]
	v_add_f64 v[3:4], v[3:4], v[10:11]
	s_delay_alu instid0(VALU_DEP_2)
	v_add_f64 v[1:2], v[1:2], v[69:70]
	s_and_not1_b32 exec_lo, exec_lo, s3
	s_cbranch_execnz .LBB81_65
; %bb.66:
	s_or_b32 exec_lo, exec_lo, s3
	v_mov_b32_e32 v7, 0
	ds_load_b128 v[7:10], v7 offset:208
	s_waitcnt lgkmcnt(0)
	v_mul_f64 v[11:12], v[1:2], v[9:10]
	v_mul_f64 v[69:70], v[3:4], v[9:10]
	s_delay_alu instid0(VALU_DEP_2) | instskip(NEXT) | instid1(VALU_DEP_2)
	v_fma_f64 v[9:10], v[3:4], v[7:8], -v[11:12]
	v_fma_f64 v[11:12], v[1:2], v[7:8], v[69:70]
	scratch_store_b128 off, v[9:12], off offset:208
.LBB81_67:
	s_or_b32 exec_lo, exec_lo, s2
	s_waitcnt_vscnt null, 0x0
	s_barrier
	buffer_gl0_inv
	scratch_load_b128 v[1:4], v64, off
	s_mov_b32 s2, exec_lo
	s_waitcnt vmcnt(0)
	ds_store_b128 v5, v[1:4]
	s_waitcnt lgkmcnt(0)
	s_barrier
	buffer_gl0_inv
	v_cmpx_gt_u32_e32 14, v49
	s_cbranch_execz .LBB81_71
; %bb.68:
	v_dual_mov_b32 v1, 0 :: v_dual_add_nc_u32 v8, 0x120, v67
	v_dual_mov_b32 v2, 0 :: v_dual_add_nc_u32 v7, -1, v49
	v_or_b32_e32 v9, 8, v68
	s_mov_b32 s3, 0
	s_delay_alu instid0(VALU_DEP_2)
	v_dual_mov_b32 v4, v2 :: v_dual_mov_b32 v3, v1
	.p2align	6
.LBB81_69:                              ; =>This Inner Loop Header: Depth=1
	scratch_load_b128 v[69:72], v9, off offset:-8
	ds_load_b128 v[73:76], v8
	v_add_nc_u32_e32 v7, 1, v7
	v_add_nc_u32_e32 v8, 16, v8
	;; [unrolled: 1-line block ×3, first 2 shown]
	s_delay_alu instid0(VALU_DEP_3) | instskip(SKIP_4) | instid1(VALU_DEP_2)
	v_cmp_lt_u32_e32 vcc_lo, 12, v7
	s_or_b32 s3, vcc_lo, s3
	s_waitcnt vmcnt(0) lgkmcnt(0)
	v_mul_f64 v[10:11], v[75:76], v[71:72]
	v_mul_f64 v[71:72], v[73:74], v[71:72]
	v_fma_f64 v[10:11], v[73:74], v[69:70], -v[10:11]
	s_delay_alu instid0(VALU_DEP_2) | instskip(NEXT) | instid1(VALU_DEP_2)
	v_fma_f64 v[69:70], v[75:76], v[69:70], v[71:72]
	v_add_f64 v[3:4], v[3:4], v[10:11]
	s_delay_alu instid0(VALU_DEP_2)
	v_add_f64 v[1:2], v[1:2], v[69:70]
	s_and_not1_b32 exec_lo, exec_lo, s3
	s_cbranch_execnz .LBB81_69
; %bb.70:
	s_or_b32 exec_lo, exec_lo, s3
	v_mov_b32_e32 v7, 0
	ds_load_b128 v[7:10], v7 offset:224
	s_waitcnt lgkmcnt(0)
	v_mul_f64 v[11:12], v[1:2], v[9:10]
	v_mul_f64 v[69:70], v[3:4], v[9:10]
	s_delay_alu instid0(VALU_DEP_2) | instskip(NEXT) | instid1(VALU_DEP_2)
	v_fma_f64 v[9:10], v[3:4], v[7:8], -v[11:12]
	v_fma_f64 v[11:12], v[1:2], v[7:8], v[69:70]
	scratch_store_b128 off, v[9:12], off offset:224
.LBB81_71:
	s_or_b32 exec_lo, exec_lo, s2
	s_waitcnt_vscnt null, 0x0
	s_barrier
	buffer_gl0_inv
	scratch_load_b128 v[1:4], v63, off
	s_mov_b32 s2, exec_lo
	s_waitcnt vmcnt(0)
	ds_store_b128 v5, v[1:4]
	s_waitcnt lgkmcnt(0)
	s_barrier
	buffer_gl0_inv
	v_cmpx_gt_u32_e32 15, v49
	s_cbranch_execz .LBB81_75
; %bb.72:
	v_dual_mov_b32 v1, 0 :: v_dual_add_nc_u32 v8, 0x120, v67
	v_dual_mov_b32 v2, 0 :: v_dual_add_nc_u32 v7, -1, v49
	v_or_b32_e32 v9, 8, v68
	s_mov_b32 s3, 0
	s_delay_alu instid0(VALU_DEP_2)
	v_dual_mov_b32 v4, v2 :: v_dual_mov_b32 v3, v1
	.p2align	6
.LBB81_73:                              ; =>This Inner Loop Header: Depth=1
	scratch_load_b128 v[69:72], v9, off offset:-8
	ds_load_b128 v[73:76], v8
	v_add_nc_u32_e32 v7, 1, v7
	v_add_nc_u32_e32 v8, 16, v8
	;; [unrolled: 1-line block ×3, first 2 shown]
	s_delay_alu instid0(VALU_DEP_3) | instskip(SKIP_4) | instid1(VALU_DEP_2)
	v_cmp_lt_u32_e32 vcc_lo, 13, v7
	s_or_b32 s3, vcc_lo, s3
	s_waitcnt vmcnt(0) lgkmcnt(0)
	v_mul_f64 v[10:11], v[75:76], v[71:72]
	v_mul_f64 v[71:72], v[73:74], v[71:72]
	v_fma_f64 v[10:11], v[73:74], v[69:70], -v[10:11]
	s_delay_alu instid0(VALU_DEP_2) | instskip(NEXT) | instid1(VALU_DEP_2)
	v_fma_f64 v[69:70], v[75:76], v[69:70], v[71:72]
	v_add_f64 v[3:4], v[3:4], v[10:11]
	s_delay_alu instid0(VALU_DEP_2)
	v_add_f64 v[1:2], v[1:2], v[69:70]
	s_and_not1_b32 exec_lo, exec_lo, s3
	s_cbranch_execnz .LBB81_73
; %bb.74:
	s_or_b32 exec_lo, exec_lo, s3
	v_mov_b32_e32 v7, 0
	ds_load_b128 v[7:10], v7 offset:240
	s_waitcnt lgkmcnt(0)
	v_mul_f64 v[11:12], v[1:2], v[9:10]
	v_mul_f64 v[69:70], v[3:4], v[9:10]
	s_delay_alu instid0(VALU_DEP_2) | instskip(NEXT) | instid1(VALU_DEP_2)
	v_fma_f64 v[9:10], v[3:4], v[7:8], -v[11:12]
	v_fma_f64 v[11:12], v[1:2], v[7:8], v[69:70]
	scratch_store_b128 off, v[9:12], off offset:240
.LBB81_75:
	s_or_b32 exec_lo, exec_lo, s2
	s_waitcnt_vscnt null, 0x0
	s_barrier
	buffer_gl0_inv
	scratch_load_b128 v[1:4], v66, off
	s_mov_b32 s2, exec_lo
	s_waitcnt vmcnt(0)
	ds_store_b128 v5, v[1:4]
	s_waitcnt lgkmcnt(0)
	s_barrier
	buffer_gl0_inv
	v_cmpx_gt_u32_e32 16, v49
	s_cbranch_execz .LBB81_79
; %bb.76:
	v_dual_mov_b32 v1, 0 :: v_dual_add_nc_u32 v8, 0x120, v67
	v_dual_mov_b32 v2, 0 :: v_dual_add_nc_u32 v7, -1, v49
	v_or_b32_e32 v9, 8, v68
	s_mov_b32 s3, 0
	s_delay_alu instid0(VALU_DEP_2)
	v_dual_mov_b32 v4, v2 :: v_dual_mov_b32 v3, v1
	.p2align	6
.LBB81_77:                              ; =>This Inner Loop Header: Depth=1
	scratch_load_b128 v[69:72], v9, off offset:-8
	ds_load_b128 v[73:76], v8
	v_add_nc_u32_e32 v7, 1, v7
	v_add_nc_u32_e32 v8, 16, v8
	;; [unrolled: 1-line block ×3, first 2 shown]
	s_delay_alu instid0(VALU_DEP_3) | instskip(SKIP_4) | instid1(VALU_DEP_2)
	v_cmp_lt_u32_e32 vcc_lo, 14, v7
	s_or_b32 s3, vcc_lo, s3
	s_waitcnt vmcnt(0) lgkmcnt(0)
	v_mul_f64 v[10:11], v[75:76], v[71:72]
	v_mul_f64 v[71:72], v[73:74], v[71:72]
	v_fma_f64 v[10:11], v[73:74], v[69:70], -v[10:11]
	s_delay_alu instid0(VALU_DEP_2) | instskip(NEXT) | instid1(VALU_DEP_2)
	v_fma_f64 v[69:70], v[75:76], v[69:70], v[71:72]
	v_add_f64 v[3:4], v[3:4], v[10:11]
	s_delay_alu instid0(VALU_DEP_2)
	v_add_f64 v[1:2], v[1:2], v[69:70]
	s_and_not1_b32 exec_lo, exec_lo, s3
	s_cbranch_execnz .LBB81_77
; %bb.78:
	s_or_b32 exec_lo, exec_lo, s3
	v_mov_b32_e32 v7, 0
	ds_load_b128 v[7:10], v7 offset:256
	s_waitcnt lgkmcnt(0)
	v_mul_f64 v[11:12], v[1:2], v[9:10]
	v_mul_f64 v[69:70], v[3:4], v[9:10]
	s_delay_alu instid0(VALU_DEP_2) | instskip(NEXT) | instid1(VALU_DEP_2)
	v_fma_f64 v[9:10], v[3:4], v[7:8], -v[11:12]
	v_fma_f64 v[11:12], v[1:2], v[7:8], v[69:70]
	scratch_store_b128 off, v[9:12], off offset:256
.LBB81_79:
	s_or_b32 exec_lo, exec_lo, s2
	s_waitcnt_vscnt null, 0x0
	s_barrier
	buffer_gl0_inv
	scratch_load_b128 v[1:4], v65, off
	s_mov_b32 s2, exec_lo
	s_waitcnt vmcnt(0)
	ds_store_b128 v5, v[1:4]
	s_waitcnt lgkmcnt(0)
	s_barrier
	buffer_gl0_inv
	v_cmpx_ne_u32_e32 17, v49
	s_cbranch_execz .LBB81_83
; %bb.80:
	v_mov_b32_e32 v1, 0
	v_mov_b32_e32 v2, 0
	v_or_b32_e32 v7, 8, v68
	s_mov_b32 s3, 0
	s_delay_alu instid0(VALU_DEP_2)
	v_dual_mov_b32 v4, v2 :: v_dual_mov_b32 v3, v1
	.p2align	6
.LBB81_81:                              ; =>This Inner Loop Header: Depth=1
	scratch_load_b128 v[8:11], v7, off offset:-8
	ds_load_b128 v[67:70], v5
	v_add_nc_u32_e32 v6, 1, v6
	v_add_nc_u32_e32 v5, 16, v5
	;; [unrolled: 1-line block ×3, first 2 shown]
	s_delay_alu instid0(VALU_DEP_3) | instskip(SKIP_4) | instid1(VALU_DEP_2)
	v_cmp_lt_u32_e32 vcc_lo, 15, v6
	s_or_b32 s3, vcc_lo, s3
	s_waitcnt vmcnt(0) lgkmcnt(0)
	v_mul_f64 v[71:72], v[69:70], v[10:11]
	v_mul_f64 v[10:11], v[67:68], v[10:11]
	v_fma_f64 v[67:68], v[67:68], v[8:9], -v[71:72]
	s_delay_alu instid0(VALU_DEP_2) | instskip(NEXT) | instid1(VALU_DEP_2)
	v_fma_f64 v[8:9], v[69:70], v[8:9], v[10:11]
	v_add_f64 v[3:4], v[3:4], v[67:68]
	s_delay_alu instid0(VALU_DEP_2)
	v_add_f64 v[1:2], v[1:2], v[8:9]
	s_and_not1_b32 exec_lo, exec_lo, s3
	s_cbranch_execnz .LBB81_81
; %bb.82:
	s_or_b32 exec_lo, exec_lo, s3
	v_mov_b32_e32 v5, 0
	ds_load_b128 v[5:8], v5 offset:272
	s_waitcnt lgkmcnt(0)
	v_mul_f64 v[9:10], v[1:2], v[7:8]
	v_mul_f64 v[7:8], v[3:4], v[7:8]
	s_delay_alu instid0(VALU_DEP_2) | instskip(NEXT) | instid1(VALU_DEP_2)
	v_fma_f64 v[3:4], v[3:4], v[5:6], -v[9:10]
	v_fma_f64 v[5:6], v[1:2], v[5:6], v[7:8]
	scratch_store_b128 off, v[3:6], off offset:272
.LBB81_83:
	s_or_b32 exec_lo, exec_lo, s2
	s_mov_b32 s3, -1
	s_waitcnt_vscnt null, 0x0
	s_barrier
	buffer_gl0_inv
.LBB81_84:
	s_and_b32 vcc_lo, exec_lo, s3
	s_cbranch_vccz .LBB81_86
; %bb.85:
	s_lshl_b64 s[2:3], s[10:11], 2
	v_mov_b32_e32 v1, 0
	s_add_u32 s2, s6, s2
	s_addc_u32 s3, s7, s3
	global_load_b32 v1, v1, s[2:3]
	s_waitcnt vmcnt(0)
	v_cmp_ne_u32_e32 vcc_lo, 0, v1
	s_cbranch_vccz .LBB81_87
.LBB81_86:
	s_endpgm
.LBB81_87:
	v_lshl_add_u32 v5, v49, 4, 0x120
	s_mov_b32 s2, exec_lo
	v_cmpx_eq_u32_e32 17, v49
	s_cbranch_execz .LBB81_89
; %bb.88:
	scratch_load_b128 v[1:4], v66, off
	v_mov_b32_e32 v6, 0
	s_delay_alu instid0(VALU_DEP_1)
	v_mov_b32_e32 v7, v6
	v_mov_b32_e32 v8, v6
	;; [unrolled: 1-line block ×3, first 2 shown]
	scratch_store_b128 off, v[6:9], off offset:256
	s_waitcnt vmcnt(0)
	ds_store_b128 v5, v[1:4]
.LBB81_89:
	s_or_b32 exec_lo, exec_lo, s2
	s_waitcnt lgkmcnt(0)
	s_waitcnt_vscnt null, 0x0
	s_barrier
	buffer_gl0_inv
	s_clause 0x1
	scratch_load_b128 v[6:9], off, off offset:272
	scratch_load_b128 v[67:70], off, off offset:256
	v_mov_b32_e32 v1, 0
	s_mov_b32 s2, exec_lo
	ds_load_b128 v[71:74], v1 offset:560
	s_waitcnt vmcnt(1) lgkmcnt(0)
	v_mul_f64 v[2:3], v[73:74], v[8:9]
	v_mul_f64 v[8:9], v[71:72], v[8:9]
	s_delay_alu instid0(VALU_DEP_2) | instskip(NEXT) | instid1(VALU_DEP_2)
	v_fma_f64 v[2:3], v[71:72], v[6:7], -v[2:3]
	v_fma_f64 v[6:7], v[73:74], v[6:7], v[8:9]
	s_delay_alu instid0(VALU_DEP_2) | instskip(NEXT) | instid1(VALU_DEP_2)
	v_add_f64 v[2:3], v[2:3], 0
	v_add_f64 v[8:9], v[6:7], 0
	s_waitcnt vmcnt(0)
	s_delay_alu instid0(VALU_DEP_2) | instskip(NEXT) | instid1(VALU_DEP_2)
	v_add_f64 v[6:7], v[67:68], -v[2:3]
	v_add_f64 v[8:9], v[69:70], -v[8:9]
	scratch_store_b128 off, v[6:9], off offset:256
	v_cmpx_lt_u32_e32 15, v49
	s_cbranch_execz .LBB81_91
; %bb.90:
	scratch_load_b128 v[6:9], v63, off
	v_mov_b32_e32 v2, v1
	v_mov_b32_e32 v3, v1
	;; [unrolled: 1-line block ×3, first 2 shown]
	scratch_store_b128 off, v[1:4], off offset:240
	s_waitcnt vmcnt(0)
	ds_store_b128 v5, v[6:9]
.LBB81_91:
	s_or_b32 exec_lo, exec_lo, s2
	s_waitcnt lgkmcnt(0)
	s_waitcnt_vscnt null, 0x0
	s_barrier
	buffer_gl0_inv
	s_clause 0x2
	scratch_load_b128 v[6:9], off, off offset:256
	scratch_load_b128 v[67:70], off, off offset:272
	;; [unrolled: 1-line block ×3, first 2 shown]
	ds_load_b128 v[75:78], v1 offset:544
	ds_load_b128 v[1:4], v1 offset:560
	s_mov_b32 s2, exec_lo
	s_waitcnt vmcnt(2) lgkmcnt(1)
	v_mul_f64 v[10:11], v[77:78], v[8:9]
	v_mul_f64 v[8:9], v[75:76], v[8:9]
	s_waitcnt vmcnt(1) lgkmcnt(0)
	v_mul_f64 v[79:80], v[1:2], v[69:70]
	v_mul_f64 v[69:70], v[3:4], v[69:70]
	s_delay_alu instid0(VALU_DEP_4) | instskip(NEXT) | instid1(VALU_DEP_4)
	v_fma_f64 v[10:11], v[75:76], v[6:7], -v[10:11]
	v_fma_f64 v[6:7], v[77:78], v[6:7], v[8:9]
	s_delay_alu instid0(VALU_DEP_4) | instskip(NEXT) | instid1(VALU_DEP_4)
	v_fma_f64 v[3:4], v[3:4], v[67:68], v[79:80]
	v_fma_f64 v[1:2], v[1:2], v[67:68], -v[69:70]
	s_delay_alu instid0(VALU_DEP_4) | instskip(NEXT) | instid1(VALU_DEP_4)
	v_add_f64 v[8:9], v[10:11], 0
	v_add_f64 v[6:7], v[6:7], 0
	s_delay_alu instid0(VALU_DEP_2) | instskip(NEXT) | instid1(VALU_DEP_2)
	v_add_f64 v[1:2], v[8:9], v[1:2]
	v_add_f64 v[3:4], v[6:7], v[3:4]
	s_waitcnt vmcnt(0)
	s_delay_alu instid0(VALU_DEP_2) | instskip(NEXT) | instid1(VALU_DEP_2)
	v_add_f64 v[1:2], v[71:72], -v[1:2]
	v_add_f64 v[3:4], v[73:74], -v[3:4]
	scratch_store_b128 off, v[1:4], off offset:240
	v_cmpx_lt_u32_e32 14, v49
	s_cbranch_execz .LBB81_93
; %bb.92:
	scratch_load_b128 v[1:4], v64, off
	v_mov_b32_e32 v6, 0
	s_delay_alu instid0(VALU_DEP_1)
	v_mov_b32_e32 v7, v6
	v_mov_b32_e32 v8, v6
	;; [unrolled: 1-line block ×3, first 2 shown]
	scratch_store_b128 off, v[6:9], off offset:224
	s_waitcnt vmcnt(0)
	ds_store_b128 v5, v[1:4]
.LBB81_93:
	s_or_b32 exec_lo, exec_lo, s2
	s_waitcnt lgkmcnt(0)
	s_waitcnt_vscnt null, 0x0
	s_barrier
	buffer_gl0_inv
	s_clause 0x3
	scratch_load_b128 v[6:9], off, off offset:240
	scratch_load_b128 v[67:70], off, off offset:256
	;; [unrolled: 1-line block ×4, first 2 shown]
	v_mov_b32_e32 v1, 0
	ds_load_b128 v[79:82], v1 offset:528
	ds_load_b128 v[83:86], v1 offset:544
	s_mov_b32 s2, exec_lo
	s_waitcnt vmcnt(3) lgkmcnt(1)
	v_mul_f64 v[2:3], v[81:82], v[8:9]
	v_mul_f64 v[8:9], v[79:80], v[8:9]
	s_waitcnt vmcnt(2) lgkmcnt(0)
	v_mul_f64 v[10:11], v[83:84], v[69:70]
	v_mul_f64 v[69:70], v[85:86], v[69:70]
	s_delay_alu instid0(VALU_DEP_4) | instskip(NEXT) | instid1(VALU_DEP_4)
	v_fma_f64 v[2:3], v[79:80], v[6:7], -v[2:3]
	v_fma_f64 v[79:80], v[81:82], v[6:7], v[8:9]
	ds_load_b128 v[6:9], v1 offset:560
	v_fma_f64 v[10:11], v[85:86], v[67:68], v[10:11]
	v_fma_f64 v[67:68], v[83:84], v[67:68], -v[69:70]
	s_waitcnt vmcnt(1) lgkmcnt(0)
	v_mul_f64 v[81:82], v[6:7], v[73:74]
	v_mul_f64 v[73:74], v[8:9], v[73:74]
	v_add_f64 v[2:3], v[2:3], 0
	v_add_f64 v[69:70], v[79:80], 0
	s_delay_alu instid0(VALU_DEP_4) | instskip(NEXT) | instid1(VALU_DEP_4)
	v_fma_f64 v[8:9], v[8:9], v[71:72], v[81:82]
	v_fma_f64 v[6:7], v[6:7], v[71:72], -v[73:74]
	s_delay_alu instid0(VALU_DEP_4) | instskip(NEXT) | instid1(VALU_DEP_4)
	v_add_f64 v[2:3], v[2:3], v[67:68]
	v_add_f64 v[10:11], v[69:70], v[10:11]
	s_delay_alu instid0(VALU_DEP_2) | instskip(NEXT) | instid1(VALU_DEP_2)
	v_add_f64 v[2:3], v[2:3], v[6:7]
	v_add_f64 v[8:9], v[10:11], v[8:9]
	s_waitcnt vmcnt(0)
	s_delay_alu instid0(VALU_DEP_2) | instskip(NEXT) | instid1(VALU_DEP_2)
	v_add_f64 v[6:7], v[75:76], -v[2:3]
	v_add_f64 v[8:9], v[77:78], -v[8:9]
	scratch_store_b128 off, v[6:9], off offset:224
	v_cmpx_lt_u32_e32 13, v49
	s_cbranch_execz .LBB81_95
; %bb.94:
	scratch_load_b128 v[6:9], v61, off
	v_mov_b32_e32 v2, v1
	v_mov_b32_e32 v3, v1
	;; [unrolled: 1-line block ×3, first 2 shown]
	scratch_store_b128 off, v[1:4], off offset:208
	s_waitcnt vmcnt(0)
	ds_store_b128 v5, v[6:9]
.LBB81_95:
	s_or_b32 exec_lo, exec_lo, s2
	s_waitcnt lgkmcnt(0)
	s_waitcnt_vscnt null, 0x0
	s_barrier
	buffer_gl0_inv
	s_clause 0x4
	scratch_load_b128 v[6:9], off, off offset:224
	scratch_load_b128 v[67:70], off, off offset:240
	;; [unrolled: 1-line block ×5, first 2 shown]
	ds_load_b128 v[83:86], v1 offset:512
	ds_load_b128 v[87:90], v1 offset:528
	s_mov_b32 s2, exec_lo
	s_waitcnt vmcnt(4) lgkmcnt(1)
	v_mul_f64 v[2:3], v[85:86], v[8:9]
	v_mul_f64 v[8:9], v[83:84], v[8:9]
	s_waitcnt vmcnt(3) lgkmcnt(0)
	v_mul_f64 v[10:11], v[87:88], v[69:70]
	v_mul_f64 v[69:70], v[89:90], v[69:70]
	s_delay_alu instid0(VALU_DEP_4) | instskip(NEXT) | instid1(VALU_DEP_4)
	v_fma_f64 v[83:84], v[83:84], v[6:7], -v[2:3]
	v_fma_f64 v[85:86], v[85:86], v[6:7], v[8:9]
	ds_load_b128 v[6:9], v1 offset:544
	ds_load_b128 v[1:4], v1 offset:560
	v_fma_f64 v[10:11], v[89:90], v[67:68], v[10:11]
	v_fma_f64 v[67:68], v[87:88], v[67:68], -v[69:70]
	s_waitcnt vmcnt(2) lgkmcnt(1)
	v_mul_f64 v[91:92], v[6:7], v[73:74]
	v_mul_f64 v[73:74], v[8:9], v[73:74]
	v_add_f64 v[69:70], v[83:84], 0
	v_add_f64 v[83:84], v[85:86], 0
	s_waitcnt vmcnt(1) lgkmcnt(0)
	v_mul_f64 v[85:86], v[1:2], v[77:78]
	v_mul_f64 v[77:78], v[3:4], v[77:78]
	v_fma_f64 v[8:9], v[8:9], v[71:72], v[91:92]
	v_fma_f64 v[6:7], v[6:7], v[71:72], -v[73:74]
	v_add_f64 v[67:68], v[69:70], v[67:68]
	v_add_f64 v[10:11], v[83:84], v[10:11]
	v_fma_f64 v[3:4], v[3:4], v[75:76], v[85:86]
	v_fma_f64 v[1:2], v[1:2], v[75:76], -v[77:78]
	s_delay_alu instid0(VALU_DEP_4) | instskip(NEXT) | instid1(VALU_DEP_4)
	v_add_f64 v[6:7], v[67:68], v[6:7]
	v_add_f64 v[8:9], v[10:11], v[8:9]
	s_delay_alu instid0(VALU_DEP_2) | instskip(NEXT) | instid1(VALU_DEP_2)
	v_add_f64 v[1:2], v[6:7], v[1:2]
	v_add_f64 v[3:4], v[8:9], v[3:4]
	s_waitcnt vmcnt(0)
	s_delay_alu instid0(VALU_DEP_2) | instskip(NEXT) | instid1(VALU_DEP_2)
	v_add_f64 v[1:2], v[79:80], -v[1:2]
	v_add_f64 v[3:4], v[81:82], -v[3:4]
	scratch_store_b128 off, v[1:4], off offset:208
	v_cmpx_lt_u32_e32 12, v49
	s_cbranch_execz .LBB81_97
; %bb.96:
	scratch_load_b128 v[1:4], v62, off
	v_mov_b32_e32 v6, 0
	s_delay_alu instid0(VALU_DEP_1)
	v_mov_b32_e32 v7, v6
	v_mov_b32_e32 v8, v6
	;; [unrolled: 1-line block ×3, first 2 shown]
	scratch_store_b128 off, v[6:9], off offset:192
	s_waitcnt vmcnt(0)
	ds_store_b128 v5, v[1:4]
.LBB81_97:
	s_or_b32 exec_lo, exec_lo, s2
	s_waitcnt lgkmcnt(0)
	s_waitcnt_vscnt null, 0x0
	s_barrier
	buffer_gl0_inv
	s_clause 0x5
	scratch_load_b128 v[6:9], off, off offset:208
	scratch_load_b128 v[67:70], off, off offset:224
	;; [unrolled: 1-line block ×6, first 2 shown]
	v_mov_b32_e32 v1, 0
	ds_load_b128 v[87:90], v1 offset:496
	ds_load_b128 v[91:94], v1 offset:512
	s_mov_b32 s2, exec_lo
	s_waitcnt vmcnt(5) lgkmcnt(1)
	v_mul_f64 v[2:3], v[89:90], v[8:9]
	v_mul_f64 v[8:9], v[87:88], v[8:9]
	s_waitcnt vmcnt(4) lgkmcnt(0)
	v_mul_f64 v[10:11], v[91:92], v[69:70]
	v_mul_f64 v[69:70], v[93:94], v[69:70]
	s_delay_alu instid0(VALU_DEP_4) | instskip(NEXT) | instid1(VALU_DEP_4)
	v_fma_f64 v[2:3], v[87:88], v[6:7], -v[2:3]
	v_fma_f64 v[95:96], v[89:90], v[6:7], v[8:9]
	ds_load_b128 v[6:9], v1 offset:528
	ds_load_b128 v[87:90], v1 offset:544
	v_fma_f64 v[10:11], v[93:94], v[67:68], v[10:11]
	v_fma_f64 v[67:68], v[91:92], v[67:68], -v[69:70]
	s_waitcnt vmcnt(3) lgkmcnt(1)
	v_mul_f64 v[97:98], v[6:7], v[73:74]
	v_mul_f64 v[73:74], v[8:9], v[73:74]
	s_waitcnt vmcnt(2) lgkmcnt(0)
	v_mul_f64 v[91:92], v[87:88], v[77:78]
	v_mul_f64 v[77:78], v[89:90], v[77:78]
	v_add_f64 v[2:3], v[2:3], 0
	v_add_f64 v[69:70], v[95:96], 0
	v_fma_f64 v[93:94], v[8:9], v[71:72], v[97:98]
	v_fma_f64 v[71:72], v[6:7], v[71:72], -v[73:74]
	ds_load_b128 v[6:9], v1 offset:560
	v_fma_f64 v[73:74], v[89:90], v[75:76], v[91:92]
	v_fma_f64 v[75:76], v[87:88], v[75:76], -v[77:78]
	v_add_f64 v[2:3], v[2:3], v[67:68]
	v_add_f64 v[10:11], v[69:70], v[10:11]
	s_waitcnt vmcnt(1) lgkmcnt(0)
	v_mul_f64 v[67:68], v[6:7], v[81:82]
	v_mul_f64 v[69:70], v[8:9], v[81:82]
	s_delay_alu instid0(VALU_DEP_4) | instskip(NEXT) | instid1(VALU_DEP_4)
	v_add_f64 v[2:3], v[2:3], v[71:72]
	v_add_f64 v[10:11], v[10:11], v[93:94]
	s_delay_alu instid0(VALU_DEP_4) | instskip(NEXT) | instid1(VALU_DEP_4)
	v_fma_f64 v[8:9], v[8:9], v[79:80], v[67:68]
	v_fma_f64 v[6:7], v[6:7], v[79:80], -v[69:70]
	s_delay_alu instid0(VALU_DEP_4) | instskip(NEXT) | instid1(VALU_DEP_4)
	v_add_f64 v[2:3], v[2:3], v[75:76]
	v_add_f64 v[10:11], v[10:11], v[73:74]
	s_delay_alu instid0(VALU_DEP_2) | instskip(NEXT) | instid1(VALU_DEP_2)
	v_add_f64 v[2:3], v[2:3], v[6:7]
	v_add_f64 v[8:9], v[10:11], v[8:9]
	s_waitcnt vmcnt(0)
	s_delay_alu instid0(VALU_DEP_2) | instskip(NEXT) | instid1(VALU_DEP_2)
	v_add_f64 v[6:7], v[83:84], -v[2:3]
	v_add_f64 v[8:9], v[85:86], -v[8:9]
	scratch_store_b128 off, v[6:9], off offset:192
	v_cmpx_lt_u32_e32 11, v49
	s_cbranch_execz .LBB81_99
; %bb.98:
	scratch_load_b128 v[6:9], v59, off
	v_mov_b32_e32 v2, v1
	v_mov_b32_e32 v3, v1
	;; [unrolled: 1-line block ×3, first 2 shown]
	scratch_store_b128 off, v[1:4], off offset:176
	s_waitcnt vmcnt(0)
	ds_store_b128 v5, v[6:9]
.LBB81_99:
	s_or_b32 exec_lo, exec_lo, s2
	s_waitcnt lgkmcnt(0)
	s_waitcnt_vscnt null, 0x0
	s_barrier
	buffer_gl0_inv
	s_clause 0x5
	scratch_load_b128 v[6:9], off, off offset:192
	scratch_load_b128 v[67:70], off, off offset:208
	;; [unrolled: 1-line block ×6, first 2 shown]
	ds_load_b128 v[87:90], v1 offset:480
	ds_load_b128 v[95:98], v1 offset:496
	scratch_load_b128 v[91:94], off, off offset:176
	s_mov_b32 s2, exec_lo
	s_waitcnt vmcnt(6) lgkmcnt(1)
	v_mul_f64 v[2:3], v[89:90], v[8:9]
	v_mul_f64 v[8:9], v[87:88], v[8:9]
	s_waitcnt vmcnt(5) lgkmcnt(0)
	v_mul_f64 v[10:11], v[95:96], v[69:70]
	v_mul_f64 v[69:70], v[97:98], v[69:70]
	s_delay_alu instid0(VALU_DEP_4) | instskip(NEXT) | instid1(VALU_DEP_4)
	v_fma_f64 v[2:3], v[87:88], v[6:7], -v[2:3]
	v_fma_f64 v[99:100], v[89:90], v[6:7], v[8:9]
	ds_load_b128 v[6:9], v1 offset:512
	ds_load_b128 v[87:90], v1 offset:528
	v_fma_f64 v[10:11], v[97:98], v[67:68], v[10:11]
	v_fma_f64 v[67:68], v[95:96], v[67:68], -v[69:70]
	s_waitcnt vmcnt(4) lgkmcnt(1)
	v_mul_f64 v[101:102], v[6:7], v[73:74]
	v_mul_f64 v[73:74], v[8:9], v[73:74]
	s_waitcnt vmcnt(3) lgkmcnt(0)
	v_mul_f64 v[95:96], v[87:88], v[77:78]
	v_mul_f64 v[77:78], v[89:90], v[77:78]
	v_add_f64 v[2:3], v[2:3], 0
	v_add_f64 v[69:70], v[99:100], 0
	v_fma_f64 v[97:98], v[8:9], v[71:72], v[101:102]
	v_fma_f64 v[71:72], v[6:7], v[71:72], -v[73:74]
	s_delay_alu instid0(VALU_DEP_4) | instskip(NEXT) | instid1(VALU_DEP_4)
	v_add_f64 v[67:68], v[2:3], v[67:68]
	v_add_f64 v[10:11], v[69:70], v[10:11]
	ds_load_b128 v[6:9], v1 offset:544
	ds_load_b128 v[1:4], v1 offset:560
	s_waitcnt vmcnt(2) lgkmcnt(1)
	v_mul_f64 v[69:70], v[6:7], v[81:82]
	v_mul_f64 v[73:74], v[8:9], v[81:82]
	v_fma_f64 v[81:82], v[89:90], v[75:76], v[95:96]
	v_fma_f64 v[75:76], v[87:88], v[75:76], -v[77:78]
	s_waitcnt vmcnt(1) lgkmcnt(0)
	v_mul_f64 v[77:78], v[3:4], v[85:86]
	v_add_f64 v[67:68], v[67:68], v[71:72]
	v_add_f64 v[10:11], v[10:11], v[97:98]
	v_mul_f64 v[71:72], v[1:2], v[85:86]
	v_fma_f64 v[8:9], v[8:9], v[79:80], v[69:70]
	v_fma_f64 v[6:7], v[6:7], v[79:80], -v[73:74]
	v_fma_f64 v[1:2], v[1:2], v[83:84], -v[77:78]
	v_add_f64 v[67:68], v[67:68], v[75:76]
	v_add_f64 v[10:11], v[10:11], v[81:82]
	v_fma_f64 v[3:4], v[3:4], v[83:84], v[71:72]
	s_delay_alu instid0(VALU_DEP_3) | instskip(NEXT) | instid1(VALU_DEP_3)
	v_add_f64 v[6:7], v[67:68], v[6:7]
	v_add_f64 v[8:9], v[10:11], v[8:9]
	s_delay_alu instid0(VALU_DEP_2) | instskip(NEXT) | instid1(VALU_DEP_2)
	v_add_f64 v[1:2], v[6:7], v[1:2]
	v_add_f64 v[3:4], v[8:9], v[3:4]
	s_waitcnt vmcnt(0)
	s_delay_alu instid0(VALU_DEP_2) | instskip(NEXT) | instid1(VALU_DEP_2)
	v_add_f64 v[1:2], v[91:92], -v[1:2]
	v_add_f64 v[3:4], v[93:94], -v[3:4]
	scratch_store_b128 off, v[1:4], off offset:176
	v_cmpx_lt_u32_e32 10, v49
	s_cbranch_execz .LBB81_101
; %bb.100:
	scratch_load_b128 v[1:4], v60, off
	v_mov_b32_e32 v6, 0
	s_delay_alu instid0(VALU_DEP_1)
	v_mov_b32_e32 v7, v6
	v_mov_b32_e32 v8, v6
	;; [unrolled: 1-line block ×3, first 2 shown]
	scratch_store_b128 off, v[6:9], off offset:160
	s_waitcnt vmcnt(0)
	ds_store_b128 v5, v[1:4]
.LBB81_101:
	s_or_b32 exec_lo, exec_lo, s2
	s_waitcnt lgkmcnt(0)
	s_waitcnt_vscnt null, 0x0
	s_barrier
	buffer_gl0_inv
	s_clause 0x6
	scratch_load_b128 v[6:9], off, off offset:176
	scratch_load_b128 v[67:70], off, off offset:192
	;; [unrolled: 1-line block ×7, first 2 shown]
	v_mov_b32_e32 v1, 0
	scratch_load_b128 v[95:98], off, off offset:160
	s_mov_b32 s2, exec_lo
	ds_load_b128 v[91:94], v1 offset:464
	ds_load_b128 v[99:102], v1 offset:480
	s_waitcnt vmcnt(7) lgkmcnt(1)
	v_mul_f64 v[2:3], v[93:94], v[8:9]
	v_mul_f64 v[8:9], v[91:92], v[8:9]
	s_waitcnt vmcnt(6) lgkmcnt(0)
	v_mul_f64 v[10:11], v[99:100], v[69:70]
	v_mul_f64 v[69:70], v[101:102], v[69:70]
	s_delay_alu instid0(VALU_DEP_4) | instskip(NEXT) | instid1(VALU_DEP_4)
	v_fma_f64 v[2:3], v[91:92], v[6:7], -v[2:3]
	v_fma_f64 v[103:104], v[93:94], v[6:7], v[8:9]
	ds_load_b128 v[6:9], v1 offset:496
	ds_load_b128 v[91:94], v1 offset:512
	v_fma_f64 v[10:11], v[101:102], v[67:68], v[10:11]
	v_fma_f64 v[67:68], v[99:100], v[67:68], -v[69:70]
	s_waitcnt vmcnt(5) lgkmcnt(1)
	v_mul_f64 v[105:106], v[6:7], v[73:74]
	v_mul_f64 v[73:74], v[8:9], v[73:74]
	s_waitcnt vmcnt(4) lgkmcnt(0)
	v_mul_f64 v[99:100], v[91:92], v[77:78]
	v_mul_f64 v[77:78], v[93:94], v[77:78]
	v_add_f64 v[2:3], v[2:3], 0
	v_add_f64 v[69:70], v[103:104], 0
	v_fma_f64 v[101:102], v[8:9], v[71:72], v[105:106]
	v_fma_f64 v[71:72], v[6:7], v[71:72], -v[73:74]
	v_fma_f64 v[93:94], v[93:94], v[75:76], v[99:100]
	v_fma_f64 v[75:76], v[91:92], v[75:76], -v[77:78]
	v_add_f64 v[2:3], v[2:3], v[67:68]
	v_add_f64 v[10:11], v[69:70], v[10:11]
	ds_load_b128 v[6:9], v1 offset:528
	ds_load_b128 v[67:70], v1 offset:544
	s_waitcnt vmcnt(3) lgkmcnt(1)
	v_mul_f64 v[73:74], v[6:7], v[81:82]
	v_mul_f64 v[81:82], v[8:9], v[81:82]
	s_waitcnt vmcnt(2) lgkmcnt(0)
	v_mul_f64 v[77:78], v[69:70], v[85:86]
	v_add_f64 v[2:3], v[2:3], v[71:72]
	v_add_f64 v[10:11], v[10:11], v[101:102]
	v_mul_f64 v[71:72], v[67:68], v[85:86]
	v_fma_f64 v[73:74], v[8:9], v[79:80], v[73:74]
	v_fma_f64 v[79:80], v[6:7], v[79:80], -v[81:82]
	ds_load_b128 v[6:9], v1 offset:560
	v_fma_f64 v[67:68], v[67:68], v[83:84], -v[77:78]
	v_add_f64 v[2:3], v[2:3], v[75:76]
	v_add_f64 v[10:11], v[10:11], v[93:94]
	v_fma_f64 v[69:70], v[69:70], v[83:84], v[71:72]
	s_waitcnt vmcnt(1) lgkmcnt(0)
	v_mul_f64 v[75:76], v[6:7], v[89:90]
	v_mul_f64 v[81:82], v[8:9], v[89:90]
	v_add_f64 v[2:3], v[2:3], v[79:80]
	v_add_f64 v[10:11], v[10:11], v[73:74]
	s_delay_alu instid0(VALU_DEP_4) | instskip(NEXT) | instid1(VALU_DEP_4)
	v_fma_f64 v[8:9], v[8:9], v[87:88], v[75:76]
	v_fma_f64 v[6:7], v[6:7], v[87:88], -v[81:82]
	s_delay_alu instid0(VALU_DEP_4) | instskip(NEXT) | instid1(VALU_DEP_4)
	v_add_f64 v[2:3], v[2:3], v[67:68]
	v_add_f64 v[10:11], v[10:11], v[69:70]
	s_delay_alu instid0(VALU_DEP_2) | instskip(NEXT) | instid1(VALU_DEP_2)
	v_add_f64 v[2:3], v[2:3], v[6:7]
	v_add_f64 v[8:9], v[10:11], v[8:9]
	s_waitcnt vmcnt(0)
	s_delay_alu instid0(VALU_DEP_2) | instskip(NEXT) | instid1(VALU_DEP_2)
	v_add_f64 v[6:7], v[95:96], -v[2:3]
	v_add_f64 v[8:9], v[97:98], -v[8:9]
	scratch_store_b128 off, v[6:9], off offset:160
	v_cmpx_lt_u32_e32 9, v49
	s_cbranch_execz .LBB81_103
; %bb.102:
	scratch_load_b128 v[6:9], v57, off
	v_mov_b32_e32 v2, v1
	v_mov_b32_e32 v3, v1
	;; [unrolled: 1-line block ×3, first 2 shown]
	scratch_store_b128 off, v[1:4], off offset:144
	s_waitcnt vmcnt(0)
	ds_store_b128 v5, v[6:9]
.LBB81_103:
	s_or_b32 exec_lo, exec_lo, s2
	s_waitcnt lgkmcnt(0)
	s_waitcnt_vscnt null, 0x0
	s_barrier
	buffer_gl0_inv
	s_clause 0x7
	scratch_load_b128 v[6:9], off, off offset:160
	scratch_load_b128 v[67:70], off, off offset:176
	;; [unrolled: 1-line block ×8, first 2 shown]
	ds_load_b128 v[95:98], v1 offset:448
	ds_load_b128 v[99:102], v1 offset:464
	scratch_load_b128 v[103:106], off, off offset:144
	s_mov_b32 s2, exec_lo
	s_waitcnt vmcnt(8) lgkmcnt(1)
	v_mul_f64 v[2:3], v[97:98], v[8:9]
	v_mul_f64 v[8:9], v[95:96], v[8:9]
	s_waitcnt vmcnt(7) lgkmcnt(0)
	v_mul_f64 v[10:11], v[99:100], v[69:70]
	v_mul_f64 v[69:70], v[101:102], v[69:70]
	s_delay_alu instid0(VALU_DEP_4) | instskip(NEXT) | instid1(VALU_DEP_4)
	v_fma_f64 v[2:3], v[95:96], v[6:7], -v[2:3]
	v_fma_f64 v[107:108], v[97:98], v[6:7], v[8:9]
	ds_load_b128 v[6:9], v1 offset:480
	ds_load_b128 v[95:98], v1 offset:496
	v_fma_f64 v[10:11], v[101:102], v[67:68], v[10:11]
	v_fma_f64 v[67:68], v[99:100], v[67:68], -v[69:70]
	s_waitcnt vmcnt(6) lgkmcnt(1)
	v_mul_f64 v[109:110], v[6:7], v[73:74]
	v_mul_f64 v[73:74], v[8:9], v[73:74]
	s_waitcnt vmcnt(5) lgkmcnt(0)
	v_mul_f64 v[99:100], v[95:96], v[77:78]
	v_mul_f64 v[77:78], v[97:98], v[77:78]
	v_add_f64 v[2:3], v[2:3], 0
	v_add_f64 v[69:70], v[107:108], 0
	v_fma_f64 v[101:102], v[8:9], v[71:72], v[109:110]
	v_fma_f64 v[71:72], v[6:7], v[71:72], -v[73:74]
	v_fma_f64 v[97:98], v[97:98], v[75:76], v[99:100]
	v_fma_f64 v[75:76], v[95:96], v[75:76], -v[77:78]
	v_add_f64 v[2:3], v[2:3], v[67:68]
	v_add_f64 v[10:11], v[69:70], v[10:11]
	ds_load_b128 v[6:9], v1 offset:512
	ds_load_b128 v[67:70], v1 offset:528
	s_waitcnt vmcnt(4) lgkmcnt(1)
	v_mul_f64 v[73:74], v[6:7], v[81:82]
	v_mul_f64 v[81:82], v[8:9], v[81:82]
	s_waitcnt vmcnt(3) lgkmcnt(0)
	v_mul_f64 v[77:78], v[69:70], v[85:86]
	v_add_f64 v[2:3], v[2:3], v[71:72]
	v_add_f64 v[10:11], v[10:11], v[101:102]
	v_mul_f64 v[71:72], v[67:68], v[85:86]
	v_fma_f64 v[73:74], v[8:9], v[79:80], v[73:74]
	v_fma_f64 v[79:80], v[6:7], v[79:80], -v[81:82]
	v_fma_f64 v[67:68], v[67:68], v[83:84], -v[77:78]
	v_add_f64 v[75:76], v[2:3], v[75:76]
	v_add_f64 v[10:11], v[10:11], v[97:98]
	ds_load_b128 v[6:9], v1 offset:544
	ds_load_b128 v[1:4], v1 offset:560
	v_fma_f64 v[69:70], v[69:70], v[83:84], v[71:72]
	s_waitcnt vmcnt(2) lgkmcnt(1)
	v_mul_f64 v[81:82], v[6:7], v[89:90]
	v_mul_f64 v[85:86], v[8:9], v[89:90]
	v_add_f64 v[71:72], v[75:76], v[79:80]
	v_add_f64 v[10:11], v[10:11], v[73:74]
	s_waitcnt vmcnt(1) lgkmcnt(0)
	v_mul_f64 v[73:74], v[1:2], v[93:94]
	v_mul_f64 v[75:76], v[3:4], v[93:94]
	v_fma_f64 v[8:9], v[8:9], v[87:88], v[81:82]
	v_fma_f64 v[6:7], v[6:7], v[87:88], -v[85:86]
	v_add_f64 v[67:68], v[71:72], v[67:68]
	v_add_f64 v[10:11], v[10:11], v[69:70]
	v_fma_f64 v[3:4], v[3:4], v[91:92], v[73:74]
	v_fma_f64 v[1:2], v[1:2], v[91:92], -v[75:76]
	s_delay_alu instid0(VALU_DEP_4) | instskip(NEXT) | instid1(VALU_DEP_4)
	v_add_f64 v[6:7], v[67:68], v[6:7]
	v_add_f64 v[8:9], v[10:11], v[8:9]
	s_delay_alu instid0(VALU_DEP_2) | instskip(NEXT) | instid1(VALU_DEP_2)
	v_add_f64 v[1:2], v[6:7], v[1:2]
	v_add_f64 v[3:4], v[8:9], v[3:4]
	s_waitcnt vmcnt(0)
	s_delay_alu instid0(VALU_DEP_2) | instskip(NEXT) | instid1(VALU_DEP_2)
	v_add_f64 v[1:2], v[103:104], -v[1:2]
	v_add_f64 v[3:4], v[105:106], -v[3:4]
	scratch_store_b128 off, v[1:4], off offset:144
	v_cmpx_lt_u32_e32 8, v49
	s_cbranch_execz .LBB81_105
; %bb.104:
	scratch_load_b128 v[1:4], v58, off
	v_mov_b32_e32 v6, 0
	s_delay_alu instid0(VALU_DEP_1)
	v_mov_b32_e32 v7, v6
	v_mov_b32_e32 v8, v6
	;; [unrolled: 1-line block ×3, first 2 shown]
	scratch_store_b128 off, v[6:9], off offset:128
	s_waitcnt vmcnt(0)
	ds_store_b128 v5, v[1:4]
.LBB81_105:
	s_or_b32 exec_lo, exec_lo, s2
	s_waitcnt lgkmcnt(0)
	s_waitcnt_vscnt null, 0x0
	s_barrier
	buffer_gl0_inv
	s_clause 0x7
	scratch_load_b128 v[6:9], off, off offset:144
	scratch_load_b128 v[67:70], off, off offset:160
	;; [unrolled: 1-line block ×8, first 2 shown]
	v_mov_b32_e32 v1, 0
	s_mov_b32 s2, exec_lo
	ds_load_b128 v[95:98], v1 offset:432
	s_clause 0x1
	scratch_load_b128 v[99:102], off, off offset:272
	scratch_load_b128 v[103:106], off, off offset:128
	ds_load_b128 v[107:110], v1 offset:448
	s_waitcnt vmcnt(9) lgkmcnt(1)
	v_mul_f64 v[2:3], v[97:98], v[8:9]
	v_mul_f64 v[8:9], v[95:96], v[8:9]
	s_waitcnt vmcnt(8) lgkmcnt(0)
	v_mul_f64 v[10:11], v[107:108], v[69:70]
	v_mul_f64 v[69:70], v[109:110], v[69:70]
	s_delay_alu instid0(VALU_DEP_4) | instskip(NEXT) | instid1(VALU_DEP_4)
	v_fma_f64 v[2:3], v[95:96], v[6:7], -v[2:3]
	v_fma_f64 v[111:112], v[97:98], v[6:7], v[8:9]
	ds_load_b128 v[6:9], v1 offset:464
	ds_load_b128 v[95:98], v1 offset:480
	v_fma_f64 v[10:11], v[109:110], v[67:68], v[10:11]
	v_fma_f64 v[67:68], v[107:108], v[67:68], -v[69:70]
	s_waitcnt vmcnt(7) lgkmcnt(1)
	v_mul_f64 v[113:114], v[6:7], v[73:74]
	v_mul_f64 v[73:74], v[8:9], v[73:74]
	s_waitcnt vmcnt(6) lgkmcnt(0)
	v_mul_f64 v[107:108], v[95:96], v[77:78]
	v_mul_f64 v[77:78], v[97:98], v[77:78]
	v_add_f64 v[2:3], v[2:3], 0
	v_add_f64 v[69:70], v[111:112], 0
	v_fma_f64 v[109:110], v[8:9], v[71:72], v[113:114]
	v_fma_f64 v[71:72], v[6:7], v[71:72], -v[73:74]
	v_fma_f64 v[97:98], v[97:98], v[75:76], v[107:108]
	v_fma_f64 v[75:76], v[95:96], v[75:76], -v[77:78]
	v_add_f64 v[2:3], v[2:3], v[67:68]
	v_add_f64 v[10:11], v[69:70], v[10:11]
	ds_load_b128 v[6:9], v1 offset:496
	ds_load_b128 v[67:70], v1 offset:512
	s_waitcnt vmcnt(5) lgkmcnt(1)
	v_mul_f64 v[73:74], v[6:7], v[81:82]
	v_mul_f64 v[81:82], v[8:9], v[81:82]
	s_waitcnt vmcnt(4) lgkmcnt(0)
	v_mul_f64 v[77:78], v[67:68], v[85:86]
	v_mul_f64 v[85:86], v[69:70], v[85:86]
	v_add_f64 v[2:3], v[2:3], v[71:72]
	v_add_f64 v[10:11], v[10:11], v[109:110]
	v_fma_f64 v[95:96], v[8:9], v[79:80], v[73:74]
	v_fma_f64 v[79:80], v[6:7], v[79:80], -v[81:82]
	ds_load_b128 v[6:9], v1 offset:528
	ds_load_b128 v[71:74], v1 offset:544
	v_fma_f64 v[69:70], v[69:70], v[83:84], v[77:78]
	v_fma_f64 v[67:68], v[67:68], v[83:84], -v[85:86]
	v_add_f64 v[2:3], v[2:3], v[75:76]
	v_add_f64 v[10:11], v[10:11], v[97:98]
	s_waitcnt vmcnt(3) lgkmcnt(1)
	v_mul_f64 v[75:76], v[6:7], v[89:90]
	v_mul_f64 v[81:82], v[8:9], v[89:90]
	s_waitcnt vmcnt(2) lgkmcnt(0)
	v_mul_f64 v[77:78], v[71:72], v[93:94]
	v_add_f64 v[2:3], v[2:3], v[79:80]
	v_add_f64 v[10:11], v[10:11], v[95:96]
	v_mul_f64 v[79:80], v[73:74], v[93:94]
	v_fma_f64 v[75:76], v[8:9], v[87:88], v[75:76]
	v_fma_f64 v[81:82], v[6:7], v[87:88], -v[81:82]
	ds_load_b128 v[6:9], v1 offset:560
	v_fma_f64 v[73:74], v[73:74], v[91:92], v[77:78]
	v_add_f64 v[2:3], v[2:3], v[67:68]
	v_add_f64 v[10:11], v[10:11], v[69:70]
	s_waitcnt vmcnt(1) lgkmcnt(0)
	v_mul_f64 v[67:68], v[6:7], v[101:102]
	v_mul_f64 v[69:70], v[8:9], v[101:102]
	v_fma_f64 v[71:72], v[71:72], v[91:92], -v[79:80]
	v_add_f64 v[2:3], v[2:3], v[81:82]
	v_add_f64 v[10:11], v[10:11], v[75:76]
	v_fma_f64 v[8:9], v[8:9], v[99:100], v[67:68]
	v_fma_f64 v[6:7], v[6:7], v[99:100], -v[69:70]
	s_delay_alu instid0(VALU_DEP_4) | instskip(NEXT) | instid1(VALU_DEP_4)
	v_add_f64 v[2:3], v[2:3], v[71:72]
	v_add_f64 v[10:11], v[10:11], v[73:74]
	s_delay_alu instid0(VALU_DEP_2) | instskip(NEXT) | instid1(VALU_DEP_2)
	v_add_f64 v[2:3], v[2:3], v[6:7]
	v_add_f64 v[8:9], v[10:11], v[8:9]
	s_waitcnt vmcnt(0)
	s_delay_alu instid0(VALU_DEP_2) | instskip(NEXT) | instid1(VALU_DEP_2)
	v_add_f64 v[6:7], v[103:104], -v[2:3]
	v_add_f64 v[8:9], v[105:106], -v[8:9]
	scratch_store_b128 off, v[6:9], off offset:128
	v_cmpx_lt_u32_e32 7, v49
	s_cbranch_execz .LBB81_107
; %bb.106:
	scratch_load_b128 v[6:9], v55, off
	v_mov_b32_e32 v2, v1
	v_mov_b32_e32 v3, v1
	;; [unrolled: 1-line block ×3, first 2 shown]
	scratch_store_b128 off, v[1:4], off offset:112
	s_waitcnt vmcnt(0)
	ds_store_b128 v5, v[6:9]
.LBB81_107:
	s_or_b32 exec_lo, exec_lo, s2
	s_waitcnt lgkmcnt(0)
	s_waitcnt_vscnt null, 0x0
	s_barrier
	buffer_gl0_inv
	s_clause 0x8
	scratch_load_b128 v[6:9], off, off offset:128
	scratch_load_b128 v[67:70], off, off offset:144
	;; [unrolled: 1-line block ×9, first 2 shown]
	ds_load_b128 v[99:102], v1 offset:416
	ds_load_b128 v[103:106], v1 offset:432
	scratch_load_b128 v[107:110], off, off offset:112
	s_mov_b32 s2, exec_lo
	s_waitcnt vmcnt(9) lgkmcnt(1)
	v_mul_f64 v[2:3], v[101:102], v[8:9]
	v_mul_f64 v[111:112], v[99:100], v[8:9]
	scratch_load_b128 v[8:11], off, off offset:272
	s_waitcnt vmcnt(9) lgkmcnt(0)
	v_mul_f64 v[115:116], v[103:104], v[69:70]
	v_mul_f64 v[69:70], v[105:106], v[69:70]
	v_fma_f64 v[2:3], v[99:100], v[6:7], -v[2:3]
	v_fma_f64 v[6:7], v[101:102], v[6:7], v[111:112]
	ds_load_b128 v[99:102], v1 offset:448
	ds_load_b128 v[111:114], v1 offset:464
	v_fma_f64 v[105:106], v[105:106], v[67:68], v[115:116]
	v_fma_f64 v[67:68], v[103:104], v[67:68], -v[69:70]
	s_waitcnt vmcnt(8) lgkmcnt(1)
	v_mul_f64 v[117:118], v[99:100], v[73:74]
	v_mul_f64 v[73:74], v[101:102], v[73:74]
	s_waitcnt vmcnt(7) lgkmcnt(0)
	v_mul_f64 v[103:104], v[111:112], v[77:78]
	v_mul_f64 v[77:78], v[113:114], v[77:78]
	v_add_f64 v[2:3], v[2:3], 0
	v_add_f64 v[6:7], v[6:7], 0
	v_fma_f64 v[101:102], v[101:102], v[71:72], v[117:118]
	v_fma_f64 v[99:100], v[99:100], v[71:72], -v[73:74]
	v_fma_f64 v[103:104], v[113:114], v[75:76], v[103:104]
	v_fma_f64 v[75:76], v[111:112], v[75:76], -v[77:78]
	v_add_f64 v[2:3], v[2:3], v[67:68]
	v_add_f64 v[6:7], v[6:7], v[105:106]
	ds_load_b128 v[67:70], v1 offset:480
	ds_load_b128 v[71:74], v1 offset:496
	s_waitcnt vmcnt(6) lgkmcnt(1)
	v_mul_f64 v[105:106], v[67:68], v[81:82]
	v_mul_f64 v[81:82], v[69:70], v[81:82]
	v_add_f64 v[2:3], v[2:3], v[99:100]
	v_add_f64 v[6:7], v[6:7], v[101:102]
	s_waitcnt vmcnt(5) lgkmcnt(0)
	v_mul_f64 v[99:100], v[71:72], v[85:86]
	v_mul_f64 v[85:86], v[73:74], v[85:86]
	v_fma_f64 v[101:102], v[69:70], v[79:80], v[105:106]
	v_fma_f64 v[79:80], v[67:68], v[79:80], -v[81:82]
	v_add_f64 v[2:3], v[2:3], v[75:76]
	v_add_f64 v[6:7], v[6:7], v[103:104]
	ds_load_b128 v[67:70], v1 offset:512
	ds_load_b128 v[75:78], v1 offset:528
	v_fma_f64 v[73:74], v[73:74], v[83:84], v[99:100]
	v_fma_f64 v[71:72], v[71:72], v[83:84], -v[85:86]
	s_waitcnt vmcnt(4) lgkmcnt(1)
	v_mul_f64 v[81:82], v[67:68], v[89:90]
	v_mul_f64 v[89:90], v[69:70], v[89:90]
	s_waitcnt vmcnt(3) lgkmcnt(0)
	v_mul_f64 v[83:84], v[77:78], v[93:94]
	v_add_f64 v[2:3], v[2:3], v[79:80]
	v_add_f64 v[6:7], v[6:7], v[101:102]
	v_mul_f64 v[79:80], v[75:76], v[93:94]
	v_fma_f64 v[81:82], v[69:70], v[87:88], v[81:82]
	v_fma_f64 v[85:86], v[67:68], v[87:88], -v[89:90]
	v_fma_f64 v[75:76], v[75:76], v[91:92], -v[83:84]
	v_add_f64 v[71:72], v[2:3], v[71:72]
	v_add_f64 v[6:7], v[6:7], v[73:74]
	ds_load_b128 v[67:70], v1 offset:544
	ds_load_b128 v[1:4], v1 offset:560
	v_fma_f64 v[77:78], v[77:78], v[91:92], v[79:80]
	s_waitcnt vmcnt(2) lgkmcnt(1)
	v_mul_f64 v[73:74], v[67:68], v[97:98]
	v_mul_f64 v[87:88], v[69:70], v[97:98]
	v_add_f64 v[71:72], v[71:72], v[85:86]
	v_add_f64 v[6:7], v[6:7], v[81:82]
	s_waitcnt vmcnt(0) lgkmcnt(0)
	v_mul_f64 v[79:80], v[1:2], v[10:11]
	v_mul_f64 v[10:11], v[3:4], v[10:11]
	v_fma_f64 v[69:70], v[69:70], v[95:96], v[73:74]
	v_fma_f64 v[67:68], v[67:68], v[95:96], -v[87:88]
	v_add_f64 v[71:72], v[71:72], v[75:76]
	v_add_f64 v[6:7], v[6:7], v[77:78]
	v_fma_f64 v[3:4], v[3:4], v[8:9], v[79:80]
	v_fma_f64 v[1:2], v[1:2], v[8:9], -v[10:11]
	s_delay_alu instid0(VALU_DEP_4) | instskip(NEXT) | instid1(VALU_DEP_4)
	v_add_f64 v[8:9], v[71:72], v[67:68]
	v_add_f64 v[6:7], v[6:7], v[69:70]
	s_delay_alu instid0(VALU_DEP_2) | instskip(NEXT) | instid1(VALU_DEP_2)
	v_add_f64 v[1:2], v[8:9], v[1:2]
	v_add_f64 v[3:4], v[6:7], v[3:4]
	s_delay_alu instid0(VALU_DEP_2) | instskip(NEXT) | instid1(VALU_DEP_2)
	v_add_f64 v[1:2], v[107:108], -v[1:2]
	v_add_f64 v[3:4], v[109:110], -v[3:4]
	scratch_store_b128 off, v[1:4], off offset:112
	v_cmpx_lt_u32_e32 6, v49
	s_cbranch_execz .LBB81_109
; %bb.108:
	scratch_load_b128 v[1:4], v56, off
	v_mov_b32_e32 v6, 0
	s_delay_alu instid0(VALU_DEP_1)
	v_mov_b32_e32 v7, v6
	v_mov_b32_e32 v8, v6
	;; [unrolled: 1-line block ×3, first 2 shown]
	scratch_store_b128 off, v[6:9], off offset:96
	s_waitcnt vmcnt(0)
	ds_store_b128 v5, v[1:4]
.LBB81_109:
	s_or_b32 exec_lo, exec_lo, s2
	s_waitcnt lgkmcnt(0)
	s_waitcnt_vscnt null, 0x0
	s_barrier
	buffer_gl0_inv
	s_clause 0x7
	scratch_load_b128 v[6:9], off, off offset:112
	scratch_load_b128 v[67:70], off, off offset:128
	;; [unrolled: 1-line block ×8, first 2 shown]
	v_mov_b32_e32 v1, 0
	s_clause 0x1
	scratch_load_b128 v[99:102], off, off offset:240
	scratch_load_b128 v[103:106], off, off offset:256
	s_mov_b32 s2, exec_lo
	ds_load_b128 v[95:98], v1 offset:400
	s_waitcnt vmcnt(9) lgkmcnt(0)
	v_mul_f64 v[2:3], v[97:98], v[8:9]
	v_mul_f64 v[107:108], v[95:96], v[8:9]
	ds_load_b128 v[8:11], v1 offset:416
	v_fma_f64 v[2:3], v[95:96], v[6:7], -v[2:3]
	v_fma_f64 v[6:7], v[97:98], v[6:7], v[107:108]
	ds_load_b128 v[95:98], v1 offset:432
	s_waitcnt vmcnt(8) lgkmcnt(1)
	v_mul_f64 v[111:112], v[8:9], v[69:70]
	v_mul_f64 v[69:70], v[10:11], v[69:70]
	scratch_load_b128 v[107:110], off, off offset:272
	s_waitcnt vmcnt(8) lgkmcnt(0)
	v_mul_f64 v[113:114], v[95:96], v[73:74]
	v_mul_f64 v[73:74], v[97:98], v[73:74]
	v_add_f64 v[2:3], v[2:3], 0
	v_fma_f64 v[10:11], v[10:11], v[67:68], v[111:112]
	v_fma_f64 v[67:68], v[8:9], v[67:68], -v[69:70]
	v_add_f64 v[69:70], v[6:7], 0
	ds_load_b128 v[6:9], v1 offset:448
	v_fma_f64 v[97:98], v[97:98], v[71:72], v[113:114]
	v_fma_f64 v[71:72], v[95:96], v[71:72], -v[73:74]
	v_add_f64 v[2:3], v[2:3], v[67:68]
	v_add_f64 v[10:11], v[69:70], v[10:11]
	ds_load_b128 v[67:70], v1 offset:464
	s_waitcnt vmcnt(7) lgkmcnt(1)
	v_mul_f64 v[111:112], v[6:7], v[77:78]
	v_mul_f64 v[77:78], v[8:9], v[77:78]
	s_waitcnt vmcnt(6) lgkmcnt(0)
	v_mul_f64 v[95:96], v[67:68], v[81:82]
	v_mul_f64 v[81:82], v[69:70], v[81:82]
	v_add_f64 v[2:3], v[2:3], v[71:72]
	v_add_f64 v[10:11], v[10:11], v[97:98]
	scratch_load_b128 v[71:74], off, off offset:96
	v_fma_f64 v[111:112], v[8:9], v[75:76], v[111:112]
	v_fma_f64 v[75:76], v[6:7], v[75:76], -v[77:78]
	ds_load_b128 v[6:9], v1 offset:480
	v_fma_f64 v[95:96], v[69:70], v[79:80], v[95:96]
	v_fma_f64 v[79:80], v[67:68], v[79:80], -v[81:82]
	ds_load_b128 v[67:70], v1 offset:496
	s_waitcnt vmcnt(6) lgkmcnt(1)
	v_mul_f64 v[77:78], v[6:7], v[85:86]
	v_mul_f64 v[85:86], v[8:9], v[85:86]
	v_add_f64 v[10:11], v[10:11], v[111:112]
	v_add_f64 v[2:3], v[2:3], v[75:76]
	s_waitcnt vmcnt(5) lgkmcnt(0)
	v_mul_f64 v[75:76], v[67:68], v[89:90]
	v_mul_f64 v[81:82], v[69:70], v[89:90]
	v_fma_f64 v[77:78], v[8:9], v[83:84], v[77:78]
	v_fma_f64 v[83:84], v[6:7], v[83:84], -v[85:86]
	ds_load_b128 v[6:9], v1 offset:512
	v_add_f64 v[10:11], v[10:11], v[95:96]
	v_add_f64 v[2:3], v[2:3], v[79:80]
	v_fma_f64 v[75:76], v[69:70], v[87:88], v[75:76]
	v_fma_f64 v[81:82], v[67:68], v[87:88], -v[81:82]
	ds_load_b128 v[67:70], v1 offset:528
	s_waitcnt vmcnt(4) lgkmcnt(1)
	v_mul_f64 v[79:80], v[6:7], v[93:94]
	v_mul_f64 v[85:86], v[8:9], v[93:94]
	v_add_f64 v[10:11], v[10:11], v[77:78]
	v_add_f64 v[2:3], v[2:3], v[83:84]
	s_waitcnt vmcnt(3) lgkmcnt(0)
	v_mul_f64 v[77:78], v[67:68], v[101:102]
	v_mul_f64 v[83:84], v[69:70], v[101:102]
	v_fma_f64 v[79:80], v[8:9], v[91:92], v[79:80]
	v_fma_f64 v[85:86], v[6:7], v[91:92], -v[85:86]
	ds_load_b128 v[6:9], v1 offset:544
	v_add_f64 v[10:11], v[10:11], v[75:76]
	v_add_f64 v[2:3], v[2:3], v[81:82]
	v_fma_f64 v[77:78], v[69:70], v[99:100], v[77:78]
	v_fma_f64 v[83:84], v[67:68], v[99:100], -v[83:84]
	ds_load_b128 v[67:70], v1 offset:560
	s_waitcnt vmcnt(2) lgkmcnt(1)
	v_mul_f64 v[75:76], v[6:7], v[105:106]
	v_mul_f64 v[81:82], v[8:9], v[105:106]
	v_add_f64 v[10:11], v[10:11], v[79:80]
	v_add_f64 v[2:3], v[2:3], v[85:86]
	s_delay_alu instid0(VALU_DEP_4) | instskip(NEXT) | instid1(VALU_DEP_4)
	v_fma_f64 v[8:9], v[8:9], v[103:104], v[75:76]
	v_fma_f64 v[6:7], v[6:7], v[103:104], -v[81:82]
	s_waitcnt vmcnt(1) lgkmcnt(0)
	v_mul_f64 v[79:80], v[67:68], v[109:110]
	v_mul_f64 v[85:86], v[69:70], v[109:110]
	v_add_f64 v[10:11], v[10:11], v[77:78]
	v_add_f64 v[2:3], v[2:3], v[83:84]
	s_delay_alu instid0(VALU_DEP_4) | instskip(NEXT) | instid1(VALU_DEP_4)
	v_fma_f64 v[69:70], v[69:70], v[107:108], v[79:80]
	v_fma_f64 v[67:68], v[67:68], v[107:108], -v[85:86]
	s_delay_alu instid0(VALU_DEP_3) | instskip(SKIP_1) | instid1(VALU_DEP_2)
	v_add_f64 v[2:3], v[2:3], v[6:7]
	v_add_f64 v[6:7], v[10:11], v[8:9]
	;; [unrolled: 1-line block ×3, first 2 shown]
	s_delay_alu instid0(VALU_DEP_2) | instskip(SKIP_1) | instid1(VALU_DEP_2)
	v_add_f64 v[8:9], v[6:7], v[69:70]
	s_waitcnt vmcnt(0)
	v_add_f64 v[6:7], v[71:72], -v[2:3]
	s_delay_alu instid0(VALU_DEP_2)
	v_add_f64 v[8:9], v[73:74], -v[8:9]
	scratch_store_b128 off, v[6:9], off offset:96
	v_cmpx_lt_u32_e32 5, v49
	s_cbranch_execz .LBB81_111
; %bb.110:
	scratch_load_b128 v[6:9], v52, off
	v_mov_b32_e32 v2, v1
	v_mov_b32_e32 v3, v1
	;; [unrolled: 1-line block ×3, first 2 shown]
	scratch_store_b128 off, v[1:4], off offset:80
	s_waitcnt vmcnt(0)
	ds_store_b128 v5, v[6:9]
.LBB81_111:
	s_or_b32 exec_lo, exec_lo, s2
	s_waitcnt lgkmcnt(0)
	s_waitcnt_vscnt null, 0x0
	s_barrier
	buffer_gl0_inv
	s_clause 0x7
	scratch_load_b128 v[6:9], off, off offset:96
	scratch_load_b128 v[67:70], off, off offset:112
	;; [unrolled: 1-line block ×8, first 2 shown]
	ds_load_b128 v[95:98], v1 offset:384
	s_clause 0x1
	scratch_load_b128 v[99:102], off, off offset:224
	scratch_load_b128 v[103:106], off, off offset:240
	s_mov_b32 s2, exec_lo
	s_waitcnt vmcnt(9) lgkmcnt(0)
	v_mul_f64 v[2:3], v[97:98], v[8:9]
	v_mul_f64 v[107:108], v[95:96], v[8:9]
	ds_load_b128 v[8:11], v1 offset:400
	v_fma_f64 v[2:3], v[95:96], v[6:7], -v[2:3]
	v_fma_f64 v[6:7], v[97:98], v[6:7], v[107:108]
	ds_load_b128 v[95:98], v1 offset:416
	s_waitcnt vmcnt(8) lgkmcnt(1)
	v_mul_f64 v[111:112], v[8:9], v[69:70]
	v_mul_f64 v[69:70], v[10:11], v[69:70]
	scratch_load_b128 v[107:110], off, off offset:256
	s_waitcnt vmcnt(8) lgkmcnt(0)
	v_mul_f64 v[113:114], v[95:96], v[73:74]
	v_mul_f64 v[73:74], v[97:98], v[73:74]
	v_add_f64 v[2:3], v[2:3], 0
	v_add_f64 v[115:116], v[6:7], 0
	v_fma_f64 v[10:11], v[10:11], v[67:68], v[111:112]
	v_fma_f64 v[111:112], v[8:9], v[67:68], -v[69:70]
	ds_load_b128 v[6:9], v1 offset:432
	scratch_load_b128 v[67:70], off, off offset:272
	v_fma_f64 v[97:98], v[97:98], v[71:72], v[113:114]
	v_fma_f64 v[95:96], v[95:96], v[71:72], -v[73:74]
	ds_load_b128 v[71:74], v1 offset:448
	s_waitcnt vmcnt(8) lgkmcnt(1)
	v_mul_f64 v[117:118], v[6:7], v[77:78]
	v_mul_f64 v[77:78], v[8:9], v[77:78]
	v_add_f64 v[10:11], v[115:116], v[10:11]
	v_add_f64 v[2:3], v[2:3], v[111:112]
	s_waitcnt vmcnt(7) lgkmcnt(0)
	v_mul_f64 v[111:112], v[71:72], v[81:82]
	v_mul_f64 v[81:82], v[73:74], v[81:82]
	v_fma_f64 v[113:114], v[8:9], v[75:76], v[117:118]
	v_fma_f64 v[75:76], v[6:7], v[75:76], -v[77:78]
	ds_load_b128 v[6:9], v1 offset:464
	v_add_f64 v[10:11], v[10:11], v[97:98]
	v_add_f64 v[2:3], v[2:3], v[95:96]
	v_fma_f64 v[97:98], v[73:74], v[79:80], v[111:112]
	v_fma_f64 v[79:80], v[71:72], v[79:80], -v[81:82]
	ds_load_b128 v[71:74], v1 offset:480
	s_waitcnt vmcnt(6) lgkmcnt(1)
	v_mul_f64 v[95:96], v[6:7], v[85:86]
	v_mul_f64 v[85:86], v[8:9], v[85:86]
	s_waitcnt vmcnt(5) lgkmcnt(0)
	v_mul_f64 v[81:82], v[71:72], v[89:90]
	v_mul_f64 v[89:90], v[73:74], v[89:90]
	v_add_f64 v[10:11], v[10:11], v[113:114]
	v_add_f64 v[2:3], v[2:3], v[75:76]
	scratch_load_b128 v[75:78], off, off offset:80
	v_fma_f64 v[95:96], v[8:9], v[83:84], v[95:96]
	v_fma_f64 v[83:84], v[6:7], v[83:84], -v[85:86]
	ds_load_b128 v[6:9], v1 offset:496
	v_fma_f64 v[81:82], v[73:74], v[87:88], v[81:82]
	v_fma_f64 v[87:88], v[71:72], v[87:88], -v[89:90]
	ds_load_b128 v[71:74], v1 offset:512
	s_waitcnt vmcnt(5) lgkmcnt(1)
	v_mul_f64 v[85:86], v[8:9], v[93:94]
	v_add_f64 v[10:11], v[10:11], v[97:98]
	v_add_f64 v[2:3], v[2:3], v[79:80]
	v_mul_f64 v[79:80], v[6:7], v[93:94]
	s_waitcnt vmcnt(4) lgkmcnt(0)
	v_mul_f64 v[89:90], v[73:74], v[101:102]
	v_fma_f64 v[85:86], v[6:7], v[91:92], -v[85:86]
	v_add_f64 v[10:11], v[10:11], v[95:96]
	v_add_f64 v[2:3], v[2:3], v[83:84]
	v_mul_f64 v[83:84], v[71:72], v[101:102]
	v_fma_f64 v[79:80], v[8:9], v[91:92], v[79:80]
	ds_load_b128 v[6:9], v1 offset:528
	v_fma_f64 v[89:90], v[71:72], v[99:100], -v[89:90]
	v_add_f64 v[10:11], v[10:11], v[81:82]
	v_add_f64 v[2:3], v[2:3], v[87:88]
	v_fma_f64 v[83:84], v[73:74], v[99:100], v[83:84]
	ds_load_b128 v[71:74], v1 offset:544
	s_waitcnt vmcnt(3) lgkmcnt(1)
	v_mul_f64 v[81:82], v[6:7], v[105:106]
	v_mul_f64 v[87:88], v[8:9], v[105:106]
	v_add_f64 v[10:11], v[10:11], v[79:80]
	v_add_f64 v[2:3], v[2:3], v[85:86]
	s_delay_alu instid0(VALU_DEP_4) | instskip(NEXT) | instid1(VALU_DEP_4)
	v_fma_f64 v[8:9], v[8:9], v[103:104], v[81:82]
	v_fma_f64 v[6:7], v[6:7], v[103:104], -v[87:88]
	s_waitcnt vmcnt(2) lgkmcnt(0)
	v_mul_f64 v[79:80], v[71:72], v[109:110]
	v_mul_f64 v[85:86], v[73:74], v[109:110]
	v_add_f64 v[10:11], v[10:11], v[83:84]
	v_add_f64 v[81:82], v[2:3], v[89:90]
	ds_load_b128 v[1:4], v1 offset:560
	v_fma_f64 v[73:74], v[73:74], v[107:108], v[79:80]
	v_fma_f64 v[71:72], v[71:72], v[107:108], -v[85:86]
	s_waitcnt vmcnt(1) lgkmcnt(0)
	v_mul_f64 v[83:84], v[1:2], v[69:70]
	v_mul_f64 v[69:70], v[3:4], v[69:70]
	v_add_f64 v[8:9], v[10:11], v[8:9]
	v_add_f64 v[6:7], v[81:82], v[6:7]
	s_delay_alu instid0(VALU_DEP_4) | instskip(NEXT) | instid1(VALU_DEP_4)
	v_fma_f64 v[3:4], v[3:4], v[67:68], v[83:84]
	v_fma_f64 v[1:2], v[1:2], v[67:68], -v[69:70]
	s_delay_alu instid0(VALU_DEP_4) | instskip(NEXT) | instid1(VALU_DEP_4)
	v_add_f64 v[8:9], v[8:9], v[73:74]
	v_add_f64 v[6:7], v[6:7], v[71:72]
	s_delay_alu instid0(VALU_DEP_2) | instskip(NEXT) | instid1(VALU_DEP_2)
	v_add_f64 v[3:4], v[8:9], v[3:4]
	v_add_f64 v[1:2], v[6:7], v[1:2]
	s_waitcnt vmcnt(0)
	s_delay_alu instid0(VALU_DEP_2) | instskip(NEXT) | instid1(VALU_DEP_2)
	v_add_f64 v[3:4], v[77:78], -v[3:4]
	v_add_f64 v[1:2], v[75:76], -v[1:2]
	scratch_store_b128 off, v[1:4], off offset:80
	v_cmpx_lt_u32_e32 4, v49
	s_cbranch_execz .LBB81_113
; %bb.112:
	scratch_load_b128 v[1:4], v50, off
	v_mov_b32_e32 v6, 0
	s_delay_alu instid0(VALU_DEP_1)
	v_mov_b32_e32 v7, v6
	v_mov_b32_e32 v8, v6
	;; [unrolled: 1-line block ×3, first 2 shown]
	scratch_store_b128 off, v[6:9], off offset:64
	s_waitcnt vmcnt(0)
	ds_store_b128 v5, v[1:4]
.LBB81_113:
	s_or_b32 exec_lo, exec_lo, s2
	s_waitcnt lgkmcnt(0)
	s_waitcnt_vscnt null, 0x0
	s_barrier
	buffer_gl0_inv
	s_clause 0x7
	scratch_load_b128 v[6:9], off, off offset:80
	scratch_load_b128 v[67:70], off, off offset:96
	;; [unrolled: 1-line block ×8, first 2 shown]
	v_mov_b32_e32 v1, 0
	s_clause 0x1
	scratch_load_b128 v[99:102], off, off offset:208
	scratch_load_b128 v[103:106], off, off offset:224
	s_mov_b32 s2, exec_lo
	ds_load_b128 v[95:98], v1 offset:368
	s_waitcnt vmcnt(9) lgkmcnt(0)
	v_mul_f64 v[2:3], v[97:98], v[8:9]
	v_mul_f64 v[107:108], v[95:96], v[8:9]
	ds_load_b128 v[8:11], v1 offset:384
	v_fma_f64 v[2:3], v[95:96], v[6:7], -v[2:3]
	v_fma_f64 v[6:7], v[97:98], v[6:7], v[107:108]
	ds_load_b128 v[95:98], v1 offset:400
	s_waitcnt vmcnt(8) lgkmcnt(1)
	v_mul_f64 v[111:112], v[8:9], v[69:70]
	v_mul_f64 v[69:70], v[10:11], v[69:70]
	scratch_load_b128 v[107:110], off, off offset:240
	s_waitcnt vmcnt(8) lgkmcnt(0)
	v_mul_f64 v[113:114], v[95:96], v[73:74]
	v_mul_f64 v[73:74], v[97:98], v[73:74]
	v_add_f64 v[2:3], v[2:3], 0
	v_add_f64 v[115:116], v[6:7], 0
	v_fma_f64 v[10:11], v[10:11], v[67:68], v[111:112]
	v_fma_f64 v[111:112], v[8:9], v[67:68], -v[69:70]
	ds_load_b128 v[6:9], v1 offset:416
	scratch_load_b128 v[67:70], off, off offset:256
	v_fma_f64 v[113:114], v[97:98], v[71:72], v[113:114]
	v_fma_f64 v[119:120], v[95:96], v[71:72], -v[73:74]
	scratch_load_b128 v[95:98], off, off offset:272
	ds_load_b128 v[71:74], v1 offset:432
	s_waitcnt vmcnt(9) lgkmcnt(1)
	v_mul_f64 v[117:118], v[6:7], v[77:78]
	v_mul_f64 v[77:78], v[8:9], v[77:78]
	v_add_f64 v[10:11], v[115:116], v[10:11]
	v_add_f64 v[2:3], v[2:3], v[111:112]
	s_waitcnt vmcnt(8) lgkmcnt(0)
	v_mul_f64 v[111:112], v[71:72], v[81:82]
	v_mul_f64 v[81:82], v[73:74], v[81:82]
	v_fma_f64 v[115:116], v[8:9], v[75:76], v[117:118]
	v_fma_f64 v[75:76], v[6:7], v[75:76], -v[77:78]
	ds_load_b128 v[6:9], v1 offset:448
	v_add_f64 v[10:11], v[10:11], v[113:114]
	v_add_f64 v[2:3], v[2:3], v[119:120]
	v_fma_f64 v[111:112], v[73:74], v[79:80], v[111:112]
	v_fma_f64 v[79:80], v[71:72], v[79:80], -v[81:82]
	ds_load_b128 v[71:74], v1 offset:464
	s_waitcnt vmcnt(7) lgkmcnt(1)
	v_mul_f64 v[77:78], v[6:7], v[85:86]
	v_mul_f64 v[85:86], v[8:9], v[85:86]
	s_waitcnt vmcnt(6) lgkmcnt(0)
	v_mul_f64 v[81:82], v[71:72], v[89:90]
	v_mul_f64 v[89:90], v[73:74], v[89:90]
	v_add_f64 v[10:11], v[10:11], v[115:116]
	v_add_f64 v[2:3], v[2:3], v[75:76]
	v_fma_f64 v[113:114], v[8:9], v[83:84], v[77:78]
	v_fma_f64 v[83:84], v[6:7], v[83:84], -v[85:86]
	ds_load_b128 v[6:9], v1 offset:480
	scratch_load_b128 v[75:78], off, off offset:64
	v_fma_f64 v[81:82], v[73:74], v[87:88], v[81:82]
	v_fma_f64 v[87:88], v[71:72], v[87:88], -v[89:90]
	ds_load_b128 v[71:74], v1 offset:496
	s_waitcnt vmcnt(6) lgkmcnt(1)
	v_mul_f64 v[85:86], v[8:9], v[93:94]
	v_add_f64 v[10:11], v[10:11], v[111:112]
	v_add_f64 v[2:3], v[2:3], v[79:80]
	v_mul_f64 v[79:80], v[6:7], v[93:94]
	s_waitcnt vmcnt(5) lgkmcnt(0)
	v_mul_f64 v[89:90], v[73:74], v[101:102]
	v_fma_f64 v[85:86], v[6:7], v[91:92], -v[85:86]
	v_add_f64 v[10:11], v[10:11], v[113:114]
	v_add_f64 v[2:3], v[2:3], v[83:84]
	v_mul_f64 v[83:84], v[71:72], v[101:102]
	v_fma_f64 v[79:80], v[8:9], v[91:92], v[79:80]
	ds_load_b128 v[6:9], v1 offset:512
	v_fma_f64 v[89:90], v[71:72], v[99:100], -v[89:90]
	v_add_f64 v[10:11], v[10:11], v[81:82]
	v_add_f64 v[2:3], v[2:3], v[87:88]
	v_fma_f64 v[83:84], v[73:74], v[99:100], v[83:84]
	ds_load_b128 v[71:74], v1 offset:528
	s_waitcnt vmcnt(4) lgkmcnt(1)
	v_mul_f64 v[81:82], v[6:7], v[105:106]
	v_mul_f64 v[87:88], v[8:9], v[105:106]
	v_add_f64 v[10:11], v[10:11], v[79:80]
	v_add_f64 v[2:3], v[2:3], v[85:86]
	s_delay_alu instid0(VALU_DEP_4) | instskip(NEXT) | instid1(VALU_DEP_4)
	v_fma_f64 v[81:82], v[8:9], v[103:104], v[81:82]
	v_fma_f64 v[87:88], v[6:7], v[103:104], -v[87:88]
	ds_load_b128 v[6:9], v1 offset:544
	s_waitcnt vmcnt(3) lgkmcnt(1)
	v_mul_f64 v[79:80], v[71:72], v[109:110]
	v_mul_f64 v[85:86], v[73:74], v[109:110]
	v_add_f64 v[10:11], v[10:11], v[83:84]
	v_add_f64 v[2:3], v[2:3], v[89:90]
	s_delay_alu instid0(VALU_DEP_4)
	v_fma_f64 v[73:74], v[73:74], v[107:108], v[79:80]
	s_waitcnt vmcnt(2) lgkmcnt(0)
	v_mul_f64 v[83:84], v[6:7], v[69:70]
	v_mul_f64 v[89:90], v[8:9], v[69:70]
	v_fma_f64 v[79:80], v[71:72], v[107:108], -v[85:86]
	ds_load_b128 v[69:72], v1 offset:560
	v_add_f64 v[10:11], v[10:11], v[81:82]
	v_add_f64 v[2:3], v[2:3], v[87:88]
	s_waitcnt vmcnt(1) lgkmcnt(0)
	v_mul_f64 v[81:82], v[69:70], v[97:98]
	v_mul_f64 v[85:86], v[71:72], v[97:98]
	v_fma_f64 v[8:9], v[8:9], v[67:68], v[83:84]
	v_fma_f64 v[6:7], v[6:7], v[67:68], -v[89:90]
	v_add_f64 v[10:11], v[10:11], v[73:74]
	v_add_f64 v[2:3], v[2:3], v[79:80]
	v_fma_f64 v[67:68], v[71:72], v[95:96], v[81:82]
	v_fma_f64 v[69:70], v[69:70], v[95:96], -v[85:86]
	s_delay_alu instid0(VALU_DEP_3) | instskip(SKIP_1) | instid1(VALU_DEP_2)
	v_add_f64 v[2:3], v[2:3], v[6:7]
	v_add_f64 v[6:7], v[10:11], v[8:9]
	v_add_f64 v[2:3], v[2:3], v[69:70]
	s_delay_alu instid0(VALU_DEP_2) | instskip(SKIP_1) | instid1(VALU_DEP_2)
	v_add_f64 v[8:9], v[6:7], v[67:68]
	s_waitcnt vmcnt(0)
	v_add_f64 v[6:7], v[75:76], -v[2:3]
	s_delay_alu instid0(VALU_DEP_2)
	v_add_f64 v[8:9], v[77:78], -v[8:9]
	scratch_store_b128 off, v[6:9], off offset:64
	v_cmpx_lt_u32_e32 3, v49
	s_cbranch_execz .LBB81_115
; %bb.114:
	scratch_load_b128 v[6:9], v53, off
	v_mov_b32_e32 v2, v1
	v_mov_b32_e32 v3, v1
	;; [unrolled: 1-line block ×3, first 2 shown]
	scratch_store_b128 off, v[1:4], off offset:48
	s_waitcnt vmcnt(0)
	ds_store_b128 v5, v[6:9]
.LBB81_115:
	s_or_b32 exec_lo, exec_lo, s2
	s_waitcnt lgkmcnt(0)
	s_waitcnt_vscnt null, 0x0
	s_barrier
	buffer_gl0_inv
	s_clause 0x7
	scratch_load_b128 v[6:9], off, off offset:64
	scratch_load_b128 v[67:70], off, off offset:80
	;; [unrolled: 1-line block ×8, first 2 shown]
	ds_load_b128 v[95:98], v1 offset:352
	s_clause 0x1
	scratch_load_b128 v[99:102], off, off offset:192
	scratch_load_b128 v[103:106], off, off offset:208
	s_mov_b32 s2, exec_lo
	s_waitcnt vmcnt(9) lgkmcnt(0)
	v_mul_f64 v[2:3], v[97:98], v[8:9]
	v_mul_f64 v[107:108], v[95:96], v[8:9]
	ds_load_b128 v[8:11], v1 offset:368
	v_fma_f64 v[2:3], v[95:96], v[6:7], -v[2:3]
	v_fma_f64 v[6:7], v[97:98], v[6:7], v[107:108]
	ds_load_b128 v[95:98], v1 offset:384
	s_waitcnt vmcnt(8) lgkmcnt(1)
	v_mul_f64 v[111:112], v[8:9], v[69:70]
	v_mul_f64 v[69:70], v[10:11], v[69:70]
	scratch_load_b128 v[107:110], off, off offset:224
	s_waitcnt vmcnt(8) lgkmcnt(0)
	v_mul_f64 v[113:114], v[95:96], v[73:74]
	v_mul_f64 v[73:74], v[97:98], v[73:74]
	v_add_f64 v[2:3], v[2:3], 0
	v_add_f64 v[115:116], v[6:7], 0
	v_fma_f64 v[10:11], v[10:11], v[67:68], v[111:112]
	v_fma_f64 v[111:112], v[8:9], v[67:68], -v[69:70]
	ds_load_b128 v[6:9], v1 offset:400
	scratch_load_b128 v[67:70], off, off offset:240
	v_fma_f64 v[113:114], v[97:98], v[71:72], v[113:114]
	v_fma_f64 v[119:120], v[95:96], v[71:72], -v[73:74]
	scratch_load_b128 v[95:98], off, off offset:256
	ds_load_b128 v[71:74], v1 offset:416
	s_waitcnt vmcnt(9) lgkmcnt(1)
	v_mul_f64 v[117:118], v[6:7], v[77:78]
	v_mul_f64 v[77:78], v[8:9], v[77:78]
	v_add_f64 v[10:11], v[115:116], v[10:11]
	v_add_f64 v[2:3], v[2:3], v[111:112]
	s_waitcnt vmcnt(8) lgkmcnt(0)
	v_mul_f64 v[111:112], v[71:72], v[81:82]
	v_mul_f64 v[81:82], v[73:74], v[81:82]
	v_fma_f64 v[115:116], v[8:9], v[75:76], v[117:118]
	v_fma_f64 v[117:118], v[6:7], v[75:76], -v[77:78]
	ds_load_b128 v[6:9], v1 offset:432
	scratch_load_b128 v[75:78], off, off offset:272
	v_add_f64 v[10:11], v[10:11], v[113:114]
	v_add_f64 v[2:3], v[2:3], v[119:120]
	v_fma_f64 v[111:112], v[73:74], v[79:80], v[111:112]
	v_fma_f64 v[79:80], v[71:72], v[79:80], -v[81:82]
	ds_load_b128 v[71:74], v1 offset:448
	s_waitcnt vmcnt(8) lgkmcnt(1)
	v_mul_f64 v[113:114], v[6:7], v[85:86]
	v_mul_f64 v[85:86], v[8:9], v[85:86]
	s_waitcnt vmcnt(7) lgkmcnt(0)
	v_mul_f64 v[81:82], v[71:72], v[89:90]
	v_mul_f64 v[89:90], v[73:74], v[89:90]
	v_add_f64 v[10:11], v[10:11], v[115:116]
	v_add_f64 v[2:3], v[2:3], v[117:118]
	v_fma_f64 v[113:114], v[8:9], v[83:84], v[113:114]
	v_fma_f64 v[83:84], v[6:7], v[83:84], -v[85:86]
	ds_load_b128 v[6:9], v1 offset:464
	v_add_f64 v[10:11], v[10:11], v[111:112]
	v_add_f64 v[2:3], v[2:3], v[79:80]
	v_fma_f64 v[111:112], v[73:74], v[87:88], v[81:82]
	v_fma_f64 v[87:88], v[71:72], v[87:88], -v[89:90]
	ds_load_b128 v[71:74], v1 offset:480
	s_waitcnt vmcnt(6) lgkmcnt(1)
	v_mul_f64 v[85:86], v[6:7], v[93:94]
	v_mul_f64 v[93:94], v[8:9], v[93:94]
	scratch_load_b128 v[79:82], off, off offset:48
	s_waitcnt vmcnt(6) lgkmcnt(0)
	v_mul_f64 v[89:90], v[73:74], v[101:102]
	v_add_f64 v[10:11], v[10:11], v[113:114]
	v_add_f64 v[2:3], v[2:3], v[83:84]
	v_mul_f64 v[83:84], v[71:72], v[101:102]
	v_fma_f64 v[85:86], v[8:9], v[91:92], v[85:86]
	v_fma_f64 v[91:92], v[6:7], v[91:92], -v[93:94]
	ds_load_b128 v[6:9], v1 offset:496
	v_fma_f64 v[89:90], v[71:72], v[99:100], -v[89:90]
	v_add_f64 v[10:11], v[10:11], v[111:112]
	v_add_f64 v[2:3], v[2:3], v[87:88]
	v_fma_f64 v[83:84], v[73:74], v[99:100], v[83:84]
	ds_load_b128 v[71:74], v1 offset:512
	s_waitcnt vmcnt(5) lgkmcnt(1)
	v_mul_f64 v[87:88], v[6:7], v[105:106]
	v_mul_f64 v[93:94], v[8:9], v[105:106]
	v_add_f64 v[10:11], v[10:11], v[85:86]
	v_add_f64 v[2:3], v[2:3], v[91:92]
	s_delay_alu instid0(VALU_DEP_4) | instskip(NEXT) | instid1(VALU_DEP_4)
	v_fma_f64 v[87:88], v[8:9], v[103:104], v[87:88]
	v_fma_f64 v[93:94], v[6:7], v[103:104], -v[93:94]
	ds_load_b128 v[6:9], v1 offset:528
	s_waitcnt vmcnt(4) lgkmcnt(1)
	v_mul_f64 v[85:86], v[71:72], v[109:110]
	v_mul_f64 v[91:92], v[73:74], v[109:110]
	v_add_f64 v[10:11], v[10:11], v[83:84]
	v_add_f64 v[2:3], v[2:3], v[89:90]
	s_delay_alu instid0(VALU_DEP_4)
	v_fma_f64 v[73:74], v[73:74], v[107:108], v[85:86]
	s_waitcnt vmcnt(3) lgkmcnt(0)
	v_mul_f64 v[83:84], v[6:7], v[69:70]
	v_mul_f64 v[89:90], v[8:9], v[69:70]
	v_fma_f64 v[85:86], v[71:72], v[107:108], -v[91:92]
	ds_load_b128 v[69:72], v1 offset:544
	v_add_f64 v[10:11], v[10:11], v[87:88]
	v_add_f64 v[2:3], v[2:3], v[93:94]
	s_waitcnt vmcnt(2) lgkmcnt(0)
	v_mul_f64 v[87:88], v[69:70], v[97:98]
	v_mul_f64 v[91:92], v[71:72], v[97:98]
	v_fma_f64 v[8:9], v[8:9], v[67:68], v[83:84]
	v_fma_f64 v[6:7], v[6:7], v[67:68], -v[89:90]
	v_add_f64 v[10:11], v[10:11], v[73:74]
	v_add_f64 v[67:68], v[2:3], v[85:86]
	ds_load_b128 v[1:4], v1 offset:560
	v_fma_f64 v[71:72], v[71:72], v[95:96], v[87:88]
	v_fma_f64 v[69:70], v[69:70], v[95:96], -v[91:92]
	s_waitcnt vmcnt(1) lgkmcnt(0)
	v_mul_f64 v[73:74], v[1:2], v[77:78]
	v_mul_f64 v[77:78], v[3:4], v[77:78]
	v_add_f64 v[8:9], v[10:11], v[8:9]
	v_add_f64 v[6:7], v[67:68], v[6:7]
	s_delay_alu instid0(VALU_DEP_4) | instskip(NEXT) | instid1(VALU_DEP_4)
	v_fma_f64 v[3:4], v[3:4], v[75:76], v[73:74]
	v_fma_f64 v[1:2], v[1:2], v[75:76], -v[77:78]
	s_delay_alu instid0(VALU_DEP_4) | instskip(NEXT) | instid1(VALU_DEP_4)
	v_add_f64 v[8:9], v[8:9], v[71:72]
	v_add_f64 v[6:7], v[6:7], v[69:70]
	s_delay_alu instid0(VALU_DEP_2) | instskip(NEXT) | instid1(VALU_DEP_2)
	v_add_f64 v[3:4], v[8:9], v[3:4]
	v_add_f64 v[1:2], v[6:7], v[1:2]
	s_waitcnt vmcnt(0)
	s_delay_alu instid0(VALU_DEP_2) | instskip(NEXT) | instid1(VALU_DEP_2)
	v_add_f64 v[3:4], v[81:82], -v[3:4]
	v_add_f64 v[1:2], v[79:80], -v[1:2]
	scratch_store_b128 off, v[1:4], off offset:48
	v_cmpx_lt_u32_e32 2, v49
	s_cbranch_execz .LBB81_117
; %bb.116:
	scratch_load_b128 v[1:4], v51, off
	v_mov_b32_e32 v6, 0
	s_delay_alu instid0(VALU_DEP_1)
	v_mov_b32_e32 v7, v6
	v_mov_b32_e32 v8, v6
	;; [unrolled: 1-line block ×3, first 2 shown]
	scratch_store_b128 off, v[6:9], off offset:32
	s_waitcnt vmcnt(0)
	ds_store_b128 v5, v[1:4]
.LBB81_117:
	s_or_b32 exec_lo, exec_lo, s2
	s_waitcnt lgkmcnt(0)
	s_waitcnt_vscnt null, 0x0
	s_barrier
	buffer_gl0_inv
	s_clause 0x7
	scratch_load_b128 v[6:9], off, off offset:48
	scratch_load_b128 v[67:70], off, off offset:64
	;; [unrolled: 1-line block ×8, first 2 shown]
	v_mov_b32_e32 v1, 0
	s_clause 0x1
	scratch_load_b128 v[99:102], off, off offset:176
	scratch_load_b128 v[103:106], off, off offset:192
	s_mov_b32 s2, exec_lo
	ds_load_b128 v[95:98], v1 offset:336
	s_waitcnt vmcnt(9) lgkmcnt(0)
	v_mul_f64 v[2:3], v[97:98], v[8:9]
	v_mul_f64 v[107:108], v[95:96], v[8:9]
	ds_load_b128 v[8:11], v1 offset:352
	v_fma_f64 v[2:3], v[95:96], v[6:7], -v[2:3]
	v_fma_f64 v[6:7], v[97:98], v[6:7], v[107:108]
	ds_load_b128 v[95:98], v1 offset:368
	s_waitcnt vmcnt(8) lgkmcnt(1)
	v_mul_f64 v[111:112], v[8:9], v[69:70]
	v_mul_f64 v[69:70], v[10:11], v[69:70]
	scratch_load_b128 v[107:110], off, off offset:208
	s_waitcnt vmcnt(8) lgkmcnt(0)
	v_mul_f64 v[113:114], v[95:96], v[73:74]
	v_mul_f64 v[73:74], v[97:98], v[73:74]
	v_add_f64 v[2:3], v[2:3], 0
	v_add_f64 v[115:116], v[6:7], 0
	v_fma_f64 v[10:11], v[10:11], v[67:68], v[111:112]
	v_fma_f64 v[111:112], v[8:9], v[67:68], -v[69:70]
	ds_load_b128 v[6:9], v1 offset:384
	scratch_load_b128 v[67:70], off, off offset:224
	v_fma_f64 v[113:114], v[97:98], v[71:72], v[113:114]
	v_fma_f64 v[119:120], v[95:96], v[71:72], -v[73:74]
	scratch_load_b128 v[95:98], off, off offset:240
	ds_load_b128 v[71:74], v1 offset:400
	s_waitcnt vmcnt(9) lgkmcnt(1)
	v_mul_f64 v[117:118], v[6:7], v[77:78]
	v_mul_f64 v[77:78], v[8:9], v[77:78]
	v_add_f64 v[10:11], v[115:116], v[10:11]
	v_add_f64 v[2:3], v[2:3], v[111:112]
	s_waitcnt vmcnt(8) lgkmcnt(0)
	v_mul_f64 v[111:112], v[71:72], v[81:82]
	v_mul_f64 v[81:82], v[73:74], v[81:82]
	v_fma_f64 v[115:116], v[8:9], v[75:76], v[117:118]
	v_fma_f64 v[117:118], v[6:7], v[75:76], -v[77:78]
	ds_load_b128 v[6:9], v1 offset:416
	scratch_load_b128 v[75:78], off, off offset:256
	v_add_f64 v[10:11], v[10:11], v[113:114]
	v_add_f64 v[2:3], v[2:3], v[119:120]
	v_fma_f64 v[111:112], v[73:74], v[79:80], v[111:112]
	v_fma_f64 v[119:120], v[71:72], v[79:80], -v[81:82]
	scratch_load_b128 v[79:82], off, off offset:272
	ds_load_b128 v[71:74], v1 offset:432
	s_waitcnt vmcnt(9) lgkmcnt(1)
	v_mul_f64 v[113:114], v[6:7], v[85:86]
	v_mul_f64 v[85:86], v[8:9], v[85:86]
	v_add_f64 v[10:11], v[10:11], v[115:116]
	v_add_f64 v[2:3], v[2:3], v[117:118]
	s_waitcnt vmcnt(8) lgkmcnt(0)
	v_mul_f64 v[115:116], v[71:72], v[89:90]
	v_mul_f64 v[89:90], v[73:74], v[89:90]
	v_fma_f64 v[113:114], v[8:9], v[83:84], v[113:114]
	v_fma_f64 v[83:84], v[6:7], v[83:84], -v[85:86]
	ds_load_b128 v[6:9], v1 offset:448
	v_add_f64 v[10:11], v[10:11], v[111:112]
	v_add_f64 v[2:3], v[2:3], v[119:120]
	v_fma_f64 v[111:112], v[73:74], v[87:88], v[115:116]
	v_fma_f64 v[87:88], v[71:72], v[87:88], -v[89:90]
	ds_load_b128 v[71:74], v1 offset:464
	s_waitcnt vmcnt(7) lgkmcnt(1)
	v_mul_f64 v[85:86], v[6:7], v[93:94]
	v_mul_f64 v[93:94], v[8:9], v[93:94]
	v_add_f64 v[10:11], v[10:11], v[113:114]
	v_add_f64 v[2:3], v[2:3], v[83:84]
	s_delay_alu instid0(VALU_DEP_4) | instskip(NEXT) | instid1(VALU_DEP_4)
	v_fma_f64 v[113:114], v[8:9], v[91:92], v[85:86]
	v_fma_f64 v[91:92], v[6:7], v[91:92], -v[93:94]
	scratch_load_b128 v[83:86], off, off offset:32
	s_waitcnt vmcnt(7) lgkmcnt(0)
	v_mul_f64 v[89:90], v[71:72], v[101:102]
	v_mul_f64 v[101:102], v[73:74], v[101:102]
	ds_load_b128 v[6:9], v1 offset:480
	v_add_f64 v[10:11], v[10:11], v[111:112]
	v_add_f64 v[2:3], v[2:3], v[87:88]
	v_fma_f64 v[89:90], v[73:74], v[99:100], v[89:90]
	v_fma_f64 v[99:100], v[71:72], v[99:100], -v[101:102]
	ds_load_b128 v[71:74], v1 offset:496
	s_waitcnt vmcnt(6) lgkmcnt(1)
	v_mul_f64 v[87:88], v[6:7], v[105:106]
	v_mul_f64 v[93:94], v[8:9], v[105:106]
	v_add_f64 v[10:11], v[10:11], v[113:114]
	v_add_f64 v[2:3], v[2:3], v[91:92]
	s_delay_alu instid0(VALU_DEP_4) | instskip(NEXT) | instid1(VALU_DEP_4)
	v_fma_f64 v[87:88], v[8:9], v[103:104], v[87:88]
	v_fma_f64 v[93:94], v[6:7], v[103:104], -v[93:94]
	ds_load_b128 v[6:9], v1 offset:512
	s_waitcnt vmcnt(5) lgkmcnt(1)
	v_mul_f64 v[91:92], v[71:72], v[109:110]
	v_mul_f64 v[101:102], v[73:74], v[109:110]
	v_add_f64 v[10:11], v[10:11], v[89:90]
	v_add_f64 v[2:3], v[2:3], v[99:100]
	s_delay_alu instid0(VALU_DEP_4)
	v_fma_f64 v[73:74], v[73:74], v[107:108], v[91:92]
	s_waitcnt vmcnt(4) lgkmcnt(0)
	v_mul_f64 v[89:90], v[6:7], v[69:70]
	v_mul_f64 v[99:100], v[8:9], v[69:70]
	v_fma_f64 v[91:92], v[71:72], v[107:108], -v[101:102]
	ds_load_b128 v[69:72], v1 offset:528
	v_add_f64 v[10:11], v[10:11], v[87:88]
	v_add_f64 v[2:3], v[2:3], v[93:94]
	v_fma_f64 v[89:90], v[8:9], v[67:68], v[89:90]
	v_fma_f64 v[67:68], v[6:7], v[67:68], -v[99:100]
	ds_load_b128 v[6:9], v1 offset:544
	s_waitcnt vmcnt(3) lgkmcnt(1)
	v_mul_f64 v[87:88], v[69:70], v[97:98]
	v_mul_f64 v[93:94], v[71:72], v[97:98]
	v_add_f64 v[10:11], v[10:11], v[73:74]
	v_add_f64 v[2:3], v[2:3], v[91:92]
	s_waitcnt vmcnt(2) lgkmcnt(0)
	v_mul_f64 v[73:74], v[6:7], v[77:78]
	v_mul_f64 v[77:78], v[8:9], v[77:78]
	v_fma_f64 v[71:72], v[71:72], v[95:96], v[87:88]
	v_fma_f64 v[87:88], v[69:70], v[95:96], -v[93:94]
	v_add_f64 v[10:11], v[10:11], v[89:90]
	v_add_f64 v[2:3], v[2:3], v[67:68]
	ds_load_b128 v[67:70], v1 offset:560
	v_fma_f64 v[8:9], v[8:9], v[75:76], v[73:74]
	v_fma_f64 v[6:7], v[6:7], v[75:76], -v[77:78]
	s_waitcnt vmcnt(1) lgkmcnt(0)
	v_mul_f64 v[89:90], v[67:68], v[81:82]
	v_mul_f64 v[81:82], v[69:70], v[81:82]
	v_add_f64 v[10:11], v[10:11], v[71:72]
	v_add_f64 v[2:3], v[2:3], v[87:88]
	s_delay_alu instid0(VALU_DEP_4) | instskip(NEXT) | instid1(VALU_DEP_4)
	v_fma_f64 v[69:70], v[69:70], v[79:80], v[89:90]
	v_fma_f64 v[67:68], v[67:68], v[79:80], -v[81:82]
	s_delay_alu instid0(VALU_DEP_3) | instskip(SKIP_1) | instid1(VALU_DEP_2)
	v_add_f64 v[2:3], v[2:3], v[6:7]
	v_add_f64 v[6:7], v[10:11], v[8:9]
	;; [unrolled: 1-line block ×3, first 2 shown]
	s_delay_alu instid0(VALU_DEP_2) | instskip(SKIP_1) | instid1(VALU_DEP_2)
	v_add_f64 v[8:9], v[6:7], v[69:70]
	s_waitcnt vmcnt(0)
	v_add_f64 v[6:7], v[83:84], -v[2:3]
	s_delay_alu instid0(VALU_DEP_2)
	v_add_f64 v[8:9], v[85:86], -v[8:9]
	scratch_store_b128 off, v[6:9], off offset:32
	v_cmpx_lt_u32_e32 1, v49
	s_cbranch_execz .LBB81_119
; %bb.118:
	scratch_load_b128 v[6:9], v54, off
	v_mov_b32_e32 v2, v1
	v_mov_b32_e32 v3, v1
	;; [unrolled: 1-line block ×3, first 2 shown]
	scratch_store_b128 off, v[1:4], off offset:16
	s_waitcnt vmcnt(0)
	ds_store_b128 v5, v[6:9]
.LBB81_119:
	s_or_b32 exec_lo, exec_lo, s2
	s_waitcnt lgkmcnt(0)
	s_waitcnt_vscnt null, 0x0
	s_barrier
	buffer_gl0_inv
	s_clause 0x7
	scratch_load_b128 v[6:9], off, off offset:32
	scratch_load_b128 v[67:70], off, off offset:48
	scratch_load_b128 v[71:74], off, off offset:64
	scratch_load_b128 v[75:78], off, off offset:80
	scratch_load_b128 v[79:82], off, off offset:96
	scratch_load_b128 v[83:86], off, off offset:112
	scratch_load_b128 v[87:90], off, off offset:128
	scratch_load_b128 v[91:94], off, off offset:144
	ds_load_b128 v[95:98], v1 offset:320
	s_clause 0x1
	scratch_load_b128 v[99:102], off, off offset:160
	scratch_load_b128 v[103:106], off, off offset:176
	s_mov_b32 s2, exec_lo
	s_waitcnt vmcnt(9) lgkmcnt(0)
	v_mul_f64 v[2:3], v[97:98], v[8:9]
	v_mul_f64 v[107:108], v[95:96], v[8:9]
	ds_load_b128 v[8:11], v1 offset:336
	v_fma_f64 v[2:3], v[95:96], v[6:7], -v[2:3]
	v_fma_f64 v[6:7], v[97:98], v[6:7], v[107:108]
	ds_load_b128 v[95:98], v1 offset:352
	s_waitcnt vmcnt(8) lgkmcnt(1)
	v_mul_f64 v[111:112], v[8:9], v[69:70]
	v_mul_f64 v[69:70], v[10:11], v[69:70]
	scratch_load_b128 v[107:110], off, off offset:192
	s_waitcnt vmcnt(8) lgkmcnt(0)
	v_mul_f64 v[113:114], v[95:96], v[73:74]
	v_mul_f64 v[73:74], v[97:98], v[73:74]
	v_add_f64 v[2:3], v[2:3], 0
	v_add_f64 v[115:116], v[6:7], 0
	v_fma_f64 v[10:11], v[10:11], v[67:68], v[111:112]
	v_fma_f64 v[111:112], v[8:9], v[67:68], -v[69:70]
	ds_load_b128 v[6:9], v1 offset:368
	scratch_load_b128 v[67:70], off, off offset:208
	v_fma_f64 v[113:114], v[97:98], v[71:72], v[113:114]
	v_fma_f64 v[119:120], v[95:96], v[71:72], -v[73:74]
	scratch_load_b128 v[95:98], off, off offset:224
	ds_load_b128 v[71:74], v1 offset:384
	s_waitcnt vmcnt(9) lgkmcnt(1)
	v_mul_f64 v[117:118], v[6:7], v[77:78]
	v_mul_f64 v[77:78], v[8:9], v[77:78]
	v_add_f64 v[10:11], v[115:116], v[10:11]
	v_add_f64 v[2:3], v[2:3], v[111:112]
	s_waitcnt vmcnt(8) lgkmcnt(0)
	v_mul_f64 v[111:112], v[71:72], v[81:82]
	v_mul_f64 v[81:82], v[73:74], v[81:82]
	v_fma_f64 v[115:116], v[8:9], v[75:76], v[117:118]
	v_fma_f64 v[117:118], v[6:7], v[75:76], -v[77:78]
	ds_load_b128 v[6:9], v1 offset:400
	scratch_load_b128 v[75:78], off, off offset:240
	v_add_f64 v[10:11], v[10:11], v[113:114]
	v_add_f64 v[2:3], v[2:3], v[119:120]
	v_fma_f64 v[111:112], v[73:74], v[79:80], v[111:112]
	v_fma_f64 v[119:120], v[71:72], v[79:80], -v[81:82]
	scratch_load_b128 v[79:82], off, off offset:256
	ds_load_b128 v[71:74], v1 offset:416
	s_waitcnt vmcnt(9) lgkmcnt(1)
	v_mul_f64 v[113:114], v[6:7], v[85:86]
	v_mul_f64 v[85:86], v[8:9], v[85:86]
	v_add_f64 v[10:11], v[10:11], v[115:116]
	v_add_f64 v[2:3], v[2:3], v[117:118]
	s_waitcnt vmcnt(8) lgkmcnt(0)
	v_mul_f64 v[115:116], v[71:72], v[89:90]
	v_mul_f64 v[89:90], v[73:74], v[89:90]
	v_fma_f64 v[113:114], v[8:9], v[83:84], v[113:114]
	v_fma_f64 v[117:118], v[6:7], v[83:84], -v[85:86]
	ds_load_b128 v[6:9], v1 offset:432
	scratch_load_b128 v[83:86], off, off offset:272
	v_add_f64 v[10:11], v[10:11], v[111:112]
	v_add_f64 v[2:3], v[2:3], v[119:120]
	v_fma_f64 v[115:116], v[73:74], v[87:88], v[115:116]
	v_fma_f64 v[87:88], v[71:72], v[87:88], -v[89:90]
	ds_load_b128 v[71:74], v1 offset:448
	s_waitcnt vmcnt(8) lgkmcnt(1)
	v_mul_f64 v[111:112], v[6:7], v[93:94]
	v_mul_f64 v[93:94], v[8:9], v[93:94]
	s_waitcnt vmcnt(7) lgkmcnt(0)
	v_mul_f64 v[89:90], v[71:72], v[101:102]
	v_mul_f64 v[101:102], v[73:74], v[101:102]
	v_add_f64 v[10:11], v[10:11], v[113:114]
	v_add_f64 v[2:3], v[2:3], v[117:118]
	v_fma_f64 v[111:112], v[8:9], v[91:92], v[111:112]
	v_fma_f64 v[91:92], v[6:7], v[91:92], -v[93:94]
	ds_load_b128 v[6:9], v1 offset:464
	v_fma_f64 v[113:114], v[73:74], v[99:100], v[89:90]
	v_fma_f64 v[99:100], v[71:72], v[99:100], -v[101:102]
	ds_load_b128 v[71:74], v1 offset:480
	v_add_f64 v[10:11], v[10:11], v[115:116]
	v_add_f64 v[2:3], v[2:3], v[87:88]
	scratch_load_b128 v[87:90], off, off offset:16
	s_waitcnt vmcnt(7) lgkmcnt(1)
	v_mul_f64 v[93:94], v[6:7], v[105:106]
	v_mul_f64 v[105:106], v[8:9], v[105:106]
	v_add_f64 v[10:11], v[10:11], v[111:112]
	v_add_f64 v[2:3], v[2:3], v[91:92]
	s_delay_alu instid0(VALU_DEP_4) | instskip(NEXT) | instid1(VALU_DEP_4)
	v_fma_f64 v[93:94], v[8:9], v[103:104], v[93:94]
	v_fma_f64 v[103:104], v[6:7], v[103:104], -v[105:106]
	ds_load_b128 v[6:9], v1 offset:496
	s_waitcnt vmcnt(6) lgkmcnt(1)
	v_mul_f64 v[91:92], v[71:72], v[109:110]
	v_mul_f64 v[101:102], v[73:74], v[109:110]
	v_add_f64 v[10:11], v[10:11], v[113:114]
	v_add_f64 v[2:3], v[2:3], v[99:100]
	s_delay_alu instid0(VALU_DEP_4)
	v_fma_f64 v[73:74], v[73:74], v[107:108], v[91:92]
	s_waitcnt vmcnt(5) lgkmcnt(0)
	v_mul_f64 v[99:100], v[6:7], v[69:70]
	v_mul_f64 v[105:106], v[8:9], v[69:70]
	v_fma_f64 v[91:92], v[71:72], v[107:108], -v[101:102]
	ds_load_b128 v[69:72], v1 offset:512
	v_add_f64 v[10:11], v[10:11], v[93:94]
	v_add_f64 v[2:3], v[2:3], v[103:104]
	v_fma_f64 v[99:100], v[8:9], v[67:68], v[99:100]
	v_fma_f64 v[67:68], v[6:7], v[67:68], -v[105:106]
	ds_load_b128 v[6:9], v1 offset:528
	s_waitcnt vmcnt(4) lgkmcnt(1)
	v_mul_f64 v[93:94], v[69:70], v[97:98]
	v_mul_f64 v[97:98], v[71:72], v[97:98]
	v_add_f64 v[10:11], v[10:11], v[73:74]
	v_add_f64 v[2:3], v[2:3], v[91:92]
	s_waitcnt vmcnt(3) lgkmcnt(0)
	v_mul_f64 v[73:74], v[6:7], v[77:78]
	v_mul_f64 v[77:78], v[8:9], v[77:78]
	v_fma_f64 v[71:72], v[71:72], v[95:96], v[93:94]
	v_fma_f64 v[91:92], v[69:70], v[95:96], -v[97:98]
	v_add_f64 v[10:11], v[10:11], v[99:100]
	v_add_f64 v[2:3], v[2:3], v[67:68]
	ds_load_b128 v[67:70], v1 offset:544
	v_fma_f64 v[8:9], v[8:9], v[75:76], v[73:74]
	v_fma_f64 v[6:7], v[6:7], v[75:76], -v[77:78]
	s_waitcnt vmcnt(2) lgkmcnt(0)
	v_mul_f64 v[93:94], v[67:68], v[81:82]
	v_mul_f64 v[81:82], v[69:70], v[81:82]
	v_add_f64 v[10:11], v[10:11], v[71:72]
	v_add_f64 v[73:74], v[2:3], v[91:92]
	ds_load_b128 v[1:4], v1 offset:560
	s_waitcnt vmcnt(1) lgkmcnt(0)
	v_mul_f64 v[71:72], v[1:2], v[85:86]
	v_mul_f64 v[75:76], v[3:4], v[85:86]
	v_fma_f64 v[69:70], v[69:70], v[79:80], v[93:94]
	v_fma_f64 v[67:68], v[67:68], v[79:80], -v[81:82]
	v_add_f64 v[8:9], v[10:11], v[8:9]
	v_add_f64 v[6:7], v[73:74], v[6:7]
	v_fma_f64 v[3:4], v[3:4], v[83:84], v[71:72]
	v_fma_f64 v[1:2], v[1:2], v[83:84], -v[75:76]
	s_delay_alu instid0(VALU_DEP_4) | instskip(NEXT) | instid1(VALU_DEP_4)
	v_add_f64 v[8:9], v[8:9], v[69:70]
	v_add_f64 v[6:7], v[6:7], v[67:68]
	s_delay_alu instid0(VALU_DEP_2) | instskip(NEXT) | instid1(VALU_DEP_2)
	v_add_f64 v[3:4], v[8:9], v[3:4]
	v_add_f64 v[1:2], v[6:7], v[1:2]
	s_waitcnt vmcnt(0)
	s_delay_alu instid0(VALU_DEP_2) | instskip(NEXT) | instid1(VALU_DEP_2)
	v_add_f64 v[3:4], v[89:90], -v[3:4]
	v_add_f64 v[1:2], v[87:88], -v[1:2]
	scratch_store_b128 off, v[1:4], off offset:16
	v_cmpx_ne_u32_e32 0, v49
	s_cbranch_execz .LBB81_121
; %bb.120:
	scratch_load_b128 v[1:4], off, off
	v_mov_b32_e32 v6, 0
	s_delay_alu instid0(VALU_DEP_1)
	v_mov_b32_e32 v7, v6
	v_mov_b32_e32 v8, v6
	;; [unrolled: 1-line block ×3, first 2 shown]
	scratch_store_b128 off, v[6:9], off
	s_waitcnt vmcnt(0)
	ds_store_b128 v5, v[1:4]
.LBB81_121:
	s_or_b32 exec_lo, exec_lo, s2
	s_waitcnt lgkmcnt(0)
	s_waitcnt_vscnt null, 0x0
	s_barrier
	buffer_gl0_inv
	s_clause 0x7
	scratch_load_b128 v[1:4], off, off offset:16
	scratch_load_b128 v[5:8], off, off offset:32
	;; [unrolled: 1-line block ×8, first 2 shown]
	v_mov_b32_e32 v117, 0
	s_clause 0x1
	scratch_load_b128 v[91:94], off, off offset:144
	scratch_load_b128 v[99:102], off, off offset:160
	s_and_b32 vcc_lo, exec_lo, s14
	ds_load_b128 v[87:90], v117 offset:304
	ds_load_b128 v[95:98], v117 offset:320
	s_waitcnt vmcnt(9) lgkmcnt(1)
	v_mul_f64 v[103:104], v[89:90], v[3:4]
	v_mul_f64 v[3:4], v[87:88], v[3:4]
	s_waitcnt vmcnt(8) lgkmcnt(0)
	v_mul_f64 v[105:106], v[95:96], v[7:8]
	v_mul_f64 v[7:8], v[97:98], v[7:8]
	s_delay_alu instid0(VALU_DEP_4) | instskip(NEXT) | instid1(VALU_DEP_4)
	v_fma_f64 v[103:104], v[87:88], v[1:2], -v[103:104]
	v_fma_f64 v[107:108], v[89:90], v[1:2], v[3:4]
	ds_load_b128 v[1:4], v117 offset:336
	scratch_load_b128 v[87:90], off, off offset:176
	v_fma_f64 v[105:106], v[97:98], v[5:6], v[105:106]
	v_fma_f64 v[111:112], v[95:96], v[5:6], -v[7:8]
	ds_load_b128 v[5:8], v117 offset:352
	scratch_load_b128 v[95:98], off, off offset:192
	s_waitcnt vmcnt(9) lgkmcnt(1)
	v_mul_f64 v[109:110], v[1:2], v[11:12]
	v_mul_f64 v[11:12], v[3:4], v[11:12]
	s_waitcnt vmcnt(8) lgkmcnt(0)
	v_mul_f64 v[113:114], v[5:6], v[69:70]
	v_mul_f64 v[69:70], v[7:8], v[69:70]
	v_add_f64 v[103:104], v[103:104], 0
	v_add_f64 v[107:108], v[107:108], 0
	v_fma_f64 v[109:110], v[3:4], v[9:10], v[109:110]
	v_fma_f64 v[115:116], v[1:2], v[9:10], -v[11:12]
	scratch_load_b128 v[9:12], off, off offset:208
	ds_load_b128 v[1:4], v117 offset:368
	v_add_f64 v[103:104], v[103:104], v[111:112]
	v_add_f64 v[105:106], v[107:108], v[105:106]
	v_fma_f64 v[111:112], v[7:8], v[67:68], v[113:114]
	v_fma_f64 v[113:114], v[5:6], v[67:68], -v[69:70]
	ds_load_b128 v[5:8], v117 offset:384
	scratch_load_b128 v[67:70], off, off offset:224
	s_waitcnt vmcnt(9) lgkmcnt(1)
	v_mul_f64 v[107:108], v[1:2], v[73:74]
	v_mul_f64 v[73:74], v[3:4], v[73:74]
	v_add_f64 v[103:104], v[103:104], v[115:116]
	v_add_f64 v[105:106], v[105:106], v[109:110]
	s_waitcnt vmcnt(8) lgkmcnt(0)
	v_mul_f64 v[109:110], v[5:6], v[77:78]
	v_mul_f64 v[77:78], v[7:8], v[77:78]
	v_fma_f64 v[107:108], v[3:4], v[71:72], v[107:108]
	v_fma_f64 v[115:116], v[1:2], v[71:72], -v[73:74]
	scratch_load_b128 v[71:74], off, off offset:240
	ds_load_b128 v[1:4], v117 offset:400
	v_add_f64 v[103:104], v[103:104], v[113:114]
	v_add_f64 v[105:106], v[105:106], v[111:112]
	v_fma_f64 v[109:110], v[7:8], v[75:76], v[109:110]
	v_fma_f64 v[113:114], v[5:6], v[75:76], -v[77:78]
	ds_load_b128 v[5:8], v117 offset:416
	s_waitcnt vmcnt(8) lgkmcnt(1)
	v_mul_f64 v[111:112], v[1:2], v[81:82]
	v_mul_f64 v[81:82], v[3:4], v[81:82]
	scratch_load_b128 v[75:78], off, off offset:256
	v_add_f64 v[103:104], v[103:104], v[115:116]
	v_add_f64 v[105:106], v[105:106], v[107:108]
	s_waitcnt vmcnt(8) lgkmcnt(0)
	v_mul_f64 v[107:108], v[5:6], v[85:86]
	v_mul_f64 v[85:86], v[7:8], v[85:86]
	v_fma_f64 v[111:112], v[3:4], v[79:80], v[111:112]
	v_fma_f64 v[115:116], v[1:2], v[79:80], -v[81:82]
	scratch_load_b128 v[79:82], off, off offset:272
	ds_load_b128 v[1:4], v117 offset:432
	v_add_f64 v[103:104], v[103:104], v[113:114]
	v_add_f64 v[105:106], v[105:106], v[109:110]
	v_fma_f64 v[107:108], v[7:8], v[83:84], v[107:108]
	v_fma_f64 v[83:84], v[5:6], v[83:84], -v[85:86]
	ds_load_b128 v[5:8], v117 offset:448
	s_waitcnt vmcnt(8) lgkmcnt(1)
	v_mul_f64 v[109:110], v[1:2], v[93:94]
	v_mul_f64 v[93:94], v[3:4], v[93:94]
	v_add_f64 v[85:86], v[103:104], v[115:116]
	v_add_f64 v[103:104], v[105:106], v[111:112]
	s_waitcnt vmcnt(7) lgkmcnt(0)
	v_mul_f64 v[105:106], v[5:6], v[101:102]
	v_mul_f64 v[101:102], v[7:8], v[101:102]
	v_fma_f64 v[109:110], v[3:4], v[91:92], v[109:110]
	v_fma_f64 v[91:92], v[1:2], v[91:92], -v[93:94]
	ds_load_b128 v[1:4], v117 offset:464
	v_add_f64 v[83:84], v[85:86], v[83:84]
	v_add_f64 v[85:86], v[103:104], v[107:108]
	v_fma_f64 v[103:104], v[7:8], v[99:100], v[105:106]
	v_fma_f64 v[99:100], v[5:6], v[99:100], -v[101:102]
	ds_load_b128 v[5:8], v117 offset:480
	s_waitcnt vmcnt(5) lgkmcnt(0)
	v_mul_f64 v[105:106], v[5:6], v[97:98]
	v_mul_f64 v[97:98], v[7:8], v[97:98]
	v_add_f64 v[91:92], v[83:84], v[91:92]
	v_add_f64 v[101:102], v[85:86], v[109:110]
	scratch_load_b128 v[83:86], off, off
	v_mul_f64 v[93:94], v[1:2], v[89:90]
	v_mul_f64 v[89:90], v[3:4], v[89:90]
	s_delay_alu instid0(VALU_DEP_2) | instskip(NEXT) | instid1(VALU_DEP_2)
	v_fma_f64 v[93:94], v[3:4], v[87:88], v[93:94]
	v_fma_f64 v[87:88], v[1:2], v[87:88], -v[89:90]
	v_add_f64 v[89:90], v[91:92], v[99:100]
	v_add_f64 v[91:92], v[101:102], v[103:104]
	ds_load_b128 v[1:4], v117 offset:496
	v_fma_f64 v[101:102], v[7:8], v[95:96], v[105:106]
	v_fma_f64 v[95:96], v[5:6], v[95:96], -v[97:98]
	ds_load_b128 v[5:8], v117 offset:512
	s_waitcnt vmcnt(5) lgkmcnt(1)
	v_mul_f64 v[99:100], v[1:2], v[11:12]
	v_mul_f64 v[11:12], v[3:4], v[11:12]
	v_add_f64 v[87:88], v[89:90], v[87:88]
	v_add_f64 v[89:90], v[91:92], v[93:94]
	s_waitcnt vmcnt(4) lgkmcnt(0)
	v_mul_f64 v[91:92], v[5:6], v[69:70]
	v_mul_f64 v[69:70], v[7:8], v[69:70]
	v_fma_f64 v[93:94], v[3:4], v[9:10], v[99:100]
	v_fma_f64 v[9:10], v[1:2], v[9:10], -v[11:12]
	ds_load_b128 v[1:4], v117 offset:528
	v_add_f64 v[11:12], v[87:88], v[95:96]
	v_add_f64 v[87:88], v[89:90], v[101:102]
	v_fma_f64 v[91:92], v[7:8], v[67:68], v[91:92]
	v_fma_f64 v[67:68], v[5:6], v[67:68], -v[69:70]
	ds_load_b128 v[5:8], v117 offset:544
	s_waitcnt vmcnt(3) lgkmcnt(1)
	v_mul_f64 v[89:90], v[1:2], v[73:74]
	v_mul_f64 v[73:74], v[3:4], v[73:74]
	s_waitcnt vmcnt(2) lgkmcnt(0)
	v_mul_f64 v[69:70], v[5:6], v[77:78]
	v_mul_f64 v[77:78], v[7:8], v[77:78]
	v_add_f64 v[9:10], v[11:12], v[9:10]
	v_add_f64 v[11:12], v[87:88], v[93:94]
	v_fma_f64 v[87:88], v[3:4], v[71:72], v[89:90]
	v_fma_f64 v[71:72], v[1:2], v[71:72], -v[73:74]
	ds_load_b128 v[1:4], v117 offset:560
	v_fma_f64 v[7:8], v[7:8], v[75:76], v[69:70]
	v_fma_f64 v[5:6], v[5:6], v[75:76], -v[77:78]
	s_waitcnt vmcnt(1) lgkmcnt(0)
	v_mul_f64 v[73:74], v[3:4], v[81:82]
	v_add_f64 v[9:10], v[9:10], v[67:68]
	v_add_f64 v[11:12], v[11:12], v[91:92]
	v_mul_f64 v[67:68], v[1:2], v[81:82]
	s_delay_alu instid0(VALU_DEP_4) | instskip(NEXT) | instid1(VALU_DEP_4)
	v_fma_f64 v[1:2], v[1:2], v[79:80], -v[73:74]
	v_add_f64 v[9:10], v[9:10], v[71:72]
	s_delay_alu instid0(VALU_DEP_4) | instskip(NEXT) | instid1(VALU_DEP_4)
	v_add_f64 v[11:12], v[11:12], v[87:88]
	v_fma_f64 v[3:4], v[3:4], v[79:80], v[67:68]
	s_delay_alu instid0(VALU_DEP_3) | instskip(NEXT) | instid1(VALU_DEP_3)
	v_add_f64 v[5:6], v[9:10], v[5:6]
	v_add_f64 v[7:8], v[11:12], v[7:8]
	s_delay_alu instid0(VALU_DEP_2) | instskip(NEXT) | instid1(VALU_DEP_2)
	v_add_f64 v[1:2], v[5:6], v[1:2]
	v_add_f64 v[3:4], v[7:8], v[3:4]
	s_waitcnt vmcnt(0)
	s_delay_alu instid0(VALU_DEP_2) | instskip(NEXT) | instid1(VALU_DEP_2)
	v_add_f64 v[1:2], v[83:84], -v[1:2]
	v_add_f64 v[3:4], v[85:86], -v[3:4]
	scratch_store_b128 off, v[1:4], off
	s_cbranch_vccz .LBB81_157
; %bb.122:
	v_dual_mov_b32 v1, s8 :: v_dual_mov_b32 v2, s9
	s_load_b64 s[0:1], s[0:1], 0x4
	flat_load_b32 v1, v[1:2] offset:64
	v_bfe_u32 v2, v0, 10, 10
	v_bfe_u32 v0, v0, 20, 10
	s_waitcnt lgkmcnt(0)
	s_lshr_b32 s0, s0, 16
	s_delay_alu instid0(VALU_DEP_2) | instskip(SKIP_1) | instid1(SALU_CYCLE_1)
	v_mul_u32_u24_e32 v2, s1, v2
	s_mul_i32 s0, s0, s1
	v_mul_u32_u24_e32 v3, s0, v49
	s_mov_b32 s0, exec_lo
	s_delay_alu instid0(VALU_DEP_1) | instskip(NEXT) | instid1(VALU_DEP_1)
	v_add3_u32 v0, v3, v2, v0
	v_lshl_add_u32 v0, v0, 4, 0x248
	s_waitcnt vmcnt(0)
	v_cmpx_ne_u32_e32 17, v1
	s_cbranch_execz .LBB81_124
; %bb.123:
	v_lshl_add_u32 v9, v1, 4, 0
	s_clause 0x1
	scratch_load_b128 v[1:4], v66, off
	scratch_load_b128 v[5:8], v9, off offset:-16
	s_waitcnt vmcnt(1)
	ds_store_2addr_b64 v0, v[1:2], v[3:4] offset1:1
	s_waitcnt vmcnt(0)
	s_clause 0x1
	scratch_store_b128 v66, v[5:8], off
	scratch_store_b128 v9, v[1:4], off offset:-16
.LBB81_124:
	s_or_b32 exec_lo, exec_lo, s0
	v_dual_mov_b32 v1, s8 :: v_dual_mov_b32 v2, s9
	s_mov_b32 s0, exec_lo
	flat_load_b32 v1, v[1:2] offset:60
	s_waitcnt vmcnt(0) lgkmcnt(0)
	v_cmpx_ne_u32_e32 16, v1
	s_cbranch_execz .LBB81_126
; %bb.125:
	v_lshl_add_u32 v9, v1, 4, 0
	s_clause 0x1
	scratch_load_b128 v[1:4], v63, off
	scratch_load_b128 v[5:8], v9, off offset:-16
	s_waitcnt vmcnt(1)
	ds_store_2addr_b64 v0, v[1:2], v[3:4] offset1:1
	s_waitcnt vmcnt(0)
	s_clause 0x1
	scratch_store_b128 v63, v[5:8], off
	scratch_store_b128 v9, v[1:4], off offset:-16
.LBB81_126:
	s_or_b32 exec_lo, exec_lo, s0
	v_dual_mov_b32 v1, s8 :: v_dual_mov_b32 v2, s9
	s_mov_b32 s0, exec_lo
	flat_load_b32 v1, v[1:2] offset:56
	s_waitcnt vmcnt(0) lgkmcnt(0)
	;; [unrolled: 19-line block ×15, first 2 shown]
	v_cmpx_ne_u32_e32 2, v1
	s_cbranch_execz .LBB81_154
; %bb.153:
	v_lshl_add_u32 v9, v1, 4, 0
	s_clause 0x1
	scratch_load_b128 v[1:4], v54, off
	scratch_load_b128 v[5:8], v9, off offset:-16
	s_waitcnt vmcnt(1)
	ds_store_2addr_b64 v0, v[1:2], v[3:4] offset1:1
	s_waitcnt vmcnt(0)
	s_clause 0x1
	scratch_store_b128 v54, v[5:8], off
	scratch_store_b128 v9, v[1:4], off offset:-16
.LBB81_154:
	s_or_b32 exec_lo, exec_lo, s0
	v_dual_mov_b32 v1, s8 :: v_dual_mov_b32 v2, s9
	s_mov_b32 s0, exec_lo
	flat_load_b32 v1, v[1:2]
	s_waitcnt vmcnt(0) lgkmcnt(0)
	v_cmpx_ne_u32_e32 1, v1
	s_cbranch_execz .LBB81_156
; %bb.155:
	v_lshl_add_u32 v9, v1, 4, 0
	scratch_load_b128 v[1:4], off, off
	scratch_load_b128 v[5:8], v9, off offset:-16
	s_waitcnt vmcnt(1)
	ds_store_2addr_b64 v0, v[1:2], v[3:4] offset1:1
	s_waitcnt vmcnt(0)
	scratch_store_b128 off, v[5:8], off
	scratch_store_b128 v9, v[1:4], off offset:-16
.LBB81_156:
	s_or_b32 exec_lo, exec_lo, s0
.LBB81_157:
	scratch_load_b128 v[0:3], off, off
	s_clause 0x10
	scratch_load_b128 v[4:7], v54, off
	scratch_load_b128 v[8:11], v51, off
	;; [unrolled: 1-line block ×17, first 2 shown]
	s_waitcnt vmcnt(17)
	global_store_b128 v[13:14], v[0:3], off
	s_waitcnt vmcnt(16)
	global_store_b128 v[15:16], v[4:7], off
	;; [unrolled: 2-line block ×18, first 2 shown]
	s_endpgm
	.section	.rodata,"a",@progbits
	.p2align	6, 0x0
	.amdhsa_kernel _ZN9rocsolver6v33100L18getri_kernel_smallILi18E19rocblas_complex_numIdEPKPS3_EEvT1_iilPiilS8_bb
		.amdhsa_group_segment_fixed_size 1608
		.amdhsa_private_segment_fixed_size 304
		.amdhsa_kernarg_size 60
		.amdhsa_user_sgpr_count 15
		.amdhsa_user_sgpr_dispatch_ptr 1
		.amdhsa_user_sgpr_queue_ptr 0
		.amdhsa_user_sgpr_kernarg_segment_ptr 1
		.amdhsa_user_sgpr_dispatch_id 0
		.amdhsa_user_sgpr_private_segment_size 0
		.amdhsa_wavefront_size32 1
		.amdhsa_uses_dynamic_stack 0
		.amdhsa_enable_private_segment 1
		.amdhsa_system_sgpr_workgroup_id_x 1
		.amdhsa_system_sgpr_workgroup_id_y 0
		.amdhsa_system_sgpr_workgroup_id_z 0
		.amdhsa_system_sgpr_workgroup_info 0
		.amdhsa_system_vgpr_workitem_id 2
		.amdhsa_next_free_vgpr 121
		.amdhsa_next_free_sgpr 19
		.amdhsa_reserve_vcc 1
		.amdhsa_float_round_mode_32 0
		.amdhsa_float_round_mode_16_64 0
		.amdhsa_float_denorm_mode_32 3
		.amdhsa_float_denorm_mode_16_64 3
		.amdhsa_dx10_clamp 1
		.amdhsa_ieee_mode 1
		.amdhsa_fp16_overflow 0
		.amdhsa_workgroup_processor_mode 1
		.amdhsa_memory_ordered 1
		.amdhsa_forward_progress 0
		.amdhsa_shared_vgpr_count 0
		.amdhsa_exception_fp_ieee_invalid_op 0
		.amdhsa_exception_fp_denorm_src 0
		.amdhsa_exception_fp_ieee_div_zero 0
		.amdhsa_exception_fp_ieee_overflow 0
		.amdhsa_exception_fp_ieee_underflow 0
		.amdhsa_exception_fp_ieee_inexact 0
		.amdhsa_exception_int_div_zero 0
	.end_amdhsa_kernel
	.section	.text._ZN9rocsolver6v33100L18getri_kernel_smallILi18E19rocblas_complex_numIdEPKPS3_EEvT1_iilPiilS8_bb,"axG",@progbits,_ZN9rocsolver6v33100L18getri_kernel_smallILi18E19rocblas_complex_numIdEPKPS3_EEvT1_iilPiilS8_bb,comdat
.Lfunc_end81:
	.size	_ZN9rocsolver6v33100L18getri_kernel_smallILi18E19rocblas_complex_numIdEPKPS3_EEvT1_iilPiilS8_bb, .Lfunc_end81-_ZN9rocsolver6v33100L18getri_kernel_smallILi18E19rocblas_complex_numIdEPKPS3_EEvT1_iilPiilS8_bb
                                        ; -- End function
	.section	.AMDGPU.csdata,"",@progbits
; Kernel info:
; codeLenInByte = 21996
; NumSgprs: 21
; NumVgprs: 121
; ScratchSize: 304
; MemoryBound: 0
; FloatMode: 240
; IeeeMode: 1
; LDSByteSize: 1608 bytes/workgroup (compile time only)
; SGPRBlocks: 2
; VGPRBlocks: 15
; NumSGPRsForWavesPerEU: 21
; NumVGPRsForWavesPerEU: 121
; Occupancy: 10
; WaveLimiterHint : 1
; COMPUTE_PGM_RSRC2:SCRATCH_EN: 1
; COMPUTE_PGM_RSRC2:USER_SGPR: 15
; COMPUTE_PGM_RSRC2:TRAP_HANDLER: 0
; COMPUTE_PGM_RSRC2:TGID_X_EN: 1
; COMPUTE_PGM_RSRC2:TGID_Y_EN: 0
; COMPUTE_PGM_RSRC2:TGID_Z_EN: 0
; COMPUTE_PGM_RSRC2:TIDIG_COMP_CNT: 2
	.section	.text._ZN9rocsolver6v33100L18getri_kernel_smallILi19E19rocblas_complex_numIdEPKPS3_EEvT1_iilPiilS8_bb,"axG",@progbits,_ZN9rocsolver6v33100L18getri_kernel_smallILi19E19rocblas_complex_numIdEPKPS3_EEvT1_iilPiilS8_bb,comdat
	.globl	_ZN9rocsolver6v33100L18getri_kernel_smallILi19E19rocblas_complex_numIdEPKPS3_EEvT1_iilPiilS8_bb ; -- Begin function _ZN9rocsolver6v33100L18getri_kernel_smallILi19E19rocblas_complex_numIdEPKPS3_EEvT1_iilPiilS8_bb
	.p2align	8
	.type	_ZN9rocsolver6v33100L18getri_kernel_smallILi19E19rocblas_complex_numIdEPKPS3_EEvT1_iilPiilS8_bb,@function
_ZN9rocsolver6v33100L18getri_kernel_smallILi19E19rocblas_complex_numIdEPKPS3_EEvT1_iilPiilS8_bb: ; @_ZN9rocsolver6v33100L18getri_kernel_smallILi19E19rocblas_complex_numIdEPKPS3_EEvT1_iilPiilS8_bb
; %bb.0:
	v_and_b32_e32 v51, 0x3ff, v0
	s_mov_b32 s4, exec_lo
	s_delay_alu instid0(VALU_DEP_1)
	v_cmpx_gt_u32_e32 19, v51
	s_cbranch_execz .LBB82_90
; %bb.1:
	s_mov_b32 s10, s15
	s_clause 0x2
	s_load_b32 s15, s[2:3], 0x38
	s_load_b64 s[8:9], s[2:3], 0x0
	s_load_b128 s[4:7], s[2:3], 0x28
	s_waitcnt lgkmcnt(0)
	s_bitcmp1_b32 s15, 8
	s_cselect_b32 s14, -1, 0
	s_ashr_i32 s11, s10, 31
	s_delay_alu instid0(SALU_CYCLE_1) | instskip(NEXT) | instid1(SALU_CYCLE_1)
	s_lshl_b64 s[12:13], s[10:11], 3
	s_add_u32 s8, s8, s12
	s_addc_u32 s9, s9, s13
	s_load_b64 s[12:13], s[8:9], 0x0
	s_bfe_u32 s8, s15, 0x10008
	s_delay_alu instid0(SALU_CYCLE_1)
	s_cmp_eq_u32 s8, 0
                                        ; implicit-def: $sgpr8_sgpr9
	s_cbranch_scc1 .LBB82_3
; %bb.2:
	s_clause 0x1
	s_load_b32 s8, s[2:3], 0x20
	s_load_b64 s[16:17], s[2:3], 0x18
	s_mul_i32 s5, s10, s5
	s_mul_hi_u32 s9, s10, s4
	s_mul_i32 s18, s11, s4
	s_add_i32 s5, s9, s5
	s_mul_i32 s4, s10, s4
	s_add_i32 s5, s5, s18
	s_delay_alu instid0(SALU_CYCLE_1)
	s_lshl_b64 s[4:5], s[4:5], 2
	s_waitcnt lgkmcnt(0)
	s_ashr_i32 s9, s8, 31
	s_add_u32 s16, s16, s4
	s_addc_u32 s17, s17, s5
	s_lshl_b64 s[4:5], s[8:9], 2
	s_delay_alu instid0(SALU_CYCLE_1)
	s_add_u32 s8, s16, s4
	s_addc_u32 s9, s17, s5
.LBB82_3:
	s_load_b64 s[2:3], s[2:3], 0x8
	v_lshlrev_b32_e32 v70, 4, v51
	s_waitcnt lgkmcnt(0)
	v_add3_u32 v5, s3, s3, v51
	s_ashr_i32 s5, s2, 31
	s_mov_b32 s4, s2
	s_mov_b32 s16, s3
	s_lshl_b64 s[4:5], s[4:5], 4
	v_add_nc_u32_e32 v7, s3, v5
	v_ashrrev_i32_e32 v6, 31, v5
	s_add_u32 s4, s12, s4
	s_addc_u32 s5, s13, s5
	v_add_co_u32 v13, s2, s4, v70
	v_add_nc_u32_e32 v9, s3, v7
	v_ashrrev_i32_e32 v8, 31, v7
	s_ashr_i32 s17, s3, 31
	v_add_co_ci_u32_e64 v14, null, s5, 0, s2
	s_delay_alu instid0(VALU_DEP_3)
	v_add_nc_u32_e32 v21, s3, v9
	v_lshlrev_b64 v[5:6], 4, v[5:6]
	s_lshl_b64 s[12:13], s[16:17], 4
	v_ashrrev_i32_e32 v10, 31, v9
	v_add_co_u32 v15, vcc_lo, v13, s12
	v_lshlrev_b64 v[19:20], 4, v[7:8]
	v_ashrrev_i32_e32 v22, 31, v21
	v_add_co_ci_u32_e32 v16, vcc_lo, s13, v14, vcc_lo
	v_add_nc_u32_e32 v25, s3, v21
	v_add_co_u32 v17, vcc_lo, s4, v5
	v_lshlrev_b64 v[23:24], 4, v[9:10]
	v_add_co_ci_u32_e32 v18, vcc_lo, s5, v6, vcc_lo
	v_add_co_u32 v19, vcc_lo, s4, v19
	v_lshlrev_b64 v[27:28], 4, v[21:22]
	v_add_nc_u32_e32 v29, s3, v25
	v_add_co_ci_u32_e32 v20, vcc_lo, s5, v20, vcc_lo
	v_add_co_u32 v21, vcc_lo, s4, v23
	v_add_co_ci_u32_e32 v22, vcc_lo, s5, v24, vcc_lo
	v_add_co_u32 v23, vcc_lo, s4, v27
	v_add_nc_u32_e32 v27, s3, v29
	v_ashrrev_i32_e32 v26, 31, v25
	v_ashrrev_i32_e32 v30, 31, v29
	v_add_co_ci_u32_e32 v24, vcc_lo, s5, v28, vcc_lo
	s_delay_alu instid0(VALU_DEP_4) | instskip(NEXT) | instid1(VALU_DEP_4)
	v_add_nc_u32_e32 v31, s3, v27
	v_lshlrev_b64 v[25:26], 4, v[25:26]
	v_ashrrev_i32_e32 v28, 31, v27
	v_lshlrev_b64 v[29:30], 4, v[29:30]
	global_load_b128 v[1:4], v70, s[4:5]
	v_add_nc_u32_e32 v35, s3, v31
	v_ashrrev_i32_e32 v32, 31, v31
	v_add_co_u32 v25, vcc_lo, s4, v25
	v_lshlrev_b64 v[33:34], 4, v[27:28]
	v_add_co_ci_u32_e32 v26, vcc_lo, s5, v26, vcc_lo
	v_add_co_u32 v27, vcc_lo, s4, v29
	v_ashrrev_i32_e32 v36, 31, v35
	v_add_nc_u32_e32 v37, s3, v35
	v_add_co_ci_u32_e32 v28, vcc_lo, s5, v30, vcc_lo
	v_add_co_u32 v29, vcc_lo, s4, v33
	v_add_co_ci_u32_e32 v30, vcc_lo, s5, v34, vcc_lo
	v_lshlrev_b64 v[33:34], 4, v[35:36]
	v_add_nc_u32_e32 v35, s3, v37
	v_lshlrev_b64 v[31:32], 4, v[31:32]
	v_ashrrev_i32_e32 v38, 31, v37
	s_clause 0x3
	global_load_b128 v[5:8], v[15:16], off
	global_load_b128 v[9:12], v[17:18], off
	;; [unrolled: 1-line block ×4, first 2 shown]
	v_add_nc_u32_e32 v39, s3, v35
	v_ashrrev_i32_e32 v36, 31, v35
	v_add_co_u32 v31, vcc_lo, s4, v31
	v_lshlrev_b64 v[37:38], 4, v[37:38]
	s_delay_alu instid0(VALU_DEP_4)
	v_add_nc_u32_e32 v43, s3, v39
	v_add_co_ci_u32_e32 v32, vcc_lo, s5, v32, vcc_lo
	v_add_co_u32 v33, vcc_lo, s4, v33
	v_lshlrev_b64 v[41:42], 4, v[35:36]
	v_add_co_ci_u32_e32 v34, vcc_lo, s5, v34, vcc_lo
	v_add_co_u32 v35, vcc_lo, s4, v37
	v_ashrrev_i32_e32 v44, 31, v43
	v_add_nc_u32_e32 v45, s3, v43
	v_add_co_ci_u32_e32 v36, vcc_lo, s5, v38, vcc_lo
	v_ashrrev_i32_e32 v40, 31, v39
	v_add_co_u32 v37, vcc_lo, s4, v41
	v_add_co_ci_u32_e32 v38, vcc_lo, s5, v42, vcc_lo
	v_lshlrev_b64 v[41:42], 4, v[43:44]
	v_add_nc_u32_e32 v43, s3, v45
	v_lshlrev_b64 v[39:40], 4, v[39:40]
	v_ashrrev_i32_e32 v46, 31, v45
	s_clause 0x3
	global_load_b128 v[60:63], v[23:24], off
	global_load_b128 v[64:67], v[25:26], off
	;; [unrolled: 1-line block ×4, first 2 shown]
	v_add_nc_u32_e32 v47, s3, v43
	v_ashrrev_i32_e32 v44, 31, v43
	v_add_co_u32 v39, vcc_lo, s4, v39
	v_lshlrev_b64 v[45:46], 4, v[45:46]
	s_delay_alu instid0(VALU_DEP_4)
	v_add_nc_u32_e32 v68, s3, v47
	v_add_co_ci_u32_e32 v40, vcc_lo, s5, v40, vcc_lo
	v_add_co_u32 v41, vcc_lo, s4, v41
	v_lshlrev_b64 v[49:50], 4, v[43:44]
	v_ashrrev_i32_e32 v48, 31, v47
	v_add_co_ci_u32_e32 v42, vcc_lo, s5, v42, vcc_lo
	v_add_co_u32 v43, vcc_lo, s4, v45
	v_ashrrev_i32_e32 v69, 31, v68
	v_add_co_ci_u32_e32 v44, vcc_lo, s5, v46, vcc_lo
	v_lshlrev_b64 v[47:48], 4, v[47:48]
	v_add_co_u32 v45, vcc_lo, s4, v49
	v_add_co_ci_u32_e32 v46, vcc_lo, s5, v50, vcc_lo
	v_lshlrev_b64 v[49:50], 4, v[68:69]
	s_delay_alu instid0(VALU_DEP_4)
	v_add_co_u32 v47, vcc_lo, s4, v47
	v_add_co_ci_u32_e32 v48, vcc_lo, s5, v48, vcc_lo
	s_clause 0x1
	global_load_b128 v[79:82], v[31:32], off
	global_load_b128 v[83:86], v[33:34], off
	v_add_co_u32 v49, vcc_lo, s4, v49
	v_add_co_ci_u32_e32 v50, vcc_lo, s5, v50, vcc_lo
	s_clause 0x7
	global_load_b128 v[87:90], v[35:36], off
	global_load_b128 v[91:94], v[37:38], off
	;; [unrolled: 1-line block ×8, first 2 shown]
	s_movk_i32 s2, 0x50
	s_movk_i32 s3, 0x60
	s_bitcmp0_b32 s15, 0
	s_waitcnt vmcnt(18)
	scratch_store_b128 off, v[1:4], off
	s_waitcnt vmcnt(17)
	scratch_store_b128 off, v[5:8], off offset:16
	s_waitcnt vmcnt(16)
	scratch_store_b128 off, v[9:12], off offset:32
	s_waitcnt vmcnt(15)
	scratch_store_b128 off, v[52:55], off offset:48
	s_waitcnt vmcnt(14)
	scratch_store_b128 off, v[56:59], off offset:64
	s_waitcnt vmcnt(13)
	scratch_store_b128 off, v[60:63], off offset:80
	v_add_nc_u32_e64 v57, s2, 0
	s_movk_i32 s2, 0x70
	v_add_nc_u32_e64 v54, s3, 0
	v_add_nc_u32_e64 v56, s2, 0
	s_movk_i32 s2, 0x90
	s_movk_i32 s3, 0x80
	v_add_nc_u32_e64 v59, s2, 0
	s_movk_i32 s2, 0xa0
	v_add_nc_u32_e64 v60, s3, 0
	;; [unrolled: 2-line block ×3, first 2 shown]
	s_movk_i32 s2, 0xc0
	s_waitcnt vmcnt(12)
	scratch_store_b128 off, v[64:67], off offset:96
	s_waitcnt vmcnt(11)
	scratch_store_b128 off, v[71:74], off offset:112
	v_add_nc_u32_e64 v61, s3, 0
	s_movk_i32 s3, 0xd0
	v_add_nc_u32_e64 v64, s2, 0
	s_movk_i32 s2, 0xe0
	;; [unrolled: 2-line block ×4, first 2 shown]
	v_add_nc_u32_e64 v65, s3, 0
	v_add_nc_u32_e64 v68, s2, 0
	s_movk_i32 s2, 0x110
	s_movk_i32 s3, 0x120
	v_add_nc_u32_e64 v58, 0, 16
	v_add_nc_u32_e64 v55, 0, 32
	;; [unrolled: 1-line block ×6, first 2 shown]
	s_mov_b32 s3, -1
	s_waitcnt vmcnt(10)
	scratch_store_b128 off, v[75:78], off offset:128
	s_waitcnt vmcnt(9)
	scratch_store_b128 off, v[79:82], off offset:144
	;; [unrolled: 2-line block ×11, first 2 shown]
	s_cbranch_scc1 .LBB82_88
; %bb.4:
	v_cmp_eq_u32_e64 s2, 0, v51
	s_delay_alu instid0(VALU_DEP_1)
	s_and_saveexec_b32 s3, s2
	s_cbranch_execz .LBB82_6
; %bb.5:
	v_mov_b32_e32 v1, 0
	ds_store_b32 v1, v1 offset:608
.LBB82_6:
	s_or_b32 exec_lo, exec_lo, s3
	s_waitcnt lgkmcnt(0)
	s_waitcnt_vscnt null, 0x0
	s_barrier
	buffer_gl0_inv
	scratch_load_b128 v[1:4], v70, off
	s_waitcnt vmcnt(0)
	v_cmp_eq_f64_e32 vcc_lo, 0, v[1:2]
	v_cmp_eq_f64_e64 s3, 0, v[3:4]
	s_delay_alu instid0(VALU_DEP_1) | instskip(NEXT) | instid1(SALU_CYCLE_1)
	s_and_b32 s3, vcc_lo, s3
	s_and_saveexec_b32 s4, s3
	s_cbranch_execz .LBB82_10
; %bb.7:
	v_mov_b32_e32 v1, 0
	s_mov_b32 s5, 0
	ds_load_b32 v2, v1 offset:608
	s_waitcnt lgkmcnt(0)
	v_readfirstlane_b32 s3, v2
	v_add_nc_u32_e32 v2, 1, v51
	s_delay_alu instid0(VALU_DEP_2) | instskip(NEXT) | instid1(VALU_DEP_1)
	s_cmp_eq_u32 s3, 0
	v_cmp_gt_i32_e32 vcc_lo, s3, v2
	s_cselect_b32 s12, -1, 0
	s_delay_alu instid0(SALU_CYCLE_1) | instskip(NEXT) | instid1(SALU_CYCLE_1)
	s_or_b32 s12, s12, vcc_lo
	s_and_b32 exec_lo, exec_lo, s12
	s_cbranch_execz .LBB82_10
; %bb.8:
	v_mov_b32_e32 v3, s3
.LBB82_9:                               ; =>This Inner Loop Header: Depth=1
	ds_cmpstore_rtn_b32 v3, v1, v2, v3 offset:608
	s_waitcnt lgkmcnt(0)
	v_cmp_ne_u32_e32 vcc_lo, 0, v3
	v_cmp_le_i32_e64 s3, v3, v2
	s_delay_alu instid0(VALU_DEP_1) | instskip(NEXT) | instid1(SALU_CYCLE_1)
	s_and_b32 s3, vcc_lo, s3
	s_and_b32 s3, exec_lo, s3
	s_delay_alu instid0(SALU_CYCLE_1) | instskip(NEXT) | instid1(SALU_CYCLE_1)
	s_or_b32 s5, s3, s5
	s_and_not1_b32 exec_lo, exec_lo, s5
	s_cbranch_execnz .LBB82_9
.LBB82_10:
	s_or_b32 exec_lo, exec_lo, s4
	v_mov_b32_e32 v1, 0
	s_barrier
	buffer_gl0_inv
	ds_load_b32 v2, v1 offset:608
	s_and_saveexec_b32 s3, s2
	s_cbranch_execz .LBB82_12
; %bb.11:
	s_lshl_b64 s[4:5], s[10:11], 2
	s_delay_alu instid0(SALU_CYCLE_1)
	s_add_u32 s4, s6, s4
	s_addc_u32 s5, s7, s5
	s_waitcnt lgkmcnt(0)
	global_store_b32 v1, v2, s[4:5]
.LBB82_12:
	s_or_b32 exec_lo, exec_lo, s3
	s_waitcnt lgkmcnt(0)
	v_cmp_ne_u32_e32 vcc_lo, 0, v2
	s_mov_b32 s3, 0
	s_cbranch_vccnz .LBB82_88
; %bb.13:
	v_add_nc_u32_e32 v71, 0, v70
                                        ; implicit-def: $vgpr9_vgpr10
	scratch_load_b128 v[1:4], v71, off
	s_waitcnt vmcnt(0)
	v_cmp_gt_f64_e32 vcc_lo, 0, v[1:2]
	v_xor_b32_e32 v6, 0x80000000, v2
	v_mov_b32_e32 v5, v1
	v_xor_b32_e32 v7, 0x80000000, v4
	s_delay_alu instid0(VALU_DEP_3) | instskip(SKIP_1) | instid1(VALU_DEP_3)
	v_cndmask_b32_e32 v6, v2, v6, vcc_lo
	v_cmp_gt_f64_e32 vcc_lo, 0, v[3:4]
	v_dual_cndmask_b32 v8, v4, v7 :: v_dual_mov_b32 v7, v3
	s_delay_alu instid0(VALU_DEP_1) | instskip(SKIP_1) | instid1(SALU_CYCLE_1)
	v_cmp_ngt_f64_e32 vcc_lo, v[5:6], v[7:8]
                                        ; implicit-def: $vgpr5_vgpr6
	s_and_saveexec_b32 s3, vcc_lo
	s_xor_b32 s3, exec_lo, s3
	s_cbranch_execz .LBB82_15
; %bb.14:
	v_div_scale_f64 v[5:6], null, v[3:4], v[3:4], v[1:2]
	v_div_scale_f64 v[11:12], vcc_lo, v[1:2], v[3:4], v[1:2]
	s_delay_alu instid0(VALU_DEP_2) | instskip(SKIP_2) | instid1(VALU_DEP_1)
	v_rcp_f64_e32 v[7:8], v[5:6]
	s_waitcnt_depctr 0xfff
	v_fma_f64 v[9:10], -v[5:6], v[7:8], 1.0
	v_fma_f64 v[7:8], v[7:8], v[9:10], v[7:8]
	s_delay_alu instid0(VALU_DEP_1) | instskip(NEXT) | instid1(VALU_DEP_1)
	v_fma_f64 v[9:10], -v[5:6], v[7:8], 1.0
	v_fma_f64 v[7:8], v[7:8], v[9:10], v[7:8]
	s_delay_alu instid0(VALU_DEP_1) | instskip(NEXT) | instid1(VALU_DEP_1)
	v_mul_f64 v[9:10], v[11:12], v[7:8]
	v_fma_f64 v[5:6], -v[5:6], v[9:10], v[11:12]
	s_delay_alu instid0(VALU_DEP_1) | instskip(NEXT) | instid1(VALU_DEP_1)
	v_div_fmas_f64 v[5:6], v[5:6], v[7:8], v[9:10]
	v_div_fixup_f64 v[5:6], v[5:6], v[3:4], v[1:2]
	s_delay_alu instid0(VALU_DEP_1) | instskip(NEXT) | instid1(VALU_DEP_1)
	v_fma_f64 v[1:2], v[1:2], v[5:6], v[3:4]
	v_div_scale_f64 v[3:4], null, v[1:2], v[1:2], 1.0
	v_div_scale_f64 v[11:12], vcc_lo, 1.0, v[1:2], 1.0
	s_delay_alu instid0(VALU_DEP_2) | instskip(SKIP_2) | instid1(VALU_DEP_1)
	v_rcp_f64_e32 v[7:8], v[3:4]
	s_waitcnt_depctr 0xfff
	v_fma_f64 v[9:10], -v[3:4], v[7:8], 1.0
	v_fma_f64 v[7:8], v[7:8], v[9:10], v[7:8]
	s_delay_alu instid0(VALU_DEP_1) | instskip(NEXT) | instid1(VALU_DEP_1)
	v_fma_f64 v[9:10], -v[3:4], v[7:8], 1.0
	v_fma_f64 v[7:8], v[7:8], v[9:10], v[7:8]
	s_delay_alu instid0(VALU_DEP_1) | instskip(NEXT) | instid1(VALU_DEP_1)
	v_mul_f64 v[9:10], v[11:12], v[7:8]
	v_fma_f64 v[3:4], -v[3:4], v[9:10], v[11:12]
	s_delay_alu instid0(VALU_DEP_1) | instskip(NEXT) | instid1(VALU_DEP_1)
	v_div_fmas_f64 v[3:4], v[3:4], v[7:8], v[9:10]
	v_div_fixup_f64 v[7:8], v[3:4], v[1:2], 1.0
                                        ; implicit-def: $vgpr1_vgpr2
	s_delay_alu instid0(VALU_DEP_1) | instskip(SKIP_1) | instid1(VALU_DEP_2)
	v_mul_f64 v[5:6], v[5:6], v[7:8]
	v_xor_b32_e32 v8, 0x80000000, v8
	v_xor_b32_e32 v10, 0x80000000, v6
	s_delay_alu instid0(VALU_DEP_3)
	v_mov_b32_e32 v9, v5
.LBB82_15:
	s_and_not1_saveexec_b32 s3, s3
	s_cbranch_execz .LBB82_17
; %bb.16:
	v_div_scale_f64 v[5:6], null, v[1:2], v[1:2], v[3:4]
	v_div_scale_f64 v[11:12], vcc_lo, v[3:4], v[1:2], v[3:4]
	s_delay_alu instid0(VALU_DEP_2) | instskip(SKIP_2) | instid1(VALU_DEP_1)
	v_rcp_f64_e32 v[7:8], v[5:6]
	s_waitcnt_depctr 0xfff
	v_fma_f64 v[9:10], -v[5:6], v[7:8], 1.0
	v_fma_f64 v[7:8], v[7:8], v[9:10], v[7:8]
	s_delay_alu instid0(VALU_DEP_1) | instskip(NEXT) | instid1(VALU_DEP_1)
	v_fma_f64 v[9:10], -v[5:6], v[7:8], 1.0
	v_fma_f64 v[7:8], v[7:8], v[9:10], v[7:8]
	s_delay_alu instid0(VALU_DEP_1) | instskip(NEXT) | instid1(VALU_DEP_1)
	v_mul_f64 v[9:10], v[11:12], v[7:8]
	v_fma_f64 v[5:6], -v[5:6], v[9:10], v[11:12]
	s_delay_alu instid0(VALU_DEP_1) | instskip(NEXT) | instid1(VALU_DEP_1)
	v_div_fmas_f64 v[5:6], v[5:6], v[7:8], v[9:10]
	v_div_fixup_f64 v[7:8], v[5:6], v[1:2], v[3:4]
	s_delay_alu instid0(VALU_DEP_1) | instskip(NEXT) | instid1(VALU_DEP_1)
	v_fma_f64 v[1:2], v[3:4], v[7:8], v[1:2]
	v_div_scale_f64 v[3:4], null, v[1:2], v[1:2], 1.0
	s_delay_alu instid0(VALU_DEP_1) | instskip(SKIP_2) | instid1(VALU_DEP_1)
	v_rcp_f64_e32 v[5:6], v[3:4]
	s_waitcnt_depctr 0xfff
	v_fma_f64 v[9:10], -v[3:4], v[5:6], 1.0
	v_fma_f64 v[5:6], v[5:6], v[9:10], v[5:6]
	s_delay_alu instid0(VALU_DEP_1) | instskip(NEXT) | instid1(VALU_DEP_1)
	v_fma_f64 v[9:10], -v[3:4], v[5:6], 1.0
	v_fma_f64 v[5:6], v[5:6], v[9:10], v[5:6]
	v_div_scale_f64 v[9:10], vcc_lo, 1.0, v[1:2], 1.0
	s_delay_alu instid0(VALU_DEP_1) | instskip(NEXT) | instid1(VALU_DEP_1)
	v_mul_f64 v[11:12], v[9:10], v[5:6]
	v_fma_f64 v[3:4], -v[3:4], v[11:12], v[9:10]
	s_delay_alu instid0(VALU_DEP_1) | instskip(NEXT) | instid1(VALU_DEP_1)
	v_div_fmas_f64 v[3:4], v[3:4], v[5:6], v[11:12]
	v_div_fixup_f64 v[5:6], v[3:4], v[1:2], 1.0
	s_delay_alu instid0(VALU_DEP_1)
	v_mul_f64 v[7:8], v[7:8], -v[5:6]
	v_xor_b32_e32 v10, 0x80000000, v6
	v_mov_b32_e32 v9, v5
.LBB82_17:
	s_or_b32 exec_lo, exec_lo, s3
	scratch_store_b128 v71, v[5:8], off
	scratch_load_b128 v[1:4], v58, off
	v_xor_b32_e32 v12, 0x80000000, v8
	v_mov_b32_e32 v11, v7
	v_add_nc_u32_e32 v5, 0x130, v70
	ds_store_b128 v70, v[9:12]
	s_waitcnt vmcnt(0)
	ds_store_b128 v70, v[1:4] offset:304
	s_waitcnt lgkmcnt(0)
	s_waitcnt_vscnt null, 0x0
	s_barrier
	buffer_gl0_inv
	s_and_saveexec_b32 s3, s2
	s_cbranch_execz .LBB82_19
; %bb.18:
	scratch_load_b128 v[1:4], v71, off
	ds_load_b128 v[6:9], v5
	v_mov_b32_e32 v10, 0
	ds_load_b128 v[72:75], v10 offset:16
	s_waitcnt vmcnt(0) lgkmcnt(1)
	v_mul_f64 v[10:11], v[6:7], v[3:4]
	v_mul_f64 v[3:4], v[8:9], v[3:4]
	s_delay_alu instid0(VALU_DEP_2) | instskip(NEXT) | instid1(VALU_DEP_2)
	v_fma_f64 v[8:9], v[8:9], v[1:2], v[10:11]
	v_fma_f64 v[1:2], v[6:7], v[1:2], -v[3:4]
	s_delay_alu instid0(VALU_DEP_2) | instskip(NEXT) | instid1(VALU_DEP_2)
	v_add_f64 v[3:4], v[8:9], 0
	v_add_f64 v[1:2], v[1:2], 0
	s_waitcnt lgkmcnt(0)
	s_delay_alu instid0(VALU_DEP_2) | instskip(NEXT) | instid1(VALU_DEP_2)
	v_mul_f64 v[6:7], v[3:4], v[74:75]
	v_mul_f64 v[8:9], v[1:2], v[74:75]
	s_delay_alu instid0(VALU_DEP_2) | instskip(NEXT) | instid1(VALU_DEP_2)
	v_fma_f64 v[1:2], v[1:2], v[72:73], -v[6:7]
	v_fma_f64 v[3:4], v[3:4], v[72:73], v[8:9]
	scratch_store_b128 off, v[1:4], off offset:16
.LBB82_19:
	s_or_b32 exec_lo, exec_lo, s3
	s_waitcnt_vscnt null, 0x0
	s_barrier
	buffer_gl0_inv
	scratch_load_b128 v[1:4], v55, off
	s_mov_b32 s3, exec_lo
	s_waitcnt vmcnt(0)
	ds_store_b128 v5, v[1:4]
	s_waitcnt lgkmcnt(0)
	s_barrier
	buffer_gl0_inv
	v_cmpx_gt_u32_e32 2, v51
	s_cbranch_execz .LBB82_23
; %bb.20:
	scratch_load_b128 v[1:4], v71, off
	ds_load_b128 v[6:9], v5
	s_waitcnt vmcnt(0) lgkmcnt(0)
	v_mul_f64 v[10:11], v[8:9], v[3:4]
	v_mul_f64 v[3:4], v[6:7], v[3:4]
	s_delay_alu instid0(VALU_DEP_2) | instskip(NEXT) | instid1(VALU_DEP_2)
	v_fma_f64 v[6:7], v[6:7], v[1:2], -v[10:11]
	v_fma_f64 v[3:4], v[8:9], v[1:2], v[3:4]
	s_delay_alu instid0(VALU_DEP_2) | instskip(NEXT) | instid1(VALU_DEP_2)
	v_add_f64 v[1:2], v[6:7], 0
	v_add_f64 v[3:4], v[3:4], 0
	s_and_saveexec_b32 s4, s2
	s_cbranch_execz .LBB82_22
; %bb.21:
	scratch_load_b128 v[6:9], off, off offset:16
	v_mov_b32_e32 v10, 0
	ds_load_b128 v[72:75], v10 offset:320
	s_waitcnt vmcnt(0) lgkmcnt(0)
	v_mul_f64 v[10:11], v[72:73], v[8:9]
	v_mul_f64 v[8:9], v[74:75], v[8:9]
	s_delay_alu instid0(VALU_DEP_2) | instskip(NEXT) | instid1(VALU_DEP_2)
	v_fma_f64 v[10:11], v[74:75], v[6:7], v[10:11]
	v_fma_f64 v[6:7], v[72:73], v[6:7], -v[8:9]
	s_delay_alu instid0(VALU_DEP_2) | instskip(NEXT) | instid1(VALU_DEP_2)
	v_add_f64 v[3:4], v[3:4], v[10:11]
	v_add_f64 v[1:2], v[1:2], v[6:7]
.LBB82_22:
	s_or_b32 exec_lo, exec_lo, s4
	v_mov_b32_e32 v6, 0
	ds_load_b128 v[6:9], v6 offset:32
	s_waitcnt lgkmcnt(0)
	v_mul_f64 v[10:11], v[3:4], v[8:9]
	v_mul_f64 v[8:9], v[1:2], v[8:9]
	s_delay_alu instid0(VALU_DEP_2) | instskip(NEXT) | instid1(VALU_DEP_2)
	v_fma_f64 v[1:2], v[1:2], v[6:7], -v[10:11]
	v_fma_f64 v[3:4], v[3:4], v[6:7], v[8:9]
	scratch_store_b128 off, v[1:4], off offset:32
.LBB82_23:
	s_or_b32 exec_lo, exec_lo, s3
	s_waitcnt_vscnt null, 0x0
	s_barrier
	buffer_gl0_inv
	scratch_load_b128 v[1:4], v53, off
	v_add_nc_u32_e32 v6, -1, v51
	s_mov_b32 s2, exec_lo
	s_waitcnt vmcnt(0)
	ds_store_b128 v5, v[1:4]
	s_waitcnt lgkmcnt(0)
	s_barrier
	buffer_gl0_inv
	v_cmpx_gt_u32_e32 3, v51
	s_cbranch_execz .LBB82_27
; %bb.24:
	v_dual_mov_b32 v1, 0 :: v_dual_add_nc_u32 v8, 0x130, v70
	v_dual_mov_b32 v2, 0 :: v_dual_add_nc_u32 v7, -1, v51
	v_or_b32_e32 v9, 8, v71
	s_mov_b32 s3, 0
	s_delay_alu instid0(VALU_DEP_2)
	v_dual_mov_b32 v4, v2 :: v_dual_mov_b32 v3, v1
	.p2align	6
.LBB82_25:                              ; =>This Inner Loop Header: Depth=1
	scratch_load_b128 v[72:75], v9, off offset:-8
	ds_load_b128 v[76:79], v8
	v_add_nc_u32_e32 v7, 1, v7
	v_add_nc_u32_e32 v8, 16, v8
	;; [unrolled: 1-line block ×3, first 2 shown]
	s_delay_alu instid0(VALU_DEP_3) | instskip(SKIP_4) | instid1(VALU_DEP_2)
	v_cmp_lt_u32_e32 vcc_lo, 1, v7
	s_or_b32 s3, vcc_lo, s3
	s_waitcnt vmcnt(0) lgkmcnt(0)
	v_mul_f64 v[10:11], v[78:79], v[74:75]
	v_mul_f64 v[74:75], v[76:77], v[74:75]
	v_fma_f64 v[10:11], v[76:77], v[72:73], -v[10:11]
	s_delay_alu instid0(VALU_DEP_2) | instskip(NEXT) | instid1(VALU_DEP_2)
	v_fma_f64 v[72:73], v[78:79], v[72:73], v[74:75]
	v_add_f64 v[3:4], v[3:4], v[10:11]
	s_delay_alu instid0(VALU_DEP_2)
	v_add_f64 v[1:2], v[1:2], v[72:73]
	s_and_not1_b32 exec_lo, exec_lo, s3
	s_cbranch_execnz .LBB82_25
; %bb.26:
	s_or_b32 exec_lo, exec_lo, s3
	v_mov_b32_e32 v7, 0
	ds_load_b128 v[7:10], v7 offset:48
	s_waitcnt lgkmcnt(0)
	v_mul_f64 v[11:12], v[1:2], v[9:10]
	v_mul_f64 v[72:73], v[3:4], v[9:10]
	s_delay_alu instid0(VALU_DEP_2) | instskip(NEXT) | instid1(VALU_DEP_2)
	v_fma_f64 v[9:10], v[3:4], v[7:8], -v[11:12]
	v_fma_f64 v[11:12], v[1:2], v[7:8], v[72:73]
	scratch_store_b128 off, v[9:12], off offset:48
.LBB82_27:
	s_or_b32 exec_lo, exec_lo, s2
	s_waitcnt_vscnt null, 0x0
	s_barrier
	buffer_gl0_inv
	scratch_load_b128 v[1:4], v52, off
	s_mov_b32 s2, exec_lo
	s_waitcnt vmcnt(0)
	ds_store_b128 v5, v[1:4]
	s_waitcnt lgkmcnt(0)
	s_barrier
	buffer_gl0_inv
	v_cmpx_gt_u32_e32 4, v51
	s_cbranch_execz .LBB82_31
; %bb.28:
	v_dual_mov_b32 v1, 0 :: v_dual_add_nc_u32 v8, 0x130, v70
	v_dual_mov_b32 v2, 0 :: v_dual_add_nc_u32 v7, -1, v51
	v_or_b32_e32 v9, 8, v71
	s_mov_b32 s3, 0
	s_delay_alu instid0(VALU_DEP_2)
	v_dual_mov_b32 v4, v2 :: v_dual_mov_b32 v3, v1
	.p2align	6
.LBB82_29:                              ; =>This Inner Loop Header: Depth=1
	scratch_load_b128 v[72:75], v9, off offset:-8
	ds_load_b128 v[76:79], v8
	v_add_nc_u32_e32 v7, 1, v7
	v_add_nc_u32_e32 v8, 16, v8
	;; [unrolled: 1-line block ×3, first 2 shown]
	s_delay_alu instid0(VALU_DEP_3) | instskip(SKIP_4) | instid1(VALU_DEP_2)
	v_cmp_lt_u32_e32 vcc_lo, 2, v7
	s_or_b32 s3, vcc_lo, s3
	s_waitcnt vmcnt(0) lgkmcnt(0)
	v_mul_f64 v[10:11], v[78:79], v[74:75]
	v_mul_f64 v[74:75], v[76:77], v[74:75]
	v_fma_f64 v[10:11], v[76:77], v[72:73], -v[10:11]
	s_delay_alu instid0(VALU_DEP_2) | instskip(NEXT) | instid1(VALU_DEP_2)
	v_fma_f64 v[72:73], v[78:79], v[72:73], v[74:75]
	v_add_f64 v[3:4], v[3:4], v[10:11]
	s_delay_alu instid0(VALU_DEP_2)
	v_add_f64 v[1:2], v[1:2], v[72:73]
	s_and_not1_b32 exec_lo, exec_lo, s3
	s_cbranch_execnz .LBB82_29
; %bb.30:
	s_or_b32 exec_lo, exec_lo, s3
	v_mov_b32_e32 v7, 0
	ds_load_b128 v[7:10], v7 offset:64
	s_waitcnt lgkmcnt(0)
	v_mul_f64 v[11:12], v[1:2], v[9:10]
	v_mul_f64 v[72:73], v[3:4], v[9:10]
	s_delay_alu instid0(VALU_DEP_2) | instskip(NEXT) | instid1(VALU_DEP_2)
	v_fma_f64 v[9:10], v[3:4], v[7:8], -v[11:12]
	v_fma_f64 v[11:12], v[1:2], v[7:8], v[72:73]
	scratch_store_b128 off, v[9:12], off offset:64
.LBB82_31:
	s_or_b32 exec_lo, exec_lo, s2
	s_waitcnt_vscnt null, 0x0
	s_barrier
	buffer_gl0_inv
	scratch_load_b128 v[1:4], v57, off
	s_mov_b32 s2, exec_lo
	s_waitcnt vmcnt(0)
	ds_store_b128 v5, v[1:4]
	s_waitcnt lgkmcnt(0)
	s_barrier
	buffer_gl0_inv
	v_cmpx_gt_u32_e32 5, v51
	s_cbranch_execz .LBB82_35
; %bb.32:
	v_dual_mov_b32 v1, 0 :: v_dual_add_nc_u32 v8, 0x130, v70
	v_dual_mov_b32 v2, 0 :: v_dual_add_nc_u32 v7, -1, v51
	v_or_b32_e32 v9, 8, v71
	s_mov_b32 s3, 0
	s_delay_alu instid0(VALU_DEP_2)
	v_dual_mov_b32 v4, v2 :: v_dual_mov_b32 v3, v1
	.p2align	6
.LBB82_33:                              ; =>This Inner Loop Header: Depth=1
	scratch_load_b128 v[72:75], v9, off offset:-8
	ds_load_b128 v[76:79], v8
	v_add_nc_u32_e32 v7, 1, v7
	v_add_nc_u32_e32 v8, 16, v8
	;; [unrolled: 1-line block ×3, first 2 shown]
	s_delay_alu instid0(VALU_DEP_3) | instskip(SKIP_4) | instid1(VALU_DEP_2)
	v_cmp_lt_u32_e32 vcc_lo, 3, v7
	s_or_b32 s3, vcc_lo, s3
	s_waitcnt vmcnt(0) lgkmcnt(0)
	v_mul_f64 v[10:11], v[78:79], v[74:75]
	v_mul_f64 v[74:75], v[76:77], v[74:75]
	v_fma_f64 v[10:11], v[76:77], v[72:73], -v[10:11]
	s_delay_alu instid0(VALU_DEP_2) | instskip(NEXT) | instid1(VALU_DEP_2)
	v_fma_f64 v[72:73], v[78:79], v[72:73], v[74:75]
	v_add_f64 v[3:4], v[3:4], v[10:11]
	s_delay_alu instid0(VALU_DEP_2)
	v_add_f64 v[1:2], v[1:2], v[72:73]
	s_and_not1_b32 exec_lo, exec_lo, s3
	s_cbranch_execnz .LBB82_33
; %bb.34:
	s_or_b32 exec_lo, exec_lo, s3
	v_mov_b32_e32 v7, 0
	ds_load_b128 v[7:10], v7 offset:80
	s_waitcnt lgkmcnt(0)
	v_mul_f64 v[11:12], v[1:2], v[9:10]
	v_mul_f64 v[72:73], v[3:4], v[9:10]
	s_delay_alu instid0(VALU_DEP_2) | instskip(NEXT) | instid1(VALU_DEP_2)
	v_fma_f64 v[9:10], v[3:4], v[7:8], -v[11:12]
	v_fma_f64 v[11:12], v[1:2], v[7:8], v[72:73]
	scratch_store_b128 off, v[9:12], off offset:80
.LBB82_35:
	s_or_b32 exec_lo, exec_lo, s2
	s_waitcnt_vscnt null, 0x0
	s_barrier
	buffer_gl0_inv
	scratch_load_b128 v[1:4], v54, off
	s_mov_b32 s2, exec_lo
	s_waitcnt vmcnt(0)
	ds_store_b128 v5, v[1:4]
	s_waitcnt lgkmcnt(0)
	s_barrier
	buffer_gl0_inv
	v_cmpx_gt_u32_e32 6, v51
	s_cbranch_execz .LBB82_39
; %bb.36:
	v_dual_mov_b32 v1, 0 :: v_dual_add_nc_u32 v8, 0x130, v70
	v_dual_mov_b32 v2, 0 :: v_dual_add_nc_u32 v7, -1, v51
	v_or_b32_e32 v9, 8, v71
	s_mov_b32 s3, 0
	s_delay_alu instid0(VALU_DEP_2)
	v_dual_mov_b32 v4, v2 :: v_dual_mov_b32 v3, v1
	.p2align	6
.LBB82_37:                              ; =>This Inner Loop Header: Depth=1
	scratch_load_b128 v[72:75], v9, off offset:-8
	ds_load_b128 v[76:79], v8
	v_add_nc_u32_e32 v7, 1, v7
	v_add_nc_u32_e32 v8, 16, v8
	;; [unrolled: 1-line block ×3, first 2 shown]
	s_delay_alu instid0(VALU_DEP_3) | instskip(SKIP_4) | instid1(VALU_DEP_2)
	v_cmp_lt_u32_e32 vcc_lo, 4, v7
	s_or_b32 s3, vcc_lo, s3
	s_waitcnt vmcnt(0) lgkmcnt(0)
	v_mul_f64 v[10:11], v[78:79], v[74:75]
	v_mul_f64 v[74:75], v[76:77], v[74:75]
	v_fma_f64 v[10:11], v[76:77], v[72:73], -v[10:11]
	s_delay_alu instid0(VALU_DEP_2) | instskip(NEXT) | instid1(VALU_DEP_2)
	v_fma_f64 v[72:73], v[78:79], v[72:73], v[74:75]
	v_add_f64 v[3:4], v[3:4], v[10:11]
	s_delay_alu instid0(VALU_DEP_2)
	v_add_f64 v[1:2], v[1:2], v[72:73]
	s_and_not1_b32 exec_lo, exec_lo, s3
	s_cbranch_execnz .LBB82_37
; %bb.38:
	s_or_b32 exec_lo, exec_lo, s3
	v_mov_b32_e32 v7, 0
	ds_load_b128 v[7:10], v7 offset:96
	s_waitcnt lgkmcnt(0)
	v_mul_f64 v[11:12], v[1:2], v[9:10]
	v_mul_f64 v[72:73], v[3:4], v[9:10]
	s_delay_alu instid0(VALU_DEP_2) | instskip(NEXT) | instid1(VALU_DEP_2)
	v_fma_f64 v[9:10], v[3:4], v[7:8], -v[11:12]
	v_fma_f64 v[11:12], v[1:2], v[7:8], v[72:73]
	scratch_store_b128 off, v[9:12], off offset:96
.LBB82_39:
	s_or_b32 exec_lo, exec_lo, s2
	s_waitcnt_vscnt null, 0x0
	s_barrier
	buffer_gl0_inv
	scratch_load_b128 v[1:4], v56, off
	s_mov_b32 s2, exec_lo
	s_waitcnt vmcnt(0)
	ds_store_b128 v5, v[1:4]
	s_waitcnt lgkmcnt(0)
	s_barrier
	buffer_gl0_inv
	v_cmpx_gt_u32_e32 7, v51
	s_cbranch_execz .LBB82_43
; %bb.40:
	v_dual_mov_b32 v1, 0 :: v_dual_add_nc_u32 v8, 0x130, v70
	v_dual_mov_b32 v2, 0 :: v_dual_add_nc_u32 v7, -1, v51
	v_or_b32_e32 v9, 8, v71
	s_mov_b32 s3, 0
	s_delay_alu instid0(VALU_DEP_2)
	v_dual_mov_b32 v4, v2 :: v_dual_mov_b32 v3, v1
	.p2align	6
.LBB82_41:                              ; =>This Inner Loop Header: Depth=1
	scratch_load_b128 v[72:75], v9, off offset:-8
	ds_load_b128 v[76:79], v8
	v_add_nc_u32_e32 v7, 1, v7
	v_add_nc_u32_e32 v8, 16, v8
	;; [unrolled: 1-line block ×3, first 2 shown]
	s_delay_alu instid0(VALU_DEP_3) | instskip(SKIP_4) | instid1(VALU_DEP_2)
	v_cmp_lt_u32_e32 vcc_lo, 5, v7
	s_or_b32 s3, vcc_lo, s3
	s_waitcnt vmcnt(0) lgkmcnt(0)
	v_mul_f64 v[10:11], v[78:79], v[74:75]
	v_mul_f64 v[74:75], v[76:77], v[74:75]
	v_fma_f64 v[10:11], v[76:77], v[72:73], -v[10:11]
	s_delay_alu instid0(VALU_DEP_2) | instskip(NEXT) | instid1(VALU_DEP_2)
	v_fma_f64 v[72:73], v[78:79], v[72:73], v[74:75]
	v_add_f64 v[3:4], v[3:4], v[10:11]
	s_delay_alu instid0(VALU_DEP_2)
	v_add_f64 v[1:2], v[1:2], v[72:73]
	s_and_not1_b32 exec_lo, exec_lo, s3
	s_cbranch_execnz .LBB82_41
; %bb.42:
	s_or_b32 exec_lo, exec_lo, s3
	v_mov_b32_e32 v7, 0
	ds_load_b128 v[7:10], v7 offset:112
	s_waitcnt lgkmcnt(0)
	v_mul_f64 v[11:12], v[1:2], v[9:10]
	v_mul_f64 v[72:73], v[3:4], v[9:10]
	s_delay_alu instid0(VALU_DEP_2) | instskip(NEXT) | instid1(VALU_DEP_2)
	v_fma_f64 v[9:10], v[3:4], v[7:8], -v[11:12]
	v_fma_f64 v[11:12], v[1:2], v[7:8], v[72:73]
	scratch_store_b128 off, v[9:12], off offset:112
.LBB82_43:
	s_or_b32 exec_lo, exec_lo, s2
	s_waitcnt_vscnt null, 0x0
	s_barrier
	buffer_gl0_inv
	scratch_load_b128 v[1:4], v60, off
	s_mov_b32 s2, exec_lo
	s_waitcnt vmcnt(0)
	ds_store_b128 v5, v[1:4]
	s_waitcnt lgkmcnt(0)
	s_barrier
	buffer_gl0_inv
	v_cmpx_gt_u32_e32 8, v51
	s_cbranch_execz .LBB82_47
; %bb.44:
	v_dual_mov_b32 v1, 0 :: v_dual_add_nc_u32 v8, 0x130, v70
	v_dual_mov_b32 v2, 0 :: v_dual_add_nc_u32 v7, -1, v51
	v_or_b32_e32 v9, 8, v71
	s_mov_b32 s3, 0
	s_delay_alu instid0(VALU_DEP_2)
	v_dual_mov_b32 v4, v2 :: v_dual_mov_b32 v3, v1
	.p2align	6
.LBB82_45:                              ; =>This Inner Loop Header: Depth=1
	scratch_load_b128 v[72:75], v9, off offset:-8
	ds_load_b128 v[76:79], v8
	v_add_nc_u32_e32 v7, 1, v7
	v_add_nc_u32_e32 v8, 16, v8
	;; [unrolled: 1-line block ×3, first 2 shown]
	s_delay_alu instid0(VALU_DEP_3) | instskip(SKIP_4) | instid1(VALU_DEP_2)
	v_cmp_lt_u32_e32 vcc_lo, 6, v7
	s_or_b32 s3, vcc_lo, s3
	s_waitcnt vmcnt(0) lgkmcnt(0)
	v_mul_f64 v[10:11], v[78:79], v[74:75]
	v_mul_f64 v[74:75], v[76:77], v[74:75]
	v_fma_f64 v[10:11], v[76:77], v[72:73], -v[10:11]
	s_delay_alu instid0(VALU_DEP_2) | instskip(NEXT) | instid1(VALU_DEP_2)
	v_fma_f64 v[72:73], v[78:79], v[72:73], v[74:75]
	v_add_f64 v[3:4], v[3:4], v[10:11]
	s_delay_alu instid0(VALU_DEP_2)
	v_add_f64 v[1:2], v[1:2], v[72:73]
	s_and_not1_b32 exec_lo, exec_lo, s3
	s_cbranch_execnz .LBB82_45
; %bb.46:
	s_or_b32 exec_lo, exec_lo, s3
	v_mov_b32_e32 v7, 0
	ds_load_b128 v[7:10], v7 offset:128
	s_waitcnt lgkmcnt(0)
	v_mul_f64 v[11:12], v[1:2], v[9:10]
	v_mul_f64 v[72:73], v[3:4], v[9:10]
	s_delay_alu instid0(VALU_DEP_2) | instskip(NEXT) | instid1(VALU_DEP_2)
	v_fma_f64 v[9:10], v[3:4], v[7:8], -v[11:12]
	v_fma_f64 v[11:12], v[1:2], v[7:8], v[72:73]
	scratch_store_b128 off, v[9:12], off offset:128
.LBB82_47:
	s_or_b32 exec_lo, exec_lo, s2
	s_waitcnt_vscnt null, 0x0
	s_barrier
	buffer_gl0_inv
	scratch_load_b128 v[1:4], v59, off
	s_mov_b32 s2, exec_lo
	s_waitcnt vmcnt(0)
	ds_store_b128 v5, v[1:4]
	s_waitcnt lgkmcnt(0)
	s_barrier
	buffer_gl0_inv
	v_cmpx_gt_u32_e32 9, v51
	s_cbranch_execz .LBB82_51
; %bb.48:
	v_dual_mov_b32 v1, 0 :: v_dual_add_nc_u32 v8, 0x130, v70
	v_dual_mov_b32 v2, 0 :: v_dual_add_nc_u32 v7, -1, v51
	v_or_b32_e32 v9, 8, v71
	s_mov_b32 s3, 0
	s_delay_alu instid0(VALU_DEP_2)
	v_dual_mov_b32 v4, v2 :: v_dual_mov_b32 v3, v1
	.p2align	6
.LBB82_49:                              ; =>This Inner Loop Header: Depth=1
	scratch_load_b128 v[72:75], v9, off offset:-8
	ds_load_b128 v[76:79], v8
	v_add_nc_u32_e32 v7, 1, v7
	v_add_nc_u32_e32 v8, 16, v8
	;; [unrolled: 1-line block ×3, first 2 shown]
	s_delay_alu instid0(VALU_DEP_3) | instskip(SKIP_4) | instid1(VALU_DEP_2)
	v_cmp_lt_u32_e32 vcc_lo, 7, v7
	s_or_b32 s3, vcc_lo, s3
	s_waitcnt vmcnt(0) lgkmcnt(0)
	v_mul_f64 v[10:11], v[78:79], v[74:75]
	v_mul_f64 v[74:75], v[76:77], v[74:75]
	v_fma_f64 v[10:11], v[76:77], v[72:73], -v[10:11]
	s_delay_alu instid0(VALU_DEP_2) | instskip(NEXT) | instid1(VALU_DEP_2)
	v_fma_f64 v[72:73], v[78:79], v[72:73], v[74:75]
	v_add_f64 v[3:4], v[3:4], v[10:11]
	s_delay_alu instid0(VALU_DEP_2)
	v_add_f64 v[1:2], v[1:2], v[72:73]
	s_and_not1_b32 exec_lo, exec_lo, s3
	s_cbranch_execnz .LBB82_49
; %bb.50:
	s_or_b32 exec_lo, exec_lo, s3
	v_mov_b32_e32 v7, 0
	ds_load_b128 v[7:10], v7 offset:144
	s_waitcnt lgkmcnt(0)
	v_mul_f64 v[11:12], v[1:2], v[9:10]
	v_mul_f64 v[72:73], v[3:4], v[9:10]
	s_delay_alu instid0(VALU_DEP_2) | instskip(NEXT) | instid1(VALU_DEP_2)
	v_fma_f64 v[9:10], v[3:4], v[7:8], -v[11:12]
	v_fma_f64 v[11:12], v[1:2], v[7:8], v[72:73]
	scratch_store_b128 off, v[9:12], off offset:144
.LBB82_51:
	s_or_b32 exec_lo, exec_lo, s2
	s_waitcnt_vscnt null, 0x0
	s_barrier
	buffer_gl0_inv
	scratch_load_b128 v[1:4], v62, off
	s_mov_b32 s2, exec_lo
	s_waitcnt vmcnt(0)
	ds_store_b128 v5, v[1:4]
	s_waitcnt lgkmcnt(0)
	s_barrier
	buffer_gl0_inv
	v_cmpx_gt_u32_e32 10, v51
	s_cbranch_execz .LBB82_55
; %bb.52:
	v_dual_mov_b32 v1, 0 :: v_dual_add_nc_u32 v8, 0x130, v70
	v_dual_mov_b32 v2, 0 :: v_dual_add_nc_u32 v7, -1, v51
	v_or_b32_e32 v9, 8, v71
	s_mov_b32 s3, 0
	s_delay_alu instid0(VALU_DEP_2)
	v_dual_mov_b32 v4, v2 :: v_dual_mov_b32 v3, v1
	.p2align	6
.LBB82_53:                              ; =>This Inner Loop Header: Depth=1
	scratch_load_b128 v[72:75], v9, off offset:-8
	ds_load_b128 v[76:79], v8
	v_add_nc_u32_e32 v7, 1, v7
	v_add_nc_u32_e32 v8, 16, v8
	;; [unrolled: 1-line block ×3, first 2 shown]
	s_delay_alu instid0(VALU_DEP_3) | instskip(SKIP_4) | instid1(VALU_DEP_2)
	v_cmp_lt_u32_e32 vcc_lo, 8, v7
	s_or_b32 s3, vcc_lo, s3
	s_waitcnt vmcnt(0) lgkmcnt(0)
	v_mul_f64 v[10:11], v[78:79], v[74:75]
	v_mul_f64 v[74:75], v[76:77], v[74:75]
	v_fma_f64 v[10:11], v[76:77], v[72:73], -v[10:11]
	s_delay_alu instid0(VALU_DEP_2) | instskip(NEXT) | instid1(VALU_DEP_2)
	v_fma_f64 v[72:73], v[78:79], v[72:73], v[74:75]
	v_add_f64 v[3:4], v[3:4], v[10:11]
	s_delay_alu instid0(VALU_DEP_2)
	v_add_f64 v[1:2], v[1:2], v[72:73]
	s_and_not1_b32 exec_lo, exec_lo, s3
	s_cbranch_execnz .LBB82_53
; %bb.54:
	s_or_b32 exec_lo, exec_lo, s3
	v_mov_b32_e32 v7, 0
	ds_load_b128 v[7:10], v7 offset:160
	s_waitcnt lgkmcnt(0)
	v_mul_f64 v[11:12], v[1:2], v[9:10]
	v_mul_f64 v[72:73], v[3:4], v[9:10]
	s_delay_alu instid0(VALU_DEP_2) | instskip(NEXT) | instid1(VALU_DEP_2)
	v_fma_f64 v[9:10], v[3:4], v[7:8], -v[11:12]
	v_fma_f64 v[11:12], v[1:2], v[7:8], v[72:73]
	scratch_store_b128 off, v[9:12], off offset:160
.LBB82_55:
	s_or_b32 exec_lo, exec_lo, s2
	s_waitcnt_vscnt null, 0x0
	s_barrier
	buffer_gl0_inv
	scratch_load_b128 v[1:4], v61, off
	s_mov_b32 s2, exec_lo
	s_waitcnt vmcnt(0)
	ds_store_b128 v5, v[1:4]
	s_waitcnt lgkmcnt(0)
	s_barrier
	buffer_gl0_inv
	v_cmpx_gt_u32_e32 11, v51
	s_cbranch_execz .LBB82_59
; %bb.56:
	v_dual_mov_b32 v1, 0 :: v_dual_add_nc_u32 v8, 0x130, v70
	v_dual_mov_b32 v2, 0 :: v_dual_add_nc_u32 v7, -1, v51
	v_or_b32_e32 v9, 8, v71
	s_mov_b32 s3, 0
	s_delay_alu instid0(VALU_DEP_2)
	v_dual_mov_b32 v4, v2 :: v_dual_mov_b32 v3, v1
	.p2align	6
.LBB82_57:                              ; =>This Inner Loop Header: Depth=1
	scratch_load_b128 v[72:75], v9, off offset:-8
	ds_load_b128 v[76:79], v8
	v_add_nc_u32_e32 v7, 1, v7
	v_add_nc_u32_e32 v8, 16, v8
	;; [unrolled: 1-line block ×3, first 2 shown]
	s_delay_alu instid0(VALU_DEP_3) | instskip(SKIP_4) | instid1(VALU_DEP_2)
	v_cmp_lt_u32_e32 vcc_lo, 9, v7
	s_or_b32 s3, vcc_lo, s3
	s_waitcnt vmcnt(0) lgkmcnt(0)
	v_mul_f64 v[10:11], v[78:79], v[74:75]
	v_mul_f64 v[74:75], v[76:77], v[74:75]
	v_fma_f64 v[10:11], v[76:77], v[72:73], -v[10:11]
	s_delay_alu instid0(VALU_DEP_2) | instskip(NEXT) | instid1(VALU_DEP_2)
	v_fma_f64 v[72:73], v[78:79], v[72:73], v[74:75]
	v_add_f64 v[3:4], v[3:4], v[10:11]
	s_delay_alu instid0(VALU_DEP_2)
	v_add_f64 v[1:2], v[1:2], v[72:73]
	s_and_not1_b32 exec_lo, exec_lo, s3
	s_cbranch_execnz .LBB82_57
; %bb.58:
	s_or_b32 exec_lo, exec_lo, s3
	v_mov_b32_e32 v7, 0
	ds_load_b128 v[7:10], v7 offset:176
	s_waitcnt lgkmcnt(0)
	v_mul_f64 v[11:12], v[1:2], v[9:10]
	v_mul_f64 v[72:73], v[3:4], v[9:10]
	s_delay_alu instid0(VALU_DEP_2) | instskip(NEXT) | instid1(VALU_DEP_2)
	v_fma_f64 v[9:10], v[3:4], v[7:8], -v[11:12]
	v_fma_f64 v[11:12], v[1:2], v[7:8], v[72:73]
	scratch_store_b128 off, v[9:12], off offset:176
.LBB82_59:
	s_or_b32 exec_lo, exec_lo, s2
	s_waitcnt_vscnt null, 0x0
	s_barrier
	buffer_gl0_inv
	scratch_load_b128 v[1:4], v64, off
	s_mov_b32 s2, exec_lo
	s_waitcnt vmcnt(0)
	ds_store_b128 v5, v[1:4]
	s_waitcnt lgkmcnt(0)
	s_barrier
	buffer_gl0_inv
	v_cmpx_gt_u32_e32 12, v51
	s_cbranch_execz .LBB82_63
; %bb.60:
	v_dual_mov_b32 v1, 0 :: v_dual_add_nc_u32 v8, 0x130, v70
	v_dual_mov_b32 v2, 0 :: v_dual_add_nc_u32 v7, -1, v51
	v_or_b32_e32 v9, 8, v71
	s_mov_b32 s3, 0
	s_delay_alu instid0(VALU_DEP_2)
	v_dual_mov_b32 v4, v2 :: v_dual_mov_b32 v3, v1
	.p2align	6
.LBB82_61:                              ; =>This Inner Loop Header: Depth=1
	scratch_load_b128 v[72:75], v9, off offset:-8
	ds_load_b128 v[76:79], v8
	v_add_nc_u32_e32 v7, 1, v7
	v_add_nc_u32_e32 v8, 16, v8
	;; [unrolled: 1-line block ×3, first 2 shown]
	s_delay_alu instid0(VALU_DEP_3) | instskip(SKIP_4) | instid1(VALU_DEP_2)
	v_cmp_lt_u32_e32 vcc_lo, 10, v7
	s_or_b32 s3, vcc_lo, s3
	s_waitcnt vmcnt(0) lgkmcnt(0)
	v_mul_f64 v[10:11], v[78:79], v[74:75]
	v_mul_f64 v[74:75], v[76:77], v[74:75]
	v_fma_f64 v[10:11], v[76:77], v[72:73], -v[10:11]
	s_delay_alu instid0(VALU_DEP_2) | instskip(NEXT) | instid1(VALU_DEP_2)
	v_fma_f64 v[72:73], v[78:79], v[72:73], v[74:75]
	v_add_f64 v[3:4], v[3:4], v[10:11]
	s_delay_alu instid0(VALU_DEP_2)
	v_add_f64 v[1:2], v[1:2], v[72:73]
	s_and_not1_b32 exec_lo, exec_lo, s3
	s_cbranch_execnz .LBB82_61
; %bb.62:
	s_or_b32 exec_lo, exec_lo, s3
	v_mov_b32_e32 v7, 0
	ds_load_b128 v[7:10], v7 offset:192
	s_waitcnt lgkmcnt(0)
	v_mul_f64 v[11:12], v[1:2], v[9:10]
	v_mul_f64 v[72:73], v[3:4], v[9:10]
	s_delay_alu instid0(VALU_DEP_2) | instskip(NEXT) | instid1(VALU_DEP_2)
	v_fma_f64 v[9:10], v[3:4], v[7:8], -v[11:12]
	v_fma_f64 v[11:12], v[1:2], v[7:8], v[72:73]
	scratch_store_b128 off, v[9:12], off offset:192
.LBB82_63:
	s_or_b32 exec_lo, exec_lo, s2
	s_waitcnt_vscnt null, 0x0
	s_barrier
	buffer_gl0_inv
	scratch_load_b128 v[1:4], v63, off
	s_mov_b32 s2, exec_lo
	s_waitcnt vmcnt(0)
	ds_store_b128 v5, v[1:4]
	s_waitcnt lgkmcnt(0)
	s_barrier
	buffer_gl0_inv
	v_cmpx_gt_u32_e32 13, v51
	s_cbranch_execz .LBB82_67
; %bb.64:
	v_dual_mov_b32 v1, 0 :: v_dual_add_nc_u32 v8, 0x130, v70
	v_dual_mov_b32 v2, 0 :: v_dual_add_nc_u32 v7, -1, v51
	v_or_b32_e32 v9, 8, v71
	s_mov_b32 s3, 0
	s_delay_alu instid0(VALU_DEP_2)
	v_dual_mov_b32 v4, v2 :: v_dual_mov_b32 v3, v1
	.p2align	6
.LBB82_65:                              ; =>This Inner Loop Header: Depth=1
	scratch_load_b128 v[72:75], v9, off offset:-8
	ds_load_b128 v[76:79], v8
	v_add_nc_u32_e32 v7, 1, v7
	v_add_nc_u32_e32 v8, 16, v8
	;; [unrolled: 1-line block ×3, first 2 shown]
	s_delay_alu instid0(VALU_DEP_3) | instskip(SKIP_4) | instid1(VALU_DEP_2)
	v_cmp_lt_u32_e32 vcc_lo, 11, v7
	s_or_b32 s3, vcc_lo, s3
	s_waitcnt vmcnt(0) lgkmcnt(0)
	v_mul_f64 v[10:11], v[78:79], v[74:75]
	v_mul_f64 v[74:75], v[76:77], v[74:75]
	v_fma_f64 v[10:11], v[76:77], v[72:73], -v[10:11]
	s_delay_alu instid0(VALU_DEP_2) | instskip(NEXT) | instid1(VALU_DEP_2)
	v_fma_f64 v[72:73], v[78:79], v[72:73], v[74:75]
	v_add_f64 v[3:4], v[3:4], v[10:11]
	s_delay_alu instid0(VALU_DEP_2)
	v_add_f64 v[1:2], v[1:2], v[72:73]
	s_and_not1_b32 exec_lo, exec_lo, s3
	s_cbranch_execnz .LBB82_65
; %bb.66:
	s_or_b32 exec_lo, exec_lo, s3
	v_mov_b32_e32 v7, 0
	ds_load_b128 v[7:10], v7 offset:208
	s_waitcnt lgkmcnt(0)
	v_mul_f64 v[11:12], v[1:2], v[9:10]
	v_mul_f64 v[72:73], v[3:4], v[9:10]
	s_delay_alu instid0(VALU_DEP_2) | instskip(NEXT) | instid1(VALU_DEP_2)
	v_fma_f64 v[9:10], v[3:4], v[7:8], -v[11:12]
	v_fma_f64 v[11:12], v[1:2], v[7:8], v[72:73]
	scratch_store_b128 off, v[9:12], off offset:208
.LBB82_67:
	s_or_b32 exec_lo, exec_lo, s2
	s_waitcnt_vscnt null, 0x0
	s_barrier
	buffer_gl0_inv
	scratch_load_b128 v[1:4], v66, off
	s_mov_b32 s2, exec_lo
	s_waitcnt vmcnt(0)
	ds_store_b128 v5, v[1:4]
	s_waitcnt lgkmcnt(0)
	s_barrier
	buffer_gl0_inv
	v_cmpx_gt_u32_e32 14, v51
	s_cbranch_execz .LBB82_71
; %bb.68:
	v_dual_mov_b32 v1, 0 :: v_dual_add_nc_u32 v8, 0x130, v70
	v_dual_mov_b32 v2, 0 :: v_dual_add_nc_u32 v7, -1, v51
	v_or_b32_e32 v9, 8, v71
	s_mov_b32 s3, 0
	s_delay_alu instid0(VALU_DEP_2)
	v_dual_mov_b32 v4, v2 :: v_dual_mov_b32 v3, v1
	.p2align	6
.LBB82_69:                              ; =>This Inner Loop Header: Depth=1
	scratch_load_b128 v[72:75], v9, off offset:-8
	ds_load_b128 v[76:79], v8
	v_add_nc_u32_e32 v7, 1, v7
	v_add_nc_u32_e32 v8, 16, v8
	;; [unrolled: 1-line block ×3, first 2 shown]
	s_delay_alu instid0(VALU_DEP_3) | instskip(SKIP_4) | instid1(VALU_DEP_2)
	v_cmp_lt_u32_e32 vcc_lo, 12, v7
	s_or_b32 s3, vcc_lo, s3
	s_waitcnt vmcnt(0) lgkmcnt(0)
	v_mul_f64 v[10:11], v[78:79], v[74:75]
	v_mul_f64 v[74:75], v[76:77], v[74:75]
	v_fma_f64 v[10:11], v[76:77], v[72:73], -v[10:11]
	s_delay_alu instid0(VALU_DEP_2) | instskip(NEXT) | instid1(VALU_DEP_2)
	v_fma_f64 v[72:73], v[78:79], v[72:73], v[74:75]
	v_add_f64 v[3:4], v[3:4], v[10:11]
	s_delay_alu instid0(VALU_DEP_2)
	v_add_f64 v[1:2], v[1:2], v[72:73]
	s_and_not1_b32 exec_lo, exec_lo, s3
	s_cbranch_execnz .LBB82_69
; %bb.70:
	s_or_b32 exec_lo, exec_lo, s3
	v_mov_b32_e32 v7, 0
	ds_load_b128 v[7:10], v7 offset:224
	s_waitcnt lgkmcnt(0)
	v_mul_f64 v[11:12], v[1:2], v[9:10]
	v_mul_f64 v[72:73], v[3:4], v[9:10]
	s_delay_alu instid0(VALU_DEP_2) | instskip(NEXT) | instid1(VALU_DEP_2)
	v_fma_f64 v[9:10], v[3:4], v[7:8], -v[11:12]
	v_fma_f64 v[11:12], v[1:2], v[7:8], v[72:73]
	scratch_store_b128 off, v[9:12], off offset:224
.LBB82_71:
	s_or_b32 exec_lo, exec_lo, s2
	s_waitcnt_vscnt null, 0x0
	s_barrier
	buffer_gl0_inv
	scratch_load_b128 v[1:4], v65, off
	s_mov_b32 s2, exec_lo
	s_waitcnt vmcnt(0)
	ds_store_b128 v5, v[1:4]
	s_waitcnt lgkmcnt(0)
	s_barrier
	buffer_gl0_inv
	v_cmpx_gt_u32_e32 15, v51
	s_cbranch_execz .LBB82_75
; %bb.72:
	v_dual_mov_b32 v1, 0 :: v_dual_add_nc_u32 v8, 0x130, v70
	v_dual_mov_b32 v2, 0 :: v_dual_add_nc_u32 v7, -1, v51
	v_or_b32_e32 v9, 8, v71
	s_mov_b32 s3, 0
	s_delay_alu instid0(VALU_DEP_2)
	v_dual_mov_b32 v4, v2 :: v_dual_mov_b32 v3, v1
	.p2align	6
.LBB82_73:                              ; =>This Inner Loop Header: Depth=1
	scratch_load_b128 v[72:75], v9, off offset:-8
	ds_load_b128 v[76:79], v8
	v_add_nc_u32_e32 v7, 1, v7
	v_add_nc_u32_e32 v8, 16, v8
	;; [unrolled: 1-line block ×3, first 2 shown]
	s_delay_alu instid0(VALU_DEP_3) | instskip(SKIP_4) | instid1(VALU_DEP_2)
	v_cmp_lt_u32_e32 vcc_lo, 13, v7
	s_or_b32 s3, vcc_lo, s3
	s_waitcnt vmcnt(0) lgkmcnt(0)
	v_mul_f64 v[10:11], v[78:79], v[74:75]
	v_mul_f64 v[74:75], v[76:77], v[74:75]
	v_fma_f64 v[10:11], v[76:77], v[72:73], -v[10:11]
	s_delay_alu instid0(VALU_DEP_2) | instskip(NEXT) | instid1(VALU_DEP_2)
	v_fma_f64 v[72:73], v[78:79], v[72:73], v[74:75]
	v_add_f64 v[3:4], v[3:4], v[10:11]
	s_delay_alu instid0(VALU_DEP_2)
	v_add_f64 v[1:2], v[1:2], v[72:73]
	s_and_not1_b32 exec_lo, exec_lo, s3
	s_cbranch_execnz .LBB82_73
; %bb.74:
	s_or_b32 exec_lo, exec_lo, s3
	v_mov_b32_e32 v7, 0
	ds_load_b128 v[7:10], v7 offset:240
	s_waitcnt lgkmcnt(0)
	v_mul_f64 v[11:12], v[1:2], v[9:10]
	v_mul_f64 v[72:73], v[3:4], v[9:10]
	s_delay_alu instid0(VALU_DEP_2) | instskip(NEXT) | instid1(VALU_DEP_2)
	v_fma_f64 v[9:10], v[3:4], v[7:8], -v[11:12]
	v_fma_f64 v[11:12], v[1:2], v[7:8], v[72:73]
	scratch_store_b128 off, v[9:12], off offset:240
.LBB82_75:
	s_or_b32 exec_lo, exec_lo, s2
	s_waitcnt_vscnt null, 0x0
	s_barrier
	buffer_gl0_inv
	scratch_load_b128 v[1:4], v68, off
	s_mov_b32 s2, exec_lo
	s_waitcnt vmcnt(0)
	ds_store_b128 v5, v[1:4]
	s_waitcnt lgkmcnt(0)
	s_barrier
	buffer_gl0_inv
	v_cmpx_gt_u32_e32 16, v51
	s_cbranch_execz .LBB82_79
; %bb.76:
	v_dual_mov_b32 v1, 0 :: v_dual_add_nc_u32 v8, 0x130, v70
	v_dual_mov_b32 v2, 0 :: v_dual_add_nc_u32 v7, -1, v51
	v_or_b32_e32 v9, 8, v71
	s_mov_b32 s3, 0
	s_delay_alu instid0(VALU_DEP_2)
	v_dual_mov_b32 v4, v2 :: v_dual_mov_b32 v3, v1
	.p2align	6
.LBB82_77:                              ; =>This Inner Loop Header: Depth=1
	scratch_load_b128 v[72:75], v9, off offset:-8
	ds_load_b128 v[76:79], v8
	v_add_nc_u32_e32 v7, 1, v7
	v_add_nc_u32_e32 v8, 16, v8
	;; [unrolled: 1-line block ×3, first 2 shown]
	s_delay_alu instid0(VALU_DEP_3) | instskip(SKIP_4) | instid1(VALU_DEP_2)
	v_cmp_lt_u32_e32 vcc_lo, 14, v7
	s_or_b32 s3, vcc_lo, s3
	s_waitcnt vmcnt(0) lgkmcnt(0)
	v_mul_f64 v[10:11], v[78:79], v[74:75]
	v_mul_f64 v[74:75], v[76:77], v[74:75]
	v_fma_f64 v[10:11], v[76:77], v[72:73], -v[10:11]
	s_delay_alu instid0(VALU_DEP_2) | instskip(NEXT) | instid1(VALU_DEP_2)
	v_fma_f64 v[72:73], v[78:79], v[72:73], v[74:75]
	v_add_f64 v[3:4], v[3:4], v[10:11]
	s_delay_alu instid0(VALU_DEP_2)
	v_add_f64 v[1:2], v[1:2], v[72:73]
	s_and_not1_b32 exec_lo, exec_lo, s3
	s_cbranch_execnz .LBB82_77
; %bb.78:
	s_or_b32 exec_lo, exec_lo, s3
	v_mov_b32_e32 v7, 0
	ds_load_b128 v[7:10], v7 offset:256
	s_waitcnt lgkmcnt(0)
	v_mul_f64 v[11:12], v[1:2], v[9:10]
	v_mul_f64 v[72:73], v[3:4], v[9:10]
	s_delay_alu instid0(VALU_DEP_2) | instskip(NEXT) | instid1(VALU_DEP_2)
	v_fma_f64 v[9:10], v[3:4], v[7:8], -v[11:12]
	v_fma_f64 v[11:12], v[1:2], v[7:8], v[72:73]
	scratch_store_b128 off, v[9:12], off offset:256
.LBB82_79:
	s_or_b32 exec_lo, exec_lo, s2
	s_waitcnt_vscnt null, 0x0
	s_barrier
	buffer_gl0_inv
	scratch_load_b128 v[1:4], v69, off
	s_mov_b32 s2, exec_lo
	s_waitcnt vmcnt(0)
	ds_store_b128 v5, v[1:4]
	s_waitcnt lgkmcnt(0)
	s_barrier
	buffer_gl0_inv
	v_cmpx_gt_u32_e32 17, v51
	s_cbranch_execz .LBB82_83
; %bb.80:
	v_dual_mov_b32 v1, 0 :: v_dual_add_nc_u32 v8, 0x130, v70
	v_dual_mov_b32 v2, 0 :: v_dual_add_nc_u32 v7, -1, v51
	v_or_b32_e32 v9, 8, v71
	s_mov_b32 s3, 0
	s_delay_alu instid0(VALU_DEP_2)
	v_dual_mov_b32 v4, v2 :: v_dual_mov_b32 v3, v1
	.p2align	6
.LBB82_81:                              ; =>This Inner Loop Header: Depth=1
	scratch_load_b128 v[72:75], v9, off offset:-8
	ds_load_b128 v[76:79], v8
	v_add_nc_u32_e32 v7, 1, v7
	v_add_nc_u32_e32 v8, 16, v8
	;; [unrolled: 1-line block ×3, first 2 shown]
	s_delay_alu instid0(VALU_DEP_3) | instskip(SKIP_4) | instid1(VALU_DEP_2)
	v_cmp_lt_u32_e32 vcc_lo, 15, v7
	s_or_b32 s3, vcc_lo, s3
	s_waitcnt vmcnt(0) lgkmcnt(0)
	v_mul_f64 v[10:11], v[78:79], v[74:75]
	v_mul_f64 v[74:75], v[76:77], v[74:75]
	v_fma_f64 v[10:11], v[76:77], v[72:73], -v[10:11]
	s_delay_alu instid0(VALU_DEP_2) | instskip(NEXT) | instid1(VALU_DEP_2)
	v_fma_f64 v[72:73], v[78:79], v[72:73], v[74:75]
	v_add_f64 v[3:4], v[3:4], v[10:11]
	s_delay_alu instid0(VALU_DEP_2)
	v_add_f64 v[1:2], v[1:2], v[72:73]
	s_and_not1_b32 exec_lo, exec_lo, s3
	s_cbranch_execnz .LBB82_81
; %bb.82:
	s_or_b32 exec_lo, exec_lo, s3
	v_mov_b32_e32 v7, 0
	ds_load_b128 v[7:10], v7 offset:272
	s_waitcnt lgkmcnt(0)
	v_mul_f64 v[11:12], v[1:2], v[9:10]
	v_mul_f64 v[72:73], v[3:4], v[9:10]
	s_delay_alu instid0(VALU_DEP_2) | instskip(NEXT) | instid1(VALU_DEP_2)
	v_fma_f64 v[9:10], v[3:4], v[7:8], -v[11:12]
	v_fma_f64 v[11:12], v[1:2], v[7:8], v[72:73]
	scratch_store_b128 off, v[9:12], off offset:272
.LBB82_83:
	s_or_b32 exec_lo, exec_lo, s2
	s_waitcnt_vscnt null, 0x0
	s_barrier
	buffer_gl0_inv
	scratch_load_b128 v[1:4], v67, off
	s_mov_b32 s2, exec_lo
	s_waitcnt vmcnt(0)
	ds_store_b128 v5, v[1:4]
	s_waitcnt lgkmcnt(0)
	s_barrier
	buffer_gl0_inv
	v_cmpx_ne_u32_e32 18, v51
	s_cbranch_execz .LBB82_87
; %bb.84:
	v_mov_b32_e32 v1, 0
	v_mov_b32_e32 v2, 0
	v_or_b32_e32 v7, 8, v71
	s_mov_b32 s3, 0
	s_delay_alu instid0(VALU_DEP_2)
	v_dual_mov_b32 v4, v2 :: v_dual_mov_b32 v3, v1
	.p2align	6
.LBB82_85:                              ; =>This Inner Loop Header: Depth=1
	scratch_load_b128 v[8:11], v7, off offset:-8
	ds_load_b128 v[70:73], v5
	v_add_nc_u32_e32 v6, 1, v6
	v_add_nc_u32_e32 v5, 16, v5
	;; [unrolled: 1-line block ×3, first 2 shown]
	s_delay_alu instid0(VALU_DEP_3) | instskip(SKIP_4) | instid1(VALU_DEP_2)
	v_cmp_lt_u32_e32 vcc_lo, 16, v6
	s_or_b32 s3, vcc_lo, s3
	s_waitcnt vmcnt(0) lgkmcnt(0)
	v_mul_f64 v[74:75], v[72:73], v[10:11]
	v_mul_f64 v[10:11], v[70:71], v[10:11]
	v_fma_f64 v[70:71], v[70:71], v[8:9], -v[74:75]
	s_delay_alu instid0(VALU_DEP_2) | instskip(NEXT) | instid1(VALU_DEP_2)
	v_fma_f64 v[8:9], v[72:73], v[8:9], v[10:11]
	v_add_f64 v[3:4], v[3:4], v[70:71]
	s_delay_alu instid0(VALU_DEP_2)
	v_add_f64 v[1:2], v[1:2], v[8:9]
	s_and_not1_b32 exec_lo, exec_lo, s3
	s_cbranch_execnz .LBB82_85
; %bb.86:
	s_or_b32 exec_lo, exec_lo, s3
	v_mov_b32_e32 v5, 0
	ds_load_b128 v[5:8], v5 offset:288
	s_waitcnt lgkmcnt(0)
	v_mul_f64 v[9:10], v[1:2], v[7:8]
	v_mul_f64 v[7:8], v[3:4], v[7:8]
	s_delay_alu instid0(VALU_DEP_2) | instskip(NEXT) | instid1(VALU_DEP_2)
	v_fma_f64 v[3:4], v[3:4], v[5:6], -v[9:10]
	v_fma_f64 v[5:6], v[1:2], v[5:6], v[7:8]
	scratch_store_b128 off, v[3:6], off offset:288
.LBB82_87:
	s_or_b32 exec_lo, exec_lo, s2
	s_mov_b32 s3, -1
	s_waitcnt_vscnt null, 0x0
	s_barrier
	buffer_gl0_inv
.LBB82_88:
	s_and_b32 vcc_lo, exec_lo, s3
	s_cbranch_vccz .LBB82_90
; %bb.89:
	s_lshl_b64 s[2:3], s[10:11], 2
	v_mov_b32_e32 v1, 0
	s_add_u32 s2, s6, s2
	s_addc_u32 s3, s7, s3
	global_load_b32 v1, v1, s[2:3]
	s_waitcnt vmcnt(0)
	v_cmp_ne_u32_e32 vcc_lo, 0, v1
	s_cbranch_vccz .LBB82_91
.LBB82_90:
	s_endpgm
.LBB82_91:
	v_lshl_add_u32 v5, v51, 4, 0x130
	s_mov_b32 s2, exec_lo
	v_cmpx_eq_u32_e32 18, v51
	s_cbranch_execz .LBB82_93
; %bb.92:
	scratch_load_b128 v[1:4], v69, off
	v_mov_b32_e32 v6, 0
	s_delay_alu instid0(VALU_DEP_1)
	v_mov_b32_e32 v7, v6
	v_mov_b32_e32 v8, v6
	;; [unrolled: 1-line block ×3, first 2 shown]
	scratch_store_b128 off, v[6:9], off offset:272
	s_waitcnt vmcnt(0)
	ds_store_b128 v5, v[1:4]
.LBB82_93:
	s_or_b32 exec_lo, exec_lo, s2
	s_waitcnt lgkmcnt(0)
	s_waitcnt_vscnt null, 0x0
	s_barrier
	buffer_gl0_inv
	s_clause 0x1
	scratch_load_b128 v[6:9], off, off offset:288
	scratch_load_b128 v[70:73], off, off offset:272
	v_mov_b32_e32 v1, 0
	s_mov_b32 s2, exec_lo
	ds_load_b128 v[74:77], v1 offset:592
	s_waitcnt vmcnt(1) lgkmcnt(0)
	v_mul_f64 v[2:3], v[76:77], v[8:9]
	v_mul_f64 v[8:9], v[74:75], v[8:9]
	s_delay_alu instid0(VALU_DEP_2) | instskip(NEXT) | instid1(VALU_DEP_2)
	v_fma_f64 v[2:3], v[74:75], v[6:7], -v[2:3]
	v_fma_f64 v[6:7], v[76:77], v[6:7], v[8:9]
	s_delay_alu instid0(VALU_DEP_2) | instskip(NEXT) | instid1(VALU_DEP_2)
	v_add_f64 v[2:3], v[2:3], 0
	v_add_f64 v[8:9], v[6:7], 0
	s_waitcnt vmcnt(0)
	s_delay_alu instid0(VALU_DEP_2) | instskip(NEXT) | instid1(VALU_DEP_2)
	v_add_f64 v[6:7], v[70:71], -v[2:3]
	v_add_f64 v[8:9], v[72:73], -v[8:9]
	scratch_store_b128 off, v[6:9], off offset:272
	v_cmpx_lt_u32_e32 16, v51
	s_cbranch_execz .LBB82_95
; %bb.94:
	scratch_load_b128 v[6:9], v68, off
	v_mov_b32_e32 v2, v1
	v_mov_b32_e32 v3, v1
	;; [unrolled: 1-line block ×3, first 2 shown]
	scratch_store_b128 off, v[1:4], off offset:256
	s_waitcnt vmcnt(0)
	ds_store_b128 v5, v[6:9]
.LBB82_95:
	s_or_b32 exec_lo, exec_lo, s2
	s_waitcnt lgkmcnt(0)
	s_waitcnt_vscnt null, 0x0
	s_barrier
	buffer_gl0_inv
	s_clause 0x2
	scratch_load_b128 v[6:9], off, off offset:272
	scratch_load_b128 v[70:73], off, off offset:288
	;; [unrolled: 1-line block ×3, first 2 shown]
	ds_load_b128 v[78:81], v1 offset:576
	ds_load_b128 v[1:4], v1 offset:592
	s_mov_b32 s2, exec_lo
	s_waitcnt vmcnt(2) lgkmcnt(1)
	v_mul_f64 v[10:11], v[80:81], v[8:9]
	v_mul_f64 v[8:9], v[78:79], v[8:9]
	s_waitcnt vmcnt(1) lgkmcnt(0)
	v_mul_f64 v[82:83], v[1:2], v[72:73]
	v_mul_f64 v[72:73], v[3:4], v[72:73]
	s_delay_alu instid0(VALU_DEP_4) | instskip(NEXT) | instid1(VALU_DEP_4)
	v_fma_f64 v[10:11], v[78:79], v[6:7], -v[10:11]
	v_fma_f64 v[6:7], v[80:81], v[6:7], v[8:9]
	s_delay_alu instid0(VALU_DEP_4) | instskip(NEXT) | instid1(VALU_DEP_4)
	v_fma_f64 v[3:4], v[3:4], v[70:71], v[82:83]
	v_fma_f64 v[1:2], v[1:2], v[70:71], -v[72:73]
	s_delay_alu instid0(VALU_DEP_4) | instskip(NEXT) | instid1(VALU_DEP_4)
	v_add_f64 v[8:9], v[10:11], 0
	v_add_f64 v[6:7], v[6:7], 0
	s_delay_alu instid0(VALU_DEP_2) | instskip(NEXT) | instid1(VALU_DEP_2)
	v_add_f64 v[1:2], v[8:9], v[1:2]
	v_add_f64 v[3:4], v[6:7], v[3:4]
	s_waitcnt vmcnt(0)
	s_delay_alu instid0(VALU_DEP_2) | instskip(NEXT) | instid1(VALU_DEP_2)
	v_add_f64 v[1:2], v[74:75], -v[1:2]
	v_add_f64 v[3:4], v[76:77], -v[3:4]
	scratch_store_b128 off, v[1:4], off offset:256
	v_cmpx_lt_u32_e32 15, v51
	s_cbranch_execz .LBB82_97
; %bb.96:
	scratch_load_b128 v[1:4], v65, off
	v_mov_b32_e32 v6, 0
	s_delay_alu instid0(VALU_DEP_1)
	v_mov_b32_e32 v7, v6
	v_mov_b32_e32 v8, v6
	;; [unrolled: 1-line block ×3, first 2 shown]
	scratch_store_b128 off, v[6:9], off offset:240
	s_waitcnt vmcnt(0)
	ds_store_b128 v5, v[1:4]
.LBB82_97:
	s_or_b32 exec_lo, exec_lo, s2
	s_waitcnt lgkmcnt(0)
	s_waitcnt_vscnt null, 0x0
	s_barrier
	buffer_gl0_inv
	s_clause 0x3
	scratch_load_b128 v[6:9], off, off offset:256
	scratch_load_b128 v[70:73], off, off offset:272
	;; [unrolled: 1-line block ×4, first 2 shown]
	v_mov_b32_e32 v1, 0
	ds_load_b128 v[82:85], v1 offset:560
	ds_load_b128 v[86:89], v1 offset:576
	s_mov_b32 s2, exec_lo
	s_waitcnt vmcnt(3) lgkmcnt(1)
	v_mul_f64 v[2:3], v[84:85], v[8:9]
	v_mul_f64 v[8:9], v[82:83], v[8:9]
	s_waitcnt vmcnt(2) lgkmcnt(0)
	v_mul_f64 v[10:11], v[86:87], v[72:73]
	v_mul_f64 v[72:73], v[88:89], v[72:73]
	s_delay_alu instid0(VALU_DEP_4) | instskip(NEXT) | instid1(VALU_DEP_4)
	v_fma_f64 v[2:3], v[82:83], v[6:7], -v[2:3]
	v_fma_f64 v[82:83], v[84:85], v[6:7], v[8:9]
	ds_load_b128 v[6:9], v1 offset:592
	v_fma_f64 v[10:11], v[88:89], v[70:71], v[10:11]
	v_fma_f64 v[70:71], v[86:87], v[70:71], -v[72:73]
	s_waitcnt vmcnt(1) lgkmcnt(0)
	v_mul_f64 v[84:85], v[6:7], v[76:77]
	v_mul_f64 v[76:77], v[8:9], v[76:77]
	v_add_f64 v[2:3], v[2:3], 0
	v_add_f64 v[72:73], v[82:83], 0
	s_delay_alu instid0(VALU_DEP_4) | instskip(NEXT) | instid1(VALU_DEP_4)
	v_fma_f64 v[8:9], v[8:9], v[74:75], v[84:85]
	v_fma_f64 v[6:7], v[6:7], v[74:75], -v[76:77]
	s_delay_alu instid0(VALU_DEP_4) | instskip(NEXT) | instid1(VALU_DEP_4)
	v_add_f64 v[2:3], v[2:3], v[70:71]
	v_add_f64 v[10:11], v[72:73], v[10:11]
	s_delay_alu instid0(VALU_DEP_2) | instskip(NEXT) | instid1(VALU_DEP_2)
	v_add_f64 v[2:3], v[2:3], v[6:7]
	v_add_f64 v[8:9], v[10:11], v[8:9]
	s_waitcnt vmcnt(0)
	s_delay_alu instid0(VALU_DEP_2) | instskip(NEXT) | instid1(VALU_DEP_2)
	v_add_f64 v[6:7], v[78:79], -v[2:3]
	v_add_f64 v[8:9], v[80:81], -v[8:9]
	scratch_store_b128 off, v[6:9], off offset:240
	v_cmpx_lt_u32_e32 14, v51
	s_cbranch_execz .LBB82_99
; %bb.98:
	scratch_load_b128 v[6:9], v66, off
	v_mov_b32_e32 v2, v1
	v_mov_b32_e32 v3, v1
	;; [unrolled: 1-line block ×3, first 2 shown]
	scratch_store_b128 off, v[1:4], off offset:224
	s_waitcnt vmcnt(0)
	ds_store_b128 v5, v[6:9]
.LBB82_99:
	s_or_b32 exec_lo, exec_lo, s2
	s_waitcnt lgkmcnt(0)
	s_waitcnt_vscnt null, 0x0
	s_barrier
	buffer_gl0_inv
	s_clause 0x4
	scratch_load_b128 v[6:9], off, off offset:240
	scratch_load_b128 v[70:73], off, off offset:256
	;; [unrolled: 1-line block ×5, first 2 shown]
	ds_load_b128 v[86:89], v1 offset:544
	ds_load_b128 v[90:93], v1 offset:560
	s_mov_b32 s2, exec_lo
	s_waitcnt vmcnt(4) lgkmcnt(1)
	v_mul_f64 v[2:3], v[88:89], v[8:9]
	v_mul_f64 v[8:9], v[86:87], v[8:9]
	s_waitcnt vmcnt(3) lgkmcnt(0)
	v_mul_f64 v[10:11], v[90:91], v[72:73]
	v_mul_f64 v[72:73], v[92:93], v[72:73]
	s_delay_alu instid0(VALU_DEP_4) | instskip(NEXT) | instid1(VALU_DEP_4)
	v_fma_f64 v[86:87], v[86:87], v[6:7], -v[2:3]
	v_fma_f64 v[88:89], v[88:89], v[6:7], v[8:9]
	ds_load_b128 v[6:9], v1 offset:576
	ds_load_b128 v[1:4], v1 offset:592
	v_fma_f64 v[10:11], v[92:93], v[70:71], v[10:11]
	v_fma_f64 v[70:71], v[90:91], v[70:71], -v[72:73]
	s_waitcnt vmcnt(2) lgkmcnt(1)
	v_mul_f64 v[94:95], v[6:7], v[76:77]
	v_mul_f64 v[76:77], v[8:9], v[76:77]
	v_add_f64 v[72:73], v[86:87], 0
	v_add_f64 v[86:87], v[88:89], 0
	s_waitcnt vmcnt(1) lgkmcnt(0)
	v_mul_f64 v[88:89], v[1:2], v[80:81]
	v_mul_f64 v[80:81], v[3:4], v[80:81]
	v_fma_f64 v[8:9], v[8:9], v[74:75], v[94:95]
	v_fma_f64 v[6:7], v[6:7], v[74:75], -v[76:77]
	v_add_f64 v[70:71], v[72:73], v[70:71]
	v_add_f64 v[10:11], v[86:87], v[10:11]
	v_fma_f64 v[3:4], v[3:4], v[78:79], v[88:89]
	v_fma_f64 v[1:2], v[1:2], v[78:79], -v[80:81]
	s_delay_alu instid0(VALU_DEP_4) | instskip(NEXT) | instid1(VALU_DEP_4)
	v_add_f64 v[6:7], v[70:71], v[6:7]
	v_add_f64 v[8:9], v[10:11], v[8:9]
	s_delay_alu instid0(VALU_DEP_2) | instskip(NEXT) | instid1(VALU_DEP_2)
	v_add_f64 v[1:2], v[6:7], v[1:2]
	v_add_f64 v[3:4], v[8:9], v[3:4]
	s_waitcnt vmcnt(0)
	s_delay_alu instid0(VALU_DEP_2) | instskip(NEXT) | instid1(VALU_DEP_2)
	v_add_f64 v[1:2], v[82:83], -v[1:2]
	v_add_f64 v[3:4], v[84:85], -v[3:4]
	scratch_store_b128 off, v[1:4], off offset:224
	v_cmpx_lt_u32_e32 13, v51
	s_cbranch_execz .LBB82_101
; %bb.100:
	scratch_load_b128 v[1:4], v63, off
	v_mov_b32_e32 v6, 0
	s_delay_alu instid0(VALU_DEP_1)
	v_mov_b32_e32 v7, v6
	v_mov_b32_e32 v8, v6
	;; [unrolled: 1-line block ×3, first 2 shown]
	scratch_store_b128 off, v[6:9], off offset:208
	s_waitcnt vmcnt(0)
	ds_store_b128 v5, v[1:4]
.LBB82_101:
	s_or_b32 exec_lo, exec_lo, s2
	s_waitcnt lgkmcnt(0)
	s_waitcnt_vscnt null, 0x0
	s_barrier
	buffer_gl0_inv
	s_clause 0x5
	scratch_load_b128 v[6:9], off, off offset:224
	scratch_load_b128 v[70:73], off, off offset:240
	;; [unrolled: 1-line block ×6, first 2 shown]
	v_mov_b32_e32 v1, 0
	ds_load_b128 v[90:93], v1 offset:528
	ds_load_b128 v[94:97], v1 offset:544
	s_mov_b32 s2, exec_lo
	s_waitcnt vmcnt(5) lgkmcnt(1)
	v_mul_f64 v[2:3], v[92:93], v[8:9]
	v_mul_f64 v[8:9], v[90:91], v[8:9]
	s_waitcnt vmcnt(4) lgkmcnt(0)
	v_mul_f64 v[10:11], v[94:95], v[72:73]
	v_mul_f64 v[72:73], v[96:97], v[72:73]
	s_delay_alu instid0(VALU_DEP_4) | instskip(NEXT) | instid1(VALU_DEP_4)
	v_fma_f64 v[2:3], v[90:91], v[6:7], -v[2:3]
	v_fma_f64 v[98:99], v[92:93], v[6:7], v[8:9]
	ds_load_b128 v[6:9], v1 offset:560
	ds_load_b128 v[90:93], v1 offset:576
	v_fma_f64 v[10:11], v[96:97], v[70:71], v[10:11]
	v_fma_f64 v[70:71], v[94:95], v[70:71], -v[72:73]
	s_waitcnt vmcnt(3) lgkmcnt(1)
	v_mul_f64 v[100:101], v[6:7], v[76:77]
	v_mul_f64 v[76:77], v[8:9], v[76:77]
	s_waitcnt vmcnt(2) lgkmcnt(0)
	v_mul_f64 v[94:95], v[90:91], v[80:81]
	v_mul_f64 v[80:81], v[92:93], v[80:81]
	v_add_f64 v[2:3], v[2:3], 0
	v_add_f64 v[72:73], v[98:99], 0
	v_fma_f64 v[96:97], v[8:9], v[74:75], v[100:101]
	v_fma_f64 v[74:75], v[6:7], v[74:75], -v[76:77]
	ds_load_b128 v[6:9], v1 offset:592
	v_fma_f64 v[76:77], v[92:93], v[78:79], v[94:95]
	v_fma_f64 v[78:79], v[90:91], v[78:79], -v[80:81]
	v_add_f64 v[2:3], v[2:3], v[70:71]
	v_add_f64 v[10:11], v[72:73], v[10:11]
	s_waitcnt vmcnt(1) lgkmcnt(0)
	v_mul_f64 v[70:71], v[6:7], v[84:85]
	v_mul_f64 v[72:73], v[8:9], v[84:85]
	s_delay_alu instid0(VALU_DEP_4) | instskip(NEXT) | instid1(VALU_DEP_4)
	v_add_f64 v[2:3], v[2:3], v[74:75]
	v_add_f64 v[10:11], v[10:11], v[96:97]
	s_delay_alu instid0(VALU_DEP_4) | instskip(NEXT) | instid1(VALU_DEP_4)
	v_fma_f64 v[8:9], v[8:9], v[82:83], v[70:71]
	v_fma_f64 v[6:7], v[6:7], v[82:83], -v[72:73]
	s_delay_alu instid0(VALU_DEP_4) | instskip(NEXT) | instid1(VALU_DEP_4)
	v_add_f64 v[2:3], v[2:3], v[78:79]
	v_add_f64 v[10:11], v[10:11], v[76:77]
	s_delay_alu instid0(VALU_DEP_2) | instskip(NEXT) | instid1(VALU_DEP_2)
	v_add_f64 v[2:3], v[2:3], v[6:7]
	v_add_f64 v[8:9], v[10:11], v[8:9]
	s_waitcnt vmcnt(0)
	s_delay_alu instid0(VALU_DEP_2) | instskip(NEXT) | instid1(VALU_DEP_2)
	v_add_f64 v[6:7], v[86:87], -v[2:3]
	v_add_f64 v[8:9], v[88:89], -v[8:9]
	scratch_store_b128 off, v[6:9], off offset:208
	v_cmpx_lt_u32_e32 12, v51
	s_cbranch_execz .LBB82_103
; %bb.102:
	scratch_load_b128 v[6:9], v64, off
	v_mov_b32_e32 v2, v1
	v_mov_b32_e32 v3, v1
	;; [unrolled: 1-line block ×3, first 2 shown]
	scratch_store_b128 off, v[1:4], off offset:192
	s_waitcnt vmcnt(0)
	ds_store_b128 v5, v[6:9]
.LBB82_103:
	s_or_b32 exec_lo, exec_lo, s2
	s_waitcnt lgkmcnt(0)
	s_waitcnt_vscnt null, 0x0
	s_barrier
	buffer_gl0_inv
	s_clause 0x5
	scratch_load_b128 v[6:9], off, off offset:208
	scratch_load_b128 v[70:73], off, off offset:224
	;; [unrolled: 1-line block ×6, first 2 shown]
	ds_load_b128 v[90:93], v1 offset:512
	ds_load_b128 v[98:101], v1 offset:528
	scratch_load_b128 v[94:97], off, off offset:192
	s_mov_b32 s2, exec_lo
	s_waitcnt vmcnt(6) lgkmcnt(1)
	v_mul_f64 v[2:3], v[92:93], v[8:9]
	v_mul_f64 v[8:9], v[90:91], v[8:9]
	s_waitcnt vmcnt(5) lgkmcnt(0)
	v_mul_f64 v[10:11], v[98:99], v[72:73]
	v_mul_f64 v[72:73], v[100:101], v[72:73]
	s_delay_alu instid0(VALU_DEP_4) | instskip(NEXT) | instid1(VALU_DEP_4)
	v_fma_f64 v[2:3], v[90:91], v[6:7], -v[2:3]
	v_fma_f64 v[102:103], v[92:93], v[6:7], v[8:9]
	ds_load_b128 v[6:9], v1 offset:544
	ds_load_b128 v[90:93], v1 offset:560
	v_fma_f64 v[10:11], v[100:101], v[70:71], v[10:11]
	v_fma_f64 v[70:71], v[98:99], v[70:71], -v[72:73]
	s_waitcnt vmcnt(4) lgkmcnt(1)
	v_mul_f64 v[104:105], v[6:7], v[76:77]
	v_mul_f64 v[76:77], v[8:9], v[76:77]
	s_waitcnt vmcnt(3) lgkmcnt(0)
	v_mul_f64 v[98:99], v[90:91], v[80:81]
	v_mul_f64 v[80:81], v[92:93], v[80:81]
	v_add_f64 v[2:3], v[2:3], 0
	v_add_f64 v[72:73], v[102:103], 0
	v_fma_f64 v[100:101], v[8:9], v[74:75], v[104:105]
	v_fma_f64 v[74:75], v[6:7], v[74:75], -v[76:77]
	s_delay_alu instid0(VALU_DEP_4) | instskip(NEXT) | instid1(VALU_DEP_4)
	v_add_f64 v[70:71], v[2:3], v[70:71]
	v_add_f64 v[10:11], v[72:73], v[10:11]
	ds_load_b128 v[6:9], v1 offset:576
	ds_load_b128 v[1:4], v1 offset:592
	s_waitcnt vmcnt(2) lgkmcnt(1)
	v_mul_f64 v[72:73], v[6:7], v[84:85]
	v_mul_f64 v[76:77], v[8:9], v[84:85]
	v_fma_f64 v[84:85], v[92:93], v[78:79], v[98:99]
	v_fma_f64 v[78:79], v[90:91], v[78:79], -v[80:81]
	s_waitcnt vmcnt(1) lgkmcnt(0)
	v_mul_f64 v[80:81], v[3:4], v[88:89]
	v_add_f64 v[70:71], v[70:71], v[74:75]
	v_add_f64 v[10:11], v[10:11], v[100:101]
	v_mul_f64 v[74:75], v[1:2], v[88:89]
	v_fma_f64 v[8:9], v[8:9], v[82:83], v[72:73]
	v_fma_f64 v[6:7], v[6:7], v[82:83], -v[76:77]
	v_fma_f64 v[1:2], v[1:2], v[86:87], -v[80:81]
	v_add_f64 v[70:71], v[70:71], v[78:79]
	v_add_f64 v[10:11], v[10:11], v[84:85]
	v_fma_f64 v[3:4], v[3:4], v[86:87], v[74:75]
	s_delay_alu instid0(VALU_DEP_3) | instskip(NEXT) | instid1(VALU_DEP_3)
	v_add_f64 v[6:7], v[70:71], v[6:7]
	v_add_f64 v[8:9], v[10:11], v[8:9]
	s_delay_alu instid0(VALU_DEP_2) | instskip(NEXT) | instid1(VALU_DEP_2)
	v_add_f64 v[1:2], v[6:7], v[1:2]
	v_add_f64 v[3:4], v[8:9], v[3:4]
	s_waitcnt vmcnt(0)
	s_delay_alu instid0(VALU_DEP_2) | instskip(NEXT) | instid1(VALU_DEP_2)
	v_add_f64 v[1:2], v[94:95], -v[1:2]
	v_add_f64 v[3:4], v[96:97], -v[3:4]
	scratch_store_b128 off, v[1:4], off offset:192
	v_cmpx_lt_u32_e32 11, v51
	s_cbranch_execz .LBB82_105
; %bb.104:
	scratch_load_b128 v[1:4], v61, off
	v_mov_b32_e32 v6, 0
	s_delay_alu instid0(VALU_DEP_1)
	v_mov_b32_e32 v7, v6
	v_mov_b32_e32 v8, v6
	;; [unrolled: 1-line block ×3, first 2 shown]
	scratch_store_b128 off, v[6:9], off offset:176
	s_waitcnt vmcnt(0)
	ds_store_b128 v5, v[1:4]
.LBB82_105:
	s_or_b32 exec_lo, exec_lo, s2
	s_waitcnt lgkmcnt(0)
	s_waitcnt_vscnt null, 0x0
	s_barrier
	buffer_gl0_inv
	s_clause 0x6
	scratch_load_b128 v[6:9], off, off offset:192
	scratch_load_b128 v[70:73], off, off offset:208
	;; [unrolled: 1-line block ×7, first 2 shown]
	v_mov_b32_e32 v1, 0
	scratch_load_b128 v[98:101], off, off offset:176
	s_mov_b32 s2, exec_lo
	ds_load_b128 v[94:97], v1 offset:496
	ds_load_b128 v[102:105], v1 offset:512
	s_waitcnt vmcnt(7) lgkmcnt(1)
	v_mul_f64 v[2:3], v[96:97], v[8:9]
	v_mul_f64 v[8:9], v[94:95], v[8:9]
	s_waitcnt vmcnt(6) lgkmcnt(0)
	v_mul_f64 v[10:11], v[102:103], v[72:73]
	v_mul_f64 v[72:73], v[104:105], v[72:73]
	s_delay_alu instid0(VALU_DEP_4) | instskip(NEXT) | instid1(VALU_DEP_4)
	v_fma_f64 v[2:3], v[94:95], v[6:7], -v[2:3]
	v_fma_f64 v[106:107], v[96:97], v[6:7], v[8:9]
	ds_load_b128 v[6:9], v1 offset:528
	ds_load_b128 v[94:97], v1 offset:544
	v_fma_f64 v[10:11], v[104:105], v[70:71], v[10:11]
	v_fma_f64 v[70:71], v[102:103], v[70:71], -v[72:73]
	s_waitcnt vmcnt(5) lgkmcnt(1)
	v_mul_f64 v[108:109], v[6:7], v[76:77]
	v_mul_f64 v[76:77], v[8:9], v[76:77]
	s_waitcnt vmcnt(4) lgkmcnt(0)
	v_mul_f64 v[102:103], v[94:95], v[80:81]
	v_mul_f64 v[80:81], v[96:97], v[80:81]
	v_add_f64 v[2:3], v[2:3], 0
	v_add_f64 v[72:73], v[106:107], 0
	v_fma_f64 v[104:105], v[8:9], v[74:75], v[108:109]
	v_fma_f64 v[74:75], v[6:7], v[74:75], -v[76:77]
	v_fma_f64 v[96:97], v[96:97], v[78:79], v[102:103]
	v_fma_f64 v[78:79], v[94:95], v[78:79], -v[80:81]
	v_add_f64 v[2:3], v[2:3], v[70:71]
	v_add_f64 v[10:11], v[72:73], v[10:11]
	ds_load_b128 v[6:9], v1 offset:560
	ds_load_b128 v[70:73], v1 offset:576
	s_waitcnt vmcnt(3) lgkmcnt(1)
	v_mul_f64 v[76:77], v[6:7], v[84:85]
	v_mul_f64 v[84:85], v[8:9], v[84:85]
	s_waitcnt vmcnt(2) lgkmcnt(0)
	v_mul_f64 v[80:81], v[72:73], v[88:89]
	v_add_f64 v[2:3], v[2:3], v[74:75]
	v_add_f64 v[10:11], v[10:11], v[104:105]
	v_mul_f64 v[74:75], v[70:71], v[88:89]
	v_fma_f64 v[76:77], v[8:9], v[82:83], v[76:77]
	v_fma_f64 v[82:83], v[6:7], v[82:83], -v[84:85]
	ds_load_b128 v[6:9], v1 offset:592
	v_fma_f64 v[70:71], v[70:71], v[86:87], -v[80:81]
	v_add_f64 v[2:3], v[2:3], v[78:79]
	v_add_f64 v[10:11], v[10:11], v[96:97]
	v_fma_f64 v[72:73], v[72:73], v[86:87], v[74:75]
	s_waitcnt vmcnt(1) lgkmcnt(0)
	v_mul_f64 v[78:79], v[6:7], v[92:93]
	v_mul_f64 v[84:85], v[8:9], v[92:93]
	v_add_f64 v[2:3], v[2:3], v[82:83]
	v_add_f64 v[10:11], v[10:11], v[76:77]
	s_delay_alu instid0(VALU_DEP_4) | instskip(NEXT) | instid1(VALU_DEP_4)
	v_fma_f64 v[8:9], v[8:9], v[90:91], v[78:79]
	v_fma_f64 v[6:7], v[6:7], v[90:91], -v[84:85]
	s_delay_alu instid0(VALU_DEP_4) | instskip(NEXT) | instid1(VALU_DEP_4)
	v_add_f64 v[2:3], v[2:3], v[70:71]
	v_add_f64 v[10:11], v[10:11], v[72:73]
	s_delay_alu instid0(VALU_DEP_2) | instskip(NEXT) | instid1(VALU_DEP_2)
	v_add_f64 v[2:3], v[2:3], v[6:7]
	v_add_f64 v[8:9], v[10:11], v[8:9]
	s_waitcnt vmcnt(0)
	s_delay_alu instid0(VALU_DEP_2) | instskip(NEXT) | instid1(VALU_DEP_2)
	v_add_f64 v[6:7], v[98:99], -v[2:3]
	v_add_f64 v[8:9], v[100:101], -v[8:9]
	scratch_store_b128 off, v[6:9], off offset:176
	v_cmpx_lt_u32_e32 10, v51
	s_cbranch_execz .LBB82_107
; %bb.106:
	scratch_load_b128 v[6:9], v62, off
	v_mov_b32_e32 v2, v1
	v_mov_b32_e32 v3, v1
	;; [unrolled: 1-line block ×3, first 2 shown]
	scratch_store_b128 off, v[1:4], off offset:160
	s_waitcnt vmcnt(0)
	ds_store_b128 v5, v[6:9]
.LBB82_107:
	s_or_b32 exec_lo, exec_lo, s2
	s_waitcnt lgkmcnt(0)
	s_waitcnt_vscnt null, 0x0
	s_barrier
	buffer_gl0_inv
	s_clause 0x7
	scratch_load_b128 v[6:9], off, off offset:176
	scratch_load_b128 v[70:73], off, off offset:192
	;; [unrolled: 1-line block ×8, first 2 shown]
	ds_load_b128 v[98:101], v1 offset:480
	ds_load_b128 v[102:105], v1 offset:496
	scratch_load_b128 v[106:109], off, off offset:160
	s_mov_b32 s2, exec_lo
	s_waitcnt vmcnt(8) lgkmcnt(1)
	v_mul_f64 v[2:3], v[100:101], v[8:9]
	v_mul_f64 v[8:9], v[98:99], v[8:9]
	s_waitcnt vmcnt(7) lgkmcnt(0)
	v_mul_f64 v[10:11], v[102:103], v[72:73]
	v_mul_f64 v[72:73], v[104:105], v[72:73]
	s_delay_alu instid0(VALU_DEP_4) | instskip(NEXT) | instid1(VALU_DEP_4)
	v_fma_f64 v[2:3], v[98:99], v[6:7], -v[2:3]
	v_fma_f64 v[110:111], v[100:101], v[6:7], v[8:9]
	ds_load_b128 v[6:9], v1 offset:512
	ds_load_b128 v[98:101], v1 offset:528
	v_fma_f64 v[10:11], v[104:105], v[70:71], v[10:11]
	v_fma_f64 v[70:71], v[102:103], v[70:71], -v[72:73]
	s_waitcnt vmcnt(6) lgkmcnt(1)
	v_mul_f64 v[112:113], v[6:7], v[76:77]
	v_mul_f64 v[76:77], v[8:9], v[76:77]
	s_waitcnt vmcnt(5) lgkmcnt(0)
	v_mul_f64 v[102:103], v[98:99], v[80:81]
	v_mul_f64 v[80:81], v[100:101], v[80:81]
	v_add_f64 v[2:3], v[2:3], 0
	v_add_f64 v[72:73], v[110:111], 0
	v_fma_f64 v[104:105], v[8:9], v[74:75], v[112:113]
	v_fma_f64 v[74:75], v[6:7], v[74:75], -v[76:77]
	v_fma_f64 v[100:101], v[100:101], v[78:79], v[102:103]
	v_fma_f64 v[78:79], v[98:99], v[78:79], -v[80:81]
	v_add_f64 v[2:3], v[2:3], v[70:71]
	v_add_f64 v[10:11], v[72:73], v[10:11]
	ds_load_b128 v[6:9], v1 offset:544
	ds_load_b128 v[70:73], v1 offset:560
	s_waitcnt vmcnt(4) lgkmcnt(1)
	v_mul_f64 v[76:77], v[6:7], v[84:85]
	v_mul_f64 v[84:85], v[8:9], v[84:85]
	s_waitcnt vmcnt(3) lgkmcnt(0)
	v_mul_f64 v[80:81], v[72:73], v[88:89]
	v_add_f64 v[2:3], v[2:3], v[74:75]
	v_add_f64 v[10:11], v[10:11], v[104:105]
	v_mul_f64 v[74:75], v[70:71], v[88:89]
	v_fma_f64 v[76:77], v[8:9], v[82:83], v[76:77]
	v_fma_f64 v[82:83], v[6:7], v[82:83], -v[84:85]
	v_fma_f64 v[70:71], v[70:71], v[86:87], -v[80:81]
	v_add_f64 v[78:79], v[2:3], v[78:79]
	v_add_f64 v[10:11], v[10:11], v[100:101]
	ds_load_b128 v[6:9], v1 offset:576
	ds_load_b128 v[1:4], v1 offset:592
	v_fma_f64 v[72:73], v[72:73], v[86:87], v[74:75]
	s_waitcnt vmcnt(2) lgkmcnt(1)
	v_mul_f64 v[84:85], v[6:7], v[92:93]
	v_mul_f64 v[88:89], v[8:9], v[92:93]
	v_add_f64 v[74:75], v[78:79], v[82:83]
	v_add_f64 v[10:11], v[10:11], v[76:77]
	s_waitcnt vmcnt(1) lgkmcnt(0)
	v_mul_f64 v[76:77], v[1:2], v[96:97]
	v_mul_f64 v[78:79], v[3:4], v[96:97]
	v_fma_f64 v[8:9], v[8:9], v[90:91], v[84:85]
	v_fma_f64 v[6:7], v[6:7], v[90:91], -v[88:89]
	v_add_f64 v[70:71], v[74:75], v[70:71]
	v_add_f64 v[10:11], v[10:11], v[72:73]
	v_fma_f64 v[3:4], v[3:4], v[94:95], v[76:77]
	v_fma_f64 v[1:2], v[1:2], v[94:95], -v[78:79]
	s_delay_alu instid0(VALU_DEP_4) | instskip(NEXT) | instid1(VALU_DEP_4)
	v_add_f64 v[6:7], v[70:71], v[6:7]
	v_add_f64 v[8:9], v[10:11], v[8:9]
	s_delay_alu instid0(VALU_DEP_2) | instskip(NEXT) | instid1(VALU_DEP_2)
	v_add_f64 v[1:2], v[6:7], v[1:2]
	v_add_f64 v[3:4], v[8:9], v[3:4]
	s_waitcnt vmcnt(0)
	s_delay_alu instid0(VALU_DEP_2) | instskip(NEXT) | instid1(VALU_DEP_2)
	v_add_f64 v[1:2], v[106:107], -v[1:2]
	v_add_f64 v[3:4], v[108:109], -v[3:4]
	scratch_store_b128 off, v[1:4], off offset:160
	v_cmpx_lt_u32_e32 9, v51
	s_cbranch_execz .LBB82_109
; %bb.108:
	scratch_load_b128 v[1:4], v59, off
	v_mov_b32_e32 v6, 0
	s_delay_alu instid0(VALU_DEP_1)
	v_mov_b32_e32 v7, v6
	v_mov_b32_e32 v8, v6
	;; [unrolled: 1-line block ×3, first 2 shown]
	scratch_store_b128 off, v[6:9], off offset:144
	s_waitcnt vmcnt(0)
	ds_store_b128 v5, v[1:4]
.LBB82_109:
	s_or_b32 exec_lo, exec_lo, s2
	s_waitcnt lgkmcnt(0)
	s_waitcnt_vscnt null, 0x0
	s_barrier
	buffer_gl0_inv
	s_clause 0x7
	scratch_load_b128 v[6:9], off, off offset:160
	scratch_load_b128 v[70:73], off, off offset:176
	;; [unrolled: 1-line block ×8, first 2 shown]
	v_mov_b32_e32 v1, 0
	s_mov_b32 s2, exec_lo
	ds_load_b128 v[98:101], v1 offset:464
	s_clause 0x1
	scratch_load_b128 v[102:105], off, off offset:288
	scratch_load_b128 v[106:109], off, off offset:144
	ds_load_b128 v[110:113], v1 offset:480
	s_waitcnt vmcnt(9) lgkmcnt(1)
	v_mul_f64 v[2:3], v[100:101], v[8:9]
	v_mul_f64 v[8:9], v[98:99], v[8:9]
	s_waitcnt vmcnt(8) lgkmcnt(0)
	v_mul_f64 v[10:11], v[110:111], v[72:73]
	v_mul_f64 v[72:73], v[112:113], v[72:73]
	s_delay_alu instid0(VALU_DEP_4) | instskip(NEXT) | instid1(VALU_DEP_4)
	v_fma_f64 v[2:3], v[98:99], v[6:7], -v[2:3]
	v_fma_f64 v[114:115], v[100:101], v[6:7], v[8:9]
	ds_load_b128 v[6:9], v1 offset:496
	ds_load_b128 v[98:101], v1 offset:512
	v_fma_f64 v[10:11], v[112:113], v[70:71], v[10:11]
	v_fma_f64 v[70:71], v[110:111], v[70:71], -v[72:73]
	s_waitcnt vmcnt(7) lgkmcnt(1)
	v_mul_f64 v[116:117], v[6:7], v[76:77]
	v_mul_f64 v[76:77], v[8:9], v[76:77]
	s_waitcnt vmcnt(6) lgkmcnt(0)
	v_mul_f64 v[110:111], v[98:99], v[80:81]
	v_mul_f64 v[80:81], v[100:101], v[80:81]
	v_add_f64 v[2:3], v[2:3], 0
	v_add_f64 v[72:73], v[114:115], 0
	v_fma_f64 v[112:113], v[8:9], v[74:75], v[116:117]
	v_fma_f64 v[74:75], v[6:7], v[74:75], -v[76:77]
	v_fma_f64 v[100:101], v[100:101], v[78:79], v[110:111]
	v_fma_f64 v[78:79], v[98:99], v[78:79], -v[80:81]
	v_add_f64 v[2:3], v[2:3], v[70:71]
	v_add_f64 v[10:11], v[72:73], v[10:11]
	ds_load_b128 v[6:9], v1 offset:528
	ds_load_b128 v[70:73], v1 offset:544
	s_waitcnt vmcnt(5) lgkmcnt(1)
	v_mul_f64 v[76:77], v[6:7], v[84:85]
	v_mul_f64 v[84:85], v[8:9], v[84:85]
	s_waitcnt vmcnt(4) lgkmcnt(0)
	v_mul_f64 v[80:81], v[70:71], v[88:89]
	v_mul_f64 v[88:89], v[72:73], v[88:89]
	v_add_f64 v[2:3], v[2:3], v[74:75]
	v_add_f64 v[10:11], v[10:11], v[112:113]
	v_fma_f64 v[98:99], v[8:9], v[82:83], v[76:77]
	v_fma_f64 v[82:83], v[6:7], v[82:83], -v[84:85]
	ds_load_b128 v[6:9], v1 offset:560
	ds_load_b128 v[74:77], v1 offset:576
	v_fma_f64 v[72:73], v[72:73], v[86:87], v[80:81]
	v_fma_f64 v[70:71], v[70:71], v[86:87], -v[88:89]
	v_add_f64 v[2:3], v[2:3], v[78:79]
	v_add_f64 v[10:11], v[10:11], v[100:101]
	s_waitcnt vmcnt(3) lgkmcnt(1)
	v_mul_f64 v[78:79], v[6:7], v[92:93]
	v_mul_f64 v[84:85], v[8:9], v[92:93]
	s_waitcnt vmcnt(2) lgkmcnt(0)
	v_mul_f64 v[80:81], v[74:75], v[96:97]
	v_add_f64 v[2:3], v[2:3], v[82:83]
	v_add_f64 v[10:11], v[10:11], v[98:99]
	v_mul_f64 v[82:83], v[76:77], v[96:97]
	v_fma_f64 v[78:79], v[8:9], v[90:91], v[78:79]
	v_fma_f64 v[84:85], v[6:7], v[90:91], -v[84:85]
	ds_load_b128 v[6:9], v1 offset:592
	v_fma_f64 v[76:77], v[76:77], v[94:95], v[80:81]
	v_add_f64 v[2:3], v[2:3], v[70:71]
	v_add_f64 v[10:11], v[10:11], v[72:73]
	s_waitcnt vmcnt(1) lgkmcnt(0)
	v_mul_f64 v[70:71], v[6:7], v[104:105]
	v_mul_f64 v[72:73], v[8:9], v[104:105]
	v_fma_f64 v[74:75], v[74:75], v[94:95], -v[82:83]
	v_add_f64 v[2:3], v[2:3], v[84:85]
	v_add_f64 v[10:11], v[10:11], v[78:79]
	v_fma_f64 v[8:9], v[8:9], v[102:103], v[70:71]
	v_fma_f64 v[6:7], v[6:7], v[102:103], -v[72:73]
	s_delay_alu instid0(VALU_DEP_4) | instskip(NEXT) | instid1(VALU_DEP_4)
	v_add_f64 v[2:3], v[2:3], v[74:75]
	v_add_f64 v[10:11], v[10:11], v[76:77]
	s_delay_alu instid0(VALU_DEP_2) | instskip(NEXT) | instid1(VALU_DEP_2)
	v_add_f64 v[2:3], v[2:3], v[6:7]
	v_add_f64 v[8:9], v[10:11], v[8:9]
	s_waitcnt vmcnt(0)
	s_delay_alu instid0(VALU_DEP_2) | instskip(NEXT) | instid1(VALU_DEP_2)
	v_add_f64 v[6:7], v[106:107], -v[2:3]
	v_add_f64 v[8:9], v[108:109], -v[8:9]
	scratch_store_b128 off, v[6:9], off offset:144
	v_cmpx_lt_u32_e32 8, v51
	s_cbranch_execz .LBB82_111
; %bb.110:
	scratch_load_b128 v[6:9], v60, off
	v_mov_b32_e32 v2, v1
	v_mov_b32_e32 v3, v1
	;; [unrolled: 1-line block ×3, first 2 shown]
	scratch_store_b128 off, v[1:4], off offset:128
	s_waitcnt vmcnt(0)
	ds_store_b128 v5, v[6:9]
.LBB82_111:
	s_or_b32 exec_lo, exec_lo, s2
	s_waitcnt lgkmcnt(0)
	s_waitcnt_vscnt null, 0x0
	s_barrier
	buffer_gl0_inv
	s_clause 0x7
	scratch_load_b128 v[6:9], off, off offset:144
	scratch_load_b128 v[70:73], off, off offset:160
	;; [unrolled: 1-line block ×8, first 2 shown]
	ds_load_b128 v[98:101], v1 offset:448
	s_clause 0x1
	scratch_load_b128 v[102:105], off, off offset:272
	scratch_load_b128 v[106:109], off, off offset:288
	s_mov_b32 s2, exec_lo
	s_waitcnt vmcnt(9) lgkmcnt(0)
	v_mul_f64 v[2:3], v[100:101], v[8:9]
	v_mul_f64 v[110:111], v[98:99], v[8:9]
	ds_load_b128 v[8:11], v1 offset:464
	v_fma_f64 v[2:3], v[98:99], v[6:7], -v[2:3]
	v_fma_f64 v[6:7], v[100:101], v[6:7], v[110:111]
	ds_load_b128 v[98:101], v1 offset:480
	s_waitcnt vmcnt(8) lgkmcnt(1)
	v_mul_f64 v[112:113], v[8:9], v[72:73]
	v_mul_f64 v[72:73], v[10:11], v[72:73]
	s_waitcnt vmcnt(7) lgkmcnt(0)
	v_mul_f64 v[110:111], v[98:99], v[76:77]
	v_mul_f64 v[76:77], v[100:101], v[76:77]
	v_add_f64 v[2:3], v[2:3], 0
	v_fma_f64 v[10:11], v[10:11], v[70:71], v[112:113]
	v_fma_f64 v[70:71], v[8:9], v[70:71], -v[72:73]
	v_add_f64 v[72:73], v[6:7], 0
	ds_load_b128 v[6:9], v1 offset:496
	v_fma_f64 v[100:101], v[100:101], v[74:75], v[110:111]
	v_fma_f64 v[98:99], v[98:99], v[74:75], -v[76:77]
	scratch_load_b128 v[74:77], off, off offset:128
	v_add_f64 v[2:3], v[2:3], v[70:71]
	v_add_f64 v[10:11], v[72:73], v[10:11]
	ds_load_b128 v[70:73], v1 offset:512
	s_waitcnt vmcnt(7) lgkmcnt(1)
	v_mul_f64 v[112:113], v[6:7], v[80:81]
	v_mul_f64 v[80:81], v[8:9], v[80:81]
	s_waitcnt vmcnt(6) lgkmcnt(0)
	v_mul_f64 v[110:111], v[70:71], v[84:85]
	v_mul_f64 v[84:85], v[72:73], v[84:85]
	v_add_f64 v[2:3], v[2:3], v[98:99]
	v_add_f64 v[10:11], v[10:11], v[100:101]
	v_fma_f64 v[112:113], v[8:9], v[78:79], v[112:113]
	v_fma_f64 v[78:79], v[6:7], v[78:79], -v[80:81]
	ds_load_b128 v[6:9], v1 offset:528
	v_fma_f64 v[98:99], v[72:73], v[82:83], v[110:111]
	v_fma_f64 v[82:83], v[70:71], v[82:83], -v[84:85]
	ds_load_b128 v[70:73], v1 offset:544
	s_waitcnt vmcnt(5) lgkmcnt(1)
	v_mul_f64 v[80:81], v[6:7], v[88:89]
	v_mul_f64 v[88:89], v[8:9], v[88:89]
	v_add_f64 v[10:11], v[10:11], v[112:113]
	v_add_f64 v[2:3], v[2:3], v[78:79]
	s_waitcnt vmcnt(4) lgkmcnt(0)
	v_mul_f64 v[78:79], v[70:71], v[92:93]
	v_mul_f64 v[84:85], v[72:73], v[92:93]
	v_fma_f64 v[80:81], v[8:9], v[86:87], v[80:81]
	v_fma_f64 v[86:87], v[6:7], v[86:87], -v[88:89]
	ds_load_b128 v[6:9], v1 offset:560
	v_add_f64 v[10:11], v[10:11], v[98:99]
	v_add_f64 v[2:3], v[2:3], v[82:83]
	v_fma_f64 v[78:79], v[72:73], v[90:91], v[78:79]
	v_fma_f64 v[84:85], v[70:71], v[90:91], -v[84:85]
	ds_load_b128 v[70:73], v1 offset:576
	s_waitcnt vmcnt(3) lgkmcnt(1)
	v_mul_f64 v[82:83], v[6:7], v[96:97]
	v_mul_f64 v[88:89], v[8:9], v[96:97]
	v_add_f64 v[10:11], v[10:11], v[80:81]
	v_add_f64 v[2:3], v[2:3], v[86:87]
	s_waitcnt vmcnt(2) lgkmcnt(0)
	v_mul_f64 v[80:81], v[70:71], v[104:105]
	v_mul_f64 v[86:87], v[72:73], v[104:105]
	v_fma_f64 v[8:9], v[8:9], v[94:95], v[82:83]
	v_fma_f64 v[6:7], v[6:7], v[94:95], -v[88:89]
	v_add_f64 v[10:11], v[10:11], v[78:79]
	v_add_f64 v[82:83], v[2:3], v[84:85]
	ds_load_b128 v[1:4], v1 offset:592
	v_fma_f64 v[72:73], v[72:73], v[102:103], v[80:81]
	v_fma_f64 v[70:71], v[70:71], v[102:103], -v[86:87]
	s_waitcnt vmcnt(1) lgkmcnt(0)
	v_mul_f64 v[78:79], v[1:2], v[108:109]
	v_mul_f64 v[84:85], v[3:4], v[108:109]
	v_add_f64 v[8:9], v[10:11], v[8:9]
	v_add_f64 v[6:7], v[82:83], v[6:7]
	s_delay_alu instid0(VALU_DEP_4) | instskip(NEXT) | instid1(VALU_DEP_4)
	v_fma_f64 v[3:4], v[3:4], v[106:107], v[78:79]
	v_fma_f64 v[1:2], v[1:2], v[106:107], -v[84:85]
	s_delay_alu instid0(VALU_DEP_4) | instskip(NEXT) | instid1(VALU_DEP_4)
	v_add_f64 v[8:9], v[8:9], v[72:73]
	v_add_f64 v[6:7], v[6:7], v[70:71]
	s_delay_alu instid0(VALU_DEP_2) | instskip(NEXT) | instid1(VALU_DEP_2)
	v_add_f64 v[3:4], v[8:9], v[3:4]
	v_add_f64 v[1:2], v[6:7], v[1:2]
	s_waitcnt vmcnt(0)
	s_delay_alu instid0(VALU_DEP_2) | instskip(NEXT) | instid1(VALU_DEP_2)
	v_add_f64 v[3:4], v[76:77], -v[3:4]
	v_add_f64 v[1:2], v[74:75], -v[1:2]
	scratch_store_b128 off, v[1:4], off offset:128
	v_cmpx_lt_u32_e32 7, v51
	s_cbranch_execz .LBB82_113
; %bb.112:
	scratch_load_b128 v[1:4], v56, off
	v_mov_b32_e32 v6, 0
	s_delay_alu instid0(VALU_DEP_1)
	v_mov_b32_e32 v7, v6
	v_mov_b32_e32 v8, v6
	;; [unrolled: 1-line block ×3, first 2 shown]
	scratch_store_b128 off, v[6:9], off offset:112
	s_waitcnt vmcnt(0)
	ds_store_b128 v5, v[1:4]
.LBB82_113:
	s_or_b32 exec_lo, exec_lo, s2
	s_waitcnt lgkmcnt(0)
	s_waitcnt_vscnt null, 0x0
	s_barrier
	buffer_gl0_inv
	s_clause 0x7
	scratch_load_b128 v[6:9], off, off offset:128
	scratch_load_b128 v[70:73], off, off offset:144
	;; [unrolled: 1-line block ×8, first 2 shown]
	v_mov_b32_e32 v1, 0
	s_clause 0x1
	scratch_load_b128 v[102:105], off, off offset:256
	scratch_load_b128 v[106:109], off, off offset:272
	s_mov_b32 s2, exec_lo
	ds_load_b128 v[98:101], v1 offset:432
	s_waitcnt vmcnt(9) lgkmcnt(0)
	v_mul_f64 v[2:3], v[100:101], v[8:9]
	v_mul_f64 v[110:111], v[98:99], v[8:9]
	ds_load_b128 v[8:11], v1 offset:448
	v_fma_f64 v[2:3], v[98:99], v[6:7], -v[2:3]
	v_fma_f64 v[6:7], v[100:101], v[6:7], v[110:111]
	ds_load_b128 v[98:101], v1 offset:464
	s_waitcnt vmcnt(8) lgkmcnt(1)
	v_mul_f64 v[114:115], v[8:9], v[72:73]
	v_mul_f64 v[72:73], v[10:11], v[72:73]
	scratch_load_b128 v[110:113], off, off offset:288
	s_waitcnt vmcnt(8) lgkmcnt(0)
	v_mul_f64 v[116:117], v[98:99], v[76:77]
	v_mul_f64 v[76:77], v[100:101], v[76:77]
	v_add_f64 v[2:3], v[2:3], 0
	v_fma_f64 v[10:11], v[10:11], v[70:71], v[114:115]
	v_fma_f64 v[70:71], v[8:9], v[70:71], -v[72:73]
	v_add_f64 v[72:73], v[6:7], 0
	ds_load_b128 v[6:9], v1 offset:480
	v_fma_f64 v[100:101], v[100:101], v[74:75], v[116:117]
	v_fma_f64 v[74:75], v[98:99], v[74:75], -v[76:77]
	v_add_f64 v[2:3], v[2:3], v[70:71]
	v_add_f64 v[10:11], v[72:73], v[10:11]
	ds_load_b128 v[70:73], v1 offset:496
	s_waitcnt vmcnt(7) lgkmcnt(1)
	v_mul_f64 v[114:115], v[6:7], v[80:81]
	v_mul_f64 v[80:81], v[8:9], v[80:81]
	s_waitcnt vmcnt(6) lgkmcnt(0)
	v_mul_f64 v[98:99], v[70:71], v[84:85]
	v_mul_f64 v[84:85], v[72:73], v[84:85]
	v_add_f64 v[2:3], v[2:3], v[74:75]
	v_add_f64 v[10:11], v[10:11], v[100:101]
	scratch_load_b128 v[74:77], off, off offset:112
	v_fma_f64 v[114:115], v[8:9], v[78:79], v[114:115]
	v_fma_f64 v[78:79], v[6:7], v[78:79], -v[80:81]
	ds_load_b128 v[6:9], v1 offset:512
	v_fma_f64 v[98:99], v[72:73], v[82:83], v[98:99]
	v_fma_f64 v[82:83], v[70:71], v[82:83], -v[84:85]
	ds_load_b128 v[70:73], v1 offset:528
	s_waitcnt vmcnt(6) lgkmcnt(1)
	v_mul_f64 v[80:81], v[6:7], v[88:89]
	v_mul_f64 v[88:89], v[8:9], v[88:89]
	v_add_f64 v[10:11], v[10:11], v[114:115]
	v_add_f64 v[2:3], v[2:3], v[78:79]
	s_waitcnt vmcnt(5) lgkmcnt(0)
	v_mul_f64 v[78:79], v[70:71], v[92:93]
	v_mul_f64 v[84:85], v[72:73], v[92:93]
	v_fma_f64 v[80:81], v[8:9], v[86:87], v[80:81]
	v_fma_f64 v[86:87], v[6:7], v[86:87], -v[88:89]
	ds_load_b128 v[6:9], v1 offset:544
	v_add_f64 v[10:11], v[10:11], v[98:99]
	v_add_f64 v[2:3], v[2:3], v[82:83]
	v_fma_f64 v[78:79], v[72:73], v[90:91], v[78:79]
	v_fma_f64 v[84:85], v[70:71], v[90:91], -v[84:85]
	ds_load_b128 v[70:73], v1 offset:560
	s_waitcnt vmcnt(4) lgkmcnt(1)
	v_mul_f64 v[82:83], v[6:7], v[96:97]
	v_mul_f64 v[88:89], v[8:9], v[96:97]
	v_add_f64 v[10:11], v[10:11], v[80:81]
	v_add_f64 v[2:3], v[2:3], v[86:87]
	s_waitcnt vmcnt(3) lgkmcnt(0)
	v_mul_f64 v[80:81], v[70:71], v[104:105]
	v_mul_f64 v[86:87], v[72:73], v[104:105]
	v_fma_f64 v[82:83], v[8:9], v[94:95], v[82:83]
	v_fma_f64 v[88:89], v[6:7], v[94:95], -v[88:89]
	ds_load_b128 v[6:9], v1 offset:576
	v_add_f64 v[10:11], v[10:11], v[78:79]
	v_add_f64 v[2:3], v[2:3], v[84:85]
	v_fma_f64 v[80:81], v[72:73], v[102:103], v[80:81]
	v_fma_f64 v[86:87], v[70:71], v[102:103], -v[86:87]
	ds_load_b128 v[70:73], v1 offset:592
	s_waitcnt vmcnt(2) lgkmcnt(1)
	v_mul_f64 v[78:79], v[6:7], v[108:109]
	v_mul_f64 v[84:85], v[8:9], v[108:109]
	v_add_f64 v[10:11], v[10:11], v[82:83]
	v_add_f64 v[2:3], v[2:3], v[88:89]
	s_delay_alu instid0(VALU_DEP_4) | instskip(NEXT) | instid1(VALU_DEP_4)
	v_fma_f64 v[8:9], v[8:9], v[106:107], v[78:79]
	v_fma_f64 v[6:7], v[6:7], v[106:107], -v[84:85]
	s_waitcnt vmcnt(1) lgkmcnt(0)
	v_mul_f64 v[82:83], v[70:71], v[112:113]
	v_mul_f64 v[88:89], v[72:73], v[112:113]
	v_add_f64 v[10:11], v[10:11], v[80:81]
	v_add_f64 v[2:3], v[2:3], v[86:87]
	s_delay_alu instid0(VALU_DEP_4) | instskip(NEXT) | instid1(VALU_DEP_4)
	v_fma_f64 v[72:73], v[72:73], v[110:111], v[82:83]
	v_fma_f64 v[70:71], v[70:71], v[110:111], -v[88:89]
	s_delay_alu instid0(VALU_DEP_3) | instskip(SKIP_1) | instid1(VALU_DEP_2)
	v_add_f64 v[2:3], v[2:3], v[6:7]
	v_add_f64 v[6:7], v[10:11], v[8:9]
	v_add_f64 v[2:3], v[2:3], v[70:71]
	s_delay_alu instid0(VALU_DEP_2) | instskip(SKIP_1) | instid1(VALU_DEP_2)
	v_add_f64 v[8:9], v[6:7], v[72:73]
	s_waitcnt vmcnt(0)
	v_add_f64 v[6:7], v[74:75], -v[2:3]
	s_delay_alu instid0(VALU_DEP_2)
	v_add_f64 v[8:9], v[76:77], -v[8:9]
	scratch_store_b128 off, v[6:9], off offset:112
	v_cmpx_lt_u32_e32 6, v51
	s_cbranch_execz .LBB82_115
; %bb.114:
	scratch_load_b128 v[6:9], v54, off
	v_mov_b32_e32 v2, v1
	v_mov_b32_e32 v3, v1
	;; [unrolled: 1-line block ×3, first 2 shown]
	scratch_store_b128 off, v[1:4], off offset:96
	s_waitcnt vmcnt(0)
	ds_store_b128 v5, v[6:9]
.LBB82_115:
	s_or_b32 exec_lo, exec_lo, s2
	s_waitcnt lgkmcnt(0)
	s_waitcnt_vscnt null, 0x0
	s_barrier
	buffer_gl0_inv
	s_clause 0x7
	scratch_load_b128 v[6:9], off, off offset:112
	scratch_load_b128 v[70:73], off, off offset:128
	;; [unrolled: 1-line block ×8, first 2 shown]
	ds_load_b128 v[98:101], v1 offset:416
	s_clause 0x1
	scratch_load_b128 v[102:105], off, off offset:240
	scratch_load_b128 v[106:109], off, off offset:256
	s_mov_b32 s2, exec_lo
	s_waitcnt vmcnt(9) lgkmcnt(0)
	v_mul_f64 v[2:3], v[100:101], v[8:9]
	v_mul_f64 v[110:111], v[98:99], v[8:9]
	ds_load_b128 v[8:11], v1 offset:432
	v_fma_f64 v[2:3], v[98:99], v[6:7], -v[2:3]
	v_fma_f64 v[6:7], v[100:101], v[6:7], v[110:111]
	ds_load_b128 v[98:101], v1 offset:448
	s_waitcnt vmcnt(8) lgkmcnt(1)
	v_mul_f64 v[114:115], v[8:9], v[72:73]
	v_mul_f64 v[72:73], v[10:11], v[72:73]
	scratch_load_b128 v[110:113], off, off offset:272
	s_waitcnt vmcnt(8) lgkmcnt(0)
	v_mul_f64 v[116:117], v[98:99], v[76:77]
	v_mul_f64 v[76:77], v[100:101], v[76:77]
	v_add_f64 v[2:3], v[2:3], 0
	v_add_f64 v[118:119], v[6:7], 0
	v_fma_f64 v[10:11], v[10:11], v[70:71], v[114:115]
	v_fma_f64 v[114:115], v[8:9], v[70:71], -v[72:73]
	ds_load_b128 v[6:9], v1 offset:464
	scratch_load_b128 v[70:73], off, off offset:288
	v_fma_f64 v[100:101], v[100:101], v[74:75], v[116:117]
	v_fma_f64 v[98:99], v[98:99], v[74:75], -v[76:77]
	ds_load_b128 v[74:77], v1 offset:480
	s_waitcnt vmcnt(8) lgkmcnt(1)
	v_mul_f64 v[120:121], v[6:7], v[80:81]
	v_mul_f64 v[80:81], v[8:9], v[80:81]
	v_add_f64 v[10:11], v[118:119], v[10:11]
	v_add_f64 v[2:3], v[2:3], v[114:115]
	s_waitcnt vmcnt(7) lgkmcnt(0)
	v_mul_f64 v[114:115], v[74:75], v[84:85]
	v_mul_f64 v[84:85], v[76:77], v[84:85]
	v_fma_f64 v[116:117], v[8:9], v[78:79], v[120:121]
	v_fma_f64 v[78:79], v[6:7], v[78:79], -v[80:81]
	ds_load_b128 v[6:9], v1 offset:496
	v_add_f64 v[10:11], v[10:11], v[100:101]
	v_add_f64 v[2:3], v[2:3], v[98:99]
	v_fma_f64 v[100:101], v[76:77], v[82:83], v[114:115]
	v_fma_f64 v[82:83], v[74:75], v[82:83], -v[84:85]
	ds_load_b128 v[74:77], v1 offset:512
	s_waitcnt vmcnt(6) lgkmcnt(1)
	v_mul_f64 v[98:99], v[6:7], v[88:89]
	v_mul_f64 v[88:89], v[8:9], v[88:89]
	s_waitcnt vmcnt(5) lgkmcnt(0)
	v_mul_f64 v[84:85], v[74:75], v[92:93]
	v_mul_f64 v[92:93], v[76:77], v[92:93]
	v_add_f64 v[10:11], v[10:11], v[116:117]
	v_add_f64 v[2:3], v[2:3], v[78:79]
	scratch_load_b128 v[78:81], off, off offset:96
	v_fma_f64 v[98:99], v[8:9], v[86:87], v[98:99]
	v_fma_f64 v[86:87], v[6:7], v[86:87], -v[88:89]
	ds_load_b128 v[6:9], v1 offset:528
	v_fma_f64 v[84:85], v[76:77], v[90:91], v[84:85]
	v_fma_f64 v[90:91], v[74:75], v[90:91], -v[92:93]
	ds_load_b128 v[74:77], v1 offset:544
	s_waitcnt vmcnt(5) lgkmcnt(1)
	v_mul_f64 v[88:89], v[8:9], v[96:97]
	v_add_f64 v[10:11], v[10:11], v[100:101]
	v_add_f64 v[2:3], v[2:3], v[82:83]
	v_mul_f64 v[82:83], v[6:7], v[96:97]
	s_waitcnt vmcnt(4) lgkmcnt(0)
	v_mul_f64 v[92:93], v[76:77], v[104:105]
	v_fma_f64 v[88:89], v[6:7], v[94:95], -v[88:89]
	v_add_f64 v[10:11], v[10:11], v[98:99]
	v_add_f64 v[2:3], v[2:3], v[86:87]
	v_mul_f64 v[86:87], v[74:75], v[104:105]
	v_fma_f64 v[82:83], v[8:9], v[94:95], v[82:83]
	ds_load_b128 v[6:9], v1 offset:560
	v_fma_f64 v[92:93], v[74:75], v[102:103], -v[92:93]
	v_add_f64 v[10:11], v[10:11], v[84:85]
	v_add_f64 v[2:3], v[2:3], v[90:91]
	v_fma_f64 v[86:87], v[76:77], v[102:103], v[86:87]
	ds_load_b128 v[74:77], v1 offset:576
	s_waitcnt vmcnt(3) lgkmcnt(1)
	v_mul_f64 v[84:85], v[6:7], v[108:109]
	v_mul_f64 v[90:91], v[8:9], v[108:109]
	v_add_f64 v[10:11], v[10:11], v[82:83]
	v_add_f64 v[2:3], v[2:3], v[88:89]
	s_delay_alu instid0(VALU_DEP_4) | instskip(NEXT) | instid1(VALU_DEP_4)
	v_fma_f64 v[8:9], v[8:9], v[106:107], v[84:85]
	v_fma_f64 v[6:7], v[6:7], v[106:107], -v[90:91]
	s_waitcnt vmcnt(2) lgkmcnt(0)
	v_mul_f64 v[82:83], v[74:75], v[112:113]
	v_mul_f64 v[88:89], v[76:77], v[112:113]
	v_add_f64 v[10:11], v[10:11], v[86:87]
	v_add_f64 v[84:85], v[2:3], v[92:93]
	ds_load_b128 v[1:4], v1 offset:592
	v_fma_f64 v[76:77], v[76:77], v[110:111], v[82:83]
	v_fma_f64 v[74:75], v[74:75], v[110:111], -v[88:89]
	s_waitcnt vmcnt(1) lgkmcnt(0)
	v_mul_f64 v[86:87], v[1:2], v[72:73]
	v_mul_f64 v[72:73], v[3:4], v[72:73]
	v_add_f64 v[8:9], v[10:11], v[8:9]
	v_add_f64 v[6:7], v[84:85], v[6:7]
	s_delay_alu instid0(VALU_DEP_4) | instskip(NEXT) | instid1(VALU_DEP_4)
	v_fma_f64 v[3:4], v[3:4], v[70:71], v[86:87]
	v_fma_f64 v[1:2], v[1:2], v[70:71], -v[72:73]
	s_delay_alu instid0(VALU_DEP_4) | instskip(NEXT) | instid1(VALU_DEP_4)
	v_add_f64 v[8:9], v[8:9], v[76:77]
	v_add_f64 v[6:7], v[6:7], v[74:75]
	s_delay_alu instid0(VALU_DEP_2) | instskip(NEXT) | instid1(VALU_DEP_2)
	v_add_f64 v[3:4], v[8:9], v[3:4]
	v_add_f64 v[1:2], v[6:7], v[1:2]
	s_waitcnt vmcnt(0)
	s_delay_alu instid0(VALU_DEP_2) | instskip(NEXT) | instid1(VALU_DEP_2)
	v_add_f64 v[3:4], v[80:81], -v[3:4]
	v_add_f64 v[1:2], v[78:79], -v[1:2]
	scratch_store_b128 off, v[1:4], off offset:96
	v_cmpx_lt_u32_e32 5, v51
	s_cbranch_execz .LBB82_117
; %bb.116:
	scratch_load_b128 v[1:4], v57, off
	v_mov_b32_e32 v6, 0
	s_delay_alu instid0(VALU_DEP_1)
	v_mov_b32_e32 v7, v6
	v_mov_b32_e32 v8, v6
	;; [unrolled: 1-line block ×3, first 2 shown]
	scratch_store_b128 off, v[6:9], off offset:80
	s_waitcnt vmcnt(0)
	ds_store_b128 v5, v[1:4]
.LBB82_117:
	s_or_b32 exec_lo, exec_lo, s2
	s_waitcnt lgkmcnt(0)
	s_waitcnt_vscnt null, 0x0
	s_barrier
	buffer_gl0_inv
	s_clause 0x7
	scratch_load_b128 v[6:9], off, off offset:96
	scratch_load_b128 v[70:73], off, off offset:112
	;; [unrolled: 1-line block ×8, first 2 shown]
	v_mov_b32_e32 v1, 0
	s_mov_b32 s2, exec_lo
	ds_load_b128 v[98:101], v1 offset:400
	s_clause 0x1
	scratch_load_b128 v[102:105], off, off offset:224
	scratch_load_b128 v[106:109], off, off offset:80
	ds_load_b128 v[110:113], v1 offset:416
	ds_load_b128 v[118:121], v1 offset:448
	s_waitcnt vmcnt(9) lgkmcnt(2)
	v_mul_f64 v[2:3], v[100:101], v[8:9]
	v_mul_f64 v[114:115], v[98:99], v[8:9]
	scratch_load_b128 v[8:11], off, off offset:240
	v_fma_f64 v[2:3], v[98:99], v[6:7], -v[2:3]
	v_fma_f64 v[6:7], v[100:101], v[6:7], v[114:115]
	scratch_load_b128 v[114:117], off, off offset:256
	ds_load_b128 v[98:101], v1 offset:432
	s_waitcnt vmcnt(10) lgkmcnt(2)
	v_mul_f64 v[122:123], v[110:111], v[72:73]
	v_mul_f64 v[72:73], v[112:113], v[72:73]
	s_waitcnt vmcnt(9) lgkmcnt(0)
	v_mul_f64 v[124:125], v[98:99], v[76:77]
	v_mul_f64 v[76:77], v[100:101], v[76:77]
	v_add_f64 v[2:3], v[2:3], 0
	v_add_f64 v[6:7], v[6:7], 0
	v_fma_f64 v[112:113], v[112:113], v[70:71], v[122:123]
	v_fma_f64 v[110:111], v[110:111], v[70:71], -v[72:73]
	scratch_load_b128 v[70:73], off, off offset:272
	v_fma_f64 v[124:125], v[100:101], v[74:75], v[124:125]
	v_fma_f64 v[126:127], v[98:99], v[74:75], -v[76:77]
	scratch_load_b128 v[98:101], off, off offset:288
	ds_load_b128 v[74:77], v1 offset:464
	s_waitcnt vmcnt(10)
	v_mul_f64 v[122:123], v[118:119], v[80:81]
	v_mul_f64 v[80:81], v[120:121], v[80:81]
	v_add_f64 v[6:7], v[6:7], v[112:113]
	v_add_f64 v[2:3], v[2:3], v[110:111]
	ds_load_b128 v[110:113], v1 offset:480
	s_waitcnt vmcnt(9) lgkmcnt(1)
	v_mul_f64 v[128:129], v[74:75], v[84:85]
	v_mul_f64 v[84:85], v[76:77], v[84:85]
	v_fma_f64 v[120:121], v[120:121], v[78:79], v[122:123]
	v_fma_f64 v[78:79], v[118:119], v[78:79], -v[80:81]
	s_waitcnt vmcnt(8) lgkmcnt(0)
	v_mul_f64 v[118:119], v[110:111], v[88:89]
	v_mul_f64 v[88:89], v[112:113], v[88:89]
	v_add_f64 v[6:7], v[6:7], v[124:125]
	v_add_f64 v[2:3], v[2:3], v[126:127]
	v_fma_f64 v[122:123], v[76:77], v[82:83], v[128:129]
	v_fma_f64 v[82:83], v[74:75], v[82:83], -v[84:85]
	v_fma_f64 v[112:113], v[112:113], v[86:87], v[118:119]
	v_fma_f64 v[86:87], v[110:111], v[86:87], -v[88:89]
	v_add_f64 v[6:7], v[6:7], v[120:121]
	v_add_f64 v[2:3], v[2:3], v[78:79]
	ds_load_b128 v[74:77], v1 offset:496
	ds_load_b128 v[78:81], v1 offset:512
	s_waitcnt vmcnt(7) lgkmcnt(1)
	v_mul_f64 v[84:85], v[74:75], v[92:93]
	v_mul_f64 v[92:93], v[76:77], v[92:93]
	s_waitcnt vmcnt(6) lgkmcnt(0)
	v_mul_f64 v[88:89], v[78:79], v[96:97]
	v_mul_f64 v[96:97], v[80:81], v[96:97]
	v_add_f64 v[6:7], v[6:7], v[122:123]
	v_add_f64 v[2:3], v[2:3], v[82:83]
	v_fma_f64 v[110:111], v[76:77], v[90:91], v[84:85]
	v_fma_f64 v[90:91], v[74:75], v[90:91], -v[92:93]
	ds_load_b128 v[74:77], v1 offset:528
	ds_load_b128 v[82:85], v1 offset:544
	v_fma_f64 v[80:81], v[80:81], v[94:95], v[88:89]
	v_fma_f64 v[78:79], v[78:79], v[94:95], -v[96:97]
	v_add_f64 v[6:7], v[6:7], v[112:113]
	v_add_f64 v[2:3], v[2:3], v[86:87]
	s_waitcnt vmcnt(5) lgkmcnt(1)
	v_mul_f64 v[86:87], v[74:75], v[104:105]
	v_mul_f64 v[92:93], v[76:77], v[104:105]
	s_delay_alu instid0(VALU_DEP_4) | instskip(NEXT) | instid1(VALU_DEP_4)
	v_add_f64 v[6:7], v[6:7], v[110:111]
	v_add_f64 v[2:3], v[2:3], v[90:91]
	s_delay_alu instid0(VALU_DEP_4) | instskip(NEXT) | instid1(VALU_DEP_4)
	v_fma_f64 v[86:87], v[76:77], v[102:103], v[86:87]
	v_fma_f64 v[90:91], v[74:75], v[102:103], -v[92:93]
	s_waitcnt vmcnt(3) lgkmcnt(0)
	v_mul_f64 v[88:89], v[82:83], v[10:11]
	v_mul_f64 v[10:11], v[84:85], v[10:11]
	v_add_f64 v[6:7], v[6:7], v[80:81]
	v_add_f64 v[2:3], v[2:3], v[78:79]
	ds_load_b128 v[74:77], v1 offset:560
	ds_load_b128 v[78:81], v1 offset:576
	v_fma_f64 v[84:85], v[84:85], v[8:9], v[88:89]
	v_fma_f64 v[8:9], v[82:83], v[8:9], -v[10:11]
	s_waitcnt vmcnt(2) lgkmcnt(1)
	v_mul_f64 v[92:93], v[74:75], v[116:117]
	v_mul_f64 v[94:95], v[76:77], v[116:117]
	v_add_f64 v[6:7], v[6:7], v[86:87]
	v_add_f64 v[2:3], v[2:3], v[90:91]
	s_waitcnt vmcnt(1) lgkmcnt(0)
	v_mul_f64 v[10:11], v[78:79], v[72:73]
	v_mul_f64 v[72:73], v[80:81], v[72:73]
	v_fma_f64 v[76:77], v[76:77], v[114:115], v[92:93]
	v_fma_f64 v[74:75], v[74:75], v[114:115], -v[94:95]
	v_add_f64 v[82:83], v[6:7], v[84:85]
	v_add_f64 v[2:3], v[2:3], v[8:9]
	ds_load_b128 v[6:9], v1 offset:592
	v_fma_f64 v[10:11], v[80:81], v[70:71], v[10:11]
	v_fma_f64 v[70:71], v[78:79], v[70:71], -v[72:73]
	s_waitcnt vmcnt(0) lgkmcnt(0)
	v_mul_f64 v[84:85], v[6:7], v[100:101]
	v_mul_f64 v[86:87], v[8:9], v[100:101]
	v_add_f64 v[72:73], v[82:83], v[76:77]
	v_add_f64 v[2:3], v[2:3], v[74:75]
	s_delay_alu instid0(VALU_DEP_4) | instskip(NEXT) | instid1(VALU_DEP_4)
	v_fma_f64 v[8:9], v[8:9], v[98:99], v[84:85]
	v_fma_f64 v[6:7], v[6:7], v[98:99], -v[86:87]
	s_delay_alu instid0(VALU_DEP_4) | instskip(NEXT) | instid1(VALU_DEP_4)
	v_add_f64 v[10:11], v[72:73], v[10:11]
	v_add_f64 v[2:3], v[2:3], v[70:71]
	s_delay_alu instid0(VALU_DEP_2) | instskip(NEXT) | instid1(VALU_DEP_2)
	v_add_f64 v[8:9], v[10:11], v[8:9]
	v_add_f64 v[2:3], v[2:3], v[6:7]
	s_delay_alu instid0(VALU_DEP_2) | instskip(NEXT) | instid1(VALU_DEP_2)
	v_add_f64 v[8:9], v[108:109], -v[8:9]
	v_add_f64 v[6:7], v[106:107], -v[2:3]
	scratch_store_b128 off, v[6:9], off offset:80
	v_cmpx_lt_u32_e32 4, v51
	s_cbranch_execz .LBB82_119
; %bb.118:
	scratch_load_b128 v[6:9], v52, off
	v_mov_b32_e32 v2, v1
	v_mov_b32_e32 v3, v1
	;; [unrolled: 1-line block ×3, first 2 shown]
	scratch_store_b128 off, v[1:4], off offset:64
	s_waitcnt vmcnt(0)
	ds_store_b128 v5, v[6:9]
.LBB82_119:
	s_or_b32 exec_lo, exec_lo, s2
	s_waitcnt lgkmcnt(0)
	s_waitcnt_vscnt null, 0x0
	s_barrier
	buffer_gl0_inv
	s_clause 0x8
	scratch_load_b128 v[6:9], off, off offset:80
	scratch_load_b128 v[70:73], off, off offset:96
	;; [unrolled: 1-line block ×9, first 2 shown]
	ds_load_b128 v[102:105], v1 offset:384
	ds_load_b128 v[106:109], v1 offset:400
	scratch_load_b128 v[110:113], off, off offset:64
	s_mov_b32 s2, exec_lo
	ds_load_b128 v[118:121], v1 offset:432
	s_waitcnt vmcnt(9) lgkmcnt(2)
	v_mul_f64 v[2:3], v[104:105], v[8:9]
	v_mul_f64 v[114:115], v[102:103], v[8:9]
	scratch_load_b128 v[8:11], off, off offset:224
	s_waitcnt vmcnt(9) lgkmcnt(1)
	v_mul_f64 v[122:123], v[106:107], v[72:73]
	v_mul_f64 v[72:73], v[108:109], v[72:73]
	v_fma_f64 v[2:3], v[102:103], v[6:7], -v[2:3]
	v_fma_f64 v[6:7], v[104:105], v[6:7], v[114:115]
	ds_load_b128 v[102:105], v1 offset:416
	scratch_load_b128 v[114:117], off, off offset:240
	v_fma_f64 v[108:109], v[108:109], v[70:71], v[122:123]
	v_fma_f64 v[106:107], v[106:107], v[70:71], -v[72:73]
	scratch_load_b128 v[70:73], off, off offset:256
	s_waitcnt vmcnt(9) lgkmcnt(1)
	v_mul_f64 v[122:123], v[118:119], v[80:81]
	v_mul_f64 v[80:81], v[120:121], v[80:81]
	s_waitcnt lgkmcnt(0)
	v_mul_f64 v[124:125], v[102:103], v[76:77]
	v_mul_f64 v[76:77], v[104:105], v[76:77]
	v_add_f64 v[2:3], v[2:3], 0
	v_add_f64 v[6:7], v[6:7], 0
	v_fma_f64 v[120:121], v[120:121], v[78:79], v[122:123]
	v_fma_f64 v[118:119], v[118:119], v[78:79], -v[80:81]
	scratch_load_b128 v[78:81], off, off offset:288
	v_fma_f64 v[124:125], v[104:105], v[74:75], v[124:125]
	v_fma_f64 v[126:127], v[102:103], v[74:75], -v[76:77]
	ds_load_b128 v[74:77], v1 offset:448
	scratch_load_b128 v[102:105], off, off offset:272
	v_add_f64 v[2:3], v[2:3], v[106:107]
	v_add_f64 v[6:7], v[6:7], v[108:109]
	ds_load_b128 v[106:109], v1 offset:464
	s_waitcnt vmcnt(10) lgkmcnt(1)
	v_mul_f64 v[128:129], v[74:75], v[84:85]
	v_mul_f64 v[84:85], v[76:77], v[84:85]
	s_waitcnt vmcnt(9) lgkmcnt(0)
	v_mul_f64 v[122:123], v[106:107], v[88:89]
	v_mul_f64 v[88:89], v[108:109], v[88:89]
	v_add_f64 v[2:3], v[2:3], v[126:127]
	v_add_f64 v[6:7], v[6:7], v[124:125]
	v_fma_f64 v[124:125], v[76:77], v[82:83], v[128:129]
	v_fma_f64 v[126:127], v[74:75], v[82:83], -v[84:85]
	ds_load_b128 v[74:77], v1 offset:480
	ds_load_b128 v[82:85], v1 offset:496
	v_fma_f64 v[108:109], v[108:109], v[86:87], v[122:123]
	v_fma_f64 v[86:87], v[106:107], v[86:87], -v[88:89]
	s_waitcnt vmcnt(7) lgkmcnt(0)
	v_mul_f64 v[106:107], v[82:83], v[96:97]
	v_mul_f64 v[96:97], v[84:85], v[96:97]
	v_add_f64 v[2:3], v[2:3], v[118:119]
	v_add_f64 v[6:7], v[6:7], v[120:121]
	v_mul_f64 v[118:119], v[74:75], v[92:93]
	v_mul_f64 v[92:93], v[76:77], v[92:93]
	v_fma_f64 v[84:85], v[84:85], v[94:95], v[106:107]
	v_fma_f64 v[82:83], v[82:83], v[94:95], -v[96:97]
	v_add_f64 v[2:3], v[2:3], v[126:127]
	v_add_f64 v[6:7], v[6:7], v[124:125]
	v_fma_f64 v[118:119], v[76:77], v[90:91], v[118:119]
	v_fma_f64 v[90:91], v[74:75], v[90:91], -v[92:93]
	s_delay_alu instid0(VALU_DEP_4) | instskip(NEXT) | instid1(VALU_DEP_4)
	v_add_f64 v[2:3], v[2:3], v[86:87]
	v_add_f64 v[6:7], v[6:7], v[108:109]
	ds_load_b128 v[74:77], v1 offset:512
	ds_load_b128 v[86:89], v1 offset:528
	s_waitcnt vmcnt(6) lgkmcnt(1)
	v_mul_f64 v[92:93], v[74:75], v[100:101]
	v_mul_f64 v[100:101], v[76:77], v[100:101]
	v_add_f64 v[2:3], v[2:3], v[90:91]
	v_add_f64 v[6:7], v[6:7], v[118:119]
	s_waitcnt vmcnt(4) lgkmcnt(0)
	v_mul_f64 v[90:91], v[86:87], v[10:11]
	v_mul_f64 v[10:11], v[88:89], v[10:11]
	v_fma_f64 v[92:93], v[76:77], v[98:99], v[92:93]
	v_fma_f64 v[94:95], v[74:75], v[98:99], -v[100:101]
	v_add_f64 v[2:3], v[2:3], v[82:83]
	v_add_f64 v[6:7], v[6:7], v[84:85]
	ds_load_b128 v[74:77], v1 offset:544
	ds_load_b128 v[82:85], v1 offset:560
	v_fma_f64 v[88:89], v[88:89], v[8:9], v[90:91]
	v_fma_f64 v[8:9], v[86:87], v[8:9], -v[10:11]
	s_waitcnt vmcnt(3) lgkmcnt(1)
	v_mul_f64 v[96:97], v[74:75], v[116:117]
	v_mul_f64 v[98:99], v[76:77], v[116:117]
	s_waitcnt vmcnt(2) lgkmcnt(0)
	v_mul_f64 v[10:11], v[82:83], v[72:73]
	v_mul_f64 v[72:73], v[84:85], v[72:73]
	v_add_f64 v[2:3], v[2:3], v[94:95]
	v_add_f64 v[6:7], v[6:7], v[92:93]
	v_fma_f64 v[76:77], v[76:77], v[114:115], v[96:97]
	v_fma_f64 v[74:75], v[74:75], v[114:115], -v[98:99]
	v_fma_f64 v[10:11], v[84:85], v[70:71], v[10:11]
	v_fma_f64 v[70:71], v[82:83], v[70:71], -v[72:73]
	v_add_f64 v[86:87], v[2:3], v[8:9]
	v_add_f64 v[88:89], v[6:7], v[88:89]
	ds_load_b128 v[6:9], v1 offset:576
	ds_load_b128 v[1:4], v1 offset:592
	s_waitcnt vmcnt(0) lgkmcnt(1)
	v_mul_f64 v[90:91], v[6:7], v[104:105]
	v_mul_f64 v[92:93], v[8:9], v[104:105]
	v_add_f64 v[72:73], v[86:87], v[74:75]
	v_add_f64 v[74:75], v[88:89], v[76:77]
	s_waitcnt lgkmcnt(0)
	v_mul_f64 v[76:77], v[1:2], v[80:81]
	v_mul_f64 v[80:81], v[3:4], v[80:81]
	v_fma_f64 v[8:9], v[8:9], v[102:103], v[90:91]
	v_fma_f64 v[6:7], v[6:7], v[102:103], -v[92:93]
	v_add_f64 v[70:71], v[72:73], v[70:71]
	v_add_f64 v[10:11], v[74:75], v[10:11]
	v_fma_f64 v[3:4], v[3:4], v[78:79], v[76:77]
	v_fma_f64 v[1:2], v[1:2], v[78:79], -v[80:81]
	s_delay_alu instid0(VALU_DEP_4) | instskip(NEXT) | instid1(VALU_DEP_4)
	v_add_f64 v[6:7], v[70:71], v[6:7]
	v_add_f64 v[8:9], v[10:11], v[8:9]
	s_delay_alu instid0(VALU_DEP_2) | instskip(NEXT) | instid1(VALU_DEP_2)
	v_add_f64 v[1:2], v[6:7], v[1:2]
	v_add_f64 v[3:4], v[8:9], v[3:4]
	s_delay_alu instid0(VALU_DEP_2) | instskip(NEXT) | instid1(VALU_DEP_2)
	v_add_f64 v[1:2], v[110:111], -v[1:2]
	v_add_f64 v[3:4], v[112:113], -v[3:4]
	scratch_store_b128 off, v[1:4], off offset:64
	v_cmpx_lt_u32_e32 3, v51
	s_cbranch_execz .LBB82_121
; %bb.120:
	scratch_load_b128 v[1:4], v53, off
	v_mov_b32_e32 v6, 0
	s_delay_alu instid0(VALU_DEP_1)
	v_mov_b32_e32 v7, v6
	v_mov_b32_e32 v8, v6
	;; [unrolled: 1-line block ×3, first 2 shown]
	scratch_store_b128 off, v[6:9], off offset:48
	s_waitcnt vmcnt(0)
	ds_store_b128 v5, v[1:4]
.LBB82_121:
	s_or_b32 exec_lo, exec_lo, s2
	s_waitcnt lgkmcnt(0)
	s_waitcnt_vscnt null, 0x0
	s_barrier
	buffer_gl0_inv
	s_clause 0x7
	scratch_load_b128 v[6:9], off, off offset:64
	scratch_load_b128 v[70:73], off, off offset:80
	;; [unrolled: 1-line block ×8, first 2 shown]
	v_mov_b32_e32 v1, 0
	s_mov_b32 s2, exec_lo
	ds_load_b128 v[98:101], v1 offset:368
	s_clause 0x1
	scratch_load_b128 v[102:105], off, off offset:192
	scratch_load_b128 v[106:109], off, off offset:48
	ds_load_b128 v[110:113], v1 offset:384
	ds_load_b128 v[118:121], v1 offset:416
	s_waitcnt vmcnt(9) lgkmcnt(2)
	v_mul_f64 v[2:3], v[100:101], v[8:9]
	v_mul_f64 v[114:115], v[98:99], v[8:9]
	scratch_load_b128 v[8:11], off, off offset:208
	v_fma_f64 v[2:3], v[98:99], v[6:7], -v[2:3]
	v_fma_f64 v[6:7], v[100:101], v[6:7], v[114:115]
	scratch_load_b128 v[114:117], off, off offset:224
	ds_load_b128 v[98:101], v1 offset:400
	s_waitcnt vmcnt(10) lgkmcnt(2)
	v_mul_f64 v[122:123], v[110:111], v[72:73]
	v_mul_f64 v[72:73], v[112:113], v[72:73]
	s_waitcnt vmcnt(9) lgkmcnt(0)
	v_mul_f64 v[124:125], v[98:99], v[76:77]
	v_mul_f64 v[76:77], v[100:101], v[76:77]
	v_add_f64 v[2:3], v[2:3], 0
	v_add_f64 v[6:7], v[6:7], 0
	v_fma_f64 v[112:113], v[112:113], v[70:71], v[122:123]
	v_fma_f64 v[110:111], v[110:111], v[70:71], -v[72:73]
	scratch_load_b128 v[70:73], off, off offset:240
	v_fma_f64 v[124:125], v[100:101], v[74:75], v[124:125]
	v_fma_f64 v[126:127], v[98:99], v[74:75], -v[76:77]
	scratch_load_b128 v[98:101], off, off offset:256
	ds_load_b128 v[74:77], v1 offset:432
	s_waitcnt vmcnt(10)
	v_mul_f64 v[122:123], v[118:119], v[80:81]
	v_mul_f64 v[80:81], v[120:121], v[80:81]
	v_add_f64 v[6:7], v[6:7], v[112:113]
	v_add_f64 v[2:3], v[2:3], v[110:111]
	ds_load_b128 v[110:113], v1 offset:448
	s_waitcnt vmcnt(9) lgkmcnt(1)
	v_mul_f64 v[128:129], v[74:75], v[84:85]
	v_mul_f64 v[84:85], v[76:77], v[84:85]
	v_fma_f64 v[120:121], v[120:121], v[78:79], v[122:123]
	v_fma_f64 v[118:119], v[118:119], v[78:79], -v[80:81]
	scratch_load_b128 v[78:81], off, off offset:272
	v_add_f64 v[6:7], v[6:7], v[124:125]
	v_add_f64 v[2:3], v[2:3], v[126:127]
	v_fma_f64 v[124:125], v[76:77], v[82:83], v[128:129]
	v_fma_f64 v[126:127], v[74:75], v[82:83], -v[84:85]
	scratch_load_b128 v[82:85], off, off offset:288
	ds_load_b128 v[74:77], v1 offset:464
	s_waitcnt vmcnt(10) lgkmcnt(1)
	v_mul_f64 v[122:123], v[110:111], v[88:89]
	v_mul_f64 v[88:89], v[112:113], v[88:89]
	s_waitcnt vmcnt(9) lgkmcnt(0)
	v_mul_f64 v[128:129], v[74:75], v[92:93]
	v_mul_f64 v[92:93], v[76:77], v[92:93]
	v_add_f64 v[6:7], v[6:7], v[120:121]
	v_add_f64 v[2:3], v[2:3], v[118:119]
	ds_load_b128 v[118:121], v1 offset:480
	v_fma_f64 v[112:113], v[112:113], v[86:87], v[122:123]
	v_fma_f64 v[86:87], v[110:111], v[86:87], -v[88:89]
	s_waitcnt vmcnt(8) lgkmcnt(0)
	v_mul_f64 v[110:111], v[118:119], v[96:97]
	v_mul_f64 v[96:97], v[120:121], v[96:97]
	v_fma_f64 v[122:123], v[76:77], v[90:91], v[128:129]
	v_fma_f64 v[90:91], v[74:75], v[90:91], -v[92:93]
	v_add_f64 v[6:7], v[6:7], v[124:125]
	v_add_f64 v[2:3], v[2:3], v[126:127]
	v_fma_f64 v[110:111], v[120:121], v[94:95], v[110:111]
	v_fma_f64 v[94:95], v[118:119], v[94:95], -v[96:97]
	s_delay_alu instid0(VALU_DEP_4) | instskip(NEXT) | instid1(VALU_DEP_4)
	v_add_f64 v[6:7], v[6:7], v[112:113]
	v_add_f64 v[2:3], v[2:3], v[86:87]
	ds_load_b128 v[74:77], v1 offset:496
	ds_load_b128 v[86:89], v1 offset:512
	s_waitcnt vmcnt(7) lgkmcnt(1)
	v_mul_f64 v[92:93], v[74:75], v[104:105]
	v_mul_f64 v[104:105], v[76:77], v[104:105]
	v_add_f64 v[6:7], v[6:7], v[122:123]
	v_add_f64 v[2:3], v[2:3], v[90:91]
	s_waitcnt vmcnt(5) lgkmcnt(0)
	v_mul_f64 v[96:97], v[86:87], v[10:11]
	v_mul_f64 v[10:11], v[88:89], v[10:11]
	v_fma_f64 v[112:113], v[76:77], v[102:103], v[92:93]
	v_fma_f64 v[102:103], v[74:75], v[102:103], -v[104:105]
	ds_load_b128 v[74:77], v1 offset:528
	ds_load_b128 v[90:93], v1 offset:544
	v_add_f64 v[6:7], v[6:7], v[110:111]
	v_add_f64 v[2:3], v[2:3], v[94:95]
	s_waitcnt vmcnt(4) lgkmcnt(1)
	v_mul_f64 v[94:95], v[74:75], v[116:117]
	v_mul_f64 v[104:105], v[76:77], v[116:117]
	v_fma_f64 v[88:89], v[88:89], v[8:9], v[96:97]
	v_fma_f64 v[8:9], v[86:87], v[8:9], -v[10:11]
	v_add_f64 v[6:7], v[6:7], v[112:113]
	v_add_f64 v[2:3], v[2:3], v[102:103]
	v_fma_f64 v[76:77], v[76:77], v[114:115], v[94:95]
	v_fma_f64 v[94:95], v[74:75], v[114:115], -v[104:105]
	s_waitcnt vmcnt(3) lgkmcnt(0)
	v_mul_f64 v[10:11], v[90:91], v[72:73]
	v_mul_f64 v[86:87], v[92:93], v[72:73]
	v_add_f64 v[88:89], v[6:7], v[88:89]
	v_add_f64 v[2:3], v[2:3], v[8:9]
	ds_load_b128 v[6:9], v1 offset:560
	ds_load_b128 v[72:75], v1 offset:576
	v_fma_f64 v[10:11], v[92:93], v[70:71], v[10:11]
	v_fma_f64 v[70:71], v[90:91], v[70:71], -v[86:87]
	s_waitcnt vmcnt(2) lgkmcnt(1)
	v_mul_f64 v[96:97], v[6:7], v[100:101]
	v_mul_f64 v[100:101], v[8:9], v[100:101]
	v_add_f64 v[76:77], v[88:89], v[76:77]
	v_add_f64 v[2:3], v[2:3], v[94:95]
	s_waitcnt vmcnt(1) lgkmcnt(0)
	v_mul_f64 v[86:87], v[72:73], v[80:81]
	v_mul_f64 v[80:81], v[74:75], v[80:81]
	v_fma_f64 v[88:89], v[8:9], v[98:99], v[96:97]
	v_fma_f64 v[90:91], v[6:7], v[98:99], -v[100:101]
	ds_load_b128 v[6:9], v1 offset:592
	v_add_f64 v[10:11], v[76:77], v[10:11]
	v_add_f64 v[2:3], v[2:3], v[70:71]
	v_fma_f64 v[74:75], v[74:75], v[78:79], v[86:87]
	v_fma_f64 v[72:73], v[72:73], v[78:79], -v[80:81]
	s_waitcnt vmcnt(0) lgkmcnt(0)
	v_mul_f64 v[70:71], v[6:7], v[84:85]
	v_mul_f64 v[76:77], v[8:9], v[84:85]
	v_add_f64 v[10:11], v[10:11], v[88:89]
	v_add_f64 v[2:3], v[2:3], v[90:91]
	s_delay_alu instid0(VALU_DEP_4) | instskip(NEXT) | instid1(VALU_DEP_4)
	v_fma_f64 v[8:9], v[8:9], v[82:83], v[70:71]
	v_fma_f64 v[6:7], v[6:7], v[82:83], -v[76:77]
	s_delay_alu instid0(VALU_DEP_4) | instskip(NEXT) | instid1(VALU_DEP_4)
	v_add_f64 v[10:11], v[10:11], v[74:75]
	v_add_f64 v[2:3], v[2:3], v[72:73]
	s_delay_alu instid0(VALU_DEP_2) | instskip(NEXT) | instid1(VALU_DEP_2)
	v_add_f64 v[8:9], v[10:11], v[8:9]
	v_add_f64 v[2:3], v[2:3], v[6:7]
	s_delay_alu instid0(VALU_DEP_2) | instskip(NEXT) | instid1(VALU_DEP_2)
	v_add_f64 v[8:9], v[108:109], -v[8:9]
	v_add_f64 v[6:7], v[106:107], -v[2:3]
	scratch_store_b128 off, v[6:9], off offset:48
	v_cmpx_lt_u32_e32 2, v51
	s_cbranch_execz .LBB82_123
; %bb.122:
	scratch_load_b128 v[6:9], v55, off
	v_mov_b32_e32 v2, v1
	v_mov_b32_e32 v3, v1
	;; [unrolled: 1-line block ×3, first 2 shown]
	scratch_store_b128 off, v[1:4], off offset:32
	s_waitcnt vmcnt(0)
	ds_store_b128 v5, v[6:9]
.LBB82_123:
	s_or_b32 exec_lo, exec_lo, s2
	s_waitcnt lgkmcnt(0)
	s_waitcnt_vscnt null, 0x0
	s_barrier
	buffer_gl0_inv
	s_clause 0x8
	scratch_load_b128 v[6:9], off, off offset:48
	scratch_load_b128 v[70:73], off, off offset:64
	;; [unrolled: 1-line block ×9, first 2 shown]
	ds_load_b128 v[102:105], v1 offset:352
	ds_load_b128 v[106:109], v1 offset:368
	scratch_load_b128 v[110:113], off, off offset:32
	s_mov_b32 s2, exec_lo
	ds_load_b128 v[118:121], v1 offset:400
	s_waitcnt vmcnt(9) lgkmcnt(2)
	v_mul_f64 v[2:3], v[104:105], v[8:9]
	v_mul_f64 v[114:115], v[102:103], v[8:9]
	scratch_load_b128 v[8:11], off, off offset:192
	s_waitcnt vmcnt(9) lgkmcnt(1)
	v_mul_f64 v[122:123], v[106:107], v[72:73]
	v_mul_f64 v[72:73], v[108:109], v[72:73]
	v_fma_f64 v[2:3], v[102:103], v[6:7], -v[2:3]
	v_fma_f64 v[6:7], v[104:105], v[6:7], v[114:115]
	ds_load_b128 v[102:105], v1 offset:384
	scratch_load_b128 v[114:117], off, off offset:208
	v_fma_f64 v[108:109], v[108:109], v[70:71], v[122:123]
	v_fma_f64 v[106:107], v[106:107], v[70:71], -v[72:73]
	scratch_load_b128 v[70:73], off, off offset:224
	s_waitcnt vmcnt(9) lgkmcnt(1)
	v_mul_f64 v[122:123], v[118:119], v[80:81]
	v_mul_f64 v[80:81], v[120:121], v[80:81]
	s_waitcnt lgkmcnt(0)
	v_mul_f64 v[124:125], v[102:103], v[76:77]
	v_mul_f64 v[76:77], v[104:105], v[76:77]
	v_add_f64 v[2:3], v[2:3], 0
	v_add_f64 v[6:7], v[6:7], 0
	v_fma_f64 v[120:121], v[120:121], v[78:79], v[122:123]
	v_fma_f64 v[118:119], v[118:119], v[78:79], -v[80:81]
	scratch_load_b128 v[78:81], off, off offset:256
	v_fma_f64 v[124:125], v[104:105], v[74:75], v[124:125]
	v_fma_f64 v[126:127], v[102:103], v[74:75], -v[76:77]
	ds_load_b128 v[74:77], v1 offset:416
	scratch_load_b128 v[102:105], off, off offset:240
	v_add_f64 v[2:3], v[2:3], v[106:107]
	v_add_f64 v[6:7], v[6:7], v[108:109]
	ds_load_b128 v[106:109], v1 offset:432
	s_waitcnt vmcnt(10) lgkmcnt(1)
	v_mul_f64 v[128:129], v[74:75], v[84:85]
	v_mul_f64 v[84:85], v[76:77], v[84:85]
	s_waitcnt vmcnt(9) lgkmcnt(0)
	v_mul_f64 v[122:123], v[106:107], v[88:89]
	v_mul_f64 v[88:89], v[108:109], v[88:89]
	v_add_f64 v[2:3], v[2:3], v[126:127]
	v_add_f64 v[6:7], v[6:7], v[124:125]
	v_fma_f64 v[124:125], v[76:77], v[82:83], v[128:129]
	v_fma_f64 v[126:127], v[74:75], v[82:83], -v[84:85]
	ds_load_b128 v[74:77], v1 offset:448
	scratch_load_b128 v[82:85], off, off offset:272
	v_fma_f64 v[108:109], v[108:109], v[86:87], v[122:123]
	v_fma_f64 v[106:107], v[106:107], v[86:87], -v[88:89]
	scratch_load_b128 v[86:89], off, off offset:288
	v_add_f64 v[2:3], v[2:3], v[118:119]
	v_add_f64 v[6:7], v[6:7], v[120:121]
	ds_load_b128 v[118:121], v1 offset:464
	s_waitcnt vmcnt(10) lgkmcnt(1)
	v_mul_f64 v[128:129], v[74:75], v[92:93]
	v_mul_f64 v[92:93], v[76:77], v[92:93]
	s_waitcnt vmcnt(9) lgkmcnt(0)
	v_mul_f64 v[122:123], v[118:119], v[96:97]
	v_mul_f64 v[96:97], v[120:121], v[96:97]
	v_add_f64 v[2:3], v[2:3], v[126:127]
	v_add_f64 v[6:7], v[6:7], v[124:125]
	v_fma_f64 v[124:125], v[76:77], v[90:91], v[128:129]
	v_fma_f64 v[126:127], v[74:75], v[90:91], -v[92:93]
	ds_load_b128 v[74:77], v1 offset:480
	ds_load_b128 v[90:93], v1 offset:496
	v_add_f64 v[2:3], v[2:3], v[106:107]
	v_add_f64 v[6:7], v[6:7], v[108:109]
	s_waitcnt vmcnt(8) lgkmcnt(1)
	v_mul_f64 v[106:107], v[74:75], v[100:101]
	v_mul_f64 v[100:101], v[76:77], v[100:101]
	v_fma_f64 v[108:109], v[120:121], v[94:95], v[122:123]
	v_fma_f64 v[94:95], v[118:119], v[94:95], -v[96:97]
	v_add_f64 v[2:3], v[2:3], v[126:127]
	v_add_f64 v[6:7], v[6:7], v[124:125]
	v_fma_f64 v[106:107], v[76:77], v[98:99], v[106:107]
	v_fma_f64 v[98:99], v[74:75], v[98:99], -v[100:101]
	s_waitcnt vmcnt(6) lgkmcnt(0)
	v_mul_f64 v[118:119], v[90:91], v[10:11]
	v_mul_f64 v[10:11], v[92:93], v[10:11]
	v_add_f64 v[2:3], v[2:3], v[94:95]
	v_add_f64 v[6:7], v[6:7], v[108:109]
	ds_load_b128 v[74:77], v1 offset:512
	ds_load_b128 v[94:97], v1 offset:528
	v_fma_f64 v[92:93], v[92:93], v[8:9], v[118:119]
	v_fma_f64 v[8:9], v[90:91], v[8:9], -v[10:11]
	s_waitcnt vmcnt(5) lgkmcnt(1)
	v_mul_f64 v[100:101], v[74:75], v[116:117]
	v_mul_f64 v[108:109], v[76:77], v[116:117]
	s_waitcnt vmcnt(4) lgkmcnt(0)
	v_mul_f64 v[10:11], v[94:95], v[72:73]
	v_mul_f64 v[90:91], v[96:97], v[72:73]
	v_add_f64 v[2:3], v[2:3], v[98:99]
	v_add_f64 v[6:7], v[6:7], v[106:107]
	v_fma_f64 v[76:77], v[76:77], v[114:115], v[100:101]
	v_fma_f64 v[98:99], v[74:75], v[114:115], -v[108:109]
	v_fma_f64 v[10:11], v[96:97], v[70:71], v[10:11]
	v_fma_f64 v[70:71], v[94:95], v[70:71], -v[90:91]
	v_add_f64 v[2:3], v[2:3], v[8:9]
	v_add_f64 v[92:93], v[6:7], v[92:93]
	ds_load_b128 v[6:9], v1 offset:544
	ds_load_b128 v[72:75], v1 offset:560
	s_waitcnt vmcnt(2) lgkmcnt(1)
	v_mul_f64 v[100:101], v[6:7], v[104:105]
	v_mul_f64 v[104:105], v[8:9], v[104:105]
	s_waitcnt lgkmcnt(0)
	v_mul_f64 v[90:91], v[72:73], v[80:81]
	v_mul_f64 v[80:81], v[74:75], v[80:81]
	v_add_f64 v[2:3], v[2:3], v[98:99]
	v_add_f64 v[76:77], v[92:93], v[76:77]
	v_fma_f64 v[92:93], v[8:9], v[102:103], v[100:101]
	v_fma_f64 v[94:95], v[6:7], v[102:103], -v[104:105]
	v_fma_f64 v[74:75], v[74:75], v[78:79], v[90:91]
	v_fma_f64 v[72:73], v[72:73], v[78:79], -v[80:81]
	v_add_f64 v[70:71], v[2:3], v[70:71]
	v_add_f64 v[10:11], v[76:77], v[10:11]
	ds_load_b128 v[6:9], v1 offset:576
	ds_load_b128 v[1:4], v1 offset:592
	s_waitcnt vmcnt(1) lgkmcnt(1)
	v_mul_f64 v[76:77], v[6:7], v[84:85]
	v_mul_f64 v[84:85], v[8:9], v[84:85]
	s_waitcnt vmcnt(0) lgkmcnt(0)
	v_mul_f64 v[78:79], v[1:2], v[88:89]
	v_mul_f64 v[80:81], v[3:4], v[88:89]
	v_add_f64 v[70:71], v[70:71], v[94:95]
	v_add_f64 v[10:11], v[10:11], v[92:93]
	v_fma_f64 v[8:9], v[8:9], v[82:83], v[76:77]
	v_fma_f64 v[6:7], v[6:7], v[82:83], -v[84:85]
	v_fma_f64 v[3:4], v[3:4], v[86:87], v[78:79]
	v_fma_f64 v[1:2], v[1:2], v[86:87], -v[80:81]
	v_add_f64 v[70:71], v[70:71], v[72:73]
	v_add_f64 v[10:11], v[10:11], v[74:75]
	s_delay_alu instid0(VALU_DEP_2) | instskip(NEXT) | instid1(VALU_DEP_2)
	v_add_f64 v[6:7], v[70:71], v[6:7]
	v_add_f64 v[8:9], v[10:11], v[8:9]
	s_delay_alu instid0(VALU_DEP_2) | instskip(NEXT) | instid1(VALU_DEP_2)
	;; [unrolled: 3-line block ×3, first 2 shown]
	v_add_f64 v[1:2], v[110:111], -v[1:2]
	v_add_f64 v[3:4], v[112:113], -v[3:4]
	scratch_store_b128 off, v[1:4], off offset:32
	v_cmpx_lt_u32_e32 1, v51
	s_cbranch_execz .LBB82_125
; %bb.124:
	scratch_load_b128 v[1:4], v58, off
	v_mov_b32_e32 v6, 0
	s_delay_alu instid0(VALU_DEP_1)
	v_mov_b32_e32 v7, v6
	v_mov_b32_e32 v8, v6
	;; [unrolled: 1-line block ×3, first 2 shown]
	scratch_store_b128 off, v[6:9], off offset:16
	s_waitcnt vmcnt(0)
	ds_store_b128 v5, v[1:4]
.LBB82_125:
	s_or_b32 exec_lo, exec_lo, s2
	s_waitcnt lgkmcnt(0)
	s_waitcnt_vscnt null, 0x0
	s_barrier
	buffer_gl0_inv
	s_clause 0x7
	scratch_load_b128 v[6:9], off, off offset:32
	scratch_load_b128 v[70:73], off, off offset:48
	;; [unrolled: 1-line block ×8, first 2 shown]
	v_mov_b32_e32 v1, 0
	s_mov_b32 s2, exec_lo
	ds_load_b128 v[98:101], v1 offset:336
	s_clause 0x1
	scratch_load_b128 v[102:105], off, off offset:160
	scratch_load_b128 v[106:109], off, off offset:16
	ds_load_b128 v[110:113], v1 offset:352
	ds_load_b128 v[118:121], v1 offset:384
	s_waitcnt vmcnt(9) lgkmcnt(2)
	v_mul_f64 v[2:3], v[100:101], v[8:9]
	v_mul_f64 v[114:115], v[98:99], v[8:9]
	scratch_load_b128 v[8:11], off, off offset:176
	v_fma_f64 v[2:3], v[98:99], v[6:7], -v[2:3]
	v_fma_f64 v[6:7], v[100:101], v[6:7], v[114:115]
	scratch_load_b128 v[114:117], off, off offset:192
	ds_load_b128 v[98:101], v1 offset:368
	s_waitcnt vmcnt(10) lgkmcnt(2)
	v_mul_f64 v[122:123], v[110:111], v[72:73]
	v_mul_f64 v[72:73], v[112:113], v[72:73]
	s_waitcnt vmcnt(9) lgkmcnt(0)
	v_mul_f64 v[124:125], v[98:99], v[76:77]
	v_mul_f64 v[76:77], v[100:101], v[76:77]
	v_add_f64 v[2:3], v[2:3], 0
	v_add_f64 v[6:7], v[6:7], 0
	v_fma_f64 v[112:113], v[112:113], v[70:71], v[122:123]
	v_fma_f64 v[110:111], v[110:111], v[70:71], -v[72:73]
	scratch_load_b128 v[70:73], off, off offset:208
	v_fma_f64 v[124:125], v[100:101], v[74:75], v[124:125]
	v_fma_f64 v[126:127], v[98:99], v[74:75], -v[76:77]
	scratch_load_b128 v[98:101], off, off offset:224
	ds_load_b128 v[74:77], v1 offset:400
	s_waitcnt vmcnt(10)
	v_mul_f64 v[122:123], v[118:119], v[80:81]
	v_mul_f64 v[80:81], v[120:121], v[80:81]
	v_add_f64 v[6:7], v[6:7], v[112:113]
	v_add_f64 v[2:3], v[2:3], v[110:111]
	ds_load_b128 v[110:113], v1 offset:416
	s_waitcnt vmcnt(9) lgkmcnt(1)
	v_mul_f64 v[128:129], v[74:75], v[84:85]
	v_mul_f64 v[84:85], v[76:77], v[84:85]
	v_fma_f64 v[120:121], v[120:121], v[78:79], v[122:123]
	v_fma_f64 v[118:119], v[118:119], v[78:79], -v[80:81]
	scratch_load_b128 v[78:81], off, off offset:240
	v_add_f64 v[6:7], v[6:7], v[124:125]
	v_add_f64 v[2:3], v[2:3], v[126:127]
	v_fma_f64 v[124:125], v[76:77], v[82:83], v[128:129]
	v_fma_f64 v[126:127], v[74:75], v[82:83], -v[84:85]
	scratch_load_b128 v[82:85], off, off offset:256
	ds_load_b128 v[74:77], v1 offset:432
	s_waitcnt vmcnt(10) lgkmcnt(1)
	v_mul_f64 v[122:123], v[110:111], v[88:89]
	v_mul_f64 v[88:89], v[112:113], v[88:89]
	s_waitcnt vmcnt(9) lgkmcnt(0)
	v_mul_f64 v[128:129], v[74:75], v[92:93]
	v_mul_f64 v[92:93], v[76:77], v[92:93]
	v_add_f64 v[6:7], v[6:7], v[120:121]
	v_add_f64 v[2:3], v[2:3], v[118:119]
	ds_load_b128 v[118:121], v1 offset:448
	v_fma_f64 v[112:113], v[112:113], v[86:87], v[122:123]
	v_fma_f64 v[110:111], v[110:111], v[86:87], -v[88:89]
	scratch_load_b128 v[86:89], off, off offset:272
	v_add_f64 v[6:7], v[6:7], v[124:125]
	v_add_f64 v[2:3], v[2:3], v[126:127]
	v_fma_f64 v[124:125], v[76:77], v[90:91], v[128:129]
	v_fma_f64 v[126:127], v[74:75], v[90:91], -v[92:93]
	scratch_load_b128 v[90:93], off, off offset:288
	ds_load_b128 v[74:77], v1 offset:464
	s_waitcnt vmcnt(10) lgkmcnt(1)
	v_mul_f64 v[122:123], v[118:119], v[96:97]
	v_mul_f64 v[96:97], v[120:121], v[96:97]
	s_waitcnt vmcnt(9) lgkmcnt(0)
	v_mul_f64 v[128:129], v[74:75], v[104:105]
	v_mul_f64 v[104:105], v[76:77], v[104:105]
	v_add_f64 v[6:7], v[6:7], v[112:113]
	v_add_f64 v[2:3], v[2:3], v[110:111]
	ds_load_b128 v[110:113], v1 offset:480
	v_fma_f64 v[120:121], v[120:121], v[94:95], v[122:123]
	v_fma_f64 v[94:95], v[118:119], v[94:95], -v[96:97]
	v_fma_f64 v[122:123], v[76:77], v[102:103], v[128:129]
	v_fma_f64 v[102:103], v[74:75], v[102:103], -v[104:105]
	v_add_f64 v[6:7], v[6:7], v[124:125]
	v_add_f64 v[2:3], v[2:3], v[126:127]
	s_waitcnt vmcnt(7) lgkmcnt(0)
	v_mul_f64 v[118:119], v[110:111], v[10:11]
	v_mul_f64 v[10:11], v[112:113], v[10:11]
	s_delay_alu instid0(VALU_DEP_4) | instskip(NEXT) | instid1(VALU_DEP_4)
	v_add_f64 v[6:7], v[6:7], v[120:121]
	v_add_f64 v[2:3], v[2:3], v[94:95]
	ds_load_b128 v[74:77], v1 offset:496
	ds_load_b128 v[94:97], v1 offset:512
	v_fma_f64 v[112:113], v[112:113], v[8:9], v[118:119]
	v_fma_f64 v[8:9], v[110:111], v[8:9], -v[10:11]
	s_waitcnt vmcnt(6) lgkmcnt(1)
	v_mul_f64 v[104:105], v[74:75], v[116:117]
	v_mul_f64 v[116:117], v[76:77], v[116:117]
	v_add_f64 v[6:7], v[6:7], v[122:123]
	v_add_f64 v[2:3], v[2:3], v[102:103]
	s_waitcnt vmcnt(5) lgkmcnt(0)
	v_mul_f64 v[10:11], v[94:95], v[72:73]
	v_mul_f64 v[102:103], v[96:97], v[72:73]
	v_fma_f64 v[76:77], v[76:77], v[114:115], v[104:105]
	v_fma_f64 v[104:105], v[74:75], v[114:115], -v[116:117]
	v_add_f64 v[110:111], v[6:7], v[112:113]
	v_add_f64 v[2:3], v[2:3], v[8:9]
	ds_load_b128 v[6:9], v1 offset:528
	ds_load_b128 v[72:75], v1 offset:544
	v_fma_f64 v[10:11], v[96:97], v[70:71], v[10:11]
	v_fma_f64 v[70:71], v[94:95], v[70:71], -v[102:103]
	s_waitcnt vmcnt(4) lgkmcnt(1)
	v_mul_f64 v[112:113], v[6:7], v[100:101]
	v_mul_f64 v[100:101], v[8:9], v[100:101]
	v_add_f64 v[76:77], v[110:111], v[76:77]
	v_add_f64 v[2:3], v[2:3], v[104:105]
	s_waitcnt vmcnt(3) lgkmcnt(0)
	v_mul_f64 v[102:103], v[72:73], v[80:81]
	v_mul_f64 v[80:81], v[74:75], v[80:81]
	v_fma_f64 v[104:105], v[8:9], v[98:99], v[112:113]
	v_fma_f64 v[98:99], v[6:7], v[98:99], -v[100:101]
	ds_load_b128 v[6:9], v1 offset:560
	ds_load_b128 v[94:97], v1 offset:576
	v_add_f64 v[10:11], v[76:77], v[10:11]
	v_add_f64 v[2:3], v[2:3], v[70:71]
	v_fma_f64 v[74:75], v[74:75], v[78:79], v[102:103]
	s_waitcnt vmcnt(2) lgkmcnt(1)
	v_mul_f64 v[70:71], v[6:7], v[84:85]
	v_mul_f64 v[76:77], v[8:9], v[84:85]
	v_fma_f64 v[72:73], v[72:73], v[78:79], -v[80:81]
	s_waitcnt vmcnt(1) lgkmcnt(0)
	v_mul_f64 v[78:79], v[94:95], v[88:89]
	v_mul_f64 v[80:81], v[96:97], v[88:89]
	v_add_f64 v[10:11], v[10:11], v[104:105]
	v_add_f64 v[2:3], v[2:3], v[98:99]
	v_fma_f64 v[70:71], v[8:9], v[82:83], v[70:71]
	v_fma_f64 v[76:77], v[6:7], v[82:83], -v[76:77]
	ds_load_b128 v[6:9], v1 offset:592
	v_fma_f64 v[78:79], v[96:97], v[86:87], v[78:79]
	v_fma_f64 v[80:81], v[94:95], v[86:87], -v[80:81]
	v_add_f64 v[10:11], v[10:11], v[74:75]
	v_add_f64 v[2:3], v[2:3], v[72:73]
	s_waitcnt vmcnt(0) lgkmcnt(0)
	v_mul_f64 v[72:73], v[6:7], v[92:93]
	v_mul_f64 v[74:75], v[8:9], v[92:93]
	s_delay_alu instid0(VALU_DEP_4) | instskip(NEXT) | instid1(VALU_DEP_4)
	v_add_f64 v[10:11], v[10:11], v[70:71]
	v_add_f64 v[2:3], v[2:3], v[76:77]
	s_delay_alu instid0(VALU_DEP_4) | instskip(NEXT) | instid1(VALU_DEP_4)
	v_fma_f64 v[8:9], v[8:9], v[90:91], v[72:73]
	v_fma_f64 v[6:7], v[6:7], v[90:91], -v[74:75]
	s_delay_alu instid0(VALU_DEP_4) | instskip(NEXT) | instid1(VALU_DEP_4)
	v_add_f64 v[10:11], v[10:11], v[78:79]
	v_add_f64 v[2:3], v[2:3], v[80:81]
	s_delay_alu instid0(VALU_DEP_2) | instskip(NEXT) | instid1(VALU_DEP_2)
	v_add_f64 v[8:9], v[10:11], v[8:9]
	v_add_f64 v[2:3], v[2:3], v[6:7]
	s_delay_alu instid0(VALU_DEP_2) | instskip(NEXT) | instid1(VALU_DEP_2)
	v_add_f64 v[8:9], v[108:109], -v[8:9]
	v_add_f64 v[6:7], v[106:107], -v[2:3]
	scratch_store_b128 off, v[6:9], off offset:16
	v_cmpx_ne_u32_e32 0, v51
	s_cbranch_execz .LBB82_127
; %bb.126:
	scratch_load_b128 v[6:9], off, off
	v_mov_b32_e32 v2, v1
	v_mov_b32_e32 v3, v1
	v_mov_b32_e32 v4, v1
	scratch_store_b128 off, v[1:4], off
	s_waitcnt vmcnt(0)
	ds_store_b128 v5, v[6:9]
.LBB82_127:
	s_or_b32 exec_lo, exec_lo, s2
	s_waitcnt lgkmcnt(0)
	s_waitcnt_vscnt null, 0x0
	s_barrier
	buffer_gl0_inv
	s_clause 0x8
	scratch_load_b128 v[2:5], off, off offset:16
	scratch_load_b128 v[6:9], off, off offset:32
	;; [unrolled: 1-line block ×9, first 2 shown]
	ds_load_b128 v[98:101], v1 offset:320
	ds_load_b128 v[102:105], v1 offset:336
	s_clause 0x1
	scratch_load_b128 v[106:109], off, off
	scratch_load_b128 v[110:113], off, off offset:160
	s_and_b32 vcc_lo, exec_lo, s14
	s_waitcnt vmcnt(10) lgkmcnt(1)
	v_mul_f64 v[10:11], v[100:101], v[4:5]
	v_mul_f64 v[4:5], v[98:99], v[4:5]
	s_waitcnt vmcnt(9) lgkmcnt(0)
	v_mul_f64 v[114:115], v[102:103], v[8:9]
	v_mul_f64 v[116:117], v[104:105], v[8:9]
	s_delay_alu instid0(VALU_DEP_4) | instskip(NEXT) | instid1(VALU_DEP_4)
	v_fma_f64 v[118:119], v[98:99], v[2:3], -v[10:11]
	v_fma_f64 v[120:121], v[100:101], v[2:3], v[4:5]
	ds_load_b128 v[2:5], v1 offset:352
	ds_load_b128 v[98:101], v1 offset:368
	scratch_load_b128 v[8:11], off, off offset:176
	v_fma_f64 v[114:115], v[104:105], v[6:7], v[114:115]
	v_fma_f64 v[6:7], v[102:103], v[6:7], -v[116:117]
	scratch_load_b128 v[102:105], off, off offset:192
	s_waitcnt vmcnt(10) lgkmcnt(1)
	v_mul_f64 v[122:123], v[2:3], v[72:73]
	v_mul_f64 v[72:73], v[4:5], v[72:73]
	v_add_f64 v[116:117], v[118:119], 0
	v_add_f64 v[118:119], v[120:121], 0
	s_waitcnt vmcnt(9) lgkmcnt(0)
	v_mul_f64 v[120:121], v[98:99], v[76:77]
	v_mul_f64 v[76:77], v[100:101], v[76:77]
	v_fma_f64 v[122:123], v[4:5], v[70:71], v[122:123]
	v_fma_f64 v[124:125], v[2:3], v[70:71], -v[72:73]
	ds_load_b128 v[2:5], v1 offset:384
	scratch_load_b128 v[70:73], off, off offset:208
	v_add_f64 v[6:7], v[116:117], v[6:7]
	v_add_f64 v[118:119], v[118:119], v[114:115]
	ds_load_b128 v[114:117], v1 offset:400
	v_fma_f64 v[100:101], v[100:101], v[74:75], v[120:121]
	v_fma_f64 v[98:99], v[98:99], v[74:75], -v[76:77]
	scratch_load_b128 v[74:77], off, off offset:224
	s_waitcnt vmcnt(10) lgkmcnt(1)
	v_mul_f64 v[126:127], v[2:3], v[80:81]
	v_mul_f64 v[80:81], v[4:5], v[80:81]
	s_waitcnt vmcnt(9) lgkmcnt(0)
	v_mul_f64 v[120:121], v[114:115], v[84:85]
	v_mul_f64 v[84:85], v[116:117], v[84:85]
	v_add_f64 v[6:7], v[6:7], v[124:125]
	v_add_f64 v[118:119], v[118:119], v[122:123]
	v_fma_f64 v[122:123], v[4:5], v[78:79], v[126:127]
	v_fma_f64 v[124:125], v[2:3], v[78:79], -v[80:81]
	ds_load_b128 v[2:5], v1 offset:416
	scratch_load_b128 v[78:81], off, off offset:240
	v_fma_f64 v[116:117], v[116:117], v[82:83], v[120:121]
	v_fma_f64 v[114:115], v[114:115], v[82:83], -v[84:85]
	scratch_load_b128 v[82:85], off, off offset:256
	v_add_f64 v[6:7], v[6:7], v[98:99]
	v_add_f64 v[118:119], v[118:119], v[100:101]
	ds_load_b128 v[98:101], v1 offset:432
	s_waitcnt vmcnt(10) lgkmcnt(1)
	v_mul_f64 v[126:127], v[2:3], v[88:89]
	v_mul_f64 v[88:89], v[4:5], v[88:89]
	s_waitcnt vmcnt(9) lgkmcnt(0)
	v_mul_f64 v[120:121], v[98:99], v[92:93]
	v_mul_f64 v[92:93], v[100:101], v[92:93]
	v_add_f64 v[6:7], v[6:7], v[124:125]
	v_add_f64 v[118:119], v[118:119], v[122:123]
	v_fma_f64 v[122:123], v[4:5], v[86:87], v[126:127]
	v_fma_f64 v[124:125], v[2:3], v[86:87], -v[88:89]
	ds_load_b128 v[2:5], v1 offset:448
	scratch_load_b128 v[86:89], off, off offset:272
	v_fma_f64 v[100:101], v[100:101], v[90:91], v[120:121]
	v_fma_f64 v[98:99], v[98:99], v[90:91], -v[92:93]
	scratch_load_b128 v[90:93], off, off offset:288
	v_add_f64 v[6:7], v[6:7], v[114:115]
	v_add_f64 v[118:119], v[118:119], v[116:117]
	ds_load_b128 v[114:117], v1 offset:464
	s_waitcnt vmcnt(10) lgkmcnt(1)
	v_mul_f64 v[126:127], v[2:3], v[96:97]
	v_mul_f64 v[96:97], v[4:5], v[96:97]
	s_waitcnt vmcnt(8) lgkmcnt(0)
	v_mul_f64 v[120:121], v[114:115], v[112:113]
	v_mul_f64 v[112:113], v[116:117], v[112:113]
	v_add_f64 v[6:7], v[6:7], v[124:125]
	v_add_f64 v[118:119], v[118:119], v[122:123]
	v_fma_f64 v[122:123], v[4:5], v[94:95], v[126:127]
	v_fma_f64 v[124:125], v[2:3], v[94:95], -v[96:97]
	ds_load_b128 v[2:5], v1 offset:480
	ds_load_b128 v[94:97], v1 offset:496
	v_fma_f64 v[116:117], v[116:117], v[110:111], v[120:121]
	v_fma_f64 v[110:111], v[114:115], v[110:111], -v[112:113]
	v_add_f64 v[6:7], v[6:7], v[98:99]
	v_add_f64 v[98:99], v[118:119], v[100:101]
	s_waitcnt vmcnt(7) lgkmcnt(1)
	v_mul_f64 v[100:101], v[2:3], v[10:11]
	v_mul_f64 v[10:11], v[4:5], v[10:11]
	s_waitcnt vmcnt(6) lgkmcnt(0)
	v_mul_f64 v[112:113], v[94:95], v[104:105]
	v_mul_f64 v[104:105], v[96:97], v[104:105]
	v_add_f64 v[6:7], v[6:7], v[124:125]
	v_add_f64 v[98:99], v[98:99], v[122:123]
	v_fma_f64 v[100:101], v[4:5], v[8:9], v[100:101]
	v_fma_f64 v[10:11], v[2:3], v[8:9], -v[10:11]
	v_fma_f64 v[96:97], v[96:97], v[102:103], v[112:113]
	v_fma_f64 v[94:95], v[94:95], v[102:103], -v[104:105]
	v_add_f64 v[110:111], v[6:7], v[110:111]
	v_add_f64 v[98:99], v[98:99], v[116:117]
	ds_load_b128 v[2:5], v1 offset:512
	ds_load_b128 v[6:9], v1 offset:528
	s_waitcnt vmcnt(5) lgkmcnt(1)
	v_mul_f64 v[114:115], v[2:3], v[72:73]
	v_mul_f64 v[72:73], v[4:5], v[72:73]
	v_add_f64 v[10:11], v[110:111], v[10:11]
	v_add_f64 v[98:99], v[98:99], v[100:101]
	s_waitcnt vmcnt(4) lgkmcnt(0)
	v_mul_f64 v[100:101], v[6:7], v[76:77]
	v_mul_f64 v[76:77], v[8:9], v[76:77]
	v_fma_f64 v[102:103], v[4:5], v[70:71], v[114:115]
	v_fma_f64 v[104:105], v[2:3], v[70:71], -v[72:73]
	ds_load_b128 v[2:5], v1 offset:544
	ds_load_b128 v[70:73], v1 offset:560
	v_add_f64 v[10:11], v[10:11], v[94:95]
	v_add_f64 v[94:95], v[98:99], v[96:97]
	v_fma_f64 v[8:9], v[8:9], v[74:75], v[100:101]
	v_fma_f64 v[6:7], v[6:7], v[74:75], -v[76:77]
	s_waitcnt vmcnt(3) lgkmcnt(1)
	v_mul_f64 v[96:97], v[2:3], v[80:81]
	v_mul_f64 v[80:81], v[4:5], v[80:81]
	s_waitcnt vmcnt(2) lgkmcnt(0)
	v_mul_f64 v[76:77], v[70:71], v[84:85]
	v_mul_f64 v[84:85], v[72:73], v[84:85]
	v_add_f64 v[10:11], v[10:11], v[104:105]
	v_add_f64 v[74:75], v[94:95], v[102:103]
	v_fma_f64 v[94:95], v[4:5], v[78:79], v[96:97]
	v_fma_f64 v[78:79], v[2:3], v[78:79], -v[80:81]
	v_fma_f64 v[72:73], v[72:73], v[82:83], v[76:77]
	v_fma_f64 v[70:71], v[70:71], v[82:83], -v[84:85]
	v_add_f64 v[10:11], v[10:11], v[6:7]
	v_add_f64 v[74:75], v[74:75], v[8:9]
	ds_load_b128 v[2:5], v1 offset:576
	ds_load_b128 v[6:9], v1 offset:592
	s_waitcnt vmcnt(1) lgkmcnt(1)
	v_mul_f64 v[80:81], v[2:3], v[88:89]
	v_mul_f64 v[88:89], v[4:5], v[88:89]
	s_waitcnt vmcnt(0) lgkmcnt(0)
	v_mul_f64 v[76:77], v[6:7], v[92:93]
	v_add_f64 v[10:11], v[10:11], v[78:79]
	v_add_f64 v[74:75], v[74:75], v[94:95]
	v_mul_f64 v[78:79], v[8:9], v[92:93]
	v_fma_f64 v[4:5], v[4:5], v[86:87], v[80:81]
	v_fma_f64 v[1:2], v[2:3], v[86:87], -v[88:89]
	v_fma_f64 v[8:9], v[8:9], v[90:91], v[76:77]
	v_add_f64 v[10:11], v[10:11], v[70:71]
	v_add_f64 v[70:71], v[74:75], v[72:73]
	v_fma_f64 v[6:7], v[6:7], v[90:91], -v[78:79]
	s_delay_alu instid0(VALU_DEP_3) | instskip(NEXT) | instid1(VALU_DEP_3)
	v_add_f64 v[1:2], v[10:11], v[1:2]
	v_add_f64 v[3:4], v[70:71], v[4:5]
	s_delay_alu instid0(VALU_DEP_2) | instskip(NEXT) | instid1(VALU_DEP_2)
	v_add_f64 v[1:2], v[1:2], v[6:7]
	v_add_f64 v[3:4], v[3:4], v[8:9]
	s_delay_alu instid0(VALU_DEP_2) | instskip(NEXT) | instid1(VALU_DEP_2)
	v_add_f64 v[1:2], v[106:107], -v[1:2]
	v_add_f64 v[3:4], v[108:109], -v[3:4]
	scratch_store_b128 off, v[1:4], off
	s_cbranch_vccz .LBB82_165
; %bb.128:
	v_dual_mov_b32 v1, s8 :: v_dual_mov_b32 v2, s9
	s_load_b64 s[0:1], s[0:1], 0x4
	flat_load_b32 v1, v[1:2] offset:68
	v_bfe_u32 v2, v0, 10, 10
	v_bfe_u32 v0, v0, 20, 10
	s_waitcnt lgkmcnt(0)
	s_lshr_b32 s0, s0, 16
	s_delay_alu instid0(VALU_DEP_2) | instskip(SKIP_1) | instid1(SALU_CYCLE_1)
	v_mul_u32_u24_e32 v2, s1, v2
	s_mul_i32 s0, s0, s1
	v_mul_u32_u24_e32 v3, s0, v51
	s_mov_b32 s0, exec_lo
	s_delay_alu instid0(VALU_DEP_1) | instskip(NEXT) | instid1(VALU_DEP_1)
	v_add3_u32 v0, v3, v2, v0
	v_lshl_add_u32 v0, v0, 4, 0x268
	s_waitcnt vmcnt(0)
	v_cmpx_ne_u32_e32 18, v1
	s_cbranch_execz .LBB82_130
; %bb.129:
	v_lshl_add_u32 v9, v1, 4, 0
	s_clause 0x1
	scratch_load_b128 v[1:4], v69, off
	scratch_load_b128 v[5:8], v9, off offset:-16
	s_waitcnt vmcnt(1)
	ds_store_2addr_b64 v0, v[1:2], v[3:4] offset1:1
	s_waitcnt vmcnt(0)
	s_clause 0x1
	scratch_store_b128 v69, v[5:8], off
	scratch_store_b128 v9, v[1:4], off offset:-16
.LBB82_130:
	s_or_b32 exec_lo, exec_lo, s0
	v_dual_mov_b32 v1, s8 :: v_dual_mov_b32 v2, s9
	s_mov_b32 s0, exec_lo
	flat_load_b32 v1, v[1:2] offset:64
	s_waitcnt vmcnt(0) lgkmcnt(0)
	v_cmpx_ne_u32_e32 17, v1
	s_cbranch_execz .LBB82_132
; %bb.131:
	v_lshl_add_u32 v9, v1, 4, 0
	s_clause 0x1
	scratch_load_b128 v[1:4], v68, off
	scratch_load_b128 v[5:8], v9, off offset:-16
	s_waitcnt vmcnt(1)
	ds_store_2addr_b64 v0, v[1:2], v[3:4] offset1:1
	s_waitcnt vmcnt(0)
	s_clause 0x1
	scratch_store_b128 v68, v[5:8], off
	scratch_store_b128 v9, v[1:4], off offset:-16
.LBB82_132:
	s_or_b32 exec_lo, exec_lo, s0
	v_dual_mov_b32 v1, s8 :: v_dual_mov_b32 v2, s9
	s_mov_b32 s0, exec_lo
	flat_load_b32 v1, v[1:2] offset:60
	s_waitcnt vmcnt(0) lgkmcnt(0)
	;; [unrolled: 19-line block ×16, first 2 shown]
	v_cmpx_ne_u32_e32 2, v1
	s_cbranch_execz .LBB82_162
; %bb.161:
	v_lshl_add_u32 v9, v1, 4, 0
	s_clause 0x1
	scratch_load_b128 v[1:4], v58, off
	scratch_load_b128 v[5:8], v9, off offset:-16
	s_waitcnt vmcnt(1)
	ds_store_2addr_b64 v0, v[1:2], v[3:4] offset1:1
	s_waitcnt vmcnt(0)
	s_clause 0x1
	scratch_store_b128 v58, v[5:8], off
	scratch_store_b128 v9, v[1:4], off offset:-16
.LBB82_162:
	s_or_b32 exec_lo, exec_lo, s0
	v_dual_mov_b32 v1, s8 :: v_dual_mov_b32 v2, s9
	s_mov_b32 s0, exec_lo
	flat_load_b32 v1, v[1:2]
	s_waitcnt vmcnt(0) lgkmcnt(0)
	v_cmpx_ne_u32_e32 1, v1
	s_cbranch_execz .LBB82_164
; %bb.163:
	v_lshl_add_u32 v9, v1, 4, 0
	scratch_load_b128 v[1:4], off, off
	scratch_load_b128 v[5:8], v9, off offset:-16
	s_waitcnt vmcnt(1)
	ds_store_2addr_b64 v0, v[1:2], v[3:4] offset1:1
	s_waitcnt vmcnt(0)
	scratch_store_b128 off, v[5:8], off
	scratch_store_b128 v9, v[1:4], off offset:-16
.LBB82_164:
	s_or_b32 exec_lo, exec_lo, s0
.LBB82_165:
	scratch_load_b128 v[0:3], off, off
	s_clause 0x11
	scratch_load_b128 v[4:7], v58, off
	scratch_load_b128 v[8:11], v55, off
	scratch_load_b128 v[70:73], v53, off
	scratch_load_b128 v[74:77], v52, off
	scratch_load_b128 v[78:81], v57, off
	scratch_load_b128 v[51:54], v54, off
	scratch_load_b128 v[55:58], v56, off
	scratch_load_b128 v[82:85], v60, off
	scratch_load_b128 v[86:89], v59, off
	scratch_load_b128 v[90:93], v62, off
	scratch_load_b128 v[59:62], v61, off
	scratch_load_b128 v[94:97], v64, off
	scratch_load_b128 v[98:101], v63, off
	scratch_load_b128 v[102:105], v66, off
	scratch_load_b128 v[63:66], v65, off
	scratch_load_b128 v[106:109], v68, off
	scratch_load_b128 v[110:113], v69, off
	scratch_load_b128 v[114:117], v67, off
	s_waitcnt vmcnt(18)
	global_store_b128 v[13:14], v[0:3], off
	s_waitcnt vmcnt(17)
	global_store_b128 v[15:16], v[4:7], off
	;; [unrolled: 2-line block ×19, first 2 shown]
	s_endpgm
	.section	.rodata,"a",@progbits
	.p2align	6, 0x0
	.amdhsa_kernel _ZN9rocsolver6v33100L18getri_kernel_smallILi19E19rocblas_complex_numIdEPKPS3_EEvT1_iilPiilS8_bb
		.amdhsa_group_segment_fixed_size 1640
		.amdhsa_private_segment_fixed_size 320
		.amdhsa_kernarg_size 60
		.amdhsa_user_sgpr_count 15
		.amdhsa_user_sgpr_dispatch_ptr 1
		.amdhsa_user_sgpr_queue_ptr 0
		.amdhsa_user_sgpr_kernarg_segment_ptr 1
		.amdhsa_user_sgpr_dispatch_id 0
		.amdhsa_user_sgpr_private_segment_size 0
		.amdhsa_wavefront_size32 1
		.amdhsa_uses_dynamic_stack 0
		.amdhsa_enable_private_segment 1
		.amdhsa_system_sgpr_workgroup_id_x 1
		.amdhsa_system_sgpr_workgroup_id_y 0
		.amdhsa_system_sgpr_workgroup_id_z 0
		.amdhsa_system_sgpr_workgroup_info 0
		.amdhsa_system_vgpr_workitem_id 2
		.amdhsa_next_free_vgpr 130
		.amdhsa_next_free_sgpr 19
		.amdhsa_reserve_vcc 1
		.amdhsa_float_round_mode_32 0
		.amdhsa_float_round_mode_16_64 0
		.amdhsa_float_denorm_mode_32 3
		.amdhsa_float_denorm_mode_16_64 3
		.amdhsa_dx10_clamp 1
		.amdhsa_ieee_mode 1
		.amdhsa_fp16_overflow 0
		.amdhsa_workgroup_processor_mode 1
		.amdhsa_memory_ordered 1
		.amdhsa_forward_progress 0
		.amdhsa_shared_vgpr_count 0
		.amdhsa_exception_fp_ieee_invalid_op 0
		.amdhsa_exception_fp_denorm_src 0
		.amdhsa_exception_fp_ieee_div_zero 0
		.amdhsa_exception_fp_ieee_overflow 0
		.amdhsa_exception_fp_ieee_underflow 0
		.amdhsa_exception_fp_ieee_inexact 0
		.amdhsa_exception_int_div_zero 0
	.end_amdhsa_kernel
	.section	.text._ZN9rocsolver6v33100L18getri_kernel_smallILi19E19rocblas_complex_numIdEPKPS3_EEvT1_iilPiilS8_bb,"axG",@progbits,_ZN9rocsolver6v33100L18getri_kernel_smallILi19E19rocblas_complex_numIdEPKPS3_EEvT1_iilPiilS8_bb,comdat
.Lfunc_end82:
	.size	_ZN9rocsolver6v33100L18getri_kernel_smallILi19E19rocblas_complex_numIdEPKPS3_EEvT1_iilPiilS8_bb, .Lfunc_end82-_ZN9rocsolver6v33100L18getri_kernel_smallILi19E19rocblas_complex_numIdEPKPS3_EEvT1_iilPiilS8_bb
                                        ; -- End function
	.section	.AMDGPU.csdata,"",@progbits
; Kernel info:
; codeLenInByte = 23768
; NumSgprs: 21
; NumVgprs: 130
; ScratchSize: 320
; MemoryBound: 0
; FloatMode: 240
; IeeeMode: 1
; LDSByteSize: 1640 bytes/workgroup (compile time only)
; SGPRBlocks: 2
; VGPRBlocks: 16
; NumSGPRsForWavesPerEU: 21
; NumVGPRsForWavesPerEU: 130
; Occupancy: 10
; WaveLimiterHint : 1
; COMPUTE_PGM_RSRC2:SCRATCH_EN: 1
; COMPUTE_PGM_RSRC2:USER_SGPR: 15
; COMPUTE_PGM_RSRC2:TRAP_HANDLER: 0
; COMPUTE_PGM_RSRC2:TGID_X_EN: 1
; COMPUTE_PGM_RSRC2:TGID_Y_EN: 0
; COMPUTE_PGM_RSRC2:TGID_Z_EN: 0
; COMPUTE_PGM_RSRC2:TIDIG_COMP_CNT: 2
	.section	.text._ZN9rocsolver6v33100L18getri_kernel_smallILi20E19rocblas_complex_numIdEPKPS3_EEvT1_iilPiilS8_bb,"axG",@progbits,_ZN9rocsolver6v33100L18getri_kernel_smallILi20E19rocblas_complex_numIdEPKPS3_EEvT1_iilPiilS8_bb,comdat
	.globl	_ZN9rocsolver6v33100L18getri_kernel_smallILi20E19rocblas_complex_numIdEPKPS3_EEvT1_iilPiilS8_bb ; -- Begin function _ZN9rocsolver6v33100L18getri_kernel_smallILi20E19rocblas_complex_numIdEPKPS3_EEvT1_iilPiilS8_bb
	.p2align	8
	.type	_ZN9rocsolver6v33100L18getri_kernel_smallILi20E19rocblas_complex_numIdEPKPS3_EEvT1_iilPiilS8_bb,@function
_ZN9rocsolver6v33100L18getri_kernel_smallILi20E19rocblas_complex_numIdEPKPS3_EEvT1_iilPiilS8_bb: ; @_ZN9rocsolver6v33100L18getri_kernel_smallILi20E19rocblas_complex_numIdEPKPS3_EEvT1_iilPiilS8_bb
; %bb.0:
	v_and_b32_e32 v53, 0x3ff, v0
	s_mov_b32 s4, exec_lo
	s_delay_alu instid0(VALU_DEP_1)
	v_cmpx_gt_u32_e32 20, v53
	s_cbranch_execz .LBB83_94
; %bb.1:
	s_mov_b32 s10, s15
	s_clause 0x2
	s_load_b32 s15, s[2:3], 0x38
	s_load_b64 s[8:9], s[2:3], 0x0
	s_load_b128 s[4:7], s[2:3], 0x28
	s_waitcnt lgkmcnt(0)
	s_bitcmp1_b32 s15, 8
	s_cselect_b32 s14, -1, 0
	s_ashr_i32 s11, s10, 31
	s_delay_alu instid0(SALU_CYCLE_1) | instskip(NEXT) | instid1(SALU_CYCLE_1)
	s_lshl_b64 s[12:13], s[10:11], 3
	s_add_u32 s8, s8, s12
	s_addc_u32 s9, s9, s13
	s_load_b64 s[12:13], s[8:9], 0x0
	s_bfe_u32 s8, s15, 0x10008
	s_delay_alu instid0(SALU_CYCLE_1)
	s_cmp_eq_u32 s8, 0
                                        ; implicit-def: $sgpr8_sgpr9
	s_cbranch_scc1 .LBB83_3
; %bb.2:
	s_clause 0x1
	s_load_b32 s8, s[2:3], 0x20
	s_load_b64 s[16:17], s[2:3], 0x18
	s_mul_i32 s5, s10, s5
	s_mul_hi_u32 s9, s10, s4
	s_mul_i32 s18, s11, s4
	s_add_i32 s5, s9, s5
	s_mul_i32 s4, s10, s4
	s_add_i32 s5, s5, s18
	s_delay_alu instid0(SALU_CYCLE_1)
	s_lshl_b64 s[4:5], s[4:5], 2
	s_waitcnt lgkmcnt(0)
	s_ashr_i32 s9, s8, 31
	s_add_u32 s16, s16, s4
	s_addc_u32 s17, s17, s5
	s_lshl_b64 s[4:5], s[8:9], 2
	s_delay_alu instid0(SALU_CYCLE_1)
	s_add_u32 s8, s16, s4
	s_addc_u32 s9, s17, s5
.LBB83_3:
	s_load_b64 s[4:5], s[2:3], 0x8
	v_lshlrev_b32_e32 v73, 4, v53
	s_waitcnt lgkmcnt(0)
	v_add3_u32 v5, s5, s5, v53
	s_ashr_i32 s3, s4, 31
	s_mov_b32 s2, s4
	s_mov_b32 s16, s5
	s_lshl_b64 s[2:3], s[2:3], 4
	v_add_nc_u32_e32 v7, s5, v5
	v_ashrrev_i32_e32 v6, 31, v5
	s_add_u32 s2, s12, s2
	s_addc_u32 s3, s13, s3
	v_add_co_u32 v13, s4, s2, v73
	v_add_nc_u32_e32 v9, s5, v7
	v_ashrrev_i32_e32 v8, 31, v7
	s_ashr_i32 s17, s5, 31
	v_add_co_ci_u32_e64 v14, null, s3, 0, s4
	s_delay_alu instid0(VALU_DEP_3)
	v_add_nc_u32_e32 v21, s5, v9
	v_lshlrev_b64 v[5:6], 4, v[5:6]
	s_lshl_b64 s[12:13], s[16:17], 4
	v_ashrrev_i32_e32 v10, 31, v9
	v_add_co_u32 v15, vcc_lo, v13, s12
	v_add_nc_u32_e32 v23, s5, v21
	v_lshlrev_b64 v[19:20], 4, v[7:8]
	v_ashrrev_i32_e32 v22, 31, v21
	v_add_co_ci_u32_e32 v16, vcc_lo, s13, v14, vcc_lo
	s_delay_alu instid0(VALU_DEP_4) | instskip(SKIP_3) | instid1(VALU_DEP_4)
	v_add_nc_u32_e32 v25, s5, v23
	v_add_co_u32 v17, vcc_lo, s2, v5
	v_lshlrev_b64 v[26:27], 4, v[9:10]
	v_add_co_ci_u32_e32 v18, vcc_lo, s3, v6, vcc_lo
	v_add_nc_u32_e32 v28, s5, v25
	v_add_co_u32 v19, vcc_lo, s2, v19
	v_ashrrev_i32_e32 v24, 31, v23
	v_lshlrev_b64 v[29:30], 4, v[21:22]
	s_delay_alu instid0(VALU_DEP_4) | instskip(SKIP_2) | instid1(VALU_DEP_3)
	v_add_nc_u32_e32 v31, s5, v28
	v_add_co_ci_u32_e32 v20, vcc_lo, s3, v20, vcc_lo
	v_add_co_u32 v21, vcc_lo, s2, v26
	v_add_nc_u32_e32 v33, s5, v31
	v_ashrrev_i32_e32 v26, 31, v25
	v_add_co_ci_u32_e32 v22, vcc_lo, s3, v27, vcc_lo
	v_lshlrev_b64 v[34:35], 4, v[23:24]
	s_delay_alu instid0(VALU_DEP_4) | instskip(SKIP_3) | instid1(VALU_DEP_4)
	v_add_nc_u32_e32 v36, s5, v33
	v_add_co_u32 v23, vcc_lo, s2, v29
	v_ashrrev_i32_e32 v29, 31, v28
	v_lshlrev_b64 v[37:38], 4, v[25:26]
	v_add_nc_u32_e32 v39, s5, v36
	v_ashrrev_i32_e32 v32, 31, v31
	v_add_co_ci_u32_e32 v24, vcc_lo, s3, v30, vcc_lo
	v_add_co_u32 v25, vcc_lo, s2, v34
	s_delay_alu instid0(VALU_DEP_4) | instskip(SKIP_3) | instid1(VALU_DEP_4)
	v_add_nc_u32_e32 v41, s5, v39
	v_lshlrev_b64 v[29:30], 4, v[28:29]
	v_ashrrev_i32_e32 v34, 31, v33
	v_add_co_ci_u32_e32 v26, vcc_lo, s3, v35, vcc_lo
	v_add_nc_u32_e32 v43, s5, v41
	v_add_co_u32 v27, vcc_lo, s2, v37
	v_lshlrev_b64 v[31:32], 4, v[31:32]
	v_ashrrev_i32_e32 v37, 31, v36
	s_delay_alu instid0(VALU_DEP_4) | instskip(SKIP_2) | instid1(VALU_DEP_3)
	v_add_nc_u32_e32 v45, s5, v43
	v_add_co_ci_u32_e32 v28, vcc_lo, s3, v38, vcc_lo
	v_add_co_u32 v29, vcc_lo, s2, v29
	v_add_nc_u32_e32 v47, s5, v45
	v_lshlrev_b64 v[33:34], 4, v[33:34]
	v_ashrrev_i32_e32 v40, 31, v39
	v_add_co_ci_u32_e32 v30, vcc_lo, s3, v30, vcc_lo
	s_delay_alu instid0(VALU_DEP_4) | instskip(SKIP_3) | instid1(VALU_DEP_4)
	v_add_nc_u32_e32 v49, s5, v47
	v_lshlrev_b64 v[35:36], 4, v[36:37]
	v_add_co_u32 v31, vcc_lo, s2, v31
	v_add_co_ci_u32_e32 v32, vcc_lo, s3, v32, vcc_lo
	v_add_nc_u32_e32 v51, s5, v49
	v_add_co_u32 v33, vcc_lo, s2, v33
	v_lshlrev_b64 v[39:40], 4, v[39:40]
	v_add_co_ci_u32_e32 v34, vcc_lo, s3, v34, vcc_lo
	s_delay_alu instid0(VALU_DEP_4) | instskip(SKIP_3) | instid1(VALU_DEP_4)
	v_add_nc_u32_e32 v37, s5, v51
	v_ashrrev_i32_e32 v42, 31, v41
	v_add_co_u32 v35, vcc_lo, s2, v35
	v_add_co_ci_u32_e32 v36, vcc_lo, s3, v36, vcc_lo
	v_ashrrev_i32_e32 v38, 31, v37
	v_ashrrev_i32_e32 v44, 31, v43
	v_ashrrev_i32_e32 v46, 31, v45
	v_ashrrev_i32_e32 v48, 31, v47
	v_ashrrev_i32_e32 v50, 31, v49
	v_lshlrev_b64 v[70:71], 4, v[37:38]
	v_add_co_u32 v37, vcc_lo, s2, v39
	v_add_co_ci_u32_e32 v38, vcc_lo, s3, v40, vcc_lo
	v_lshlrev_b64 v[39:40], 4, v[41:42]
	v_lshlrev_b64 v[41:42], 4, v[43:44]
	;; [unrolled: 1-line block ×4, first 2 shown]
	v_ashrrev_i32_e32 v52, 31, v51
	global_load_b128 v[1:4], v73, s[2:3]
	v_add_co_u32 v39, vcc_lo, s2, v39
	v_add_co_ci_u32_e32 v40, vcc_lo, s3, v40, vcc_lo
	v_add_co_u32 v41, vcc_lo, s2, v41
	s_clause 0x5
	global_load_b128 v[5:8], v[15:16], off
	global_load_b128 v[9:12], v[17:18], off
	;; [unrolled: 1-line block ×6, first 2 shown]
	v_add_co_ci_u32_e32 v42, vcc_lo, s3, v42, vcc_lo
	s_clause 0x1
	global_load_b128 v[74:77], v[27:28], off
	global_load_b128 v[78:81], v[29:30], off
	v_add_co_u32 v43, vcc_lo, s2, v43
	v_lshlrev_b64 v[47:48], 4, v[49:50]
	v_add_co_ci_u32_e32 v44, vcc_lo, s3, v44, vcc_lo
	v_add_co_u32 v45, vcc_lo, s2, v45
	v_lshlrev_b64 v[49:50], 4, v[51:52]
	v_add_co_ci_u32_e32 v46, vcc_lo, s3, v46, vcc_lo
	v_add_co_u32 v47, vcc_lo, s2, v47
	v_add_co_ci_u32_e32 v48, vcc_lo, s3, v48, vcc_lo
	s_delay_alu instid0(VALU_DEP_4)
	v_add_co_u32 v49, vcc_lo, s2, v49
	v_add_co_ci_u32_e32 v50, vcc_lo, s3, v50, vcc_lo
	v_add_co_u32 v51, vcc_lo, s2, v70
	v_add_co_ci_u32_e32 v52, vcc_lo, s3, v71, vcc_lo
	s_clause 0xa
	global_load_b128 v[82:85], v[31:32], off
	global_load_b128 v[86:89], v[33:34], off
	;; [unrolled: 1-line block ×11, first 2 shown]
	s_movk_i32 s2, 0x50
	s_movk_i32 s3, 0x60
	s_bitcmp0_b32 s15, 0
	s_waitcnt vmcnt(19)
	scratch_store_b128 off, v[1:4], off
	s_waitcnt vmcnt(18)
	scratch_store_b128 off, v[5:8], off offset:16
	s_waitcnt vmcnt(17)
	scratch_store_b128 off, v[9:12], off offset:32
	;; [unrolled: 2-line block ×7, first 2 shown]
	v_add_nc_u32_e64 v56, s2, 0
	s_movk_i32 s2, 0x70
	v_add_nc_u32_e64 v54, s3, 0
	s_movk_i32 s3, 0x80
	;; [unrolled: 2-line block ×5, first 2 shown]
	v_add_nc_u32_e64 v64, s3, 0
	v_add_nc_u32_e64 v63, s2, 0
	s_movk_i32 s2, 0xc0
	s_movk_i32 s3, 0xd0
	v_add_nc_u32_e64 v66, s2, 0
	v_add_nc_u32_e64 v65, s3, 0
	s_movk_i32 s2, 0xe0
	s_movk_i32 s3, 0xf0
	;; [unrolled: 4-line block ×4, first 2 shown]
	v_add_nc_u32_e64 v60, 0, 16
	v_add_nc_u32_e64 v58, 0, 32
	;; [unrolled: 1-line block ×6, first 2 shown]
	s_mov_b32 s3, -1
	s_waitcnt vmcnt(11)
	scratch_store_b128 off, v[78:81], off offset:128
	s_waitcnt vmcnt(10)
	scratch_store_b128 off, v[82:85], off offset:144
	;; [unrolled: 2-line block ×12, first 2 shown]
	s_cbranch_scc1 .LBB83_92
; %bb.4:
	v_cmp_eq_u32_e64 s2, 0, v53
	s_delay_alu instid0(VALU_DEP_1)
	s_and_saveexec_b32 s3, s2
	s_cbranch_execz .LBB83_6
; %bb.5:
	v_mov_b32_e32 v1, 0
	ds_store_b32 v1, v1 offset:640
.LBB83_6:
	s_or_b32 exec_lo, exec_lo, s3
	s_waitcnt lgkmcnt(0)
	s_waitcnt_vscnt null, 0x0
	s_barrier
	buffer_gl0_inv
	scratch_load_b128 v[1:4], v73, off
	s_waitcnt vmcnt(0)
	v_cmp_eq_f64_e32 vcc_lo, 0, v[1:2]
	v_cmp_eq_f64_e64 s3, 0, v[3:4]
	s_delay_alu instid0(VALU_DEP_1) | instskip(NEXT) | instid1(SALU_CYCLE_1)
	s_and_b32 s3, vcc_lo, s3
	s_and_saveexec_b32 s4, s3
	s_cbranch_execz .LBB83_10
; %bb.7:
	v_mov_b32_e32 v1, 0
	s_mov_b32 s5, 0
	ds_load_b32 v2, v1 offset:640
	s_waitcnt lgkmcnt(0)
	v_readfirstlane_b32 s3, v2
	v_add_nc_u32_e32 v2, 1, v53
	s_delay_alu instid0(VALU_DEP_2) | instskip(NEXT) | instid1(VALU_DEP_1)
	s_cmp_eq_u32 s3, 0
	v_cmp_gt_i32_e32 vcc_lo, s3, v2
	s_cselect_b32 s12, -1, 0
	s_delay_alu instid0(SALU_CYCLE_1) | instskip(NEXT) | instid1(SALU_CYCLE_1)
	s_or_b32 s12, s12, vcc_lo
	s_and_b32 exec_lo, exec_lo, s12
	s_cbranch_execz .LBB83_10
; %bb.8:
	v_mov_b32_e32 v3, s3
.LBB83_9:                               ; =>This Inner Loop Header: Depth=1
	ds_cmpstore_rtn_b32 v3, v1, v2, v3 offset:640
	s_waitcnt lgkmcnt(0)
	v_cmp_ne_u32_e32 vcc_lo, 0, v3
	v_cmp_le_i32_e64 s3, v3, v2
	s_delay_alu instid0(VALU_DEP_1) | instskip(NEXT) | instid1(SALU_CYCLE_1)
	s_and_b32 s3, vcc_lo, s3
	s_and_b32 s3, exec_lo, s3
	s_delay_alu instid0(SALU_CYCLE_1) | instskip(NEXT) | instid1(SALU_CYCLE_1)
	s_or_b32 s5, s3, s5
	s_and_not1_b32 exec_lo, exec_lo, s5
	s_cbranch_execnz .LBB83_9
.LBB83_10:
	s_or_b32 exec_lo, exec_lo, s4
	v_mov_b32_e32 v1, 0
	s_barrier
	buffer_gl0_inv
	ds_load_b32 v2, v1 offset:640
	s_and_saveexec_b32 s3, s2
	s_cbranch_execz .LBB83_12
; %bb.11:
	s_lshl_b64 s[4:5], s[10:11], 2
	s_delay_alu instid0(SALU_CYCLE_1)
	s_add_u32 s4, s6, s4
	s_addc_u32 s5, s7, s5
	s_waitcnt lgkmcnt(0)
	global_store_b32 v1, v2, s[4:5]
.LBB83_12:
	s_or_b32 exec_lo, exec_lo, s3
	s_waitcnt lgkmcnt(0)
	v_cmp_ne_u32_e32 vcc_lo, 0, v2
	s_mov_b32 s3, 0
	s_cbranch_vccnz .LBB83_92
; %bb.13:
	v_add_nc_u32_e32 v74, 0, v73
                                        ; implicit-def: $vgpr9_vgpr10
	scratch_load_b128 v[1:4], v74, off
	s_waitcnt vmcnt(0)
	v_mov_b32_e32 v5, v1
	v_cmp_gt_f64_e32 vcc_lo, 0, v[1:2]
	v_xor_b32_e32 v6, 0x80000000, v2
	v_xor_b32_e32 v7, 0x80000000, v4
	s_delay_alu instid0(VALU_DEP_2) | instskip(SKIP_1) | instid1(VALU_DEP_3)
	v_cndmask_b32_e32 v6, v2, v6, vcc_lo
	v_cmp_gt_f64_e32 vcc_lo, 0, v[3:4]
	v_dual_cndmask_b32 v8, v4, v7 :: v_dual_mov_b32 v7, v3
	s_delay_alu instid0(VALU_DEP_1) | instskip(SKIP_1) | instid1(SALU_CYCLE_1)
	v_cmp_ngt_f64_e32 vcc_lo, v[5:6], v[7:8]
                                        ; implicit-def: $vgpr5_vgpr6
	s_and_saveexec_b32 s3, vcc_lo
	s_xor_b32 s3, exec_lo, s3
	s_cbranch_execz .LBB83_15
; %bb.14:
	v_div_scale_f64 v[5:6], null, v[3:4], v[3:4], v[1:2]
	v_div_scale_f64 v[11:12], vcc_lo, v[1:2], v[3:4], v[1:2]
	s_delay_alu instid0(VALU_DEP_2) | instskip(SKIP_2) | instid1(VALU_DEP_1)
	v_rcp_f64_e32 v[7:8], v[5:6]
	s_waitcnt_depctr 0xfff
	v_fma_f64 v[9:10], -v[5:6], v[7:8], 1.0
	v_fma_f64 v[7:8], v[7:8], v[9:10], v[7:8]
	s_delay_alu instid0(VALU_DEP_1) | instskip(NEXT) | instid1(VALU_DEP_1)
	v_fma_f64 v[9:10], -v[5:6], v[7:8], 1.0
	v_fma_f64 v[7:8], v[7:8], v[9:10], v[7:8]
	s_delay_alu instid0(VALU_DEP_1) | instskip(NEXT) | instid1(VALU_DEP_1)
	v_mul_f64 v[9:10], v[11:12], v[7:8]
	v_fma_f64 v[5:6], -v[5:6], v[9:10], v[11:12]
	s_delay_alu instid0(VALU_DEP_1) | instskip(NEXT) | instid1(VALU_DEP_1)
	v_div_fmas_f64 v[5:6], v[5:6], v[7:8], v[9:10]
	v_div_fixup_f64 v[5:6], v[5:6], v[3:4], v[1:2]
	s_delay_alu instid0(VALU_DEP_1) | instskip(NEXT) | instid1(VALU_DEP_1)
	v_fma_f64 v[1:2], v[1:2], v[5:6], v[3:4]
	v_div_scale_f64 v[3:4], null, v[1:2], v[1:2], 1.0
	v_div_scale_f64 v[11:12], vcc_lo, 1.0, v[1:2], 1.0
	s_delay_alu instid0(VALU_DEP_2) | instskip(SKIP_2) | instid1(VALU_DEP_1)
	v_rcp_f64_e32 v[7:8], v[3:4]
	s_waitcnt_depctr 0xfff
	v_fma_f64 v[9:10], -v[3:4], v[7:8], 1.0
	v_fma_f64 v[7:8], v[7:8], v[9:10], v[7:8]
	s_delay_alu instid0(VALU_DEP_1) | instskip(NEXT) | instid1(VALU_DEP_1)
	v_fma_f64 v[9:10], -v[3:4], v[7:8], 1.0
	v_fma_f64 v[7:8], v[7:8], v[9:10], v[7:8]
	s_delay_alu instid0(VALU_DEP_1) | instskip(NEXT) | instid1(VALU_DEP_1)
	v_mul_f64 v[9:10], v[11:12], v[7:8]
	v_fma_f64 v[3:4], -v[3:4], v[9:10], v[11:12]
	s_delay_alu instid0(VALU_DEP_1) | instskip(NEXT) | instid1(VALU_DEP_1)
	v_div_fmas_f64 v[3:4], v[3:4], v[7:8], v[9:10]
	v_div_fixup_f64 v[7:8], v[3:4], v[1:2], 1.0
                                        ; implicit-def: $vgpr1_vgpr2
	s_delay_alu instid0(VALU_DEP_1) | instskip(SKIP_1) | instid1(VALU_DEP_2)
	v_mul_f64 v[5:6], v[5:6], v[7:8]
	v_xor_b32_e32 v8, 0x80000000, v8
	v_xor_b32_e32 v10, 0x80000000, v6
	s_delay_alu instid0(VALU_DEP_3)
	v_mov_b32_e32 v9, v5
.LBB83_15:
	s_and_not1_saveexec_b32 s3, s3
	s_cbranch_execz .LBB83_17
; %bb.16:
	v_div_scale_f64 v[5:6], null, v[1:2], v[1:2], v[3:4]
	v_div_scale_f64 v[11:12], vcc_lo, v[3:4], v[1:2], v[3:4]
	s_delay_alu instid0(VALU_DEP_2) | instskip(SKIP_2) | instid1(VALU_DEP_1)
	v_rcp_f64_e32 v[7:8], v[5:6]
	s_waitcnt_depctr 0xfff
	v_fma_f64 v[9:10], -v[5:6], v[7:8], 1.0
	v_fma_f64 v[7:8], v[7:8], v[9:10], v[7:8]
	s_delay_alu instid0(VALU_DEP_1) | instskip(NEXT) | instid1(VALU_DEP_1)
	v_fma_f64 v[9:10], -v[5:6], v[7:8], 1.0
	v_fma_f64 v[7:8], v[7:8], v[9:10], v[7:8]
	s_delay_alu instid0(VALU_DEP_1) | instskip(NEXT) | instid1(VALU_DEP_1)
	v_mul_f64 v[9:10], v[11:12], v[7:8]
	v_fma_f64 v[5:6], -v[5:6], v[9:10], v[11:12]
	s_delay_alu instid0(VALU_DEP_1) | instskip(NEXT) | instid1(VALU_DEP_1)
	v_div_fmas_f64 v[5:6], v[5:6], v[7:8], v[9:10]
	v_div_fixup_f64 v[7:8], v[5:6], v[1:2], v[3:4]
	s_delay_alu instid0(VALU_DEP_1) | instskip(NEXT) | instid1(VALU_DEP_1)
	v_fma_f64 v[1:2], v[3:4], v[7:8], v[1:2]
	v_div_scale_f64 v[3:4], null, v[1:2], v[1:2], 1.0
	s_delay_alu instid0(VALU_DEP_1) | instskip(SKIP_2) | instid1(VALU_DEP_1)
	v_rcp_f64_e32 v[5:6], v[3:4]
	s_waitcnt_depctr 0xfff
	v_fma_f64 v[9:10], -v[3:4], v[5:6], 1.0
	v_fma_f64 v[5:6], v[5:6], v[9:10], v[5:6]
	s_delay_alu instid0(VALU_DEP_1) | instskip(NEXT) | instid1(VALU_DEP_1)
	v_fma_f64 v[9:10], -v[3:4], v[5:6], 1.0
	v_fma_f64 v[5:6], v[5:6], v[9:10], v[5:6]
	v_div_scale_f64 v[9:10], vcc_lo, 1.0, v[1:2], 1.0
	s_delay_alu instid0(VALU_DEP_1) | instskip(NEXT) | instid1(VALU_DEP_1)
	v_mul_f64 v[11:12], v[9:10], v[5:6]
	v_fma_f64 v[3:4], -v[3:4], v[11:12], v[9:10]
	s_delay_alu instid0(VALU_DEP_1) | instskip(NEXT) | instid1(VALU_DEP_1)
	v_div_fmas_f64 v[3:4], v[3:4], v[5:6], v[11:12]
	v_div_fixup_f64 v[5:6], v[3:4], v[1:2], 1.0
	s_delay_alu instid0(VALU_DEP_1)
	v_mul_f64 v[7:8], v[7:8], -v[5:6]
	v_xor_b32_e32 v10, 0x80000000, v6
	v_mov_b32_e32 v9, v5
.LBB83_17:
	s_or_b32 exec_lo, exec_lo, s3
	scratch_store_b128 v74, v[5:8], off
	scratch_load_b128 v[1:4], v60, off
	v_xor_b32_e32 v12, 0x80000000, v8
	v_mov_b32_e32 v11, v7
	v_add_nc_u32_e32 v5, 0x140, v73
	ds_store_b128 v73, v[9:12]
	s_waitcnt vmcnt(0)
	ds_store_b128 v73, v[1:4] offset:320
	s_waitcnt lgkmcnt(0)
	s_waitcnt_vscnt null, 0x0
	s_barrier
	buffer_gl0_inv
	s_and_saveexec_b32 s3, s2
	s_cbranch_execz .LBB83_19
; %bb.18:
	scratch_load_b128 v[1:4], v74, off
	ds_load_b128 v[6:9], v5
	v_mov_b32_e32 v10, 0
	ds_load_b128 v[75:78], v10 offset:16
	s_waitcnt vmcnt(0) lgkmcnt(1)
	v_mul_f64 v[10:11], v[6:7], v[3:4]
	v_mul_f64 v[3:4], v[8:9], v[3:4]
	s_delay_alu instid0(VALU_DEP_2) | instskip(NEXT) | instid1(VALU_DEP_2)
	v_fma_f64 v[8:9], v[8:9], v[1:2], v[10:11]
	v_fma_f64 v[1:2], v[6:7], v[1:2], -v[3:4]
	s_delay_alu instid0(VALU_DEP_2) | instskip(NEXT) | instid1(VALU_DEP_2)
	v_add_f64 v[3:4], v[8:9], 0
	v_add_f64 v[1:2], v[1:2], 0
	s_waitcnt lgkmcnt(0)
	s_delay_alu instid0(VALU_DEP_2) | instskip(NEXT) | instid1(VALU_DEP_2)
	v_mul_f64 v[6:7], v[3:4], v[77:78]
	v_mul_f64 v[8:9], v[1:2], v[77:78]
	s_delay_alu instid0(VALU_DEP_2) | instskip(NEXT) | instid1(VALU_DEP_2)
	v_fma_f64 v[1:2], v[1:2], v[75:76], -v[6:7]
	v_fma_f64 v[3:4], v[3:4], v[75:76], v[8:9]
	scratch_store_b128 off, v[1:4], off offset:16
.LBB83_19:
	s_or_b32 exec_lo, exec_lo, s3
	s_waitcnt_vscnt null, 0x0
	s_barrier
	buffer_gl0_inv
	scratch_load_b128 v[1:4], v58, off
	s_mov_b32 s3, exec_lo
	s_waitcnt vmcnt(0)
	ds_store_b128 v5, v[1:4]
	s_waitcnt lgkmcnt(0)
	s_barrier
	buffer_gl0_inv
	v_cmpx_gt_u32_e32 2, v53
	s_cbranch_execz .LBB83_23
; %bb.20:
	scratch_load_b128 v[1:4], v74, off
	ds_load_b128 v[6:9], v5
	s_waitcnt vmcnt(0) lgkmcnt(0)
	v_mul_f64 v[10:11], v[8:9], v[3:4]
	v_mul_f64 v[3:4], v[6:7], v[3:4]
	s_delay_alu instid0(VALU_DEP_2) | instskip(NEXT) | instid1(VALU_DEP_2)
	v_fma_f64 v[6:7], v[6:7], v[1:2], -v[10:11]
	v_fma_f64 v[3:4], v[8:9], v[1:2], v[3:4]
	s_delay_alu instid0(VALU_DEP_2) | instskip(NEXT) | instid1(VALU_DEP_2)
	v_add_f64 v[1:2], v[6:7], 0
	v_add_f64 v[3:4], v[3:4], 0
	s_and_saveexec_b32 s4, s2
	s_cbranch_execz .LBB83_22
; %bb.21:
	scratch_load_b128 v[6:9], off, off offset:16
	v_mov_b32_e32 v10, 0
	ds_load_b128 v[75:78], v10 offset:336
	s_waitcnt vmcnt(0) lgkmcnt(0)
	v_mul_f64 v[10:11], v[75:76], v[8:9]
	v_mul_f64 v[8:9], v[77:78], v[8:9]
	s_delay_alu instid0(VALU_DEP_2) | instskip(NEXT) | instid1(VALU_DEP_2)
	v_fma_f64 v[10:11], v[77:78], v[6:7], v[10:11]
	v_fma_f64 v[6:7], v[75:76], v[6:7], -v[8:9]
	s_delay_alu instid0(VALU_DEP_2) | instskip(NEXT) | instid1(VALU_DEP_2)
	v_add_f64 v[3:4], v[3:4], v[10:11]
	v_add_f64 v[1:2], v[1:2], v[6:7]
.LBB83_22:
	s_or_b32 exec_lo, exec_lo, s4
	v_mov_b32_e32 v6, 0
	ds_load_b128 v[6:9], v6 offset:32
	s_waitcnt lgkmcnt(0)
	v_mul_f64 v[10:11], v[3:4], v[8:9]
	v_mul_f64 v[8:9], v[1:2], v[8:9]
	s_delay_alu instid0(VALU_DEP_2) | instskip(NEXT) | instid1(VALU_DEP_2)
	v_fma_f64 v[1:2], v[1:2], v[6:7], -v[10:11]
	v_fma_f64 v[3:4], v[3:4], v[6:7], v[8:9]
	scratch_store_b128 off, v[1:4], off offset:32
.LBB83_23:
	s_or_b32 exec_lo, exec_lo, s3
	s_waitcnt_vscnt null, 0x0
	s_barrier
	buffer_gl0_inv
	scratch_load_b128 v[1:4], v57, off
	v_add_nc_u32_e32 v6, -1, v53
	s_mov_b32 s2, exec_lo
	s_waitcnt vmcnt(0)
	ds_store_b128 v5, v[1:4]
	s_waitcnt lgkmcnt(0)
	s_barrier
	buffer_gl0_inv
	v_cmpx_gt_u32_e32 3, v53
	s_cbranch_execz .LBB83_27
; %bb.24:
	v_dual_mov_b32 v1, 0 :: v_dual_add_nc_u32 v8, 0x140, v73
	v_dual_mov_b32 v2, 0 :: v_dual_add_nc_u32 v7, -1, v53
	v_or_b32_e32 v9, 8, v74
	s_mov_b32 s3, 0
	s_delay_alu instid0(VALU_DEP_2)
	v_dual_mov_b32 v4, v2 :: v_dual_mov_b32 v3, v1
	.p2align	6
.LBB83_25:                              ; =>This Inner Loop Header: Depth=1
	scratch_load_b128 v[75:78], v9, off offset:-8
	ds_load_b128 v[79:82], v8
	v_add_nc_u32_e32 v7, 1, v7
	v_add_nc_u32_e32 v8, 16, v8
	;; [unrolled: 1-line block ×3, first 2 shown]
	s_delay_alu instid0(VALU_DEP_3) | instskip(SKIP_4) | instid1(VALU_DEP_2)
	v_cmp_lt_u32_e32 vcc_lo, 1, v7
	s_or_b32 s3, vcc_lo, s3
	s_waitcnt vmcnt(0) lgkmcnt(0)
	v_mul_f64 v[10:11], v[81:82], v[77:78]
	v_mul_f64 v[77:78], v[79:80], v[77:78]
	v_fma_f64 v[10:11], v[79:80], v[75:76], -v[10:11]
	s_delay_alu instid0(VALU_DEP_2) | instskip(NEXT) | instid1(VALU_DEP_2)
	v_fma_f64 v[75:76], v[81:82], v[75:76], v[77:78]
	v_add_f64 v[3:4], v[3:4], v[10:11]
	s_delay_alu instid0(VALU_DEP_2)
	v_add_f64 v[1:2], v[1:2], v[75:76]
	s_and_not1_b32 exec_lo, exec_lo, s3
	s_cbranch_execnz .LBB83_25
; %bb.26:
	s_or_b32 exec_lo, exec_lo, s3
	v_mov_b32_e32 v7, 0
	ds_load_b128 v[7:10], v7 offset:48
	s_waitcnt lgkmcnt(0)
	v_mul_f64 v[11:12], v[1:2], v[9:10]
	v_mul_f64 v[75:76], v[3:4], v[9:10]
	s_delay_alu instid0(VALU_DEP_2) | instskip(NEXT) | instid1(VALU_DEP_2)
	v_fma_f64 v[9:10], v[3:4], v[7:8], -v[11:12]
	v_fma_f64 v[11:12], v[1:2], v[7:8], v[75:76]
	scratch_store_b128 off, v[9:12], off offset:48
.LBB83_27:
	s_or_b32 exec_lo, exec_lo, s2
	s_waitcnt_vscnt null, 0x0
	s_barrier
	buffer_gl0_inv
	scratch_load_b128 v[1:4], v55, off
	s_mov_b32 s2, exec_lo
	s_waitcnt vmcnt(0)
	ds_store_b128 v5, v[1:4]
	s_waitcnt lgkmcnt(0)
	s_barrier
	buffer_gl0_inv
	v_cmpx_gt_u32_e32 4, v53
	s_cbranch_execz .LBB83_31
; %bb.28:
	v_dual_mov_b32 v1, 0 :: v_dual_add_nc_u32 v8, 0x140, v73
	v_dual_mov_b32 v2, 0 :: v_dual_add_nc_u32 v7, -1, v53
	v_or_b32_e32 v9, 8, v74
	s_mov_b32 s3, 0
	s_delay_alu instid0(VALU_DEP_2)
	v_dual_mov_b32 v4, v2 :: v_dual_mov_b32 v3, v1
	.p2align	6
.LBB83_29:                              ; =>This Inner Loop Header: Depth=1
	scratch_load_b128 v[75:78], v9, off offset:-8
	ds_load_b128 v[79:82], v8
	v_add_nc_u32_e32 v7, 1, v7
	v_add_nc_u32_e32 v8, 16, v8
	;; [unrolled: 1-line block ×3, first 2 shown]
	s_delay_alu instid0(VALU_DEP_3) | instskip(SKIP_4) | instid1(VALU_DEP_2)
	v_cmp_lt_u32_e32 vcc_lo, 2, v7
	s_or_b32 s3, vcc_lo, s3
	s_waitcnt vmcnt(0) lgkmcnt(0)
	v_mul_f64 v[10:11], v[81:82], v[77:78]
	v_mul_f64 v[77:78], v[79:80], v[77:78]
	v_fma_f64 v[10:11], v[79:80], v[75:76], -v[10:11]
	s_delay_alu instid0(VALU_DEP_2) | instskip(NEXT) | instid1(VALU_DEP_2)
	v_fma_f64 v[75:76], v[81:82], v[75:76], v[77:78]
	v_add_f64 v[3:4], v[3:4], v[10:11]
	s_delay_alu instid0(VALU_DEP_2)
	v_add_f64 v[1:2], v[1:2], v[75:76]
	s_and_not1_b32 exec_lo, exec_lo, s3
	s_cbranch_execnz .LBB83_29
; %bb.30:
	s_or_b32 exec_lo, exec_lo, s3
	v_mov_b32_e32 v7, 0
	ds_load_b128 v[7:10], v7 offset:64
	s_waitcnt lgkmcnt(0)
	v_mul_f64 v[11:12], v[1:2], v[9:10]
	v_mul_f64 v[75:76], v[3:4], v[9:10]
	s_delay_alu instid0(VALU_DEP_2) | instskip(NEXT) | instid1(VALU_DEP_2)
	v_fma_f64 v[9:10], v[3:4], v[7:8], -v[11:12]
	v_fma_f64 v[11:12], v[1:2], v[7:8], v[75:76]
	scratch_store_b128 off, v[9:12], off offset:64
.LBB83_31:
	s_or_b32 exec_lo, exec_lo, s2
	s_waitcnt_vscnt null, 0x0
	s_barrier
	buffer_gl0_inv
	scratch_load_b128 v[1:4], v56, off
	s_mov_b32 s2, exec_lo
	s_waitcnt vmcnt(0)
	ds_store_b128 v5, v[1:4]
	s_waitcnt lgkmcnt(0)
	s_barrier
	buffer_gl0_inv
	v_cmpx_gt_u32_e32 5, v53
	s_cbranch_execz .LBB83_35
; %bb.32:
	v_dual_mov_b32 v1, 0 :: v_dual_add_nc_u32 v8, 0x140, v73
	v_dual_mov_b32 v2, 0 :: v_dual_add_nc_u32 v7, -1, v53
	v_or_b32_e32 v9, 8, v74
	s_mov_b32 s3, 0
	s_delay_alu instid0(VALU_DEP_2)
	v_dual_mov_b32 v4, v2 :: v_dual_mov_b32 v3, v1
	.p2align	6
.LBB83_33:                              ; =>This Inner Loop Header: Depth=1
	scratch_load_b128 v[75:78], v9, off offset:-8
	ds_load_b128 v[79:82], v8
	v_add_nc_u32_e32 v7, 1, v7
	v_add_nc_u32_e32 v8, 16, v8
	;; [unrolled: 1-line block ×3, first 2 shown]
	s_delay_alu instid0(VALU_DEP_3) | instskip(SKIP_4) | instid1(VALU_DEP_2)
	v_cmp_lt_u32_e32 vcc_lo, 3, v7
	s_or_b32 s3, vcc_lo, s3
	s_waitcnt vmcnt(0) lgkmcnt(0)
	v_mul_f64 v[10:11], v[81:82], v[77:78]
	v_mul_f64 v[77:78], v[79:80], v[77:78]
	v_fma_f64 v[10:11], v[79:80], v[75:76], -v[10:11]
	s_delay_alu instid0(VALU_DEP_2) | instskip(NEXT) | instid1(VALU_DEP_2)
	v_fma_f64 v[75:76], v[81:82], v[75:76], v[77:78]
	v_add_f64 v[3:4], v[3:4], v[10:11]
	s_delay_alu instid0(VALU_DEP_2)
	v_add_f64 v[1:2], v[1:2], v[75:76]
	s_and_not1_b32 exec_lo, exec_lo, s3
	s_cbranch_execnz .LBB83_33
; %bb.34:
	s_or_b32 exec_lo, exec_lo, s3
	v_mov_b32_e32 v7, 0
	ds_load_b128 v[7:10], v7 offset:80
	s_waitcnt lgkmcnt(0)
	v_mul_f64 v[11:12], v[1:2], v[9:10]
	v_mul_f64 v[75:76], v[3:4], v[9:10]
	s_delay_alu instid0(VALU_DEP_2) | instskip(NEXT) | instid1(VALU_DEP_2)
	v_fma_f64 v[9:10], v[3:4], v[7:8], -v[11:12]
	v_fma_f64 v[11:12], v[1:2], v[7:8], v[75:76]
	scratch_store_b128 off, v[9:12], off offset:80
.LBB83_35:
	s_or_b32 exec_lo, exec_lo, s2
	s_waitcnt_vscnt null, 0x0
	s_barrier
	buffer_gl0_inv
	scratch_load_b128 v[1:4], v54, off
	s_mov_b32 s2, exec_lo
	s_waitcnt vmcnt(0)
	ds_store_b128 v5, v[1:4]
	s_waitcnt lgkmcnt(0)
	s_barrier
	buffer_gl0_inv
	v_cmpx_gt_u32_e32 6, v53
	s_cbranch_execz .LBB83_39
; %bb.36:
	v_dual_mov_b32 v1, 0 :: v_dual_add_nc_u32 v8, 0x140, v73
	v_dual_mov_b32 v2, 0 :: v_dual_add_nc_u32 v7, -1, v53
	v_or_b32_e32 v9, 8, v74
	s_mov_b32 s3, 0
	s_delay_alu instid0(VALU_DEP_2)
	v_dual_mov_b32 v4, v2 :: v_dual_mov_b32 v3, v1
	.p2align	6
.LBB83_37:                              ; =>This Inner Loop Header: Depth=1
	scratch_load_b128 v[75:78], v9, off offset:-8
	ds_load_b128 v[79:82], v8
	v_add_nc_u32_e32 v7, 1, v7
	v_add_nc_u32_e32 v8, 16, v8
	;; [unrolled: 1-line block ×3, first 2 shown]
	s_delay_alu instid0(VALU_DEP_3) | instskip(SKIP_4) | instid1(VALU_DEP_2)
	v_cmp_lt_u32_e32 vcc_lo, 4, v7
	s_or_b32 s3, vcc_lo, s3
	s_waitcnt vmcnt(0) lgkmcnt(0)
	v_mul_f64 v[10:11], v[81:82], v[77:78]
	v_mul_f64 v[77:78], v[79:80], v[77:78]
	v_fma_f64 v[10:11], v[79:80], v[75:76], -v[10:11]
	s_delay_alu instid0(VALU_DEP_2) | instskip(NEXT) | instid1(VALU_DEP_2)
	v_fma_f64 v[75:76], v[81:82], v[75:76], v[77:78]
	v_add_f64 v[3:4], v[3:4], v[10:11]
	s_delay_alu instid0(VALU_DEP_2)
	v_add_f64 v[1:2], v[1:2], v[75:76]
	s_and_not1_b32 exec_lo, exec_lo, s3
	s_cbranch_execnz .LBB83_37
; %bb.38:
	s_or_b32 exec_lo, exec_lo, s3
	v_mov_b32_e32 v7, 0
	ds_load_b128 v[7:10], v7 offset:96
	s_waitcnt lgkmcnt(0)
	v_mul_f64 v[11:12], v[1:2], v[9:10]
	v_mul_f64 v[75:76], v[3:4], v[9:10]
	s_delay_alu instid0(VALU_DEP_2) | instskip(NEXT) | instid1(VALU_DEP_2)
	v_fma_f64 v[9:10], v[3:4], v[7:8], -v[11:12]
	v_fma_f64 v[11:12], v[1:2], v[7:8], v[75:76]
	scratch_store_b128 off, v[9:12], off offset:96
.LBB83_39:
	s_or_b32 exec_lo, exec_lo, s2
	s_waitcnt_vscnt null, 0x0
	s_barrier
	buffer_gl0_inv
	scratch_load_b128 v[1:4], v62, off
	s_mov_b32 s2, exec_lo
	s_waitcnt vmcnt(0)
	ds_store_b128 v5, v[1:4]
	s_waitcnt lgkmcnt(0)
	s_barrier
	buffer_gl0_inv
	v_cmpx_gt_u32_e32 7, v53
	s_cbranch_execz .LBB83_43
; %bb.40:
	v_dual_mov_b32 v1, 0 :: v_dual_add_nc_u32 v8, 0x140, v73
	v_dual_mov_b32 v2, 0 :: v_dual_add_nc_u32 v7, -1, v53
	v_or_b32_e32 v9, 8, v74
	s_mov_b32 s3, 0
	s_delay_alu instid0(VALU_DEP_2)
	v_dual_mov_b32 v4, v2 :: v_dual_mov_b32 v3, v1
	.p2align	6
.LBB83_41:                              ; =>This Inner Loop Header: Depth=1
	scratch_load_b128 v[75:78], v9, off offset:-8
	ds_load_b128 v[79:82], v8
	v_add_nc_u32_e32 v7, 1, v7
	v_add_nc_u32_e32 v8, 16, v8
	;; [unrolled: 1-line block ×3, first 2 shown]
	s_delay_alu instid0(VALU_DEP_3) | instskip(SKIP_4) | instid1(VALU_DEP_2)
	v_cmp_lt_u32_e32 vcc_lo, 5, v7
	s_or_b32 s3, vcc_lo, s3
	s_waitcnt vmcnt(0) lgkmcnt(0)
	v_mul_f64 v[10:11], v[81:82], v[77:78]
	v_mul_f64 v[77:78], v[79:80], v[77:78]
	v_fma_f64 v[10:11], v[79:80], v[75:76], -v[10:11]
	s_delay_alu instid0(VALU_DEP_2) | instskip(NEXT) | instid1(VALU_DEP_2)
	v_fma_f64 v[75:76], v[81:82], v[75:76], v[77:78]
	v_add_f64 v[3:4], v[3:4], v[10:11]
	s_delay_alu instid0(VALU_DEP_2)
	v_add_f64 v[1:2], v[1:2], v[75:76]
	s_and_not1_b32 exec_lo, exec_lo, s3
	s_cbranch_execnz .LBB83_41
; %bb.42:
	s_or_b32 exec_lo, exec_lo, s3
	v_mov_b32_e32 v7, 0
	ds_load_b128 v[7:10], v7 offset:112
	s_waitcnt lgkmcnt(0)
	v_mul_f64 v[11:12], v[1:2], v[9:10]
	v_mul_f64 v[75:76], v[3:4], v[9:10]
	s_delay_alu instid0(VALU_DEP_2) | instskip(NEXT) | instid1(VALU_DEP_2)
	v_fma_f64 v[9:10], v[3:4], v[7:8], -v[11:12]
	v_fma_f64 v[11:12], v[1:2], v[7:8], v[75:76]
	scratch_store_b128 off, v[9:12], off offset:112
.LBB83_43:
	s_or_b32 exec_lo, exec_lo, s2
	s_waitcnt_vscnt null, 0x0
	s_barrier
	buffer_gl0_inv
	scratch_load_b128 v[1:4], v59, off
	s_mov_b32 s2, exec_lo
	s_waitcnt vmcnt(0)
	ds_store_b128 v5, v[1:4]
	s_waitcnt lgkmcnt(0)
	s_barrier
	buffer_gl0_inv
	v_cmpx_gt_u32_e32 8, v53
	s_cbranch_execz .LBB83_47
; %bb.44:
	v_dual_mov_b32 v1, 0 :: v_dual_add_nc_u32 v8, 0x140, v73
	v_dual_mov_b32 v2, 0 :: v_dual_add_nc_u32 v7, -1, v53
	v_or_b32_e32 v9, 8, v74
	s_mov_b32 s3, 0
	s_delay_alu instid0(VALU_DEP_2)
	v_dual_mov_b32 v4, v2 :: v_dual_mov_b32 v3, v1
	.p2align	6
.LBB83_45:                              ; =>This Inner Loop Header: Depth=1
	scratch_load_b128 v[75:78], v9, off offset:-8
	ds_load_b128 v[79:82], v8
	v_add_nc_u32_e32 v7, 1, v7
	v_add_nc_u32_e32 v8, 16, v8
	v_add_nc_u32_e32 v9, 16, v9
	s_delay_alu instid0(VALU_DEP_3) | instskip(SKIP_4) | instid1(VALU_DEP_2)
	v_cmp_lt_u32_e32 vcc_lo, 6, v7
	s_or_b32 s3, vcc_lo, s3
	s_waitcnt vmcnt(0) lgkmcnt(0)
	v_mul_f64 v[10:11], v[81:82], v[77:78]
	v_mul_f64 v[77:78], v[79:80], v[77:78]
	v_fma_f64 v[10:11], v[79:80], v[75:76], -v[10:11]
	s_delay_alu instid0(VALU_DEP_2) | instskip(NEXT) | instid1(VALU_DEP_2)
	v_fma_f64 v[75:76], v[81:82], v[75:76], v[77:78]
	v_add_f64 v[3:4], v[3:4], v[10:11]
	s_delay_alu instid0(VALU_DEP_2)
	v_add_f64 v[1:2], v[1:2], v[75:76]
	s_and_not1_b32 exec_lo, exec_lo, s3
	s_cbranch_execnz .LBB83_45
; %bb.46:
	s_or_b32 exec_lo, exec_lo, s3
	v_mov_b32_e32 v7, 0
	ds_load_b128 v[7:10], v7 offset:128
	s_waitcnt lgkmcnt(0)
	v_mul_f64 v[11:12], v[1:2], v[9:10]
	v_mul_f64 v[75:76], v[3:4], v[9:10]
	s_delay_alu instid0(VALU_DEP_2) | instskip(NEXT) | instid1(VALU_DEP_2)
	v_fma_f64 v[9:10], v[3:4], v[7:8], -v[11:12]
	v_fma_f64 v[11:12], v[1:2], v[7:8], v[75:76]
	scratch_store_b128 off, v[9:12], off offset:128
.LBB83_47:
	s_or_b32 exec_lo, exec_lo, s2
	s_waitcnt_vscnt null, 0x0
	s_barrier
	buffer_gl0_inv
	scratch_load_b128 v[1:4], v61, off
	s_mov_b32 s2, exec_lo
	s_waitcnt vmcnt(0)
	ds_store_b128 v5, v[1:4]
	s_waitcnt lgkmcnt(0)
	s_barrier
	buffer_gl0_inv
	v_cmpx_gt_u32_e32 9, v53
	s_cbranch_execz .LBB83_51
; %bb.48:
	v_dual_mov_b32 v1, 0 :: v_dual_add_nc_u32 v8, 0x140, v73
	v_dual_mov_b32 v2, 0 :: v_dual_add_nc_u32 v7, -1, v53
	v_or_b32_e32 v9, 8, v74
	s_mov_b32 s3, 0
	s_delay_alu instid0(VALU_DEP_2)
	v_dual_mov_b32 v4, v2 :: v_dual_mov_b32 v3, v1
	.p2align	6
.LBB83_49:                              ; =>This Inner Loop Header: Depth=1
	scratch_load_b128 v[75:78], v9, off offset:-8
	ds_load_b128 v[79:82], v8
	v_add_nc_u32_e32 v7, 1, v7
	v_add_nc_u32_e32 v8, 16, v8
	v_add_nc_u32_e32 v9, 16, v9
	s_delay_alu instid0(VALU_DEP_3) | instskip(SKIP_4) | instid1(VALU_DEP_2)
	v_cmp_lt_u32_e32 vcc_lo, 7, v7
	s_or_b32 s3, vcc_lo, s3
	s_waitcnt vmcnt(0) lgkmcnt(0)
	v_mul_f64 v[10:11], v[81:82], v[77:78]
	v_mul_f64 v[77:78], v[79:80], v[77:78]
	v_fma_f64 v[10:11], v[79:80], v[75:76], -v[10:11]
	s_delay_alu instid0(VALU_DEP_2) | instskip(NEXT) | instid1(VALU_DEP_2)
	v_fma_f64 v[75:76], v[81:82], v[75:76], v[77:78]
	v_add_f64 v[3:4], v[3:4], v[10:11]
	s_delay_alu instid0(VALU_DEP_2)
	v_add_f64 v[1:2], v[1:2], v[75:76]
	s_and_not1_b32 exec_lo, exec_lo, s3
	s_cbranch_execnz .LBB83_49
; %bb.50:
	s_or_b32 exec_lo, exec_lo, s3
	v_mov_b32_e32 v7, 0
	ds_load_b128 v[7:10], v7 offset:144
	s_waitcnt lgkmcnt(0)
	v_mul_f64 v[11:12], v[1:2], v[9:10]
	v_mul_f64 v[75:76], v[3:4], v[9:10]
	s_delay_alu instid0(VALU_DEP_2) | instskip(NEXT) | instid1(VALU_DEP_2)
	v_fma_f64 v[9:10], v[3:4], v[7:8], -v[11:12]
	v_fma_f64 v[11:12], v[1:2], v[7:8], v[75:76]
	scratch_store_b128 off, v[9:12], off offset:144
.LBB83_51:
	s_or_b32 exec_lo, exec_lo, s2
	s_waitcnt_vscnt null, 0x0
	s_barrier
	buffer_gl0_inv
	scratch_load_b128 v[1:4], v64, off
	s_mov_b32 s2, exec_lo
	s_waitcnt vmcnt(0)
	ds_store_b128 v5, v[1:4]
	s_waitcnt lgkmcnt(0)
	s_barrier
	buffer_gl0_inv
	v_cmpx_gt_u32_e32 10, v53
	s_cbranch_execz .LBB83_55
; %bb.52:
	v_dual_mov_b32 v1, 0 :: v_dual_add_nc_u32 v8, 0x140, v73
	v_dual_mov_b32 v2, 0 :: v_dual_add_nc_u32 v7, -1, v53
	v_or_b32_e32 v9, 8, v74
	s_mov_b32 s3, 0
	s_delay_alu instid0(VALU_DEP_2)
	v_dual_mov_b32 v4, v2 :: v_dual_mov_b32 v3, v1
	.p2align	6
.LBB83_53:                              ; =>This Inner Loop Header: Depth=1
	scratch_load_b128 v[75:78], v9, off offset:-8
	ds_load_b128 v[79:82], v8
	v_add_nc_u32_e32 v7, 1, v7
	v_add_nc_u32_e32 v8, 16, v8
	;; [unrolled: 1-line block ×3, first 2 shown]
	s_delay_alu instid0(VALU_DEP_3) | instskip(SKIP_4) | instid1(VALU_DEP_2)
	v_cmp_lt_u32_e32 vcc_lo, 8, v7
	s_or_b32 s3, vcc_lo, s3
	s_waitcnt vmcnt(0) lgkmcnt(0)
	v_mul_f64 v[10:11], v[81:82], v[77:78]
	v_mul_f64 v[77:78], v[79:80], v[77:78]
	v_fma_f64 v[10:11], v[79:80], v[75:76], -v[10:11]
	s_delay_alu instid0(VALU_DEP_2) | instskip(NEXT) | instid1(VALU_DEP_2)
	v_fma_f64 v[75:76], v[81:82], v[75:76], v[77:78]
	v_add_f64 v[3:4], v[3:4], v[10:11]
	s_delay_alu instid0(VALU_DEP_2)
	v_add_f64 v[1:2], v[1:2], v[75:76]
	s_and_not1_b32 exec_lo, exec_lo, s3
	s_cbranch_execnz .LBB83_53
; %bb.54:
	s_or_b32 exec_lo, exec_lo, s3
	v_mov_b32_e32 v7, 0
	ds_load_b128 v[7:10], v7 offset:160
	s_waitcnt lgkmcnt(0)
	v_mul_f64 v[11:12], v[1:2], v[9:10]
	v_mul_f64 v[75:76], v[3:4], v[9:10]
	s_delay_alu instid0(VALU_DEP_2) | instskip(NEXT) | instid1(VALU_DEP_2)
	v_fma_f64 v[9:10], v[3:4], v[7:8], -v[11:12]
	v_fma_f64 v[11:12], v[1:2], v[7:8], v[75:76]
	scratch_store_b128 off, v[9:12], off offset:160
.LBB83_55:
	s_or_b32 exec_lo, exec_lo, s2
	s_waitcnt_vscnt null, 0x0
	s_barrier
	buffer_gl0_inv
	scratch_load_b128 v[1:4], v63, off
	s_mov_b32 s2, exec_lo
	s_waitcnt vmcnt(0)
	ds_store_b128 v5, v[1:4]
	s_waitcnt lgkmcnt(0)
	s_barrier
	buffer_gl0_inv
	v_cmpx_gt_u32_e32 11, v53
	s_cbranch_execz .LBB83_59
; %bb.56:
	v_dual_mov_b32 v1, 0 :: v_dual_add_nc_u32 v8, 0x140, v73
	v_dual_mov_b32 v2, 0 :: v_dual_add_nc_u32 v7, -1, v53
	v_or_b32_e32 v9, 8, v74
	s_mov_b32 s3, 0
	s_delay_alu instid0(VALU_DEP_2)
	v_dual_mov_b32 v4, v2 :: v_dual_mov_b32 v3, v1
	.p2align	6
.LBB83_57:                              ; =>This Inner Loop Header: Depth=1
	scratch_load_b128 v[75:78], v9, off offset:-8
	ds_load_b128 v[79:82], v8
	v_add_nc_u32_e32 v7, 1, v7
	v_add_nc_u32_e32 v8, 16, v8
	;; [unrolled: 1-line block ×3, first 2 shown]
	s_delay_alu instid0(VALU_DEP_3) | instskip(SKIP_4) | instid1(VALU_DEP_2)
	v_cmp_lt_u32_e32 vcc_lo, 9, v7
	s_or_b32 s3, vcc_lo, s3
	s_waitcnt vmcnt(0) lgkmcnt(0)
	v_mul_f64 v[10:11], v[81:82], v[77:78]
	v_mul_f64 v[77:78], v[79:80], v[77:78]
	v_fma_f64 v[10:11], v[79:80], v[75:76], -v[10:11]
	s_delay_alu instid0(VALU_DEP_2) | instskip(NEXT) | instid1(VALU_DEP_2)
	v_fma_f64 v[75:76], v[81:82], v[75:76], v[77:78]
	v_add_f64 v[3:4], v[3:4], v[10:11]
	s_delay_alu instid0(VALU_DEP_2)
	v_add_f64 v[1:2], v[1:2], v[75:76]
	s_and_not1_b32 exec_lo, exec_lo, s3
	s_cbranch_execnz .LBB83_57
; %bb.58:
	s_or_b32 exec_lo, exec_lo, s3
	v_mov_b32_e32 v7, 0
	ds_load_b128 v[7:10], v7 offset:176
	s_waitcnt lgkmcnt(0)
	v_mul_f64 v[11:12], v[1:2], v[9:10]
	v_mul_f64 v[75:76], v[3:4], v[9:10]
	s_delay_alu instid0(VALU_DEP_2) | instskip(NEXT) | instid1(VALU_DEP_2)
	v_fma_f64 v[9:10], v[3:4], v[7:8], -v[11:12]
	v_fma_f64 v[11:12], v[1:2], v[7:8], v[75:76]
	scratch_store_b128 off, v[9:12], off offset:176
.LBB83_59:
	s_or_b32 exec_lo, exec_lo, s2
	s_waitcnt_vscnt null, 0x0
	s_barrier
	buffer_gl0_inv
	scratch_load_b128 v[1:4], v66, off
	s_mov_b32 s2, exec_lo
	s_waitcnt vmcnt(0)
	ds_store_b128 v5, v[1:4]
	s_waitcnt lgkmcnt(0)
	s_barrier
	buffer_gl0_inv
	v_cmpx_gt_u32_e32 12, v53
	s_cbranch_execz .LBB83_63
; %bb.60:
	v_dual_mov_b32 v1, 0 :: v_dual_add_nc_u32 v8, 0x140, v73
	v_dual_mov_b32 v2, 0 :: v_dual_add_nc_u32 v7, -1, v53
	v_or_b32_e32 v9, 8, v74
	s_mov_b32 s3, 0
	s_delay_alu instid0(VALU_DEP_2)
	v_dual_mov_b32 v4, v2 :: v_dual_mov_b32 v3, v1
	.p2align	6
.LBB83_61:                              ; =>This Inner Loop Header: Depth=1
	scratch_load_b128 v[75:78], v9, off offset:-8
	ds_load_b128 v[79:82], v8
	v_add_nc_u32_e32 v7, 1, v7
	v_add_nc_u32_e32 v8, 16, v8
	;; [unrolled: 1-line block ×3, first 2 shown]
	s_delay_alu instid0(VALU_DEP_3) | instskip(SKIP_4) | instid1(VALU_DEP_2)
	v_cmp_lt_u32_e32 vcc_lo, 10, v7
	s_or_b32 s3, vcc_lo, s3
	s_waitcnt vmcnt(0) lgkmcnt(0)
	v_mul_f64 v[10:11], v[81:82], v[77:78]
	v_mul_f64 v[77:78], v[79:80], v[77:78]
	v_fma_f64 v[10:11], v[79:80], v[75:76], -v[10:11]
	s_delay_alu instid0(VALU_DEP_2) | instskip(NEXT) | instid1(VALU_DEP_2)
	v_fma_f64 v[75:76], v[81:82], v[75:76], v[77:78]
	v_add_f64 v[3:4], v[3:4], v[10:11]
	s_delay_alu instid0(VALU_DEP_2)
	v_add_f64 v[1:2], v[1:2], v[75:76]
	s_and_not1_b32 exec_lo, exec_lo, s3
	s_cbranch_execnz .LBB83_61
; %bb.62:
	s_or_b32 exec_lo, exec_lo, s3
	v_mov_b32_e32 v7, 0
	ds_load_b128 v[7:10], v7 offset:192
	s_waitcnt lgkmcnt(0)
	v_mul_f64 v[11:12], v[1:2], v[9:10]
	v_mul_f64 v[75:76], v[3:4], v[9:10]
	s_delay_alu instid0(VALU_DEP_2) | instskip(NEXT) | instid1(VALU_DEP_2)
	v_fma_f64 v[9:10], v[3:4], v[7:8], -v[11:12]
	v_fma_f64 v[11:12], v[1:2], v[7:8], v[75:76]
	scratch_store_b128 off, v[9:12], off offset:192
.LBB83_63:
	s_or_b32 exec_lo, exec_lo, s2
	s_waitcnt_vscnt null, 0x0
	s_barrier
	buffer_gl0_inv
	scratch_load_b128 v[1:4], v65, off
	s_mov_b32 s2, exec_lo
	s_waitcnt vmcnt(0)
	ds_store_b128 v5, v[1:4]
	s_waitcnt lgkmcnt(0)
	s_barrier
	buffer_gl0_inv
	v_cmpx_gt_u32_e32 13, v53
	s_cbranch_execz .LBB83_67
; %bb.64:
	v_dual_mov_b32 v1, 0 :: v_dual_add_nc_u32 v8, 0x140, v73
	v_dual_mov_b32 v2, 0 :: v_dual_add_nc_u32 v7, -1, v53
	v_or_b32_e32 v9, 8, v74
	s_mov_b32 s3, 0
	s_delay_alu instid0(VALU_DEP_2)
	v_dual_mov_b32 v4, v2 :: v_dual_mov_b32 v3, v1
	.p2align	6
.LBB83_65:                              ; =>This Inner Loop Header: Depth=1
	scratch_load_b128 v[75:78], v9, off offset:-8
	ds_load_b128 v[79:82], v8
	v_add_nc_u32_e32 v7, 1, v7
	v_add_nc_u32_e32 v8, 16, v8
	;; [unrolled: 1-line block ×3, first 2 shown]
	s_delay_alu instid0(VALU_DEP_3) | instskip(SKIP_4) | instid1(VALU_DEP_2)
	v_cmp_lt_u32_e32 vcc_lo, 11, v7
	s_or_b32 s3, vcc_lo, s3
	s_waitcnt vmcnt(0) lgkmcnt(0)
	v_mul_f64 v[10:11], v[81:82], v[77:78]
	v_mul_f64 v[77:78], v[79:80], v[77:78]
	v_fma_f64 v[10:11], v[79:80], v[75:76], -v[10:11]
	s_delay_alu instid0(VALU_DEP_2) | instskip(NEXT) | instid1(VALU_DEP_2)
	v_fma_f64 v[75:76], v[81:82], v[75:76], v[77:78]
	v_add_f64 v[3:4], v[3:4], v[10:11]
	s_delay_alu instid0(VALU_DEP_2)
	v_add_f64 v[1:2], v[1:2], v[75:76]
	s_and_not1_b32 exec_lo, exec_lo, s3
	s_cbranch_execnz .LBB83_65
; %bb.66:
	s_or_b32 exec_lo, exec_lo, s3
	v_mov_b32_e32 v7, 0
	ds_load_b128 v[7:10], v7 offset:208
	s_waitcnt lgkmcnt(0)
	v_mul_f64 v[11:12], v[1:2], v[9:10]
	v_mul_f64 v[75:76], v[3:4], v[9:10]
	s_delay_alu instid0(VALU_DEP_2) | instskip(NEXT) | instid1(VALU_DEP_2)
	v_fma_f64 v[9:10], v[3:4], v[7:8], -v[11:12]
	v_fma_f64 v[11:12], v[1:2], v[7:8], v[75:76]
	scratch_store_b128 off, v[9:12], off offset:208
.LBB83_67:
	s_or_b32 exec_lo, exec_lo, s2
	s_waitcnt_vscnt null, 0x0
	s_barrier
	buffer_gl0_inv
	scratch_load_b128 v[1:4], v68, off
	s_mov_b32 s2, exec_lo
	s_waitcnt vmcnt(0)
	ds_store_b128 v5, v[1:4]
	s_waitcnt lgkmcnt(0)
	s_barrier
	buffer_gl0_inv
	v_cmpx_gt_u32_e32 14, v53
	s_cbranch_execz .LBB83_71
; %bb.68:
	v_dual_mov_b32 v1, 0 :: v_dual_add_nc_u32 v8, 0x140, v73
	v_dual_mov_b32 v2, 0 :: v_dual_add_nc_u32 v7, -1, v53
	v_or_b32_e32 v9, 8, v74
	s_mov_b32 s3, 0
	s_delay_alu instid0(VALU_DEP_2)
	v_dual_mov_b32 v4, v2 :: v_dual_mov_b32 v3, v1
	.p2align	6
.LBB83_69:                              ; =>This Inner Loop Header: Depth=1
	scratch_load_b128 v[75:78], v9, off offset:-8
	ds_load_b128 v[79:82], v8
	v_add_nc_u32_e32 v7, 1, v7
	v_add_nc_u32_e32 v8, 16, v8
	;; [unrolled: 1-line block ×3, first 2 shown]
	s_delay_alu instid0(VALU_DEP_3) | instskip(SKIP_4) | instid1(VALU_DEP_2)
	v_cmp_lt_u32_e32 vcc_lo, 12, v7
	s_or_b32 s3, vcc_lo, s3
	s_waitcnt vmcnt(0) lgkmcnt(0)
	v_mul_f64 v[10:11], v[81:82], v[77:78]
	v_mul_f64 v[77:78], v[79:80], v[77:78]
	v_fma_f64 v[10:11], v[79:80], v[75:76], -v[10:11]
	s_delay_alu instid0(VALU_DEP_2) | instskip(NEXT) | instid1(VALU_DEP_2)
	v_fma_f64 v[75:76], v[81:82], v[75:76], v[77:78]
	v_add_f64 v[3:4], v[3:4], v[10:11]
	s_delay_alu instid0(VALU_DEP_2)
	v_add_f64 v[1:2], v[1:2], v[75:76]
	s_and_not1_b32 exec_lo, exec_lo, s3
	s_cbranch_execnz .LBB83_69
; %bb.70:
	s_or_b32 exec_lo, exec_lo, s3
	v_mov_b32_e32 v7, 0
	ds_load_b128 v[7:10], v7 offset:224
	s_waitcnt lgkmcnt(0)
	v_mul_f64 v[11:12], v[1:2], v[9:10]
	v_mul_f64 v[75:76], v[3:4], v[9:10]
	s_delay_alu instid0(VALU_DEP_2) | instskip(NEXT) | instid1(VALU_DEP_2)
	v_fma_f64 v[9:10], v[3:4], v[7:8], -v[11:12]
	v_fma_f64 v[11:12], v[1:2], v[7:8], v[75:76]
	scratch_store_b128 off, v[9:12], off offset:224
.LBB83_71:
	s_or_b32 exec_lo, exec_lo, s2
	s_waitcnt_vscnt null, 0x0
	s_barrier
	buffer_gl0_inv
	scratch_load_b128 v[1:4], v67, off
	s_mov_b32 s2, exec_lo
	s_waitcnt vmcnt(0)
	ds_store_b128 v5, v[1:4]
	s_waitcnt lgkmcnt(0)
	s_barrier
	buffer_gl0_inv
	v_cmpx_gt_u32_e32 15, v53
	s_cbranch_execz .LBB83_75
; %bb.72:
	v_dual_mov_b32 v1, 0 :: v_dual_add_nc_u32 v8, 0x140, v73
	v_dual_mov_b32 v2, 0 :: v_dual_add_nc_u32 v7, -1, v53
	v_or_b32_e32 v9, 8, v74
	s_mov_b32 s3, 0
	s_delay_alu instid0(VALU_DEP_2)
	v_dual_mov_b32 v4, v2 :: v_dual_mov_b32 v3, v1
	.p2align	6
.LBB83_73:                              ; =>This Inner Loop Header: Depth=1
	scratch_load_b128 v[75:78], v9, off offset:-8
	ds_load_b128 v[79:82], v8
	v_add_nc_u32_e32 v7, 1, v7
	v_add_nc_u32_e32 v8, 16, v8
	;; [unrolled: 1-line block ×3, first 2 shown]
	s_delay_alu instid0(VALU_DEP_3) | instskip(SKIP_4) | instid1(VALU_DEP_2)
	v_cmp_lt_u32_e32 vcc_lo, 13, v7
	s_or_b32 s3, vcc_lo, s3
	s_waitcnt vmcnt(0) lgkmcnt(0)
	v_mul_f64 v[10:11], v[81:82], v[77:78]
	v_mul_f64 v[77:78], v[79:80], v[77:78]
	v_fma_f64 v[10:11], v[79:80], v[75:76], -v[10:11]
	s_delay_alu instid0(VALU_DEP_2) | instskip(NEXT) | instid1(VALU_DEP_2)
	v_fma_f64 v[75:76], v[81:82], v[75:76], v[77:78]
	v_add_f64 v[3:4], v[3:4], v[10:11]
	s_delay_alu instid0(VALU_DEP_2)
	v_add_f64 v[1:2], v[1:2], v[75:76]
	s_and_not1_b32 exec_lo, exec_lo, s3
	s_cbranch_execnz .LBB83_73
; %bb.74:
	s_or_b32 exec_lo, exec_lo, s3
	v_mov_b32_e32 v7, 0
	ds_load_b128 v[7:10], v7 offset:240
	s_waitcnt lgkmcnt(0)
	v_mul_f64 v[11:12], v[1:2], v[9:10]
	v_mul_f64 v[75:76], v[3:4], v[9:10]
	s_delay_alu instid0(VALU_DEP_2) | instskip(NEXT) | instid1(VALU_DEP_2)
	v_fma_f64 v[9:10], v[3:4], v[7:8], -v[11:12]
	v_fma_f64 v[11:12], v[1:2], v[7:8], v[75:76]
	scratch_store_b128 off, v[9:12], off offset:240
.LBB83_75:
	s_or_b32 exec_lo, exec_lo, s2
	s_waitcnt_vscnt null, 0x0
	s_barrier
	buffer_gl0_inv
	scratch_load_b128 v[1:4], v70, off
	s_mov_b32 s2, exec_lo
	s_waitcnt vmcnt(0)
	ds_store_b128 v5, v[1:4]
	s_waitcnt lgkmcnt(0)
	s_barrier
	buffer_gl0_inv
	v_cmpx_gt_u32_e32 16, v53
	s_cbranch_execz .LBB83_79
; %bb.76:
	v_dual_mov_b32 v1, 0 :: v_dual_add_nc_u32 v8, 0x140, v73
	v_dual_mov_b32 v2, 0 :: v_dual_add_nc_u32 v7, -1, v53
	v_or_b32_e32 v9, 8, v74
	s_mov_b32 s3, 0
	s_delay_alu instid0(VALU_DEP_2)
	v_dual_mov_b32 v4, v2 :: v_dual_mov_b32 v3, v1
	.p2align	6
.LBB83_77:                              ; =>This Inner Loop Header: Depth=1
	scratch_load_b128 v[75:78], v9, off offset:-8
	ds_load_b128 v[79:82], v8
	v_add_nc_u32_e32 v7, 1, v7
	v_add_nc_u32_e32 v8, 16, v8
	;; [unrolled: 1-line block ×3, first 2 shown]
	s_delay_alu instid0(VALU_DEP_3) | instskip(SKIP_4) | instid1(VALU_DEP_2)
	v_cmp_lt_u32_e32 vcc_lo, 14, v7
	s_or_b32 s3, vcc_lo, s3
	s_waitcnt vmcnt(0) lgkmcnt(0)
	v_mul_f64 v[10:11], v[81:82], v[77:78]
	v_mul_f64 v[77:78], v[79:80], v[77:78]
	v_fma_f64 v[10:11], v[79:80], v[75:76], -v[10:11]
	s_delay_alu instid0(VALU_DEP_2) | instskip(NEXT) | instid1(VALU_DEP_2)
	v_fma_f64 v[75:76], v[81:82], v[75:76], v[77:78]
	v_add_f64 v[3:4], v[3:4], v[10:11]
	s_delay_alu instid0(VALU_DEP_2)
	v_add_f64 v[1:2], v[1:2], v[75:76]
	s_and_not1_b32 exec_lo, exec_lo, s3
	s_cbranch_execnz .LBB83_77
; %bb.78:
	s_or_b32 exec_lo, exec_lo, s3
	v_mov_b32_e32 v7, 0
	ds_load_b128 v[7:10], v7 offset:256
	s_waitcnt lgkmcnt(0)
	v_mul_f64 v[11:12], v[1:2], v[9:10]
	v_mul_f64 v[75:76], v[3:4], v[9:10]
	s_delay_alu instid0(VALU_DEP_2) | instskip(NEXT) | instid1(VALU_DEP_2)
	v_fma_f64 v[9:10], v[3:4], v[7:8], -v[11:12]
	v_fma_f64 v[11:12], v[1:2], v[7:8], v[75:76]
	scratch_store_b128 off, v[9:12], off offset:256
.LBB83_79:
	s_or_b32 exec_lo, exec_lo, s2
	s_waitcnt_vscnt null, 0x0
	s_barrier
	buffer_gl0_inv
	scratch_load_b128 v[1:4], v69, off
	s_mov_b32 s2, exec_lo
	s_waitcnt vmcnt(0)
	ds_store_b128 v5, v[1:4]
	s_waitcnt lgkmcnt(0)
	s_barrier
	buffer_gl0_inv
	v_cmpx_gt_u32_e32 17, v53
	s_cbranch_execz .LBB83_83
; %bb.80:
	v_dual_mov_b32 v1, 0 :: v_dual_add_nc_u32 v8, 0x140, v73
	v_dual_mov_b32 v2, 0 :: v_dual_add_nc_u32 v7, -1, v53
	v_or_b32_e32 v9, 8, v74
	s_mov_b32 s3, 0
	s_delay_alu instid0(VALU_DEP_2)
	v_dual_mov_b32 v4, v2 :: v_dual_mov_b32 v3, v1
	.p2align	6
.LBB83_81:                              ; =>This Inner Loop Header: Depth=1
	scratch_load_b128 v[75:78], v9, off offset:-8
	ds_load_b128 v[79:82], v8
	v_add_nc_u32_e32 v7, 1, v7
	v_add_nc_u32_e32 v8, 16, v8
	;; [unrolled: 1-line block ×3, first 2 shown]
	s_delay_alu instid0(VALU_DEP_3) | instskip(SKIP_4) | instid1(VALU_DEP_2)
	v_cmp_lt_u32_e32 vcc_lo, 15, v7
	s_or_b32 s3, vcc_lo, s3
	s_waitcnt vmcnt(0) lgkmcnt(0)
	v_mul_f64 v[10:11], v[81:82], v[77:78]
	v_mul_f64 v[77:78], v[79:80], v[77:78]
	v_fma_f64 v[10:11], v[79:80], v[75:76], -v[10:11]
	s_delay_alu instid0(VALU_DEP_2) | instskip(NEXT) | instid1(VALU_DEP_2)
	v_fma_f64 v[75:76], v[81:82], v[75:76], v[77:78]
	v_add_f64 v[3:4], v[3:4], v[10:11]
	s_delay_alu instid0(VALU_DEP_2)
	v_add_f64 v[1:2], v[1:2], v[75:76]
	s_and_not1_b32 exec_lo, exec_lo, s3
	s_cbranch_execnz .LBB83_81
; %bb.82:
	s_or_b32 exec_lo, exec_lo, s3
	v_mov_b32_e32 v7, 0
	ds_load_b128 v[7:10], v7 offset:272
	s_waitcnt lgkmcnt(0)
	v_mul_f64 v[11:12], v[1:2], v[9:10]
	v_mul_f64 v[75:76], v[3:4], v[9:10]
	s_delay_alu instid0(VALU_DEP_2) | instskip(NEXT) | instid1(VALU_DEP_2)
	v_fma_f64 v[9:10], v[3:4], v[7:8], -v[11:12]
	v_fma_f64 v[11:12], v[1:2], v[7:8], v[75:76]
	scratch_store_b128 off, v[9:12], off offset:272
.LBB83_83:
	s_or_b32 exec_lo, exec_lo, s2
	s_waitcnt_vscnt null, 0x0
	s_barrier
	buffer_gl0_inv
	scratch_load_b128 v[1:4], v72, off
	s_mov_b32 s2, exec_lo
	s_waitcnt vmcnt(0)
	ds_store_b128 v5, v[1:4]
	s_waitcnt lgkmcnt(0)
	s_barrier
	buffer_gl0_inv
	v_cmpx_gt_u32_e32 18, v53
	s_cbranch_execz .LBB83_87
; %bb.84:
	v_dual_mov_b32 v1, 0 :: v_dual_add_nc_u32 v8, 0x140, v73
	v_dual_mov_b32 v2, 0 :: v_dual_add_nc_u32 v7, -1, v53
	v_or_b32_e32 v9, 8, v74
	s_mov_b32 s3, 0
	s_delay_alu instid0(VALU_DEP_2)
	v_dual_mov_b32 v4, v2 :: v_dual_mov_b32 v3, v1
	.p2align	6
.LBB83_85:                              ; =>This Inner Loop Header: Depth=1
	scratch_load_b128 v[75:78], v9, off offset:-8
	ds_load_b128 v[79:82], v8
	v_add_nc_u32_e32 v7, 1, v7
	v_add_nc_u32_e32 v8, 16, v8
	;; [unrolled: 1-line block ×3, first 2 shown]
	s_delay_alu instid0(VALU_DEP_3) | instskip(SKIP_4) | instid1(VALU_DEP_2)
	v_cmp_lt_u32_e32 vcc_lo, 16, v7
	s_or_b32 s3, vcc_lo, s3
	s_waitcnt vmcnt(0) lgkmcnt(0)
	v_mul_f64 v[10:11], v[81:82], v[77:78]
	v_mul_f64 v[77:78], v[79:80], v[77:78]
	v_fma_f64 v[10:11], v[79:80], v[75:76], -v[10:11]
	s_delay_alu instid0(VALU_DEP_2) | instskip(NEXT) | instid1(VALU_DEP_2)
	v_fma_f64 v[75:76], v[81:82], v[75:76], v[77:78]
	v_add_f64 v[3:4], v[3:4], v[10:11]
	s_delay_alu instid0(VALU_DEP_2)
	v_add_f64 v[1:2], v[1:2], v[75:76]
	s_and_not1_b32 exec_lo, exec_lo, s3
	s_cbranch_execnz .LBB83_85
; %bb.86:
	s_or_b32 exec_lo, exec_lo, s3
	v_mov_b32_e32 v7, 0
	ds_load_b128 v[7:10], v7 offset:288
	s_waitcnt lgkmcnt(0)
	v_mul_f64 v[11:12], v[1:2], v[9:10]
	v_mul_f64 v[75:76], v[3:4], v[9:10]
	s_delay_alu instid0(VALU_DEP_2) | instskip(NEXT) | instid1(VALU_DEP_2)
	v_fma_f64 v[9:10], v[3:4], v[7:8], -v[11:12]
	v_fma_f64 v[11:12], v[1:2], v[7:8], v[75:76]
	scratch_store_b128 off, v[9:12], off offset:288
.LBB83_87:
	s_or_b32 exec_lo, exec_lo, s2
	s_waitcnt_vscnt null, 0x0
	s_barrier
	buffer_gl0_inv
	scratch_load_b128 v[1:4], v71, off
	s_mov_b32 s2, exec_lo
	s_waitcnt vmcnt(0)
	ds_store_b128 v5, v[1:4]
	s_waitcnt lgkmcnt(0)
	s_barrier
	buffer_gl0_inv
	v_cmpx_ne_u32_e32 19, v53
	s_cbranch_execz .LBB83_91
; %bb.88:
	v_mov_b32_e32 v1, 0
	v_mov_b32_e32 v2, 0
	v_or_b32_e32 v7, 8, v74
	s_mov_b32 s3, 0
	s_delay_alu instid0(VALU_DEP_2)
	v_dual_mov_b32 v4, v2 :: v_dual_mov_b32 v3, v1
	.p2align	6
.LBB83_89:                              ; =>This Inner Loop Header: Depth=1
	scratch_load_b128 v[8:11], v7, off offset:-8
	ds_load_b128 v[73:76], v5
	v_add_nc_u32_e32 v6, 1, v6
	v_add_nc_u32_e32 v5, 16, v5
	;; [unrolled: 1-line block ×3, first 2 shown]
	s_delay_alu instid0(VALU_DEP_3) | instskip(SKIP_4) | instid1(VALU_DEP_2)
	v_cmp_lt_u32_e32 vcc_lo, 17, v6
	s_or_b32 s3, vcc_lo, s3
	s_waitcnt vmcnt(0) lgkmcnt(0)
	v_mul_f64 v[77:78], v[75:76], v[10:11]
	v_mul_f64 v[10:11], v[73:74], v[10:11]
	v_fma_f64 v[73:74], v[73:74], v[8:9], -v[77:78]
	s_delay_alu instid0(VALU_DEP_2) | instskip(NEXT) | instid1(VALU_DEP_2)
	v_fma_f64 v[8:9], v[75:76], v[8:9], v[10:11]
	v_add_f64 v[3:4], v[3:4], v[73:74]
	s_delay_alu instid0(VALU_DEP_2)
	v_add_f64 v[1:2], v[1:2], v[8:9]
	s_and_not1_b32 exec_lo, exec_lo, s3
	s_cbranch_execnz .LBB83_89
; %bb.90:
	s_or_b32 exec_lo, exec_lo, s3
	v_mov_b32_e32 v5, 0
	ds_load_b128 v[5:8], v5 offset:304
	s_waitcnt lgkmcnt(0)
	v_mul_f64 v[9:10], v[1:2], v[7:8]
	v_mul_f64 v[7:8], v[3:4], v[7:8]
	s_delay_alu instid0(VALU_DEP_2) | instskip(NEXT) | instid1(VALU_DEP_2)
	v_fma_f64 v[3:4], v[3:4], v[5:6], -v[9:10]
	v_fma_f64 v[5:6], v[1:2], v[5:6], v[7:8]
	scratch_store_b128 off, v[3:6], off offset:304
.LBB83_91:
	s_or_b32 exec_lo, exec_lo, s2
	s_mov_b32 s3, -1
	s_waitcnt_vscnt null, 0x0
	s_barrier
	buffer_gl0_inv
.LBB83_92:
	s_and_b32 vcc_lo, exec_lo, s3
	s_cbranch_vccz .LBB83_94
; %bb.93:
	s_lshl_b64 s[2:3], s[10:11], 2
	v_mov_b32_e32 v1, 0
	s_add_u32 s2, s6, s2
	s_addc_u32 s3, s7, s3
	global_load_b32 v1, v1, s[2:3]
	s_waitcnt vmcnt(0)
	v_cmp_ne_u32_e32 vcc_lo, 0, v1
	s_cbranch_vccz .LBB83_95
.LBB83_94:
	s_endpgm
.LBB83_95:
	v_lshl_add_u32 v5, v53, 4, 0x140
	s_mov_b32 s2, exec_lo
	v_cmpx_eq_u32_e32 19, v53
	s_cbranch_execz .LBB83_97
; %bb.96:
	scratch_load_b128 v[1:4], v72, off
	v_mov_b32_e32 v6, 0
	s_delay_alu instid0(VALU_DEP_1)
	v_mov_b32_e32 v7, v6
	v_mov_b32_e32 v8, v6
	;; [unrolled: 1-line block ×3, first 2 shown]
	scratch_store_b128 off, v[6:9], off offset:288
	s_waitcnt vmcnt(0)
	ds_store_b128 v5, v[1:4]
.LBB83_97:
	s_or_b32 exec_lo, exec_lo, s2
	s_waitcnt lgkmcnt(0)
	s_waitcnt_vscnt null, 0x0
	s_barrier
	buffer_gl0_inv
	s_clause 0x1
	scratch_load_b128 v[6:9], off, off offset:304
	scratch_load_b128 v[73:76], off, off offset:288
	v_mov_b32_e32 v1, 0
	s_mov_b32 s2, exec_lo
	ds_load_b128 v[77:80], v1 offset:624
	s_waitcnt vmcnt(1) lgkmcnt(0)
	v_mul_f64 v[2:3], v[79:80], v[8:9]
	v_mul_f64 v[8:9], v[77:78], v[8:9]
	s_delay_alu instid0(VALU_DEP_2) | instskip(NEXT) | instid1(VALU_DEP_2)
	v_fma_f64 v[2:3], v[77:78], v[6:7], -v[2:3]
	v_fma_f64 v[6:7], v[79:80], v[6:7], v[8:9]
	s_delay_alu instid0(VALU_DEP_2) | instskip(NEXT) | instid1(VALU_DEP_2)
	v_add_f64 v[2:3], v[2:3], 0
	v_add_f64 v[8:9], v[6:7], 0
	s_waitcnt vmcnt(0)
	s_delay_alu instid0(VALU_DEP_2) | instskip(NEXT) | instid1(VALU_DEP_2)
	v_add_f64 v[6:7], v[73:74], -v[2:3]
	v_add_f64 v[8:9], v[75:76], -v[8:9]
	scratch_store_b128 off, v[6:9], off offset:288
	v_cmpx_lt_u32_e32 17, v53
	s_cbranch_execz .LBB83_99
; %bb.98:
	scratch_load_b128 v[6:9], v69, off
	v_mov_b32_e32 v2, v1
	v_mov_b32_e32 v3, v1
	;; [unrolled: 1-line block ×3, first 2 shown]
	scratch_store_b128 off, v[1:4], off offset:272
	s_waitcnt vmcnt(0)
	ds_store_b128 v5, v[6:9]
.LBB83_99:
	s_or_b32 exec_lo, exec_lo, s2
	s_waitcnt lgkmcnt(0)
	s_waitcnt_vscnt null, 0x0
	s_barrier
	buffer_gl0_inv
	s_clause 0x2
	scratch_load_b128 v[6:9], off, off offset:288
	scratch_load_b128 v[73:76], off, off offset:304
	;; [unrolled: 1-line block ×3, first 2 shown]
	ds_load_b128 v[81:84], v1 offset:608
	ds_load_b128 v[1:4], v1 offset:624
	s_mov_b32 s2, exec_lo
	s_waitcnt vmcnt(2) lgkmcnt(1)
	v_mul_f64 v[10:11], v[83:84], v[8:9]
	v_mul_f64 v[8:9], v[81:82], v[8:9]
	s_waitcnt vmcnt(1) lgkmcnt(0)
	v_mul_f64 v[85:86], v[1:2], v[75:76]
	v_mul_f64 v[75:76], v[3:4], v[75:76]
	s_delay_alu instid0(VALU_DEP_4) | instskip(NEXT) | instid1(VALU_DEP_4)
	v_fma_f64 v[10:11], v[81:82], v[6:7], -v[10:11]
	v_fma_f64 v[6:7], v[83:84], v[6:7], v[8:9]
	s_delay_alu instid0(VALU_DEP_4) | instskip(NEXT) | instid1(VALU_DEP_4)
	v_fma_f64 v[3:4], v[3:4], v[73:74], v[85:86]
	v_fma_f64 v[1:2], v[1:2], v[73:74], -v[75:76]
	s_delay_alu instid0(VALU_DEP_4) | instskip(NEXT) | instid1(VALU_DEP_4)
	v_add_f64 v[8:9], v[10:11], 0
	v_add_f64 v[6:7], v[6:7], 0
	s_delay_alu instid0(VALU_DEP_2) | instskip(NEXT) | instid1(VALU_DEP_2)
	v_add_f64 v[1:2], v[8:9], v[1:2]
	v_add_f64 v[3:4], v[6:7], v[3:4]
	s_waitcnt vmcnt(0)
	s_delay_alu instid0(VALU_DEP_2) | instskip(NEXT) | instid1(VALU_DEP_2)
	v_add_f64 v[1:2], v[77:78], -v[1:2]
	v_add_f64 v[3:4], v[79:80], -v[3:4]
	scratch_store_b128 off, v[1:4], off offset:272
	v_cmpx_lt_u32_e32 16, v53
	s_cbranch_execz .LBB83_101
; %bb.100:
	scratch_load_b128 v[1:4], v70, off
	v_mov_b32_e32 v6, 0
	s_delay_alu instid0(VALU_DEP_1)
	v_mov_b32_e32 v7, v6
	v_mov_b32_e32 v8, v6
	;; [unrolled: 1-line block ×3, first 2 shown]
	scratch_store_b128 off, v[6:9], off offset:256
	s_waitcnt vmcnt(0)
	ds_store_b128 v5, v[1:4]
.LBB83_101:
	s_or_b32 exec_lo, exec_lo, s2
	s_waitcnt lgkmcnt(0)
	s_waitcnt_vscnt null, 0x0
	s_barrier
	buffer_gl0_inv
	s_clause 0x3
	scratch_load_b128 v[6:9], off, off offset:272
	scratch_load_b128 v[73:76], off, off offset:288
	;; [unrolled: 1-line block ×4, first 2 shown]
	v_mov_b32_e32 v1, 0
	ds_load_b128 v[85:88], v1 offset:592
	ds_load_b128 v[89:92], v1 offset:608
	s_mov_b32 s2, exec_lo
	s_waitcnt vmcnt(3) lgkmcnt(1)
	v_mul_f64 v[2:3], v[87:88], v[8:9]
	v_mul_f64 v[8:9], v[85:86], v[8:9]
	s_waitcnt vmcnt(2) lgkmcnt(0)
	v_mul_f64 v[10:11], v[89:90], v[75:76]
	v_mul_f64 v[75:76], v[91:92], v[75:76]
	s_delay_alu instid0(VALU_DEP_4) | instskip(NEXT) | instid1(VALU_DEP_4)
	v_fma_f64 v[2:3], v[85:86], v[6:7], -v[2:3]
	v_fma_f64 v[85:86], v[87:88], v[6:7], v[8:9]
	ds_load_b128 v[6:9], v1 offset:624
	v_fma_f64 v[10:11], v[91:92], v[73:74], v[10:11]
	v_fma_f64 v[73:74], v[89:90], v[73:74], -v[75:76]
	s_waitcnt vmcnt(1) lgkmcnt(0)
	v_mul_f64 v[87:88], v[6:7], v[79:80]
	v_mul_f64 v[79:80], v[8:9], v[79:80]
	v_add_f64 v[2:3], v[2:3], 0
	v_add_f64 v[75:76], v[85:86], 0
	s_delay_alu instid0(VALU_DEP_4) | instskip(NEXT) | instid1(VALU_DEP_4)
	v_fma_f64 v[8:9], v[8:9], v[77:78], v[87:88]
	v_fma_f64 v[6:7], v[6:7], v[77:78], -v[79:80]
	s_delay_alu instid0(VALU_DEP_4) | instskip(NEXT) | instid1(VALU_DEP_4)
	v_add_f64 v[2:3], v[2:3], v[73:74]
	v_add_f64 v[10:11], v[75:76], v[10:11]
	s_delay_alu instid0(VALU_DEP_2) | instskip(NEXT) | instid1(VALU_DEP_2)
	v_add_f64 v[2:3], v[2:3], v[6:7]
	v_add_f64 v[8:9], v[10:11], v[8:9]
	s_waitcnt vmcnt(0)
	s_delay_alu instid0(VALU_DEP_2) | instskip(NEXT) | instid1(VALU_DEP_2)
	v_add_f64 v[6:7], v[81:82], -v[2:3]
	v_add_f64 v[8:9], v[83:84], -v[8:9]
	scratch_store_b128 off, v[6:9], off offset:256
	v_cmpx_lt_u32_e32 15, v53
	s_cbranch_execz .LBB83_103
; %bb.102:
	scratch_load_b128 v[6:9], v67, off
	v_mov_b32_e32 v2, v1
	v_mov_b32_e32 v3, v1
	;; [unrolled: 1-line block ×3, first 2 shown]
	scratch_store_b128 off, v[1:4], off offset:240
	s_waitcnt vmcnt(0)
	ds_store_b128 v5, v[6:9]
.LBB83_103:
	s_or_b32 exec_lo, exec_lo, s2
	s_waitcnt lgkmcnt(0)
	s_waitcnt_vscnt null, 0x0
	s_barrier
	buffer_gl0_inv
	s_clause 0x4
	scratch_load_b128 v[6:9], off, off offset:256
	scratch_load_b128 v[73:76], off, off offset:272
	;; [unrolled: 1-line block ×5, first 2 shown]
	ds_load_b128 v[89:92], v1 offset:576
	ds_load_b128 v[93:96], v1 offset:592
	s_mov_b32 s2, exec_lo
	s_waitcnt vmcnt(4) lgkmcnt(1)
	v_mul_f64 v[2:3], v[91:92], v[8:9]
	v_mul_f64 v[8:9], v[89:90], v[8:9]
	s_waitcnt vmcnt(3) lgkmcnt(0)
	v_mul_f64 v[10:11], v[93:94], v[75:76]
	v_mul_f64 v[75:76], v[95:96], v[75:76]
	s_delay_alu instid0(VALU_DEP_4) | instskip(NEXT) | instid1(VALU_DEP_4)
	v_fma_f64 v[89:90], v[89:90], v[6:7], -v[2:3]
	v_fma_f64 v[91:92], v[91:92], v[6:7], v[8:9]
	ds_load_b128 v[6:9], v1 offset:608
	ds_load_b128 v[1:4], v1 offset:624
	v_fma_f64 v[10:11], v[95:96], v[73:74], v[10:11]
	v_fma_f64 v[73:74], v[93:94], v[73:74], -v[75:76]
	s_waitcnt vmcnt(2) lgkmcnt(1)
	v_mul_f64 v[97:98], v[6:7], v[79:80]
	v_mul_f64 v[79:80], v[8:9], v[79:80]
	v_add_f64 v[75:76], v[89:90], 0
	v_add_f64 v[89:90], v[91:92], 0
	s_waitcnt vmcnt(1) lgkmcnt(0)
	v_mul_f64 v[91:92], v[1:2], v[83:84]
	v_mul_f64 v[83:84], v[3:4], v[83:84]
	v_fma_f64 v[8:9], v[8:9], v[77:78], v[97:98]
	v_fma_f64 v[6:7], v[6:7], v[77:78], -v[79:80]
	v_add_f64 v[73:74], v[75:76], v[73:74]
	v_add_f64 v[10:11], v[89:90], v[10:11]
	v_fma_f64 v[3:4], v[3:4], v[81:82], v[91:92]
	v_fma_f64 v[1:2], v[1:2], v[81:82], -v[83:84]
	s_delay_alu instid0(VALU_DEP_4) | instskip(NEXT) | instid1(VALU_DEP_4)
	v_add_f64 v[6:7], v[73:74], v[6:7]
	v_add_f64 v[8:9], v[10:11], v[8:9]
	s_delay_alu instid0(VALU_DEP_2) | instskip(NEXT) | instid1(VALU_DEP_2)
	v_add_f64 v[1:2], v[6:7], v[1:2]
	v_add_f64 v[3:4], v[8:9], v[3:4]
	s_waitcnt vmcnt(0)
	s_delay_alu instid0(VALU_DEP_2) | instskip(NEXT) | instid1(VALU_DEP_2)
	v_add_f64 v[1:2], v[85:86], -v[1:2]
	v_add_f64 v[3:4], v[87:88], -v[3:4]
	scratch_store_b128 off, v[1:4], off offset:240
	v_cmpx_lt_u32_e32 14, v53
	s_cbranch_execz .LBB83_105
; %bb.104:
	scratch_load_b128 v[1:4], v68, off
	v_mov_b32_e32 v6, 0
	s_delay_alu instid0(VALU_DEP_1)
	v_mov_b32_e32 v7, v6
	v_mov_b32_e32 v8, v6
	;; [unrolled: 1-line block ×3, first 2 shown]
	scratch_store_b128 off, v[6:9], off offset:224
	s_waitcnt vmcnt(0)
	ds_store_b128 v5, v[1:4]
.LBB83_105:
	s_or_b32 exec_lo, exec_lo, s2
	s_waitcnt lgkmcnt(0)
	s_waitcnt_vscnt null, 0x0
	s_barrier
	buffer_gl0_inv
	s_clause 0x5
	scratch_load_b128 v[6:9], off, off offset:240
	scratch_load_b128 v[73:76], off, off offset:256
	;; [unrolled: 1-line block ×6, first 2 shown]
	v_mov_b32_e32 v1, 0
	ds_load_b128 v[93:96], v1 offset:560
	ds_load_b128 v[97:100], v1 offset:576
	s_mov_b32 s2, exec_lo
	s_waitcnt vmcnt(5) lgkmcnt(1)
	v_mul_f64 v[2:3], v[95:96], v[8:9]
	v_mul_f64 v[8:9], v[93:94], v[8:9]
	s_waitcnt vmcnt(4) lgkmcnt(0)
	v_mul_f64 v[10:11], v[97:98], v[75:76]
	v_mul_f64 v[75:76], v[99:100], v[75:76]
	s_delay_alu instid0(VALU_DEP_4) | instskip(NEXT) | instid1(VALU_DEP_4)
	v_fma_f64 v[2:3], v[93:94], v[6:7], -v[2:3]
	v_fma_f64 v[101:102], v[95:96], v[6:7], v[8:9]
	ds_load_b128 v[6:9], v1 offset:592
	ds_load_b128 v[93:96], v1 offset:608
	v_fma_f64 v[10:11], v[99:100], v[73:74], v[10:11]
	v_fma_f64 v[73:74], v[97:98], v[73:74], -v[75:76]
	s_waitcnt vmcnt(3) lgkmcnt(1)
	v_mul_f64 v[103:104], v[6:7], v[79:80]
	v_mul_f64 v[79:80], v[8:9], v[79:80]
	s_waitcnt vmcnt(2) lgkmcnt(0)
	v_mul_f64 v[97:98], v[93:94], v[83:84]
	v_mul_f64 v[83:84], v[95:96], v[83:84]
	v_add_f64 v[2:3], v[2:3], 0
	v_add_f64 v[75:76], v[101:102], 0
	v_fma_f64 v[99:100], v[8:9], v[77:78], v[103:104]
	v_fma_f64 v[77:78], v[6:7], v[77:78], -v[79:80]
	ds_load_b128 v[6:9], v1 offset:624
	v_fma_f64 v[79:80], v[95:96], v[81:82], v[97:98]
	v_fma_f64 v[81:82], v[93:94], v[81:82], -v[83:84]
	v_add_f64 v[2:3], v[2:3], v[73:74]
	v_add_f64 v[10:11], v[75:76], v[10:11]
	s_waitcnt vmcnt(1) lgkmcnt(0)
	v_mul_f64 v[73:74], v[6:7], v[87:88]
	v_mul_f64 v[75:76], v[8:9], v[87:88]
	s_delay_alu instid0(VALU_DEP_4) | instskip(NEXT) | instid1(VALU_DEP_4)
	v_add_f64 v[2:3], v[2:3], v[77:78]
	v_add_f64 v[10:11], v[10:11], v[99:100]
	s_delay_alu instid0(VALU_DEP_4) | instskip(NEXT) | instid1(VALU_DEP_4)
	v_fma_f64 v[8:9], v[8:9], v[85:86], v[73:74]
	v_fma_f64 v[6:7], v[6:7], v[85:86], -v[75:76]
	s_delay_alu instid0(VALU_DEP_4) | instskip(NEXT) | instid1(VALU_DEP_4)
	v_add_f64 v[2:3], v[2:3], v[81:82]
	v_add_f64 v[10:11], v[10:11], v[79:80]
	s_delay_alu instid0(VALU_DEP_2) | instskip(NEXT) | instid1(VALU_DEP_2)
	v_add_f64 v[2:3], v[2:3], v[6:7]
	v_add_f64 v[8:9], v[10:11], v[8:9]
	s_waitcnt vmcnt(0)
	s_delay_alu instid0(VALU_DEP_2) | instskip(NEXT) | instid1(VALU_DEP_2)
	v_add_f64 v[6:7], v[89:90], -v[2:3]
	v_add_f64 v[8:9], v[91:92], -v[8:9]
	scratch_store_b128 off, v[6:9], off offset:224
	v_cmpx_lt_u32_e32 13, v53
	s_cbranch_execz .LBB83_107
; %bb.106:
	scratch_load_b128 v[6:9], v65, off
	v_mov_b32_e32 v2, v1
	v_mov_b32_e32 v3, v1
	;; [unrolled: 1-line block ×3, first 2 shown]
	scratch_store_b128 off, v[1:4], off offset:208
	s_waitcnt vmcnt(0)
	ds_store_b128 v5, v[6:9]
.LBB83_107:
	s_or_b32 exec_lo, exec_lo, s2
	s_waitcnt lgkmcnt(0)
	s_waitcnt_vscnt null, 0x0
	s_barrier
	buffer_gl0_inv
	s_clause 0x5
	scratch_load_b128 v[6:9], off, off offset:224
	scratch_load_b128 v[73:76], off, off offset:240
	;; [unrolled: 1-line block ×6, first 2 shown]
	ds_load_b128 v[93:96], v1 offset:544
	ds_load_b128 v[101:104], v1 offset:560
	scratch_load_b128 v[97:100], off, off offset:208
	s_mov_b32 s2, exec_lo
	s_waitcnt vmcnt(6) lgkmcnt(1)
	v_mul_f64 v[2:3], v[95:96], v[8:9]
	v_mul_f64 v[8:9], v[93:94], v[8:9]
	s_waitcnt vmcnt(5) lgkmcnt(0)
	v_mul_f64 v[10:11], v[101:102], v[75:76]
	v_mul_f64 v[75:76], v[103:104], v[75:76]
	s_delay_alu instid0(VALU_DEP_4) | instskip(NEXT) | instid1(VALU_DEP_4)
	v_fma_f64 v[2:3], v[93:94], v[6:7], -v[2:3]
	v_fma_f64 v[105:106], v[95:96], v[6:7], v[8:9]
	ds_load_b128 v[6:9], v1 offset:576
	ds_load_b128 v[93:96], v1 offset:592
	v_fma_f64 v[10:11], v[103:104], v[73:74], v[10:11]
	v_fma_f64 v[73:74], v[101:102], v[73:74], -v[75:76]
	s_waitcnt vmcnt(4) lgkmcnt(1)
	v_mul_f64 v[107:108], v[6:7], v[79:80]
	v_mul_f64 v[79:80], v[8:9], v[79:80]
	s_waitcnt vmcnt(3) lgkmcnt(0)
	v_mul_f64 v[101:102], v[93:94], v[83:84]
	v_mul_f64 v[83:84], v[95:96], v[83:84]
	v_add_f64 v[2:3], v[2:3], 0
	v_add_f64 v[75:76], v[105:106], 0
	v_fma_f64 v[103:104], v[8:9], v[77:78], v[107:108]
	v_fma_f64 v[77:78], v[6:7], v[77:78], -v[79:80]
	s_delay_alu instid0(VALU_DEP_4) | instskip(NEXT) | instid1(VALU_DEP_4)
	v_add_f64 v[73:74], v[2:3], v[73:74]
	v_add_f64 v[10:11], v[75:76], v[10:11]
	ds_load_b128 v[6:9], v1 offset:608
	ds_load_b128 v[1:4], v1 offset:624
	s_waitcnt vmcnt(2) lgkmcnt(1)
	v_mul_f64 v[75:76], v[6:7], v[87:88]
	v_mul_f64 v[79:80], v[8:9], v[87:88]
	v_fma_f64 v[87:88], v[95:96], v[81:82], v[101:102]
	v_fma_f64 v[81:82], v[93:94], v[81:82], -v[83:84]
	s_waitcnt vmcnt(1) lgkmcnt(0)
	v_mul_f64 v[83:84], v[3:4], v[91:92]
	v_add_f64 v[73:74], v[73:74], v[77:78]
	v_add_f64 v[10:11], v[10:11], v[103:104]
	v_mul_f64 v[77:78], v[1:2], v[91:92]
	v_fma_f64 v[8:9], v[8:9], v[85:86], v[75:76]
	v_fma_f64 v[6:7], v[6:7], v[85:86], -v[79:80]
	v_fma_f64 v[1:2], v[1:2], v[89:90], -v[83:84]
	v_add_f64 v[73:74], v[73:74], v[81:82]
	v_add_f64 v[10:11], v[10:11], v[87:88]
	v_fma_f64 v[3:4], v[3:4], v[89:90], v[77:78]
	s_delay_alu instid0(VALU_DEP_3) | instskip(NEXT) | instid1(VALU_DEP_3)
	v_add_f64 v[6:7], v[73:74], v[6:7]
	v_add_f64 v[8:9], v[10:11], v[8:9]
	s_delay_alu instid0(VALU_DEP_2) | instskip(NEXT) | instid1(VALU_DEP_2)
	v_add_f64 v[1:2], v[6:7], v[1:2]
	v_add_f64 v[3:4], v[8:9], v[3:4]
	s_waitcnt vmcnt(0)
	s_delay_alu instid0(VALU_DEP_2) | instskip(NEXT) | instid1(VALU_DEP_2)
	v_add_f64 v[1:2], v[97:98], -v[1:2]
	v_add_f64 v[3:4], v[99:100], -v[3:4]
	scratch_store_b128 off, v[1:4], off offset:208
	v_cmpx_lt_u32_e32 12, v53
	s_cbranch_execz .LBB83_109
; %bb.108:
	scratch_load_b128 v[1:4], v66, off
	v_mov_b32_e32 v6, 0
	s_delay_alu instid0(VALU_DEP_1)
	v_mov_b32_e32 v7, v6
	v_mov_b32_e32 v8, v6
	;; [unrolled: 1-line block ×3, first 2 shown]
	scratch_store_b128 off, v[6:9], off offset:192
	s_waitcnt vmcnt(0)
	ds_store_b128 v5, v[1:4]
.LBB83_109:
	s_or_b32 exec_lo, exec_lo, s2
	s_waitcnt lgkmcnt(0)
	s_waitcnt_vscnt null, 0x0
	s_barrier
	buffer_gl0_inv
	s_clause 0x6
	scratch_load_b128 v[6:9], off, off offset:208
	scratch_load_b128 v[73:76], off, off offset:224
	;; [unrolled: 1-line block ×7, first 2 shown]
	v_mov_b32_e32 v1, 0
	scratch_load_b128 v[101:104], off, off offset:192
	s_mov_b32 s2, exec_lo
	ds_load_b128 v[97:100], v1 offset:528
	ds_load_b128 v[105:108], v1 offset:544
	s_waitcnt vmcnt(7) lgkmcnt(1)
	v_mul_f64 v[2:3], v[99:100], v[8:9]
	v_mul_f64 v[8:9], v[97:98], v[8:9]
	s_waitcnt vmcnt(6) lgkmcnt(0)
	v_mul_f64 v[10:11], v[105:106], v[75:76]
	v_mul_f64 v[75:76], v[107:108], v[75:76]
	s_delay_alu instid0(VALU_DEP_4) | instskip(NEXT) | instid1(VALU_DEP_4)
	v_fma_f64 v[2:3], v[97:98], v[6:7], -v[2:3]
	v_fma_f64 v[109:110], v[99:100], v[6:7], v[8:9]
	ds_load_b128 v[6:9], v1 offset:560
	ds_load_b128 v[97:100], v1 offset:576
	v_fma_f64 v[10:11], v[107:108], v[73:74], v[10:11]
	v_fma_f64 v[73:74], v[105:106], v[73:74], -v[75:76]
	s_waitcnt vmcnt(5) lgkmcnt(1)
	v_mul_f64 v[111:112], v[6:7], v[79:80]
	v_mul_f64 v[79:80], v[8:9], v[79:80]
	s_waitcnt vmcnt(4) lgkmcnt(0)
	v_mul_f64 v[105:106], v[97:98], v[83:84]
	v_mul_f64 v[83:84], v[99:100], v[83:84]
	v_add_f64 v[2:3], v[2:3], 0
	v_add_f64 v[75:76], v[109:110], 0
	v_fma_f64 v[107:108], v[8:9], v[77:78], v[111:112]
	v_fma_f64 v[77:78], v[6:7], v[77:78], -v[79:80]
	v_fma_f64 v[99:100], v[99:100], v[81:82], v[105:106]
	v_fma_f64 v[81:82], v[97:98], v[81:82], -v[83:84]
	v_add_f64 v[2:3], v[2:3], v[73:74]
	v_add_f64 v[10:11], v[75:76], v[10:11]
	ds_load_b128 v[6:9], v1 offset:592
	ds_load_b128 v[73:76], v1 offset:608
	s_waitcnt vmcnt(3) lgkmcnt(1)
	v_mul_f64 v[79:80], v[6:7], v[87:88]
	v_mul_f64 v[87:88], v[8:9], v[87:88]
	s_waitcnt vmcnt(2) lgkmcnt(0)
	v_mul_f64 v[83:84], v[75:76], v[91:92]
	v_add_f64 v[2:3], v[2:3], v[77:78]
	v_add_f64 v[10:11], v[10:11], v[107:108]
	v_mul_f64 v[77:78], v[73:74], v[91:92]
	v_fma_f64 v[79:80], v[8:9], v[85:86], v[79:80]
	v_fma_f64 v[85:86], v[6:7], v[85:86], -v[87:88]
	ds_load_b128 v[6:9], v1 offset:624
	v_fma_f64 v[73:74], v[73:74], v[89:90], -v[83:84]
	v_add_f64 v[2:3], v[2:3], v[81:82]
	v_add_f64 v[10:11], v[10:11], v[99:100]
	v_fma_f64 v[75:76], v[75:76], v[89:90], v[77:78]
	s_waitcnt vmcnt(1) lgkmcnt(0)
	v_mul_f64 v[81:82], v[6:7], v[95:96]
	v_mul_f64 v[87:88], v[8:9], v[95:96]
	v_add_f64 v[2:3], v[2:3], v[85:86]
	v_add_f64 v[10:11], v[10:11], v[79:80]
	s_delay_alu instid0(VALU_DEP_4) | instskip(NEXT) | instid1(VALU_DEP_4)
	v_fma_f64 v[8:9], v[8:9], v[93:94], v[81:82]
	v_fma_f64 v[6:7], v[6:7], v[93:94], -v[87:88]
	s_delay_alu instid0(VALU_DEP_4) | instskip(NEXT) | instid1(VALU_DEP_4)
	v_add_f64 v[2:3], v[2:3], v[73:74]
	v_add_f64 v[10:11], v[10:11], v[75:76]
	s_delay_alu instid0(VALU_DEP_2) | instskip(NEXT) | instid1(VALU_DEP_2)
	v_add_f64 v[2:3], v[2:3], v[6:7]
	v_add_f64 v[8:9], v[10:11], v[8:9]
	s_waitcnt vmcnt(0)
	s_delay_alu instid0(VALU_DEP_2) | instskip(NEXT) | instid1(VALU_DEP_2)
	v_add_f64 v[6:7], v[101:102], -v[2:3]
	v_add_f64 v[8:9], v[103:104], -v[8:9]
	scratch_store_b128 off, v[6:9], off offset:192
	v_cmpx_lt_u32_e32 11, v53
	s_cbranch_execz .LBB83_111
; %bb.110:
	scratch_load_b128 v[6:9], v63, off
	v_mov_b32_e32 v2, v1
	v_mov_b32_e32 v3, v1
	;; [unrolled: 1-line block ×3, first 2 shown]
	scratch_store_b128 off, v[1:4], off offset:176
	s_waitcnt vmcnt(0)
	ds_store_b128 v5, v[6:9]
.LBB83_111:
	s_or_b32 exec_lo, exec_lo, s2
	s_waitcnt lgkmcnt(0)
	s_waitcnt_vscnt null, 0x0
	s_barrier
	buffer_gl0_inv
	s_clause 0x7
	scratch_load_b128 v[6:9], off, off offset:192
	scratch_load_b128 v[73:76], off, off offset:208
	;; [unrolled: 1-line block ×8, first 2 shown]
	ds_load_b128 v[101:104], v1 offset:512
	ds_load_b128 v[105:108], v1 offset:528
	scratch_load_b128 v[109:112], off, off offset:176
	s_mov_b32 s2, exec_lo
	s_waitcnt vmcnt(8) lgkmcnt(1)
	v_mul_f64 v[2:3], v[103:104], v[8:9]
	v_mul_f64 v[8:9], v[101:102], v[8:9]
	s_waitcnt vmcnt(7) lgkmcnt(0)
	v_mul_f64 v[10:11], v[105:106], v[75:76]
	v_mul_f64 v[75:76], v[107:108], v[75:76]
	s_delay_alu instid0(VALU_DEP_4) | instskip(NEXT) | instid1(VALU_DEP_4)
	v_fma_f64 v[2:3], v[101:102], v[6:7], -v[2:3]
	v_fma_f64 v[113:114], v[103:104], v[6:7], v[8:9]
	ds_load_b128 v[6:9], v1 offset:544
	ds_load_b128 v[101:104], v1 offset:560
	v_fma_f64 v[10:11], v[107:108], v[73:74], v[10:11]
	v_fma_f64 v[73:74], v[105:106], v[73:74], -v[75:76]
	s_waitcnt vmcnt(6) lgkmcnt(1)
	v_mul_f64 v[115:116], v[6:7], v[79:80]
	v_mul_f64 v[79:80], v[8:9], v[79:80]
	s_waitcnt vmcnt(5) lgkmcnt(0)
	v_mul_f64 v[105:106], v[101:102], v[83:84]
	v_mul_f64 v[83:84], v[103:104], v[83:84]
	v_add_f64 v[2:3], v[2:3], 0
	v_add_f64 v[75:76], v[113:114], 0
	v_fma_f64 v[107:108], v[8:9], v[77:78], v[115:116]
	v_fma_f64 v[77:78], v[6:7], v[77:78], -v[79:80]
	v_fma_f64 v[103:104], v[103:104], v[81:82], v[105:106]
	v_fma_f64 v[81:82], v[101:102], v[81:82], -v[83:84]
	v_add_f64 v[2:3], v[2:3], v[73:74]
	v_add_f64 v[10:11], v[75:76], v[10:11]
	ds_load_b128 v[6:9], v1 offset:576
	ds_load_b128 v[73:76], v1 offset:592
	s_waitcnt vmcnt(4) lgkmcnt(1)
	v_mul_f64 v[79:80], v[6:7], v[87:88]
	v_mul_f64 v[87:88], v[8:9], v[87:88]
	s_waitcnt vmcnt(3) lgkmcnt(0)
	v_mul_f64 v[83:84], v[75:76], v[91:92]
	v_add_f64 v[2:3], v[2:3], v[77:78]
	v_add_f64 v[10:11], v[10:11], v[107:108]
	v_mul_f64 v[77:78], v[73:74], v[91:92]
	v_fma_f64 v[79:80], v[8:9], v[85:86], v[79:80]
	v_fma_f64 v[85:86], v[6:7], v[85:86], -v[87:88]
	v_fma_f64 v[73:74], v[73:74], v[89:90], -v[83:84]
	v_add_f64 v[81:82], v[2:3], v[81:82]
	v_add_f64 v[10:11], v[10:11], v[103:104]
	ds_load_b128 v[6:9], v1 offset:608
	ds_load_b128 v[1:4], v1 offset:624
	v_fma_f64 v[75:76], v[75:76], v[89:90], v[77:78]
	s_waitcnt vmcnt(2) lgkmcnt(1)
	v_mul_f64 v[87:88], v[6:7], v[95:96]
	v_mul_f64 v[91:92], v[8:9], v[95:96]
	v_add_f64 v[77:78], v[81:82], v[85:86]
	v_add_f64 v[10:11], v[10:11], v[79:80]
	s_waitcnt vmcnt(1) lgkmcnt(0)
	v_mul_f64 v[79:80], v[1:2], v[99:100]
	v_mul_f64 v[81:82], v[3:4], v[99:100]
	v_fma_f64 v[8:9], v[8:9], v[93:94], v[87:88]
	v_fma_f64 v[6:7], v[6:7], v[93:94], -v[91:92]
	v_add_f64 v[73:74], v[77:78], v[73:74]
	v_add_f64 v[10:11], v[10:11], v[75:76]
	v_fma_f64 v[3:4], v[3:4], v[97:98], v[79:80]
	v_fma_f64 v[1:2], v[1:2], v[97:98], -v[81:82]
	s_delay_alu instid0(VALU_DEP_4) | instskip(NEXT) | instid1(VALU_DEP_4)
	v_add_f64 v[6:7], v[73:74], v[6:7]
	v_add_f64 v[8:9], v[10:11], v[8:9]
	s_delay_alu instid0(VALU_DEP_2) | instskip(NEXT) | instid1(VALU_DEP_2)
	v_add_f64 v[1:2], v[6:7], v[1:2]
	v_add_f64 v[3:4], v[8:9], v[3:4]
	s_waitcnt vmcnt(0)
	s_delay_alu instid0(VALU_DEP_2) | instskip(NEXT) | instid1(VALU_DEP_2)
	v_add_f64 v[1:2], v[109:110], -v[1:2]
	v_add_f64 v[3:4], v[111:112], -v[3:4]
	scratch_store_b128 off, v[1:4], off offset:176
	v_cmpx_lt_u32_e32 10, v53
	s_cbranch_execz .LBB83_113
; %bb.112:
	scratch_load_b128 v[1:4], v64, off
	v_mov_b32_e32 v6, 0
	s_delay_alu instid0(VALU_DEP_1)
	v_mov_b32_e32 v7, v6
	v_mov_b32_e32 v8, v6
	;; [unrolled: 1-line block ×3, first 2 shown]
	scratch_store_b128 off, v[6:9], off offset:160
	s_waitcnt vmcnt(0)
	ds_store_b128 v5, v[1:4]
.LBB83_113:
	s_or_b32 exec_lo, exec_lo, s2
	s_waitcnt lgkmcnt(0)
	s_waitcnt_vscnt null, 0x0
	s_barrier
	buffer_gl0_inv
	s_clause 0x7
	scratch_load_b128 v[6:9], off, off offset:176
	scratch_load_b128 v[73:76], off, off offset:192
	;; [unrolled: 1-line block ×8, first 2 shown]
	v_mov_b32_e32 v1, 0
	scratch_load_b128 v[105:108], off, off offset:304
	s_mov_b32 s2, exec_lo
	ds_load_b128 v[101:104], v1 offset:496
	s_waitcnt vmcnt(8) lgkmcnt(0)
	v_mul_f64 v[2:3], v[103:104], v[8:9]
	v_mul_f64 v[109:110], v[101:102], v[8:9]
	ds_load_b128 v[8:11], v1 offset:512
	v_fma_f64 v[2:3], v[101:102], v[6:7], -v[2:3]
	v_fma_f64 v[6:7], v[103:104], v[6:7], v[109:110]
	ds_load_b128 v[101:104], v1 offset:528
	s_waitcnt vmcnt(7) lgkmcnt(1)
	v_mul_f64 v[111:112], v[8:9], v[75:76]
	v_mul_f64 v[75:76], v[10:11], v[75:76]
	s_waitcnt vmcnt(6) lgkmcnt(0)
	v_mul_f64 v[109:110], v[101:102], v[79:80]
	v_mul_f64 v[79:80], v[103:104], v[79:80]
	v_add_f64 v[2:3], v[2:3], 0
	v_add_f64 v[113:114], v[6:7], 0
	v_fma_f64 v[10:11], v[10:11], v[73:74], v[111:112]
	v_fma_f64 v[111:112], v[8:9], v[73:74], -v[75:76]
	ds_load_b128 v[6:9], v1 offset:544
	scratch_load_b128 v[73:76], off, off offset:160
	v_fma_f64 v[103:104], v[103:104], v[77:78], v[109:110]
	v_fma_f64 v[101:102], v[101:102], v[77:78], -v[79:80]
	ds_load_b128 v[77:80], v1 offset:560
	s_waitcnt vmcnt(6) lgkmcnt(1)
	v_mul_f64 v[115:116], v[6:7], v[83:84]
	v_mul_f64 v[83:84], v[8:9], v[83:84]
	v_add_f64 v[10:11], v[113:114], v[10:11]
	v_add_f64 v[2:3], v[2:3], v[111:112]
	s_waitcnt vmcnt(5) lgkmcnt(0)
	v_mul_f64 v[109:110], v[77:78], v[87:88]
	v_mul_f64 v[87:88], v[79:80], v[87:88]
	v_fma_f64 v[111:112], v[8:9], v[81:82], v[115:116]
	v_fma_f64 v[81:82], v[6:7], v[81:82], -v[83:84]
	ds_load_b128 v[6:9], v1 offset:576
	v_add_f64 v[10:11], v[10:11], v[103:104]
	v_add_f64 v[2:3], v[2:3], v[101:102]
	v_fma_f64 v[101:102], v[79:80], v[85:86], v[109:110]
	v_fma_f64 v[85:86], v[77:78], v[85:86], -v[87:88]
	ds_load_b128 v[77:80], v1 offset:592
	s_waitcnt vmcnt(4) lgkmcnt(1)
	v_mul_f64 v[83:84], v[6:7], v[91:92]
	v_mul_f64 v[91:92], v[8:9], v[91:92]
	s_waitcnt vmcnt(3) lgkmcnt(0)
	v_mul_f64 v[87:88], v[79:80], v[95:96]
	v_add_f64 v[10:11], v[10:11], v[111:112]
	v_add_f64 v[2:3], v[2:3], v[81:82]
	v_mul_f64 v[81:82], v[77:78], v[95:96]
	v_fma_f64 v[83:84], v[8:9], v[89:90], v[83:84]
	v_fma_f64 v[89:90], v[6:7], v[89:90], -v[91:92]
	ds_load_b128 v[6:9], v1 offset:608
	v_fma_f64 v[87:88], v[77:78], v[93:94], -v[87:88]
	v_add_f64 v[10:11], v[10:11], v[101:102]
	v_add_f64 v[2:3], v[2:3], v[85:86]
	v_fma_f64 v[81:82], v[79:80], v[93:94], v[81:82]
	ds_load_b128 v[77:80], v1 offset:624
	s_waitcnt vmcnt(2) lgkmcnt(1)
	v_mul_f64 v[85:86], v[6:7], v[99:100]
	v_mul_f64 v[91:92], v[8:9], v[99:100]
	v_add_f64 v[10:11], v[10:11], v[83:84]
	v_add_f64 v[2:3], v[2:3], v[89:90]
	s_waitcnt vmcnt(1) lgkmcnt(0)
	v_mul_f64 v[83:84], v[77:78], v[107:108]
	v_mul_f64 v[89:90], v[79:80], v[107:108]
	v_fma_f64 v[8:9], v[8:9], v[97:98], v[85:86]
	v_fma_f64 v[6:7], v[6:7], v[97:98], -v[91:92]
	v_add_f64 v[10:11], v[10:11], v[81:82]
	v_add_f64 v[2:3], v[2:3], v[87:88]
	v_fma_f64 v[79:80], v[79:80], v[105:106], v[83:84]
	v_fma_f64 v[77:78], v[77:78], v[105:106], -v[89:90]
	s_delay_alu instid0(VALU_DEP_3) | instskip(SKIP_1) | instid1(VALU_DEP_2)
	v_add_f64 v[2:3], v[2:3], v[6:7]
	v_add_f64 v[6:7], v[10:11], v[8:9]
	;; [unrolled: 1-line block ×3, first 2 shown]
	s_delay_alu instid0(VALU_DEP_2) | instskip(SKIP_1) | instid1(VALU_DEP_2)
	v_add_f64 v[8:9], v[6:7], v[79:80]
	s_waitcnt vmcnt(0)
	v_add_f64 v[6:7], v[73:74], -v[2:3]
	s_delay_alu instid0(VALU_DEP_2)
	v_add_f64 v[8:9], v[75:76], -v[8:9]
	scratch_store_b128 off, v[6:9], off offset:160
	v_cmpx_lt_u32_e32 9, v53
	s_cbranch_execz .LBB83_115
; %bb.114:
	scratch_load_b128 v[6:9], v61, off
	v_mov_b32_e32 v2, v1
	v_mov_b32_e32 v3, v1
	;; [unrolled: 1-line block ×3, first 2 shown]
	scratch_store_b128 off, v[1:4], off offset:144
	s_waitcnt vmcnt(0)
	ds_store_b128 v5, v[6:9]
.LBB83_115:
	s_or_b32 exec_lo, exec_lo, s2
	s_waitcnt lgkmcnt(0)
	s_waitcnt_vscnt null, 0x0
	s_barrier
	buffer_gl0_inv
	s_clause 0x7
	scratch_load_b128 v[6:9], off, off offset:160
	scratch_load_b128 v[73:76], off, off offset:176
	;; [unrolled: 1-line block ×8, first 2 shown]
	ds_load_b128 v[101:104], v1 offset:480
	s_clause 0x1
	scratch_load_b128 v[105:108], off, off offset:288
	scratch_load_b128 v[109:112], off, off offset:304
	s_mov_b32 s2, exec_lo
	s_waitcnt vmcnt(9) lgkmcnt(0)
	v_mul_f64 v[2:3], v[103:104], v[8:9]
	v_mul_f64 v[113:114], v[101:102], v[8:9]
	ds_load_b128 v[8:11], v1 offset:496
	v_fma_f64 v[2:3], v[101:102], v[6:7], -v[2:3]
	v_fma_f64 v[6:7], v[103:104], v[6:7], v[113:114]
	ds_load_b128 v[101:104], v1 offset:512
	s_waitcnt vmcnt(8) lgkmcnt(1)
	v_mul_f64 v[115:116], v[8:9], v[75:76]
	v_mul_f64 v[75:76], v[10:11], v[75:76]
	s_waitcnt vmcnt(7) lgkmcnt(0)
	v_mul_f64 v[113:114], v[101:102], v[79:80]
	v_mul_f64 v[79:80], v[103:104], v[79:80]
	v_add_f64 v[2:3], v[2:3], 0
	v_fma_f64 v[10:11], v[10:11], v[73:74], v[115:116]
	v_fma_f64 v[73:74], v[8:9], v[73:74], -v[75:76]
	v_add_f64 v[75:76], v[6:7], 0
	ds_load_b128 v[6:9], v1 offset:528
	v_fma_f64 v[103:104], v[103:104], v[77:78], v[113:114]
	v_fma_f64 v[101:102], v[101:102], v[77:78], -v[79:80]
	scratch_load_b128 v[77:80], off, off offset:144
	v_add_f64 v[2:3], v[2:3], v[73:74]
	v_add_f64 v[10:11], v[75:76], v[10:11]
	ds_load_b128 v[73:76], v1 offset:544
	s_waitcnt vmcnt(7) lgkmcnt(1)
	v_mul_f64 v[115:116], v[6:7], v[83:84]
	v_mul_f64 v[83:84], v[8:9], v[83:84]
	s_waitcnt vmcnt(6) lgkmcnt(0)
	v_mul_f64 v[113:114], v[73:74], v[87:88]
	v_mul_f64 v[87:88], v[75:76], v[87:88]
	v_add_f64 v[2:3], v[2:3], v[101:102]
	v_add_f64 v[10:11], v[10:11], v[103:104]
	v_fma_f64 v[115:116], v[8:9], v[81:82], v[115:116]
	v_fma_f64 v[81:82], v[6:7], v[81:82], -v[83:84]
	ds_load_b128 v[6:9], v1 offset:560
	v_fma_f64 v[101:102], v[75:76], v[85:86], v[113:114]
	v_fma_f64 v[85:86], v[73:74], v[85:86], -v[87:88]
	ds_load_b128 v[73:76], v1 offset:576
	s_waitcnt vmcnt(5) lgkmcnt(1)
	v_mul_f64 v[83:84], v[6:7], v[91:92]
	v_mul_f64 v[91:92], v[8:9], v[91:92]
	v_add_f64 v[10:11], v[10:11], v[115:116]
	v_add_f64 v[2:3], v[2:3], v[81:82]
	s_waitcnt vmcnt(4) lgkmcnt(0)
	v_mul_f64 v[81:82], v[73:74], v[95:96]
	v_mul_f64 v[87:88], v[75:76], v[95:96]
	v_fma_f64 v[83:84], v[8:9], v[89:90], v[83:84]
	v_fma_f64 v[89:90], v[6:7], v[89:90], -v[91:92]
	ds_load_b128 v[6:9], v1 offset:592
	v_add_f64 v[10:11], v[10:11], v[101:102]
	v_add_f64 v[2:3], v[2:3], v[85:86]
	v_fma_f64 v[81:82], v[75:76], v[93:94], v[81:82]
	v_fma_f64 v[87:88], v[73:74], v[93:94], -v[87:88]
	ds_load_b128 v[73:76], v1 offset:608
	s_waitcnt vmcnt(3) lgkmcnt(1)
	v_mul_f64 v[85:86], v[6:7], v[99:100]
	v_mul_f64 v[91:92], v[8:9], v[99:100]
	v_add_f64 v[10:11], v[10:11], v[83:84]
	v_add_f64 v[2:3], v[2:3], v[89:90]
	s_waitcnt vmcnt(2) lgkmcnt(0)
	v_mul_f64 v[83:84], v[73:74], v[107:108]
	v_mul_f64 v[89:90], v[75:76], v[107:108]
	v_fma_f64 v[8:9], v[8:9], v[97:98], v[85:86]
	v_fma_f64 v[6:7], v[6:7], v[97:98], -v[91:92]
	v_add_f64 v[10:11], v[10:11], v[81:82]
	v_add_f64 v[85:86], v[2:3], v[87:88]
	ds_load_b128 v[1:4], v1 offset:624
	v_fma_f64 v[75:76], v[75:76], v[105:106], v[83:84]
	v_fma_f64 v[73:74], v[73:74], v[105:106], -v[89:90]
	s_waitcnt vmcnt(1) lgkmcnt(0)
	v_mul_f64 v[81:82], v[1:2], v[111:112]
	v_mul_f64 v[87:88], v[3:4], v[111:112]
	v_add_f64 v[8:9], v[10:11], v[8:9]
	v_add_f64 v[6:7], v[85:86], v[6:7]
	s_delay_alu instid0(VALU_DEP_4) | instskip(NEXT) | instid1(VALU_DEP_4)
	v_fma_f64 v[3:4], v[3:4], v[109:110], v[81:82]
	v_fma_f64 v[1:2], v[1:2], v[109:110], -v[87:88]
	s_delay_alu instid0(VALU_DEP_4) | instskip(NEXT) | instid1(VALU_DEP_4)
	v_add_f64 v[8:9], v[8:9], v[75:76]
	v_add_f64 v[6:7], v[6:7], v[73:74]
	s_delay_alu instid0(VALU_DEP_2) | instskip(NEXT) | instid1(VALU_DEP_2)
	v_add_f64 v[3:4], v[8:9], v[3:4]
	v_add_f64 v[1:2], v[6:7], v[1:2]
	s_waitcnt vmcnt(0)
	s_delay_alu instid0(VALU_DEP_2) | instskip(NEXT) | instid1(VALU_DEP_2)
	v_add_f64 v[3:4], v[79:80], -v[3:4]
	v_add_f64 v[1:2], v[77:78], -v[1:2]
	scratch_store_b128 off, v[1:4], off offset:144
	v_cmpx_lt_u32_e32 8, v53
	s_cbranch_execz .LBB83_117
; %bb.116:
	scratch_load_b128 v[1:4], v59, off
	v_mov_b32_e32 v6, 0
	s_delay_alu instid0(VALU_DEP_1)
	v_mov_b32_e32 v7, v6
	v_mov_b32_e32 v8, v6
	;; [unrolled: 1-line block ×3, first 2 shown]
	scratch_store_b128 off, v[6:9], off offset:128
	s_waitcnt vmcnt(0)
	ds_store_b128 v5, v[1:4]
.LBB83_117:
	s_or_b32 exec_lo, exec_lo, s2
	s_waitcnt lgkmcnt(0)
	s_waitcnt_vscnt null, 0x0
	s_barrier
	buffer_gl0_inv
	s_clause 0x7
	scratch_load_b128 v[6:9], off, off offset:144
	scratch_load_b128 v[73:76], off, off offset:160
	;; [unrolled: 1-line block ×8, first 2 shown]
	v_mov_b32_e32 v1, 0
	s_clause 0x1
	scratch_load_b128 v[105:108], off, off offset:272
	scratch_load_b128 v[109:112], off, off offset:288
	s_mov_b32 s2, exec_lo
	ds_load_b128 v[101:104], v1 offset:464
	s_waitcnt vmcnt(9) lgkmcnt(0)
	v_mul_f64 v[2:3], v[103:104], v[8:9]
	v_mul_f64 v[113:114], v[101:102], v[8:9]
	ds_load_b128 v[8:11], v1 offset:480
	v_fma_f64 v[2:3], v[101:102], v[6:7], -v[2:3]
	v_fma_f64 v[6:7], v[103:104], v[6:7], v[113:114]
	ds_load_b128 v[101:104], v1 offset:496
	s_waitcnt vmcnt(8) lgkmcnt(1)
	v_mul_f64 v[117:118], v[8:9], v[75:76]
	v_mul_f64 v[75:76], v[10:11], v[75:76]
	scratch_load_b128 v[113:116], off, off offset:304
	s_waitcnt vmcnt(8) lgkmcnt(0)
	v_mul_f64 v[119:120], v[101:102], v[79:80]
	v_mul_f64 v[79:80], v[103:104], v[79:80]
	v_add_f64 v[2:3], v[2:3], 0
	v_fma_f64 v[10:11], v[10:11], v[73:74], v[117:118]
	v_fma_f64 v[73:74], v[8:9], v[73:74], -v[75:76]
	v_add_f64 v[75:76], v[6:7], 0
	ds_load_b128 v[6:9], v1 offset:512
	v_fma_f64 v[103:104], v[103:104], v[77:78], v[119:120]
	v_fma_f64 v[77:78], v[101:102], v[77:78], -v[79:80]
	v_add_f64 v[2:3], v[2:3], v[73:74]
	v_add_f64 v[10:11], v[75:76], v[10:11]
	ds_load_b128 v[73:76], v1 offset:528
	s_waitcnt vmcnt(7) lgkmcnt(1)
	v_mul_f64 v[117:118], v[6:7], v[83:84]
	v_mul_f64 v[83:84], v[8:9], v[83:84]
	s_waitcnt vmcnt(6) lgkmcnt(0)
	v_mul_f64 v[101:102], v[73:74], v[87:88]
	v_mul_f64 v[87:88], v[75:76], v[87:88]
	v_add_f64 v[2:3], v[2:3], v[77:78]
	v_add_f64 v[10:11], v[10:11], v[103:104]
	scratch_load_b128 v[77:80], off, off offset:128
	v_fma_f64 v[117:118], v[8:9], v[81:82], v[117:118]
	v_fma_f64 v[81:82], v[6:7], v[81:82], -v[83:84]
	ds_load_b128 v[6:9], v1 offset:544
	v_fma_f64 v[101:102], v[75:76], v[85:86], v[101:102]
	v_fma_f64 v[85:86], v[73:74], v[85:86], -v[87:88]
	ds_load_b128 v[73:76], v1 offset:560
	s_waitcnt vmcnt(6) lgkmcnt(1)
	v_mul_f64 v[83:84], v[6:7], v[91:92]
	v_mul_f64 v[91:92], v[8:9], v[91:92]
	v_add_f64 v[10:11], v[10:11], v[117:118]
	v_add_f64 v[2:3], v[2:3], v[81:82]
	s_waitcnt vmcnt(5) lgkmcnt(0)
	v_mul_f64 v[81:82], v[73:74], v[95:96]
	v_mul_f64 v[87:88], v[75:76], v[95:96]
	v_fma_f64 v[83:84], v[8:9], v[89:90], v[83:84]
	v_fma_f64 v[89:90], v[6:7], v[89:90], -v[91:92]
	ds_load_b128 v[6:9], v1 offset:576
	v_add_f64 v[10:11], v[10:11], v[101:102]
	v_add_f64 v[2:3], v[2:3], v[85:86]
	v_fma_f64 v[81:82], v[75:76], v[93:94], v[81:82]
	v_fma_f64 v[87:88], v[73:74], v[93:94], -v[87:88]
	ds_load_b128 v[73:76], v1 offset:592
	s_waitcnt vmcnt(4) lgkmcnt(1)
	v_mul_f64 v[85:86], v[6:7], v[99:100]
	v_mul_f64 v[91:92], v[8:9], v[99:100]
	v_add_f64 v[10:11], v[10:11], v[83:84]
	v_add_f64 v[2:3], v[2:3], v[89:90]
	s_waitcnt vmcnt(3) lgkmcnt(0)
	v_mul_f64 v[83:84], v[73:74], v[107:108]
	v_mul_f64 v[89:90], v[75:76], v[107:108]
	v_fma_f64 v[85:86], v[8:9], v[97:98], v[85:86]
	v_fma_f64 v[91:92], v[6:7], v[97:98], -v[91:92]
	ds_load_b128 v[6:9], v1 offset:608
	v_add_f64 v[10:11], v[10:11], v[81:82]
	v_add_f64 v[2:3], v[2:3], v[87:88]
	v_fma_f64 v[83:84], v[75:76], v[105:106], v[83:84]
	v_fma_f64 v[89:90], v[73:74], v[105:106], -v[89:90]
	ds_load_b128 v[73:76], v1 offset:624
	s_waitcnt vmcnt(2) lgkmcnt(1)
	v_mul_f64 v[81:82], v[6:7], v[111:112]
	v_mul_f64 v[87:88], v[8:9], v[111:112]
	v_add_f64 v[10:11], v[10:11], v[85:86]
	v_add_f64 v[2:3], v[2:3], v[91:92]
	s_delay_alu instid0(VALU_DEP_4) | instskip(NEXT) | instid1(VALU_DEP_4)
	v_fma_f64 v[8:9], v[8:9], v[109:110], v[81:82]
	v_fma_f64 v[6:7], v[6:7], v[109:110], -v[87:88]
	s_waitcnt vmcnt(1) lgkmcnt(0)
	v_mul_f64 v[85:86], v[73:74], v[115:116]
	v_mul_f64 v[91:92], v[75:76], v[115:116]
	v_add_f64 v[10:11], v[10:11], v[83:84]
	v_add_f64 v[2:3], v[2:3], v[89:90]
	s_delay_alu instid0(VALU_DEP_4) | instskip(NEXT) | instid1(VALU_DEP_4)
	v_fma_f64 v[75:76], v[75:76], v[113:114], v[85:86]
	v_fma_f64 v[73:74], v[73:74], v[113:114], -v[91:92]
	s_delay_alu instid0(VALU_DEP_3) | instskip(SKIP_1) | instid1(VALU_DEP_2)
	v_add_f64 v[2:3], v[2:3], v[6:7]
	v_add_f64 v[6:7], v[10:11], v[8:9]
	;; [unrolled: 1-line block ×3, first 2 shown]
	s_delay_alu instid0(VALU_DEP_2) | instskip(SKIP_1) | instid1(VALU_DEP_2)
	v_add_f64 v[8:9], v[6:7], v[75:76]
	s_waitcnt vmcnt(0)
	v_add_f64 v[6:7], v[77:78], -v[2:3]
	s_delay_alu instid0(VALU_DEP_2)
	v_add_f64 v[8:9], v[79:80], -v[8:9]
	scratch_store_b128 off, v[6:9], off offset:128
	v_cmpx_lt_u32_e32 7, v53
	s_cbranch_execz .LBB83_119
; %bb.118:
	scratch_load_b128 v[6:9], v62, off
	v_mov_b32_e32 v2, v1
	v_mov_b32_e32 v3, v1
	;; [unrolled: 1-line block ×3, first 2 shown]
	scratch_store_b128 off, v[1:4], off offset:112
	s_waitcnt vmcnt(0)
	ds_store_b128 v5, v[6:9]
.LBB83_119:
	s_or_b32 exec_lo, exec_lo, s2
	s_waitcnt lgkmcnt(0)
	s_waitcnt_vscnt null, 0x0
	s_barrier
	buffer_gl0_inv
	s_clause 0x8
	scratch_load_b128 v[6:9], off, off offset:128
	scratch_load_b128 v[73:76], off, off offset:144
	;; [unrolled: 1-line block ×9, first 2 shown]
	ds_load_b128 v[105:108], v1 offset:448
	ds_load_b128 v[109:112], v1 offset:464
	scratch_load_b128 v[113:116], off, off offset:112
	s_mov_b32 s2, exec_lo
	ds_load_b128 v[121:124], v1 offset:496
	s_waitcnt vmcnt(9) lgkmcnt(2)
	v_mul_f64 v[2:3], v[107:108], v[8:9]
	v_mul_f64 v[117:118], v[105:106], v[8:9]
	scratch_load_b128 v[8:11], off, off offset:272
	s_waitcnt vmcnt(9) lgkmcnt(1)
	v_mul_f64 v[125:126], v[109:110], v[75:76]
	v_mul_f64 v[75:76], v[111:112], v[75:76]
	v_fma_f64 v[2:3], v[105:106], v[6:7], -v[2:3]
	v_fma_f64 v[6:7], v[107:108], v[6:7], v[117:118]
	ds_load_b128 v[105:108], v1 offset:480
	scratch_load_b128 v[117:120], off, off offset:288
	v_fma_f64 v[111:112], v[111:112], v[73:74], v[125:126]
	v_fma_f64 v[109:110], v[109:110], v[73:74], -v[75:76]
	scratch_load_b128 v[73:76], off, off offset:304
	s_waitcnt vmcnt(9) lgkmcnt(1)
	v_mul_f64 v[125:126], v[121:122], v[83:84]
	v_mul_f64 v[83:84], v[123:124], v[83:84]
	s_waitcnt lgkmcnt(0)
	v_mul_f64 v[127:128], v[105:106], v[79:80]
	v_mul_f64 v[79:80], v[107:108], v[79:80]
	v_add_f64 v[2:3], v[2:3], 0
	v_add_f64 v[6:7], v[6:7], 0
	s_delay_alu instid0(VALU_DEP_4) | instskip(NEXT) | instid1(VALU_DEP_4)
	v_fma_f64 v[127:128], v[107:108], v[77:78], v[127:128]
	v_fma_f64 v[129:130], v[105:106], v[77:78], -v[79:80]
	ds_load_b128 v[77:80], v1 offset:512
	ds_load_b128 v[105:108], v1 offset:528
	v_add_f64 v[2:3], v[2:3], v[109:110]
	v_add_f64 v[6:7], v[6:7], v[111:112]
	v_fma_f64 v[111:112], v[123:124], v[81:82], v[125:126]
	v_fma_f64 v[81:82], v[121:122], v[81:82], -v[83:84]
	s_waitcnt vmcnt(8) lgkmcnt(1)
	v_mul_f64 v[109:110], v[77:78], v[87:88]
	v_mul_f64 v[87:88], v[79:80], v[87:88]
	s_waitcnt vmcnt(7) lgkmcnt(0)
	v_mul_f64 v[121:122], v[105:106], v[91:92]
	v_mul_f64 v[91:92], v[107:108], v[91:92]
	v_add_f64 v[2:3], v[2:3], v[129:130]
	v_add_f64 v[6:7], v[6:7], v[127:128]
	v_fma_f64 v[109:110], v[79:80], v[85:86], v[109:110]
	v_fma_f64 v[85:86], v[77:78], v[85:86], -v[87:88]
	v_fma_f64 v[107:108], v[107:108], v[89:90], v[121:122]
	v_fma_f64 v[89:90], v[105:106], v[89:90], -v[91:92]
	v_add_f64 v[2:3], v[2:3], v[81:82]
	v_add_f64 v[6:7], v[6:7], v[111:112]
	ds_load_b128 v[77:80], v1 offset:544
	ds_load_b128 v[81:84], v1 offset:560
	s_waitcnt vmcnt(6) lgkmcnt(1)
	v_mul_f64 v[87:88], v[77:78], v[95:96]
	v_mul_f64 v[95:96], v[79:80], v[95:96]
	s_waitcnt vmcnt(5) lgkmcnt(0)
	v_mul_f64 v[91:92], v[81:82], v[99:100]
	v_mul_f64 v[99:100], v[83:84], v[99:100]
	v_add_f64 v[2:3], v[2:3], v[85:86]
	v_add_f64 v[6:7], v[6:7], v[109:110]
	v_fma_f64 v[105:106], v[79:80], v[93:94], v[87:88]
	v_fma_f64 v[93:94], v[77:78], v[93:94], -v[95:96]
	ds_load_b128 v[77:80], v1 offset:576
	ds_load_b128 v[85:88], v1 offset:592
	v_fma_f64 v[83:84], v[83:84], v[97:98], v[91:92]
	v_fma_f64 v[81:82], v[81:82], v[97:98], -v[99:100]
	v_add_f64 v[2:3], v[2:3], v[89:90]
	v_add_f64 v[6:7], v[6:7], v[107:108]
	s_waitcnt vmcnt(4) lgkmcnt(1)
	v_mul_f64 v[89:90], v[77:78], v[103:104]
	v_mul_f64 v[95:96], v[79:80], v[103:104]
	s_delay_alu instid0(VALU_DEP_4) | instskip(NEXT) | instid1(VALU_DEP_4)
	v_add_f64 v[2:3], v[2:3], v[93:94]
	v_add_f64 v[6:7], v[6:7], v[105:106]
	s_delay_alu instid0(VALU_DEP_4) | instskip(NEXT) | instid1(VALU_DEP_4)
	v_fma_f64 v[89:90], v[79:80], v[101:102], v[89:90]
	v_fma_f64 v[93:94], v[77:78], v[101:102], -v[95:96]
	s_waitcnt vmcnt(2) lgkmcnt(0)
	v_mul_f64 v[91:92], v[85:86], v[10:11]
	v_mul_f64 v[10:11], v[87:88], v[10:11]
	v_add_f64 v[81:82], v[2:3], v[81:82]
	v_add_f64 v[6:7], v[6:7], v[83:84]
	ds_load_b128 v[77:80], v1 offset:608
	ds_load_b128 v[1:4], v1 offset:624
	v_fma_f64 v[87:88], v[87:88], v[8:9], v[91:92]
	v_fma_f64 v[8:9], v[85:86], v[8:9], -v[10:11]
	s_waitcnt vmcnt(1) lgkmcnt(1)
	v_mul_f64 v[83:84], v[77:78], v[119:120]
	v_mul_f64 v[95:96], v[79:80], v[119:120]
	v_add_f64 v[10:11], v[81:82], v[93:94]
	v_add_f64 v[6:7], v[6:7], v[89:90]
	s_waitcnt vmcnt(0) lgkmcnt(0)
	v_mul_f64 v[81:82], v[1:2], v[75:76]
	v_mul_f64 v[75:76], v[3:4], v[75:76]
	v_fma_f64 v[79:80], v[79:80], v[117:118], v[83:84]
	v_fma_f64 v[77:78], v[77:78], v[117:118], -v[95:96]
	v_add_f64 v[8:9], v[10:11], v[8:9]
	v_add_f64 v[6:7], v[6:7], v[87:88]
	v_fma_f64 v[3:4], v[3:4], v[73:74], v[81:82]
	v_fma_f64 v[1:2], v[1:2], v[73:74], -v[75:76]
	s_delay_alu instid0(VALU_DEP_4) | instskip(NEXT) | instid1(VALU_DEP_4)
	v_add_f64 v[8:9], v[8:9], v[77:78]
	v_add_f64 v[6:7], v[6:7], v[79:80]
	s_delay_alu instid0(VALU_DEP_2) | instskip(NEXT) | instid1(VALU_DEP_2)
	v_add_f64 v[1:2], v[8:9], v[1:2]
	v_add_f64 v[3:4], v[6:7], v[3:4]
	s_delay_alu instid0(VALU_DEP_2) | instskip(NEXT) | instid1(VALU_DEP_2)
	v_add_f64 v[1:2], v[113:114], -v[1:2]
	v_add_f64 v[3:4], v[115:116], -v[3:4]
	scratch_store_b128 off, v[1:4], off offset:112
	v_cmpx_lt_u32_e32 6, v53
	s_cbranch_execz .LBB83_121
; %bb.120:
	scratch_load_b128 v[1:4], v54, off
	v_mov_b32_e32 v6, 0
	s_delay_alu instid0(VALU_DEP_1)
	v_mov_b32_e32 v7, v6
	v_mov_b32_e32 v8, v6
	;; [unrolled: 1-line block ×3, first 2 shown]
	scratch_store_b128 off, v[6:9], off offset:96
	s_waitcnt vmcnt(0)
	ds_store_b128 v5, v[1:4]
.LBB83_121:
	s_or_b32 exec_lo, exec_lo, s2
	s_waitcnt lgkmcnt(0)
	s_waitcnt_vscnt null, 0x0
	s_barrier
	buffer_gl0_inv
	s_clause 0x7
	scratch_load_b128 v[6:9], off, off offset:112
	scratch_load_b128 v[73:76], off, off offset:128
	;; [unrolled: 1-line block ×8, first 2 shown]
	v_mov_b32_e32 v1, 0
	s_mov_b32 s2, exec_lo
	ds_load_b128 v[101:104], v1 offset:432
	s_clause 0x1
	scratch_load_b128 v[105:108], off, off offset:240
	scratch_load_b128 v[109:112], off, off offset:96
	ds_load_b128 v[113:116], v1 offset:448
	ds_load_b128 v[121:124], v1 offset:480
	s_waitcnt vmcnt(9) lgkmcnt(2)
	v_mul_f64 v[2:3], v[103:104], v[8:9]
	v_mul_f64 v[117:118], v[101:102], v[8:9]
	scratch_load_b128 v[8:11], off, off offset:256
	v_fma_f64 v[2:3], v[101:102], v[6:7], -v[2:3]
	v_fma_f64 v[6:7], v[103:104], v[6:7], v[117:118]
	scratch_load_b128 v[117:120], off, off offset:272
	ds_load_b128 v[101:104], v1 offset:464
	s_waitcnt vmcnt(10) lgkmcnt(2)
	v_mul_f64 v[125:126], v[113:114], v[75:76]
	v_mul_f64 v[75:76], v[115:116], v[75:76]
	s_waitcnt vmcnt(9) lgkmcnt(0)
	v_mul_f64 v[127:128], v[101:102], v[79:80]
	v_mul_f64 v[79:80], v[103:104], v[79:80]
	v_add_f64 v[2:3], v[2:3], 0
	v_add_f64 v[6:7], v[6:7], 0
	v_fma_f64 v[115:116], v[115:116], v[73:74], v[125:126]
	v_fma_f64 v[113:114], v[113:114], v[73:74], -v[75:76]
	scratch_load_b128 v[73:76], off, off offset:288
	v_fma_f64 v[127:128], v[103:104], v[77:78], v[127:128]
	v_fma_f64 v[129:130], v[101:102], v[77:78], -v[79:80]
	scratch_load_b128 v[101:104], off, off offset:304
	ds_load_b128 v[77:80], v1 offset:496
	s_waitcnt vmcnt(10)
	v_mul_f64 v[125:126], v[121:122], v[83:84]
	v_mul_f64 v[83:84], v[123:124], v[83:84]
	v_add_f64 v[6:7], v[6:7], v[115:116]
	v_add_f64 v[2:3], v[2:3], v[113:114]
	ds_load_b128 v[113:116], v1 offset:512
	s_waitcnt vmcnt(9) lgkmcnt(1)
	v_mul_f64 v[131:132], v[77:78], v[87:88]
	v_mul_f64 v[87:88], v[79:80], v[87:88]
	v_fma_f64 v[123:124], v[123:124], v[81:82], v[125:126]
	v_fma_f64 v[81:82], v[121:122], v[81:82], -v[83:84]
	s_waitcnt vmcnt(8) lgkmcnt(0)
	v_mul_f64 v[121:122], v[113:114], v[91:92]
	v_mul_f64 v[91:92], v[115:116], v[91:92]
	v_add_f64 v[6:7], v[6:7], v[127:128]
	v_add_f64 v[2:3], v[2:3], v[129:130]
	v_fma_f64 v[125:126], v[79:80], v[85:86], v[131:132]
	v_fma_f64 v[85:86], v[77:78], v[85:86], -v[87:88]
	v_fma_f64 v[115:116], v[115:116], v[89:90], v[121:122]
	v_fma_f64 v[89:90], v[113:114], v[89:90], -v[91:92]
	v_add_f64 v[6:7], v[6:7], v[123:124]
	v_add_f64 v[2:3], v[2:3], v[81:82]
	ds_load_b128 v[77:80], v1 offset:528
	ds_load_b128 v[81:84], v1 offset:544
	s_waitcnt vmcnt(7) lgkmcnt(1)
	v_mul_f64 v[87:88], v[77:78], v[95:96]
	v_mul_f64 v[95:96], v[79:80], v[95:96]
	s_waitcnt vmcnt(6) lgkmcnt(0)
	v_mul_f64 v[91:92], v[81:82], v[99:100]
	v_mul_f64 v[99:100], v[83:84], v[99:100]
	v_add_f64 v[6:7], v[6:7], v[125:126]
	v_add_f64 v[2:3], v[2:3], v[85:86]
	v_fma_f64 v[113:114], v[79:80], v[93:94], v[87:88]
	v_fma_f64 v[93:94], v[77:78], v[93:94], -v[95:96]
	ds_load_b128 v[77:80], v1 offset:560
	ds_load_b128 v[85:88], v1 offset:576
	v_fma_f64 v[83:84], v[83:84], v[97:98], v[91:92]
	v_fma_f64 v[81:82], v[81:82], v[97:98], -v[99:100]
	v_add_f64 v[6:7], v[6:7], v[115:116]
	v_add_f64 v[2:3], v[2:3], v[89:90]
	s_waitcnt vmcnt(5) lgkmcnt(1)
	v_mul_f64 v[89:90], v[77:78], v[107:108]
	v_mul_f64 v[95:96], v[79:80], v[107:108]
	s_delay_alu instid0(VALU_DEP_4) | instskip(NEXT) | instid1(VALU_DEP_4)
	v_add_f64 v[6:7], v[6:7], v[113:114]
	v_add_f64 v[2:3], v[2:3], v[93:94]
	s_delay_alu instid0(VALU_DEP_4) | instskip(NEXT) | instid1(VALU_DEP_4)
	v_fma_f64 v[89:90], v[79:80], v[105:106], v[89:90]
	v_fma_f64 v[93:94], v[77:78], v[105:106], -v[95:96]
	s_waitcnt vmcnt(3) lgkmcnt(0)
	v_mul_f64 v[91:92], v[85:86], v[10:11]
	v_mul_f64 v[10:11], v[87:88], v[10:11]
	v_add_f64 v[6:7], v[6:7], v[83:84]
	v_add_f64 v[2:3], v[2:3], v[81:82]
	ds_load_b128 v[77:80], v1 offset:592
	ds_load_b128 v[81:84], v1 offset:608
	v_fma_f64 v[87:88], v[87:88], v[8:9], v[91:92]
	v_fma_f64 v[8:9], v[85:86], v[8:9], -v[10:11]
	s_waitcnt vmcnt(2) lgkmcnt(1)
	v_mul_f64 v[95:96], v[77:78], v[119:120]
	v_mul_f64 v[97:98], v[79:80], v[119:120]
	v_add_f64 v[6:7], v[6:7], v[89:90]
	v_add_f64 v[2:3], v[2:3], v[93:94]
	s_waitcnt vmcnt(1) lgkmcnt(0)
	v_mul_f64 v[10:11], v[81:82], v[75:76]
	v_mul_f64 v[75:76], v[83:84], v[75:76]
	v_fma_f64 v[79:80], v[79:80], v[117:118], v[95:96]
	v_fma_f64 v[77:78], v[77:78], v[117:118], -v[97:98]
	v_add_f64 v[85:86], v[6:7], v[87:88]
	v_add_f64 v[2:3], v[2:3], v[8:9]
	ds_load_b128 v[6:9], v1 offset:624
	v_fma_f64 v[10:11], v[83:84], v[73:74], v[10:11]
	v_fma_f64 v[73:74], v[81:82], v[73:74], -v[75:76]
	s_waitcnt vmcnt(0) lgkmcnt(0)
	v_mul_f64 v[87:88], v[6:7], v[103:104]
	v_mul_f64 v[89:90], v[8:9], v[103:104]
	v_add_f64 v[75:76], v[85:86], v[79:80]
	v_add_f64 v[2:3], v[2:3], v[77:78]
	s_delay_alu instid0(VALU_DEP_4) | instskip(NEXT) | instid1(VALU_DEP_4)
	v_fma_f64 v[8:9], v[8:9], v[101:102], v[87:88]
	v_fma_f64 v[6:7], v[6:7], v[101:102], -v[89:90]
	s_delay_alu instid0(VALU_DEP_4) | instskip(NEXT) | instid1(VALU_DEP_4)
	v_add_f64 v[10:11], v[75:76], v[10:11]
	v_add_f64 v[2:3], v[2:3], v[73:74]
	s_delay_alu instid0(VALU_DEP_2) | instskip(NEXT) | instid1(VALU_DEP_2)
	v_add_f64 v[8:9], v[10:11], v[8:9]
	v_add_f64 v[2:3], v[2:3], v[6:7]
	s_delay_alu instid0(VALU_DEP_2) | instskip(NEXT) | instid1(VALU_DEP_2)
	v_add_f64 v[8:9], v[111:112], -v[8:9]
	v_add_f64 v[6:7], v[109:110], -v[2:3]
	scratch_store_b128 off, v[6:9], off offset:96
	v_cmpx_lt_u32_e32 5, v53
	s_cbranch_execz .LBB83_123
; %bb.122:
	scratch_load_b128 v[6:9], v56, off
	v_mov_b32_e32 v2, v1
	v_mov_b32_e32 v3, v1
	;; [unrolled: 1-line block ×3, first 2 shown]
	scratch_store_b128 off, v[1:4], off offset:80
	s_waitcnt vmcnt(0)
	ds_store_b128 v5, v[6:9]
.LBB83_123:
	s_or_b32 exec_lo, exec_lo, s2
	s_waitcnt lgkmcnt(0)
	s_waitcnt_vscnt null, 0x0
	s_barrier
	buffer_gl0_inv
	s_clause 0x8
	scratch_load_b128 v[6:9], off, off offset:96
	scratch_load_b128 v[73:76], off, off offset:112
	scratch_load_b128 v[77:80], off, off offset:128
	scratch_load_b128 v[81:84], off, off offset:144
	scratch_load_b128 v[85:88], off, off offset:160
	scratch_load_b128 v[89:92], off, off offset:176
	scratch_load_b128 v[93:96], off, off offset:192
	scratch_load_b128 v[97:100], off, off offset:208
	scratch_load_b128 v[101:104], off, off offset:224
	ds_load_b128 v[105:108], v1 offset:416
	ds_load_b128 v[109:112], v1 offset:432
	scratch_load_b128 v[113:116], off, off offset:80
	s_mov_b32 s2, exec_lo
	ds_load_b128 v[121:124], v1 offset:464
	s_waitcnt vmcnt(9) lgkmcnt(2)
	v_mul_f64 v[2:3], v[107:108], v[8:9]
	v_mul_f64 v[117:118], v[105:106], v[8:9]
	scratch_load_b128 v[8:11], off, off offset:240
	s_waitcnt vmcnt(9) lgkmcnt(1)
	v_mul_f64 v[125:126], v[109:110], v[75:76]
	v_mul_f64 v[75:76], v[111:112], v[75:76]
	v_fma_f64 v[2:3], v[105:106], v[6:7], -v[2:3]
	v_fma_f64 v[6:7], v[107:108], v[6:7], v[117:118]
	ds_load_b128 v[105:108], v1 offset:448
	scratch_load_b128 v[117:120], off, off offset:256
	v_fma_f64 v[111:112], v[111:112], v[73:74], v[125:126]
	v_fma_f64 v[109:110], v[109:110], v[73:74], -v[75:76]
	scratch_load_b128 v[73:76], off, off offset:272
	s_waitcnt vmcnt(9) lgkmcnt(1)
	v_mul_f64 v[125:126], v[121:122], v[83:84]
	v_mul_f64 v[83:84], v[123:124], v[83:84]
	s_waitcnt lgkmcnt(0)
	v_mul_f64 v[127:128], v[105:106], v[79:80]
	v_mul_f64 v[79:80], v[107:108], v[79:80]
	v_add_f64 v[2:3], v[2:3], 0
	v_add_f64 v[6:7], v[6:7], 0
	v_fma_f64 v[123:124], v[123:124], v[81:82], v[125:126]
	v_fma_f64 v[121:122], v[121:122], v[81:82], -v[83:84]
	scratch_load_b128 v[81:84], off, off offset:304
	v_fma_f64 v[127:128], v[107:108], v[77:78], v[127:128]
	v_fma_f64 v[129:130], v[105:106], v[77:78], -v[79:80]
	ds_load_b128 v[77:80], v1 offset:480
	scratch_load_b128 v[105:108], off, off offset:288
	v_add_f64 v[2:3], v[2:3], v[109:110]
	v_add_f64 v[6:7], v[6:7], v[111:112]
	ds_load_b128 v[109:112], v1 offset:496
	s_waitcnt vmcnt(10) lgkmcnt(1)
	v_mul_f64 v[131:132], v[77:78], v[87:88]
	v_mul_f64 v[87:88], v[79:80], v[87:88]
	s_waitcnt vmcnt(9) lgkmcnt(0)
	v_mul_f64 v[125:126], v[109:110], v[91:92]
	v_mul_f64 v[91:92], v[111:112], v[91:92]
	v_add_f64 v[2:3], v[2:3], v[129:130]
	v_add_f64 v[6:7], v[6:7], v[127:128]
	v_fma_f64 v[127:128], v[79:80], v[85:86], v[131:132]
	v_fma_f64 v[129:130], v[77:78], v[85:86], -v[87:88]
	ds_load_b128 v[77:80], v1 offset:512
	ds_load_b128 v[85:88], v1 offset:528
	v_fma_f64 v[111:112], v[111:112], v[89:90], v[125:126]
	v_fma_f64 v[89:90], v[109:110], v[89:90], -v[91:92]
	s_waitcnt vmcnt(7) lgkmcnt(0)
	v_mul_f64 v[109:110], v[85:86], v[99:100]
	v_mul_f64 v[99:100], v[87:88], v[99:100]
	v_add_f64 v[2:3], v[2:3], v[121:122]
	v_add_f64 v[6:7], v[6:7], v[123:124]
	v_mul_f64 v[121:122], v[77:78], v[95:96]
	v_mul_f64 v[95:96], v[79:80], v[95:96]
	v_fma_f64 v[87:88], v[87:88], v[97:98], v[109:110]
	v_fma_f64 v[85:86], v[85:86], v[97:98], -v[99:100]
	v_add_f64 v[2:3], v[2:3], v[129:130]
	v_add_f64 v[6:7], v[6:7], v[127:128]
	v_fma_f64 v[121:122], v[79:80], v[93:94], v[121:122]
	v_fma_f64 v[93:94], v[77:78], v[93:94], -v[95:96]
	s_delay_alu instid0(VALU_DEP_4) | instskip(NEXT) | instid1(VALU_DEP_4)
	v_add_f64 v[2:3], v[2:3], v[89:90]
	v_add_f64 v[6:7], v[6:7], v[111:112]
	ds_load_b128 v[77:80], v1 offset:544
	ds_load_b128 v[89:92], v1 offset:560
	s_waitcnt vmcnt(6) lgkmcnt(1)
	v_mul_f64 v[95:96], v[77:78], v[103:104]
	v_mul_f64 v[103:104], v[79:80], v[103:104]
	v_add_f64 v[2:3], v[2:3], v[93:94]
	v_add_f64 v[6:7], v[6:7], v[121:122]
	s_waitcnt vmcnt(4) lgkmcnt(0)
	v_mul_f64 v[93:94], v[89:90], v[10:11]
	v_mul_f64 v[10:11], v[91:92], v[10:11]
	v_fma_f64 v[95:96], v[79:80], v[101:102], v[95:96]
	v_fma_f64 v[97:98], v[77:78], v[101:102], -v[103:104]
	v_add_f64 v[2:3], v[2:3], v[85:86]
	v_add_f64 v[6:7], v[6:7], v[87:88]
	ds_load_b128 v[77:80], v1 offset:576
	ds_load_b128 v[85:88], v1 offset:592
	v_fma_f64 v[91:92], v[91:92], v[8:9], v[93:94]
	v_fma_f64 v[8:9], v[89:90], v[8:9], -v[10:11]
	s_waitcnt vmcnt(3) lgkmcnt(1)
	v_mul_f64 v[99:100], v[77:78], v[119:120]
	v_mul_f64 v[101:102], v[79:80], v[119:120]
	s_waitcnt vmcnt(2) lgkmcnt(0)
	v_mul_f64 v[10:11], v[85:86], v[75:76]
	v_mul_f64 v[75:76], v[87:88], v[75:76]
	v_add_f64 v[2:3], v[2:3], v[97:98]
	v_add_f64 v[6:7], v[6:7], v[95:96]
	v_fma_f64 v[79:80], v[79:80], v[117:118], v[99:100]
	v_fma_f64 v[77:78], v[77:78], v[117:118], -v[101:102]
	v_fma_f64 v[10:11], v[87:88], v[73:74], v[10:11]
	v_fma_f64 v[73:74], v[85:86], v[73:74], -v[75:76]
	v_add_f64 v[89:90], v[2:3], v[8:9]
	v_add_f64 v[91:92], v[6:7], v[91:92]
	ds_load_b128 v[6:9], v1 offset:608
	ds_load_b128 v[1:4], v1 offset:624
	s_waitcnt vmcnt(0) lgkmcnt(1)
	v_mul_f64 v[93:94], v[6:7], v[107:108]
	v_mul_f64 v[95:96], v[8:9], v[107:108]
	v_add_f64 v[75:76], v[89:90], v[77:78]
	v_add_f64 v[77:78], v[91:92], v[79:80]
	s_waitcnt lgkmcnt(0)
	v_mul_f64 v[79:80], v[1:2], v[83:84]
	v_mul_f64 v[83:84], v[3:4], v[83:84]
	v_fma_f64 v[8:9], v[8:9], v[105:106], v[93:94]
	v_fma_f64 v[6:7], v[6:7], v[105:106], -v[95:96]
	v_add_f64 v[73:74], v[75:76], v[73:74]
	v_add_f64 v[10:11], v[77:78], v[10:11]
	v_fma_f64 v[3:4], v[3:4], v[81:82], v[79:80]
	v_fma_f64 v[1:2], v[1:2], v[81:82], -v[83:84]
	s_delay_alu instid0(VALU_DEP_4) | instskip(NEXT) | instid1(VALU_DEP_4)
	v_add_f64 v[6:7], v[73:74], v[6:7]
	v_add_f64 v[8:9], v[10:11], v[8:9]
	s_delay_alu instid0(VALU_DEP_2) | instskip(NEXT) | instid1(VALU_DEP_2)
	v_add_f64 v[1:2], v[6:7], v[1:2]
	v_add_f64 v[3:4], v[8:9], v[3:4]
	s_delay_alu instid0(VALU_DEP_2) | instskip(NEXT) | instid1(VALU_DEP_2)
	v_add_f64 v[1:2], v[113:114], -v[1:2]
	v_add_f64 v[3:4], v[115:116], -v[3:4]
	scratch_store_b128 off, v[1:4], off offset:80
	v_cmpx_lt_u32_e32 4, v53
	s_cbranch_execz .LBB83_125
; %bb.124:
	scratch_load_b128 v[1:4], v55, off
	v_mov_b32_e32 v6, 0
	s_delay_alu instid0(VALU_DEP_1)
	v_mov_b32_e32 v7, v6
	v_mov_b32_e32 v8, v6
	;; [unrolled: 1-line block ×3, first 2 shown]
	scratch_store_b128 off, v[6:9], off offset:64
	s_waitcnt vmcnt(0)
	ds_store_b128 v5, v[1:4]
.LBB83_125:
	s_or_b32 exec_lo, exec_lo, s2
	s_waitcnt lgkmcnt(0)
	s_waitcnt_vscnt null, 0x0
	s_barrier
	buffer_gl0_inv
	s_clause 0x7
	scratch_load_b128 v[6:9], off, off offset:80
	scratch_load_b128 v[73:76], off, off offset:96
	;; [unrolled: 1-line block ×8, first 2 shown]
	v_mov_b32_e32 v1, 0
	s_mov_b32 s2, exec_lo
	ds_load_b128 v[101:104], v1 offset:400
	s_clause 0x1
	scratch_load_b128 v[105:108], off, off offset:208
	scratch_load_b128 v[109:112], off, off offset:64
	ds_load_b128 v[113:116], v1 offset:416
	ds_load_b128 v[121:124], v1 offset:448
	s_waitcnt vmcnt(9) lgkmcnt(2)
	v_mul_f64 v[2:3], v[103:104], v[8:9]
	v_mul_f64 v[117:118], v[101:102], v[8:9]
	scratch_load_b128 v[8:11], off, off offset:224
	v_fma_f64 v[2:3], v[101:102], v[6:7], -v[2:3]
	v_fma_f64 v[6:7], v[103:104], v[6:7], v[117:118]
	scratch_load_b128 v[117:120], off, off offset:240
	ds_load_b128 v[101:104], v1 offset:432
	s_waitcnt vmcnt(10) lgkmcnt(2)
	v_mul_f64 v[125:126], v[113:114], v[75:76]
	v_mul_f64 v[75:76], v[115:116], v[75:76]
	s_waitcnt vmcnt(9) lgkmcnt(0)
	v_mul_f64 v[127:128], v[101:102], v[79:80]
	v_mul_f64 v[79:80], v[103:104], v[79:80]
	v_add_f64 v[2:3], v[2:3], 0
	v_add_f64 v[6:7], v[6:7], 0
	v_fma_f64 v[115:116], v[115:116], v[73:74], v[125:126]
	v_fma_f64 v[113:114], v[113:114], v[73:74], -v[75:76]
	scratch_load_b128 v[73:76], off, off offset:256
	v_fma_f64 v[127:128], v[103:104], v[77:78], v[127:128]
	v_fma_f64 v[129:130], v[101:102], v[77:78], -v[79:80]
	scratch_load_b128 v[101:104], off, off offset:272
	ds_load_b128 v[77:80], v1 offset:464
	s_waitcnt vmcnt(10)
	v_mul_f64 v[125:126], v[121:122], v[83:84]
	v_mul_f64 v[83:84], v[123:124], v[83:84]
	v_add_f64 v[6:7], v[6:7], v[115:116]
	v_add_f64 v[2:3], v[2:3], v[113:114]
	ds_load_b128 v[113:116], v1 offset:480
	s_waitcnt vmcnt(9) lgkmcnt(1)
	v_mul_f64 v[131:132], v[77:78], v[87:88]
	v_mul_f64 v[87:88], v[79:80], v[87:88]
	v_fma_f64 v[123:124], v[123:124], v[81:82], v[125:126]
	v_fma_f64 v[121:122], v[121:122], v[81:82], -v[83:84]
	scratch_load_b128 v[81:84], off, off offset:288
	v_add_f64 v[6:7], v[6:7], v[127:128]
	v_add_f64 v[2:3], v[2:3], v[129:130]
	v_fma_f64 v[127:128], v[79:80], v[85:86], v[131:132]
	v_fma_f64 v[129:130], v[77:78], v[85:86], -v[87:88]
	scratch_load_b128 v[85:88], off, off offset:304
	ds_load_b128 v[77:80], v1 offset:496
	s_waitcnt vmcnt(10) lgkmcnt(1)
	v_mul_f64 v[125:126], v[113:114], v[91:92]
	v_mul_f64 v[91:92], v[115:116], v[91:92]
	s_waitcnt vmcnt(9) lgkmcnt(0)
	v_mul_f64 v[131:132], v[77:78], v[95:96]
	v_mul_f64 v[95:96], v[79:80], v[95:96]
	v_add_f64 v[6:7], v[6:7], v[123:124]
	v_add_f64 v[2:3], v[2:3], v[121:122]
	ds_load_b128 v[121:124], v1 offset:512
	v_fma_f64 v[115:116], v[115:116], v[89:90], v[125:126]
	v_fma_f64 v[89:90], v[113:114], v[89:90], -v[91:92]
	s_waitcnt vmcnt(8) lgkmcnt(0)
	v_mul_f64 v[113:114], v[121:122], v[99:100]
	v_mul_f64 v[99:100], v[123:124], v[99:100]
	v_fma_f64 v[125:126], v[79:80], v[93:94], v[131:132]
	v_fma_f64 v[93:94], v[77:78], v[93:94], -v[95:96]
	v_add_f64 v[6:7], v[6:7], v[127:128]
	v_add_f64 v[2:3], v[2:3], v[129:130]
	v_fma_f64 v[113:114], v[123:124], v[97:98], v[113:114]
	v_fma_f64 v[97:98], v[121:122], v[97:98], -v[99:100]
	s_delay_alu instid0(VALU_DEP_4) | instskip(NEXT) | instid1(VALU_DEP_4)
	v_add_f64 v[6:7], v[6:7], v[115:116]
	v_add_f64 v[2:3], v[2:3], v[89:90]
	ds_load_b128 v[77:80], v1 offset:528
	ds_load_b128 v[89:92], v1 offset:544
	s_waitcnt vmcnt(7) lgkmcnt(1)
	v_mul_f64 v[95:96], v[77:78], v[107:108]
	v_mul_f64 v[107:108], v[79:80], v[107:108]
	v_add_f64 v[6:7], v[6:7], v[125:126]
	v_add_f64 v[2:3], v[2:3], v[93:94]
	s_waitcnt vmcnt(5) lgkmcnt(0)
	v_mul_f64 v[99:100], v[89:90], v[10:11]
	v_mul_f64 v[10:11], v[91:92], v[10:11]
	v_fma_f64 v[115:116], v[79:80], v[105:106], v[95:96]
	v_fma_f64 v[105:106], v[77:78], v[105:106], -v[107:108]
	ds_load_b128 v[77:80], v1 offset:560
	ds_load_b128 v[93:96], v1 offset:576
	v_add_f64 v[6:7], v[6:7], v[113:114]
	v_add_f64 v[2:3], v[2:3], v[97:98]
	s_waitcnt vmcnt(4) lgkmcnt(1)
	v_mul_f64 v[97:98], v[77:78], v[119:120]
	v_mul_f64 v[107:108], v[79:80], v[119:120]
	v_fma_f64 v[91:92], v[91:92], v[8:9], v[99:100]
	v_fma_f64 v[8:9], v[89:90], v[8:9], -v[10:11]
	v_add_f64 v[6:7], v[6:7], v[115:116]
	v_add_f64 v[2:3], v[2:3], v[105:106]
	v_fma_f64 v[79:80], v[79:80], v[117:118], v[97:98]
	v_fma_f64 v[97:98], v[77:78], v[117:118], -v[107:108]
	s_waitcnt vmcnt(3) lgkmcnt(0)
	v_mul_f64 v[10:11], v[93:94], v[75:76]
	v_mul_f64 v[89:90], v[95:96], v[75:76]
	v_add_f64 v[91:92], v[6:7], v[91:92]
	v_add_f64 v[2:3], v[2:3], v[8:9]
	ds_load_b128 v[6:9], v1 offset:592
	ds_load_b128 v[75:78], v1 offset:608
	v_fma_f64 v[10:11], v[95:96], v[73:74], v[10:11]
	v_fma_f64 v[73:74], v[93:94], v[73:74], -v[89:90]
	s_waitcnt vmcnt(2) lgkmcnt(1)
	v_mul_f64 v[99:100], v[6:7], v[103:104]
	v_mul_f64 v[103:104], v[8:9], v[103:104]
	v_add_f64 v[79:80], v[91:92], v[79:80]
	v_add_f64 v[2:3], v[2:3], v[97:98]
	s_waitcnt vmcnt(1) lgkmcnt(0)
	v_mul_f64 v[89:90], v[75:76], v[83:84]
	v_mul_f64 v[83:84], v[77:78], v[83:84]
	v_fma_f64 v[91:92], v[8:9], v[101:102], v[99:100]
	v_fma_f64 v[93:94], v[6:7], v[101:102], -v[103:104]
	ds_load_b128 v[6:9], v1 offset:624
	v_add_f64 v[10:11], v[79:80], v[10:11]
	v_add_f64 v[2:3], v[2:3], v[73:74]
	v_fma_f64 v[77:78], v[77:78], v[81:82], v[89:90]
	v_fma_f64 v[75:76], v[75:76], v[81:82], -v[83:84]
	s_waitcnt vmcnt(0) lgkmcnt(0)
	v_mul_f64 v[73:74], v[6:7], v[87:88]
	v_mul_f64 v[79:80], v[8:9], v[87:88]
	v_add_f64 v[10:11], v[10:11], v[91:92]
	v_add_f64 v[2:3], v[2:3], v[93:94]
	s_delay_alu instid0(VALU_DEP_4) | instskip(NEXT) | instid1(VALU_DEP_4)
	v_fma_f64 v[8:9], v[8:9], v[85:86], v[73:74]
	v_fma_f64 v[6:7], v[6:7], v[85:86], -v[79:80]
	s_delay_alu instid0(VALU_DEP_4) | instskip(NEXT) | instid1(VALU_DEP_4)
	v_add_f64 v[10:11], v[10:11], v[77:78]
	v_add_f64 v[2:3], v[2:3], v[75:76]
	s_delay_alu instid0(VALU_DEP_2) | instskip(NEXT) | instid1(VALU_DEP_2)
	v_add_f64 v[8:9], v[10:11], v[8:9]
	v_add_f64 v[2:3], v[2:3], v[6:7]
	s_delay_alu instid0(VALU_DEP_2) | instskip(NEXT) | instid1(VALU_DEP_2)
	v_add_f64 v[8:9], v[111:112], -v[8:9]
	v_add_f64 v[6:7], v[109:110], -v[2:3]
	scratch_store_b128 off, v[6:9], off offset:64
	v_cmpx_lt_u32_e32 3, v53
	s_cbranch_execz .LBB83_127
; %bb.126:
	scratch_load_b128 v[6:9], v57, off
	v_mov_b32_e32 v2, v1
	v_mov_b32_e32 v3, v1
	;; [unrolled: 1-line block ×3, first 2 shown]
	scratch_store_b128 off, v[1:4], off offset:48
	s_waitcnt vmcnt(0)
	ds_store_b128 v5, v[6:9]
.LBB83_127:
	s_or_b32 exec_lo, exec_lo, s2
	s_waitcnt lgkmcnt(0)
	s_waitcnt_vscnt null, 0x0
	s_barrier
	buffer_gl0_inv
	s_clause 0x8
	scratch_load_b128 v[6:9], off, off offset:64
	scratch_load_b128 v[73:76], off, off offset:80
	;; [unrolled: 1-line block ×9, first 2 shown]
	ds_load_b128 v[105:108], v1 offset:384
	ds_load_b128 v[109:112], v1 offset:400
	scratch_load_b128 v[113:116], off, off offset:48
	s_mov_b32 s2, exec_lo
	ds_load_b128 v[121:124], v1 offset:432
	s_waitcnt vmcnt(9) lgkmcnt(2)
	v_mul_f64 v[2:3], v[107:108], v[8:9]
	v_mul_f64 v[117:118], v[105:106], v[8:9]
	scratch_load_b128 v[8:11], off, off offset:208
	s_waitcnt vmcnt(9) lgkmcnt(1)
	v_mul_f64 v[125:126], v[109:110], v[75:76]
	v_mul_f64 v[75:76], v[111:112], v[75:76]
	v_fma_f64 v[2:3], v[105:106], v[6:7], -v[2:3]
	v_fma_f64 v[6:7], v[107:108], v[6:7], v[117:118]
	ds_load_b128 v[105:108], v1 offset:416
	scratch_load_b128 v[117:120], off, off offset:224
	v_fma_f64 v[111:112], v[111:112], v[73:74], v[125:126]
	v_fma_f64 v[109:110], v[109:110], v[73:74], -v[75:76]
	scratch_load_b128 v[73:76], off, off offset:240
	s_waitcnt vmcnt(9) lgkmcnt(1)
	v_mul_f64 v[125:126], v[121:122], v[83:84]
	v_mul_f64 v[83:84], v[123:124], v[83:84]
	s_waitcnt lgkmcnt(0)
	v_mul_f64 v[127:128], v[105:106], v[79:80]
	v_mul_f64 v[79:80], v[107:108], v[79:80]
	v_add_f64 v[2:3], v[2:3], 0
	v_add_f64 v[6:7], v[6:7], 0
	v_fma_f64 v[123:124], v[123:124], v[81:82], v[125:126]
	v_fma_f64 v[121:122], v[121:122], v[81:82], -v[83:84]
	scratch_load_b128 v[81:84], off, off offset:272
	v_fma_f64 v[127:128], v[107:108], v[77:78], v[127:128]
	v_fma_f64 v[129:130], v[105:106], v[77:78], -v[79:80]
	ds_load_b128 v[77:80], v1 offset:448
	scratch_load_b128 v[105:108], off, off offset:256
	v_add_f64 v[2:3], v[2:3], v[109:110]
	v_add_f64 v[6:7], v[6:7], v[111:112]
	ds_load_b128 v[109:112], v1 offset:464
	s_waitcnt vmcnt(10) lgkmcnt(1)
	v_mul_f64 v[131:132], v[77:78], v[87:88]
	v_mul_f64 v[87:88], v[79:80], v[87:88]
	s_waitcnt vmcnt(9) lgkmcnt(0)
	v_mul_f64 v[125:126], v[109:110], v[91:92]
	v_mul_f64 v[91:92], v[111:112], v[91:92]
	v_add_f64 v[2:3], v[2:3], v[129:130]
	v_add_f64 v[6:7], v[6:7], v[127:128]
	v_fma_f64 v[127:128], v[79:80], v[85:86], v[131:132]
	v_fma_f64 v[129:130], v[77:78], v[85:86], -v[87:88]
	ds_load_b128 v[77:80], v1 offset:480
	scratch_load_b128 v[85:88], off, off offset:288
	v_fma_f64 v[111:112], v[111:112], v[89:90], v[125:126]
	v_fma_f64 v[109:110], v[109:110], v[89:90], -v[91:92]
	scratch_load_b128 v[89:92], off, off offset:304
	v_add_f64 v[2:3], v[2:3], v[121:122]
	v_add_f64 v[6:7], v[6:7], v[123:124]
	ds_load_b128 v[121:124], v1 offset:496
	s_waitcnt vmcnt(10) lgkmcnt(1)
	v_mul_f64 v[131:132], v[77:78], v[95:96]
	v_mul_f64 v[95:96], v[79:80], v[95:96]
	s_waitcnt vmcnt(9) lgkmcnt(0)
	v_mul_f64 v[125:126], v[121:122], v[99:100]
	v_mul_f64 v[99:100], v[123:124], v[99:100]
	v_add_f64 v[2:3], v[2:3], v[129:130]
	v_add_f64 v[6:7], v[6:7], v[127:128]
	v_fma_f64 v[127:128], v[79:80], v[93:94], v[131:132]
	v_fma_f64 v[129:130], v[77:78], v[93:94], -v[95:96]
	ds_load_b128 v[77:80], v1 offset:512
	ds_load_b128 v[93:96], v1 offset:528
	v_add_f64 v[2:3], v[2:3], v[109:110]
	v_add_f64 v[6:7], v[6:7], v[111:112]
	s_waitcnt vmcnt(8) lgkmcnt(1)
	v_mul_f64 v[109:110], v[77:78], v[103:104]
	v_mul_f64 v[103:104], v[79:80], v[103:104]
	v_fma_f64 v[111:112], v[123:124], v[97:98], v[125:126]
	v_fma_f64 v[97:98], v[121:122], v[97:98], -v[99:100]
	v_add_f64 v[2:3], v[2:3], v[129:130]
	v_add_f64 v[6:7], v[6:7], v[127:128]
	v_fma_f64 v[109:110], v[79:80], v[101:102], v[109:110]
	v_fma_f64 v[101:102], v[77:78], v[101:102], -v[103:104]
	s_waitcnt vmcnt(6) lgkmcnt(0)
	v_mul_f64 v[121:122], v[93:94], v[10:11]
	v_mul_f64 v[10:11], v[95:96], v[10:11]
	v_add_f64 v[2:3], v[2:3], v[97:98]
	v_add_f64 v[6:7], v[6:7], v[111:112]
	ds_load_b128 v[77:80], v1 offset:544
	ds_load_b128 v[97:100], v1 offset:560
	v_fma_f64 v[95:96], v[95:96], v[8:9], v[121:122]
	v_fma_f64 v[8:9], v[93:94], v[8:9], -v[10:11]
	s_waitcnt vmcnt(5) lgkmcnt(1)
	v_mul_f64 v[103:104], v[77:78], v[119:120]
	v_mul_f64 v[111:112], v[79:80], v[119:120]
	s_waitcnt vmcnt(4) lgkmcnt(0)
	v_mul_f64 v[10:11], v[97:98], v[75:76]
	v_mul_f64 v[93:94], v[99:100], v[75:76]
	v_add_f64 v[2:3], v[2:3], v[101:102]
	v_add_f64 v[6:7], v[6:7], v[109:110]
	v_fma_f64 v[79:80], v[79:80], v[117:118], v[103:104]
	v_fma_f64 v[101:102], v[77:78], v[117:118], -v[111:112]
	v_fma_f64 v[10:11], v[99:100], v[73:74], v[10:11]
	v_fma_f64 v[73:74], v[97:98], v[73:74], -v[93:94]
	v_add_f64 v[2:3], v[2:3], v[8:9]
	v_add_f64 v[95:96], v[6:7], v[95:96]
	ds_load_b128 v[6:9], v1 offset:576
	ds_load_b128 v[75:78], v1 offset:592
	s_waitcnt vmcnt(2) lgkmcnt(1)
	v_mul_f64 v[103:104], v[6:7], v[107:108]
	v_mul_f64 v[107:108], v[8:9], v[107:108]
	s_waitcnt lgkmcnt(0)
	v_mul_f64 v[93:94], v[75:76], v[83:84]
	v_mul_f64 v[83:84], v[77:78], v[83:84]
	v_add_f64 v[2:3], v[2:3], v[101:102]
	v_add_f64 v[79:80], v[95:96], v[79:80]
	v_fma_f64 v[95:96], v[8:9], v[105:106], v[103:104]
	v_fma_f64 v[97:98], v[6:7], v[105:106], -v[107:108]
	v_fma_f64 v[77:78], v[77:78], v[81:82], v[93:94]
	v_fma_f64 v[75:76], v[75:76], v[81:82], -v[83:84]
	v_add_f64 v[73:74], v[2:3], v[73:74]
	v_add_f64 v[10:11], v[79:80], v[10:11]
	ds_load_b128 v[6:9], v1 offset:608
	ds_load_b128 v[1:4], v1 offset:624
	s_waitcnt vmcnt(1) lgkmcnt(1)
	v_mul_f64 v[79:80], v[6:7], v[87:88]
	v_mul_f64 v[87:88], v[8:9], v[87:88]
	s_waitcnt vmcnt(0) lgkmcnt(0)
	v_mul_f64 v[81:82], v[1:2], v[91:92]
	v_mul_f64 v[83:84], v[3:4], v[91:92]
	v_add_f64 v[73:74], v[73:74], v[97:98]
	v_add_f64 v[10:11], v[10:11], v[95:96]
	v_fma_f64 v[8:9], v[8:9], v[85:86], v[79:80]
	v_fma_f64 v[6:7], v[6:7], v[85:86], -v[87:88]
	v_fma_f64 v[3:4], v[3:4], v[89:90], v[81:82]
	v_fma_f64 v[1:2], v[1:2], v[89:90], -v[83:84]
	v_add_f64 v[73:74], v[73:74], v[75:76]
	v_add_f64 v[10:11], v[10:11], v[77:78]
	s_delay_alu instid0(VALU_DEP_2) | instskip(NEXT) | instid1(VALU_DEP_2)
	v_add_f64 v[6:7], v[73:74], v[6:7]
	v_add_f64 v[8:9], v[10:11], v[8:9]
	s_delay_alu instid0(VALU_DEP_2) | instskip(NEXT) | instid1(VALU_DEP_2)
	;; [unrolled: 3-line block ×3, first 2 shown]
	v_add_f64 v[1:2], v[113:114], -v[1:2]
	v_add_f64 v[3:4], v[115:116], -v[3:4]
	scratch_store_b128 off, v[1:4], off offset:48
	v_cmpx_lt_u32_e32 2, v53
	s_cbranch_execz .LBB83_129
; %bb.128:
	scratch_load_b128 v[1:4], v58, off
	v_mov_b32_e32 v6, 0
	s_delay_alu instid0(VALU_DEP_1)
	v_mov_b32_e32 v7, v6
	v_mov_b32_e32 v8, v6
	;; [unrolled: 1-line block ×3, first 2 shown]
	scratch_store_b128 off, v[6:9], off offset:32
	s_waitcnt vmcnt(0)
	ds_store_b128 v5, v[1:4]
.LBB83_129:
	s_or_b32 exec_lo, exec_lo, s2
	s_waitcnt lgkmcnt(0)
	s_waitcnt_vscnt null, 0x0
	s_barrier
	buffer_gl0_inv
	s_clause 0x7
	scratch_load_b128 v[6:9], off, off offset:48
	scratch_load_b128 v[73:76], off, off offset:64
	;; [unrolled: 1-line block ×8, first 2 shown]
	v_mov_b32_e32 v1, 0
	s_mov_b32 s2, exec_lo
	ds_load_b128 v[101:104], v1 offset:368
	s_clause 0x1
	scratch_load_b128 v[105:108], off, off offset:176
	scratch_load_b128 v[109:112], off, off offset:32
	ds_load_b128 v[113:116], v1 offset:384
	ds_load_b128 v[121:124], v1 offset:416
	s_waitcnt vmcnt(9) lgkmcnt(2)
	v_mul_f64 v[2:3], v[103:104], v[8:9]
	v_mul_f64 v[117:118], v[101:102], v[8:9]
	scratch_load_b128 v[8:11], off, off offset:192
	v_fma_f64 v[2:3], v[101:102], v[6:7], -v[2:3]
	v_fma_f64 v[6:7], v[103:104], v[6:7], v[117:118]
	scratch_load_b128 v[117:120], off, off offset:208
	ds_load_b128 v[101:104], v1 offset:400
	s_waitcnt vmcnt(10) lgkmcnt(2)
	v_mul_f64 v[125:126], v[113:114], v[75:76]
	v_mul_f64 v[75:76], v[115:116], v[75:76]
	s_waitcnt vmcnt(9) lgkmcnt(0)
	v_mul_f64 v[127:128], v[101:102], v[79:80]
	v_mul_f64 v[79:80], v[103:104], v[79:80]
	v_add_f64 v[2:3], v[2:3], 0
	v_add_f64 v[6:7], v[6:7], 0
	v_fma_f64 v[115:116], v[115:116], v[73:74], v[125:126]
	v_fma_f64 v[113:114], v[113:114], v[73:74], -v[75:76]
	scratch_load_b128 v[73:76], off, off offset:224
	v_fma_f64 v[127:128], v[103:104], v[77:78], v[127:128]
	v_fma_f64 v[129:130], v[101:102], v[77:78], -v[79:80]
	scratch_load_b128 v[101:104], off, off offset:240
	ds_load_b128 v[77:80], v1 offset:432
	s_waitcnt vmcnt(10)
	v_mul_f64 v[125:126], v[121:122], v[83:84]
	v_mul_f64 v[83:84], v[123:124], v[83:84]
	v_add_f64 v[6:7], v[6:7], v[115:116]
	v_add_f64 v[2:3], v[2:3], v[113:114]
	ds_load_b128 v[113:116], v1 offset:448
	s_waitcnt vmcnt(9) lgkmcnt(1)
	v_mul_f64 v[131:132], v[77:78], v[87:88]
	v_mul_f64 v[87:88], v[79:80], v[87:88]
	v_fma_f64 v[123:124], v[123:124], v[81:82], v[125:126]
	v_fma_f64 v[121:122], v[121:122], v[81:82], -v[83:84]
	scratch_load_b128 v[81:84], off, off offset:256
	v_add_f64 v[6:7], v[6:7], v[127:128]
	v_add_f64 v[2:3], v[2:3], v[129:130]
	v_fma_f64 v[127:128], v[79:80], v[85:86], v[131:132]
	v_fma_f64 v[129:130], v[77:78], v[85:86], -v[87:88]
	scratch_load_b128 v[85:88], off, off offset:272
	ds_load_b128 v[77:80], v1 offset:464
	s_waitcnt vmcnt(10) lgkmcnt(1)
	v_mul_f64 v[125:126], v[113:114], v[91:92]
	v_mul_f64 v[91:92], v[115:116], v[91:92]
	s_waitcnt vmcnt(9) lgkmcnt(0)
	v_mul_f64 v[131:132], v[77:78], v[95:96]
	v_mul_f64 v[95:96], v[79:80], v[95:96]
	v_add_f64 v[6:7], v[6:7], v[123:124]
	v_add_f64 v[2:3], v[2:3], v[121:122]
	ds_load_b128 v[121:124], v1 offset:480
	v_fma_f64 v[115:116], v[115:116], v[89:90], v[125:126]
	v_fma_f64 v[113:114], v[113:114], v[89:90], -v[91:92]
	scratch_load_b128 v[89:92], off, off offset:288
	v_add_f64 v[6:7], v[6:7], v[127:128]
	v_add_f64 v[2:3], v[2:3], v[129:130]
	v_fma_f64 v[127:128], v[79:80], v[93:94], v[131:132]
	v_fma_f64 v[129:130], v[77:78], v[93:94], -v[95:96]
	scratch_load_b128 v[93:96], off, off offset:304
	ds_load_b128 v[77:80], v1 offset:496
	s_waitcnt vmcnt(10) lgkmcnt(1)
	v_mul_f64 v[125:126], v[121:122], v[99:100]
	v_mul_f64 v[99:100], v[123:124], v[99:100]
	s_waitcnt vmcnt(9) lgkmcnt(0)
	v_mul_f64 v[131:132], v[77:78], v[107:108]
	v_mul_f64 v[107:108], v[79:80], v[107:108]
	v_add_f64 v[6:7], v[6:7], v[115:116]
	v_add_f64 v[2:3], v[2:3], v[113:114]
	ds_load_b128 v[113:116], v1 offset:512
	v_fma_f64 v[123:124], v[123:124], v[97:98], v[125:126]
	v_fma_f64 v[97:98], v[121:122], v[97:98], -v[99:100]
	v_fma_f64 v[125:126], v[79:80], v[105:106], v[131:132]
	v_fma_f64 v[105:106], v[77:78], v[105:106], -v[107:108]
	v_add_f64 v[6:7], v[6:7], v[127:128]
	v_add_f64 v[2:3], v[2:3], v[129:130]
	s_waitcnt vmcnt(7) lgkmcnt(0)
	v_mul_f64 v[121:122], v[113:114], v[10:11]
	v_mul_f64 v[10:11], v[115:116], v[10:11]
	s_delay_alu instid0(VALU_DEP_4) | instskip(NEXT) | instid1(VALU_DEP_4)
	v_add_f64 v[6:7], v[6:7], v[123:124]
	v_add_f64 v[2:3], v[2:3], v[97:98]
	ds_load_b128 v[77:80], v1 offset:528
	ds_load_b128 v[97:100], v1 offset:544
	v_fma_f64 v[115:116], v[115:116], v[8:9], v[121:122]
	v_fma_f64 v[8:9], v[113:114], v[8:9], -v[10:11]
	s_waitcnt vmcnt(6) lgkmcnt(1)
	v_mul_f64 v[107:108], v[77:78], v[119:120]
	v_mul_f64 v[119:120], v[79:80], v[119:120]
	v_add_f64 v[6:7], v[6:7], v[125:126]
	v_add_f64 v[2:3], v[2:3], v[105:106]
	s_waitcnt vmcnt(5) lgkmcnt(0)
	v_mul_f64 v[10:11], v[97:98], v[75:76]
	v_mul_f64 v[105:106], v[99:100], v[75:76]
	v_fma_f64 v[79:80], v[79:80], v[117:118], v[107:108]
	v_fma_f64 v[107:108], v[77:78], v[117:118], -v[119:120]
	v_add_f64 v[113:114], v[6:7], v[115:116]
	v_add_f64 v[2:3], v[2:3], v[8:9]
	ds_load_b128 v[6:9], v1 offset:560
	ds_load_b128 v[75:78], v1 offset:576
	v_fma_f64 v[10:11], v[99:100], v[73:74], v[10:11]
	v_fma_f64 v[73:74], v[97:98], v[73:74], -v[105:106]
	s_waitcnt vmcnt(4) lgkmcnt(1)
	v_mul_f64 v[115:116], v[6:7], v[103:104]
	v_mul_f64 v[103:104], v[8:9], v[103:104]
	v_add_f64 v[79:80], v[113:114], v[79:80]
	v_add_f64 v[2:3], v[2:3], v[107:108]
	s_waitcnt vmcnt(3) lgkmcnt(0)
	v_mul_f64 v[105:106], v[75:76], v[83:84]
	v_mul_f64 v[83:84], v[77:78], v[83:84]
	v_fma_f64 v[107:108], v[8:9], v[101:102], v[115:116]
	v_fma_f64 v[101:102], v[6:7], v[101:102], -v[103:104]
	ds_load_b128 v[6:9], v1 offset:592
	ds_load_b128 v[97:100], v1 offset:608
	v_add_f64 v[10:11], v[79:80], v[10:11]
	v_add_f64 v[2:3], v[2:3], v[73:74]
	v_fma_f64 v[77:78], v[77:78], v[81:82], v[105:106]
	s_waitcnt vmcnt(2) lgkmcnt(1)
	v_mul_f64 v[73:74], v[6:7], v[87:88]
	v_mul_f64 v[79:80], v[8:9], v[87:88]
	v_fma_f64 v[75:76], v[75:76], v[81:82], -v[83:84]
	s_waitcnt vmcnt(1) lgkmcnt(0)
	v_mul_f64 v[81:82], v[97:98], v[91:92]
	v_mul_f64 v[83:84], v[99:100], v[91:92]
	v_add_f64 v[10:11], v[10:11], v[107:108]
	v_add_f64 v[2:3], v[2:3], v[101:102]
	v_fma_f64 v[73:74], v[8:9], v[85:86], v[73:74]
	v_fma_f64 v[79:80], v[6:7], v[85:86], -v[79:80]
	ds_load_b128 v[6:9], v1 offset:624
	v_fma_f64 v[81:82], v[99:100], v[89:90], v[81:82]
	v_fma_f64 v[83:84], v[97:98], v[89:90], -v[83:84]
	v_add_f64 v[10:11], v[10:11], v[77:78]
	v_add_f64 v[2:3], v[2:3], v[75:76]
	s_waitcnt vmcnt(0) lgkmcnt(0)
	v_mul_f64 v[75:76], v[6:7], v[95:96]
	v_mul_f64 v[77:78], v[8:9], v[95:96]
	s_delay_alu instid0(VALU_DEP_4) | instskip(NEXT) | instid1(VALU_DEP_4)
	v_add_f64 v[10:11], v[10:11], v[73:74]
	v_add_f64 v[2:3], v[2:3], v[79:80]
	s_delay_alu instid0(VALU_DEP_4) | instskip(NEXT) | instid1(VALU_DEP_4)
	v_fma_f64 v[8:9], v[8:9], v[93:94], v[75:76]
	v_fma_f64 v[6:7], v[6:7], v[93:94], -v[77:78]
	s_delay_alu instid0(VALU_DEP_4) | instskip(NEXT) | instid1(VALU_DEP_4)
	v_add_f64 v[10:11], v[10:11], v[81:82]
	v_add_f64 v[2:3], v[2:3], v[83:84]
	s_delay_alu instid0(VALU_DEP_2) | instskip(NEXT) | instid1(VALU_DEP_2)
	v_add_f64 v[8:9], v[10:11], v[8:9]
	v_add_f64 v[2:3], v[2:3], v[6:7]
	s_delay_alu instid0(VALU_DEP_2) | instskip(NEXT) | instid1(VALU_DEP_2)
	v_add_f64 v[8:9], v[111:112], -v[8:9]
	v_add_f64 v[6:7], v[109:110], -v[2:3]
	scratch_store_b128 off, v[6:9], off offset:32
	v_cmpx_lt_u32_e32 1, v53
	s_cbranch_execz .LBB83_131
; %bb.130:
	scratch_load_b128 v[6:9], v60, off
	v_mov_b32_e32 v2, v1
	v_mov_b32_e32 v3, v1
	v_mov_b32_e32 v4, v1
	scratch_store_b128 off, v[1:4], off offset:16
	s_waitcnt vmcnt(0)
	ds_store_b128 v5, v[6:9]
.LBB83_131:
	s_or_b32 exec_lo, exec_lo, s2
	s_waitcnt lgkmcnt(0)
	s_waitcnt_vscnt null, 0x0
	s_barrier
	buffer_gl0_inv
	s_clause 0x8
	scratch_load_b128 v[6:9], off, off offset:32
	scratch_load_b128 v[73:76], off, off offset:48
	;; [unrolled: 1-line block ×9, first 2 shown]
	ds_load_b128 v[105:108], v1 offset:352
	ds_load_b128 v[109:112], v1 offset:368
	scratch_load_b128 v[113:116], off, off offset:16
	s_mov_b32 s2, exec_lo
	ds_load_b128 v[121:124], v1 offset:400
	s_waitcnt vmcnt(9) lgkmcnt(2)
	v_mul_f64 v[2:3], v[107:108], v[8:9]
	v_mul_f64 v[117:118], v[105:106], v[8:9]
	scratch_load_b128 v[8:11], off, off offset:176
	s_waitcnt vmcnt(9) lgkmcnt(1)
	v_mul_f64 v[125:126], v[109:110], v[75:76]
	v_mul_f64 v[75:76], v[111:112], v[75:76]
	v_fma_f64 v[2:3], v[105:106], v[6:7], -v[2:3]
	v_fma_f64 v[6:7], v[107:108], v[6:7], v[117:118]
	ds_load_b128 v[105:108], v1 offset:384
	scratch_load_b128 v[117:120], off, off offset:192
	v_fma_f64 v[111:112], v[111:112], v[73:74], v[125:126]
	v_fma_f64 v[109:110], v[109:110], v[73:74], -v[75:76]
	scratch_load_b128 v[73:76], off, off offset:208
	s_waitcnt vmcnt(9) lgkmcnt(1)
	v_mul_f64 v[125:126], v[121:122], v[83:84]
	v_mul_f64 v[83:84], v[123:124], v[83:84]
	s_waitcnt lgkmcnt(0)
	v_mul_f64 v[127:128], v[105:106], v[79:80]
	v_mul_f64 v[79:80], v[107:108], v[79:80]
	v_add_f64 v[2:3], v[2:3], 0
	v_add_f64 v[6:7], v[6:7], 0
	v_fma_f64 v[123:124], v[123:124], v[81:82], v[125:126]
	v_fma_f64 v[121:122], v[121:122], v[81:82], -v[83:84]
	scratch_load_b128 v[81:84], off, off offset:240
	v_fma_f64 v[127:128], v[107:108], v[77:78], v[127:128]
	v_fma_f64 v[129:130], v[105:106], v[77:78], -v[79:80]
	ds_load_b128 v[77:80], v1 offset:416
	scratch_load_b128 v[105:108], off, off offset:224
	v_add_f64 v[2:3], v[2:3], v[109:110]
	v_add_f64 v[6:7], v[6:7], v[111:112]
	ds_load_b128 v[109:112], v1 offset:432
	s_waitcnt vmcnt(10) lgkmcnt(1)
	v_mul_f64 v[131:132], v[77:78], v[87:88]
	v_mul_f64 v[87:88], v[79:80], v[87:88]
	s_waitcnt vmcnt(9) lgkmcnt(0)
	v_mul_f64 v[125:126], v[109:110], v[91:92]
	v_mul_f64 v[91:92], v[111:112], v[91:92]
	v_add_f64 v[2:3], v[2:3], v[129:130]
	v_add_f64 v[6:7], v[6:7], v[127:128]
	v_fma_f64 v[127:128], v[79:80], v[85:86], v[131:132]
	v_fma_f64 v[129:130], v[77:78], v[85:86], -v[87:88]
	ds_load_b128 v[77:80], v1 offset:448
	scratch_load_b128 v[85:88], off, off offset:256
	v_fma_f64 v[111:112], v[111:112], v[89:90], v[125:126]
	v_fma_f64 v[109:110], v[109:110], v[89:90], -v[91:92]
	scratch_load_b128 v[89:92], off, off offset:272
	v_add_f64 v[2:3], v[2:3], v[121:122]
	v_add_f64 v[6:7], v[6:7], v[123:124]
	ds_load_b128 v[121:124], v1 offset:464
	s_waitcnt vmcnt(10) lgkmcnt(1)
	v_mul_f64 v[131:132], v[77:78], v[95:96]
	v_mul_f64 v[95:96], v[79:80], v[95:96]
	s_waitcnt vmcnt(9) lgkmcnt(0)
	v_mul_f64 v[125:126], v[121:122], v[99:100]
	v_mul_f64 v[99:100], v[123:124], v[99:100]
	v_add_f64 v[2:3], v[2:3], v[129:130]
	v_add_f64 v[6:7], v[6:7], v[127:128]
	v_fma_f64 v[127:128], v[79:80], v[93:94], v[131:132]
	v_fma_f64 v[129:130], v[77:78], v[93:94], -v[95:96]
	ds_load_b128 v[77:80], v1 offset:480
	scratch_load_b128 v[93:96], off, off offset:288
	v_fma_f64 v[123:124], v[123:124], v[97:98], v[125:126]
	v_fma_f64 v[121:122], v[121:122], v[97:98], -v[99:100]
	scratch_load_b128 v[97:100], off, off offset:304
	v_add_f64 v[2:3], v[2:3], v[109:110]
	v_add_f64 v[6:7], v[6:7], v[111:112]
	ds_load_b128 v[109:112], v1 offset:496
	s_waitcnt vmcnt(10) lgkmcnt(1)
	v_mul_f64 v[131:132], v[77:78], v[103:104]
	v_mul_f64 v[103:104], v[79:80], v[103:104]
	v_add_f64 v[2:3], v[2:3], v[129:130]
	v_add_f64 v[6:7], v[6:7], v[127:128]
	s_delay_alu instid0(VALU_DEP_4) | instskip(NEXT) | instid1(VALU_DEP_4)
	v_fma_f64 v[127:128], v[79:80], v[101:102], v[131:132]
	v_fma_f64 v[129:130], v[77:78], v[101:102], -v[103:104]
	ds_load_b128 v[77:80], v1 offset:512
	ds_load_b128 v[101:104], v1 offset:528
	s_waitcnt vmcnt(8) lgkmcnt(2)
	v_mul_f64 v[125:126], v[109:110], v[10:11]
	v_mul_f64 v[10:11], v[111:112], v[10:11]
	v_add_f64 v[2:3], v[2:3], v[121:122]
	v_add_f64 v[6:7], v[6:7], v[123:124]
	s_delay_alu instid0(VALU_DEP_4)
	v_fma_f64 v[111:112], v[111:112], v[8:9], v[125:126]
	s_waitcnt vmcnt(7) lgkmcnt(1)
	v_mul_f64 v[121:122], v[77:78], v[119:120]
	v_mul_f64 v[119:120], v[79:80], v[119:120]
	v_fma_f64 v[8:9], v[109:110], v[8:9], -v[10:11]
	s_waitcnt vmcnt(6) lgkmcnt(0)
	v_mul_f64 v[10:11], v[101:102], v[75:76]
	v_mul_f64 v[109:110], v[103:104], v[75:76]
	v_add_f64 v[2:3], v[2:3], v[129:130]
	v_add_f64 v[6:7], v[6:7], v[127:128]
	v_fma_f64 v[79:80], v[79:80], v[117:118], v[121:122]
	v_fma_f64 v[117:118], v[77:78], v[117:118], -v[119:120]
	v_fma_f64 v[10:11], v[103:104], v[73:74], v[10:11]
	v_fma_f64 v[73:74], v[101:102], v[73:74], -v[109:110]
	v_add_f64 v[2:3], v[2:3], v[8:9]
	v_add_f64 v[111:112], v[6:7], v[111:112]
	ds_load_b128 v[6:9], v1 offset:544
	ds_load_b128 v[75:78], v1 offset:560
	s_waitcnt vmcnt(4) lgkmcnt(1)
	v_mul_f64 v[119:120], v[6:7], v[107:108]
	v_mul_f64 v[107:108], v[8:9], v[107:108]
	s_waitcnt lgkmcnt(0)
	v_mul_f64 v[109:110], v[75:76], v[83:84]
	v_mul_f64 v[83:84], v[77:78], v[83:84]
	v_add_f64 v[2:3], v[2:3], v[117:118]
	v_add_f64 v[79:80], v[111:112], v[79:80]
	v_fma_f64 v[111:112], v[8:9], v[105:106], v[119:120]
	v_fma_f64 v[105:106], v[6:7], v[105:106], -v[107:108]
	ds_load_b128 v[6:9], v1 offset:576
	ds_load_b128 v[101:104], v1 offset:592
	v_fma_f64 v[77:78], v[77:78], v[81:82], v[109:110]
	v_fma_f64 v[75:76], v[75:76], v[81:82], -v[83:84]
	v_add_f64 v[2:3], v[2:3], v[73:74]
	v_add_f64 v[10:11], v[79:80], v[10:11]
	s_waitcnt vmcnt(3) lgkmcnt(1)
	v_mul_f64 v[73:74], v[6:7], v[87:88]
	v_mul_f64 v[79:80], v[8:9], v[87:88]
	s_waitcnt vmcnt(2) lgkmcnt(0)
	v_mul_f64 v[81:82], v[101:102], v[91:92]
	v_mul_f64 v[83:84], v[103:104], v[91:92]
	v_add_f64 v[2:3], v[2:3], v[105:106]
	v_add_f64 v[10:11], v[10:11], v[111:112]
	v_fma_f64 v[73:74], v[8:9], v[85:86], v[73:74]
	v_fma_f64 v[79:80], v[6:7], v[85:86], -v[79:80]
	v_fma_f64 v[81:82], v[103:104], v[89:90], v[81:82]
	v_fma_f64 v[83:84], v[101:102], v[89:90], -v[83:84]
	v_add_f64 v[75:76], v[2:3], v[75:76]
	v_add_f64 v[10:11], v[10:11], v[77:78]
	ds_load_b128 v[6:9], v1 offset:608
	ds_load_b128 v[1:4], v1 offset:624
	s_waitcnt vmcnt(1) lgkmcnt(1)
	v_mul_f64 v[77:78], v[6:7], v[95:96]
	v_mul_f64 v[85:86], v[8:9], v[95:96]
	v_add_f64 v[75:76], v[75:76], v[79:80]
	v_add_f64 v[10:11], v[10:11], v[73:74]
	s_waitcnt vmcnt(0) lgkmcnt(0)
	v_mul_f64 v[73:74], v[1:2], v[99:100]
	v_mul_f64 v[79:80], v[3:4], v[99:100]
	v_fma_f64 v[8:9], v[8:9], v[93:94], v[77:78]
	v_fma_f64 v[6:7], v[6:7], v[93:94], -v[85:86]
	v_add_f64 v[75:76], v[75:76], v[83:84]
	v_add_f64 v[10:11], v[10:11], v[81:82]
	v_fma_f64 v[3:4], v[3:4], v[97:98], v[73:74]
	v_fma_f64 v[1:2], v[1:2], v[97:98], -v[79:80]
	s_delay_alu instid0(VALU_DEP_4) | instskip(NEXT) | instid1(VALU_DEP_4)
	v_add_f64 v[6:7], v[75:76], v[6:7]
	v_add_f64 v[8:9], v[10:11], v[8:9]
	s_delay_alu instid0(VALU_DEP_2) | instskip(NEXT) | instid1(VALU_DEP_2)
	v_add_f64 v[1:2], v[6:7], v[1:2]
	v_add_f64 v[3:4], v[8:9], v[3:4]
	s_delay_alu instid0(VALU_DEP_2) | instskip(NEXT) | instid1(VALU_DEP_2)
	v_add_f64 v[1:2], v[113:114], -v[1:2]
	v_add_f64 v[3:4], v[115:116], -v[3:4]
	scratch_store_b128 off, v[1:4], off offset:16
	v_cmpx_ne_u32_e32 0, v53
	s_cbranch_execz .LBB83_133
; %bb.132:
	scratch_load_b128 v[1:4], off, off
	v_mov_b32_e32 v6, 0
	s_delay_alu instid0(VALU_DEP_1)
	v_mov_b32_e32 v7, v6
	v_mov_b32_e32 v8, v6
	;; [unrolled: 1-line block ×3, first 2 shown]
	scratch_store_b128 off, v[6:9], off
	s_waitcnt vmcnt(0)
	ds_store_b128 v5, v[1:4]
.LBB83_133:
	s_or_b32 exec_lo, exec_lo, s2
	s_waitcnt lgkmcnt(0)
	s_waitcnt_vscnt null, 0x0
	s_barrier
	buffer_gl0_inv
	s_clause 0x7
	scratch_load_b128 v[1:4], off, off offset:16
	scratch_load_b128 v[5:8], off, off offset:32
	;; [unrolled: 1-line block ×8, first 2 shown]
	v_mov_b32_e32 v129, 0
	s_and_b32 vcc_lo, exec_lo, s14
	ds_load_b128 v[93:96], v129 offset:336
	s_clause 0x1
	scratch_load_b128 v[97:100], off, off offset:144
	scratch_load_b128 v[101:104], off, off
	ds_load_b128 v[105:108], v129 offset:352
	scratch_load_b128 v[109:112], off, off offset:160
	s_waitcnt vmcnt(10) lgkmcnt(1)
	v_mul_f64 v[113:114], v[95:96], v[3:4]
	v_mul_f64 v[3:4], v[93:94], v[3:4]
	s_delay_alu instid0(VALU_DEP_2) | instskip(NEXT) | instid1(VALU_DEP_2)
	v_fma_f64 v[119:120], v[93:94], v[1:2], -v[113:114]
	v_fma_f64 v[121:122], v[95:96], v[1:2], v[3:4]
	scratch_load_b128 v[93:96], off, off offset:176
	ds_load_b128 v[1:4], v129 offset:368
	s_waitcnt vmcnt(10) lgkmcnt(1)
	v_mul_f64 v[117:118], v[105:106], v[7:8]
	v_mul_f64 v[7:8], v[107:108], v[7:8]
	ds_load_b128 v[113:116], v129 offset:384
	s_waitcnt vmcnt(9) lgkmcnt(1)
	v_mul_f64 v[123:124], v[1:2], v[11:12]
	v_mul_f64 v[11:12], v[3:4], v[11:12]
	v_fma_f64 v[107:108], v[107:108], v[5:6], v[117:118]
	v_fma_f64 v[105:106], v[105:106], v[5:6], -v[7:8]
	v_add_f64 v[117:118], v[119:120], 0
	v_add_f64 v[119:120], v[121:122], 0
	scratch_load_b128 v[5:8], off, off offset:192
	v_fma_f64 v[123:124], v[3:4], v[9:10], v[123:124]
	v_fma_f64 v[125:126], v[1:2], v[9:10], -v[11:12]
	scratch_load_b128 v[9:12], off, off offset:208
	ds_load_b128 v[1:4], v129 offset:400
	s_waitcnt vmcnt(10) lgkmcnt(1)
	v_mul_f64 v[121:122], v[113:114], v[75:76]
	v_mul_f64 v[75:76], v[115:116], v[75:76]
	v_add_f64 v[117:118], v[117:118], v[105:106]
	v_add_f64 v[119:120], v[119:120], v[107:108]
	s_waitcnt vmcnt(9) lgkmcnt(0)
	v_mul_f64 v[127:128], v[1:2], v[79:80]
	v_mul_f64 v[79:80], v[3:4], v[79:80]
	ds_load_b128 v[105:108], v129 offset:416
	v_fma_f64 v[115:116], v[115:116], v[73:74], v[121:122]
	v_fma_f64 v[113:114], v[113:114], v[73:74], -v[75:76]
	scratch_load_b128 v[73:76], off, off offset:224
	v_add_f64 v[117:118], v[117:118], v[125:126]
	v_add_f64 v[119:120], v[119:120], v[123:124]
	v_fma_f64 v[123:124], v[3:4], v[77:78], v[127:128]
	v_fma_f64 v[125:126], v[1:2], v[77:78], -v[79:80]
	scratch_load_b128 v[77:80], off, off offset:240
	ds_load_b128 v[1:4], v129 offset:432
	s_waitcnt vmcnt(10) lgkmcnt(1)
	v_mul_f64 v[121:122], v[105:106], v[83:84]
	v_mul_f64 v[83:84], v[107:108], v[83:84]
	s_waitcnt vmcnt(9) lgkmcnt(0)
	v_mul_f64 v[127:128], v[1:2], v[87:88]
	v_mul_f64 v[87:88], v[3:4], v[87:88]
	v_add_f64 v[117:118], v[117:118], v[113:114]
	v_add_f64 v[119:120], v[119:120], v[115:116]
	ds_load_b128 v[113:116], v129 offset:448
	v_fma_f64 v[107:108], v[107:108], v[81:82], v[121:122]
	v_fma_f64 v[105:106], v[105:106], v[81:82], -v[83:84]
	scratch_load_b128 v[81:84], off, off offset:256
	v_add_f64 v[117:118], v[117:118], v[125:126]
	v_add_f64 v[119:120], v[119:120], v[123:124]
	v_fma_f64 v[123:124], v[3:4], v[85:86], v[127:128]
	v_fma_f64 v[125:126], v[1:2], v[85:86], -v[87:88]
	scratch_load_b128 v[85:88], off, off offset:272
	ds_load_b128 v[1:4], v129 offset:464
	s_waitcnt vmcnt(10) lgkmcnt(1)
	v_mul_f64 v[121:122], v[113:114], v[91:92]
	v_mul_f64 v[91:92], v[115:116], v[91:92]
	s_waitcnt vmcnt(9) lgkmcnt(0)
	v_mul_f64 v[127:128], v[1:2], v[99:100]
	v_mul_f64 v[99:100], v[3:4], v[99:100]
	v_add_f64 v[117:118], v[117:118], v[105:106]
	v_add_f64 v[119:120], v[119:120], v[107:108]
	ds_load_b128 v[105:108], v129 offset:480
	v_fma_f64 v[115:116], v[115:116], v[89:90], v[121:122]
	v_fma_f64 v[113:114], v[113:114], v[89:90], -v[91:92]
	scratch_load_b128 v[89:92], off, off offset:288
	v_add_f64 v[117:118], v[117:118], v[125:126]
	v_add_f64 v[119:120], v[119:120], v[123:124]
	v_fma_f64 v[125:126], v[3:4], v[97:98], v[127:128]
	v_fma_f64 v[127:128], v[1:2], v[97:98], -v[99:100]
	scratch_load_b128 v[97:100], off, off offset:304
	ds_load_b128 v[1:4], v129 offset:496
	s_waitcnt vmcnt(9) lgkmcnt(1)
	v_mul_f64 v[121:122], v[105:106], v[111:112]
	v_mul_f64 v[123:124], v[107:108], v[111:112]
	v_add_f64 v[117:118], v[117:118], v[113:114]
	v_add_f64 v[115:116], v[119:120], v[115:116]
	ds_load_b128 v[111:114], v129 offset:512
	v_fma_f64 v[107:108], v[107:108], v[109:110], v[121:122]
	v_fma_f64 v[105:106], v[105:106], v[109:110], -v[123:124]
	s_waitcnt vmcnt(8) lgkmcnt(1)
	v_mul_f64 v[119:120], v[1:2], v[95:96]
	v_mul_f64 v[95:96], v[3:4], v[95:96]
	v_add_f64 v[109:110], v[117:118], v[127:128]
	v_add_f64 v[115:116], v[115:116], v[125:126]
	s_delay_alu instid0(VALU_DEP_4) | instskip(NEXT) | instid1(VALU_DEP_4)
	v_fma_f64 v[119:120], v[3:4], v[93:94], v[119:120]
	v_fma_f64 v[121:122], v[1:2], v[93:94], -v[95:96]
	ds_load_b128 v[1:4], v129 offset:528
	ds_load_b128 v[93:96], v129 offset:544
	s_waitcnt vmcnt(7) lgkmcnt(2)
	v_mul_f64 v[117:118], v[111:112], v[7:8]
	v_mul_f64 v[7:8], v[113:114], v[7:8]
	v_add_f64 v[105:106], v[109:110], v[105:106]
	v_add_f64 v[107:108], v[115:116], v[107:108]
	s_waitcnt vmcnt(6) lgkmcnt(1)
	v_mul_f64 v[109:110], v[1:2], v[11:12]
	v_mul_f64 v[11:12], v[3:4], v[11:12]
	v_fma_f64 v[113:114], v[113:114], v[5:6], v[117:118]
	v_fma_f64 v[5:6], v[111:112], v[5:6], -v[7:8]
	v_add_f64 v[7:8], v[105:106], v[121:122]
	v_add_f64 v[105:106], v[107:108], v[119:120]
	s_waitcnt vmcnt(5) lgkmcnt(0)
	v_mul_f64 v[107:108], v[93:94], v[75:76]
	v_mul_f64 v[75:76], v[95:96], v[75:76]
	v_fma_f64 v[109:110], v[3:4], v[9:10], v[109:110]
	v_fma_f64 v[9:10], v[1:2], v[9:10], -v[11:12]
	v_add_f64 v[11:12], v[7:8], v[5:6]
	v_add_f64 v[105:106], v[105:106], v[113:114]
	ds_load_b128 v[1:4], v129 offset:560
	ds_load_b128 v[5:8], v129 offset:576
	v_fma_f64 v[95:96], v[95:96], v[73:74], v[107:108]
	v_fma_f64 v[73:74], v[93:94], v[73:74], -v[75:76]
	s_waitcnt vmcnt(4) lgkmcnt(1)
	v_mul_f64 v[111:112], v[1:2], v[79:80]
	v_mul_f64 v[79:80], v[3:4], v[79:80]
	s_waitcnt vmcnt(3) lgkmcnt(0)
	v_mul_f64 v[75:76], v[5:6], v[83:84]
	v_mul_f64 v[83:84], v[7:8], v[83:84]
	v_add_f64 v[9:10], v[11:12], v[9:10]
	v_add_f64 v[11:12], v[105:106], v[109:110]
	v_fma_f64 v[93:94], v[3:4], v[77:78], v[111:112]
	v_fma_f64 v[77:78], v[1:2], v[77:78], -v[79:80]
	v_fma_f64 v[7:8], v[7:8], v[81:82], v[75:76]
	v_fma_f64 v[5:6], v[5:6], v[81:82], -v[83:84]
	v_add_f64 v[73:74], v[9:10], v[73:74]
	v_add_f64 v[79:80], v[11:12], v[95:96]
	ds_load_b128 v[1:4], v129 offset:592
	ds_load_b128 v[9:12], v129 offset:608
	s_waitcnt vmcnt(2) lgkmcnt(1)
	v_mul_f64 v[95:96], v[1:2], v[87:88]
	v_mul_f64 v[87:88], v[3:4], v[87:88]
	v_add_f64 v[73:74], v[73:74], v[77:78]
	v_add_f64 v[75:76], v[79:80], v[93:94]
	s_waitcnt vmcnt(1) lgkmcnt(0)
	v_mul_f64 v[77:78], v[9:10], v[91:92]
	v_mul_f64 v[79:80], v[11:12], v[91:92]
	v_fma_f64 v[81:82], v[3:4], v[85:86], v[95:96]
	v_fma_f64 v[83:84], v[1:2], v[85:86], -v[87:88]
	ds_load_b128 v[1:4], v129 offset:624
	v_add_f64 v[5:6], v[73:74], v[5:6]
	v_add_f64 v[7:8], v[75:76], v[7:8]
	v_fma_f64 v[11:12], v[11:12], v[89:90], v[77:78]
	v_fma_f64 v[9:10], v[9:10], v[89:90], -v[79:80]
	s_waitcnt vmcnt(0) lgkmcnt(0)
	v_mul_f64 v[73:74], v[1:2], v[99:100]
	v_mul_f64 v[75:76], v[3:4], v[99:100]
	v_add_f64 v[5:6], v[5:6], v[83:84]
	v_add_f64 v[7:8], v[7:8], v[81:82]
	s_delay_alu instid0(VALU_DEP_4) | instskip(NEXT) | instid1(VALU_DEP_4)
	v_fma_f64 v[3:4], v[3:4], v[97:98], v[73:74]
	v_fma_f64 v[1:2], v[1:2], v[97:98], -v[75:76]
	s_delay_alu instid0(VALU_DEP_4) | instskip(NEXT) | instid1(VALU_DEP_4)
	v_add_f64 v[5:6], v[5:6], v[9:10]
	v_add_f64 v[7:8], v[7:8], v[11:12]
	s_delay_alu instid0(VALU_DEP_2) | instskip(NEXT) | instid1(VALU_DEP_2)
	v_add_f64 v[1:2], v[5:6], v[1:2]
	v_add_f64 v[3:4], v[7:8], v[3:4]
	s_delay_alu instid0(VALU_DEP_2) | instskip(NEXT) | instid1(VALU_DEP_2)
	v_add_f64 v[1:2], v[101:102], -v[1:2]
	v_add_f64 v[3:4], v[103:104], -v[3:4]
	scratch_store_b128 off, v[1:4], off
	s_cbranch_vccz .LBB83_173
; %bb.134:
	v_dual_mov_b32 v1, s8 :: v_dual_mov_b32 v2, s9
	s_load_b64 s[0:1], s[0:1], 0x4
	flat_load_b32 v1, v[1:2] offset:72
	v_bfe_u32 v2, v0, 10, 10
	v_bfe_u32 v0, v0, 20, 10
	s_waitcnt lgkmcnt(0)
	s_lshr_b32 s0, s0, 16
	s_delay_alu instid0(VALU_DEP_2) | instskip(SKIP_1) | instid1(SALU_CYCLE_1)
	v_mul_u32_u24_e32 v2, s1, v2
	s_mul_i32 s0, s0, s1
	v_mul_u32_u24_e32 v3, s0, v53
	s_mov_b32 s0, exec_lo
	s_delay_alu instid0(VALU_DEP_1) | instskip(NEXT) | instid1(VALU_DEP_1)
	v_add3_u32 v0, v3, v2, v0
	v_lshl_add_u32 v0, v0, 4, 0x288
	s_waitcnt vmcnt(0)
	v_cmpx_ne_u32_e32 19, v1
	s_cbranch_execz .LBB83_136
; %bb.135:
	v_lshl_add_u32 v9, v1, 4, 0
	s_clause 0x1
	scratch_load_b128 v[1:4], v72, off
	scratch_load_b128 v[5:8], v9, off offset:-16
	s_waitcnt vmcnt(1)
	ds_store_2addr_b64 v0, v[1:2], v[3:4] offset1:1
	s_waitcnt vmcnt(0)
	s_clause 0x1
	scratch_store_b128 v72, v[5:8], off
	scratch_store_b128 v9, v[1:4], off offset:-16
.LBB83_136:
	s_or_b32 exec_lo, exec_lo, s0
	v_dual_mov_b32 v1, s8 :: v_dual_mov_b32 v2, s9
	s_mov_b32 s0, exec_lo
	flat_load_b32 v1, v[1:2] offset:68
	s_waitcnt vmcnt(0) lgkmcnt(0)
	v_cmpx_ne_u32_e32 18, v1
	s_cbranch_execz .LBB83_138
; %bb.137:
	v_lshl_add_u32 v9, v1, 4, 0
	s_clause 0x1
	scratch_load_b128 v[1:4], v69, off
	scratch_load_b128 v[5:8], v9, off offset:-16
	s_waitcnt vmcnt(1)
	ds_store_2addr_b64 v0, v[1:2], v[3:4] offset1:1
	s_waitcnt vmcnt(0)
	s_clause 0x1
	scratch_store_b128 v69, v[5:8], off
	scratch_store_b128 v9, v[1:4], off offset:-16
.LBB83_138:
	s_or_b32 exec_lo, exec_lo, s0
	v_dual_mov_b32 v1, s8 :: v_dual_mov_b32 v2, s9
	s_mov_b32 s0, exec_lo
	flat_load_b32 v1, v[1:2] offset:64
	s_waitcnt vmcnt(0) lgkmcnt(0)
	;; [unrolled: 19-line block ×17, first 2 shown]
	v_cmpx_ne_u32_e32 2, v1
	s_cbranch_execz .LBB83_170
; %bb.169:
	v_lshl_add_u32 v9, v1, 4, 0
	s_clause 0x1
	scratch_load_b128 v[1:4], v60, off
	scratch_load_b128 v[5:8], v9, off offset:-16
	s_waitcnt vmcnt(1)
	ds_store_2addr_b64 v0, v[1:2], v[3:4] offset1:1
	s_waitcnt vmcnt(0)
	s_clause 0x1
	scratch_store_b128 v60, v[5:8], off
	scratch_store_b128 v9, v[1:4], off offset:-16
.LBB83_170:
	s_or_b32 exec_lo, exec_lo, s0
	v_dual_mov_b32 v1, s8 :: v_dual_mov_b32 v2, s9
	s_mov_b32 s0, exec_lo
	flat_load_b32 v1, v[1:2]
	s_waitcnt vmcnt(0) lgkmcnt(0)
	v_cmpx_ne_u32_e32 1, v1
	s_cbranch_execz .LBB83_172
; %bb.171:
	v_lshl_add_u32 v9, v1, 4, 0
	scratch_load_b128 v[1:4], off, off
	scratch_load_b128 v[5:8], v9, off offset:-16
	s_waitcnt vmcnt(1)
	ds_store_2addr_b64 v0, v[1:2], v[3:4] offset1:1
	s_waitcnt vmcnt(0)
	scratch_store_b128 off, v[5:8], off
	scratch_store_b128 v9, v[1:4], off offset:-16
.LBB83_172:
	s_or_b32 exec_lo, exec_lo, s0
.LBB83_173:
	scratch_load_b128 v[0:3], off, off
	s_clause 0x12
	scratch_load_b128 v[4:7], v60, off
	scratch_load_b128 v[8:11], v58, off
	;; [unrolled: 1-line block ×19, first 2 shown]
	s_waitcnt vmcnt(19)
	global_store_b128 v[13:14], v[0:3], off
	s_waitcnt vmcnt(18)
	global_store_b128 v[15:16], v[4:7], off
	;; [unrolled: 2-line block ×20, first 2 shown]
	s_endpgm
	.section	.rodata,"a",@progbits
	.p2align	6, 0x0
	.amdhsa_kernel _ZN9rocsolver6v33100L18getri_kernel_smallILi20E19rocblas_complex_numIdEPKPS3_EEvT1_iilPiilS8_bb
		.amdhsa_group_segment_fixed_size 1672
		.amdhsa_private_segment_fixed_size 336
		.amdhsa_kernarg_size 60
		.amdhsa_user_sgpr_count 15
		.amdhsa_user_sgpr_dispatch_ptr 1
		.amdhsa_user_sgpr_queue_ptr 0
		.amdhsa_user_sgpr_kernarg_segment_ptr 1
		.amdhsa_user_sgpr_dispatch_id 0
		.amdhsa_user_sgpr_private_segment_size 0
		.amdhsa_wavefront_size32 1
		.amdhsa_uses_dynamic_stack 0
		.amdhsa_enable_private_segment 1
		.amdhsa_system_sgpr_workgroup_id_x 1
		.amdhsa_system_sgpr_workgroup_id_y 0
		.amdhsa_system_sgpr_workgroup_id_z 0
		.amdhsa_system_sgpr_workgroup_info 0
		.amdhsa_system_vgpr_workitem_id 2
		.amdhsa_next_free_vgpr 133
		.amdhsa_next_free_sgpr 19
		.amdhsa_reserve_vcc 1
		.amdhsa_float_round_mode_32 0
		.amdhsa_float_round_mode_16_64 0
		.amdhsa_float_denorm_mode_32 3
		.amdhsa_float_denorm_mode_16_64 3
		.amdhsa_dx10_clamp 1
		.amdhsa_ieee_mode 1
		.amdhsa_fp16_overflow 0
		.amdhsa_workgroup_processor_mode 1
		.amdhsa_memory_ordered 1
		.amdhsa_forward_progress 0
		.amdhsa_shared_vgpr_count 0
		.amdhsa_exception_fp_ieee_invalid_op 0
		.amdhsa_exception_fp_denorm_src 0
		.amdhsa_exception_fp_ieee_div_zero 0
		.amdhsa_exception_fp_ieee_overflow 0
		.amdhsa_exception_fp_ieee_underflow 0
		.amdhsa_exception_fp_ieee_inexact 0
		.amdhsa_exception_int_div_zero 0
	.end_amdhsa_kernel
	.section	.text._ZN9rocsolver6v33100L18getri_kernel_smallILi20E19rocblas_complex_numIdEPKPS3_EEvT1_iilPiilS8_bb,"axG",@progbits,_ZN9rocsolver6v33100L18getri_kernel_smallILi20E19rocblas_complex_numIdEPKPS3_EEvT1_iilPiilS8_bb,comdat
.Lfunc_end83:
	.size	_ZN9rocsolver6v33100L18getri_kernel_smallILi20E19rocblas_complex_numIdEPKPS3_EEvT1_iilPiilS8_bb, .Lfunc_end83-_ZN9rocsolver6v33100L18getri_kernel_smallILi20E19rocblas_complex_numIdEPKPS3_EEvT1_iilPiilS8_bb
                                        ; -- End function
	.section	.AMDGPU.csdata,"",@progbits
; Kernel info:
; codeLenInByte = 25672
; NumSgprs: 21
; NumVgprs: 133
; ScratchSize: 336
; MemoryBound: 0
; FloatMode: 240
; IeeeMode: 1
; LDSByteSize: 1672 bytes/workgroup (compile time only)
; SGPRBlocks: 2
; VGPRBlocks: 16
; NumSGPRsForWavesPerEU: 21
; NumVGPRsForWavesPerEU: 133
; Occupancy: 10
; WaveLimiterHint : 1
; COMPUTE_PGM_RSRC2:SCRATCH_EN: 1
; COMPUTE_PGM_RSRC2:USER_SGPR: 15
; COMPUTE_PGM_RSRC2:TRAP_HANDLER: 0
; COMPUTE_PGM_RSRC2:TGID_X_EN: 1
; COMPUTE_PGM_RSRC2:TGID_Y_EN: 0
; COMPUTE_PGM_RSRC2:TGID_Z_EN: 0
; COMPUTE_PGM_RSRC2:TIDIG_COMP_CNT: 2
	.section	.text._ZN9rocsolver6v33100L18getri_kernel_smallILi21E19rocblas_complex_numIdEPKPS3_EEvT1_iilPiilS8_bb,"axG",@progbits,_ZN9rocsolver6v33100L18getri_kernel_smallILi21E19rocblas_complex_numIdEPKPS3_EEvT1_iilPiilS8_bb,comdat
	.globl	_ZN9rocsolver6v33100L18getri_kernel_smallILi21E19rocblas_complex_numIdEPKPS3_EEvT1_iilPiilS8_bb ; -- Begin function _ZN9rocsolver6v33100L18getri_kernel_smallILi21E19rocblas_complex_numIdEPKPS3_EEvT1_iilPiilS8_bb
	.p2align	8
	.type	_ZN9rocsolver6v33100L18getri_kernel_smallILi21E19rocblas_complex_numIdEPKPS3_EEvT1_iilPiilS8_bb,@function
_ZN9rocsolver6v33100L18getri_kernel_smallILi21E19rocblas_complex_numIdEPKPS3_EEvT1_iilPiilS8_bb: ; @_ZN9rocsolver6v33100L18getri_kernel_smallILi21E19rocblas_complex_numIdEPKPS3_EEvT1_iilPiilS8_bb
; %bb.0:
	v_and_b32_e32 v55, 0x3ff, v0
	s_mov_b32 s4, exec_lo
	s_delay_alu instid0(VALU_DEP_1)
	v_cmpx_gt_u32_e32 21, v55
	s_cbranch_execz .LBB84_98
; %bb.1:
	s_mov_b32 s10, s15
	s_clause 0x2
	s_load_b32 s15, s[2:3], 0x38
	s_load_b64 s[8:9], s[2:3], 0x0
	s_load_b128 s[4:7], s[2:3], 0x28
	s_waitcnt lgkmcnt(0)
	s_bitcmp1_b32 s15, 8
	s_cselect_b32 s14, -1, 0
	s_ashr_i32 s11, s10, 31
	s_delay_alu instid0(SALU_CYCLE_1) | instskip(NEXT) | instid1(SALU_CYCLE_1)
	s_lshl_b64 s[12:13], s[10:11], 3
	s_add_u32 s8, s8, s12
	s_addc_u32 s9, s9, s13
	s_load_b64 s[12:13], s[8:9], 0x0
	s_bfe_u32 s8, s15, 0x10008
	s_delay_alu instid0(SALU_CYCLE_1)
	s_cmp_eq_u32 s8, 0
                                        ; implicit-def: $sgpr8_sgpr9
	s_cbranch_scc1 .LBB84_3
; %bb.2:
	s_clause 0x1
	s_load_b32 s8, s[2:3], 0x20
	s_load_b64 s[16:17], s[2:3], 0x18
	s_mul_i32 s5, s10, s5
	s_mul_hi_u32 s9, s10, s4
	s_mul_i32 s18, s11, s4
	s_add_i32 s5, s9, s5
	s_mul_i32 s4, s10, s4
	s_add_i32 s5, s5, s18
	s_delay_alu instid0(SALU_CYCLE_1)
	s_lshl_b64 s[4:5], s[4:5], 2
	s_waitcnt lgkmcnt(0)
	s_ashr_i32 s9, s8, 31
	s_add_u32 s16, s16, s4
	s_addc_u32 s17, s17, s5
	s_lshl_b64 s[4:5], s[8:9], 2
	s_delay_alu instid0(SALU_CYCLE_1)
	s_add_u32 s8, s16, s4
	s_addc_u32 s9, s17, s5
.LBB84_3:
	s_load_b64 s[2:3], s[2:3], 0x8
	v_lshlrev_b32_e32 v76, 4, v55
	s_waitcnt lgkmcnt(0)
	v_add3_u32 v5, s3, s3, v55
	s_ashr_i32 s5, s2, 31
	s_mov_b32 s4, s2
	s_mov_b32 s16, s3
	s_lshl_b64 s[4:5], s[4:5], 4
	v_add_nc_u32_e32 v7, s3, v5
	v_ashrrev_i32_e32 v6, 31, v5
	s_add_u32 s4, s12, s4
	s_addc_u32 s5, s13, s5
	v_add_co_u32 v13, s2, s4, v76
	v_add_nc_u32_e32 v9, s3, v7
	v_ashrrev_i32_e32 v8, 31, v7
	s_ashr_i32 s17, s3, 31
	v_add_co_ci_u32_e64 v14, null, s5, 0, s2
	s_delay_alu instid0(VALU_DEP_3)
	v_add_nc_u32_e32 v21, s3, v9
	v_lshlrev_b64 v[5:6], 4, v[5:6]
	s_lshl_b64 s[12:13], s[16:17], 4
	v_ashrrev_i32_e32 v10, 31, v9
	v_add_co_u32 v15, vcc_lo, v13, s12
	v_add_nc_u32_e32 v25, s3, v21
	v_lshlrev_b64 v[19:20], 4, v[7:8]
	v_ashrrev_i32_e32 v22, 31, v21
	v_add_co_ci_u32_e32 v16, vcc_lo, s13, v14, vcc_lo
	s_delay_alu instid0(VALU_DEP_4) | instskip(SKIP_3) | instid1(VALU_DEP_4)
	v_add_nc_u32_e32 v29, s3, v25
	v_add_co_u32 v17, vcc_lo, s4, v5
	v_lshlrev_b64 v[23:24], 4, v[9:10]
	v_add_co_ci_u32_e32 v18, vcc_lo, s5, v6, vcc_lo
	v_add_nc_u32_e32 v31, s3, v29
	v_add_co_u32 v19, vcc_lo, s4, v19
	v_lshlrev_b64 v[27:28], 4, v[21:22]
	v_add_co_ci_u32_e32 v20, vcc_lo, s5, v20, vcc_lo
	v_add_co_u32 v21, vcc_lo, s4, v23
	v_ashrrev_i32_e32 v30, 31, v29
	v_ashrrev_i32_e32 v32, 31, v31
	v_add_co_ci_u32_e32 v22, vcc_lo, s5, v24, vcc_lo
	v_add_co_u32 v23, vcc_lo, s4, v27
	v_add_co_ci_u32_e32 v24, vcc_lo, s5, v28, vcc_lo
	v_lshlrev_b64 v[27:28], 4, v[29:30]
	v_lshlrev_b64 v[29:30], 4, v[31:32]
	v_add_nc_u32_e32 v31, s3, v31
	v_ashrrev_i32_e32 v26, 31, v25
	s_clause 0x2
	global_load_b128 v[1:4], v76, s[4:5]
	global_load_b128 v[5:8], v[15:16], off
	global_load_b128 v[9:12], v[17:18], off
	s_movk_i32 s2, 0x50
	v_add_nc_u32_e32 v33, s3, v31
	v_lshlrev_b64 v[25:26], 4, v[25:26]
	v_ashrrev_i32_e32 v32, 31, v31
	s_bitcmp0_b32 s15, 0
	s_delay_alu instid0(VALU_DEP_3) | instskip(SKIP_1) | instid1(VALU_DEP_4)
	v_add_nc_u32_e32 v35, s3, v33
	v_ashrrev_i32_e32 v34, 31, v33
	v_add_co_u32 v25, vcc_lo, s4, v25
	v_add_co_ci_u32_e32 v26, vcc_lo, s5, v26, vcc_lo
	s_delay_alu instid0(VALU_DEP_4) | instskip(SKIP_3) | instid1(VALU_DEP_4)
	v_add_nc_u32_e32 v37, s3, v35
	v_add_co_u32 v27, vcc_lo, s4, v27
	v_lshlrev_b64 v[31:32], 4, v[31:32]
	v_ashrrev_i32_e32 v36, 31, v35
	v_add_nc_u32_e32 v39, s3, v37
	v_add_co_ci_u32_e32 v28, vcc_lo, s5, v28, vcc_lo
	v_add_co_u32 v29, vcc_lo, s4, v29
	s_delay_alu instid0(VALU_DEP_3) | instskip(SKIP_3) | instid1(VALU_DEP_4)
	v_add_nc_u32_e32 v41, s3, v39
	v_lshlrev_b64 v[33:34], 4, v[33:34]
	v_ashrrev_i32_e32 v38, 31, v37
	v_add_co_ci_u32_e32 v30, vcc_lo, s5, v30, vcc_lo
	v_add_nc_u32_e32 v43, s3, v41
	v_add_co_u32 v31, vcc_lo, s4, v31
	v_lshlrev_b64 v[35:36], 4, v[35:36]
	v_ashrrev_i32_e32 v40, 31, v39
	s_delay_alu instid0(VALU_DEP_4) | instskip(SKIP_2) | instid1(VALU_DEP_3)
	v_add_nc_u32_e32 v45, s3, v43
	v_add_co_ci_u32_e32 v32, vcc_lo, s5, v32, vcc_lo
	v_add_co_u32 v33, vcc_lo, s4, v33
	v_add_nc_u32_e32 v47, s3, v45
	v_lshlrev_b64 v[37:38], 4, v[37:38]
	v_ashrrev_i32_e32 v42, 31, v41
	v_add_co_ci_u32_e32 v34, vcc_lo, s5, v34, vcc_lo
	v_add_co_u32 v35, vcc_lo, s4, v35
	v_lshlrev_b64 v[39:40], 4, v[39:40]
	v_ashrrev_i32_e32 v44, 31, v43
	v_add_nc_u32_e32 v49, s3, v47
	v_add_co_ci_u32_e32 v36, vcc_lo, s5, v36, vcc_lo
	v_add_co_u32 v37, vcc_lo, s4, v37
	v_lshlrev_b64 v[41:42], 4, v[41:42]
	v_ashrrev_i32_e32 v46, 31, v45
	v_add_co_ci_u32_e32 v38, vcc_lo, s5, v38, vcc_lo
	v_add_co_u32 v39, vcc_lo, s4, v39
	v_lshlrev_b64 v[43:44], 4, v[43:44]
	v_add_nc_u32_e32 v51, s3, v49
	v_ashrrev_i32_e32 v48, 31, v47
	v_add_co_ci_u32_e32 v40, vcc_lo, s5, v40, vcc_lo
	v_add_co_u32 v41, vcc_lo, s4, v41
	v_lshlrev_b64 v[45:46], 4, v[45:46]
	v_ashrrev_i32_e32 v50, 31, v49
	s_clause 0x5
	global_load_b128 v[56:59], v[19:20], off
	global_load_b128 v[60:63], v[21:22], off
	;; [unrolled: 1-line block ×6, first 2 shown]
	v_add_co_ci_u32_e32 v42, vcc_lo, s5, v42, vcc_lo
	v_add_nc_u32_e32 v53, s3, v51
	s_clause 0x1
	global_load_b128 v[81:84], v[31:32], off
	global_load_b128 v[85:88], v[33:34], off
	v_add_co_u32 v43, vcc_lo, s4, v43
	v_lshlrev_b64 v[47:48], 4, v[47:48]
	v_ashrrev_i32_e32 v52, 31, v51
	v_add_co_ci_u32_e32 v44, vcc_lo, s5, v44, vcc_lo
	v_add_co_u32 v45, vcc_lo, s4, v45
	v_lshlrev_b64 v[49:50], 4, v[49:50]
	v_ashrrev_i32_e32 v54, 31, v53
	v_add_co_ci_u32_e32 v46, vcc_lo, s5, v46, vcc_lo
	v_add_co_u32 v47, vcc_lo, s4, v47
	v_lshlrev_b64 v[51:52], 4, v[51:52]
	v_add_co_ci_u32_e32 v48, vcc_lo, s5, v48, vcc_lo
	v_add_co_u32 v49, vcc_lo, s4, v49
	v_lshlrev_b64 v[53:54], 4, v[53:54]
	v_add_co_ci_u32_e32 v50, vcc_lo, s5, v50, vcc_lo
	v_add_co_u32 v51, vcc_lo, s4, v51
	v_add_co_ci_u32_e32 v52, vcc_lo, s5, v52, vcc_lo
	s_delay_alu instid0(VALU_DEP_4)
	v_add_co_u32 v53, vcc_lo, s4, v53
	v_add_co_ci_u32_e32 v54, vcc_lo, s5, v54, vcc_lo
	s_clause 0x9
	global_load_b128 v[89:92], v[35:36], off
	global_load_b128 v[93:96], v[37:38], off
	;; [unrolled: 1-line block ×10, first 2 shown]
	s_movk_i32 s3, 0x60
	s_waitcnt vmcnt(20)
	scratch_store_b128 off, v[1:4], off
	s_waitcnt vmcnt(19)
	scratch_store_b128 off, v[5:8], off offset:16
	s_waitcnt vmcnt(18)
	scratch_store_b128 off, v[9:12], off offset:32
	;; [unrolled: 2-line block ×9, first 2 shown]
	v_add_nc_u32_e64 v61, s2, 0
	s_movk_i32 s2, 0x70
	v_add_nc_u32_e64 v58, s3, 0
	v_add_nc_u32_e64 v60, s2, 0
	s_movk_i32 s2, 0x90
	s_movk_i32 s3, 0x80
	v_add_nc_u32_e64 v66, s2, 0
	s_movk_i32 s2, 0xb0
	v_add_nc_u32_e64 v57, s3, 0
	;; [unrolled: 2-line block ×10, first 2 shown]
	v_add_nc_u32_e64 v74, s2, 0
	s_movk_i32 s2, 0x130
	s_movk_i32 s3, 0x140
	v_add_nc_u32_e64 v64, 0, 16
	v_add_nc_u32_e64 v62, 0, 32
	;; [unrolled: 1-line block ×6, first 2 shown]
	s_mov_b32 s3, -1
	s_waitcnt vmcnt(10)
	scratch_store_b128 off, v[85:88], off offset:160
	s_waitcnt vmcnt(9)
	scratch_store_b128 off, v[89:92], off offset:176
	;; [unrolled: 2-line block ×11, first 2 shown]
	s_cbranch_scc1 .LBB84_96
; %bb.4:
	v_cmp_eq_u32_e64 s2, 0, v55
	s_delay_alu instid0(VALU_DEP_1)
	s_and_saveexec_b32 s3, s2
	s_cbranch_execz .LBB84_6
; %bb.5:
	v_mov_b32_e32 v1, 0
	ds_store_b32 v1, v1 offset:672
.LBB84_6:
	s_or_b32 exec_lo, exec_lo, s3
	s_waitcnt lgkmcnt(0)
	s_waitcnt_vscnt null, 0x0
	s_barrier
	buffer_gl0_inv
	scratch_load_b128 v[1:4], v76, off
	s_waitcnt vmcnt(0)
	v_cmp_eq_f64_e32 vcc_lo, 0, v[1:2]
	v_cmp_eq_f64_e64 s3, 0, v[3:4]
	s_delay_alu instid0(VALU_DEP_1) | instskip(NEXT) | instid1(SALU_CYCLE_1)
	s_and_b32 s3, vcc_lo, s3
	s_and_saveexec_b32 s4, s3
	s_cbranch_execz .LBB84_10
; %bb.7:
	v_mov_b32_e32 v1, 0
	s_mov_b32 s5, 0
	ds_load_b32 v2, v1 offset:672
	s_waitcnt lgkmcnt(0)
	v_readfirstlane_b32 s3, v2
	v_add_nc_u32_e32 v2, 1, v55
	s_delay_alu instid0(VALU_DEP_2) | instskip(NEXT) | instid1(VALU_DEP_1)
	s_cmp_eq_u32 s3, 0
	v_cmp_gt_i32_e32 vcc_lo, s3, v2
	s_cselect_b32 s12, -1, 0
	s_delay_alu instid0(SALU_CYCLE_1) | instskip(NEXT) | instid1(SALU_CYCLE_1)
	s_or_b32 s12, s12, vcc_lo
	s_and_b32 exec_lo, exec_lo, s12
	s_cbranch_execz .LBB84_10
; %bb.8:
	v_mov_b32_e32 v3, s3
.LBB84_9:                               ; =>This Inner Loop Header: Depth=1
	ds_cmpstore_rtn_b32 v3, v1, v2, v3 offset:672
	s_waitcnt lgkmcnt(0)
	v_cmp_ne_u32_e32 vcc_lo, 0, v3
	v_cmp_le_i32_e64 s3, v3, v2
	s_delay_alu instid0(VALU_DEP_1) | instskip(NEXT) | instid1(SALU_CYCLE_1)
	s_and_b32 s3, vcc_lo, s3
	s_and_b32 s3, exec_lo, s3
	s_delay_alu instid0(SALU_CYCLE_1) | instskip(NEXT) | instid1(SALU_CYCLE_1)
	s_or_b32 s5, s3, s5
	s_and_not1_b32 exec_lo, exec_lo, s5
	s_cbranch_execnz .LBB84_9
.LBB84_10:
	s_or_b32 exec_lo, exec_lo, s4
	v_mov_b32_e32 v1, 0
	s_barrier
	buffer_gl0_inv
	ds_load_b32 v2, v1 offset:672
	s_and_saveexec_b32 s3, s2
	s_cbranch_execz .LBB84_12
; %bb.11:
	s_lshl_b64 s[4:5], s[10:11], 2
	s_delay_alu instid0(SALU_CYCLE_1)
	s_add_u32 s4, s6, s4
	s_addc_u32 s5, s7, s5
	s_waitcnt lgkmcnt(0)
	global_store_b32 v1, v2, s[4:5]
.LBB84_12:
	s_or_b32 exec_lo, exec_lo, s3
	s_waitcnt lgkmcnt(0)
	v_cmp_ne_u32_e32 vcc_lo, 0, v2
	s_mov_b32 s3, 0
	s_cbranch_vccnz .LBB84_96
; %bb.13:
	v_add_nc_u32_e32 v77, 0, v76
                                        ; implicit-def: $vgpr9_vgpr10
	scratch_load_b128 v[1:4], v77, off
	s_waitcnt vmcnt(0)
	v_cmp_gt_f64_e32 vcc_lo, 0, v[1:2]
	v_xor_b32_e32 v6, 0x80000000, v2
	v_xor_b32_e32 v7, 0x80000000, v4
	s_delay_alu instid0(VALU_DEP_2) | instskip(SKIP_1) | instid1(VALU_DEP_3)
	v_cndmask_b32_e32 v6, v2, v6, vcc_lo
	v_cmp_gt_f64_e32 vcc_lo, 0, v[3:4]
	v_dual_mov_b32 v5, v1 :: v_dual_cndmask_b32 v8, v4, v7
	v_mov_b32_e32 v7, v3
	s_delay_alu instid0(VALU_DEP_1) | instskip(SKIP_1) | instid1(SALU_CYCLE_1)
	v_cmp_ngt_f64_e32 vcc_lo, v[5:6], v[7:8]
                                        ; implicit-def: $vgpr5_vgpr6
	s_and_saveexec_b32 s3, vcc_lo
	s_xor_b32 s3, exec_lo, s3
	s_cbranch_execz .LBB84_15
; %bb.14:
	v_div_scale_f64 v[5:6], null, v[3:4], v[3:4], v[1:2]
	v_div_scale_f64 v[11:12], vcc_lo, v[1:2], v[3:4], v[1:2]
	s_delay_alu instid0(VALU_DEP_2) | instskip(SKIP_2) | instid1(VALU_DEP_1)
	v_rcp_f64_e32 v[7:8], v[5:6]
	s_waitcnt_depctr 0xfff
	v_fma_f64 v[9:10], -v[5:6], v[7:8], 1.0
	v_fma_f64 v[7:8], v[7:8], v[9:10], v[7:8]
	s_delay_alu instid0(VALU_DEP_1) | instskip(NEXT) | instid1(VALU_DEP_1)
	v_fma_f64 v[9:10], -v[5:6], v[7:8], 1.0
	v_fma_f64 v[7:8], v[7:8], v[9:10], v[7:8]
	s_delay_alu instid0(VALU_DEP_1) | instskip(NEXT) | instid1(VALU_DEP_1)
	v_mul_f64 v[9:10], v[11:12], v[7:8]
	v_fma_f64 v[5:6], -v[5:6], v[9:10], v[11:12]
	s_delay_alu instid0(VALU_DEP_1) | instskip(NEXT) | instid1(VALU_DEP_1)
	v_div_fmas_f64 v[5:6], v[5:6], v[7:8], v[9:10]
	v_div_fixup_f64 v[5:6], v[5:6], v[3:4], v[1:2]
	s_delay_alu instid0(VALU_DEP_1) | instskip(NEXT) | instid1(VALU_DEP_1)
	v_fma_f64 v[1:2], v[1:2], v[5:6], v[3:4]
	v_div_scale_f64 v[3:4], null, v[1:2], v[1:2], 1.0
	v_div_scale_f64 v[11:12], vcc_lo, 1.0, v[1:2], 1.0
	s_delay_alu instid0(VALU_DEP_2) | instskip(SKIP_2) | instid1(VALU_DEP_1)
	v_rcp_f64_e32 v[7:8], v[3:4]
	s_waitcnt_depctr 0xfff
	v_fma_f64 v[9:10], -v[3:4], v[7:8], 1.0
	v_fma_f64 v[7:8], v[7:8], v[9:10], v[7:8]
	s_delay_alu instid0(VALU_DEP_1) | instskip(NEXT) | instid1(VALU_DEP_1)
	v_fma_f64 v[9:10], -v[3:4], v[7:8], 1.0
	v_fma_f64 v[7:8], v[7:8], v[9:10], v[7:8]
	s_delay_alu instid0(VALU_DEP_1) | instskip(NEXT) | instid1(VALU_DEP_1)
	v_mul_f64 v[9:10], v[11:12], v[7:8]
	v_fma_f64 v[3:4], -v[3:4], v[9:10], v[11:12]
	s_delay_alu instid0(VALU_DEP_1) | instskip(NEXT) | instid1(VALU_DEP_1)
	v_div_fmas_f64 v[3:4], v[3:4], v[7:8], v[9:10]
	v_div_fixup_f64 v[7:8], v[3:4], v[1:2], 1.0
                                        ; implicit-def: $vgpr1_vgpr2
	s_delay_alu instid0(VALU_DEP_1) | instskip(SKIP_1) | instid1(VALU_DEP_2)
	v_mul_f64 v[5:6], v[5:6], v[7:8]
	v_xor_b32_e32 v8, 0x80000000, v8
	v_xor_b32_e32 v10, 0x80000000, v6
	s_delay_alu instid0(VALU_DEP_3)
	v_mov_b32_e32 v9, v5
.LBB84_15:
	s_and_not1_saveexec_b32 s3, s3
	s_cbranch_execz .LBB84_17
; %bb.16:
	v_div_scale_f64 v[5:6], null, v[1:2], v[1:2], v[3:4]
	v_div_scale_f64 v[11:12], vcc_lo, v[3:4], v[1:2], v[3:4]
	s_delay_alu instid0(VALU_DEP_2) | instskip(SKIP_2) | instid1(VALU_DEP_1)
	v_rcp_f64_e32 v[7:8], v[5:6]
	s_waitcnt_depctr 0xfff
	v_fma_f64 v[9:10], -v[5:6], v[7:8], 1.0
	v_fma_f64 v[7:8], v[7:8], v[9:10], v[7:8]
	s_delay_alu instid0(VALU_DEP_1) | instskip(NEXT) | instid1(VALU_DEP_1)
	v_fma_f64 v[9:10], -v[5:6], v[7:8], 1.0
	v_fma_f64 v[7:8], v[7:8], v[9:10], v[7:8]
	s_delay_alu instid0(VALU_DEP_1) | instskip(NEXT) | instid1(VALU_DEP_1)
	v_mul_f64 v[9:10], v[11:12], v[7:8]
	v_fma_f64 v[5:6], -v[5:6], v[9:10], v[11:12]
	s_delay_alu instid0(VALU_DEP_1) | instskip(NEXT) | instid1(VALU_DEP_1)
	v_div_fmas_f64 v[5:6], v[5:6], v[7:8], v[9:10]
	v_div_fixup_f64 v[7:8], v[5:6], v[1:2], v[3:4]
	s_delay_alu instid0(VALU_DEP_1) | instskip(NEXT) | instid1(VALU_DEP_1)
	v_fma_f64 v[1:2], v[3:4], v[7:8], v[1:2]
	v_div_scale_f64 v[3:4], null, v[1:2], v[1:2], 1.0
	s_delay_alu instid0(VALU_DEP_1) | instskip(SKIP_2) | instid1(VALU_DEP_1)
	v_rcp_f64_e32 v[5:6], v[3:4]
	s_waitcnt_depctr 0xfff
	v_fma_f64 v[9:10], -v[3:4], v[5:6], 1.0
	v_fma_f64 v[5:6], v[5:6], v[9:10], v[5:6]
	s_delay_alu instid0(VALU_DEP_1) | instskip(NEXT) | instid1(VALU_DEP_1)
	v_fma_f64 v[9:10], -v[3:4], v[5:6], 1.0
	v_fma_f64 v[5:6], v[5:6], v[9:10], v[5:6]
	v_div_scale_f64 v[9:10], vcc_lo, 1.0, v[1:2], 1.0
	s_delay_alu instid0(VALU_DEP_1) | instskip(NEXT) | instid1(VALU_DEP_1)
	v_mul_f64 v[11:12], v[9:10], v[5:6]
	v_fma_f64 v[3:4], -v[3:4], v[11:12], v[9:10]
	s_delay_alu instid0(VALU_DEP_1) | instskip(NEXT) | instid1(VALU_DEP_1)
	v_div_fmas_f64 v[3:4], v[3:4], v[5:6], v[11:12]
	v_div_fixup_f64 v[5:6], v[3:4], v[1:2], 1.0
	s_delay_alu instid0(VALU_DEP_1)
	v_mul_f64 v[7:8], v[7:8], -v[5:6]
	v_xor_b32_e32 v10, 0x80000000, v6
	v_mov_b32_e32 v9, v5
.LBB84_17:
	s_or_b32 exec_lo, exec_lo, s3
	scratch_store_b128 v77, v[5:8], off
	scratch_load_b128 v[1:4], v64, off
	v_xor_b32_e32 v12, 0x80000000, v8
	v_mov_b32_e32 v11, v7
	v_add_nc_u32_e32 v5, 0x150, v76
	ds_store_b128 v76, v[9:12]
	s_waitcnt vmcnt(0)
	ds_store_b128 v76, v[1:4] offset:336
	s_waitcnt lgkmcnt(0)
	s_waitcnt_vscnt null, 0x0
	s_barrier
	buffer_gl0_inv
	s_and_saveexec_b32 s3, s2
	s_cbranch_execz .LBB84_19
; %bb.18:
	scratch_load_b128 v[1:4], v77, off
	ds_load_b128 v[6:9], v5
	v_mov_b32_e32 v10, 0
	ds_load_b128 v[78:81], v10 offset:16
	s_waitcnt vmcnt(0) lgkmcnt(1)
	v_mul_f64 v[10:11], v[6:7], v[3:4]
	v_mul_f64 v[3:4], v[8:9], v[3:4]
	s_delay_alu instid0(VALU_DEP_2) | instskip(NEXT) | instid1(VALU_DEP_2)
	v_fma_f64 v[8:9], v[8:9], v[1:2], v[10:11]
	v_fma_f64 v[1:2], v[6:7], v[1:2], -v[3:4]
	s_delay_alu instid0(VALU_DEP_2) | instskip(NEXT) | instid1(VALU_DEP_2)
	v_add_f64 v[3:4], v[8:9], 0
	v_add_f64 v[1:2], v[1:2], 0
	s_waitcnt lgkmcnt(0)
	s_delay_alu instid0(VALU_DEP_2) | instskip(NEXT) | instid1(VALU_DEP_2)
	v_mul_f64 v[6:7], v[3:4], v[80:81]
	v_mul_f64 v[8:9], v[1:2], v[80:81]
	s_delay_alu instid0(VALU_DEP_2) | instskip(NEXT) | instid1(VALU_DEP_2)
	v_fma_f64 v[1:2], v[1:2], v[78:79], -v[6:7]
	v_fma_f64 v[3:4], v[3:4], v[78:79], v[8:9]
	scratch_store_b128 off, v[1:4], off offset:16
.LBB84_19:
	s_or_b32 exec_lo, exec_lo, s3
	s_waitcnt_vscnt null, 0x0
	s_barrier
	buffer_gl0_inv
	scratch_load_b128 v[1:4], v62, off
	s_mov_b32 s3, exec_lo
	s_waitcnt vmcnt(0)
	ds_store_b128 v5, v[1:4]
	s_waitcnt lgkmcnt(0)
	s_barrier
	buffer_gl0_inv
	v_cmpx_gt_u32_e32 2, v55
	s_cbranch_execz .LBB84_23
; %bb.20:
	scratch_load_b128 v[1:4], v77, off
	ds_load_b128 v[6:9], v5
	s_waitcnt vmcnt(0) lgkmcnt(0)
	v_mul_f64 v[10:11], v[8:9], v[3:4]
	v_mul_f64 v[3:4], v[6:7], v[3:4]
	s_delay_alu instid0(VALU_DEP_2) | instskip(NEXT) | instid1(VALU_DEP_2)
	v_fma_f64 v[6:7], v[6:7], v[1:2], -v[10:11]
	v_fma_f64 v[3:4], v[8:9], v[1:2], v[3:4]
	s_delay_alu instid0(VALU_DEP_2) | instskip(NEXT) | instid1(VALU_DEP_2)
	v_add_f64 v[1:2], v[6:7], 0
	v_add_f64 v[3:4], v[3:4], 0
	s_and_saveexec_b32 s4, s2
	s_cbranch_execz .LBB84_22
; %bb.21:
	scratch_load_b128 v[6:9], off, off offset:16
	v_mov_b32_e32 v10, 0
	ds_load_b128 v[78:81], v10 offset:352
	s_waitcnt vmcnt(0) lgkmcnt(0)
	v_mul_f64 v[10:11], v[78:79], v[8:9]
	v_mul_f64 v[8:9], v[80:81], v[8:9]
	s_delay_alu instid0(VALU_DEP_2) | instskip(NEXT) | instid1(VALU_DEP_2)
	v_fma_f64 v[10:11], v[80:81], v[6:7], v[10:11]
	v_fma_f64 v[6:7], v[78:79], v[6:7], -v[8:9]
	s_delay_alu instid0(VALU_DEP_2) | instskip(NEXT) | instid1(VALU_DEP_2)
	v_add_f64 v[3:4], v[3:4], v[10:11]
	v_add_f64 v[1:2], v[1:2], v[6:7]
.LBB84_22:
	s_or_b32 exec_lo, exec_lo, s4
	v_mov_b32_e32 v6, 0
	ds_load_b128 v[6:9], v6 offset:32
	s_waitcnt lgkmcnt(0)
	v_mul_f64 v[10:11], v[3:4], v[8:9]
	v_mul_f64 v[8:9], v[1:2], v[8:9]
	s_delay_alu instid0(VALU_DEP_2) | instskip(NEXT) | instid1(VALU_DEP_2)
	v_fma_f64 v[1:2], v[1:2], v[6:7], -v[10:11]
	v_fma_f64 v[3:4], v[3:4], v[6:7], v[8:9]
	scratch_store_b128 off, v[1:4], off offset:32
.LBB84_23:
	s_or_b32 exec_lo, exec_lo, s3
	s_waitcnt_vscnt null, 0x0
	s_barrier
	buffer_gl0_inv
	scratch_load_b128 v[1:4], v59, off
	v_add_nc_u32_e32 v6, -1, v55
	s_mov_b32 s2, exec_lo
	s_waitcnt vmcnt(0)
	ds_store_b128 v5, v[1:4]
	s_waitcnt lgkmcnt(0)
	s_barrier
	buffer_gl0_inv
	v_cmpx_gt_u32_e32 3, v55
	s_cbranch_execz .LBB84_27
; %bb.24:
	v_dual_mov_b32 v1, 0 :: v_dual_add_nc_u32 v8, 0x150, v76
	v_dual_mov_b32 v2, 0 :: v_dual_add_nc_u32 v7, -1, v55
	v_or_b32_e32 v9, 8, v77
	s_mov_b32 s3, 0
	s_delay_alu instid0(VALU_DEP_2)
	v_dual_mov_b32 v4, v2 :: v_dual_mov_b32 v3, v1
	.p2align	6
.LBB84_25:                              ; =>This Inner Loop Header: Depth=1
	scratch_load_b128 v[78:81], v9, off offset:-8
	ds_load_b128 v[82:85], v8
	v_add_nc_u32_e32 v7, 1, v7
	v_add_nc_u32_e32 v8, 16, v8
	;; [unrolled: 1-line block ×3, first 2 shown]
	s_delay_alu instid0(VALU_DEP_3) | instskip(SKIP_4) | instid1(VALU_DEP_2)
	v_cmp_lt_u32_e32 vcc_lo, 1, v7
	s_or_b32 s3, vcc_lo, s3
	s_waitcnt vmcnt(0) lgkmcnt(0)
	v_mul_f64 v[10:11], v[84:85], v[80:81]
	v_mul_f64 v[80:81], v[82:83], v[80:81]
	v_fma_f64 v[10:11], v[82:83], v[78:79], -v[10:11]
	s_delay_alu instid0(VALU_DEP_2) | instskip(NEXT) | instid1(VALU_DEP_2)
	v_fma_f64 v[78:79], v[84:85], v[78:79], v[80:81]
	v_add_f64 v[3:4], v[3:4], v[10:11]
	s_delay_alu instid0(VALU_DEP_2)
	v_add_f64 v[1:2], v[1:2], v[78:79]
	s_and_not1_b32 exec_lo, exec_lo, s3
	s_cbranch_execnz .LBB84_25
; %bb.26:
	s_or_b32 exec_lo, exec_lo, s3
	v_mov_b32_e32 v7, 0
	ds_load_b128 v[7:10], v7 offset:48
	s_waitcnt lgkmcnt(0)
	v_mul_f64 v[11:12], v[1:2], v[9:10]
	v_mul_f64 v[78:79], v[3:4], v[9:10]
	s_delay_alu instid0(VALU_DEP_2) | instskip(NEXT) | instid1(VALU_DEP_2)
	v_fma_f64 v[9:10], v[3:4], v[7:8], -v[11:12]
	v_fma_f64 v[11:12], v[1:2], v[7:8], v[78:79]
	scratch_store_b128 off, v[9:12], off offset:48
.LBB84_27:
	s_or_b32 exec_lo, exec_lo, s2
	s_waitcnt_vscnt null, 0x0
	s_barrier
	buffer_gl0_inv
	scratch_load_b128 v[1:4], v56, off
	s_mov_b32 s2, exec_lo
	s_waitcnt vmcnt(0)
	ds_store_b128 v5, v[1:4]
	s_waitcnt lgkmcnt(0)
	s_barrier
	buffer_gl0_inv
	v_cmpx_gt_u32_e32 4, v55
	s_cbranch_execz .LBB84_31
; %bb.28:
	v_dual_mov_b32 v1, 0 :: v_dual_add_nc_u32 v8, 0x150, v76
	v_dual_mov_b32 v2, 0 :: v_dual_add_nc_u32 v7, -1, v55
	v_or_b32_e32 v9, 8, v77
	s_mov_b32 s3, 0
	s_delay_alu instid0(VALU_DEP_2)
	v_dual_mov_b32 v4, v2 :: v_dual_mov_b32 v3, v1
	.p2align	6
.LBB84_29:                              ; =>This Inner Loop Header: Depth=1
	scratch_load_b128 v[78:81], v9, off offset:-8
	ds_load_b128 v[82:85], v8
	v_add_nc_u32_e32 v7, 1, v7
	v_add_nc_u32_e32 v8, 16, v8
	;; [unrolled: 1-line block ×3, first 2 shown]
	s_delay_alu instid0(VALU_DEP_3) | instskip(SKIP_4) | instid1(VALU_DEP_2)
	v_cmp_lt_u32_e32 vcc_lo, 2, v7
	s_or_b32 s3, vcc_lo, s3
	s_waitcnt vmcnt(0) lgkmcnt(0)
	v_mul_f64 v[10:11], v[84:85], v[80:81]
	v_mul_f64 v[80:81], v[82:83], v[80:81]
	v_fma_f64 v[10:11], v[82:83], v[78:79], -v[10:11]
	s_delay_alu instid0(VALU_DEP_2) | instskip(NEXT) | instid1(VALU_DEP_2)
	v_fma_f64 v[78:79], v[84:85], v[78:79], v[80:81]
	v_add_f64 v[3:4], v[3:4], v[10:11]
	s_delay_alu instid0(VALU_DEP_2)
	v_add_f64 v[1:2], v[1:2], v[78:79]
	s_and_not1_b32 exec_lo, exec_lo, s3
	s_cbranch_execnz .LBB84_29
; %bb.30:
	s_or_b32 exec_lo, exec_lo, s3
	v_mov_b32_e32 v7, 0
	ds_load_b128 v[7:10], v7 offset:64
	s_waitcnt lgkmcnt(0)
	v_mul_f64 v[11:12], v[1:2], v[9:10]
	v_mul_f64 v[78:79], v[3:4], v[9:10]
	s_delay_alu instid0(VALU_DEP_2) | instskip(NEXT) | instid1(VALU_DEP_2)
	v_fma_f64 v[9:10], v[3:4], v[7:8], -v[11:12]
	v_fma_f64 v[11:12], v[1:2], v[7:8], v[78:79]
	scratch_store_b128 off, v[9:12], off offset:64
.LBB84_31:
	s_or_b32 exec_lo, exec_lo, s2
	s_waitcnt_vscnt null, 0x0
	s_barrier
	buffer_gl0_inv
	scratch_load_b128 v[1:4], v61, off
	s_mov_b32 s2, exec_lo
	s_waitcnt vmcnt(0)
	ds_store_b128 v5, v[1:4]
	s_waitcnt lgkmcnt(0)
	s_barrier
	buffer_gl0_inv
	v_cmpx_gt_u32_e32 5, v55
	s_cbranch_execz .LBB84_35
; %bb.32:
	v_dual_mov_b32 v1, 0 :: v_dual_add_nc_u32 v8, 0x150, v76
	v_dual_mov_b32 v2, 0 :: v_dual_add_nc_u32 v7, -1, v55
	v_or_b32_e32 v9, 8, v77
	s_mov_b32 s3, 0
	s_delay_alu instid0(VALU_DEP_2)
	v_dual_mov_b32 v4, v2 :: v_dual_mov_b32 v3, v1
	.p2align	6
.LBB84_33:                              ; =>This Inner Loop Header: Depth=1
	scratch_load_b128 v[78:81], v9, off offset:-8
	ds_load_b128 v[82:85], v8
	v_add_nc_u32_e32 v7, 1, v7
	v_add_nc_u32_e32 v8, 16, v8
	;; [unrolled: 1-line block ×3, first 2 shown]
	s_delay_alu instid0(VALU_DEP_3) | instskip(SKIP_4) | instid1(VALU_DEP_2)
	v_cmp_lt_u32_e32 vcc_lo, 3, v7
	s_or_b32 s3, vcc_lo, s3
	s_waitcnt vmcnt(0) lgkmcnt(0)
	v_mul_f64 v[10:11], v[84:85], v[80:81]
	v_mul_f64 v[80:81], v[82:83], v[80:81]
	v_fma_f64 v[10:11], v[82:83], v[78:79], -v[10:11]
	s_delay_alu instid0(VALU_DEP_2) | instskip(NEXT) | instid1(VALU_DEP_2)
	v_fma_f64 v[78:79], v[84:85], v[78:79], v[80:81]
	v_add_f64 v[3:4], v[3:4], v[10:11]
	s_delay_alu instid0(VALU_DEP_2)
	v_add_f64 v[1:2], v[1:2], v[78:79]
	s_and_not1_b32 exec_lo, exec_lo, s3
	s_cbranch_execnz .LBB84_33
; %bb.34:
	s_or_b32 exec_lo, exec_lo, s3
	v_mov_b32_e32 v7, 0
	ds_load_b128 v[7:10], v7 offset:80
	s_waitcnt lgkmcnt(0)
	v_mul_f64 v[11:12], v[1:2], v[9:10]
	v_mul_f64 v[78:79], v[3:4], v[9:10]
	s_delay_alu instid0(VALU_DEP_2) | instskip(NEXT) | instid1(VALU_DEP_2)
	v_fma_f64 v[9:10], v[3:4], v[7:8], -v[11:12]
	v_fma_f64 v[11:12], v[1:2], v[7:8], v[78:79]
	scratch_store_b128 off, v[9:12], off offset:80
.LBB84_35:
	s_or_b32 exec_lo, exec_lo, s2
	s_waitcnt_vscnt null, 0x0
	s_barrier
	buffer_gl0_inv
	scratch_load_b128 v[1:4], v58, off
	s_mov_b32 s2, exec_lo
	s_waitcnt vmcnt(0)
	ds_store_b128 v5, v[1:4]
	s_waitcnt lgkmcnt(0)
	s_barrier
	buffer_gl0_inv
	v_cmpx_gt_u32_e32 6, v55
	s_cbranch_execz .LBB84_39
; %bb.36:
	v_dual_mov_b32 v1, 0 :: v_dual_add_nc_u32 v8, 0x150, v76
	v_dual_mov_b32 v2, 0 :: v_dual_add_nc_u32 v7, -1, v55
	v_or_b32_e32 v9, 8, v77
	s_mov_b32 s3, 0
	s_delay_alu instid0(VALU_DEP_2)
	v_dual_mov_b32 v4, v2 :: v_dual_mov_b32 v3, v1
	.p2align	6
.LBB84_37:                              ; =>This Inner Loop Header: Depth=1
	scratch_load_b128 v[78:81], v9, off offset:-8
	ds_load_b128 v[82:85], v8
	v_add_nc_u32_e32 v7, 1, v7
	v_add_nc_u32_e32 v8, 16, v8
	;; [unrolled: 1-line block ×3, first 2 shown]
	s_delay_alu instid0(VALU_DEP_3) | instskip(SKIP_4) | instid1(VALU_DEP_2)
	v_cmp_lt_u32_e32 vcc_lo, 4, v7
	s_or_b32 s3, vcc_lo, s3
	s_waitcnt vmcnt(0) lgkmcnt(0)
	v_mul_f64 v[10:11], v[84:85], v[80:81]
	v_mul_f64 v[80:81], v[82:83], v[80:81]
	v_fma_f64 v[10:11], v[82:83], v[78:79], -v[10:11]
	s_delay_alu instid0(VALU_DEP_2) | instskip(NEXT) | instid1(VALU_DEP_2)
	v_fma_f64 v[78:79], v[84:85], v[78:79], v[80:81]
	v_add_f64 v[3:4], v[3:4], v[10:11]
	s_delay_alu instid0(VALU_DEP_2)
	v_add_f64 v[1:2], v[1:2], v[78:79]
	s_and_not1_b32 exec_lo, exec_lo, s3
	s_cbranch_execnz .LBB84_37
; %bb.38:
	s_or_b32 exec_lo, exec_lo, s3
	v_mov_b32_e32 v7, 0
	ds_load_b128 v[7:10], v7 offset:96
	s_waitcnt lgkmcnt(0)
	v_mul_f64 v[11:12], v[1:2], v[9:10]
	v_mul_f64 v[78:79], v[3:4], v[9:10]
	s_delay_alu instid0(VALU_DEP_2) | instskip(NEXT) | instid1(VALU_DEP_2)
	v_fma_f64 v[9:10], v[3:4], v[7:8], -v[11:12]
	v_fma_f64 v[11:12], v[1:2], v[7:8], v[78:79]
	scratch_store_b128 off, v[9:12], off offset:96
.LBB84_39:
	s_or_b32 exec_lo, exec_lo, s2
	s_waitcnt_vscnt null, 0x0
	s_barrier
	buffer_gl0_inv
	scratch_load_b128 v[1:4], v60, off
	s_mov_b32 s2, exec_lo
	s_waitcnt vmcnt(0)
	ds_store_b128 v5, v[1:4]
	s_waitcnt lgkmcnt(0)
	s_barrier
	buffer_gl0_inv
	v_cmpx_gt_u32_e32 7, v55
	s_cbranch_execz .LBB84_43
; %bb.40:
	v_dual_mov_b32 v1, 0 :: v_dual_add_nc_u32 v8, 0x150, v76
	v_dual_mov_b32 v2, 0 :: v_dual_add_nc_u32 v7, -1, v55
	v_or_b32_e32 v9, 8, v77
	s_mov_b32 s3, 0
	s_delay_alu instid0(VALU_DEP_2)
	v_dual_mov_b32 v4, v2 :: v_dual_mov_b32 v3, v1
	.p2align	6
.LBB84_41:                              ; =>This Inner Loop Header: Depth=1
	scratch_load_b128 v[78:81], v9, off offset:-8
	ds_load_b128 v[82:85], v8
	v_add_nc_u32_e32 v7, 1, v7
	v_add_nc_u32_e32 v8, 16, v8
	;; [unrolled: 1-line block ×3, first 2 shown]
	s_delay_alu instid0(VALU_DEP_3) | instskip(SKIP_4) | instid1(VALU_DEP_2)
	v_cmp_lt_u32_e32 vcc_lo, 5, v7
	s_or_b32 s3, vcc_lo, s3
	s_waitcnt vmcnt(0) lgkmcnt(0)
	v_mul_f64 v[10:11], v[84:85], v[80:81]
	v_mul_f64 v[80:81], v[82:83], v[80:81]
	v_fma_f64 v[10:11], v[82:83], v[78:79], -v[10:11]
	s_delay_alu instid0(VALU_DEP_2) | instskip(NEXT) | instid1(VALU_DEP_2)
	v_fma_f64 v[78:79], v[84:85], v[78:79], v[80:81]
	v_add_f64 v[3:4], v[3:4], v[10:11]
	s_delay_alu instid0(VALU_DEP_2)
	v_add_f64 v[1:2], v[1:2], v[78:79]
	s_and_not1_b32 exec_lo, exec_lo, s3
	s_cbranch_execnz .LBB84_41
; %bb.42:
	s_or_b32 exec_lo, exec_lo, s3
	v_mov_b32_e32 v7, 0
	ds_load_b128 v[7:10], v7 offset:112
	s_waitcnt lgkmcnt(0)
	v_mul_f64 v[11:12], v[1:2], v[9:10]
	v_mul_f64 v[78:79], v[3:4], v[9:10]
	s_delay_alu instid0(VALU_DEP_2) | instskip(NEXT) | instid1(VALU_DEP_2)
	v_fma_f64 v[9:10], v[3:4], v[7:8], -v[11:12]
	v_fma_f64 v[11:12], v[1:2], v[7:8], v[78:79]
	scratch_store_b128 off, v[9:12], off offset:112
.LBB84_43:
	s_or_b32 exec_lo, exec_lo, s2
	s_waitcnt_vscnt null, 0x0
	s_barrier
	buffer_gl0_inv
	scratch_load_b128 v[1:4], v57, off
	s_mov_b32 s2, exec_lo
	s_waitcnt vmcnt(0)
	ds_store_b128 v5, v[1:4]
	s_waitcnt lgkmcnt(0)
	s_barrier
	buffer_gl0_inv
	v_cmpx_gt_u32_e32 8, v55
	s_cbranch_execz .LBB84_47
; %bb.44:
	v_dual_mov_b32 v1, 0 :: v_dual_add_nc_u32 v8, 0x150, v76
	v_dual_mov_b32 v2, 0 :: v_dual_add_nc_u32 v7, -1, v55
	v_or_b32_e32 v9, 8, v77
	s_mov_b32 s3, 0
	s_delay_alu instid0(VALU_DEP_2)
	v_dual_mov_b32 v4, v2 :: v_dual_mov_b32 v3, v1
	.p2align	6
.LBB84_45:                              ; =>This Inner Loop Header: Depth=1
	scratch_load_b128 v[78:81], v9, off offset:-8
	ds_load_b128 v[82:85], v8
	v_add_nc_u32_e32 v7, 1, v7
	v_add_nc_u32_e32 v8, 16, v8
	;; [unrolled: 1-line block ×3, first 2 shown]
	s_delay_alu instid0(VALU_DEP_3) | instskip(SKIP_4) | instid1(VALU_DEP_2)
	v_cmp_lt_u32_e32 vcc_lo, 6, v7
	s_or_b32 s3, vcc_lo, s3
	s_waitcnt vmcnt(0) lgkmcnt(0)
	v_mul_f64 v[10:11], v[84:85], v[80:81]
	v_mul_f64 v[80:81], v[82:83], v[80:81]
	v_fma_f64 v[10:11], v[82:83], v[78:79], -v[10:11]
	s_delay_alu instid0(VALU_DEP_2) | instskip(NEXT) | instid1(VALU_DEP_2)
	v_fma_f64 v[78:79], v[84:85], v[78:79], v[80:81]
	v_add_f64 v[3:4], v[3:4], v[10:11]
	s_delay_alu instid0(VALU_DEP_2)
	v_add_f64 v[1:2], v[1:2], v[78:79]
	s_and_not1_b32 exec_lo, exec_lo, s3
	s_cbranch_execnz .LBB84_45
; %bb.46:
	s_or_b32 exec_lo, exec_lo, s3
	v_mov_b32_e32 v7, 0
	ds_load_b128 v[7:10], v7 offset:128
	s_waitcnt lgkmcnt(0)
	v_mul_f64 v[11:12], v[1:2], v[9:10]
	v_mul_f64 v[78:79], v[3:4], v[9:10]
	s_delay_alu instid0(VALU_DEP_2) | instskip(NEXT) | instid1(VALU_DEP_2)
	v_fma_f64 v[9:10], v[3:4], v[7:8], -v[11:12]
	v_fma_f64 v[11:12], v[1:2], v[7:8], v[78:79]
	scratch_store_b128 off, v[9:12], off offset:128
.LBB84_47:
	s_or_b32 exec_lo, exec_lo, s2
	s_waitcnt_vscnt null, 0x0
	s_barrier
	buffer_gl0_inv
	scratch_load_b128 v[1:4], v66, off
	s_mov_b32 s2, exec_lo
	s_waitcnt vmcnt(0)
	ds_store_b128 v5, v[1:4]
	s_waitcnt lgkmcnt(0)
	s_barrier
	buffer_gl0_inv
	v_cmpx_gt_u32_e32 9, v55
	s_cbranch_execz .LBB84_51
; %bb.48:
	v_dual_mov_b32 v1, 0 :: v_dual_add_nc_u32 v8, 0x150, v76
	v_dual_mov_b32 v2, 0 :: v_dual_add_nc_u32 v7, -1, v55
	v_or_b32_e32 v9, 8, v77
	s_mov_b32 s3, 0
	s_delay_alu instid0(VALU_DEP_2)
	v_dual_mov_b32 v4, v2 :: v_dual_mov_b32 v3, v1
	.p2align	6
.LBB84_49:                              ; =>This Inner Loop Header: Depth=1
	scratch_load_b128 v[78:81], v9, off offset:-8
	ds_load_b128 v[82:85], v8
	v_add_nc_u32_e32 v7, 1, v7
	v_add_nc_u32_e32 v8, 16, v8
	;; [unrolled: 1-line block ×3, first 2 shown]
	s_delay_alu instid0(VALU_DEP_3) | instskip(SKIP_4) | instid1(VALU_DEP_2)
	v_cmp_lt_u32_e32 vcc_lo, 7, v7
	s_or_b32 s3, vcc_lo, s3
	s_waitcnt vmcnt(0) lgkmcnt(0)
	v_mul_f64 v[10:11], v[84:85], v[80:81]
	v_mul_f64 v[80:81], v[82:83], v[80:81]
	v_fma_f64 v[10:11], v[82:83], v[78:79], -v[10:11]
	s_delay_alu instid0(VALU_DEP_2) | instskip(NEXT) | instid1(VALU_DEP_2)
	v_fma_f64 v[78:79], v[84:85], v[78:79], v[80:81]
	v_add_f64 v[3:4], v[3:4], v[10:11]
	s_delay_alu instid0(VALU_DEP_2)
	v_add_f64 v[1:2], v[1:2], v[78:79]
	s_and_not1_b32 exec_lo, exec_lo, s3
	s_cbranch_execnz .LBB84_49
; %bb.50:
	s_or_b32 exec_lo, exec_lo, s3
	v_mov_b32_e32 v7, 0
	ds_load_b128 v[7:10], v7 offset:144
	s_waitcnt lgkmcnt(0)
	v_mul_f64 v[11:12], v[1:2], v[9:10]
	v_mul_f64 v[78:79], v[3:4], v[9:10]
	s_delay_alu instid0(VALU_DEP_2) | instskip(NEXT) | instid1(VALU_DEP_2)
	v_fma_f64 v[9:10], v[3:4], v[7:8], -v[11:12]
	v_fma_f64 v[11:12], v[1:2], v[7:8], v[78:79]
	scratch_store_b128 off, v[9:12], off offset:144
.LBB84_51:
	s_or_b32 exec_lo, exec_lo, s2
	s_waitcnt_vscnt null, 0x0
	s_barrier
	buffer_gl0_inv
	scratch_load_b128 v[1:4], v63, off
	s_mov_b32 s2, exec_lo
	s_waitcnt vmcnt(0)
	ds_store_b128 v5, v[1:4]
	s_waitcnt lgkmcnt(0)
	s_barrier
	buffer_gl0_inv
	v_cmpx_gt_u32_e32 10, v55
	s_cbranch_execz .LBB84_55
; %bb.52:
	v_dual_mov_b32 v1, 0 :: v_dual_add_nc_u32 v8, 0x150, v76
	v_dual_mov_b32 v2, 0 :: v_dual_add_nc_u32 v7, -1, v55
	v_or_b32_e32 v9, 8, v77
	s_mov_b32 s3, 0
	s_delay_alu instid0(VALU_DEP_2)
	v_dual_mov_b32 v4, v2 :: v_dual_mov_b32 v3, v1
	.p2align	6
.LBB84_53:                              ; =>This Inner Loop Header: Depth=1
	scratch_load_b128 v[78:81], v9, off offset:-8
	ds_load_b128 v[82:85], v8
	v_add_nc_u32_e32 v7, 1, v7
	v_add_nc_u32_e32 v8, 16, v8
	;; [unrolled: 1-line block ×3, first 2 shown]
	s_delay_alu instid0(VALU_DEP_3) | instskip(SKIP_4) | instid1(VALU_DEP_2)
	v_cmp_lt_u32_e32 vcc_lo, 8, v7
	s_or_b32 s3, vcc_lo, s3
	s_waitcnt vmcnt(0) lgkmcnt(0)
	v_mul_f64 v[10:11], v[84:85], v[80:81]
	v_mul_f64 v[80:81], v[82:83], v[80:81]
	v_fma_f64 v[10:11], v[82:83], v[78:79], -v[10:11]
	s_delay_alu instid0(VALU_DEP_2) | instskip(NEXT) | instid1(VALU_DEP_2)
	v_fma_f64 v[78:79], v[84:85], v[78:79], v[80:81]
	v_add_f64 v[3:4], v[3:4], v[10:11]
	s_delay_alu instid0(VALU_DEP_2)
	v_add_f64 v[1:2], v[1:2], v[78:79]
	s_and_not1_b32 exec_lo, exec_lo, s3
	s_cbranch_execnz .LBB84_53
; %bb.54:
	s_or_b32 exec_lo, exec_lo, s3
	v_mov_b32_e32 v7, 0
	ds_load_b128 v[7:10], v7 offset:160
	s_waitcnt lgkmcnt(0)
	v_mul_f64 v[11:12], v[1:2], v[9:10]
	v_mul_f64 v[78:79], v[3:4], v[9:10]
	s_delay_alu instid0(VALU_DEP_2) | instskip(NEXT) | instid1(VALU_DEP_2)
	v_fma_f64 v[9:10], v[3:4], v[7:8], -v[11:12]
	v_fma_f64 v[11:12], v[1:2], v[7:8], v[78:79]
	scratch_store_b128 off, v[9:12], off offset:160
.LBB84_55:
	s_or_b32 exec_lo, exec_lo, s2
	s_waitcnt_vscnt null, 0x0
	s_barrier
	buffer_gl0_inv
	scratch_load_b128 v[1:4], v65, off
	s_mov_b32 s2, exec_lo
	s_waitcnt vmcnt(0)
	ds_store_b128 v5, v[1:4]
	s_waitcnt lgkmcnt(0)
	s_barrier
	buffer_gl0_inv
	v_cmpx_gt_u32_e32 11, v55
	s_cbranch_execz .LBB84_59
; %bb.56:
	v_dual_mov_b32 v1, 0 :: v_dual_add_nc_u32 v8, 0x150, v76
	v_dual_mov_b32 v2, 0 :: v_dual_add_nc_u32 v7, -1, v55
	v_or_b32_e32 v9, 8, v77
	s_mov_b32 s3, 0
	s_delay_alu instid0(VALU_DEP_2)
	v_dual_mov_b32 v4, v2 :: v_dual_mov_b32 v3, v1
	.p2align	6
.LBB84_57:                              ; =>This Inner Loop Header: Depth=1
	scratch_load_b128 v[78:81], v9, off offset:-8
	ds_load_b128 v[82:85], v8
	v_add_nc_u32_e32 v7, 1, v7
	v_add_nc_u32_e32 v8, 16, v8
	;; [unrolled: 1-line block ×3, first 2 shown]
	s_delay_alu instid0(VALU_DEP_3) | instskip(SKIP_4) | instid1(VALU_DEP_2)
	v_cmp_lt_u32_e32 vcc_lo, 9, v7
	s_or_b32 s3, vcc_lo, s3
	s_waitcnt vmcnt(0) lgkmcnt(0)
	v_mul_f64 v[10:11], v[84:85], v[80:81]
	v_mul_f64 v[80:81], v[82:83], v[80:81]
	v_fma_f64 v[10:11], v[82:83], v[78:79], -v[10:11]
	s_delay_alu instid0(VALU_DEP_2) | instskip(NEXT) | instid1(VALU_DEP_2)
	v_fma_f64 v[78:79], v[84:85], v[78:79], v[80:81]
	v_add_f64 v[3:4], v[3:4], v[10:11]
	s_delay_alu instid0(VALU_DEP_2)
	v_add_f64 v[1:2], v[1:2], v[78:79]
	s_and_not1_b32 exec_lo, exec_lo, s3
	s_cbranch_execnz .LBB84_57
; %bb.58:
	s_or_b32 exec_lo, exec_lo, s3
	v_mov_b32_e32 v7, 0
	ds_load_b128 v[7:10], v7 offset:176
	s_waitcnt lgkmcnt(0)
	v_mul_f64 v[11:12], v[1:2], v[9:10]
	v_mul_f64 v[78:79], v[3:4], v[9:10]
	s_delay_alu instid0(VALU_DEP_2) | instskip(NEXT) | instid1(VALU_DEP_2)
	v_fma_f64 v[9:10], v[3:4], v[7:8], -v[11:12]
	v_fma_f64 v[11:12], v[1:2], v[7:8], v[78:79]
	scratch_store_b128 off, v[9:12], off offset:176
.LBB84_59:
	s_or_b32 exec_lo, exec_lo, s2
	s_waitcnt_vscnt null, 0x0
	s_barrier
	buffer_gl0_inv
	scratch_load_b128 v[1:4], v68, off
	s_mov_b32 s2, exec_lo
	s_waitcnt vmcnt(0)
	ds_store_b128 v5, v[1:4]
	s_waitcnt lgkmcnt(0)
	s_barrier
	buffer_gl0_inv
	v_cmpx_gt_u32_e32 12, v55
	s_cbranch_execz .LBB84_63
; %bb.60:
	v_dual_mov_b32 v1, 0 :: v_dual_add_nc_u32 v8, 0x150, v76
	v_dual_mov_b32 v2, 0 :: v_dual_add_nc_u32 v7, -1, v55
	v_or_b32_e32 v9, 8, v77
	s_mov_b32 s3, 0
	s_delay_alu instid0(VALU_DEP_2)
	v_dual_mov_b32 v4, v2 :: v_dual_mov_b32 v3, v1
	.p2align	6
.LBB84_61:                              ; =>This Inner Loop Header: Depth=1
	scratch_load_b128 v[78:81], v9, off offset:-8
	ds_load_b128 v[82:85], v8
	v_add_nc_u32_e32 v7, 1, v7
	v_add_nc_u32_e32 v8, 16, v8
	;; [unrolled: 1-line block ×3, first 2 shown]
	s_delay_alu instid0(VALU_DEP_3) | instskip(SKIP_4) | instid1(VALU_DEP_2)
	v_cmp_lt_u32_e32 vcc_lo, 10, v7
	s_or_b32 s3, vcc_lo, s3
	s_waitcnt vmcnt(0) lgkmcnt(0)
	v_mul_f64 v[10:11], v[84:85], v[80:81]
	v_mul_f64 v[80:81], v[82:83], v[80:81]
	v_fma_f64 v[10:11], v[82:83], v[78:79], -v[10:11]
	s_delay_alu instid0(VALU_DEP_2) | instskip(NEXT) | instid1(VALU_DEP_2)
	v_fma_f64 v[78:79], v[84:85], v[78:79], v[80:81]
	v_add_f64 v[3:4], v[3:4], v[10:11]
	s_delay_alu instid0(VALU_DEP_2)
	v_add_f64 v[1:2], v[1:2], v[78:79]
	s_and_not1_b32 exec_lo, exec_lo, s3
	s_cbranch_execnz .LBB84_61
; %bb.62:
	s_or_b32 exec_lo, exec_lo, s3
	v_mov_b32_e32 v7, 0
	ds_load_b128 v[7:10], v7 offset:192
	s_waitcnt lgkmcnt(0)
	v_mul_f64 v[11:12], v[1:2], v[9:10]
	v_mul_f64 v[78:79], v[3:4], v[9:10]
	s_delay_alu instid0(VALU_DEP_2) | instskip(NEXT) | instid1(VALU_DEP_2)
	v_fma_f64 v[9:10], v[3:4], v[7:8], -v[11:12]
	v_fma_f64 v[11:12], v[1:2], v[7:8], v[78:79]
	scratch_store_b128 off, v[9:12], off offset:192
.LBB84_63:
	s_or_b32 exec_lo, exec_lo, s2
	s_waitcnt_vscnt null, 0x0
	s_barrier
	buffer_gl0_inv
	scratch_load_b128 v[1:4], v67, off
	s_mov_b32 s2, exec_lo
	s_waitcnt vmcnt(0)
	ds_store_b128 v5, v[1:4]
	s_waitcnt lgkmcnt(0)
	s_barrier
	buffer_gl0_inv
	v_cmpx_gt_u32_e32 13, v55
	s_cbranch_execz .LBB84_67
; %bb.64:
	v_dual_mov_b32 v1, 0 :: v_dual_add_nc_u32 v8, 0x150, v76
	v_dual_mov_b32 v2, 0 :: v_dual_add_nc_u32 v7, -1, v55
	v_or_b32_e32 v9, 8, v77
	s_mov_b32 s3, 0
	s_delay_alu instid0(VALU_DEP_2)
	v_dual_mov_b32 v4, v2 :: v_dual_mov_b32 v3, v1
	.p2align	6
.LBB84_65:                              ; =>This Inner Loop Header: Depth=1
	scratch_load_b128 v[78:81], v9, off offset:-8
	ds_load_b128 v[82:85], v8
	v_add_nc_u32_e32 v7, 1, v7
	v_add_nc_u32_e32 v8, 16, v8
	;; [unrolled: 1-line block ×3, first 2 shown]
	s_delay_alu instid0(VALU_DEP_3) | instskip(SKIP_4) | instid1(VALU_DEP_2)
	v_cmp_lt_u32_e32 vcc_lo, 11, v7
	s_or_b32 s3, vcc_lo, s3
	s_waitcnt vmcnt(0) lgkmcnt(0)
	v_mul_f64 v[10:11], v[84:85], v[80:81]
	v_mul_f64 v[80:81], v[82:83], v[80:81]
	v_fma_f64 v[10:11], v[82:83], v[78:79], -v[10:11]
	s_delay_alu instid0(VALU_DEP_2) | instskip(NEXT) | instid1(VALU_DEP_2)
	v_fma_f64 v[78:79], v[84:85], v[78:79], v[80:81]
	v_add_f64 v[3:4], v[3:4], v[10:11]
	s_delay_alu instid0(VALU_DEP_2)
	v_add_f64 v[1:2], v[1:2], v[78:79]
	s_and_not1_b32 exec_lo, exec_lo, s3
	s_cbranch_execnz .LBB84_65
; %bb.66:
	s_or_b32 exec_lo, exec_lo, s3
	v_mov_b32_e32 v7, 0
	ds_load_b128 v[7:10], v7 offset:208
	s_waitcnt lgkmcnt(0)
	v_mul_f64 v[11:12], v[1:2], v[9:10]
	v_mul_f64 v[78:79], v[3:4], v[9:10]
	s_delay_alu instid0(VALU_DEP_2) | instskip(NEXT) | instid1(VALU_DEP_2)
	v_fma_f64 v[9:10], v[3:4], v[7:8], -v[11:12]
	v_fma_f64 v[11:12], v[1:2], v[7:8], v[78:79]
	scratch_store_b128 off, v[9:12], off offset:208
.LBB84_67:
	s_or_b32 exec_lo, exec_lo, s2
	s_waitcnt_vscnt null, 0x0
	s_barrier
	buffer_gl0_inv
	scratch_load_b128 v[1:4], v70, off
	s_mov_b32 s2, exec_lo
	s_waitcnt vmcnt(0)
	ds_store_b128 v5, v[1:4]
	s_waitcnt lgkmcnt(0)
	s_barrier
	buffer_gl0_inv
	v_cmpx_gt_u32_e32 14, v55
	s_cbranch_execz .LBB84_71
; %bb.68:
	v_dual_mov_b32 v1, 0 :: v_dual_add_nc_u32 v8, 0x150, v76
	v_dual_mov_b32 v2, 0 :: v_dual_add_nc_u32 v7, -1, v55
	v_or_b32_e32 v9, 8, v77
	s_mov_b32 s3, 0
	s_delay_alu instid0(VALU_DEP_2)
	v_dual_mov_b32 v4, v2 :: v_dual_mov_b32 v3, v1
	.p2align	6
.LBB84_69:                              ; =>This Inner Loop Header: Depth=1
	scratch_load_b128 v[78:81], v9, off offset:-8
	ds_load_b128 v[82:85], v8
	v_add_nc_u32_e32 v7, 1, v7
	v_add_nc_u32_e32 v8, 16, v8
	;; [unrolled: 1-line block ×3, first 2 shown]
	s_delay_alu instid0(VALU_DEP_3) | instskip(SKIP_4) | instid1(VALU_DEP_2)
	v_cmp_lt_u32_e32 vcc_lo, 12, v7
	s_or_b32 s3, vcc_lo, s3
	s_waitcnt vmcnt(0) lgkmcnt(0)
	v_mul_f64 v[10:11], v[84:85], v[80:81]
	v_mul_f64 v[80:81], v[82:83], v[80:81]
	v_fma_f64 v[10:11], v[82:83], v[78:79], -v[10:11]
	s_delay_alu instid0(VALU_DEP_2) | instskip(NEXT) | instid1(VALU_DEP_2)
	v_fma_f64 v[78:79], v[84:85], v[78:79], v[80:81]
	v_add_f64 v[3:4], v[3:4], v[10:11]
	s_delay_alu instid0(VALU_DEP_2)
	v_add_f64 v[1:2], v[1:2], v[78:79]
	s_and_not1_b32 exec_lo, exec_lo, s3
	s_cbranch_execnz .LBB84_69
; %bb.70:
	s_or_b32 exec_lo, exec_lo, s3
	v_mov_b32_e32 v7, 0
	ds_load_b128 v[7:10], v7 offset:224
	s_waitcnt lgkmcnt(0)
	v_mul_f64 v[11:12], v[1:2], v[9:10]
	v_mul_f64 v[78:79], v[3:4], v[9:10]
	s_delay_alu instid0(VALU_DEP_2) | instskip(NEXT) | instid1(VALU_DEP_2)
	v_fma_f64 v[9:10], v[3:4], v[7:8], -v[11:12]
	v_fma_f64 v[11:12], v[1:2], v[7:8], v[78:79]
	scratch_store_b128 off, v[9:12], off offset:224
.LBB84_71:
	s_or_b32 exec_lo, exec_lo, s2
	s_waitcnt_vscnt null, 0x0
	s_barrier
	buffer_gl0_inv
	scratch_load_b128 v[1:4], v69, off
	s_mov_b32 s2, exec_lo
	s_waitcnt vmcnt(0)
	ds_store_b128 v5, v[1:4]
	s_waitcnt lgkmcnt(0)
	s_barrier
	buffer_gl0_inv
	v_cmpx_gt_u32_e32 15, v55
	s_cbranch_execz .LBB84_75
; %bb.72:
	v_dual_mov_b32 v1, 0 :: v_dual_add_nc_u32 v8, 0x150, v76
	v_dual_mov_b32 v2, 0 :: v_dual_add_nc_u32 v7, -1, v55
	v_or_b32_e32 v9, 8, v77
	s_mov_b32 s3, 0
	s_delay_alu instid0(VALU_DEP_2)
	v_dual_mov_b32 v4, v2 :: v_dual_mov_b32 v3, v1
	.p2align	6
.LBB84_73:                              ; =>This Inner Loop Header: Depth=1
	scratch_load_b128 v[78:81], v9, off offset:-8
	ds_load_b128 v[82:85], v8
	v_add_nc_u32_e32 v7, 1, v7
	v_add_nc_u32_e32 v8, 16, v8
	;; [unrolled: 1-line block ×3, first 2 shown]
	s_delay_alu instid0(VALU_DEP_3) | instskip(SKIP_4) | instid1(VALU_DEP_2)
	v_cmp_lt_u32_e32 vcc_lo, 13, v7
	s_or_b32 s3, vcc_lo, s3
	s_waitcnt vmcnt(0) lgkmcnt(0)
	v_mul_f64 v[10:11], v[84:85], v[80:81]
	v_mul_f64 v[80:81], v[82:83], v[80:81]
	v_fma_f64 v[10:11], v[82:83], v[78:79], -v[10:11]
	s_delay_alu instid0(VALU_DEP_2) | instskip(NEXT) | instid1(VALU_DEP_2)
	v_fma_f64 v[78:79], v[84:85], v[78:79], v[80:81]
	v_add_f64 v[3:4], v[3:4], v[10:11]
	s_delay_alu instid0(VALU_DEP_2)
	v_add_f64 v[1:2], v[1:2], v[78:79]
	s_and_not1_b32 exec_lo, exec_lo, s3
	s_cbranch_execnz .LBB84_73
; %bb.74:
	s_or_b32 exec_lo, exec_lo, s3
	v_mov_b32_e32 v7, 0
	ds_load_b128 v[7:10], v7 offset:240
	s_waitcnt lgkmcnt(0)
	v_mul_f64 v[11:12], v[1:2], v[9:10]
	v_mul_f64 v[78:79], v[3:4], v[9:10]
	s_delay_alu instid0(VALU_DEP_2) | instskip(NEXT) | instid1(VALU_DEP_2)
	v_fma_f64 v[9:10], v[3:4], v[7:8], -v[11:12]
	v_fma_f64 v[11:12], v[1:2], v[7:8], v[78:79]
	scratch_store_b128 off, v[9:12], off offset:240
.LBB84_75:
	s_or_b32 exec_lo, exec_lo, s2
	s_waitcnt_vscnt null, 0x0
	s_barrier
	buffer_gl0_inv
	scratch_load_b128 v[1:4], v72, off
	s_mov_b32 s2, exec_lo
	s_waitcnt vmcnt(0)
	ds_store_b128 v5, v[1:4]
	s_waitcnt lgkmcnt(0)
	s_barrier
	buffer_gl0_inv
	v_cmpx_gt_u32_e32 16, v55
	s_cbranch_execz .LBB84_79
; %bb.76:
	v_dual_mov_b32 v1, 0 :: v_dual_add_nc_u32 v8, 0x150, v76
	v_dual_mov_b32 v2, 0 :: v_dual_add_nc_u32 v7, -1, v55
	v_or_b32_e32 v9, 8, v77
	s_mov_b32 s3, 0
	s_delay_alu instid0(VALU_DEP_2)
	v_dual_mov_b32 v4, v2 :: v_dual_mov_b32 v3, v1
	.p2align	6
.LBB84_77:                              ; =>This Inner Loop Header: Depth=1
	scratch_load_b128 v[78:81], v9, off offset:-8
	ds_load_b128 v[82:85], v8
	v_add_nc_u32_e32 v7, 1, v7
	v_add_nc_u32_e32 v8, 16, v8
	;; [unrolled: 1-line block ×3, first 2 shown]
	s_delay_alu instid0(VALU_DEP_3) | instskip(SKIP_4) | instid1(VALU_DEP_2)
	v_cmp_lt_u32_e32 vcc_lo, 14, v7
	s_or_b32 s3, vcc_lo, s3
	s_waitcnt vmcnt(0) lgkmcnt(0)
	v_mul_f64 v[10:11], v[84:85], v[80:81]
	v_mul_f64 v[80:81], v[82:83], v[80:81]
	v_fma_f64 v[10:11], v[82:83], v[78:79], -v[10:11]
	s_delay_alu instid0(VALU_DEP_2) | instskip(NEXT) | instid1(VALU_DEP_2)
	v_fma_f64 v[78:79], v[84:85], v[78:79], v[80:81]
	v_add_f64 v[3:4], v[3:4], v[10:11]
	s_delay_alu instid0(VALU_DEP_2)
	v_add_f64 v[1:2], v[1:2], v[78:79]
	s_and_not1_b32 exec_lo, exec_lo, s3
	s_cbranch_execnz .LBB84_77
; %bb.78:
	s_or_b32 exec_lo, exec_lo, s3
	v_mov_b32_e32 v7, 0
	ds_load_b128 v[7:10], v7 offset:256
	s_waitcnt lgkmcnt(0)
	v_mul_f64 v[11:12], v[1:2], v[9:10]
	v_mul_f64 v[78:79], v[3:4], v[9:10]
	s_delay_alu instid0(VALU_DEP_2) | instskip(NEXT) | instid1(VALU_DEP_2)
	v_fma_f64 v[9:10], v[3:4], v[7:8], -v[11:12]
	v_fma_f64 v[11:12], v[1:2], v[7:8], v[78:79]
	scratch_store_b128 off, v[9:12], off offset:256
.LBB84_79:
	s_or_b32 exec_lo, exec_lo, s2
	s_waitcnt_vscnt null, 0x0
	s_barrier
	buffer_gl0_inv
	scratch_load_b128 v[1:4], v71, off
	s_mov_b32 s2, exec_lo
	s_waitcnt vmcnt(0)
	ds_store_b128 v5, v[1:4]
	s_waitcnt lgkmcnt(0)
	s_barrier
	buffer_gl0_inv
	v_cmpx_gt_u32_e32 17, v55
	s_cbranch_execz .LBB84_83
; %bb.80:
	v_dual_mov_b32 v1, 0 :: v_dual_add_nc_u32 v8, 0x150, v76
	v_dual_mov_b32 v2, 0 :: v_dual_add_nc_u32 v7, -1, v55
	v_or_b32_e32 v9, 8, v77
	s_mov_b32 s3, 0
	s_delay_alu instid0(VALU_DEP_2)
	v_dual_mov_b32 v4, v2 :: v_dual_mov_b32 v3, v1
	.p2align	6
.LBB84_81:                              ; =>This Inner Loop Header: Depth=1
	scratch_load_b128 v[78:81], v9, off offset:-8
	ds_load_b128 v[82:85], v8
	v_add_nc_u32_e32 v7, 1, v7
	v_add_nc_u32_e32 v8, 16, v8
	;; [unrolled: 1-line block ×3, first 2 shown]
	s_delay_alu instid0(VALU_DEP_3) | instskip(SKIP_4) | instid1(VALU_DEP_2)
	v_cmp_lt_u32_e32 vcc_lo, 15, v7
	s_or_b32 s3, vcc_lo, s3
	s_waitcnt vmcnt(0) lgkmcnt(0)
	v_mul_f64 v[10:11], v[84:85], v[80:81]
	v_mul_f64 v[80:81], v[82:83], v[80:81]
	v_fma_f64 v[10:11], v[82:83], v[78:79], -v[10:11]
	s_delay_alu instid0(VALU_DEP_2) | instskip(NEXT) | instid1(VALU_DEP_2)
	v_fma_f64 v[78:79], v[84:85], v[78:79], v[80:81]
	v_add_f64 v[3:4], v[3:4], v[10:11]
	s_delay_alu instid0(VALU_DEP_2)
	v_add_f64 v[1:2], v[1:2], v[78:79]
	s_and_not1_b32 exec_lo, exec_lo, s3
	s_cbranch_execnz .LBB84_81
; %bb.82:
	s_or_b32 exec_lo, exec_lo, s3
	v_mov_b32_e32 v7, 0
	ds_load_b128 v[7:10], v7 offset:272
	s_waitcnt lgkmcnt(0)
	v_mul_f64 v[11:12], v[1:2], v[9:10]
	v_mul_f64 v[78:79], v[3:4], v[9:10]
	s_delay_alu instid0(VALU_DEP_2) | instskip(NEXT) | instid1(VALU_DEP_2)
	v_fma_f64 v[9:10], v[3:4], v[7:8], -v[11:12]
	v_fma_f64 v[11:12], v[1:2], v[7:8], v[78:79]
	scratch_store_b128 off, v[9:12], off offset:272
.LBB84_83:
	s_or_b32 exec_lo, exec_lo, s2
	s_waitcnt_vscnt null, 0x0
	s_barrier
	buffer_gl0_inv
	scratch_load_b128 v[1:4], v74, off
	s_mov_b32 s2, exec_lo
	s_waitcnt vmcnt(0)
	ds_store_b128 v5, v[1:4]
	s_waitcnt lgkmcnt(0)
	s_barrier
	buffer_gl0_inv
	v_cmpx_gt_u32_e32 18, v55
	s_cbranch_execz .LBB84_87
; %bb.84:
	v_dual_mov_b32 v1, 0 :: v_dual_add_nc_u32 v8, 0x150, v76
	v_dual_mov_b32 v2, 0 :: v_dual_add_nc_u32 v7, -1, v55
	v_or_b32_e32 v9, 8, v77
	s_mov_b32 s3, 0
	s_delay_alu instid0(VALU_DEP_2)
	v_dual_mov_b32 v4, v2 :: v_dual_mov_b32 v3, v1
	.p2align	6
.LBB84_85:                              ; =>This Inner Loop Header: Depth=1
	scratch_load_b128 v[78:81], v9, off offset:-8
	ds_load_b128 v[82:85], v8
	v_add_nc_u32_e32 v7, 1, v7
	v_add_nc_u32_e32 v8, 16, v8
	;; [unrolled: 1-line block ×3, first 2 shown]
	s_delay_alu instid0(VALU_DEP_3) | instskip(SKIP_4) | instid1(VALU_DEP_2)
	v_cmp_lt_u32_e32 vcc_lo, 16, v7
	s_or_b32 s3, vcc_lo, s3
	s_waitcnt vmcnt(0) lgkmcnt(0)
	v_mul_f64 v[10:11], v[84:85], v[80:81]
	v_mul_f64 v[80:81], v[82:83], v[80:81]
	v_fma_f64 v[10:11], v[82:83], v[78:79], -v[10:11]
	s_delay_alu instid0(VALU_DEP_2) | instskip(NEXT) | instid1(VALU_DEP_2)
	v_fma_f64 v[78:79], v[84:85], v[78:79], v[80:81]
	v_add_f64 v[3:4], v[3:4], v[10:11]
	s_delay_alu instid0(VALU_DEP_2)
	v_add_f64 v[1:2], v[1:2], v[78:79]
	s_and_not1_b32 exec_lo, exec_lo, s3
	s_cbranch_execnz .LBB84_85
; %bb.86:
	s_or_b32 exec_lo, exec_lo, s3
	v_mov_b32_e32 v7, 0
	ds_load_b128 v[7:10], v7 offset:288
	s_waitcnt lgkmcnt(0)
	v_mul_f64 v[11:12], v[1:2], v[9:10]
	v_mul_f64 v[78:79], v[3:4], v[9:10]
	s_delay_alu instid0(VALU_DEP_2) | instskip(NEXT) | instid1(VALU_DEP_2)
	v_fma_f64 v[9:10], v[3:4], v[7:8], -v[11:12]
	v_fma_f64 v[11:12], v[1:2], v[7:8], v[78:79]
	scratch_store_b128 off, v[9:12], off offset:288
.LBB84_87:
	s_or_b32 exec_lo, exec_lo, s2
	s_waitcnt_vscnt null, 0x0
	s_barrier
	buffer_gl0_inv
	scratch_load_b128 v[1:4], v75, off
	s_mov_b32 s2, exec_lo
	s_waitcnt vmcnt(0)
	ds_store_b128 v5, v[1:4]
	s_waitcnt lgkmcnt(0)
	s_barrier
	buffer_gl0_inv
	v_cmpx_gt_u32_e32 19, v55
	s_cbranch_execz .LBB84_91
; %bb.88:
	v_dual_mov_b32 v1, 0 :: v_dual_add_nc_u32 v8, 0x150, v76
	v_dual_mov_b32 v2, 0 :: v_dual_add_nc_u32 v7, -1, v55
	v_or_b32_e32 v9, 8, v77
	s_mov_b32 s3, 0
	s_delay_alu instid0(VALU_DEP_2)
	v_dual_mov_b32 v4, v2 :: v_dual_mov_b32 v3, v1
	.p2align	6
.LBB84_89:                              ; =>This Inner Loop Header: Depth=1
	scratch_load_b128 v[78:81], v9, off offset:-8
	ds_load_b128 v[82:85], v8
	v_add_nc_u32_e32 v7, 1, v7
	v_add_nc_u32_e32 v8, 16, v8
	;; [unrolled: 1-line block ×3, first 2 shown]
	s_delay_alu instid0(VALU_DEP_3) | instskip(SKIP_4) | instid1(VALU_DEP_2)
	v_cmp_lt_u32_e32 vcc_lo, 17, v7
	s_or_b32 s3, vcc_lo, s3
	s_waitcnt vmcnt(0) lgkmcnt(0)
	v_mul_f64 v[10:11], v[84:85], v[80:81]
	v_mul_f64 v[80:81], v[82:83], v[80:81]
	v_fma_f64 v[10:11], v[82:83], v[78:79], -v[10:11]
	s_delay_alu instid0(VALU_DEP_2) | instskip(NEXT) | instid1(VALU_DEP_2)
	v_fma_f64 v[78:79], v[84:85], v[78:79], v[80:81]
	v_add_f64 v[3:4], v[3:4], v[10:11]
	s_delay_alu instid0(VALU_DEP_2)
	v_add_f64 v[1:2], v[1:2], v[78:79]
	s_and_not1_b32 exec_lo, exec_lo, s3
	s_cbranch_execnz .LBB84_89
; %bb.90:
	s_or_b32 exec_lo, exec_lo, s3
	v_mov_b32_e32 v7, 0
	ds_load_b128 v[7:10], v7 offset:304
	s_waitcnt lgkmcnt(0)
	v_mul_f64 v[11:12], v[1:2], v[9:10]
	v_mul_f64 v[78:79], v[3:4], v[9:10]
	s_delay_alu instid0(VALU_DEP_2) | instskip(NEXT) | instid1(VALU_DEP_2)
	v_fma_f64 v[9:10], v[3:4], v[7:8], -v[11:12]
	v_fma_f64 v[11:12], v[1:2], v[7:8], v[78:79]
	scratch_store_b128 off, v[9:12], off offset:304
.LBB84_91:
	s_or_b32 exec_lo, exec_lo, s2
	s_waitcnt_vscnt null, 0x0
	s_barrier
	buffer_gl0_inv
	scratch_load_b128 v[1:4], v73, off
	s_mov_b32 s2, exec_lo
	s_waitcnt vmcnt(0)
	ds_store_b128 v5, v[1:4]
	s_waitcnt lgkmcnt(0)
	s_barrier
	buffer_gl0_inv
	v_cmpx_ne_u32_e32 20, v55
	s_cbranch_execz .LBB84_95
; %bb.92:
	v_mov_b32_e32 v1, 0
	v_mov_b32_e32 v2, 0
	v_or_b32_e32 v7, 8, v77
	s_mov_b32 s3, 0
	s_delay_alu instid0(VALU_DEP_2)
	v_dual_mov_b32 v4, v2 :: v_dual_mov_b32 v3, v1
	.p2align	6
.LBB84_93:                              ; =>This Inner Loop Header: Depth=1
	scratch_load_b128 v[8:11], v7, off offset:-8
	ds_load_b128 v[76:79], v5
	v_add_nc_u32_e32 v6, 1, v6
	v_add_nc_u32_e32 v5, 16, v5
	;; [unrolled: 1-line block ×3, first 2 shown]
	s_delay_alu instid0(VALU_DEP_3) | instskip(SKIP_4) | instid1(VALU_DEP_2)
	v_cmp_lt_u32_e32 vcc_lo, 18, v6
	s_or_b32 s3, vcc_lo, s3
	s_waitcnt vmcnt(0) lgkmcnt(0)
	v_mul_f64 v[80:81], v[78:79], v[10:11]
	v_mul_f64 v[10:11], v[76:77], v[10:11]
	v_fma_f64 v[76:77], v[76:77], v[8:9], -v[80:81]
	s_delay_alu instid0(VALU_DEP_2) | instskip(NEXT) | instid1(VALU_DEP_2)
	v_fma_f64 v[8:9], v[78:79], v[8:9], v[10:11]
	v_add_f64 v[3:4], v[3:4], v[76:77]
	s_delay_alu instid0(VALU_DEP_2)
	v_add_f64 v[1:2], v[1:2], v[8:9]
	s_and_not1_b32 exec_lo, exec_lo, s3
	s_cbranch_execnz .LBB84_93
; %bb.94:
	s_or_b32 exec_lo, exec_lo, s3
	v_mov_b32_e32 v5, 0
	ds_load_b128 v[5:8], v5 offset:320
	s_waitcnt lgkmcnt(0)
	v_mul_f64 v[9:10], v[1:2], v[7:8]
	v_mul_f64 v[7:8], v[3:4], v[7:8]
	s_delay_alu instid0(VALU_DEP_2) | instskip(NEXT) | instid1(VALU_DEP_2)
	v_fma_f64 v[3:4], v[3:4], v[5:6], -v[9:10]
	v_fma_f64 v[5:6], v[1:2], v[5:6], v[7:8]
	scratch_store_b128 off, v[3:6], off offset:320
.LBB84_95:
	s_or_b32 exec_lo, exec_lo, s2
	s_mov_b32 s3, -1
	s_waitcnt_vscnt null, 0x0
	s_barrier
	buffer_gl0_inv
.LBB84_96:
	s_and_b32 vcc_lo, exec_lo, s3
	s_cbranch_vccz .LBB84_98
; %bb.97:
	s_lshl_b64 s[2:3], s[10:11], 2
	v_mov_b32_e32 v1, 0
	s_add_u32 s2, s6, s2
	s_addc_u32 s3, s7, s3
	global_load_b32 v1, v1, s[2:3]
	s_waitcnt vmcnt(0)
	v_cmp_ne_u32_e32 vcc_lo, 0, v1
	s_cbranch_vccz .LBB84_99
.LBB84_98:
	s_endpgm
.LBB84_99:
	v_lshl_add_u32 v5, v55, 4, 0x150
	s_mov_b32 s2, exec_lo
	v_cmpx_eq_u32_e32 20, v55
	s_cbranch_execz .LBB84_101
; %bb.100:
	scratch_load_b128 v[1:4], v75, off
	v_mov_b32_e32 v6, 0
	s_delay_alu instid0(VALU_DEP_1)
	v_mov_b32_e32 v7, v6
	v_mov_b32_e32 v8, v6
	;; [unrolled: 1-line block ×3, first 2 shown]
	scratch_store_b128 off, v[6:9], off offset:304
	s_waitcnt vmcnt(0)
	ds_store_b128 v5, v[1:4]
.LBB84_101:
	s_or_b32 exec_lo, exec_lo, s2
	s_waitcnt lgkmcnt(0)
	s_waitcnt_vscnt null, 0x0
	s_barrier
	buffer_gl0_inv
	s_clause 0x1
	scratch_load_b128 v[6:9], off, off offset:320
	scratch_load_b128 v[76:79], off, off offset:304
	v_mov_b32_e32 v1, 0
	s_mov_b32 s2, exec_lo
	ds_load_b128 v[80:83], v1 offset:656
	s_waitcnt vmcnt(1) lgkmcnt(0)
	v_mul_f64 v[2:3], v[82:83], v[8:9]
	v_mul_f64 v[8:9], v[80:81], v[8:9]
	s_delay_alu instid0(VALU_DEP_2) | instskip(NEXT) | instid1(VALU_DEP_2)
	v_fma_f64 v[2:3], v[80:81], v[6:7], -v[2:3]
	v_fma_f64 v[6:7], v[82:83], v[6:7], v[8:9]
	s_delay_alu instid0(VALU_DEP_2) | instskip(NEXT) | instid1(VALU_DEP_2)
	v_add_f64 v[2:3], v[2:3], 0
	v_add_f64 v[8:9], v[6:7], 0
	s_waitcnt vmcnt(0)
	s_delay_alu instid0(VALU_DEP_2) | instskip(NEXT) | instid1(VALU_DEP_2)
	v_add_f64 v[6:7], v[76:77], -v[2:3]
	v_add_f64 v[8:9], v[78:79], -v[8:9]
	scratch_store_b128 off, v[6:9], off offset:304
	v_cmpx_lt_u32_e32 18, v55
	s_cbranch_execz .LBB84_103
; %bb.102:
	scratch_load_b128 v[6:9], v74, off
	v_mov_b32_e32 v2, v1
	v_mov_b32_e32 v3, v1
	;; [unrolled: 1-line block ×3, first 2 shown]
	scratch_store_b128 off, v[1:4], off offset:288
	s_waitcnt vmcnt(0)
	ds_store_b128 v5, v[6:9]
.LBB84_103:
	s_or_b32 exec_lo, exec_lo, s2
	s_waitcnt lgkmcnt(0)
	s_waitcnt_vscnt null, 0x0
	s_barrier
	buffer_gl0_inv
	s_clause 0x2
	scratch_load_b128 v[6:9], off, off offset:304
	scratch_load_b128 v[76:79], off, off offset:320
	;; [unrolled: 1-line block ×3, first 2 shown]
	ds_load_b128 v[84:87], v1 offset:640
	ds_load_b128 v[1:4], v1 offset:656
	s_mov_b32 s2, exec_lo
	s_waitcnt vmcnt(2) lgkmcnt(1)
	v_mul_f64 v[10:11], v[86:87], v[8:9]
	v_mul_f64 v[8:9], v[84:85], v[8:9]
	s_waitcnt vmcnt(1) lgkmcnt(0)
	v_mul_f64 v[88:89], v[1:2], v[78:79]
	v_mul_f64 v[78:79], v[3:4], v[78:79]
	s_delay_alu instid0(VALU_DEP_4) | instskip(NEXT) | instid1(VALU_DEP_4)
	v_fma_f64 v[10:11], v[84:85], v[6:7], -v[10:11]
	v_fma_f64 v[6:7], v[86:87], v[6:7], v[8:9]
	s_delay_alu instid0(VALU_DEP_4) | instskip(NEXT) | instid1(VALU_DEP_4)
	v_fma_f64 v[3:4], v[3:4], v[76:77], v[88:89]
	v_fma_f64 v[1:2], v[1:2], v[76:77], -v[78:79]
	s_delay_alu instid0(VALU_DEP_4) | instskip(NEXT) | instid1(VALU_DEP_4)
	v_add_f64 v[8:9], v[10:11], 0
	v_add_f64 v[6:7], v[6:7], 0
	s_delay_alu instid0(VALU_DEP_2) | instskip(NEXT) | instid1(VALU_DEP_2)
	v_add_f64 v[1:2], v[8:9], v[1:2]
	v_add_f64 v[3:4], v[6:7], v[3:4]
	s_waitcnt vmcnt(0)
	s_delay_alu instid0(VALU_DEP_2) | instskip(NEXT) | instid1(VALU_DEP_2)
	v_add_f64 v[1:2], v[80:81], -v[1:2]
	v_add_f64 v[3:4], v[82:83], -v[3:4]
	scratch_store_b128 off, v[1:4], off offset:288
	v_cmpx_lt_u32_e32 17, v55
	s_cbranch_execz .LBB84_105
; %bb.104:
	scratch_load_b128 v[1:4], v71, off
	v_mov_b32_e32 v6, 0
	s_delay_alu instid0(VALU_DEP_1)
	v_mov_b32_e32 v7, v6
	v_mov_b32_e32 v8, v6
	;; [unrolled: 1-line block ×3, first 2 shown]
	scratch_store_b128 off, v[6:9], off offset:272
	s_waitcnt vmcnt(0)
	ds_store_b128 v5, v[1:4]
.LBB84_105:
	s_or_b32 exec_lo, exec_lo, s2
	s_waitcnt lgkmcnt(0)
	s_waitcnt_vscnt null, 0x0
	s_barrier
	buffer_gl0_inv
	s_clause 0x3
	scratch_load_b128 v[6:9], off, off offset:288
	scratch_load_b128 v[76:79], off, off offset:304
	scratch_load_b128 v[80:83], off, off offset:320
	scratch_load_b128 v[84:87], off, off offset:272
	v_mov_b32_e32 v1, 0
	ds_load_b128 v[88:91], v1 offset:624
	ds_load_b128 v[92:95], v1 offset:640
	s_mov_b32 s2, exec_lo
	s_waitcnt vmcnt(3) lgkmcnt(1)
	v_mul_f64 v[2:3], v[90:91], v[8:9]
	v_mul_f64 v[8:9], v[88:89], v[8:9]
	s_waitcnt vmcnt(2) lgkmcnt(0)
	v_mul_f64 v[10:11], v[92:93], v[78:79]
	v_mul_f64 v[78:79], v[94:95], v[78:79]
	s_delay_alu instid0(VALU_DEP_4) | instskip(NEXT) | instid1(VALU_DEP_4)
	v_fma_f64 v[2:3], v[88:89], v[6:7], -v[2:3]
	v_fma_f64 v[88:89], v[90:91], v[6:7], v[8:9]
	ds_load_b128 v[6:9], v1 offset:656
	v_fma_f64 v[10:11], v[94:95], v[76:77], v[10:11]
	v_fma_f64 v[76:77], v[92:93], v[76:77], -v[78:79]
	s_waitcnt vmcnt(1) lgkmcnt(0)
	v_mul_f64 v[90:91], v[6:7], v[82:83]
	v_mul_f64 v[82:83], v[8:9], v[82:83]
	v_add_f64 v[2:3], v[2:3], 0
	v_add_f64 v[78:79], v[88:89], 0
	s_delay_alu instid0(VALU_DEP_4) | instskip(NEXT) | instid1(VALU_DEP_4)
	v_fma_f64 v[8:9], v[8:9], v[80:81], v[90:91]
	v_fma_f64 v[6:7], v[6:7], v[80:81], -v[82:83]
	s_delay_alu instid0(VALU_DEP_4) | instskip(NEXT) | instid1(VALU_DEP_4)
	v_add_f64 v[2:3], v[2:3], v[76:77]
	v_add_f64 v[10:11], v[78:79], v[10:11]
	s_delay_alu instid0(VALU_DEP_2) | instskip(NEXT) | instid1(VALU_DEP_2)
	v_add_f64 v[2:3], v[2:3], v[6:7]
	v_add_f64 v[8:9], v[10:11], v[8:9]
	s_waitcnt vmcnt(0)
	s_delay_alu instid0(VALU_DEP_2) | instskip(NEXT) | instid1(VALU_DEP_2)
	v_add_f64 v[6:7], v[84:85], -v[2:3]
	v_add_f64 v[8:9], v[86:87], -v[8:9]
	scratch_store_b128 off, v[6:9], off offset:272
	v_cmpx_lt_u32_e32 16, v55
	s_cbranch_execz .LBB84_107
; %bb.106:
	scratch_load_b128 v[6:9], v72, off
	v_mov_b32_e32 v2, v1
	v_mov_b32_e32 v3, v1
	v_mov_b32_e32 v4, v1
	scratch_store_b128 off, v[1:4], off offset:256
	s_waitcnt vmcnt(0)
	ds_store_b128 v5, v[6:9]
.LBB84_107:
	s_or_b32 exec_lo, exec_lo, s2
	s_waitcnt lgkmcnt(0)
	s_waitcnt_vscnt null, 0x0
	s_barrier
	buffer_gl0_inv
	s_clause 0x4
	scratch_load_b128 v[6:9], off, off offset:272
	scratch_load_b128 v[76:79], off, off offset:288
	;; [unrolled: 1-line block ×5, first 2 shown]
	ds_load_b128 v[92:95], v1 offset:608
	ds_load_b128 v[96:99], v1 offset:624
	s_mov_b32 s2, exec_lo
	s_waitcnt vmcnt(4) lgkmcnt(1)
	v_mul_f64 v[2:3], v[94:95], v[8:9]
	v_mul_f64 v[8:9], v[92:93], v[8:9]
	s_waitcnt vmcnt(3) lgkmcnt(0)
	v_mul_f64 v[10:11], v[96:97], v[78:79]
	v_mul_f64 v[78:79], v[98:99], v[78:79]
	s_delay_alu instid0(VALU_DEP_4) | instskip(NEXT) | instid1(VALU_DEP_4)
	v_fma_f64 v[92:93], v[92:93], v[6:7], -v[2:3]
	v_fma_f64 v[94:95], v[94:95], v[6:7], v[8:9]
	ds_load_b128 v[6:9], v1 offset:640
	ds_load_b128 v[1:4], v1 offset:656
	v_fma_f64 v[10:11], v[98:99], v[76:77], v[10:11]
	v_fma_f64 v[76:77], v[96:97], v[76:77], -v[78:79]
	s_waitcnt vmcnt(2) lgkmcnt(1)
	v_mul_f64 v[100:101], v[6:7], v[82:83]
	v_mul_f64 v[82:83], v[8:9], v[82:83]
	v_add_f64 v[78:79], v[92:93], 0
	v_add_f64 v[92:93], v[94:95], 0
	s_waitcnt vmcnt(1) lgkmcnt(0)
	v_mul_f64 v[94:95], v[1:2], v[86:87]
	v_mul_f64 v[86:87], v[3:4], v[86:87]
	v_fma_f64 v[8:9], v[8:9], v[80:81], v[100:101]
	v_fma_f64 v[6:7], v[6:7], v[80:81], -v[82:83]
	v_add_f64 v[76:77], v[78:79], v[76:77]
	v_add_f64 v[10:11], v[92:93], v[10:11]
	v_fma_f64 v[3:4], v[3:4], v[84:85], v[94:95]
	v_fma_f64 v[1:2], v[1:2], v[84:85], -v[86:87]
	s_delay_alu instid0(VALU_DEP_4) | instskip(NEXT) | instid1(VALU_DEP_4)
	v_add_f64 v[6:7], v[76:77], v[6:7]
	v_add_f64 v[8:9], v[10:11], v[8:9]
	s_delay_alu instid0(VALU_DEP_2) | instskip(NEXT) | instid1(VALU_DEP_2)
	v_add_f64 v[1:2], v[6:7], v[1:2]
	v_add_f64 v[3:4], v[8:9], v[3:4]
	s_waitcnt vmcnt(0)
	s_delay_alu instid0(VALU_DEP_2) | instskip(NEXT) | instid1(VALU_DEP_2)
	v_add_f64 v[1:2], v[88:89], -v[1:2]
	v_add_f64 v[3:4], v[90:91], -v[3:4]
	scratch_store_b128 off, v[1:4], off offset:256
	v_cmpx_lt_u32_e32 15, v55
	s_cbranch_execz .LBB84_109
; %bb.108:
	scratch_load_b128 v[1:4], v69, off
	v_mov_b32_e32 v6, 0
	s_delay_alu instid0(VALU_DEP_1)
	v_mov_b32_e32 v7, v6
	v_mov_b32_e32 v8, v6
	;; [unrolled: 1-line block ×3, first 2 shown]
	scratch_store_b128 off, v[6:9], off offset:240
	s_waitcnt vmcnt(0)
	ds_store_b128 v5, v[1:4]
.LBB84_109:
	s_or_b32 exec_lo, exec_lo, s2
	s_waitcnt lgkmcnt(0)
	s_waitcnt_vscnt null, 0x0
	s_barrier
	buffer_gl0_inv
	s_clause 0x5
	scratch_load_b128 v[6:9], off, off offset:256
	scratch_load_b128 v[76:79], off, off offset:272
	;; [unrolled: 1-line block ×6, first 2 shown]
	v_mov_b32_e32 v1, 0
	ds_load_b128 v[96:99], v1 offset:592
	ds_load_b128 v[100:103], v1 offset:608
	s_mov_b32 s2, exec_lo
	s_waitcnt vmcnt(5) lgkmcnt(1)
	v_mul_f64 v[2:3], v[98:99], v[8:9]
	v_mul_f64 v[8:9], v[96:97], v[8:9]
	s_waitcnt vmcnt(4) lgkmcnt(0)
	v_mul_f64 v[10:11], v[100:101], v[78:79]
	v_mul_f64 v[78:79], v[102:103], v[78:79]
	s_delay_alu instid0(VALU_DEP_4) | instskip(NEXT) | instid1(VALU_DEP_4)
	v_fma_f64 v[2:3], v[96:97], v[6:7], -v[2:3]
	v_fma_f64 v[104:105], v[98:99], v[6:7], v[8:9]
	ds_load_b128 v[6:9], v1 offset:624
	ds_load_b128 v[96:99], v1 offset:640
	v_fma_f64 v[10:11], v[102:103], v[76:77], v[10:11]
	v_fma_f64 v[76:77], v[100:101], v[76:77], -v[78:79]
	s_waitcnt vmcnt(3) lgkmcnt(1)
	v_mul_f64 v[106:107], v[6:7], v[82:83]
	v_mul_f64 v[82:83], v[8:9], v[82:83]
	s_waitcnt vmcnt(2) lgkmcnt(0)
	v_mul_f64 v[100:101], v[96:97], v[86:87]
	v_mul_f64 v[86:87], v[98:99], v[86:87]
	v_add_f64 v[2:3], v[2:3], 0
	v_add_f64 v[78:79], v[104:105], 0
	v_fma_f64 v[102:103], v[8:9], v[80:81], v[106:107]
	v_fma_f64 v[80:81], v[6:7], v[80:81], -v[82:83]
	ds_load_b128 v[6:9], v1 offset:656
	v_fma_f64 v[82:83], v[98:99], v[84:85], v[100:101]
	v_fma_f64 v[84:85], v[96:97], v[84:85], -v[86:87]
	v_add_f64 v[2:3], v[2:3], v[76:77]
	v_add_f64 v[10:11], v[78:79], v[10:11]
	s_waitcnt vmcnt(1) lgkmcnt(0)
	v_mul_f64 v[76:77], v[6:7], v[90:91]
	v_mul_f64 v[78:79], v[8:9], v[90:91]
	s_delay_alu instid0(VALU_DEP_4) | instskip(NEXT) | instid1(VALU_DEP_4)
	v_add_f64 v[2:3], v[2:3], v[80:81]
	v_add_f64 v[10:11], v[10:11], v[102:103]
	s_delay_alu instid0(VALU_DEP_4) | instskip(NEXT) | instid1(VALU_DEP_4)
	v_fma_f64 v[8:9], v[8:9], v[88:89], v[76:77]
	v_fma_f64 v[6:7], v[6:7], v[88:89], -v[78:79]
	s_delay_alu instid0(VALU_DEP_4) | instskip(NEXT) | instid1(VALU_DEP_4)
	v_add_f64 v[2:3], v[2:3], v[84:85]
	v_add_f64 v[10:11], v[10:11], v[82:83]
	s_delay_alu instid0(VALU_DEP_2) | instskip(NEXT) | instid1(VALU_DEP_2)
	v_add_f64 v[2:3], v[2:3], v[6:7]
	v_add_f64 v[8:9], v[10:11], v[8:9]
	s_waitcnt vmcnt(0)
	s_delay_alu instid0(VALU_DEP_2) | instskip(NEXT) | instid1(VALU_DEP_2)
	v_add_f64 v[6:7], v[92:93], -v[2:3]
	v_add_f64 v[8:9], v[94:95], -v[8:9]
	scratch_store_b128 off, v[6:9], off offset:240
	v_cmpx_lt_u32_e32 14, v55
	s_cbranch_execz .LBB84_111
; %bb.110:
	scratch_load_b128 v[6:9], v70, off
	v_mov_b32_e32 v2, v1
	v_mov_b32_e32 v3, v1
	;; [unrolled: 1-line block ×3, first 2 shown]
	scratch_store_b128 off, v[1:4], off offset:224
	s_waitcnt vmcnt(0)
	ds_store_b128 v5, v[6:9]
.LBB84_111:
	s_or_b32 exec_lo, exec_lo, s2
	s_waitcnt lgkmcnt(0)
	s_waitcnt_vscnt null, 0x0
	s_barrier
	buffer_gl0_inv
	s_clause 0x5
	scratch_load_b128 v[6:9], off, off offset:240
	scratch_load_b128 v[76:79], off, off offset:256
	;; [unrolled: 1-line block ×6, first 2 shown]
	ds_load_b128 v[96:99], v1 offset:576
	ds_load_b128 v[104:107], v1 offset:592
	scratch_load_b128 v[100:103], off, off offset:224
	s_mov_b32 s2, exec_lo
	s_waitcnt vmcnt(6) lgkmcnt(1)
	v_mul_f64 v[2:3], v[98:99], v[8:9]
	v_mul_f64 v[8:9], v[96:97], v[8:9]
	s_waitcnt vmcnt(5) lgkmcnt(0)
	v_mul_f64 v[10:11], v[104:105], v[78:79]
	v_mul_f64 v[78:79], v[106:107], v[78:79]
	s_delay_alu instid0(VALU_DEP_4) | instskip(NEXT) | instid1(VALU_DEP_4)
	v_fma_f64 v[2:3], v[96:97], v[6:7], -v[2:3]
	v_fma_f64 v[108:109], v[98:99], v[6:7], v[8:9]
	ds_load_b128 v[6:9], v1 offset:608
	ds_load_b128 v[96:99], v1 offset:624
	v_fma_f64 v[10:11], v[106:107], v[76:77], v[10:11]
	v_fma_f64 v[76:77], v[104:105], v[76:77], -v[78:79]
	s_waitcnt vmcnt(4) lgkmcnt(1)
	v_mul_f64 v[110:111], v[6:7], v[82:83]
	v_mul_f64 v[82:83], v[8:9], v[82:83]
	s_waitcnt vmcnt(3) lgkmcnt(0)
	v_mul_f64 v[104:105], v[96:97], v[86:87]
	v_mul_f64 v[86:87], v[98:99], v[86:87]
	v_add_f64 v[2:3], v[2:3], 0
	v_add_f64 v[78:79], v[108:109], 0
	v_fma_f64 v[106:107], v[8:9], v[80:81], v[110:111]
	v_fma_f64 v[80:81], v[6:7], v[80:81], -v[82:83]
	s_delay_alu instid0(VALU_DEP_4) | instskip(NEXT) | instid1(VALU_DEP_4)
	v_add_f64 v[76:77], v[2:3], v[76:77]
	v_add_f64 v[10:11], v[78:79], v[10:11]
	ds_load_b128 v[6:9], v1 offset:640
	ds_load_b128 v[1:4], v1 offset:656
	s_waitcnt vmcnt(2) lgkmcnt(1)
	v_mul_f64 v[78:79], v[6:7], v[90:91]
	v_mul_f64 v[82:83], v[8:9], v[90:91]
	v_fma_f64 v[90:91], v[98:99], v[84:85], v[104:105]
	v_fma_f64 v[84:85], v[96:97], v[84:85], -v[86:87]
	s_waitcnt vmcnt(1) lgkmcnt(0)
	v_mul_f64 v[86:87], v[3:4], v[94:95]
	v_add_f64 v[76:77], v[76:77], v[80:81]
	v_add_f64 v[10:11], v[10:11], v[106:107]
	v_mul_f64 v[80:81], v[1:2], v[94:95]
	v_fma_f64 v[8:9], v[8:9], v[88:89], v[78:79]
	v_fma_f64 v[6:7], v[6:7], v[88:89], -v[82:83]
	v_fma_f64 v[1:2], v[1:2], v[92:93], -v[86:87]
	v_add_f64 v[76:77], v[76:77], v[84:85]
	v_add_f64 v[10:11], v[10:11], v[90:91]
	v_fma_f64 v[3:4], v[3:4], v[92:93], v[80:81]
	s_delay_alu instid0(VALU_DEP_3) | instskip(NEXT) | instid1(VALU_DEP_3)
	v_add_f64 v[6:7], v[76:77], v[6:7]
	v_add_f64 v[8:9], v[10:11], v[8:9]
	s_delay_alu instid0(VALU_DEP_2) | instskip(NEXT) | instid1(VALU_DEP_2)
	v_add_f64 v[1:2], v[6:7], v[1:2]
	v_add_f64 v[3:4], v[8:9], v[3:4]
	s_waitcnt vmcnt(0)
	s_delay_alu instid0(VALU_DEP_2) | instskip(NEXT) | instid1(VALU_DEP_2)
	v_add_f64 v[1:2], v[100:101], -v[1:2]
	v_add_f64 v[3:4], v[102:103], -v[3:4]
	scratch_store_b128 off, v[1:4], off offset:224
	v_cmpx_lt_u32_e32 13, v55
	s_cbranch_execz .LBB84_113
; %bb.112:
	scratch_load_b128 v[1:4], v67, off
	v_mov_b32_e32 v6, 0
	s_delay_alu instid0(VALU_DEP_1)
	v_mov_b32_e32 v7, v6
	v_mov_b32_e32 v8, v6
	;; [unrolled: 1-line block ×3, first 2 shown]
	scratch_store_b128 off, v[6:9], off offset:208
	s_waitcnt vmcnt(0)
	ds_store_b128 v5, v[1:4]
.LBB84_113:
	s_or_b32 exec_lo, exec_lo, s2
	s_waitcnt lgkmcnt(0)
	s_waitcnt_vscnt null, 0x0
	s_barrier
	buffer_gl0_inv
	s_clause 0x6
	scratch_load_b128 v[6:9], off, off offset:224
	scratch_load_b128 v[76:79], off, off offset:240
	;; [unrolled: 1-line block ×7, first 2 shown]
	v_mov_b32_e32 v1, 0
	scratch_load_b128 v[104:107], off, off offset:208
	s_mov_b32 s2, exec_lo
	ds_load_b128 v[100:103], v1 offset:560
	ds_load_b128 v[108:111], v1 offset:576
	s_waitcnt vmcnt(7) lgkmcnt(1)
	v_mul_f64 v[2:3], v[102:103], v[8:9]
	v_mul_f64 v[8:9], v[100:101], v[8:9]
	s_waitcnt vmcnt(6) lgkmcnt(0)
	v_mul_f64 v[10:11], v[108:109], v[78:79]
	v_mul_f64 v[78:79], v[110:111], v[78:79]
	s_delay_alu instid0(VALU_DEP_4) | instskip(NEXT) | instid1(VALU_DEP_4)
	v_fma_f64 v[2:3], v[100:101], v[6:7], -v[2:3]
	v_fma_f64 v[112:113], v[102:103], v[6:7], v[8:9]
	ds_load_b128 v[6:9], v1 offset:592
	ds_load_b128 v[100:103], v1 offset:608
	v_fma_f64 v[10:11], v[110:111], v[76:77], v[10:11]
	v_fma_f64 v[76:77], v[108:109], v[76:77], -v[78:79]
	s_waitcnt vmcnt(5) lgkmcnt(1)
	v_mul_f64 v[114:115], v[6:7], v[82:83]
	v_mul_f64 v[82:83], v[8:9], v[82:83]
	s_waitcnt vmcnt(4) lgkmcnt(0)
	v_mul_f64 v[108:109], v[100:101], v[86:87]
	v_mul_f64 v[86:87], v[102:103], v[86:87]
	v_add_f64 v[2:3], v[2:3], 0
	v_add_f64 v[78:79], v[112:113], 0
	v_fma_f64 v[110:111], v[8:9], v[80:81], v[114:115]
	v_fma_f64 v[80:81], v[6:7], v[80:81], -v[82:83]
	v_fma_f64 v[102:103], v[102:103], v[84:85], v[108:109]
	v_fma_f64 v[84:85], v[100:101], v[84:85], -v[86:87]
	v_add_f64 v[2:3], v[2:3], v[76:77]
	v_add_f64 v[10:11], v[78:79], v[10:11]
	ds_load_b128 v[6:9], v1 offset:624
	ds_load_b128 v[76:79], v1 offset:640
	s_waitcnt vmcnt(3) lgkmcnt(1)
	v_mul_f64 v[82:83], v[6:7], v[90:91]
	v_mul_f64 v[90:91], v[8:9], v[90:91]
	s_waitcnt vmcnt(2) lgkmcnt(0)
	v_mul_f64 v[86:87], v[78:79], v[94:95]
	v_add_f64 v[2:3], v[2:3], v[80:81]
	v_add_f64 v[10:11], v[10:11], v[110:111]
	v_mul_f64 v[80:81], v[76:77], v[94:95]
	v_fma_f64 v[82:83], v[8:9], v[88:89], v[82:83]
	v_fma_f64 v[88:89], v[6:7], v[88:89], -v[90:91]
	ds_load_b128 v[6:9], v1 offset:656
	v_fma_f64 v[76:77], v[76:77], v[92:93], -v[86:87]
	v_add_f64 v[2:3], v[2:3], v[84:85]
	v_add_f64 v[10:11], v[10:11], v[102:103]
	v_fma_f64 v[78:79], v[78:79], v[92:93], v[80:81]
	s_waitcnt vmcnt(1) lgkmcnt(0)
	v_mul_f64 v[84:85], v[6:7], v[98:99]
	v_mul_f64 v[90:91], v[8:9], v[98:99]
	v_add_f64 v[2:3], v[2:3], v[88:89]
	v_add_f64 v[10:11], v[10:11], v[82:83]
	s_delay_alu instid0(VALU_DEP_4) | instskip(NEXT) | instid1(VALU_DEP_4)
	v_fma_f64 v[8:9], v[8:9], v[96:97], v[84:85]
	v_fma_f64 v[6:7], v[6:7], v[96:97], -v[90:91]
	s_delay_alu instid0(VALU_DEP_4) | instskip(NEXT) | instid1(VALU_DEP_4)
	v_add_f64 v[2:3], v[2:3], v[76:77]
	v_add_f64 v[10:11], v[10:11], v[78:79]
	s_delay_alu instid0(VALU_DEP_2) | instskip(NEXT) | instid1(VALU_DEP_2)
	v_add_f64 v[2:3], v[2:3], v[6:7]
	v_add_f64 v[8:9], v[10:11], v[8:9]
	s_waitcnt vmcnt(0)
	s_delay_alu instid0(VALU_DEP_2) | instskip(NEXT) | instid1(VALU_DEP_2)
	v_add_f64 v[6:7], v[104:105], -v[2:3]
	v_add_f64 v[8:9], v[106:107], -v[8:9]
	scratch_store_b128 off, v[6:9], off offset:208
	v_cmpx_lt_u32_e32 12, v55
	s_cbranch_execz .LBB84_115
; %bb.114:
	scratch_load_b128 v[6:9], v68, off
	v_mov_b32_e32 v2, v1
	v_mov_b32_e32 v3, v1
	;; [unrolled: 1-line block ×3, first 2 shown]
	scratch_store_b128 off, v[1:4], off offset:192
	s_waitcnt vmcnt(0)
	ds_store_b128 v5, v[6:9]
.LBB84_115:
	s_or_b32 exec_lo, exec_lo, s2
	s_waitcnt lgkmcnt(0)
	s_waitcnt_vscnt null, 0x0
	s_barrier
	buffer_gl0_inv
	s_clause 0x7
	scratch_load_b128 v[6:9], off, off offset:208
	scratch_load_b128 v[76:79], off, off offset:224
	;; [unrolled: 1-line block ×8, first 2 shown]
	ds_load_b128 v[104:107], v1 offset:544
	ds_load_b128 v[108:111], v1 offset:560
	scratch_load_b128 v[112:115], off, off offset:192
	s_mov_b32 s2, exec_lo
	s_waitcnt vmcnt(8) lgkmcnt(1)
	v_mul_f64 v[2:3], v[106:107], v[8:9]
	v_mul_f64 v[8:9], v[104:105], v[8:9]
	s_waitcnt vmcnt(7) lgkmcnt(0)
	v_mul_f64 v[10:11], v[108:109], v[78:79]
	v_mul_f64 v[78:79], v[110:111], v[78:79]
	s_delay_alu instid0(VALU_DEP_4) | instskip(NEXT) | instid1(VALU_DEP_4)
	v_fma_f64 v[2:3], v[104:105], v[6:7], -v[2:3]
	v_fma_f64 v[116:117], v[106:107], v[6:7], v[8:9]
	ds_load_b128 v[6:9], v1 offset:576
	ds_load_b128 v[104:107], v1 offset:592
	v_fma_f64 v[10:11], v[110:111], v[76:77], v[10:11]
	v_fma_f64 v[76:77], v[108:109], v[76:77], -v[78:79]
	s_waitcnt vmcnt(6) lgkmcnt(1)
	v_mul_f64 v[118:119], v[6:7], v[82:83]
	v_mul_f64 v[82:83], v[8:9], v[82:83]
	s_waitcnt vmcnt(5) lgkmcnt(0)
	v_mul_f64 v[108:109], v[104:105], v[86:87]
	v_mul_f64 v[86:87], v[106:107], v[86:87]
	v_add_f64 v[2:3], v[2:3], 0
	v_add_f64 v[78:79], v[116:117], 0
	v_fma_f64 v[110:111], v[8:9], v[80:81], v[118:119]
	v_fma_f64 v[80:81], v[6:7], v[80:81], -v[82:83]
	v_fma_f64 v[106:107], v[106:107], v[84:85], v[108:109]
	v_fma_f64 v[84:85], v[104:105], v[84:85], -v[86:87]
	v_add_f64 v[2:3], v[2:3], v[76:77]
	v_add_f64 v[10:11], v[78:79], v[10:11]
	ds_load_b128 v[6:9], v1 offset:608
	ds_load_b128 v[76:79], v1 offset:624
	s_waitcnt vmcnt(4) lgkmcnt(1)
	v_mul_f64 v[82:83], v[6:7], v[90:91]
	v_mul_f64 v[90:91], v[8:9], v[90:91]
	s_waitcnt vmcnt(3) lgkmcnt(0)
	v_mul_f64 v[86:87], v[78:79], v[94:95]
	v_add_f64 v[2:3], v[2:3], v[80:81]
	v_add_f64 v[10:11], v[10:11], v[110:111]
	v_mul_f64 v[80:81], v[76:77], v[94:95]
	v_fma_f64 v[82:83], v[8:9], v[88:89], v[82:83]
	v_fma_f64 v[88:89], v[6:7], v[88:89], -v[90:91]
	v_fma_f64 v[76:77], v[76:77], v[92:93], -v[86:87]
	v_add_f64 v[84:85], v[2:3], v[84:85]
	v_add_f64 v[10:11], v[10:11], v[106:107]
	ds_load_b128 v[6:9], v1 offset:640
	ds_load_b128 v[1:4], v1 offset:656
	v_fma_f64 v[78:79], v[78:79], v[92:93], v[80:81]
	s_waitcnt vmcnt(2) lgkmcnt(1)
	v_mul_f64 v[90:91], v[6:7], v[98:99]
	v_mul_f64 v[94:95], v[8:9], v[98:99]
	v_add_f64 v[80:81], v[84:85], v[88:89]
	v_add_f64 v[10:11], v[10:11], v[82:83]
	s_waitcnt vmcnt(1) lgkmcnt(0)
	v_mul_f64 v[82:83], v[1:2], v[102:103]
	v_mul_f64 v[84:85], v[3:4], v[102:103]
	v_fma_f64 v[8:9], v[8:9], v[96:97], v[90:91]
	v_fma_f64 v[6:7], v[6:7], v[96:97], -v[94:95]
	v_add_f64 v[76:77], v[80:81], v[76:77]
	v_add_f64 v[10:11], v[10:11], v[78:79]
	v_fma_f64 v[3:4], v[3:4], v[100:101], v[82:83]
	v_fma_f64 v[1:2], v[1:2], v[100:101], -v[84:85]
	s_delay_alu instid0(VALU_DEP_4) | instskip(NEXT) | instid1(VALU_DEP_4)
	v_add_f64 v[6:7], v[76:77], v[6:7]
	v_add_f64 v[8:9], v[10:11], v[8:9]
	s_delay_alu instid0(VALU_DEP_2) | instskip(NEXT) | instid1(VALU_DEP_2)
	v_add_f64 v[1:2], v[6:7], v[1:2]
	v_add_f64 v[3:4], v[8:9], v[3:4]
	s_waitcnt vmcnt(0)
	s_delay_alu instid0(VALU_DEP_2) | instskip(NEXT) | instid1(VALU_DEP_2)
	v_add_f64 v[1:2], v[112:113], -v[1:2]
	v_add_f64 v[3:4], v[114:115], -v[3:4]
	scratch_store_b128 off, v[1:4], off offset:192
	v_cmpx_lt_u32_e32 11, v55
	s_cbranch_execz .LBB84_117
; %bb.116:
	scratch_load_b128 v[1:4], v65, off
	v_mov_b32_e32 v6, 0
	s_delay_alu instid0(VALU_DEP_1)
	v_mov_b32_e32 v7, v6
	v_mov_b32_e32 v8, v6
	;; [unrolled: 1-line block ×3, first 2 shown]
	scratch_store_b128 off, v[6:9], off offset:176
	s_waitcnt vmcnt(0)
	ds_store_b128 v5, v[1:4]
.LBB84_117:
	s_or_b32 exec_lo, exec_lo, s2
	s_waitcnt lgkmcnt(0)
	s_waitcnt_vscnt null, 0x0
	s_barrier
	buffer_gl0_inv
	s_clause 0x7
	scratch_load_b128 v[6:9], off, off offset:192
	scratch_load_b128 v[76:79], off, off offset:208
	;; [unrolled: 1-line block ×8, first 2 shown]
	v_mov_b32_e32 v1, 0
	scratch_load_b128 v[108:111], off, off offset:320
	s_mov_b32 s2, exec_lo
	ds_load_b128 v[104:107], v1 offset:528
	s_waitcnt vmcnt(8) lgkmcnt(0)
	v_mul_f64 v[2:3], v[106:107], v[8:9]
	v_mul_f64 v[112:113], v[104:105], v[8:9]
	ds_load_b128 v[8:11], v1 offset:544
	v_fma_f64 v[2:3], v[104:105], v[6:7], -v[2:3]
	v_fma_f64 v[6:7], v[106:107], v[6:7], v[112:113]
	ds_load_b128 v[104:107], v1 offset:560
	s_waitcnt vmcnt(7) lgkmcnt(1)
	v_mul_f64 v[114:115], v[8:9], v[78:79]
	v_mul_f64 v[78:79], v[10:11], v[78:79]
	s_waitcnt vmcnt(6) lgkmcnt(0)
	v_mul_f64 v[112:113], v[104:105], v[82:83]
	v_mul_f64 v[82:83], v[106:107], v[82:83]
	v_add_f64 v[2:3], v[2:3], 0
	v_add_f64 v[116:117], v[6:7], 0
	v_fma_f64 v[10:11], v[10:11], v[76:77], v[114:115]
	v_fma_f64 v[114:115], v[8:9], v[76:77], -v[78:79]
	ds_load_b128 v[6:9], v1 offset:576
	scratch_load_b128 v[76:79], off, off offset:176
	v_fma_f64 v[106:107], v[106:107], v[80:81], v[112:113]
	v_fma_f64 v[104:105], v[104:105], v[80:81], -v[82:83]
	ds_load_b128 v[80:83], v1 offset:592
	s_waitcnt vmcnt(6) lgkmcnt(1)
	v_mul_f64 v[118:119], v[6:7], v[86:87]
	v_mul_f64 v[86:87], v[8:9], v[86:87]
	v_add_f64 v[10:11], v[116:117], v[10:11]
	v_add_f64 v[2:3], v[2:3], v[114:115]
	s_waitcnt vmcnt(5) lgkmcnt(0)
	v_mul_f64 v[112:113], v[80:81], v[90:91]
	v_mul_f64 v[90:91], v[82:83], v[90:91]
	v_fma_f64 v[114:115], v[8:9], v[84:85], v[118:119]
	v_fma_f64 v[84:85], v[6:7], v[84:85], -v[86:87]
	ds_load_b128 v[6:9], v1 offset:608
	v_add_f64 v[10:11], v[10:11], v[106:107]
	v_add_f64 v[2:3], v[2:3], v[104:105]
	v_fma_f64 v[104:105], v[82:83], v[88:89], v[112:113]
	v_fma_f64 v[88:89], v[80:81], v[88:89], -v[90:91]
	ds_load_b128 v[80:83], v1 offset:624
	s_waitcnt vmcnt(4) lgkmcnt(1)
	v_mul_f64 v[86:87], v[6:7], v[94:95]
	v_mul_f64 v[94:95], v[8:9], v[94:95]
	s_waitcnt vmcnt(3) lgkmcnt(0)
	v_mul_f64 v[90:91], v[82:83], v[98:99]
	v_add_f64 v[10:11], v[10:11], v[114:115]
	v_add_f64 v[2:3], v[2:3], v[84:85]
	v_mul_f64 v[84:85], v[80:81], v[98:99]
	v_fma_f64 v[86:87], v[8:9], v[92:93], v[86:87]
	v_fma_f64 v[92:93], v[6:7], v[92:93], -v[94:95]
	ds_load_b128 v[6:9], v1 offset:640
	v_fma_f64 v[90:91], v[80:81], v[96:97], -v[90:91]
	v_add_f64 v[10:11], v[10:11], v[104:105]
	v_add_f64 v[2:3], v[2:3], v[88:89]
	v_fma_f64 v[84:85], v[82:83], v[96:97], v[84:85]
	ds_load_b128 v[80:83], v1 offset:656
	s_waitcnt vmcnt(2) lgkmcnt(1)
	v_mul_f64 v[88:89], v[6:7], v[102:103]
	v_mul_f64 v[94:95], v[8:9], v[102:103]
	v_add_f64 v[10:11], v[10:11], v[86:87]
	v_add_f64 v[2:3], v[2:3], v[92:93]
	s_waitcnt vmcnt(1) lgkmcnt(0)
	v_mul_f64 v[86:87], v[80:81], v[110:111]
	v_mul_f64 v[92:93], v[82:83], v[110:111]
	v_fma_f64 v[8:9], v[8:9], v[100:101], v[88:89]
	v_fma_f64 v[6:7], v[6:7], v[100:101], -v[94:95]
	v_add_f64 v[10:11], v[10:11], v[84:85]
	v_add_f64 v[2:3], v[2:3], v[90:91]
	v_fma_f64 v[82:83], v[82:83], v[108:109], v[86:87]
	v_fma_f64 v[80:81], v[80:81], v[108:109], -v[92:93]
	s_delay_alu instid0(VALU_DEP_3) | instskip(SKIP_1) | instid1(VALU_DEP_2)
	v_add_f64 v[2:3], v[2:3], v[6:7]
	v_add_f64 v[6:7], v[10:11], v[8:9]
	;; [unrolled: 1-line block ×3, first 2 shown]
	s_delay_alu instid0(VALU_DEP_2) | instskip(SKIP_1) | instid1(VALU_DEP_2)
	v_add_f64 v[8:9], v[6:7], v[82:83]
	s_waitcnt vmcnt(0)
	v_add_f64 v[6:7], v[76:77], -v[2:3]
	s_delay_alu instid0(VALU_DEP_2)
	v_add_f64 v[8:9], v[78:79], -v[8:9]
	scratch_store_b128 off, v[6:9], off offset:176
	v_cmpx_lt_u32_e32 10, v55
	s_cbranch_execz .LBB84_119
; %bb.118:
	scratch_load_b128 v[6:9], v63, off
	v_mov_b32_e32 v2, v1
	v_mov_b32_e32 v3, v1
	;; [unrolled: 1-line block ×3, first 2 shown]
	scratch_store_b128 off, v[1:4], off offset:160
	s_waitcnt vmcnt(0)
	ds_store_b128 v5, v[6:9]
.LBB84_119:
	s_or_b32 exec_lo, exec_lo, s2
	s_waitcnt lgkmcnt(0)
	s_waitcnt_vscnt null, 0x0
	s_barrier
	buffer_gl0_inv
	s_clause 0x7
	scratch_load_b128 v[6:9], off, off offset:176
	scratch_load_b128 v[76:79], off, off offset:192
	;; [unrolled: 1-line block ×8, first 2 shown]
	ds_load_b128 v[104:107], v1 offset:512
	s_clause 0x1
	scratch_load_b128 v[108:111], off, off offset:304
	scratch_load_b128 v[112:115], off, off offset:320
	s_mov_b32 s2, exec_lo
	s_waitcnt vmcnt(9) lgkmcnt(0)
	v_mul_f64 v[2:3], v[106:107], v[8:9]
	v_mul_f64 v[116:117], v[104:105], v[8:9]
	ds_load_b128 v[8:11], v1 offset:528
	v_fma_f64 v[2:3], v[104:105], v[6:7], -v[2:3]
	v_fma_f64 v[6:7], v[106:107], v[6:7], v[116:117]
	ds_load_b128 v[104:107], v1 offset:544
	s_waitcnt vmcnt(8) lgkmcnt(1)
	v_mul_f64 v[118:119], v[8:9], v[78:79]
	v_mul_f64 v[78:79], v[10:11], v[78:79]
	s_waitcnt vmcnt(7) lgkmcnt(0)
	v_mul_f64 v[116:117], v[104:105], v[82:83]
	v_mul_f64 v[82:83], v[106:107], v[82:83]
	v_add_f64 v[2:3], v[2:3], 0
	v_fma_f64 v[10:11], v[10:11], v[76:77], v[118:119]
	v_fma_f64 v[76:77], v[8:9], v[76:77], -v[78:79]
	v_add_f64 v[78:79], v[6:7], 0
	ds_load_b128 v[6:9], v1 offset:560
	v_fma_f64 v[106:107], v[106:107], v[80:81], v[116:117]
	v_fma_f64 v[104:105], v[104:105], v[80:81], -v[82:83]
	scratch_load_b128 v[80:83], off, off offset:160
	v_add_f64 v[2:3], v[2:3], v[76:77]
	v_add_f64 v[10:11], v[78:79], v[10:11]
	ds_load_b128 v[76:79], v1 offset:576
	s_waitcnt vmcnt(7) lgkmcnt(1)
	v_mul_f64 v[118:119], v[6:7], v[86:87]
	v_mul_f64 v[86:87], v[8:9], v[86:87]
	s_waitcnt vmcnt(6) lgkmcnt(0)
	v_mul_f64 v[116:117], v[76:77], v[90:91]
	v_mul_f64 v[90:91], v[78:79], v[90:91]
	v_add_f64 v[2:3], v[2:3], v[104:105]
	v_add_f64 v[10:11], v[10:11], v[106:107]
	v_fma_f64 v[118:119], v[8:9], v[84:85], v[118:119]
	v_fma_f64 v[84:85], v[6:7], v[84:85], -v[86:87]
	ds_load_b128 v[6:9], v1 offset:592
	v_fma_f64 v[104:105], v[78:79], v[88:89], v[116:117]
	v_fma_f64 v[88:89], v[76:77], v[88:89], -v[90:91]
	ds_load_b128 v[76:79], v1 offset:608
	s_waitcnt vmcnt(5) lgkmcnt(1)
	v_mul_f64 v[86:87], v[6:7], v[94:95]
	v_mul_f64 v[94:95], v[8:9], v[94:95]
	v_add_f64 v[10:11], v[10:11], v[118:119]
	v_add_f64 v[2:3], v[2:3], v[84:85]
	s_waitcnt vmcnt(4) lgkmcnt(0)
	v_mul_f64 v[84:85], v[76:77], v[98:99]
	v_mul_f64 v[90:91], v[78:79], v[98:99]
	v_fma_f64 v[86:87], v[8:9], v[92:93], v[86:87]
	v_fma_f64 v[92:93], v[6:7], v[92:93], -v[94:95]
	ds_load_b128 v[6:9], v1 offset:624
	v_add_f64 v[10:11], v[10:11], v[104:105]
	v_add_f64 v[2:3], v[2:3], v[88:89]
	v_fma_f64 v[84:85], v[78:79], v[96:97], v[84:85]
	v_fma_f64 v[90:91], v[76:77], v[96:97], -v[90:91]
	ds_load_b128 v[76:79], v1 offset:640
	s_waitcnt vmcnt(3) lgkmcnt(1)
	v_mul_f64 v[88:89], v[6:7], v[102:103]
	v_mul_f64 v[94:95], v[8:9], v[102:103]
	v_add_f64 v[10:11], v[10:11], v[86:87]
	v_add_f64 v[2:3], v[2:3], v[92:93]
	s_waitcnt vmcnt(2) lgkmcnt(0)
	v_mul_f64 v[86:87], v[76:77], v[110:111]
	v_mul_f64 v[92:93], v[78:79], v[110:111]
	v_fma_f64 v[8:9], v[8:9], v[100:101], v[88:89]
	v_fma_f64 v[6:7], v[6:7], v[100:101], -v[94:95]
	v_add_f64 v[10:11], v[10:11], v[84:85]
	v_add_f64 v[88:89], v[2:3], v[90:91]
	ds_load_b128 v[1:4], v1 offset:656
	v_fma_f64 v[78:79], v[78:79], v[108:109], v[86:87]
	v_fma_f64 v[76:77], v[76:77], v[108:109], -v[92:93]
	s_waitcnt vmcnt(1) lgkmcnt(0)
	v_mul_f64 v[84:85], v[1:2], v[114:115]
	v_mul_f64 v[90:91], v[3:4], v[114:115]
	v_add_f64 v[8:9], v[10:11], v[8:9]
	v_add_f64 v[6:7], v[88:89], v[6:7]
	s_delay_alu instid0(VALU_DEP_4) | instskip(NEXT) | instid1(VALU_DEP_4)
	v_fma_f64 v[3:4], v[3:4], v[112:113], v[84:85]
	v_fma_f64 v[1:2], v[1:2], v[112:113], -v[90:91]
	s_delay_alu instid0(VALU_DEP_4) | instskip(NEXT) | instid1(VALU_DEP_4)
	v_add_f64 v[8:9], v[8:9], v[78:79]
	v_add_f64 v[6:7], v[6:7], v[76:77]
	s_delay_alu instid0(VALU_DEP_2) | instskip(NEXT) | instid1(VALU_DEP_2)
	v_add_f64 v[3:4], v[8:9], v[3:4]
	v_add_f64 v[1:2], v[6:7], v[1:2]
	s_waitcnt vmcnt(0)
	s_delay_alu instid0(VALU_DEP_2) | instskip(NEXT) | instid1(VALU_DEP_2)
	v_add_f64 v[3:4], v[82:83], -v[3:4]
	v_add_f64 v[1:2], v[80:81], -v[1:2]
	scratch_store_b128 off, v[1:4], off offset:160
	v_cmpx_lt_u32_e32 9, v55
	s_cbranch_execz .LBB84_121
; %bb.120:
	scratch_load_b128 v[1:4], v66, off
	v_mov_b32_e32 v6, 0
	s_delay_alu instid0(VALU_DEP_1)
	v_mov_b32_e32 v7, v6
	v_mov_b32_e32 v8, v6
	;; [unrolled: 1-line block ×3, first 2 shown]
	scratch_store_b128 off, v[6:9], off offset:144
	s_waitcnt vmcnt(0)
	ds_store_b128 v5, v[1:4]
.LBB84_121:
	s_or_b32 exec_lo, exec_lo, s2
	s_waitcnt lgkmcnt(0)
	s_waitcnt_vscnt null, 0x0
	s_barrier
	buffer_gl0_inv
	s_clause 0x7
	scratch_load_b128 v[6:9], off, off offset:160
	scratch_load_b128 v[76:79], off, off offset:176
	;; [unrolled: 1-line block ×8, first 2 shown]
	v_mov_b32_e32 v1, 0
	s_clause 0x1
	scratch_load_b128 v[108:111], off, off offset:288
	scratch_load_b128 v[112:115], off, off offset:304
	s_mov_b32 s2, exec_lo
	ds_load_b128 v[104:107], v1 offset:496
	s_waitcnt vmcnt(9) lgkmcnt(0)
	v_mul_f64 v[2:3], v[106:107], v[8:9]
	v_mul_f64 v[116:117], v[104:105], v[8:9]
	ds_load_b128 v[8:11], v1 offset:512
	v_fma_f64 v[2:3], v[104:105], v[6:7], -v[2:3]
	v_fma_f64 v[6:7], v[106:107], v[6:7], v[116:117]
	ds_load_b128 v[104:107], v1 offset:528
	s_waitcnt vmcnt(8) lgkmcnt(1)
	v_mul_f64 v[120:121], v[8:9], v[78:79]
	v_mul_f64 v[78:79], v[10:11], v[78:79]
	scratch_load_b128 v[116:119], off, off offset:320
	s_waitcnt vmcnt(8) lgkmcnt(0)
	v_mul_f64 v[122:123], v[104:105], v[82:83]
	v_mul_f64 v[82:83], v[106:107], v[82:83]
	v_add_f64 v[2:3], v[2:3], 0
	v_fma_f64 v[10:11], v[10:11], v[76:77], v[120:121]
	v_fma_f64 v[76:77], v[8:9], v[76:77], -v[78:79]
	v_add_f64 v[78:79], v[6:7], 0
	ds_load_b128 v[6:9], v1 offset:544
	v_fma_f64 v[106:107], v[106:107], v[80:81], v[122:123]
	v_fma_f64 v[80:81], v[104:105], v[80:81], -v[82:83]
	v_add_f64 v[2:3], v[2:3], v[76:77]
	v_add_f64 v[10:11], v[78:79], v[10:11]
	ds_load_b128 v[76:79], v1 offset:560
	s_waitcnt vmcnt(7) lgkmcnt(1)
	v_mul_f64 v[120:121], v[6:7], v[86:87]
	v_mul_f64 v[86:87], v[8:9], v[86:87]
	s_waitcnt vmcnt(6) lgkmcnt(0)
	v_mul_f64 v[104:105], v[76:77], v[90:91]
	v_mul_f64 v[90:91], v[78:79], v[90:91]
	v_add_f64 v[2:3], v[2:3], v[80:81]
	v_add_f64 v[10:11], v[10:11], v[106:107]
	scratch_load_b128 v[80:83], off, off offset:144
	v_fma_f64 v[120:121], v[8:9], v[84:85], v[120:121]
	v_fma_f64 v[84:85], v[6:7], v[84:85], -v[86:87]
	ds_load_b128 v[6:9], v1 offset:576
	v_fma_f64 v[104:105], v[78:79], v[88:89], v[104:105]
	v_fma_f64 v[88:89], v[76:77], v[88:89], -v[90:91]
	ds_load_b128 v[76:79], v1 offset:592
	s_waitcnt vmcnt(6) lgkmcnt(1)
	v_mul_f64 v[86:87], v[6:7], v[94:95]
	v_mul_f64 v[94:95], v[8:9], v[94:95]
	v_add_f64 v[10:11], v[10:11], v[120:121]
	v_add_f64 v[2:3], v[2:3], v[84:85]
	s_waitcnt vmcnt(5) lgkmcnt(0)
	v_mul_f64 v[84:85], v[76:77], v[98:99]
	v_mul_f64 v[90:91], v[78:79], v[98:99]
	v_fma_f64 v[86:87], v[8:9], v[92:93], v[86:87]
	v_fma_f64 v[92:93], v[6:7], v[92:93], -v[94:95]
	ds_load_b128 v[6:9], v1 offset:608
	v_add_f64 v[10:11], v[10:11], v[104:105]
	v_add_f64 v[2:3], v[2:3], v[88:89]
	v_fma_f64 v[84:85], v[78:79], v[96:97], v[84:85]
	v_fma_f64 v[90:91], v[76:77], v[96:97], -v[90:91]
	ds_load_b128 v[76:79], v1 offset:624
	s_waitcnt vmcnt(4) lgkmcnt(1)
	v_mul_f64 v[88:89], v[6:7], v[102:103]
	v_mul_f64 v[94:95], v[8:9], v[102:103]
	v_add_f64 v[10:11], v[10:11], v[86:87]
	v_add_f64 v[2:3], v[2:3], v[92:93]
	s_waitcnt vmcnt(3) lgkmcnt(0)
	v_mul_f64 v[86:87], v[76:77], v[110:111]
	v_mul_f64 v[92:93], v[78:79], v[110:111]
	v_fma_f64 v[88:89], v[8:9], v[100:101], v[88:89]
	v_fma_f64 v[94:95], v[6:7], v[100:101], -v[94:95]
	ds_load_b128 v[6:9], v1 offset:640
	v_add_f64 v[10:11], v[10:11], v[84:85]
	v_add_f64 v[2:3], v[2:3], v[90:91]
	v_fma_f64 v[86:87], v[78:79], v[108:109], v[86:87]
	v_fma_f64 v[92:93], v[76:77], v[108:109], -v[92:93]
	ds_load_b128 v[76:79], v1 offset:656
	s_waitcnt vmcnt(2) lgkmcnt(1)
	v_mul_f64 v[84:85], v[6:7], v[114:115]
	v_mul_f64 v[90:91], v[8:9], v[114:115]
	v_add_f64 v[10:11], v[10:11], v[88:89]
	v_add_f64 v[2:3], v[2:3], v[94:95]
	s_delay_alu instid0(VALU_DEP_4) | instskip(NEXT) | instid1(VALU_DEP_4)
	v_fma_f64 v[8:9], v[8:9], v[112:113], v[84:85]
	v_fma_f64 v[6:7], v[6:7], v[112:113], -v[90:91]
	s_waitcnt vmcnt(1) lgkmcnt(0)
	v_mul_f64 v[88:89], v[76:77], v[118:119]
	v_mul_f64 v[94:95], v[78:79], v[118:119]
	v_add_f64 v[10:11], v[10:11], v[86:87]
	v_add_f64 v[2:3], v[2:3], v[92:93]
	s_delay_alu instid0(VALU_DEP_4) | instskip(NEXT) | instid1(VALU_DEP_4)
	v_fma_f64 v[78:79], v[78:79], v[116:117], v[88:89]
	v_fma_f64 v[76:77], v[76:77], v[116:117], -v[94:95]
	s_delay_alu instid0(VALU_DEP_3) | instskip(SKIP_1) | instid1(VALU_DEP_2)
	v_add_f64 v[2:3], v[2:3], v[6:7]
	v_add_f64 v[6:7], v[10:11], v[8:9]
	;; [unrolled: 1-line block ×3, first 2 shown]
	s_delay_alu instid0(VALU_DEP_2) | instskip(SKIP_1) | instid1(VALU_DEP_2)
	v_add_f64 v[8:9], v[6:7], v[78:79]
	s_waitcnt vmcnt(0)
	v_add_f64 v[6:7], v[80:81], -v[2:3]
	s_delay_alu instid0(VALU_DEP_2)
	v_add_f64 v[8:9], v[82:83], -v[8:9]
	scratch_store_b128 off, v[6:9], off offset:144
	v_cmpx_lt_u32_e32 8, v55
	s_cbranch_execz .LBB84_123
; %bb.122:
	scratch_load_b128 v[6:9], v57, off
	v_mov_b32_e32 v2, v1
	v_mov_b32_e32 v3, v1
	;; [unrolled: 1-line block ×3, first 2 shown]
	scratch_store_b128 off, v[1:4], off offset:128
	s_waitcnt vmcnt(0)
	ds_store_b128 v5, v[6:9]
.LBB84_123:
	s_or_b32 exec_lo, exec_lo, s2
	s_waitcnt lgkmcnt(0)
	s_waitcnt_vscnt null, 0x0
	s_barrier
	buffer_gl0_inv
	s_clause 0x8
	scratch_load_b128 v[6:9], off, off offset:144
	scratch_load_b128 v[76:79], off, off offset:160
	scratch_load_b128 v[80:83], off, off offset:176
	scratch_load_b128 v[84:87], off, off offset:192
	scratch_load_b128 v[88:91], off, off offset:208
	scratch_load_b128 v[92:95], off, off offset:224
	scratch_load_b128 v[96:99], off, off offset:240
	scratch_load_b128 v[100:103], off, off offset:256
	scratch_load_b128 v[104:107], off, off offset:272
	ds_load_b128 v[108:111], v1 offset:480
	ds_load_b128 v[112:115], v1 offset:496
	scratch_load_b128 v[116:119], off, off offset:128
	s_mov_b32 s2, exec_lo
	ds_load_b128 v[124:127], v1 offset:528
	s_waitcnt vmcnt(9) lgkmcnt(2)
	v_mul_f64 v[2:3], v[110:111], v[8:9]
	v_mul_f64 v[120:121], v[108:109], v[8:9]
	scratch_load_b128 v[8:11], off, off offset:288
	s_waitcnt vmcnt(9) lgkmcnt(1)
	v_mul_f64 v[128:129], v[112:113], v[78:79]
	v_mul_f64 v[78:79], v[114:115], v[78:79]
	v_fma_f64 v[2:3], v[108:109], v[6:7], -v[2:3]
	v_fma_f64 v[6:7], v[110:111], v[6:7], v[120:121]
	ds_load_b128 v[108:111], v1 offset:512
	scratch_load_b128 v[120:123], off, off offset:304
	v_fma_f64 v[114:115], v[114:115], v[76:77], v[128:129]
	v_fma_f64 v[112:113], v[112:113], v[76:77], -v[78:79]
	scratch_load_b128 v[76:79], off, off offset:320
	s_waitcnt vmcnt(9) lgkmcnt(1)
	v_mul_f64 v[128:129], v[124:125], v[86:87]
	v_mul_f64 v[86:87], v[126:127], v[86:87]
	s_waitcnt lgkmcnt(0)
	v_mul_f64 v[130:131], v[108:109], v[82:83]
	v_mul_f64 v[82:83], v[110:111], v[82:83]
	v_add_f64 v[2:3], v[2:3], 0
	v_add_f64 v[6:7], v[6:7], 0
	s_delay_alu instid0(VALU_DEP_4) | instskip(NEXT) | instid1(VALU_DEP_4)
	v_fma_f64 v[130:131], v[110:111], v[80:81], v[130:131]
	v_fma_f64 v[132:133], v[108:109], v[80:81], -v[82:83]
	ds_load_b128 v[80:83], v1 offset:544
	ds_load_b128 v[108:111], v1 offset:560
	v_add_f64 v[2:3], v[2:3], v[112:113]
	v_add_f64 v[6:7], v[6:7], v[114:115]
	v_fma_f64 v[114:115], v[126:127], v[84:85], v[128:129]
	v_fma_f64 v[84:85], v[124:125], v[84:85], -v[86:87]
	s_waitcnt vmcnt(8) lgkmcnt(1)
	v_mul_f64 v[112:113], v[80:81], v[90:91]
	v_mul_f64 v[90:91], v[82:83], v[90:91]
	s_waitcnt vmcnt(7) lgkmcnt(0)
	v_mul_f64 v[124:125], v[108:109], v[94:95]
	v_mul_f64 v[94:95], v[110:111], v[94:95]
	v_add_f64 v[2:3], v[2:3], v[132:133]
	v_add_f64 v[6:7], v[6:7], v[130:131]
	v_fma_f64 v[112:113], v[82:83], v[88:89], v[112:113]
	v_fma_f64 v[88:89], v[80:81], v[88:89], -v[90:91]
	v_fma_f64 v[110:111], v[110:111], v[92:93], v[124:125]
	v_fma_f64 v[92:93], v[108:109], v[92:93], -v[94:95]
	v_add_f64 v[2:3], v[2:3], v[84:85]
	v_add_f64 v[6:7], v[6:7], v[114:115]
	ds_load_b128 v[80:83], v1 offset:576
	ds_load_b128 v[84:87], v1 offset:592
	s_waitcnt vmcnt(6) lgkmcnt(1)
	v_mul_f64 v[90:91], v[80:81], v[98:99]
	v_mul_f64 v[98:99], v[82:83], v[98:99]
	s_waitcnt vmcnt(5) lgkmcnt(0)
	v_mul_f64 v[94:95], v[84:85], v[102:103]
	v_mul_f64 v[102:103], v[86:87], v[102:103]
	v_add_f64 v[2:3], v[2:3], v[88:89]
	v_add_f64 v[6:7], v[6:7], v[112:113]
	v_fma_f64 v[108:109], v[82:83], v[96:97], v[90:91]
	v_fma_f64 v[96:97], v[80:81], v[96:97], -v[98:99]
	ds_load_b128 v[80:83], v1 offset:608
	ds_load_b128 v[88:91], v1 offset:624
	v_fma_f64 v[86:87], v[86:87], v[100:101], v[94:95]
	v_fma_f64 v[84:85], v[84:85], v[100:101], -v[102:103]
	v_add_f64 v[2:3], v[2:3], v[92:93]
	v_add_f64 v[6:7], v[6:7], v[110:111]
	s_waitcnt vmcnt(4) lgkmcnt(1)
	v_mul_f64 v[92:93], v[80:81], v[106:107]
	v_mul_f64 v[98:99], v[82:83], v[106:107]
	s_delay_alu instid0(VALU_DEP_4) | instskip(NEXT) | instid1(VALU_DEP_4)
	v_add_f64 v[2:3], v[2:3], v[96:97]
	v_add_f64 v[6:7], v[6:7], v[108:109]
	s_delay_alu instid0(VALU_DEP_4) | instskip(NEXT) | instid1(VALU_DEP_4)
	v_fma_f64 v[92:93], v[82:83], v[104:105], v[92:93]
	v_fma_f64 v[96:97], v[80:81], v[104:105], -v[98:99]
	s_waitcnt vmcnt(2) lgkmcnt(0)
	v_mul_f64 v[94:95], v[88:89], v[10:11]
	v_mul_f64 v[10:11], v[90:91], v[10:11]
	v_add_f64 v[84:85], v[2:3], v[84:85]
	v_add_f64 v[6:7], v[6:7], v[86:87]
	ds_load_b128 v[80:83], v1 offset:640
	ds_load_b128 v[1:4], v1 offset:656
	v_fma_f64 v[90:91], v[90:91], v[8:9], v[94:95]
	v_fma_f64 v[8:9], v[88:89], v[8:9], -v[10:11]
	s_waitcnt vmcnt(1) lgkmcnt(1)
	v_mul_f64 v[86:87], v[80:81], v[122:123]
	v_mul_f64 v[98:99], v[82:83], v[122:123]
	v_add_f64 v[10:11], v[84:85], v[96:97]
	v_add_f64 v[6:7], v[6:7], v[92:93]
	s_waitcnt vmcnt(0) lgkmcnt(0)
	v_mul_f64 v[84:85], v[1:2], v[78:79]
	v_mul_f64 v[78:79], v[3:4], v[78:79]
	v_fma_f64 v[82:83], v[82:83], v[120:121], v[86:87]
	v_fma_f64 v[80:81], v[80:81], v[120:121], -v[98:99]
	v_add_f64 v[8:9], v[10:11], v[8:9]
	v_add_f64 v[6:7], v[6:7], v[90:91]
	v_fma_f64 v[3:4], v[3:4], v[76:77], v[84:85]
	v_fma_f64 v[1:2], v[1:2], v[76:77], -v[78:79]
	s_delay_alu instid0(VALU_DEP_4) | instskip(NEXT) | instid1(VALU_DEP_4)
	v_add_f64 v[8:9], v[8:9], v[80:81]
	v_add_f64 v[6:7], v[6:7], v[82:83]
	s_delay_alu instid0(VALU_DEP_2) | instskip(NEXT) | instid1(VALU_DEP_2)
	v_add_f64 v[1:2], v[8:9], v[1:2]
	v_add_f64 v[3:4], v[6:7], v[3:4]
	s_delay_alu instid0(VALU_DEP_2) | instskip(NEXT) | instid1(VALU_DEP_2)
	v_add_f64 v[1:2], v[116:117], -v[1:2]
	v_add_f64 v[3:4], v[118:119], -v[3:4]
	scratch_store_b128 off, v[1:4], off offset:128
	v_cmpx_lt_u32_e32 7, v55
	s_cbranch_execz .LBB84_125
; %bb.124:
	scratch_load_b128 v[1:4], v60, off
	v_mov_b32_e32 v6, 0
	s_delay_alu instid0(VALU_DEP_1)
	v_mov_b32_e32 v7, v6
	v_mov_b32_e32 v8, v6
	;; [unrolled: 1-line block ×3, first 2 shown]
	scratch_store_b128 off, v[6:9], off offset:112
	s_waitcnt vmcnt(0)
	ds_store_b128 v5, v[1:4]
.LBB84_125:
	s_or_b32 exec_lo, exec_lo, s2
	s_waitcnt lgkmcnt(0)
	s_waitcnt_vscnt null, 0x0
	s_barrier
	buffer_gl0_inv
	s_clause 0x7
	scratch_load_b128 v[6:9], off, off offset:128
	scratch_load_b128 v[76:79], off, off offset:144
	;; [unrolled: 1-line block ×8, first 2 shown]
	v_mov_b32_e32 v1, 0
	s_mov_b32 s2, exec_lo
	ds_load_b128 v[104:107], v1 offset:464
	s_clause 0x1
	scratch_load_b128 v[108:111], off, off offset:256
	scratch_load_b128 v[112:115], off, off offset:112
	ds_load_b128 v[116:119], v1 offset:480
	ds_load_b128 v[124:127], v1 offset:512
	s_waitcnt vmcnt(9) lgkmcnt(2)
	v_mul_f64 v[2:3], v[106:107], v[8:9]
	v_mul_f64 v[120:121], v[104:105], v[8:9]
	scratch_load_b128 v[8:11], off, off offset:272
	v_fma_f64 v[2:3], v[104:105], v[6:7], -v[2:3]
	v_fma_f64 v[6:7], v[106:107], v[6:7], v[120:121]
	scratch_load_b128 v[120:123], off, off offset:288
	ds_load_b128 v[104:107], v1 offset:496
	s_waitcnt vmcnt(10) lgkmcnt(2)
	v_mul_f64 v[128:129], v[116:117], v[78:79]
	v_mul_f64 v[78:79], v[118:119], v[78:79]
	s_waitcnt vmcnt(9) lgkmcnt(0)
	v_mul_f64 v[130:131], v[104:105], v[82:83]
	v_mul_f64 v[82:83], v[106:107], v[82:83]
	v_add_f64 v[2:3], v[2:3], 0
	v_add_f64 v[6:7], v[6:7], 0
	v_fma_f64 v[118:119], v[118:119], v[76:77], v[128:129]
	v_fma_f64 v[116:117], v[116:117], v[76:77], -v[78:79]
	scratch_load_b128 v[76:79], off, off offset:304
	v_fma_f64 v[130:131], v[106:107], v[80:81], v[130:131]
	v_fma_f64 v[132:133], v[104:105], v[80:81], -v[82:83]
	scratch_load_b128 v[104:107], off, off offset:320
	ds_load_b128 v[80:83], v1 offset:528
	s_waitcnt vmcnt(10)
	v_mul_f64 v[128:129], v[124:125], v[86:87]
	v_mul_f64 v[86:87], v[126:127], v[86:87]
	v_add_f64 v[6:7], v[6:7], v[118:119]
	v_add_f64 v[2:3], v[2:3], v[116:117]
	ds_load_b128 v[116:119], v1 offset:544
	s_waitcnt vmcnt(9) lgkmcnt(1)
	v_mul_f64 v[134:135], v[80:81], v[90:91]
	v_mul_f64 v[90:91], v[82:83], v[90:91]
	v_fma_f64 v[126:127], v[126:127], v[84:85], v[128:129]
	v_fma_f64 v[84:85], v[124:125], v[84:85], -v[86:87]
	s_waitcnt vmcnt(8) lgkmcnt(0)
	v_mul_f64 v[124:125], v[116:117], v[94:95]
	v_mul_f64 v[94:95], v[118:119], v[94:95]
	v_add_f64 v[6:7], v[6:7], v[130:131]
	v_add_f64 v[2:3], v[2:3], v[132:133]
	v_fma_f64 v[128:129], v[82:83], v[88:89], v[134:135]
	v_fma_f64 v[88:89], v[80:81], v[88:89], -v[90:91]
	v_fma_f64 v[118:119], v[118:119], v[92:93], v[124:125]
	v_fma_f64 v[92:93], v[116:117], v[92:93], -v[94:95]
	v_add_f64 v[6:7], v[6:7], v[126:127]
	v_add_f64 v[2:3], v[2:3], v[84:85]
	ds_load_b128 v[80:83], v1 offset:560
	ds_load_b128 v[84:87], v1 offset:576
	s_waitcnt vmcnt(7) lgkmcnt(1)
	v_mul_f64 v[90:91], v[80:81], v[98:99]
	v_mul_f64 v[98:99], v[82:83], v[98:99]
	s_waitcnt vmcnt(6) lgkmcnt(0)
	v_mul_f64 v[94:95], v[84:85], v[102:103]
	v_mul_f64 v[102:103], v[86:87], v[102:103]
	v_add_f64 v[6:7], v[6:7], v[128:129]
	v_add_f64 v[2:3], v[2:3], v[88:89]
	v_fma_f64 v[116:117], v[82:83], v[96:97], v[90:91]
	v_fma_f64 v[96:97], v[80:81], v[96:97], -v[98:99]
	ds_load_b128 v[80:83], v1 offset:592
	ds_load_b128 v[88:91], v1 offset:608
	v_fma_f64 v[86:87], v[86:87], v[100:101], v[94:95]
	v_fma_f64 v[84:85], v[84:85], v[100:101], -v[102:103]
	v_add_f64 v[6:7], v[6:7], v[118:119]
	v_add_f64 v[2:3], v[2:3], v[92:93]
	s_waitcnt vmcnt(5) lgkmcnt(1)
	v_mul_f64 v[92:93], v[80:81], v[110:111]
	v_mul_f64 v[98:99], v[82:83], v[110:111]
	s_delay_alu instid0(VALU_DEP_4) | instskip(NEXT) | instid1(VALU_DEP_4)
	v_add_f64 v[6:7], v[6:7], v[116:117]
	v_add_f64 v[2:3], v[2:3], v[96:97]
	s_delay_alu instid0(VALU_DEP_4) | instskip(NEXT) | instid1(VALU_DEP_4)
	v_fma_f64 v[92:93], v[82:83], v[108:109], v[92:93]
	v_fma_f64 v[96:97], v[80:81], v[108:109], -v[98:99]
	s_waitcnt vmcnt(3) lgkmcnt(0)
	v_mul_f64 v[94:95], v[88:89], v[10:11]
	v_mul_f64 v[10:11], v[90:91], v[10:11]
	v_add_f64 v[6:7], v[6:7], v[86:87]
	v_add_f64 v[2:3], v[2:3], v[84:85]
	ds_load_b128 v[80:83], v1 offset:624
	ds_load_b128 v[84:87], v1 offset:640
	v_fma_f64 v[90:91], v[90:91], v[8:9], v[94:95]
	v_fma_f64 v[8:9], v[88:89], v[8:9], -v[10:11]
	s_waitcnt vmcnt(2) lgkmcnt(1)
	v_mul_f64 v[98:99], v[80:81], v[122:123]
	v_mul_f64 v[100:101], v[82:83], v[122:123]
	v_add_f64 v[6:7], v[6:7], v[92:93]
	v_add_f64 v[2:3], v[2:3], v[96:97]
	s_waitcnt vmcnt(1) lgkmcnt(0)
	v_mul_f64 v[10:11], v[84:85], v[78:79]
	v_mul_f64 v[78:79], v[86:87], v[78:79]
	v_fma_f64 v[82:83], v[82:83], v[120:121], v[98:99]
	v_fma_f64 v[80:81], v[80:81], v[120:121], -v[100:101]
	v_add_f64 v[88:89], v[6:7], v[90:91]
	v_add_f64 v[2:3], v[2:3], v[8:9]
	ds_load_b128 v[6:9], v1 offset:656
	v_fma_f64 v[10:11], v[86:87], v[76:77], v[10:11]
	v_fma_f64 v[76:77], v[84:85], v[76:77], -v[78:79]
	s_waitcnt vmcnt(0) lgkmcnt(0)
	v_mul_f64 v[90:91], v[6:7], v[106:107]
	v_mul_f64 v[92:93], v[8:9], v[106:107]
	v_add_f64 v[78:79], v[88:89], v[82:83]
	v_add_f64 v[2:3], v[2:3], v[80:81]
	s_delay_alu instid0(VALU_DEP_4) | instskip(NEXT) | instid1(VALU_DEP_4)
	v_fma_f64 v[8:9], v[8:9], v[104:105], v[90:91]
	v_fma_f64 v[6:7], v[6:7], v[104:105], -v[92:93]
	s_delay_alu instid0(VALU_DEP_4) | instskip(NEXT) | instid1(VALU_DEP_4)
	v_add_f64 v[10:11], v[78:79], v[10:11]
	v_add_f64 v[2:3], v[2:3], v[76:77]
	s_delay_alu instid0(VALU_DEP_2) | instskip(NEXT) | instid1(VALU_DEP_2)
	v_add_f64 v[8:9], v[10:11], v[8:9]
	v_add_f64 v[2:3], v[2:3], v[6:7]
	s_delay_alu instid0(VALU_DEP_2) | instskip(NEXT) | instid1(VALU_DEP_2)
	v_add_f64 v[8:9], v[114:115], -v[8:9]
	v_add_f64 v[6:7], v[112:113], -v[2:3]
	scratch_store_b128 off, v[6:9], off offset:112
	v_cmpx_lt_u32_e32 6, v55
	s_cbranch_execz .LBB84_127
; %bb.126:
	scratch_load_b128 v[6:9], v58, off
	v_mov_b32_e32 v2, v1
	v_mov_b32_e32 v3, v1
	;; [unrolled: 1-line block ×3, first 2 shown]
	scratch_store_b128 off, v[1:4], off offset:96
	s_waitcnt vmcnt(0)
	ds_store_b128 v5, v[6:9]
.LBB84_127:
	s_or_b32 exec_lo, exec_lo, s2
	s_waitcnt lgkmcnt(0)
	s_waitcnt_vscnt null, 0x0
	s_barrier
	buffer_gl0_inv
	s_clause 0x8
	scratch_load_b128 v[6:9], off, off offset:112
	scratch_load_b128 v[76:79], off, off offset:128
	;; [unrolled: 1-line block ×9, first 2 shown]
	ds_load_b128 v[108:111], v1 offset:448
	ds_load_b128 v[112:115], v1 offset:464
	scratch_load_b128 v[116:119], off, off offset:96
	s_mov_b32 s2, exec_lo
	ds_load_b128 v[124:127], v1 offset:496
	s_waitcnt vmcnt(9) lgkmcnt(2)
	v_mul_f64 v[2:3], v[110:111], v[8:9]
	v_mul_f64 v[120:121], v[108:109], v[8:9]
	scratch_load_b128 v[8:11], off, off offset:256
	s_waitcnt vmcnt(9) lgkmcnt(1)
	v_mul_f64 v[128:129], v[112:113], v[78:79]
	v_mul_f64 v[78:79], v[114:115], v[78:79]
	v_fma_f64 v[2:3], v[108:109], v[6:7], -v[2:3]
	v_fma_f64 v[6:7], v[110:111], v[6:7], v[120:121]
	ds_load_b128 v[108:111], v1 offset:480
	scratch_load_b128 v[120:123], off, off offset:272
	v_fma_f64 v[114:115], v[114:115], v[76:77], v[128:129]
	v_fma_f64 v[112:113], v[112:113], v[76:77], -v[78:79]
	scratch_load_b128 v[76:79], off, off offset:288
	s_waitcnt vmcnt(9) lgkmcnt(1)
	v_mul_f64 v[128:129], v[124:125], v[86:87]
	v_mul_f64 v[86:87], v[126:127], v[86:87]
	s_waitcnt lgkmcnt(0)
	v_mul_f64 v[130:131], v[108:109], v[82:83]
	v_mul_f64 v[82:83], v[110:111], v[82:83]
	v_add_f64 v[2:3], v[2:3], 0
	v_add_f64 v[6:7], v[6:7], 0
	v_fma_f64 v[126:127], v[126:127], v[84:85], v[128:129]
	v_fma_f64 v[124:125], v[124:125], v[84:85], -v[86:87]
	scratch_load_b128 v[84:87], off, off offset:320
	v_fma_f64 v[130:131], v[110:111], v[80:81], v[130:131]
	v_fma_f64 v[132:133], v[108:109], v[80:81], -v[82:83]
	ds_load_b128 v[80:83], v1 offset:512
	scratch_load_b128 v[108:111], off, off offset:304
	v_add_f64 v[2:3], v[2:3], v[112:113]
	v_add_f64 v[6:7], v[6:7], v[114:115]
	ds_load_b128 v[112:115], v1 offset:528
	s_waitcnt vmcnt(10) lgkmcnt(1)
	v_mul_f64 v[134:135], v[80:81], v[90:91]
	v_mul_f64 v[90:91], v[82:83], v[90:91]
	s_waitcnt vmcnt(9) lgkmcnt(0)
	v_mul_f64 v[128:129], v[112:113], v[94:95]
	v_mul_f64 v[94:95], v[114:115], v[94:95]
	v_add_f64 v[2:3], v[2:3], v[132:133]
	v_add_f64 v[6:7], v[6:7], v[130:131]
	v_fma_f64 v[130:131], v[82:83], v[88:89], v[134:135]
	v_fma_f64 v[132:133], v[80:81], v[88:89], -v[90:91]
	ds_load_b128 v[80:83], v1 offset:544
	ds_load_b128 v[88:91], v1 offset:560
	v_fma_f64 v[114:115], v[114:115], v[92:93], v[128:129]
	v_fma_f64 v[92:93], v[112:113], v[92:93], -v[94:95]
	s_waitcnt vmcnt(7) lgkmcnt(0)
	v_mul_f64 v[112:113], v[88:89], v[102:103]
	v_mul_f64 v[102:103], v[90:91], v[102:103]
	v_add_f64 v[2:3], v[2:3], v[124:125]
	v_add_f64 v[6:7], v[6:7], v[126:127]
	v_mul_f64 v[124:125], v[80:81], v[98:99]
	v_mul_f64 v[98:99], v[82:83], v[98:99]
	v_fma_f64 v[90:91], v[90:91], v[100:101], v[112:113]
	v_fma_f64 v[88:89], v[88:89], v[100:101], -v[102:103]
	v_add_f64 v[2:3], v[2:3], v[132:133]
	v_add_f64 v[6:7], v[6:7], v[130:131]
	v_fma_f64 v[124:125], v[82:83], v[96:97], v[124:125]
	v_fma_f64 v[96:97], v[80:81], v[96:97], -v[98:99]
	s_delay_alu instid0(VALU_DEP_4) | instskip(NEXT) | instid1(VALU_DEP_4)
	v_add_f64 v[2:3], v[2:3], v[92:93]
	v_add_f64 v[6:7], v[6:7], v[114:115]
	ds_load_b128 v[80:83], v1 offset:576
	ds_load_b128 v[92:95], v1 offset:592
	s_waitcnt vmcnt(6) lgkmcnt(1)
	v_mul_f64 v[98:99], v[80:81], v[106:107]
	v_mul_f64 v[106:107], v[82:83], v[106:107]
	v_add_f64 v[2:3], v[2:3], v[96:97]
	v_add_f64 v[6:7], v[6:7], v[124:125]
	s_waitcnt vmcnt(4) lgkmcnt(0)
	v_mul_f64 v[96:97], v[92:93], v[10:11]
	v_mul_f64 v[10:11], v[94:95], v[10:11]
	v_fma_f64 v[98:99], v[82:83], v[104:105], v[98:99]
	v_fma_f64 v[100:101], v[80:81], v[104:105], -v[106:107]
	v_add_f64 v[2:3], v[2:3], v[88:89]
	v_add_f64 v[6:7], v[6:7], v[90:91]
	ds_load_b128 v[80:83], v1 offset:608
	ds_load_b128 v[88:91], v1 offset:624
	v_fma_f64 v[94:95], v[94:95], v[8:9], v[96:97]
	v_fma_f64 v[8:9], v[92:93], v[8:9], -v[10:11]
	s_waitcnt vmcnt(3) lgkmcnt(1)
	v_mul_f64 v[102:103], v[80:81], v[122:123]
	v_mul_f64 v[104:105], v[82:83], v[122:123]
	s_waitcnt vmcnt(2) lgkmcnt(0)
	v_mul_f64 v[10:11], v[88:89], v[78:79]
	v_mul_f64 v[78:79], v[90:91], v[78:79]
	v_add_f64 v[2:3], v[2:3], v[100:101]
	v_add_f64 v[6:7], v[6:7], v[98:99]
	v_fma_f64 v[82:83], v[82:83], v[120:121], v[102:103]
	v_fma_f64 v[80:81], v[80:81], v[120:121], -v[104:105]
	v_fma_f64 v[10:11], v[90:91], v[76:77], v[10:11]
	v_fma_f64 v[76:77], v[88:89], v[76:77], -v[78:79]
	v_add_f64 v[92:93], v[2:3], v[8:9]
	v_add_f64 v[94:95], v[6:7], v[94:95]
	ds_load_b128 v[6:9], v1 offset:640
	ds_load_b128 v[1:4], v1 offset:656
	s_waitcnt vmcnt(0) lgkmcnt(1)
	v_mul_f64 v[96:97], v[6:7], v[110:111]
	v_mul_f64 v[98:99], v[8:9], v[110:111]
	v_add_f64 v[78:79], v[92:93], v[80:81]
	v_add_f64 v[80:81], v[94:95], v[82:83]
	s_waitcnt lgkmcnt(0)
	v_mul_f64 v[82:83], v[1:2], v[86:87]
	v_mul_f64 v[86:87], v[3:4], v[86:87]
	v_fma_f64 v[8:9], v[8:9], v[108:109], v[96:97]
	v_fma_f64 v[6:7], v[6:7], v[108:109], -v[98:99]
	v_add_f64 v[76:77], v[78:79], v[76:77]
	v_add_f64 v[10:11], v[80:81], v[10:11]
	v_fma_f64 v[3:4], v[3:4], v[84:85], v[82:83]
	v_fma_f64 v[1:2], v[1:2], v[84:85], -v[86:87]
	s_delay_alu instid0(VALU_DEP_4) | instskip(NEXT) | instid1(VALU_DEP_4)
	v_add_f64 v[6:7], v[76:77], v[6:7]
	v_add_f64 v[8:9], v[10:11], v[8:9]
	s_delay_alu instid0(VALU_DEP_2) | instskip(NEXT) | instid1(VALU_DEP_2)
	v_add_f64 v[1:2], v[6:7], v[1:2]
	v_add_f64 v[3:4], v[8:9], v[3:4]
	s_delay_alu instid0(VALU_DEP_2) | instskip(NEXT) | instid1(VALU_DEP_2)
	v_add_f64 v[1:2], v[116:117], -v[1:2]
	v_add_f64 v[3:4], v[118:119], -v[3:4]
	scratch_store_b128 off, v[1:4], off offset:96
	v_cmpx_lt_u32_e32 5, v55
	s_cbranch_execz .LBB84_129
; %bb.128:
	scratch_load_b128 v[1:4], v61, off
	v_mov_b32_e32 v6, 0
	s_delay_alu instid0(VALU_DEP_1)
	v_mov_b32_e32 v7, v6
	v_mov_b32_e32 v8, v6
	;; [unrolled: 1-line block ×3, first 2 shown]
	scratch_store_b128 off, v[6:9], off offset:80
	s_waitcnt vmcnt(0)
	ds_store_b128 v5, v[1:4]
.LBB84_129:
	s_or_b32 exec_lo, exec_lo, s2
	s_waitcnt lgkmcnt(0)
	s_waitcnt_vscnt null, 0x0
	s_barrier
	buffer_gl0_inv
	s_clause 0x7
	scratch_load_b128 v[6:9], off, off offset:96
	scratch_load_b128 v[76:79], off, off offset:112
	;; [unrolled: 1-line block ×8, first 2 shown]
	v_mov_b32_e32 v1, 0
	s_mov_b32 s2, exec_lo
	ds_load_b128 v[104:107], v1 offset:432
	s_clause 0x1
	scratch_load_b128 v[108:111], off, off offset:224
	scratch_load_b128 v[112:115], off, off offset:80
	ds_load_b128 v[116:119], v1 offset:448
	ds_load_b128 v[124:127], v1 offset:480
	s_waitcnt vmcnt(9) lgkmcnt(2)
	v_mul_f64 v[2:3], v[106:107], v[8:9]
	v_mul_f64 v[120:121], v[104:105], v[8:9]
	scratch_load_b128 v[8:11], off, off offset:240
	v_fma_f64 v[2:3], v[104:105], v[6:7], -v[2:3]
	v_fma_f64 v[6:7], v[106:107], v[6:7], v[120:121]
	scratch_load_b128 v[120:123], off, off offset:256
	ds_load_b128 v[104:107], v1 offset:464
	s_waitcnt vmcnt(10) lgkmcnt(2)
	v_mul_f64 v[128:129], v[116:117], v[78:79]
	v_mul_f64 v[78:79], v[118:119], v[78:79]
	s_waitcnt vmcnt(9) lgkmcnt(0)
	v_mul_f64 v[130:131], v[104:105], v[82:83]
	v_mul_f64 v[82:83], v[106:107], v[82:83]
	v_add_f64 v[2:3], v[2:3], 0
	v_add_f64 v[6:7], v[6:7], 0
	v_fma_f64 v[118:119], v[118:119], v[76:77], v[128:129]
	v_fma_f64 v[116:117], v[116:117], v[76:77], -v[78:79]
	scratch_load_b128 v[76:79], off, off offset:272
	v_fma_f64 v[130:131], v[106:107], v[80:81], v[130:131]
	v_fma_f64 v[132:133], v[104:105], v[80:81], -v[82:83]
	scratch_load_b128 v[104:107], off, off offset:288
	ds_load_b128 v[80:83], v1 offset:496
	s_waitcnt vmcnt(10)
	v_mul_f64 v[128:129], v[124:125], v[86:87]
	v_mul_f64 v[86:87], v[126:127], v[86:87]
	v_add_f64 v[6:7], v[6:7], v[118:119]
	v_add_f64 v[2:3], v[2:3], v[116:117]
	ds_load_b128 v[116:119], v1 offset:512
	s_waitcnt vmcnt(9) lgkmcnt(1)
	v_mul_f64 v[134:135], v[80:81], v[90:91]
	v_mul_f64 v[90:91], v[82:83], v[90:91]
	v_fma_f64 v[126:127], v[126:127], v[84:85], v[128:129]
	v_fma_f64 v[124:125], v[124:125], v[84:85], -v[86:87]
	scratch_load_b128 v[84:87], off, off offset:304
	v_add_f64 v[6:7], v[6:7], v[130:131]
	v_add_f64 v[2:3], v[2:3], v[132:133]
	v_fma_f64 v[130:131], v[82:83], v[88:89], v[134:135]
	v_fma_f64 v[132:133], v[80:81], v[88:89], -v[90:91]
	scratch_load_b128 v[88:91], off, off offset:320
	ds_load_b128 v[80:83], v1 offset:528
	s_waitcnt vmcnt(10) lgkmcnt(1)
	v_mul_f64 v[128:129], v[116:117], v[94:95]
	v_mul_f64 v[94:95], v[118:119], v[94:95]
	s_waitcnt vmcnt(9) lgkmcnt(0)
	v_mul_f64 v[134:135], v[80:81], v[98:99]
	v_mul_f64 v[98:99], v[82:83], v[98:99]
	v_add_f64 v[6:7], v[6:7], v[126:127]
	v_add_f64 v[2:3], v[2:3], v[124:125]
	ds_load_b128 v[124:127], v1 offset:544
	v_fma_f64 v[118:119], v[118:119], v[92:93], v[128:129]
	v_fma_f64 v[92:93], v[116:117], v[92:93], -v[94:95]
	s_waitcnt vmcnt(8) lgkmcnt(0)
	v_mul_f64 v[116:117], v[124:125], v[102:103]
	v_mul_f64 v[102:103], v[126:127], v[102:103]
	v_fma_f64 v[128:129], v[82:83], v[96:97], v[134:135]
	v_fma_f64 v[96:97], v[80:81], v[96:97], -v[98:99]
	v_add_f64 v[6:7], v[6:7], v[130:131]
	v_add_f64 v[2:3], v[2:3], v[132:133]
	v_fma_f64 v[116:117], v[126:127], v[100:101], v[116:117]
	v_fma_f64 v[100:101], v[124:125], v[100:101], -v[102:103]
	s_delay_alu instid0(VALU_DEP_4) | instskip(NEXT) | instid1(VALU_DEP_4)
	v_add_f64 v[6:7], v[6:7], v[118:119]
	v_add_f64 v[2:3], v[2:3], v[92:93]
	ds_load_b128 v[80:83], v1 offset:560
	ds_load_b128 v[92:95], v1 offset:576
	s_waitcnt vmcnt(7) lgkmcnt(1)
	v_mul_f64 v[98:99], v[80:81], v[110:111]
	v_mul_f64 v[110:111], v[82:83], v[110:111]
	v_add_f64 v[6:7], v[6:7], v[128:129]
	v_add_f64 v[2:3], v[2:3], v[96:97]
	s_waitcnt vmcnt(5) lgkmcnt(0)
	v_mul_f64 v[102:103], v[92:93], v[10:11]
	v_mul_f64 v[10:11], v[94:95], v[10:11]
	v_fma_f64 v[118:119], v[82:83], v[108:109], v[98:99]
	v_fma_f64 v[108:109], v[80:81], v[108:109], -v[110:111]
	ds_load_b128 v[80:83], v1 offset:592
	ds_load_b128 v[96:99], v1 offset:608
	v_add_f64 v[6:7], v[6:7], v[116:117]
	v_add_f64 v[2:3], v[2:3], v[100:101]
	s_waitcnt vmcnt(4) lgkmcnt(1)
	v_mul_f64 v[100:101], v[80:81], v[122:123]
	v_mul_f64 v[110:111], v[82:83], v[122:123]
	v_fma_f64 v[94:95], v[94:95], v[8:9], v[102:103]
	v_fma_f64 v[8:9], v[92:93], v[8:9], -v[10:11]
	v_add_f64 v[6:7], v[6:7], v[118:119]
	v_add_f64 v[2:3], v[2:3], v[108:109]
	v_fma_f64 v[82:83], v[82:83], v[120:121], v[100:101]
	v_fma_f64 v[100:101], v[80:81], v[120:121], -v[110:111]
	s_waitcnt vmcnt(3) lgkmcnt(0)
	v_mul_f64 v[10:11], v[96:97], v[78:79]
	v_mul_f64 v[92:93], v[98:99], v[78:79]
	v_add_f64 v[94:95], v[6:7], v[94:95]
	v_add_f64 v[2:3], v[2:3], v[8:9]
	ds_load_b128 v[6:9], v1 offset:624
	ds_load_b128 v[78:81], v1 offset:640
	v_fma_f64 v[10:11], v[98:99], v[76:77], v[10:11]
	v_fma_f64 v[76:77], v[96:97], v[76:77], -v[92:93]
	s_waitcnt vmcnt(2) lgkmcnt(1)
	v_mul_f64 v[102:103], v[6:7], v[106:107]
	v_mul_f64 v[106:107], v[8:9], v[106:107]
	v_add_f64 v[82:83], v[94:95], v[82:83]
	v_add_f64 v[2:3], v[2:3], v[100:101]
	s_waitcnt vmcnt(1) lgkmcnt(0)
	v_mul_f64 v[92:93], v[78:79], v[86:87]
	v_mul_f64 v[86:87], v[80:81], v[86:87]
	v_fma_f64 v[94:95], v[8:9], v[104:105], v[102:103]
	v_fma_f64 v[96:97], v[6:7], v[104:105], -v[106:107]
	ds_load_b128 v[6:9], v1 offset:656
	v_add_f64 v[10:11], v[82:83], v[10:11]
	v_add_f64 v[2:3], v[2:3], v[76:77]
	v_fma_f64 v[80:81], v[80:81], v[84:85], v[92:93]
	v_fma_f64 v[78:79], v[78:79], v[84:85], -v[86:87]
	s_waitcnt vmcnt(0) lgkmcnt(0)
	v_mul_f64 v[76:77], v[6:7], v[90:91]
	v_mul_f64 v[82:83], v[8:9], v[90:91]
	v_add_f64 v[10:11], v[10:11], v[94:95]
	v_add_f64 v[2:3], v[2:3], v[96:97]
	s_delay_alu instid0(VALU_DEP_4) | instskip(NEXT) | instid1(VALU_DEP_4)
	v_fma_f64 v[8:9], v[8:9], v[88:89], v[76:77]
	v_fma_f64 v[6:7], v[6:7], v[88:89], -v[82:83]
	s_delay_alu instid0(VALU_DEP_4) | instskip(NEXT) | instid1(VALU_DEP_4)
	v_add_f64 v[10:11], v[10:11], v[80:81]
	v_add_f64 v[2:3], v[2:3], v[78:79]
	s_delay_alu instid0(VALU_DEP_2) | instskip(NEXT) | instid1(VALU_DEP_2)
	v_add_f64 v[8:9], v[10:11], v[8:9]
	v_add_f64 v[2:3], v[2:3], v[6:7]
	s_delay_alu instid0(VALU_DEP_2) | instskip(NEXT) | instid1(VALU_DEP_2)
	v_add_f64 v[8:9], v[114:115], -v[8:9]
	v_add_f64 v[6:7], v[112:113], -v[2:3]
	scratch_store_b128 off, v[6:9], off offset:80
	v_cmpx_lt_u32_e32 4, v55
	s_cbranch_execz .LBB84_131
; %bb.130:
	scratch_load_b128 v[6:9], v56, off
	v_mov_b32_e32 v2, v1
	v_mov_b32_e32 v3, v1
	v_mov_b32_e32 v4, v1
	scratch_store_b128 off, v[1:4], off offset:64
	s_waitcnt vmcnt(0)
	ds_store_b128 v5, v[6:9]
.LBB84_131:
	s_or_b32 exec_lo, exec_lo, s2
	s_waitcnt lgkmcnt(0)
	s_waitcnt_vscnt null, 0x0
	s_barrier
	buffer_gl0_inv
	s_clause 0x8
	scratch_load_b128 v[6:9], off, off offset:80
	scratch_load_b128 v[76:79], off, off offset:96
	;; [unrolled: 1-line block ×9, first 2 shown]
	ds_load_b128 v[108:111], v1 offset:416
	ds_load_b128 v[112:115], v1 offset:432
	scratch_load_b128 v[116:119], off, off offset:64
	s_mov_b32 s2, exec_lo
	ds_load_b128 v[124:127], v1 offset:464
	s_waitcnt vmcnt(9) lgkmcnt(2)
	v_mul_f64 v[2:3], v[110:111], v[8:9]
	v_mul_f64 v[120:121], v[108:109], v[8:9]
	scratch_load_b128 v[8:11], off, off offset:224
	s_waitcnt vmcnt(9) lgkmcnt(1)
	v_mul_f64 v[128:129], v[112:113], v[78:79]
	v_mul_f64 v[78:79], v[114:115], v[78:79]
	v_fma_f64 v[2:3], v[108:109], v[6:7], -v[2:3]
	v_fma_f64 v[6:7], v[110:111], v[6:7], v[120:121]
	ds_load_b128 v[108:111], v1 offset:448
	scratch_load_b128 v[120:123], off, off offset:240
	v_fma_f64 v[114:115], v[114:115], v[76:77], v[128:129]
	v_fma_f64 v[112:113], v[112:113], v[76:77], -v[78:79]
	scratch_load_b128 v[76:79], off, off offset:256
	s_waitcnt vmcnt(9) lgkmcnt(1)
	v_mul_f64 v[128:129], v[124:125], v[86:87]
	v_mul_f64 v[86:87], v[126:127], v[86:87]
	s_waitcnt lgkmcnt(0)
	v_mul_f64 v[130:131], v[108:109], v[82:83]
	v_mul_f64 v[82:83], v[110:111], v[82:83]
	v_add_f64 v[2:3], v[2:3], 0
	v_add_f64 v[6:7], v[6:7], 0
	v_fma_f64 v[126:127], v[126:127], v[84:85], v[128:129]
	v_fma_f64 v[124:125], v[124:125], v[84:85], -v[86:87]
	scratch_load_b128 v[84:87], off, off offset:288
	v_fma_f64 v[130:131], v[110:111], v[80:81], v[130:131]
	v_fma_f64 v[132:133], v[108:109], v[80:81], -v[82:83]
	ds_load_b128 v[80:83], v1 offset:480
	scratch_load_b128 v[108:111], off, off offset:272
	v_add_f64 v[2:3], v[2:3], v[112:113]
	v_add_f64 v[6:7], v[6:7], v[114:115]
	ds_load_b128 v[112:115], v1 offset:496
	s_waitcnt vmcnt(10) lgkmcnt(1)
	v_mul_f64 v[134:135], v[80:81], v[90:91]
	v_mul_f64 v[90:91], v[82:83], v[90:91]
	s_waitcnt vmcnt(9) lgkmcnt(0)
	v_mul_f64 v[128:129], v[112:113], v[94:95]
	v_mul_f64 v[94:95], v[114:115], v[94:95]
	v_add_f64 v[2:3], v[2:3], v[132:133]
	v_add_f64 v[6:7], v[6:7], v[130:131]
	v_fma_f64 v[130:131], v[82:83], v[88:89], v[134:135]
	v_fma_f64 v[132:133], v[80:81], v[88:89], -v[90:91]
	ds_load_b128 v[80:83], v1 offset:512
	scratch_load_b128 v[88:91], off, off offset:304
	v_fma_f64 v[114:115], v[114:115], v[92:93], v[128:129]
	v_fma_f64 v[112:113], v[112:113], v[92:93], -v[94:95]
	scratch_load_b128 v[92:95], off, off offset:320
	v_add_f64 v[2:3], v[2:3], v[124:125]
	v_add_f64 v[6:7], v[6:7], v[126:127]
	ds_load_b128 v[124:127], v1 offset:528
	s_waitcnt vmcnt(10) lgkmcnt(1)
	v_mul_f64 v[134:135], v[80:81], v[98:99]
	v_mul_f64 v[98:99], v[82:83], v[98:99]
	s_waitcnt vmcnt(9) lgkmcnt(0)
	v_mul_f64 v[128:129], v[124:125], v[102:103]
	v_mul_f64 v[102:103], v[126:127], v[102:103]
	v_add_f64 v[2:3], v[2:3], v[132:133]
	v_add_f64 v[6:7], v[6:7], v[130:131]
	v_fma_f64 v[130:131], v[82:83], v[96:97], v[134:135]
	v_fma_f64 v[132:133], v[80:81], v[96:97], -v[98:99]
	ds_load_b128 v[80:83], v1 offset:544
	ds_load_b128 v[96:99], v1 offset:560
	v_add_f64 v[2:3], v[2:3], v[112:113]
	v_add_f64 v[6:7], v[6:7], v[114:115]
	s_waitcnt vmcnt(8) lgkmcnt(1)
	v_mul_f64 v[112:113], v[80:81], v[106:107]
	v_mul_f64 v[106:107], v[82:83], v[106:107]
	v_fma_f64 v[114:115], v[126:127], v[100:101], v[128:129]
	v_fma_f64 v[100:101], v[124:125], v[100:101], -v[102:103]
	v_add_f64 v[2:3], v[2:3], v[132:133]
	v_add_f64 v[6:7], v[6:7], v[130:131]
	v_fma_f64 v[112:113], v[82:83], v[104:105], v[112:113]
	v_fma_f64 v[104:105], v[80:81], v[104:105], -v[106:107]
	s_waitcnt vmcnt(6) lgkmcnt(0)
	v_mul_f64 v[124:125], v[96:97], v[10:11]
	v_mul_f64 v[10:11], v[98:99], v[10:11]
	v_add_f64 v[2:3], v[2:3], v[100:101]
	v_add_f64 v[6:7], v[6:7], v[114:115]
	ds_load_b128 v[80:83], v1 offset:576
	ds_load_b128 v[100:103], v1 offset:592
	v_fma_f64 v[98:99], v[98:99], v[8:9], v[124:125]
	v_fma_f64 v[8:9], v[96:97], v[8:9], -v[10:11]
	s_waitcnt vmcnt(5) lgkmcnt(1)
	v_mul_f64 v[106:107], v[80:81], v[122:123]
	v_mul_f64 v[114:115], v[82:83], v[122:123]
	s_waitcnt vmcnt(4) lgkmcnt(0)
	v_mul_f64 v[10:11], v[100:101], v[78:79]
	v_mul_f64 v[96:97], v[102:103], v[78:79]
	v_add_f64 v[2:3], v[2:3], v[104:105]
	v_add_f64 v[6:7], v[6:7], v[112:113]
	v_fma_f64 v[82:83], v[82:83], v[120:121], v[106:107]
	v_fma_f64 v[104:105], v[80:81], v[120:121], -v[114:115]
	v_fma_f64 v[10:11], v[102:103], v[76:77], v[10:11]
	v_fma_f64 v[76:77], v[100:101], v[76:77], -v[96:97]
	v_add_f64 v[2:3], v[2:3], v[8:9]
	v_add_f64 v[98:99], v[6:7], v[98:99]
	ds_load_b128 v[6:9], v1 offset:608
	ds_load_b128 v[78:81], v1 offset:624
	s_waitcnt vmcnt(2) lgkmcnt(1)
	v_mul_f64 v[106:107], v[6:7], v[110:111]
	v_mul_f64 v[110:111], v[8:9], v[110:111]
	s_waitcnt lgkmcnt(0)
	v_mul_f64 v[96:97], v[78:79], v[86:87]
	v_mul_f64 v[86:87], v[80:81], v[86:87]
	v_add_f64 v[2:3], v[2:3], v[104:105]
	v_add_f64 v[82:83], v[98:99], v[82:83]
	v_fma_f64 v[98:99], v[8:9], v[108:109], v[106:107]
	v_fma_f64 v[100:101], v[6:7], v[108:109], -v[110:111]
	v_fma_f64 v[80:81], v[80:81], v[84:85], v[96:97]
	v_fma_f64 v[78:79], v[78:79], v[84:85], -v[86:87]
	v_add_f64 v[76:77], v[2:3], v[76:77]
	v_add_f64 v[10:11], v[82:83], v[10:11]
	ds_load_b128 v[6:9], v1 offset:640
	ds_load_b128 v[1:4], v1 offset:656
	s_waitcnt vmcnt(1) lgkmcnt(1)
	v_mul_f64 v[82:83], v[6:7], v[90:91]
	v_mul_f64 v[90:91], v[8:9], v[90:91]
	s_waitcnt vmcnt(0) lgkmcnt(0)
	v_mul_f64 v[84:85], v[1:2], v[94:95]
	v_mul_f64 v[86:87], v[3:4], v[94:95]
	v_add_f64 v[76:77], v[76:77], v[100:101]
	v_add_f64 v[10:11], v[10:11], v[98:99]
	v_fma_f64 v[8:9], v[8:9], v[88:89], v[82:83]
	v_fma_f64 v[6:7], v[6:7], v[88:89], -v[90:91]
	v_fma_f64 v[3:4], v[3:4], v[92:93], v[84:85]
	v_fma_f64 v[1:2], v[1:2], v[92:93], -v[86:87]
	v_add_f64 v[76:77], v[76:77], v[78:79]
	v_add_f64 v[10:11], v[10:11], v[80:81]
	s_delay_alu instid0(VALU_DEP_2) | instskip(NEXT) | instid1(VALU_DEP_2)
	v_add_f64 v[6:7], v[76:77], v[6:7]
	v_add_f64 v[8:9], v[10:11], v[8:9]
	s_delay_alu instid0(VALU_DEP_2) | instskip(NEXT) | instid1(VALU_DEP_2)
	;; [unrolled: 3-line block ×3, first 2 shown]
	v_add_f64 v[1:2], v[116:117], -v[1:2]
	v_add_f64 v[3:4], v[118:119], -v[3:4]
	scratch_store_b128 off, v[1:4], off offset:64
	v_cmpx_lt_u32_e32 3, v55
	s_cbranch_execz .LBB84_133
; %bb.132:
	scratch_load_b128 v[1:4], v59, off
	v_mov_b32_e32 v6, 0
	s_delay_alu instid0(VALU_DEP_1)
	v_mov_b32_e32 v7, v6
	v_mov_b32_e32 v8, v6
	;; [unrolled: 1-line block ×3, first 2 shown]
	scratch_store_b128 off, v[6:9], off offset:48
	s_waitcnt vmcnt(0)
	ds_store_b128 v5, v[1:4]
.LBB84_133:
	s_or_b32 exec_lo, exec_lo, s2
	s_waitcnt lgkmcnt(0)
	s_waitcnt_vscnt null, 0x0
	s_barrier
	buffer_gl0_inv
	s_clause 0x7
	scratch_load_b128 v[6:9], off, off offset:64
	scratch_load_b128 v[76:79], off, off offset:80
	;; [unrolled: 1-line block ×8, first 2 shown]
	v_mov_b32_e32 v1, 0
	s_mov_b32 s2, exec_lo
	ds_load_b128 v[104:107], v1 offset:400
	s_clause 0x1
	scratch_load_b128 v[108:111], off, off offset:192
	scratch_load_b128 v[112:115], off, off offset:48
	ds_load_b128 v[116:119], v1 offset:416
	ds_load_b128 v[124:127], v1 offset:448
	s_waitcnt vmcnt(9) lgkmcnt(2)
	v_mul_f64 v[2:3], v[106:107], v[8:9]
	v_mul_f64 v[120:121], v[104:105], v[8:9]
	scratch_load_b128 v[8:11], off, off offset:208
	v_fma_f64 v[2:3], v[104:105], v[6:7], -v[2:3]
	v_fma_f64 v[6:7], v[106:107], v[6:7], v[120:121]
	scratch_load_b128 v[120:123], off, off offset:224
	ds_load_b128 v[104:107], v1 offset:432
	s_waitcnt vmcnt(10) lgkmcnt(2)
	v_mul_f64 v[128:129], v[116:117], v[78:79]
	v_mul_f64 v[78:79], v[118:119], v[78:79]
	s_waitcnt vmcnt(9) lgkmcnt(0)
	v_mul_f64 v[130:131], v[104:105], v[82:83]
	v_mul_f64 v[82:83], v[106:107], v[82:83]
	v_add_f64 v[2:3], v[2:3], 0
	v_add_f64 v[6:7], v[6:7], 0
	v_fma_f64 v[118:119], v[118:119], v[76:77], v[128:129]
	v_fma_f64 v[116:117], v[116:117], v[76:77], -v[78:79]
	scratch_load_b128 v[76:79], off, off offset:240
	v_fma_f64 v[130:131], v[106:107], v[80:81], v[130:131]
	v_fma_f64 v[132:133], v[104:105], v[80:81], -v[82:83]
	scratch_load_b128 v[104:107], off, off offset:256
	ds_load_b128 v[80:83], v1 offset:464
	s_waitcnt vmcnt(10)
	v_mul_f64 v[128:129], v[124:125], v[86:87]
	v_mul_f64 v[86:87], v[126:127], v[86:87]
	v_add_f64 v[6:7], v[6:7], v[118:119]
	v_add_f64 v[2:3], v[2:3], v[116:117]
	ds_load_b128 v[116:119], v1 offset:480
	s_waitcnt vmcnt(9) lgkmcnt(1)
	v_mul_f64 v[134:135], v[80:81], v[90:91]
	v_mul_f64 v[90:91], v[82:83], v[90:91]
	v_fma_f64 v[126:127], v[126:127], v[84:85], v[128:129]
	v_fma_f64 v[124:125], v[124:125], v[84:85], -v[86:87]
	scratch_load_b128 v[84:87], off, off offset:272
	v_add_f64 v[6:7], v[6:7], v[130:131]
	v_add_f64 v[2:3], v[2:3], v[132:133]
	v_fma_f64 v[130:131], v[82:83], v[88:89], v[134:135]
	v_fma_f64 v[132:133], v[80:81], v[88:89], -v[90:91]
	scratch_load_b128 v[88:91], off, off offset:288
	ds_load_b128 v[80:83], v1 offset:496
	s_waitcnt vmcnt(10) lgkmcnt(1)
	v_mul_f64 v[128:129], v[116:117], v[94:95]
	v_mul_f64 v[94:95], v[118:119], v[94:95]
	s_waitcnt vmcnt(9) lgkmcnt(0)
	v_mul_f64 v[134:135], v[80:81], v[98:99]
	v_mul_f64 v[98:99], v[82:83], v[98:99]
	v_add_f64 v[6:7], v[6:7], v[126:127]
	v_add_f64 v[2:3], v[2:3], v[124:125]
	ds_load_b128 v[124:127], v1 offset:512
	v_fma_f64 v[118:119], v[118:119], v[92:93], v[128:129]
	v_fma_f64 v[116:117], v[116:117], v[92:93], -v[94:95]
	scratch_load_b128 v[92:95], off, off offset:304
	v_add_f64 v[6:7], v[6:7], v[130:131]
	v_add_f64 v[2:3], v[2:3], v[132:133]
	v_fma_f64 v[130:131], v[82:83], v[96:97], v[134:135]
	v_fma_f64 v[132:133], v[80:81], v[96:97], -v[98:99]
	scratch_load_b128 v[96:99], off, off offset:320
	ds_load_b128 v[80:83], v1 offset:528
	s_waitcnt vmcnt(10) lgkmcnt(1)
	v_mul_f64 v[128:129], v[124:125], v[102:103]
	v_mul_f64 v[102:103], v[126:127], v[102:103]
	s_waitcnt vmcnt(9) lgkmcnt(0)
	v_mul_f64 v[134:135], v[80:81], v[110:111]
	v_mul_f64 v[110:111], v[82:83], v[110:111]
	v_add_f64 v[6:7], v[6:7], v[118:119]
	v_add_f64 v[2:3], v[2:3], v[116:117]
	ds_load_b128 v[116:119], v1 offset:544
	v_fma_f64 v[126:127], v[126:127], v[100:101], v[128:129]
	v_fma_f64 v[100:101], v[124:125], v[100:101], -v[102:103]
	v_fma_f64 v[128:129], v[82:83], v[108:109], v[134:135]
	v_fma_f64 v[108:109], v[80:81], v[108:109], -v[110:111]
	v_add_f64 v[6:7], v[6:7], v[130:131]
	v_add_f64 v[2:3], v[2:3], v[132:133]
	s_waitcnt vmcnt(7) lgkmcnt(0)
	v_mul_f64 v[124:125], v[116:117], v[10:11]
	v_mul_f64 v[10:11], v[118:119], v[10:11]
	s_delay_alu instid0(VALU_DEP_4) | instskip(NEXT) | instid1(VALU_DEP_4)
	v_add_f64 v[6:7], v[6:7], v[126:127]
	v_add_f64 v[2:3], v[2:3], v[100:101]
	ds_load_b128 v[80:83], v1 offset:560
	ds_load_b128 v[100:103], v1 offset:576
	v_fma_f64 v[118:119], v[118:119], v[8:9], v[124:125]
	v_fma_f64 v[8:9], v[116:117], v[8:9], -v[10:11]
	s_waitcnt vmcnt(6) lgkmcnt(1)
	v_mul_f64 v[110:111], v[80:81], v[122:123]
	v_mul_f64 v[122:123], v[82:83], v[122:123]
	v_add_f64 v[6:7], v[6:7], v[128:129]
	v_add_f64 v[2:3], v[2:3], v[108:109]
	s_waitcnt vmcnt(5) lgkmcnt(0)
	v_mul_f64 v[10:11], v[100:101], v[78:79]
	v_mul_f64 v[108:109], v[102:103], v[78:79]
	v_fma_f64 v[82:83], v[82:83], v[120:121], v[110:111]
	v_fma_f64 v[110:111], v[80:81], v[120:121], -v[122:123]
	v_add_f64 v[116:117], v[6:7], v[118:119]
	v_add_f64 v[2:3], v[2:3], v[8:9]
	ds_load_b128 v[6:9], v1 offset:592
	ds_load_b128 v[78:81], v1 offset:608
	v_fma_f64 v[10:11], v[102:103], v[76:77], v[10:11]
	v_fma_f64 v[76:77], v[100:101], v[76:77], -v[108:109]
	s_waitcnt vmcnt(4) lgkmcnt(1)
	v_mul_f64 v[118:119], v[6:7], v[106:107]
	v_mul_f64 v[106:107], v[8:9], v[106:107]
	v_add_f64 v[82:83], v[116:117], v[82:83]
	v_add_f64 v[2:3], v[2:3], v[110:111]
	s_waitcnt vmcnt(3) lgkmcnt(0)
	v_mul_f64 v[108:109], v[78:79], v[86:87]
	v_mul_f64 v[86:87], v[80:81], v[86:87]
	v_fma_f64 v[110:111], v[8:9], v[104:105], v[118:119]
	v_fma_f64 v[104:105], v[6:7], v[104:105], -v[106:107]
	ds_load_b128 v[6:9], v1 offset:624
	ds_load_b128 v[100:103], v1 offset:640
	v_add_f64 v[10:11], v[82:83], v[10:11]
	v_add_f64 v[2:3], v[2:3], v[76:77]
	v_fma_f64 v[80:81], v[80:81], v[84:85], v[108:109]
	s_waitcnt vmcnt(2) lgkmcnt(1)
	v_mul_f64 v[76:77], v[6:7], v[90:91]
	v_mul_f64 v[82:83], v[8:9], v[90:91]
	v_fma_f64 v[78:79], v[78:79], v[84:85], -v[86:87]
	s_waitcnt vmcnt(1) lgkmcnt(0)
	v_mul_f64 v[84:85], v[100:101], v[94:95]
	v_mul_f64 v[86:87], v[102:103], v[94:95]
	v_add_f64 v[10:11], v[10:11], v[110:111]
	v_add_f64 v[2:3], v[2:3], v[104:105]
	v_fma_f64 v[76:77], v[8:9], v[88:89], v[76:77]
	v_fma_f64 v[82:83], v[6:7], v[88:89], -v[82:83]
	ds_load_b128 v[6:9], v1 offset:656
	v_fma_f64 v[84:85], v[102:103], v[92:93], v[84:85]
	v_fma_f64 v[86:87], v[100:101], v[92:93], -v[86:87]
	v_add_f64 v[10:11], v[10:11], v[80:81]
	v_add_f64 v[2:3], v[2:3], v[78:79]
	s_waitcnt vmcnt(0) lgkmcnt(0)
	v_mul_f64 v[78:79], v[6:7], v[98:99]
	v_mul_f64 v[80:81], v[8:9], v[98:99]
	s_delay_alu instid0(VALU_DEP_4) | instskip(NEXT) | instid1(VALU_DEP_4)
	v_add_f64 v[10:11], v[10:11], v[76:77]
	v_add_f64 v[2:3], v[2:3], v[82:83]
	s_delay_alu instid0(VALU_DEP_4) | instskip(NEXT) | instid1(VALU_DEP_4)
	v_fma_f64 v[8:9], v[8:9], v[96:97], v[78:79]
	v_fma_f64 v[6:7], v[6:7], v[96:97], -v[80:81]
	s_delay_alu instid0(VALU_DEP_4) | instskip(NEXT) | instid1(VALU_DEP_4)
	v_add_f64 v[10:11], v[10:11], v[84:85]
	v_add_f64 v[2:3], v[2:3], v[86:87]
	s_delay_alu instid0(VALU_DEP_2) | instskip(NEXT) | instid1(VALU_DEP_2)
	v_add_f64 v[8:9], v[10:11], v[8:9]
	v_add_f64 v[2:3], v[2:3], v[6:7]
	s_delay_alu instid0(VALU_DEP_2) | instskip(NEXT) | instid1(VALU_DEP_2)
	v_add_f64 v[8:9], v[114:115], -v[8:9]
	v_add_f64 v[6:7], v[112:113], -v[2:3]
	scratch_store_b128 off, v[6:9], off offset:48
	v_cmpx_lt_u32_e32 2, v55
	s_cbranch_execz .LBB84_135
; %bb.134:
	scratch_load_b128 v[6:9], v62, off
	v_mov_b32_e32 v2, v1
	v_mov_b32_e32 v3, v1
	;; [unrolled: 1-line block ×3, first 2 shown]
	scratch_store_b128 off, v[1:4], off offset:32
	s_waitcnt vmcnt(0)
	ds_store_b128 v5, v[6:9]
.LBB84_135:
	s_or_b32 exec_lo, exec_lo, s2
	s_waitcnt lgkmcnt(0)
	s_waitcnt_vscnt null, 0x0
	s_barrier
	buffer_gl0_inv
	s_clause 0x8
	scratch_load_b128 v[6:9], off, off offset:48
	scratch_load_b128 v[76:79], off, off offset:64
	;; [unrolled: 1-line block ×9, first 2 shown]
	ds_load_b128 v[108:111], v1 offset:384
	ds_load_b128 v[112:115], v1 offset:400
	scratch_load_b128 v[116:119], off, off offset:32
	s_mov_b32 s2, exec_lo
	ds_load_b128 v[124:127], v1 offset:432
	s_waitcnt vmcnt(9) lgkmcnt(2)
	v_mul_f64 v[2:3], v[110:111], v[8:9]
	v_mul_f64 v[120:121], v[108:109], v[8:9]
	scratch_load_b128 v[8:11], off, off offset:192
	s_waitcnt vmcnt(9) lgkmcnt(1)
	v_mul_f64 v[128:129], v[112:113], v[78:79]
	v_mul_f64 v[78:79], v[114:115], v[78:79]
	v_fma_f64 v[2:3], v[108:109], v[6:7], -v[2:3]
	v_fma_f64 v[6:7], v[110:111], v[6:7], v[120:121]
	ds_load_b128 v[108:111], v1 offset:416
	scratch_load_b128 v[120:123], off, off offset:208
	v_fma_f64 v[114:115], v[114:115], v[76:77], v[128:129]
	v_fma_f64 v[112:113], v[112:113], v[76:77], -v[78:79]
	scratch_load_b128 v[76:79], off, off offset:224
	s_waitcnt vmcnt(9) lgkmcnt(1)
	v_mul_f64 v[128:129], v[124:125], v[86:87]
	v_mul_f64 v[86:87], v[126:127], v[86:87]
	s_waitcnt lgkmcnt(0)
	v_mul_f64 v[130:131], v[108:109], v[82:83]
	v_mul_f64 v[82:83], v[110:111], v[82:83]
	v_add_f64 v[2:3], v[2:3], 0
	v_add_f64 v[6:7], v[6:7], 0
	v_fma_f64 v[126:127], v[126:127], v[84:85], v[128:129]
	v_fma_f64 v[124:125], v[124:125], v[84:85], -v[86:87]
	scratch_load_b128 v[84:87], off, off offset:256
	v_fma_f64 v[130:131], v[110:111], v[80:81], v[130:131]
	v_fma_f64 v[132:133], v[108:109], v[80:81], -v[82:83]
	ds_load_b128 v[80:83], v1 offset:448
	scratch_load_b128 v[108:111], off, off offset:240
	v_add_f64 v[2:3], v[2:3], v[112:113]
	v_add_f64 v[6:7], v[6:7], v[114:115]
	ds_load_b128 v[112:115], v1 offset:464
	s_waitcnt vmcnt(10) lgkmcnt(1)
	v_mul_f64 v[134:135], v[80:81], v[90:91]
	v_mul_f64 v[90:91], v[82:83], v[90:91]
	s_waitcnt vmcnt(9) lgkmcnt(0)
	v_mul_f64 v[128:129], v[112:113], v[94:95]
	v_mul_f64 v[94:95], v[114:115], v[94:95]
	v_add_f64 v[2:3], v[2:3], v[132:133]
	v_add_f64 v[6:7], v[6:7], v[130:131]
	v_fma_f64 v[130:131], v[82:83], v[88:89], v[134:135]
	v_fma_f64 v[132:133], v[80:81], v[88:89], -v[90:91]
	ds_load_b128 v[80:83], v1 offset:480
	scratch_load_b128 v[88:91], off, off offset:272
	v_fma_f64 v[114:115], v[114:115], v[92:93], v[128:129]
	v_fma_f64 v[112:113], v[112:113], v[92:93], -v[94:95]
	scratch_load_b128 v[92:95], off, off offset:288
	v_add_f64 v[2:3], v[2:3], v[124:125]
	v_add_f64 v[6:7], v[6:7], v[126:127]
	ds_load_b128 v[124:127], v1 offset:496
	s_waitcnt vmcnt(10) lgkmcnt(1)
	v_mul_f64 v[134:135], v[80:81], v[98:99]
	v_mul_f64 v[98:99], v[82:83], v[98:99]
	s_waitcnt vmcnt(9) lgkmcnt(0)
	v_mul_f64 v[128:129], v[124:125], v[102:103]
	v_mul_f64 v[102:103], v[126:127], v[102:103]
	v_add_f64 v[2:3], v[2:3], v[132:133]
	v_add_f64 v[6:7], v[6:7], v[130:131]
	v_fma_f64 v[130:131], v[82:83], v[96:97], v[134:135]
	v_fma_f64 v[132:133], v[80:81], v[96:97], -v[98:99]
	ds_load_b128 v[80:83], v1 offset:512
	scratch_load_b128 v[96:99], off, off offset:304
	v_fma_f64 v[126:127], v[126:127], v[100:101], v[128:129]
	v_fma_f64 v[124:125], v[124:125], v[100:101], -v[102:103]
	scratch_load_b128 v[100:103], off, off offset:320
	v_add_f64 v[2:3], v[2:3], v[112:113]
	v_add_f64 v[6:7], v[6:7], v[114:115]
	ds_load_b128 v[112:115], v1 offset:528
	s_waitcnt vmcnt(10) lgkmcnt(1)
	v_mul_f64 v[134:135], v[80:81], v[106:107]
	v_mul_f64 v[106:107], v[82:83], v[106:107]
	v_add_f64 v[2:3], v[2:3], v[132:133]
	v_add_f64 v[6:7], v[6:7], v[130:131]
	s_delay_alu instid0(VALU_DEP_4) | instskip(NEXT) | instid1(VALU_DEP_4)
	v_fma_f64 v[130:131], v[82:83], v[104:105], v[134:135]
	v_fma_f64 v[132:133], v[80:81], v[104:105], -v[106:107]
	ds_load_b128 v[80:83], v1 offset:544
	ds_load_b128 v[104:107], v1 offset:560
	s_waitcnt vmcnt(8) lgkmcnt(2)
	v_mul_f64 v[128:129], v[112:113], v[10:11]
	v_mul_f64 v[10:11], v[114:115], v[10:11]
	v_add_f64 v[2:3], v[2:3], v[124:125]
	v_add_f64 v[6:7], v[6:7], v[126:127]
	s_delay_alu instid0(VALU_DEP_4)
	v_fma_f64 v[114:115], v[114:115], v[8:9], v[128:129]
	s_waitcnt vmcnt(7) lgkmcnt(1)
	v_mul_f64 v[124:125], v[80:81], v[122:123]
	v_mul_f64 v[122:123], v[82:83], v[122:123]
	v_fma_f64 v[8:9], v[112:113], v[8:9], -v[10:11]
	s_waitcnt vmcnt(6) lgkmcnt(0)
	v_mul_f64 v[10:11], v[104:105], v[78:79]
	v_mul_f64 v[112:113], v[106:107], v[78:79]
	v_add_f64 v[2:3], v[2:3], v[132:133]
	v_add_f64 v[6:7], v[6:7], v[130:131]
	v_fma_f64 v[82:83], v[82:83], v[120:121], v[124:125]
	v_fma_f64 v[120:121], v[80:81], v[120:121], -v[122:123]
	v_fma_f64 v[10:11], v[106:107], v[76:77], v[10:11]
	v_fma_f64 v[76:77], v[104:105], v[76:77], -v[112:113]
	v_add_f64 v[2:3], v[2:3], v[8:9]
	v_add_f64 v[114:115], v[6:7], v[114:115]
	ds_load_b128 v[6:9], v1 offset:576
	ds_load_b128 v[78:81], v1 offset:592
	s_waitcnt vmcnt(4) lgkmcnt(1)
	v_mul_f64 v[122:123], v[6:7], v[110:111]
	v_mul_f64 v[110:111], v[8:9], v[110:111]
	s_waitcnt lgkmcnt(0)
	v_mul_f64 v[112:113], v[78:79], v[86:87]
	v_mul_f64 v[86:87], v[80:81], v[86:87]
	v_add_f64 v[2:3], v[2:3], v[120:121]
	v_add_f64 v[82:83], v[114:115], v[82:83]
	v_fma_f64 v[114:115], v[8:9], v[108:109], v[122:123]
	v_fma_f64 v[108:109], v[6:7], v[108:109], -v[110:111]
	ds_load_b128 v[6:9], v1 offset:608
	ds_load_b128 v[104:107], v1 offset:624
	v_fma_f64 v[80:81], v[80:81], v[84:85], v[112:113]
	v_fma_f64 v[78:79], v[78:79], v[84:85], -v[86:87]
	v_add_f64 v[2:3], v[2:3], v[76:77]
	v_add_f64 v[10:11], v[82:83], v[10:11]
	s_waitcnt vmcnt(3) lgkmcnt(1)
	v_mul_f64 v[76:77], v[6:7], v[90:91]
	v_mul_f64 v[82:83], v[8:9], v[90:91]
	s_waitcnt vmcnt(2) lgkmcnt(0)
	v_mul_f64 v[84:85], v[104:105], v[94:95]
	v_mul_f64 v[86:87], v[106:107], v[94:95]
	v_add_f64 v[2:3], v[2:3], v[108:109]
	v_add_f64 v[10:11], v[10:11], v[114:115]
	v_fma_f64 v[76:77], v[8:9], v[88:89], v[76:77]
	v_fma_f64 v[82:83], v[6:7], v[88:89], -v[82:83]
	v_fma_f64 v[84:85], v[106:107], v[92:93], v[84:85]
	v_fma_f64 v[86:87], v[104:105], v[92:93], -v[86:87]
	v_add_f64 v[78:79], v[2:3], v[78:79]
	v_add_f64 v[10:11], v[10:11], v[80:81]
	ds_load_b128 v[6:9], v1 offset:640
	ds_load_b128 v[1:4], v1 offset:656
	s_waitcnt vmcnt(1) lgkmcnt(1)
	v_mul_f64 v[80:81], v[6:7], v[98:99]
	v_mul_f64 v[88:89], v[8:9], v[98:99]
	v_add_f64 v[78:79], v[78:79], v[82:83]
	v_add_f64 v[10:11], v[10:11], v[76:77]
	s_waitcnt vmcnt(0) lgkmcnt(0)
	v_mul_f64 v[76:77], v[1:2], v[102:103]
	v_mul_f64 v[82:83], v[3:4], v[102:103]
	v_fma_f64 v[8:9], v[8:9], v[96:97], v[80:81]
	v_fma_f64 v[6:7], v[6:7], v[96:97], -v[88:89]
	v_add_f64 v[78:79], v[78:79], v[86:87]
	v_add_f64 v[10:11], v[10:11], v[84:85]
	v_fma_f64 v[3:4], v[3:4], v[100:101], v[76:77]
	v_fma_f64 v[1:2], v[1:2], v[100:101], -v[82:83]
	s_delay_alu instid0(VALU_DEP_4) | instskip(NEXT) | instid1(VALU_DEP_4)
	v_add_f64 v[6:7], v[78:79], v[6:7]
	v_add_f64 v[8:9], v[10:11], v[8:9]
	s_delay_alu instid0(VALU_DEP_2) | instskip(NEXT) | instid1(VALU_DEP_2)
	v_add_f64 v[1:2], v[6:7], v[1:2]
	v_add_f64 v[3:4], v[8:9], v[3:4]
	s_delay_alu instid0(VALU_DEP_2) | instskip(NEXT) | instid1(VALU_DEP_2)
	v_add_f64 v[1:2], v[116:117], -v[1:2]
	v_add_f64 v[3:4], v[118:119], -v[3:4]
	scratch_store_b128 off, v[1:4], off offset:32
	v_cmpx_lt_u32_e32 1, v55
	s_cbranch_execz .LBB84_137
; %bb.136:
	scratch_load_b128 v[1:4], v64, off
	v_mov_b32_e32 v6, 0
	s_delay_alu instid0(VALU_DEP_1)
	v_mov_b32_e32 v7, v6
	v_mov_b32_e32 v8, v6
	;; [unrolled: 1-line block ×3, first 2 shown]
	scratch_store_b128 off, v[6:9], off offset:16
	s_waitcnt vmcnt(0)
	ds_store_b128 v5, v[1:4]
.LBB84_137:
	s_or_b32 exec_lo, exec_lo, s2
	s_waitcnt lgkmcnt(0)
	s_waitcnt_vscnt null, 0x0
	s_barrier
	buffer_gl0_inv
	s_clause 0x7
	scratch_load_b128 v[6:9], off, off offset:32
	scratch_load_b128 v[76:79], off, off offset:48
	;; [unrolled: 1-line block ×8, first 2 shown]
	v_mov_b32_e32 v1, 0
	s_mov_b32 s2, exec_lo
	ds_load_b128 v[104:107], v1 offset:368
	s_clause 0x1
	scratch_load_b128 v[108:111], off, off offset:160
	scratch_load_b128 v[112:115], off, off offset:16
	ds_load_b128 v[116:119], v1 offset:384
	ds_load_b128 v[124:127], v1 offset:416
	s_waitcnt vmcnt(9) lgkmcnt(2)
	v_mul_f64 v[2:3], v[106:107], v[8:9]
	v_mul_f64 v[120:121], v[104:105], v[8:9]
	scratch_load_b128 v[8:11], off, off offset:176
	v_fma_f64 v[2:3], v[104:105], v[6:7], -v[2:3]
	v_fma_f64 v[6:7], v[106:107], v[6:7], v[120:121]
	scratch_load_b128 v[120:123], off, off offset:192
	ds_load_b128 v[104:107], v1 offset:400
	s_waitcnt vmcnt(10) lgkmcnt(2)
	v_mul_f64 v[128:129], v[116:117], v[78:79]
	v_mul_f64 v[78:79], v[118:119], v[78:79]
	s_waitcnt vmcnt(9) lgkmcnt(0)
	v_mul_f64 v[130:131], v[104:105], v[82:83]
	v_mul_f64 v[82:83], v[106:107], v[82:83]
	v_add_f64 v[2:3], v[2:3], 0
	v_add_f64 v[6:7], v[6:7], 0
	v_fma_f64 v[118:119], v[118:119], v[76:77], v[128:129]
	v_fma_f64 v[116:117], v[116:117], v[76:77], -v[78:79]
	scratch_load_b128 v[76:79], off, off offset:208
	v_fma_f64 v[130:131], v[106:107], v[80:81], v[130:131]
	v_fma_f64 v[132:133], v[104:105], v[80:81], -v[82:83]
	scratch_load_b128 v[104:107], off, off offset:224
	ds_load_b128 v[80:83], v1 offset:432
	s_waitcnt vmcnt(10)
	v_mul_f64 v[128:129], v[124:125], v[86:87]
	v_mul_f64 v[86:87], v[126:127], v[86:87]
	v_add_f64 v[6:7], v[6:7], v[118:119]
	v_add_f64 v[2:3], v[2:3], v[116:117]
	ds_load_b128 v[116:119], v1 offset:448
	s_waitcnt vmcnt(9) lgkmcnt(1)
	v_mul_f64 v[134:135], v[80:81], v[90:91]
	v_mul_f64 v[90:91], v[82:83], v[90:91]
	v_fma_f64 v[126:127], v[126:127], v[84:85], v[128:129]
	v_fma_f64 v[124:125], v[124:125], v[84:85], -v[86:87]
	scratch_load_b128 v[84:87], off, off offset:240
	v_add_f64 v[6:7], v[6:7], v[130:131]
	v_add_f64 v[2:3], v[2:3], v[132:133]
	v_fma_f64 v[130:131], v[82:83], v[88:89], v[134:135]
	v_fma_f64 v[132:133], v[80:81], v[88:89], -v[90:91]
	scratch_load_b128 v[88:91], off, off offset:256
	ds_load_b128 v[80:83], v1 offset:464
	s_waitcnt vmcnt(10) lgkmcnt(1)
	v_mul_f64 v[128:129], v[116:117], v[94:95]
	v_mul_f64 v[94:95], v[118:119], v[94:95]
	s_waitcnt vmcnt(9) lgkmcnt(0)
	v_mul_f64 v[134:135], v[80:81], v[98:99]
	v_mul_f64 v[98:99], v[82:83], v[98:99]
	v_add_f64 v[6:7], v[6:7], v[126:127]
	v_add_f64 v[2:3], v[2:3], v[124:125]
	ds_load_b128 v[124:127], v1 offset:480
	v_fma_f64 v[118:119], v[118:119], v[92:93], v[128:129]
	v_fma_f64 v[116:117], v[116:117], v[92:93], -v[94:95]
	scratch_load_b128 v[92:95], off, off offset:272
	v_add_f64 v[6:7], v[6:7], v[130:131]
	v_add_f64 v[2:3], v[2:3], v[132:133]
	v_fma_f64 v[130:131], v[82:83], v[96:97], v[134:135]
	v_fma_f64 v[132:133], v[80:81], v[96:97], -v[98:99]
	scratch_load_b128 v[96:99], off, off offset:288
	ds_load_b128 v[80:83], v1 offset:496
	s_waitcnt vmcnt(10) lgkmcnt(1)
	v_mul_f64 v[128:129], v[124:125], v[102:103]
	v_mul_f64 v[102:103], v[126:127], v[102:103]
	s_waitcnt vmcnt(9) lgkmcnt(0)
	v_mul_f64 v[134:135], v[80:81], v[110:111]
	v_mul_f64 v[110:111], v[82:83], v[110:111]
	v_add_f64 v[6:7], v[6:7], v[118:119]
	v_add_f64 v[2:3], v[2:3], v[116:117]
	ds_load_b128 v[116:119], v1 offset:512
	v_fma_f64 v[126:127], v[126:127], v[100:101], v[128:129]
	v_fma_f64 v[124:125], v[124:125], v[100:101], -v[102:103]
	scratch_load_b128 v[100:103], off, off offset:304
	v_add_f64 v[6:7], v[6:7], v[130:131]
	v_add_f64 v[2:3], v[2:3], v[132:133]
	v_fma_f64 v[130:131], v[82:83], v[108:109], v[134:135]
	v_fma_f64 v[132:133], v[80:81], v[108:109], -v[110:111]
	scratch_load_b128 v[108:111], off, off offset:320
	ds_load_b128 v[80:83], v1 offset:528
	s_waitcnt vmcnt(9) lgkmcnt(1)
	v_mul_f64 v[128:129], v[116:117], v[10:11]
	v_mul_f64 v[10:11], v[118:119], v[10:11]
	v_add_f64 v[6:7], v[6:7], v[126:127]
	v_add_f64 v[2:3], v[2:3], v[124:125]
	ds_load_b128 v[124:127], v1 offset:544
	s_waitcnt vmcnt(8) lgkmcnt(1)
	v_mul_f64 v[134:135], v[80:81], v[122:123]
	v_mul_f64 v[122:123], v[82:83], v[122:123]
	v_fma_f64 v[118:119], v[118:119], v[8:9], v[128:129]
	v_fma_f64 v[8:9], v[116:117], v[8:9], -v[10:11]
	v_add_f64 v[6:7], v[6:7], v[130:131]
	v_add_f64 v[2:3], v[2:3], v[132:133]
	v_fma_f64 v[82:83], v[82:83], v[120:121], v[134:135]
	v_fma_f64 v[120:121], v[80:81], v[120:121], -v[122:123]
	s_waitcnt vmcnt(7) lgkmcnt(0)
	v_mul_f64 v[10:11], v[124:125], v[78:79]
	v_mul_f64 v[116:117], v[126:127], v[78:79]
	v_add_f64 v[118:119], v[6:7], v[118:119]
	v_add_f64 v[2:3], v[2:3], v[8:9]
	ds_load_b128 v[6:9], v1 offset:560
	ds_load_b128 v[78:81], v1 offset:576
	v_fma_f64 v[10:11], v[126:127], v[76:77], v[10:11]
	v_fma_f64 v[76:77], v[124:125], v[76:77], -v[116:117]
	s_waitcnt vmcnt(6) lgkmcnt(1)
	v_mul_f64 v[122:123], v[6:7], v[106:107]
	v_mul_f64 v[106:107], v[8:9], v[106:107]
	v_add_f64 v[82:83], v[118:119], v[82:83]
	v_add_f64 v[2:3], v[2:3], v[120:121]
	s_waitcnt vmcnt(5) lgkmcnt(0)
	v_mul_f64 v[116:117], v[78:79], v[86:87]
	v_mul_f64 v[86:87], v[80:81], v[86:87]
	v_fma_f64 v[118:119], v[8:9], v[104:105], v[122:123]
	v_fma_f64 v[120:121], v[6:7], v[104:105], -v[106:107]
	ds_load_b128 v[6:9], v1 offset:592
	ds_load_b128 v[104:107], v1 offset:608
	v_add_f64 v[10:11], v[82:83], v[10:11]
	v_add_f64 v[2:3], v[2:3], v[76:77]
	v_fma_f64 v[80:81], v[80:81], v[84:85], v[116:117]
	s_waitcnt vmcnt(4) lgkmcnt(1)
	v_mul_f64 v[76:77], v[6:7], v[90:91]
	v_mul_f64 v[82:83], v[8:9], v[90:91]
	v_fma_f64 v[78:79], v[78:79], v[84:85], -v[86:87]
	s_waitcnt vmcnt(3) lgkmcnt(0)
	v_mul_f64 v[84:85], v[104:105], v[94:95]
	v_mul_f64 v[86:87], v[106:107], v[94:95]
	v_add_f64 v[10:11], v[10:11], v[118:119]
	v_add_f64 v[2:3], v[2:3], v[120:121]
	v_fma_f64 v[90:91], v[8:9], v[88:89], v[76:77]
	v_fma_f64 v[82:83], v[6:7], v[88:89], -v[82:83]
	v_fma_f64 v[84:85], v[106:107], v[92:93], v[84:85]
	v_fma_f64 v[86:87], v[104:105], v[92:93], -v[86:87]
	v_add_f64 v[10:11], v[10:11], v[80:81]
	v_add_f64 v[2:3], v[2:3], v[78:79]
	ds_load_b128 v[6:9], v1 offset:624
	ds_load_b128 v[76:79], v1 offset:640
	s_waitcnt vmcnt(2) lgkmcnt(1)
	v_mul_f64 v[80:81], v[6:7], v[98:99]
	v_mul_f64 v[88:89], v[8:9], v[98:99]
	v_add_f64 v[10:11], v[10:11], v[90:91]
	v_add_f64 v[2:3], v[2:3], v[82:83]
	s_waitcnt vmcnt(1) lgkmcnt(0)
	v_mul_f64 v[82:83], v[76:77], v[102:103]
	v_mul_f64 v[90:91], v[78:79], v[102:103]
	v_fma_f64 v[80:81], v[8:9], v[96:97], v[80:81]
	v_fma_f64 v[88:89], v[6:7], v[96:97], -v[88:89]
	ds_load_b128 v[6:9], v1 offset:656
	v_add_f64 v[10:11], v[10:11], v[84:85]
	v_add_f64 v[2:3], v[2:3], v[86:87]
	v_fma_f64 v[78:79], v[78:79], v[100:101], v[82:83]
	v_fma_f64 v[76:77], v[76:77], v[100:101], -v[90:91]
	s_waitcnt vmcnt(0) lgkmcnt(0)
	v_mul_f64 v[84:85], v[6:7], v[110:111]
	v_mul_f64 v[86:87], v[8:9], v[110:111]
	v_add_f64 v[10:11], v[10:11], v[80:81]
	v_add_f64 v[2:3], v[2:3], v[88:89]
	s_delay_alu instid0(VALU_DEP_4) | instskip(NEXT) | instid1(VALU_DEP_4)
	v_fma_f64 v[8:9], v[8:9], v[108:109], v[84:85]
	v_fma_f64 v[6:7], v[6:7], v[108:109], -v[86:87]
	s_delay_alu instid0(VALU_DEP_4) | instskip(NEXT) | instid1(VALU_DEP_4)
	v_add_f64 v[10:11], v[10:11], v[78:79]
	v_add_f64 v[2:3], v[2:3], v[76:77]
	s_delay_alu instid0(VALU_DEP_2) | instskip(NEXT) | instid1(VALU_DEP_2)
	v_add_f64 v[8:9], v[10:11], v[8:9]
	v_add_f64 v[2:3], v[2:3], v[6:7]
	s_delay_alu instid0(VALU_DEP_2) | instskip(NEXT) | instid1(VALU_DEP_2)
	v_add_f64 v[8:9], v[114:115], -v[8:9]
	v_add_f64 v[6:7], v[112:113], -v[2:3]
	scratch_store_b128 off, v[6:9], off offset:16
	v_cmpx_ne_u32_e32 0, v55
	s_cbranch_execz .LBB84_139
; %bb.138:
	scratch_load_b128 v[6:9], off, off
	v_mov_b32_e32 v2, v1
	v_mov_b32_e32 v3, v1
	;; [unrolled: 1-line block ×3, first 2 shown]
	scratch_store_b128 off, v[1:4], off
	s_waitcnt vmcnt(0)
	ds_store_b128 v5, v[6:9]
.LBB84_139:
	s_or_b32 exec_lo, exec_lo, s2
	s_waitcnt lgkmcnt(0)
	s_waitcnt_vscnt null, 0x0
	s_barrier
	buffer_gl0_inv
	s_clause 0x8
	scratch_load_b128 v[2:5], off, off offset:16
	scratch_load_b128 v[6:9], off, off offset:32
	scratch_load_b128 v[76:79], off, off offset:48
	scratch_load_b128 v[80:83], off, off offset:64
	scratch_load_b128 v[84:87], off, off offset:80
	scratch_load_b128 v[88:91], off, off offset:96
	scratch_load_b128 v[92:95], off, off offset:112
	scratch_load_b128 v[96:99], off, off offset:128
	scratch_load_b128 v[100:103], off, off offset:144
	ds_load_b128 v[104:107], v1 offset:352
	ds_load_b128 v[108:111], v1 offset:368
	s_clause 0x1
	scratch_load_b128 v[112:115], off, off
	scratch_load_b128 v[116:119], off, off offset:160
	s_and_b32 vcc_lo, exec_lo, s14
	s_waitcnt vmcnt(10) lgkmcnt(1)
	v_mul_f64 v[10:11], v[106:107], v[4:5]
	v_mul_f64 v[4:5], v[104:105], v[4:5]
	s_waitcnt vmcnt(9) lgkmcnt(0)
	v_mul_f64 v[120:121], v[108:109], v[8:9]
	v_mul_f64 v[122:123], v[110:111], v[8:9]
	s_delay_alu instid0(VALU_DEP_4) | instskip(NEXT) | instid1(VALU_DEP_4)
	v_fma_f64 v[124:125], v[104:105], v[2:3], -v[10:11]
	v_fma_f64 v[126:127], v[106:107], v[2:3], v[4:5]
	ds_load_b128 v[2:5], v1 offset:384
	ds_load_b128 v[104:107], v1 offset:400
	scratch_load_b128 v[8:11], off, off offset:176
	v_fma_f64 v[120:121], v[110:111], v[6:7], v[120:121]
	v_fma_f64 v[6:7], v[108:109], v[6:7], -v[122:123]
	scratch_load_b128 v[108:111], off, off offset:192
	s_waitcnt vmcnt(10) lgkmcnt(1)
	v_mul_f64 v[128:129], v[2:3], v[78:79]
	v_mul_f64 v[78:79], v[4:5], v[78:79]
	v_add_f64 v[122:123], v[124:125], 0
	v_add_f64 v[124:125], v[126:127], 0
	s_waitcnt vmcnt(9) lgkmcnt(0)
	v_mul_f64 v[126:127], v[104:105], v[82:83]
	v_mul_f64 v[82:83], v[106:107], v[82:83]
	v_fma_f64 v[128:129], v[4:5], v[76:77], v[128:129]
	v_fma_f64 v[130:131], v[2:3], v[76:77], -v[78:79]
	ds_load_b128 v[2:5], v1 offset:416
	scratch_load_b128 v[76:79], off, off offset:208
	v_add_f64 v[6:7], v[122:123], v[6:7]
	v_add_f64 v[124:125], v[124:125], v[120:121]
	ds_load_b128 v[120:123], v1 offset:432
	v_fma_f64 v[106:107], v[106:107], v[80:81], v[126:127]
	v_fma_f64 v[104:105], v[104:105], v[80:81], -v[82:83]
	scratch_load_b128 v[80:83], off, off offset:224
	s_waitcnt vmcnt(10) lgkmcnt(1)
	v_mul_f64 v[132:133], v[2:3], v[86:87]
	v_mul_f64 v[86:87], v[4:5], v[86:87]
	s_waitcnt vmcnt(9) lgkmcnt(0)
	v_mul_f64 v[126:127], v[120:121], v[90:91]
	v_mul_f64 v[90:91], v[122:123], v[90:91]
	v_add_f64 v[6:7], v[6:7], v[130:131]
	v_add_f64 v[124:125], v[124:125], v[128:129]
	v_fma_f64 v[128:129], v[4:5], v[84:85], v[132:133]
	v_fma_f64 v[130:131], v[2:3], v[84:85], -v[86:87]
	ds_load_b128 v[2:5], v1 offset:448
	scratch_load_b128 v[84:87], off, off offset:240
	v_fma_f64 v[122:123], v[122:123], v[88:89], v[126:127]
	v_fma_f64 v[120:121], v[120:121], v[88:89], -v[90:91]
	scratch_load_b128 v[88:91], off, off offset:256
	v_add_f64 v[6:7], v[6:7], v[104:105]
	v_add_f64 v[124:125], v[124:125], v[106:107]
	ds_load_b128 v[104:107], v1 offset:464
	s_waitcnt vmcnt(10) lgkmcnt(1)
	v_mul_f64 v[132:133], v[2:3], v[94:95]
	v_mul_f64 v[94:95], v[4:5], v[94:95]
	s_waitcnt vmcnt(9) lgkmcnt(0)
	v_mul_f64 v[126:127], v[104:105], v[98:99]
	v_mul_f64 v[98:99], v[106:107], v[98:99]
	v_add_f64 v[6:7], v[6:7], v[130:131]
	v_add_f64 v[124:125], v[124:125], v[128:129]
	v_fma_f64 v[128:129], v[4:5], v[92:93], v[132:133]
	v_fma_f64 v[130:131], v[2:3], v[92:93], -v[94:95]
	ds_load_b128 v[2:5], v1 offset:480
	scratch_load_b128 v[92:95], off, off offset:272
	v_fma_f64 v[106:107], v[106:107], v[96:97], v[126:127]
	v_fma_f64 v[104:105], v[104:105], v[96:97], -v[98:99]
	scratch_load_b128 v[96:99], off, off offset:288
	v_add_f64 v[6:7], v[6:7], v[120:121]
	v_add_f64 v[124:125], v[124:125], v[122:123]
	ds_load_b128 v[120:123], v1 offset:496
	;; [unrolled: 18-line block ×3, first 2 shown]
	s_waitcnt vmcnt(9) lgkmcnt(1)
	v_mul_f64 v[132:133], v[2:3], v[10:11]
	v_mul_f64 v[10:11], v[4:5], v[10:11]
	s_waitcnt vmcnt(8) lgkmcnt(0)
	v_mul_f64 v[126:127], v[104:105], v[110:111]
	v_mul_f64 v[110:111], v[106:107], v[110:111]
	v_add_f64 v[6:7], v[6:7], v[130:131]
	v_add_f64 v[124:125], v[124:125], v[128:129]
	v_fma_f64 v[128:129], v[4:5], v[8:9], v[132:133]
	v_fma_f64 v[10:11], v[2:3], v[8:9], -v[10:11]
	v_fma_f64 v[106:107], v[106:107], v[108:109], v[126:127]
	v_fma_f64 v[104:105], v[104:105], v[108:109], -v[110:111]
	v_add_f64 v[120:121], v[6:7], v[120:121]
	v_add_f64 v[122:123], v[124:125], v[122:123]
	ds_load_b128 v[2:5], v1 offset:544
	ds_load_b128 v[6:9], v1 offset:560
	s_waitcnt vmcnt(7) lgkmcnt(1)
	v_mul_f64 v[124:125], v[2:3], v[78:79]
	v_mul_f64 v[78:79], v[4:5], v[78:79]
	s_waitcnt vmcnt(6) lgkmcnt(0)
	v_mul_f64 v[110:111], v[6:7], v[82:83]
	v_mul_f64 v[82:83], v[8:9], v[82:83]
	v_add_f64 v[10:11], v[120:121], v[10:11]
	v_add_f64 v[108:109], v[122:123], v[128:129]
	v_fma_f64 v[120:121], v[4:5], v[76:77], v[124:125]
	v_fma_f64 v[122:123], v[2:3], v[76:77], -v[78:79]
	ds_load_b128 v[2:5], v1 offset:576
	ds_load_b128 v[76:79], v1 offset:592
	v_fma_f64 v[8:9], v[8:9], v[80:81], v[110:111]
	v_fma_f64 v[6:7], v[6:7], v[80:81], -v[82:83]
	v_add_f64 v[10:11], v[10:11], v[104:105]
	v_add_f64 v[104:105], v[108:109], v[106:107]
	s_waitcnt vmcnt(5) lgkmcnt(1)
	v_mul_f64 v[106:107], v[2:3], v[86:87]
	v_mul_f64 v[86:87], v[4:5], v[86:87]
	s_waitcnt vmcnt(4) lgkmcnt(0)
	v_mul_f64 v[82:83], v[76:77], v[90:91]
	v_mul_f64 v[90:91], v[78:79], v[90:91]
	v_add_f64 v[10:11], v[10:11], v[122:123]
	v_add_f64 v[80:81], v[104:105], v[120:121]
	v_fma_f64 v[104:105], v[4:5], v[84:85], v[106:107]
	v_fma_f64 v[84:85], v[2:3], v[84:85], -v[86:87]
	v_fma_f64 v[78:79], v[78:79], v[88:89], v[82:83]
	v_fma_f64 v[76:77], v[76:77], v[88:89], -v[90:91]
	v_add_f64 v[10:11], v[10:11], v[6:7]
	v_add_f64 v[80:81], v[80:81], v[8:9]
	ds_load_b128 v[2:5], v1 offset:608
	ds_load_b128 v[6:9], v1 offset:624
	s_waitcnt vmcnt(3) lgkmcnt(1)
	v_mul_f64 v[86:87], v[2:3], v[94:95]
	v_mul_f64 v[94:95], v[4:5], v[94:95]
	s_waitcnt vmcnt(2) lgkmcnt(0)
	v_mul_f64 v[82:83], v[6:7], v[98:99]
	v_add_f64 v[10:11], v[10:11], v[84:85]
	v_add_f64 v[80:81], v[80:81], v[104:105]
	v_mul_f64 v[84:85], v[8:9], v[98:99]
	v_fma_f64 v[86:87], v[4:5], v[92:93], v[86:87]
	v_fma_f64 v[88:89], v[2:3], v[92:93], -v[94:95]
	v_fma_f64 v[8:9], v[8:9], v[96:97], v[82:83]
	v_add_f64 v[10:11], v[10:11], v[76:77]
	v_add_f64 v[80:81], v[80:81], v[78:79]
	ds_load_b128 v[2:5], v1 offset:640
	ds_load_b128 v[76:79], v1 offset:656
	v_fma_f64 v[6:7], v[6:7], v[96:97], -v[84:85]
	s_waitcnt vmcnt(1) lgkmcnt(1)
	v_mul_f64 v[90:91], v[2:3], v[102:103]
	v_mul_f64 v[92:93], v[4:5], v[102:103]
	s_waitcnt vmcnt(0) lgkmcnt(0)
	v_mul_f64 v[82:83], v[76:77], v[118:119]
	v_mul_f64 v[84:85], v[78:79], v[118:119]
	v_add_f64 v[10:11], v[10:11], v[88:89]
	v_add_f64 v[80:81], v[80:81], v[86:87]
	v_fma_f64 v[4:5], v[4:5], v[100:101], v[90:91]
	v_fma_f64 v[1:2], v[2:3], v[100:101], -v[92:93]
	v_fma_f64 v[76:77], v[76:77], v[116:117], -v[84:85]
	v_add_f64 v[6:7], v[10:11], v[6:7]
	v_add_f64 v[8:9], v[80:81], v[8:9]
	v_fma_f64 v[10:11], v[78:79], v[116:117], v[82:83]
	s_delay_alu instid0(VALU_DEP_3) | instskip(NEXT) | instid1(VALU_DEP_3)
	v_add_f64 v[1:2], v[6:7], v[1:2]
	v_add_f64 v[3:4], v[8:9], v[4:5]
	s_delay_alu instid0(VALU_DEP_2) | instskip(NEXT) | instid1(VALU_DEP_2)
	v_add_f64 v[1:2], v[1:2], v[76:77]
	v_add_f64 v[3:4], v[3:4], v[10:11]
	s_delay_alu instid0(VALU_DEP_2) | instskip(NEXT) | instid1(VALU_DEP_2)
	v_add_f64 v[1:2], v[112:113], -v[1:2]
	v_add_f64 v[3:4], v[114:115], -v[3:4]
	scratch_store_b128 off, v[1:4], off
	s_cbranch_vccz .LBB84_181
; %bb.140:
	v_dual_mov_b32 v1, s8 :: v_dual_mov_b32 v2, s9
	s_load_b64 s[0:1], s[0:1], 0x4
	flat_load_b32 v1, v[1:2] offset:76
	v_bfe_u32 v2, v0, 10, 10
	v_bfe_u32 v0, v0, 20, 10
	s_waitcnt lgkmcnt(0)
	s_lshr_b32 s0, s0, 16
	s_delay_alu instid0(VALU_DEP_2) | instskip(SKIP_1) | instid1(SALU_CYCLE_1)
	v_mul_u32_u24_e32 v2, s1, v2
	s_mul_i32 s0, s0, s1
	v_mul_u32_u24_e32 v3, s0, v55
	s_mov_b32 s0, exec_lo
	s_delay_alu instid0(VALU_DEP_1) | instskip(NEXT) | instid1(VALU_DEP_1)
	v_add3_u32 v0, v3, v2, v0
	v_lshl_add_u32 v0, v0, 4, 0x2a8
	s_waitcnt vmcnt(0)
	v_cmpx_ne_u32_e32 20, v1
	s_cbranch_execz .LBB84_142
; %bb.141:
	v_lshl_add_u32 v9, v1, 4, 0
	s_clause 0x1
	scratch_load_b128 v[1:4], v75, off
	scratch_load_b128 v[5:8], v9, off offset:-16
	s_waitcnt vmcnt(1)
	ds_store_2addr_b64 v0, v[1:2], v[3:4] offset1:1
	s_waitcnt vmcnt(0)
	s_clause 0x1
	scratch_store_b128 v75, v[5:8], off
	scratch_store_b128 v9, v[1:4], off offset:-16
.LBB84_142:
	s_or_b32 exec_lo, exec_lo, s0
	v_dual_mov_b32 v1, s8 :: v_dual_mov_b32 v2, s9
	s_mov_b32 s0, exec_lo
	flat_load_b32 v1, v[1:2] offset:72
	s_waitcnt vmcnt(0) lgkmcnt(0)
	v_cmpx_ne_u32_e32 19, v1
	s_cbranch_execz .LBB84_144
; %bb.143:
	v_lshl_add_u32 v9, v1, 4, 0
	s_clause 0x1
	scratch_load_b128 v[1:4], v74, off
	scratch_load_b128 v[5:8], v9, off offset:-16
	s_waitcnt vmcnt(1)
	ds_store_2addr_b64 v0, v[1:2], v[3:4] offset1:1
	s_waitcnt vmcnt(0)
	s_clause 0x1
	scratch_store_b128 v74, v[5:8], off
	scratch_store_b128 v9, v[1:4], off offset:-16
.LBB84_144:
	s_or_b32 exec_lo, exec_lo, s0
	v_dual_mov_b32 v1, s8 :: v_dual_mov_b32 v2, s9
	s_mov_b32 s0, exec_lo
	flat_load_b32 v1, v[1:2] offset:68
	s_waitcnt vmcnt(0) lgkmcnt(0)
	;; [unrolled: 19-line block ×18, first 2 shown]
	v_cmpx_ne_u32_e32 2, v1
	s_cbranch_execz .LBB84_178
; %bb.177:
	v_lshl_add_u32 v9, v1, 4, 0
	s_clause 0x1
	scratch_load_b128 v[1:4], v64, off
	scratch_load_b128 v[5:8], v9, off offset:-16
	s_waitcnt vmcnt(1)
	ds_store_2addr_b64 v0, v[1:2], v[3:4] offset1:1
	s_waitcnt vmcnt(0)
	s_clause 0x1
	scratch_store_b128 v64, v[5:8], off
	scratch_store_b128 v9, v[1:4], off offset:-16
.LBB84_178:
	s_or_b32 exec_lo, exec_lo, s0
	v_dual_mov_b32 v1, s8 :: v_dual_mov_b32 v2, s9
	s_mov_b32 s0, exec_lo
	flat_load_b32 v1, v[1:2]
	s_waitcnt vmcnt(0) lgkmcnt(0)
	v_cmpx_ne_u32_e32 1, v1
	s_cbranch_execz .LBB84_180
; %bb.179:
	v_lshl_add_u32 v9, v1, 4, 0
	scratch_load_b128 v[1:4], off, off
	scratch_load_b128 v[5:8], v9, off offset:-16
	s_waitcnt vmcnt(1)
	ds_store_2addr_b64 v0, v[1:2], v[3:4] offset1:1
	s_waitcnt vmcnt(0)
	scratch_store_b128 off, v[5:8], off
	scratch_store_b128 v9, v[1:4], off offset:-16
.LBB84_180:
	s_or_b32 exec_lo, exec_lo, s0
.LBB84_181:
	scratch_load_b128 v[0:3], off, off
	s_clause 0x13
	scratch_load_b128 v[4:7], v64, off
	scratch_load_b128 v[8:11], v62, off
	scratch_load_b128 v[76:79], v59, off
	scratch_load_b128 v[80:83], v56, off
	scratch_load_b128 v[84:87], v61, off
	scratch_load_b128 v[88:91], v58, off
	scratch_load_b128 v[58:61], v60, off
	scratch_load_b128 v[92:95], v57, off
	scratch_load_b128 v[96:99], v66, off
	scratch_load_b128 v[100:103], v63, off
	scratch_load_b128 v[62:65], v65, off
	scratch_load_b128 v[104:107], v68, off
	scratch_load_b128 v[108:111], v67, off
	scratch_load_b128 v[112:115], v70, off
	scratch_load_b128 v[66:69], v69, off
	scratch_load_b128 v[116:119], v72, off
	scratch_load_b128 v[120:123], v71, off
	scratch_load_b128 v[124:127], v74, off
	scratch_load_b128 v[128:131], v75, off
	scratch_load_b128 v[70:73], v73, off
	s_waitcnt vmcnt(20)
	global_store_b128 v[13:14], v[0:3], off
	s_waitcnt vmcnt(19)
	global_store_b128 v[15:16], v[4:7], off
	s_waitcnt vmcnt(18)
	global_store_b128 v[17:18], v[8:11], off
	s_waitcnt vmcnt(17)
	global_store_b128 v[19:20], v[76:79], off
	s_waitcnt vmcnt(16)
	global_store_b128 v[21:22], v[80:83], off
	s_waitcnt vmcnt(15)
	global_store_b128 v[23:24], v[84:87], off
	s_waitcnt vmcnt(14)
	global_store_b128 v[25:26], v[88:91], off
	s_waitcnt vmcnt(13)
	global_store_b128 v[27:28], v[58:61], off
	s_waitcnt vmcnt(12)
	global_store_b128 v[29:30], v[92:95], off
	s_waitcnt vmcnt(11)
	global_store_b128 v[31:32], v[96:99], off
	s_waitcnt vmcnt(10)
	global_store_b128 v[33:34], v[100:103], off
	s_waitcnt vmcnt(9)
	global_store_b128 v[35:36], v[62:65], off
	s_waitcnt vmcnt(8)
	global_store_b128 v[37:38], v[104:107], off
	s_waitcnt vmcnt(7)
	global_store_b128 v[39:40], v[108:111], off
	s_waitcnt vmcnt(6)
	global_store_b128 v[41:42], v[112:115], off
	s_waitcnt vmcnt(5)
	global_store_b128 v[43:44], v[66:69], off
	s_waitcnt vmcnt(4)
	global_store_b128 v[45:46], v[116:119], off
	s_waitcnt vmcnt(3)
	global_store_b128 v[47:48], v[120:123], off
	s_waitcnt vmcnt(2)
	global_store_b128 v[49:50], v[124:127], off
	s_waitcnt vmcnt(1)
	global_store_b128 v[51:52], v[128:131], off
	s_waitcnt vmcnt(0)
	global_store_b128 v[53:54], v[70:73], off
	s_endpgm
	.section	.rodata,"a",@progbits
	.p2align	6, 0x0
	.amdhsa_kernel _ZN9rocsolver6v33100L18getri_kernel_smallILi21E19rocblas_complex_numIdEPKPS3_EEvT1_iilPiilS8_bb
		.amdhsa_group_segment_fixed_size 1704
		.amdhsa_private_segment_fixed_size 352
		.amdhsa_kernarg_size 60
		.amdhsa_user_sgpr_count 15
		.amdhsa_user_sgpr_dispatch_ptr 1
		.amdhsa_user_sgpr_queue_ptr 0
		.amdhsa_user_sgpr_kernarg_segment_ptr 1
		.amdhsa_user_sgpr_dispatch_id 0
		.amdhsa_user_sgpr_private_segment_size 0
		.amdhsa_wavefront_size32 1
		.amdhsa_uses_dynamic_stack 0
		.amdhsa_enable_private_segment 1
		.amdhsa_system_sgpr_workgroup_id_x 1
		.amdhsa_system_sgpr_workgroup_id_y 0
		.amdhsa_system_sgpr_workgroup_id_z 0
		.amdhsa_system_sgpr_workgroup_info 0
		.amdhsa_system_vgpr_workitem_id 2
		.amdhsa_next_free_vgpr 136
		.amdhsa_next_free_sgpr 19
		.amdhsa_reserve_vcc 1
		.amdhsa_float_round_mode_32 0
		.amdhsa_float_round_mode_16_64 0
		.amdhsa_float_denorm_mode_32 3
		.amdhsa_float_denorm_mode_16_64 3
		.amdhsa_dx10_clamp 1
		.amdhsa_ieee_mode 1
		.amdhsa_fp16_overflow 0
		.amdhsa_workgroup_processor_mode 1
		.amdhsa_memory_ordered 1
		.amdhsa_forward_progress 0
		.amdhsa_shared_vgpr_count 0
		.amdhsa_exception_fp_ieee_invalid_op 0
		.amdhsa_exception_fp_denorm_src 0
		.amdhsa_exception_fp_ieee_div_zero 0
		.amdhsa_exception_fp_ieee_overflow 0
		.amdhsa_exception_fp_ieee_underflow 0
		.amdhsa_exception_fp_ieee_inexact 0
		.amdhsa_exception_int_div_zero 0
	.end_amdhsa_kernel
	.section	.text._ZN9rocsolver6v33100L18getri_kernel_smallILi21E19rocblas_complex_numIdEPKPS3_EEvT1_iilPiilS8_bb,"axG",@progbits,_ZN9rocsolver6v33100L18getri_kernel_smallILi21E19rocblas_complex_numIdEPKPS3_EEvT1_iilPiilS8_bb,comdat
.Lfunc_end84:
	.size	_ZN9rocsolver6v33100L18getri_kernel_smallILi21E19rocblas_complex_numIdEPKPS3_EEvT1_iilPiilS8_bb, .Lfunc_end84-_ZN9rocsolver6v33100L18getri_kernel_smallILi21E19rocblas_complex_numIdEPKPS3_EEvT1_iilPiilS8_bb
                                        ; -- End function
	.section	.AMDGPU.csdata,"",@progbits
; Kernel info:
; codeLenInByte = 27612
; NumSgprs: 21
; NumVgprs: 136
; ScratchSize: 352
; MemoryBound: 0
; FloatMode: 240
; IeeeMode: 1
; LDSByteSize: 1704 bytes/workgroup (compile time only)
; SGPRBlocks: 2
; VGPRBlocks: 16
; NumSGPRsForWavesPerEU: 21
; NumVGPRsForWavesPerEU: 136
; Occupancy: 10
; WaveLimiterHint : 1
; COMPUTE_PGM_RSRC2:SCRATCH_EN: 1
; COMPUTE_PGM_RSRC2:USER_SGPR: 15
; COMPUTE_PGM_RSRC2:TRAP_HANDLER: 0
; COMPUTE_PGM_RSRC2:TGID_X_EN: 1
; COMPUTE_PGM_RSRC2:TGID_Y_EN: 0
; COMPUTE_PGM_RSRC2:TGID_Z_EN: 0
; COMPUTE_PGM_RSRC2:TIDIG_COMP_CNT: 2
	.section	.text._ZN9rocsolver6v33100L18getri_kernel_smallILi22E19rocblas_complex_numIdEPKPS3_EEvT1_iilPiilS8_bb,"axG",@progbits,_ZN9rocsolver6v33100L18getri_kernel_smallILi22E19rocblas_complex_numIdEPKPS3_EEvT1_iilPiilS8_bb,comdat
	.globl	_ZN9rocsolver6v33100L18getri_kernel_smallILi22E19rocblas_complex_numIdEPKPS3_EEvT1_iilPiilS8_bb ; -- Begin function _ZN9rocsolver6v33100L18getri_kernel_smallILi22E19rocblas_complex_numIdEPKPS3_EEvT1_iilPiilS8_bb
	.p2align	8
	.type	_ZN9rocsolver6v33100L18getri_kernel_smallILi22E19rocblas_complex_numIdEPKPS3_EEvT1_iilPiilS8_bb,@function
_ZN9rocsolver6v33100L18getri_kernel_smallILi22E19rocblas_complex_numIdEPKPS3_EEvT1_iilPiilS8_bb: ; @_ZN9rocsolver6v33100L18getri_kernel_smallILi22E19rocblas_complex_numIdEPKPS3_EEvT1_iilPiilS8_bb
; %bb.0:
	v_and_b32_e32 v57, 0x3ff, v0
	s_mov_b32 s4, exec_lo
	s_delay_alu instid0(VALU_DEP_1)
	v_cmpx_gt_u32_e32 22, v57
	s_cbranch_execz .LBB85_102
; %bb.1:
	s_mov_b32 s10, s15
	s_clause 0x2
	s_load_b32 s15, s[2:3], 0x38
	s_load_b64 s[8:9], s[2:3], 0x0
	s_load_b128 s[4:7], s[2:3], 0x28
	s_waitcnt lgkmcnt(0)
	s_bitcmp1_b32 s15, 8
	s_cselect_b32 s14, -1, 0
	s_ashr_i32 s11, s10, 31
	s_delay_alu instid0(SALU_CYCLE_1) | instskip(NEXT) | instid1(SALU_CYCLE_1)
	s_lshl_b64 s[12:13], s[10:11], 3
	s_add_u32 s8, s8, s12
	s_addc_u32 s9, s9, s13
	s_load_b64 s[12:13], s[8:9], 0x0
	s_bfe_u32 s8, s15, 0x10008
	s_delay_alu instid0(SALU_CYCLE_1)
	s_cmp_eq_u32 s8, 0
                                        ; implicit-def: $sgpr8_sgpr9
	s_cbranch_scc1 .LBB85_3
; %bb.2:
	s_clause 0x1
	s_load_b32 s8, s[2:3], 0x20
	s_load_b64 s[16:17], s[2:3], 0x18
	s_mul_i32 s5, s10, s5
	s_mul_hi_u32 s9, s10, s4
	s_mul_i32 s18, s11, s4
	s_add_i32 s5, s9, s5
	s_mul_i32 s4, s10, s4
	s_add_i32 s5, s5, s18
	s_delay_alu instid0(SALU_CYCLE_1)
	s_lshl_b64 s[4:5], s[4:5], 2
	s_waitcnt lgkmcnt(0)
	s_ashr_i32 s9, s8, 31
	s_add_u32 s16, s16, s4
	s_addc_u32 s17, s17, s5
	s_lshl_b64 s[4:5], s[8:9], 2
	s_delay_alu instid0(SALU_CYCLE_1)
	s_add_u32 s8, s16, s4
	s_addc_u32 s9, s17, s5
.LBB85_3:
	s_load_b64 s[2:3], s[2:3], 0x8
	v_lshlrev_b32_e32 v79, 4, v57
	s_waitcnt lgkmcnt(0)
	v_add3_u32 v5, s3, s3, v57
	s_ashr_i32 s5, s2, 31
	s_mov_b32 s4, s2
	s_mov_b32 s16, s3
	s_lshl_b64 s[4:5], s[4:5], 4
	v_add_nc_u32_e32 v7, s3, v5
	v_ashrrev_i32_e32 v6, 31, v5
	s_add_u32 s4, s12, s4
	s_addc_u32 s5, s13, s5
	v_add_co_u32 v13, s2, s4, v79
	v_add_nc_u32_e32 v9, s3, v7
	v_ashrrev_i32_e32 v8, 31, v7
	s_ashr_i32 s17, s3, 31
	v_add_co_ci_u32_e64 v14, null, s5, 0, s2
	s_delay_alu instid0(VALU_DEP_3)
	v_add_nc_u32_e32 v21, s3, v9
	v_lshlrev_b64 v[5:6], 4, v[5:6]
	s_lshl_b64 s[12:13], s[16:17], 4
	v_ashrrev_i32_e32 v10, 31, v9
	v_add_co_u32 v15, vcc_lo, v13, s12
	v_add_nc_u32_e32 v23, s3, v21
	v_lshlrev_b64 v[19:20], 4, v[7:8]
	v_ashrrev_i32_e32 v22, 31, v21
	v_add_co_ci_u32_e32 v16, vcc_lo, s13, v14, vcc_lo
	s_delay_alu instid0(VALU_DEP_4) | instskip(SKIP_3) | instid1(VALU_DEP_4)
	v_add_nc_u32_e32 v25, s3, v23
	v_add_co_u32 v17, vcc_lo, s4, v5
	v_lshlrev_b64 v[26:27], 4, v[9:10]
	v_add_co_ci_u32_e32 v18, vcc_lo, s5, v6, vcc_lo
	v_add_nc_u32_e32 v28, s3, v25
	v_add_co_u32 v19, vcc_lo, s4, v19
	v_lshlrev_b64 v[29:30], 4, v[21:22]
	v_ashrrev_i32_e32 v24, 31, v23
	s_delay_alu instid0(VALU_DEP_4) | instskip(SKIP_2) | instid1(VALU_DEP_3)
	v_add_nc_u32_e32 v31, s3, v28
	v_add_co_ci_u32_e32 v20, vcc_lo, s5, v20, vcc_lo
	v_add_co_u32 v21, vcc_lo, s4, v26
	v_add_nc_u32_e32 v33, s3, v31
	v_ashrrev_i32_e32 v26, 31, v25
	v_add_co_ci_u32_e32 v22, vcc_lo, s5, v27, vcc_lo
	v_lshlrev_b64 v[34:35], 4, v[23:24]
	s_delay_alu instid0(VALU_DEP_4) | instskip(SKIP_3) | instid1(VALU_DEP_4)
	v_add_nc_u32_e32 v36, s3, v33
	v_add_co_u32 v23, vcc_lo, s4, v29
	v_ashrrev_i32_e32 v29, 31, v28
	v_lshlrev_b64 v[37:38], 4, v[25:26]
	v_add_nc_u32_e32 v39, s3, v36
	v_ashrrev_i32_e32 v32, 31, v31
	v_add_co_ci_u32_e32 v24, vcc_lo, s5, v30, vcc_lo
	v_add_co_u32 v25, vcc_lo, s4, v34
	s_delay_alu instid0(VALU_DEP_4) | instskip(SKIP_3) | instid1(VALU_DEP_4)
	v_add_nc_u32_e32 v41, s3, v39
	v_lshlrev_b64 v[29:30], 4, v[28:29]
	v_ashrrev_i32_e32 v34, 31, v33
	v_add_co_ci_u32_e32 v26, vcc_lo, s5, v35, vcc_lo
	v_add_nc_u32_e32 v43, s3, v41
	v_add_co_u32 v27, vcc_lo, s4, v37
	v_lshlrev_b64 v[31:32], 4, v[31:32]
	v_ashrrev_i32_e32 v37, 31, v36
	s_delay_alu instid0(VALU_DEP_4) | instskip(SKIP_2) | instid1(VALU_DEP_3)
	v_add_nc_u32_e32 v45, s3, v43
	v_add_co_ci_u32_e32 v28, vcc_lo, s5, v38, vcc_lo
	v_add_co_u32 v29, vcc_lo, s4, v29
	v_add_nc_u32_e32 v47, s3, v45
	v_lshlrev_b64 v[33:34], 4, v[33:34]
	v_ashrrev_i32_e32 v40, 31, v39
	v_add_co_ci_u32_e32 v30, vcc_lo, s5, v30, vcc_lo
	s_delay_alu instid0(VALU_DEP_4) | instskip(SKIP_3) | instid1(VALU_DEP_4)
	v_add_nc_u32_e32 v49, s3, v47
	v_add_co_u32 v31, vcc_lo, s4, v31
	v_lshlrev_b64 v[35:36], 4, v[36:37]
	v_ashrrev_i32_e32 v42, 31, v41
	v_add_nc_u32_e32 v51, s3, v49
	v_add_co_ci_u32_e32 v32, vcc_lo, s5, v32, vcc_lo
	v_add_co_u32 v33, vcc_lo, s4, v33
	s_delay_alu instid0(VALU_DEP_3) | instskip(SKIP_3) | instid1(VALU_DEP_4)
	v_add_nc_u32_e32 v53, s3, v51
	v_lshlrev_b64 v[37:38], 4, v[39:40]
	v_ashrrev_i32_e32 v44, 31, v43
	v_add_co_ci_u32_e32 v34, vcc_lo, s5, v34, vcc_lo
	v_add_nc_u32_e32 v55, s3, v53
	v_lshlrev_b64 v[39:40], 4, v[41:42]
	v_add_co_u32 v35, vcc_lo, s4, v35
	v_add_co_ci_u32_e32 v36, vcc_lo, s5, v36, vcc_lo
	s_delay_alu instid0(VALU_DEP_4) | instskip(SKIP_3) | instid1(VALU_DEP_4)
	v_add_nc_u32_e32 v41, s3, v55
	v_add_co_u32 v37, vcc_lo, s4, v37
	v_lshlrev_b64 v[43:44], 4, v[43:44]
	v_add_co_ci_u32_e32 v38, vcc_lo, s5, v38, vcc_lo
	v_ashrrev_i32_e32 v42, 31, v41
	v_ashrrev_i32_e32 v46, 31, v45
	v_add_co_u32 v39, vcc_lo, s4, v39
	v_add_co_ci_u32_e32 v40, vcc_lo, s5, v40, vcc_lo
	s_delay_alu instid0(VALU_DEP_4)
	v_lshlrev_b64 v[128:129], 4, v[41:42]
	v_ashrrev_i32_e32 v48, 31, v47
	v_add_co_u32 v41, vcc_lo, s4, v43
	v_add_co_ci_u32_e32 v42, vcc_lo, s5, v44, vcc_lo
	v_lshlrev_b64 v[43:44], 4, v[45:46]
	v_ashrrev_i32_e32 v50, 31, v49
	v_lshlrev_b64 v[45:46], 4, v[47:48]
	v_ashrrev_i32_e32 v52, 31, v51
	v_ashrrev_i32_e32 v54, 31, v53
	global_load_b128 v[1:4], v79, s[4:5]
	v_add_co_u32 v43, vcc_lo, s4, v43
	v_lshlrev_b64 v[47:48], 4, v[49:50]
	v_add_co_ci_u32_e32 v44, vcc_lo, s5, v44, vcc_lo
	s_clause 0x7
	global_load_b128 v[5:8], v[15:16], off
	global_load_b128 v[9:12], v[17:18], off
	;; [unrolled: 1-line block ×8, first 2 shown]
	v_add_co_u32 v45, vcc_lo, s4, v45
	v_lshlrev_b64 v[49:50], 4, v[51:52]
	s_clause 0x1
	global_load_b128 v[84:87], v[31:32], off
	global_load_b128 v[88:91], v[33:34], off
	v_ashrrev_i32_e32 v56, 31, v55
	v_add_co_ci_u32_e32 v46, vcc_lo, s5, v46, vcc_lo
	v_add_co_u32 v47, vcc_lo, s4, v47
	v_lshlrev_b64 v[51:52], 4, v[53:54]
	v_add_co_ci_u32_e32 v48, vcc_lo, s5, v48, vcc_lo
	v_add_co_u32 v49, vcc_lo, s4, v49
	v_lshlrev_b64 v[53:54], 4, v[55:56]
	v_add_co_ci_u32_e32 v50, vcc_lo, s5, v50, vcc_lo
	v_add_co_u32 v51, vcc_lo, s4, v51
	v_add_co_ci_u32_e32 v52, vcc_lo, s5, v52, vcc_lo
	s_delay_alu instid0(VALU_DEP_4)
	v_add_co_u32 v53, vcc_lo, s4, v53
	v_add_co_ci_u32_e32 v54, vcc_lo, s5, v54, vcc_lo
	v_add_co_u32 v55, vcc_lo, s4, v128
	v_add_co_ci_u32_e32 v56, vcc_lo, s5, v129, vcc_lo
	s_clause 0xa
	global_load_b128 v[92:95], v[35:36], off
	global_load_b128 v[96:99], v[37:38], off
	;; [unrolled: 1-line block ×11, first 2 shown]
	s_movk_i32 s2, 0x50
	s_movk_i32 s3, 0x60
	s_bitcmp0_b32 s15, 0
	s_waitcnt vmcnt(21)
	scratch_store_b128 off, v[1:4], off
	s_waitcnt vmcnt(20)
	scratch_store_b128 off, v[5:8], off offset:16
	s_waitcnt vmcnt(19)
	scratch_store_b128 off, v[9:12], off offset:32
	;; [unrolled: 2-line block ×9, first 2 shown]
	v_add_nc_u32_e64 v63, s2, 0
	s_movk_i32 s2, 0x70
	v_add_nc_u32_e64 v58, s3, 0
	s_movk_i32 s3, 0x80
	;; [unrolled: 2-line block ×9, first 2 shown]
	v_add_nc_u32_e64 v72, s3, 0
	v_add_nc_u32_e64 v71, s2, 0
	s_movk_i32 s2, 0x100
	s_movk_i32 s3, 0x110
	v_add_nc_u32_e64 v74, s2, 0
	v_add_nc_u32_e64 v73, s3, 0
	s_movk_i32 s2, 0x120
	s_movk_i32 s3, 0x130
	;; [unrolled: 4-line block ×3, first 2 shown]
	v_add_nc_u32_e64 v65, 0, 16
	v_add_nc_u32_e64 v60, 0, 32
	;; [unrolled: 1-line block ×6, first 2 shown]
	s_mov_b32 s3, -1
	s_waitcnt vmcnt(11)
	scratch_store_b128 off, v[88:91], off offset:160
	s_waitcnt vmcnt(10)
	scratch_store_b128 off, v[92:95], off offset:176
	;; [unrolled: 2-line block ×12, first 2 shown]
	s_cbranch_scc1 .LBB85_100
; %bb.4:
	v_cmp_eq_u32_e64 s2, 0, v57
	s_delay_alu instid0(VALU_DEP_1)
	s_and_saveexec_b32 s3, s2
	s_cbranch_execz .LBB85_6
; %bb.5:
	v_mov_b32_e32 v1, 0
	ds_store_b32 v1, v1 offset:704
.LBB85_6:
	s_or_b32 exec_lo, exec_lo, s3
	s_waitcnt lgkmcnt(0)
	s_waitcnt_vscnt null, 0x0
	s_barrier
	buffer_gl0_inv
	scratch_load_b128 v[1:4], v79, off
	s_waitcnt vmcnt(0)
	v_cmp_eq_f64_e32 vcc_lo, 0, v[1:2]
	v_cmp_eq_f64_e64 s3, 0, v[3:4]
	s_delay_alu instid0(VALU_DEP_1) | instskip(NEXT) | instid1(SALU_CYCLE_1)
	s_and_b32 s3, vcc_lo, s3
	s_and_saveexec_b32 s4, s3
	s_cbranch_execz .LBB85_10
; %bb.7:
	v_mov_b32_e32 v1, 0
	s_mov_b32 s5, 0
	ds_load_b32 v2, v1 offset:704
	s_waitcnt lgkmcnt(0)
	v_readfirstlane_b32 s3, v2
	v_add_nc_u32_e32 v2, 1, v57
	s_delay_alu instid0(VALU_DEP_2) | instskip(NEXT) | instid1(VALU_DEP_1)
	s_cmp_eq_u32 s3, 0
	v_cmp_gt_i32_e32 vcc_lo, s3, v2
	s_cselect_b32 s12, -1, 0
	s_delay_alu instid0(SALU_CYCLE_1) | instskip(NEXT) | instid1(SALU_CYCLE_1)
	s_or_b32 s12, s12, vcc_lo
	s_and_b32 exec_lo, exec_lo, s12
	s_cbranch_execz .LBB85_10
; %bb.8:
	v_mov_b32_e32 v3, s3
.LBB85_9:                               ; =>This Inner Loop Header: Depth=1
	ds_cmpstore_rtn_b32 v3, v1, v2, v3 offset:704
	s_waitcnt lgkmcnt(0)
	v_cmp_ne_u32_e32 vcc_lo, 0, v3
	v_cmp_le_i32_e64 s3, v3, v2
	s_delay_alu instid0(VALU_DEP_1) | instskip(NEXT) | instid1(SALU_CYCLE_1)
	s_and_b32 s3, vcc_lo, s3
	s_and_b32 s3, exec_lo, s3
	s_delay_alu instid0(SALU_CYCLE_1) | instskip(NEXT) | instid1(SALU_CYCLE_1)
	s_or_b32 s5, s3, s5
	s_and_not1_b32 exec_lo, exec_lo, s5
	s_cbranch_execnz .LBB85_9
.LBB85_10:
	s_or_b32 exec_lo, exec_lo, s4
	v_mov_b32_e32 v1, 0
	s_barrier
	buffer_gl0_inv
	ds_load_b32 v2, v1 offset:704
	s_and_saveexec_b32 s3, s2
	s_cbranch_execz .LBB85_12
; %bb.11:
	s_lshl_b64 s[4:5], s[10:11], 2
	s_delay_alu instid0(SALU_CYCLE_1)
	s_add_u32 s4, s6, s4
	s_addc_u32 s5, s7, s5
	s_waitcnt lgkmcnt(0)
	global_store_b32 v1, v2, s[4:5]
.LBB85_12:
	s_or_b32 exec_lo, exec_lo, s3
	s_waitcnt lgkmcnt(0)
	v_cmp_ne_u32_e32 vcc_lo, 0, v2
	s_mov_b32 s3, 0
	s_cbranch_vccnz .LBB85_100
; %bb.13:
	v_add_nc_u32_e32 v80, 0, v79
                                        ; implicit-def: $vgpr9_vgpr10
	scratch_load_b128 v[1:4], v80, off
	s_waitcnt vmcnt(0)
	v_mov_b32_e32 v5, v1
	v_cmp_gt_f64_e32 vcc_lo, 0, v[1:2]
	v_xor_b32_e32 v6, 0x80000000, v2
	v_xor_b32_e32 v7, 0x80000000, v4
	s_delay_alu instid0(VALU_DEP_2) | instskip(SKIP_1) | instid1(VALU_DEP_3)
	v_cndmask_b32_e32 v6, v2, v6, vcc_lo
	v_cmp_gt_f64_e32 vcc_lo, 0, v[3:4]
	v_dual_cndmask_b32 v8, v4, v7 :: v_dual_mov_b32 v7, v3
	s_delay_alu instid0(VALU_DEP_1) | instskip(SKIP_1) | instid1(SALU_CYCLE_1)
	v_cmp_ngt_f64_e32 vcc_lo, v[5:6], v[7:8]
                                        ; implicit-def: $vgpr5_vgpr6
	s_and_saveexec_b32 s3, vcc_lo
	s_xor_b32 s3, exec_lo, s3
	s_cbranch_execz .LBB85_15
; %bb.14:
	v_div_scale_f64 v[5:6], null, v[3:4], v[3:4], v[1:2]
	v_div_scale_f64 v[11:12], vcc_lo, v[1:2], v[3:4], v[1:2]
	s_delay_alu instid0(VALU_DEP_2) | instskip(SKIP_2) | instid1(VALU_DEP_1)
	v_rcp_f64_e32 v[7:8], v[5:6]
	s_waitcnt_depctr 0xfff
	v_fma_f64 v[9:10], -v[5:6], v[7:8], 1.0
	v_fma_f64 v[7:8], v[7:8], v[9:10], v[7:8]
	s_delay_alu instid0(VALU_DEP_1) | instskip(NEXT) | instid1(VALU_DEP_1)
	v_fma_f64 v[9:10], -v[5:6], v[7:8], 1.0
	v_fma_f64 v[7:8], v[7:8], v[9:10], v[7:8]
	s_delay_alu instid0(VALU_DEP_1) | instskip(NEXT) | instid1(VALU_DEP_1)
	v_mul_f64 v[9:10], v[11:12], v[7:8]
	v_fma_f64 v[5:6], -v[5:6], v[9:10], v[11:12]
	s_delay_alu instid0(VALU_DEP_1) | instskip(NEXT) | instid1(VALU_DEP_1)
	v_div_fmas_f64 v[5:6], v[5:6], v[7:8], v[9:10]
	v_div_fixup_f64 v[5:6], v[5:6], v[3:4], v[1:2]
	s_delay_alu instid0(VALU_DEP_1) | instskip(NEXT) | instid1(VALU_DEP_1)
	v_fma_f64 v[1:2], v[1:2], v[5:6], v[3:4]
	v_div_scale_f64 v[3:4], null, v[1:2], v[1:2], 1.0
	v_div_scale_f64 v[11:12], vcc_lo, 1.0, v[1:2], 1.0
	s_delay_alu instid0(VALU_DEP_2) | instskip(SKIP_2) | instid1(VALU_DEP_1)
	v_rcp_f64_e32 v[7:8], v[3:4]
	s_waitcnt_depctr 0xfff
	v_fma_f64 v[9:10], -v[3:4], v[7:8], 1.0
	v_fma_f64 v[7:8], v[7:8], v[9:10], v[7:8]
	s_delay_alu instid0(VALU_DEP_1) | instskip(NEXT) | instid1(VALU_DEP_1)
	v_fma_f64 v[9:10], -v[3:4], v[7:8], 1.0
	v_fma_f64 v[7:8], v[7:8], v[9:10], v[7:8]
	s_delay_alu instid0(VALU_DEP_1) | instskip(NEXT) | instid1(VALU_DEP_1)
	v_mul_f64 v[9:10], v[11:12], v[7:8]
	v_fma_f64 v[3:4], -v[3:4], v[9:10], v[11:12]
	s_delay_alu instid0(VALU_DEP_1) | instskip(NEXT) | instid1(VALU_DEP_1)
	v_div_fmas_f64 v[3:4], v[3:4], v[7:8], v[9:10]
	v_div_fixup_f64 v[7:8], v[3:4], v[1:2], 1.0
                                        ; implicit-def: $vgpr1_vgpr2
	s_delay_alu instid0(VALU_DEP_1) | instskip(SKIP_1) | instid1(VALU_DEP_2)
	v_mul_f64 v[5:6], v[5:6], v[7:8]
	v_xor_b32_e32 v8, 0x80000000, v8
	v_xor_b32_e32 v10, 0x80000000, v6
	s_delay_alu instid0(VALU_DEP_3)
	v_mov_b32_e32 v9, v5
.LBB85_15:
	s_and_not1_saveexec_b32 s3, s3
	s_cbranch_execz .LBB85_17
; %bb.16:
	v_div_scale_f64 v[5:6], null, v[1:2], v[1:2], v[3:4]
	v_div_scale_f64 v[11:12], vcc_lo, v[3:4], v[1:2], v[3:4]
	s_delay_alu instid0(VALU_DEP_2) | instskip(SKIP_2) | instid1(VALU_DEP_1)
	v_rcp_f64_e32 v[7:8], v[5:6]
	s_waitcnt_depctr 0xfff
	v_fma_f64 v[9:10], -v[5:6], v[7:8], 1.0
	v_fma_f64 v[7:8], v[7:8], v[9:10], v[7:8]
	s_delay_alu instid0(VALU_DEP_1) | instskip(NEXT) | instid1(VALU_DEP_1)
	v_fma_f64 v[9:10], -v[5:6], v[7:8], 1.0
	v_fma_f64 v[7:8], v[7:8], v[9:10], v[7:8]
	s_delay_alu instid0(VALU_DEP_1) | instskip(NEXT) | instid1(VALU_DEP_1)
	v_mul_f64 v[9:10], v[11:12], v[7:8]
	v_fma_f64 v[5:6], -v[5:6], v[9:10], v[11:12]
	s_delay_alu instid0(VALU_DEP_1) | instskip(NEXT) | instid1(VALU_DEP_1)
	v_div_fmas_f64 v[5:6], v[5:6], v[7:8], v[9:10]
	v_div_fixup_f64 v[7:8], v[5:6], v[1:2], v[3:4]
	s_delay_alu instid0(VALU_DEP_1) | instskip(NEXT) | instid1(VALU_DEP_1)
	v_fma_f64 v[1:2], v[3:4], v[7:8], v[1:2]
	v_div_scale_f64 v[3:4], null, v[1:2], v[1:2], 1.0
	s_delay_alu instid0(VALU_DEP_1) | instskip(SKIP_2) | instid1(VALU_DEP_1)
	v_rcp_f64_e32 v[5:6], v[3:4]
	s_waitcnt_depctr 0xfff
	v_fma_f64 v[9:10], -v[3:4], v[5:6], 1.0
	v_fma_f64 v[5:6], v[5:6], v[9:10], v[5:6]
	s_delay_alu instid0(VALU_DEP_1) | instskip(NEXT) | instid1(VALU_DEP_1)
	v_fma_f64 v[9:10], -v[3:4], v[5:6], 1.0
	v_fma_f64 v[5:6], v[5:6], v[9:10], v[5:6]
	v_div_scale_f64 v[9:10], vcc_lo, 1.0, v[1:2], 1.0
	s_delay_alu instid0(VALU_DEP_1) | instskip(NEXT) | instid1(VALU_DEP_1)
	v_mul_f64 v[11:12], v[9:10], v[5:6]
	v_fma_f64 v[3:4], -v[3:4], v[11:12], v[9:10]
	s_delay_alu instid0(VALU_DEP_1) | instskip(NEXT) | instid1(VALU_DEP_1)
	v_div_fmas_f64 v[3:4], v[3:4], v[5:6], v[11:12]
	v_div_fixup_f64 v[5:6], v[3:4], v[1:2], 1.0
	s_delay_alu instid0(VALU_DEP_1)
	v_mul_f64 v[7:8], v[7:8], -v[5:6]
	v_xor_b32_e32 v10, 0x80000000, v6
	v_mov_b32_e32 v9, v5
.LBB85_17:
	s_or_b32 exec_lo, exec_lo, s3
	scratch_store_b128 v80, v[5:8], off
	scratch_load_b128 v[1:4], v65, off
	v_xor_b32_e32 v12, 0x80000000, v8
	v_mov_b32_e32 v11, v7
	v_add_nc_u32_e32 v5, 0x160, v79
	ds_store_b128 v79, v[9:12]
	s_waitcnt vmcnt(0)
	ds_store_b128 v79, v[1:4] offset:352
	s_waitcnt lgkmcnt(0)
	s_waitcnt_vscnt null, 0x0
	s_barrier
	buffer_gl0_inv
	s_and_saveexec_b32 s3, s2
	s_cbranch_execz .LBB85_19
; %bb.18:
	scratch_load_b128 v[1:4], v80, off
	ds_load_b128 v[6:9], v5
	v_mov_b32_e32 v10, 0
	ds_load_b128 v[81:84], v10 offset:16
	s_waitcnt vmcnt(0) lgkmcnt(1)
	v_mul_f64 v[10:11], v[6:7], v[3:4]
	v_mul_f64 v[3:4], v[8:9], v[3:4]
	s_delay_alu instid0(VALU_DEP_2) | instskip(NEXT) | instid1(VALU_DEP_2)
	v_fma_f64 v[8:9], v[8:9], v[1:2], v[10:11]
	v_fma_f64 v[1:2], v[6:7], v[1:2], -v[3:4]
	s_delay_alu instid0(VALU_DEP_2) | instskip(NEXT) | instid1(VALU_DEP_2)
	v_add_f64 v[3:4], v[8:9], 0
	v_add_f64 v[1:2], v[1:2], 0
	s_waitcnt lgkmcnt(0)
	s_delay_alu instid0(VALU_DEP_2) | instskip(NEXT) | instid1(VALU_DEP_2)
	v_mul_f64 v[6:7], v[3:4], v[83:84]
	v_mul_f64 v[8:9], v[1:2], v[83:84]
	s_delay_alu instid0(VALU_DEP_2) | instskip(NEXT) | instid1(VALU_DEP_2)
	v_fma_f64 v[1:2], v[1:2], v[81:82], -v[6:7]
	v_fma_f64 v[3:4], v[3:4], v[81:82], v[8:9]
	scratch_store_b128 off, v[1:4], off offset:16
.LBB85_19:
	s_or_b32 exec_lo, exec_lo, s3
	s_waitcnt_vscnt null, 0x0
	s_barrier
	buffer_gl0_inv
	scratch_load_b128 v[1:4], v60, off
	s_mov_b32 s3, exec_lo
	s_waitcnt vmcnt(0)
	ds_store_b128 v5, v[1:4]
	s_waitcnt lgkmcnt(0)
	s_barrier
	buffer_gl0_inv
	v_cmpx_gt_u32_e32 2, v57
	s_cbranch_execz .LBB85_23
; %bb.20:
	scratch_load_b128 v[1:4], v80, off
	ds_load_b128 v[6:9], v5
	s_waitcnt vmcnt(0) lgkmcnt(0)
	v_mul_f64 v[10:11], v[8:9], v[3:4]
	v_mul_f64 v[3:4], v[6:7], v[3:4]
	s_delay_alu instid0(VALU_DEP_2) | instskip(NEXT) | instid1(VALU_DEP_2)
	v_fma_f64 v[6:7], v[6:7], v[1:2], -v[10:11]
	v_fma_f64 v[3:4], v[8:9], v[1:2], v[3:4]
	s_delay_alu instid0(VALU_DEP_2) | instskip(NEXT) | instid1(VALU_DEP_2)
	v_add_f64 v[1:2], v[6:7], 0
	v_add_f64 v[3:4], v[3:4], 0
	s_and_saveexec_b32 s4, s2
	s_cbranch_execz .LBB85_22
; %bb.21:
	scratch_load_b128 v[6:9], off, off offset:16
	v_mov_b32_e32 v10, 0
	ds_load_b128 v[81:84], v10 offset:368
	s_waitcnt vmcnt(0) lgkmcnt(0)
	v_mul_f64 v[10:11], v[81:82], v[8:9]
	v_mul_f64 v[8:9], v[83:84], v[8:9]
	s_delay_alu instid0(VALU_DEP_2) | instskip(NEXT) | instid1(VALU_DEP_2)
	v_fma_f64 v[10:11], v[83:84], v[6:7], v[10:11]
	v_fma_f64 v[6:7], v[81:82], v[6:7], -v[8:9]
	s_delay_alu instid0(VALU_DEP_2) | instskip(NEXT) | instid1(VALU_DEP_2)
	v_add_f64 v[3:4], v[3:4], v[10:11]
	v_add_f64 v[1:2], v[1:2], v[6:7]
.LBB85_22:
	s_or_b32 exec_lo, exec_lo, s4
	v_mov_b32_e32 v6, 0
	ds_load_b128 v[6:9], v6 offset:32
	s_waitcnt lgkmcnt(0)
	v_mul_f64 v[10:11], v[3:4], v[8:9]
	v_mul_f64 v[8:9], v[1:2], v[8:9]
	s_delay_alu instid0(VALU_DEP_2) | instskip(NEXT) | instid1(VALU_DEP_2)
	v_fma_f64 v[1:2], v[1:2], v[6:7], -v[10:11]
	v_fma_f64 v[3:4], v[3:4], v[6:7], v[8:9]
	scratch_store_b128 off, v[1:4], off offset:32
.LBB85_23:
	s_or_b32 exec_lo, exec_lo, s3
	s_waitcnt_vscnt null, 0x0
	s_barrier
	buffer_gl0_inv
	scratch_load_b128 v[1:4], v64, off
	v_add_nc_u32_e32 v6, -1, v57
	s_mov_b32 s2, exec_lo
	s_waitcnt vmcnt(0)
	ds_store_b128 v5, v[1:4]
	s_waitcnt lgkmcnt(0)
	s_barrier
	buffer_gl0_inv
	v_cmpx_gt_u32_e32 3, v57
	s_cbranch_execz .LBB85_27
; %bb.24:
	v_dual_mov_b32 v1, 0 :: v_dual_add_nc_u32 v8, 0x160, v79
	v_dual_mov_b32 v2, 0 :: v_dual_add_nc_u32 v7, -1, v57
	v_or_b32_e32 v9, 8, v80
	s_mov_b32 s3, 0
	s_delay_alu instid0(VALU_DEP_2)
	v_dual_mov_b32 v4, v2 :: v_dual_mov_b32 v3, v1
	.p2align	6
.LBB85_25:                              ; =>This Inner Loop Header: Depth=1
	scratch_load_b128 v[81:84], v9, off offset:-8
	ds_load_b128 v[85:88], v8
	v_add_nc_u32_e32 v7, 1, v7
	v_add_nc_u32_e32 v8, 16, v8
	;; [unrolled: 1-line block ×3, first 2 shown]
	s_delay_alu instid0(VALU_DEP_3) | instskip(SKIP_4) | instid1(VALU_DEP_2)
	v_cmp_lt_u32_e32 vcc_lo, 1, v7
	s_or_b32 s3, vcc_lo, s3
	s_waitcnt vmcnt(0) lgkmcnt(0)
	v_mul_f64 v[10:11], v[87:88], v[83:84]
	v_mul_f64 v[83:84], v[85:86], v[83:84]
	v_fma_f64 v[10:11], v[85:86], v[81:82], -v[10:11]
	s_delay_alu instid0(VALU_DEP_2) | instskip(NEXT) | instid1(VALU_DEP_2)
	v_fma_f64 v[81:82], v[87:88], v[81:82], v[83:84]
	v_add_f64 v[3:4], v[3:4], v[10:11]
	s_delay_alu instid0(VALU_DEP_2)
	v_add_f64 v[1:2], v[1:2], v[81:82]
	s_and_not1_b32 exec_lo, exec_lo, s3
	s_cbranch_execnz .LBB85_25
; %bb.26:
	s_or_b32 exec_lo, exec_lo, s3
	v_mov_b32_e32 v7, 0
	ds_load_b128 v[7:10], v7 offset:48
	s_waitcnt lgkmcnt(0)
	v_mul_f64 v[11:12], v[1:2], v[9:10]
	v_mul_f64 v[81:82], v[3:4], v[9:10]
	s_delay_alu instid0(VALU_DEP_2) | instskip(NEXT) | instid1(VALU_DEP_2)
	v_fma_f64 v[9:10], v[3:4], v[7:8], -v[11:12]
	v_fma_f64 v[11:12], v[1:2], v[7:8], v[81:82]
	scratch_store_b128 off, v[9:12], off offset:48
.LBB85_27:
	s_or_b32 exec_lo, exec_lo, s2
	s_waitcnt_vscnt null, 0x0
	s_barrier
	buffer_gl0_inv
	scratch_load_b128 v[1:4], v59, off
	s_mov_b32 s2, exec_lo
	s_waitcnt vmcnt(0)
	ds_store_b128 v5, v[1:4]
	s_waitcnt lgkmcnt(0)
	s_barrier
	buffer_gl0_inv
	v_cmpx_gt_u32_e32 4, v57
	s_cbranch_execz .LBB85_31
; %bb.28:
	v_dual_mov_b32 v1, 0 :: v_dual_add_nc_u32 v8, 0x160, v79
	v_dual_mov_b32 v2, 0 :: v_dual_add_nc_u32 v7, -1, v57
	v_or_b32_e32 v9, 8, v80
	s_mov_b32 s3, 0
	s_delay_alu instid0(VALU_DEP_2)
	v_dual_mov_b32 v4, v2 :: v_dual_mov_b32 v3, v1
	.p2align	6
.LBB85_29:                              ; =>This Inner Loop Header: Depth=1
	scratch_load_b128 v[81:84], v9, off offset:-8
	ds_load_b128 v[85:88], v8
	v_add_nc_u32_e32 v7, 1, v7
	v_add_nc_u32_e32 v8, 16, v8
	;; [unrolled: 1-line block ×3, first 2 shown]
	s_delay_alu instid0(VALU_DEP_3) | instskip(SKIP_4) | instid1(VALU_DEP_2)
	v_cmp_lt_u32_e32 vcc_lo, 2, v7
	s_or_b32 s3, vcc_lo, s3
	s_waitcnt vmcnt(0) lgkmcnt(0)
	v_mul_f64 v[10:11], v[87:88], v[83:84]
	v_mul_f64 v[83:84], v[85:86], v[83:84]
	v_fma_f64 v[10:11], v[85:86], v[81:82], -v[10:11]
	s_delay_alu instid0(VALU_DEP_2) | instskip(NEXT) | instid1(VALU_DEP_2)
	v_fma_f64 v[81:82], v[87:88], v[81:82], v[83:84]
	v_add_f64 v[3:4], v[3:4], v[10:11]
	s_delay_alu instid0(VALU_DEP_2)
	v_add_f64 v[1:2], v[1:2], v[81:82]
	s_and_not1_b32 exec_lo, exec_lo, s3
	s_cbranch_execnz .LBB85_29
; %bb.30:
	s_or_b32 exec_lo, exec_lo, s3
	v_mov_b32_e32 v7, 0
	ds_load_b128 v[7:10], v7 offset:64
	s_waitcnt lgkmcnt(0)
	v_mul_f64 v[11:12], v[1:2], v[9:10]
	v_mul_f64 v[81:82], v[3:4], v[9:10]
	s_delay_alu instid0(VALU_DEP_2) | instskip(NEXT) | instid1(VALU_DEP_2)
	v_fma_f64 v[9:10], v[3:4], v[7:8], -v[11:12]
	v_fma_f64 v[11:12], v[1:2], v[7:8], v[81:82]
	scratch_store_b128 off, v[9:12], off offset:64
.LBB85_31:
	s_or_b32 exec_lo, exec_lo, s2
	s_waitcnt_vscnt null, 0x0
	s_barrier
	buffer_gl0_inv
	scratch_load_b128 v[1:4], v63, off
	s_mov_b32 s2, exec_lo
	s_waitcnt vmcnt(0)
	ds_store_b128 v5, v[1:4]
	s_waitcnt lgkmcnt(0)
	s_barrier
	buffer_gl0_inv
	v_cmpx_gt_u32_e32 5, v57
	s_cbranch_execz .LBB85_35
; %bb.32:
	v_dual_mov_b32 v1, 0 :: v_dual_add_nc_u32 v8, 0x160, v79
	v_dual_mov_b32 v2, 0 :: v_dual_add_nc_u32 v7, -1, v57
	v_or_b32_e32 v9, 8, v80
	s_mov_b32 s3, 0
	s_delay_alu instid0(VALU_DEP_2)
	v_dual_mov_b32 v4, v2 :: v_dual_mov_b32 v3, v1
	.p2align	6
.LBB85_33:                              ; =>This Inner Loop Header: Depth=1
	scratch_load_b128 v[81:84], v9, off offset:-8
	ds_load_b128 v[85:88], v8
	v_add_nc_u32_e32 v7, 1, v7
	v_add_nc_u32_e32 v8, 16, v8
	;; [unrolled: 1-line block ×3, first 2 shown]
	s_delay_alu instid0(VALU_DEP_3) | instskip(SKIP_4) | instid1(VALU_DEP_2)
	v_cmp_lt_u32_e32 vcc_lo, 3, v7
	s_or_b32 s3, vcc_lo, s3
	s_waitcnt vmcnt(0) lgkmcnt(0)
	v_mul_f64 v[10:11], v[87:88], v[83:84]
	v_mul_f64 v[83:84], v[85:86], v[83:84]
	v_fma_f64 v[10:11], v[85:86], v[81:82], -v[10:11]
	s_delay_alu instid0(VALU_DEP_2) | instskip(NEXT) | instid1(VALU_DEP_2)
	v_fma_f64 v[81:82], v[87:88], v[81:82], v[83:84]
	v_add_f64 v[3:4], v[3:4], v[10:11]
	s_delay_alu instid0(VALU_DEP_2)
	v_add_f64 v[1:2], v[1:2], v[81:82]
	s_and_not1_b32 exec_lo, exec_lo, s3
	s_cbranch_execnz .LBB85_33
; %bb.34:
	s_or_b32 exec_lo, exec_lo, s3
	v_mov_b32_e32 v7, 0
	ds_load_b128 v[7:10], v7 offset:80
	s_waitcnt lgkmcnt(0)
	v_mul_f64 v[11:12], v[1:2], v[9:10]
	v_mul_f64 v[81:82], v[3:4], v[9:10]
	s_delay_alu instid0(VALU_DEP_2) | instskip(NEXT) | instid1(VALU_DEP_2)
	v_fma_f64 v[9:10], v[3:4], v[7:8], -v[11:12]
	v_fma_f64 v[11:12], v[1:2], v[7:8], v[81:82]
	scratch_store_b128 off, v[9:12], off offset:80
.LBB85_35:
	s_or_b32 exec_lo, exec_lo, s2
	s_waitcnt_vscnt null, 0x0
	s_barrier
	buffer_gl0_inv
	scratch_load_b128 v[1:4], v58, off
	s_mov_b32 s2, exec_lo
	s_waitcnt vmcnt(0)
	ds_store_b128 v5, v[1:4]
	s_waitcnt lgkmcnt(0)
	s_barrier
	buffer_gl0_inv
	v_cmpx_gt_u32_e32 6, v57
	s_cbranch_execz .LBB85_39
; %bb.36:
	v_dual_mov_b32 v1, 0 :: v_dual_add_nc_u32 v8, 0x160, v79
	v_dual_mov_b32 v2, 0 :: v_dual_add_nc_u32 v7, -1, v57
	v_or_b32_e32 v9, 8, v80
	s_mov_b32 s3, 0
	s_delay_alu instid0(VALU_DEP_2)
	v_dual_mov_b32 v4, v2 :: v_dual_mov_b32 v3, v1
	.p2align	6
.LBB85_37:                              ; =>This Inner Loop Header: Depth=1
	scratch_load_b128 v[81:84], v9, off offset:-8
	ds_load_b128 v[85:88], v8
	v_add_nc_u32_e32 v7, 1, v7
	v_add_nc_u32_e32 v8, 16, v8
	;; [unrolled: 1-line block ×3, first 2 shown]
	s_delay_alu instid0(VALU_DEP_3) | instskip(SKIP_4) | instid1(VALU_DEP_2)
	v_cmp_lt_u32_e32 vcc_lo, 4, v7
	s_or_b32 s3, vcc_lo, s3
	s_waitcnt vmcnt(0) lgkmcnt(0)
	v_mul_f64 v[10:11], v[87:88], v[83:84]
	v_mul_f64 v[83:84], v[85:86], v[83:84]
	v_fma_f64 v[10:11], v[85:86], v[81:82], -v[10:11]
	s_delay_alu instid0(VALU_DEP_2) | instskip(NEXT) | instid1(VALU_DEP_2)
	v_fma_f64 v[81:82], v[87:88], v[81:82], v[83:84]
	v_add_f64 v[3:4], v[3:4], v[10:11]
	s_delay_alu instid0(VALU_DEP_2)
	v_add_f64 v[1:2], v[1:2], v[81:82]
	s_and_not1_b32 exec_lo, exec_lo, s3
	s_cbranch_execnz .LBB85_37
; %bb.38:
	s_or_b32 exec_lo, exec_lo, s3
	v_mov_b32_e32 v7, 0
	ds_load_b128 v[7:10], v7 offset:96
	s_waitcnt lgkmcnt(0)
	v_mul_f64 v[11:12], v[1:2], v[9:10]
	v_mul_f64 v[81:82], v[3:4], v[9:10]
	s_delay_alu instid0(VALU_DEP_2) | instskip(NEXT) | instid1(VALU_DEP_2)
	v_fma_f64 v[9:10], v[3:4], v[7:8], -v[11:12]
	v_fma_f64 v[11:12], v[1:2], v[7:8], v[81:82]
	scratch_store_b128 off, v[9:12], off offset:96
.LBB85_39:
	s_or_b32 exec_lo, exec_lo, s2
	s_waitcnt_vscnt null, 0x0
	s_barrier
	buffer_gl0_inv
	scratch_load_b128 v[1:4], v67, off
	s_mov_b32 s2, exec_lo
	s_waitcnt vmcnt(0)
	ds_store_b128 v5, v[1:4]
	s_waitcnt lgkmcnt(0)
	s_barrier
	buffer_gl0_inv
	v_cmpx_gt_u32_e32 7, v57
	s_cbranch_execz .LBB85_43
; %bb.40:
	v_dual_mov_b32 v1, 0 :: v_dual_add_nc_u32 v8, 0x160, v79
	v_dual_mov_b32 v2, 0 :: v_dual_add_nc_u32 v7, -1, v57
	v_or_b32_e32 v9, 8, v80
	s_mov_b32 s3, 0
	s_delay_alu instid0(VALU_DEP_2)
	v_dual_mov_b32 v4, v2 :: v_dual_mov_b32 v3, v1
	.p2align	6
.LBB85_41:                              ; =>This Inner Loop Header: Depth=1
	scratch_load_b128 v[81:84], v9, off offset:-8
	ds_load_b128 v[85:88], v8
	v_add_nc_u32_e32 v7, 1, v7
	v_add_nc_u32_e32 v8, 16, v8
	;; [unrolled: 1-line block ×3, first 2 shown]
	s_delay_alu instid0(VALU_DEP_3) | instskip(SKIP_4) | instid1(VALU_DEP_2)
	v_cmp_lt_u32_e32 vcc_lo, 5, v7
	s_or_b32 s3, vcc_lo, s3
	s_waitcnt vmcnt(0) lgkmcnt(0)
	v_mul_f64 v[10:11], v[87:88], v[83:84]
	v_mul_f64 v[83:84], v[85:86], v[83:84]
	v_fma_f64 v[10:11], v[85:86], v[81:82], -v[10:11]
	s_delay_alu instid0(VALU_DEP_2) | instskip(NEXT) | instid1(VALU_DEP_2)
	v_fma_f64 v[81:82], v[87:88], v[81:82], v[83:84]
	v_add_f64 v[3:4], v[3:4], v[10:11]
	s_delay_alu instid0(VALU_DEP_2)
	v_add_f64 v[1:2], v[1:2], v[81:82]
	s_and_not1_b32 exec_lo, exec_lo, s3
	s_cbranch_execnz .LBB85_41
; %bb.42:
	s_or_b32 exec_lo, exec_lo, s3
	v_mov_b32_e32 v7, 0
	ds_load_b128 v[7:10], v7 offset:112
	s_waitcnt lgkmcnt(0)
	v_mul_f64 v[11:12], v[1:2], v[9:10]
	v_mul_f64 v[81:82], v[3:4], v[9:10]
	s_delay_alu instid0(VALU_DEP_2) | instskip(NEXT) | instid1(VALU_DEP_2)
	v_fma_f64 v[9:10], v[3:4], v[7:8], -v[11:12]
	v_fma_f64 v[11:12], v[1:2], v[7:8], v[81:82]
	scratch_store_b128 off, v[9:12], off offset:112
.LBB85_43:
	s_or_b32 exec_lo, exec_lo, s2
	s_waitcnt_vscnt null, 0x0
	s_barrier
	buffer_gl0_inv
	scratch_load_b128 v[1:4], v62, off
	s_mov_b32 s2, exec_lo
	s_waitcnt vmcnt(0)
	ds_store_b128 v5, v[1:4]
	s_waitcnt lgkmcnt(0)
	s_barrier
	buffer_gl0_inv
	v_cmpx_gt_u32_e32 8, v57
	s_cbranch_execz .LBB85_47
; %bb.44:
	v_dual_mov_b32 v1, 0 :: v_dual_add_nc_u32 v8, 0x160, v79
	v_dual_mov_b32 v2, 0 :: v_dual_add_nc_u32 v7, -1, v57
	v_or_b32_e32 v9, 8, v80
	s_mov_b32 s3, 0
	s_delay_alu instid0(VALU_DEP_2)
	v_dual_mov_b32 v4, v2 :: v_dual_mov_b32 v3, v1
	.p2align	6
.LBB85_45:                              ; =>This Inner Loop Header: Depth=1
	scratch_load_b128 v[81:84], v9, off offset:-8
	ds_load_b128 v[85:88], v8
	v_add_nc_u32_e32 v7, 1, v7
	v_add_nc_u32_e32 v8, 16, v8
	;; [unrolled: 1-line block ×3, first 2 shown]
	s_delay_alu instid0(VALU_DEP_3) | instskip(SKIP_4) | instid1(VALU_DEP_2)
	v_cmp_lt_u32_e32 vcc_lo, 6, v7
	s_or_b32 s3, vcc_lo, s3
	s_waitcnt vmcnt(0) lgkmcnt(0)
	v_mul_f64 v[10:11], v[87:88], v[83:84]
	v_mul_f64 v[83:84], v[85:86], v[83:84]
	v_fma_f64 v[10:11], v[85:86], v[81:82], -v[10:11]
	s_delay_alu instid0(VALU_DEP_2) | instskip(NEXT) | instid1(VALU_DEP_2)
	v_fma_f64 v[81:82], v[87:88], v[81:82], v[83:84]
	v_add_f64 v[3:4], v[3:4], v[10:11]
	s_delay_alu instid0(VALU_DEP_2)
	v_add_f64 v[1:2], v[1:2], v[81:82]
	s_and_not1_b32 exec_lo, exec_lo, s3
	s_cbranch_execnz .LBB85_45
; %bb.46:
	s_or_b32 exec_lo, exec_lo, s3
	v_mov_b32_e32 v7, 0
	ds_load_b128 v[7:10], v7 offset:128
	s_waitcnt lgkmcnt(0)
	v_mul_f64 v[11:12], v[1:2], v[9:10]
	v_mul_f64 v[81:82], v[3:4], v[9:10]
	s_delay_alu instid0(VALU_DEP_2) | instskip(NEXT) | instid1(VALU_DEP_2)
	v_fma_f64 v[9:10], v[3:4], v[7:8], -v[11:12]
	v_fma_f64 v[11:12], v[1:2], v[7:8], v[81:82]
	scratch_store_b128 off, v[9:12], off offset:128
.LBB85_47:
	s_or_b32 exec_lo, exec_lo, s2
	s_waitcnt_vscnt null, 0x0
	s_barrier
	buffer_gl0_inv
	scratch_load_b128 v[1:4], v66, off
	s_mov_b32 s2, exec_lo
	s_waitcnt vmcnt(0)
	ds_store_b128 v5, v[1:4]
	s_waitcnt lgkmcnt(0)
	s_barrier
	buffer_gl0_inv
	v_cmpx_gt_u32_e32 9, v57
	s_cbranch_execz .LBB85_51
; %bb.48:
	v_dual_mov_b32 v1, 0 :: v_dual_add_nc_u32 v8, 0x160, v79
	v_dual_mov_b32 v2, 0 :: v_dual_add_nc_u32 v7, -1, v57
	v_or_b32_e32 v9, 8, v80
	s_mov_b32 s3, 0
	s_delay_alu instid0(VALU_DEP_2)
	v_dual_mov_b32 v4, v2 :: v_dual_mov_b32 v3, v1
	.p2align	6
.LBB85_49:                              ; =>This Inner Loop Header: Depth=1
	scratch_load_b128 v[81:84], v9, off offset:-8
	ds_load_b128 v[85:88], v8
	v_add_nc_u32_e32 v7, 1, v7
	v_add_nc_u32_e32 v8, 16, v8
	;; [unrolled: 1-line block ×3, first 2 shown]
	s_delay_alu instid0(VALU_DEP_3) | instskip(SKIP_4) | instid1(VALU_DEP_2)
	v_cmp_lt_u32_e32 vcc_lo, 7, v7
	s_or_b32 s3, vcc_lo, s3
	s_waitcnt vmcnt(0) lgkmcnt(0)
	v_mul_f64 v[10:11], v[87:88], v[83:84]
	v_mul_f64 v[83:84], v[85:86], v[83:84]
	v_fma_f64 v[10:11], v[85:86], v[81:82], -v[10:11]
	s_delay_alu instid0(VALU_DEP_2) | instskip(NEXT) | instid1(VALU_DEP_2)
	v_fma_f64 v[81:82], v[87:88], v[81:82], v[83:84]
	v_add_f64 v[3:4], v[3:4], v[10:11]
	s_delay_alu instid0(VALU_DEP_2)
	v_add_f64 v[1:2], v[1:2], v[81:82]
	s_and_not1_b32 exec_lo, exec_lo, s3
	s_cbranch_execnz .LBB85_49
; %bb.50:
	s_or_b32 exec_lo, exec_lo, s3
	v_mov_b32_e32 v7, 0
	ds_load_b128 v[7:10], v7 offset:144
	s_waitcnt lgkmcnt(0)
	v_mul_f64 v[11:12], v[1:2], v[9:10]
	v_mul_f64 v[81:82], v[3:4], v[9:10]
	s_delay_alu instid0(VALU_DEP_2) | instskip(NEXT) | instid1(VALU_DEP_2)
	v_fma_f64 v[9:10], v[3:4], v[7:8], -v[11:12]
	v_fma_f64 v[11:12], v[1:2], v[7:8], v[81:82]
	scratch_store_b128 off, v[9:12], off offset:144
.LBB85_51:
	s_or_b32 exec_lo, exec_lo, s2
	s_waitcnt_vscnt null, 0x0
	s_barrier
	buffer_gl0_inv
	scratch_load_b128 v[1:4], v61, off
	s_mov_b32 s2, exec_lo
	s_waitcnt vmcnt(0)
	ds_store_b128 v5, v[1:4]
	s_waitcnt lgkmcnt(0)
	s_barrier
	buffer_gl0_inv
	v_cmpx_gt_u32_e32 10, v57
	s_cbranch_execz .LBB85_55
; %bb.52:
	v_dual_mov_b32 v1, 0 :: v_dual_add_nc_u32 v8, 0x160, v79
	v_dual_mov_b32 v2, 0 :: v_dual_add_nc_u32 v7, -1, v57
	v_or_b32_e32 v9, 8, v80
	s_mov_b32 s3, 0
	s_delay_alu instid0(VALU_DEP_2)
	v_dual_mov_b32 v4, v2 :: v_dual_mov_b32 v3, v1
	.p2align	6
.LBB85_53:                              ; =>This Inner Loop Header: Depth=1
	scratch_load_b128 v[81:84], v9, off offset:-8
	ds_load_b128 v[85:88], v8
	v_add_nc_u32_e32 v7, 1, v7
	v_add_nc_u32_e32 v8, 16, v8
	;; [unrolled: 1-line block ×3, first 2 shown]
	s_delay_alu instid0(VALU_DEP_3) | instskip(SKIP_4) | instid1(VALU_DEP_2)
	v_cmp_lt_u32_e32 vcc_lo, 8, v7
	s_or_b32 s3, vcc_lo, s3
	s_waitcnt vmcnt(0) lgkmcnt(0)
	v_mul_f64 v[10:11], v[87:88], v[83:84]
	v_mul_f64 v[83:84], v[85:86], v[83:84]
	v_fma_f64 v[10:11], v[85:86], v[81:82], -v[10:11]
	s_delay_alu instid0(VALU_DEP_2) | instskip(NEXT) | instid1(VALU_DEP_2)
	v_fma_f64 v[81:82], v[87:88], v[81:82], v[83:84]
	v_add_f64 v[3:4], v[3:4], v[10:11]
	s_delay_alu instid0(VALU_DEP_2)
	v_add_f64 v[1:2], v[1:2], v[81:82]
	s_and_not1_b32 exec_lo, exec_lo, s3
	s_cbranch_execnz .LBB85_53
; %bb.54:
	s_or_b32 exec_lo, exec_lo, s3
	v_mov_b32_e32 v7, 0
	ds_load_b128 v[7:10], v7 offset:160
	s_waitcnt lgkmcnt(0)
	v_mul_f64 v[11:12], v[1:2], v[9:10]
	v_mul_f64 v[81:82], v[3:4], v[9:10]
	s_delay_alu instid0(VALU_DEP_2) | instskip(NEXT) | instid1(VALU_DEP_2)
	v_fma_f64 v[9:10], v[3:4], v[7:8], -v[11:12]
	v_fma_f64 v[11:12], v[1:2], v[7:8], v[81:82]
	scratch_store_b128 off, v[9:12], off offset:160
.LBB85_55:
	s_or_b32 exec_lo, exec_lo, s2
	s_waitcnt_vscnt null, 0x0
	s_barrier
	buffer_gl0_inv
	scratch_load_b128 v[1:4], v70, off
	s_mov_b32 s2, exec_lo
	s_waitcnt vmcnt(0)
	ds_store_b128 v5, v[1:4]
	s_waitcnt lgkmcnt(0)
	s_barrier
	buffer_gl0_inv
	v_cmpx_gt_u32_e32 11, v57
	s_cbranch_execz .LBB85_59
; %bb.56:
	v_dual_mov_b32 v1, 0 :: v_dual_add_nc_u32 v8, 0x160, v79
	v_dual_mov_b32 v2, 0 :: v_dual_add_nc_u32 v7, -1, v57
	v_or_b32_e32 v9, 8, v80
	s_mov_b32 s3, 0
	s_delay_alu instid0(VALU_DEP_2)
	v_dual_mov_b32 v4, v2 :: v_dual_mov_b32 v3, v1
	.p2align	6
.LBB85_57:                              ; =>This Inner Loop Header: Depth=1
	scratch_load_b128 v[81:84], v9, off offset:-8
	ds_load_b128 v[85:88], v8
	v_add_nc_u32_e32 v7, 1, v7
	v_add_nc_u32_e32 v8, 16, v8
	;; [unrolled: 1-line block ×3, first 2 shown]
	s_delay_alu instid0(VALU_DEP_3) | instskip(SKIP_4) | instid1(VALU_DEP_2)
	v_cmp_lt_u32_e32 vcc_lo, 9, v7
	s_or_b32 s3, vcc_lo, s3
	s_waitcnt vmcnt(0) lgkmcnt(0)
	v_mul_f64 v[10:11], v[87:88], v[83:84]
	v_mul_f64 v[83:84], v[85:86], v[83:84]
	v_fma_f64 v[10:11], v[85:86], v[81:82], -v[10:11]
	s_delay_alu instid0(VALU_DEP_2) | instskip(NEXT) | instid1(VALU_DEP_2)
	v_fma_f64 v[81:82], v[87:88], v[81:82], v[83:84]
	v_add_f64 v[3:4], v[3:4], v[10:11]
	s_delay_alu instid0(VALU_DEP_2)
	v_add_f64 v[1:2], v[1:2], v[81:82]
	s_and_not1_b32 exec_lo, exec_lo, s3
	s_cbranch_execnz .LBB85_57
; %bb.58:
	s_or_b32 exec_lo, exec_lo, s3
	v_mov_b32_e32 v7, 0
	ds_load_b128 v[7:10], v7 offset:176
	s_waitcnt lgkmcnt(0)
	v_mul_f64 v[11:12], v[1:2], v[9:10]
	v_mul_f64 v[81:82], v[3:4], v[9:10]
	s_delay_alu instid0(VALU_DEP_2) | instskip(NEXT) | instid1(VALU_DEP_2)
	v_fma_f64 v[9:10], v[3:4], v[7:8], -v[11:12]
	v_fma_f64 v[11:12], v[1:2], v[7:8], v[81:82]
	scratch_store_b128 off, v[9:12], off offset:176
.LBB85_59:
	s_or_b32 exec_lo, exec_lo, s2
	s_waitcnt_vscnt null, 0x0
	s_barrier
	buffer_gl0_inv
	scratch_load_b128 v[1:4], v68, off
	s_mov_b32 s2, exec_lo
	s_waitcnt vmcnt(0)
	ds_store_b128 v5, v[1:4]
	s_waitcnt lgkmcnt(0)
	s_barrier
	buffer_gl0_inv
	v_cmpx_gt_u32_e32 12, v57
	s_cbranch_execz .LBB85_63
; %bb.60:
	v_dual_mov_b32 v1, 0 :: v_dual_add_nc_u32 v8, 0x160, v79
	v_dual_mov_b32 v2, 0 :: v_dual_add_nc_u32 v7, -1, v57
	v_or_b32_e32 v9, 8, v80
	s_mov_b32 s3, 0
	s_delay_alu instid0(VALU_DEP_2)
	v_dual_mov_b32 v4, v2 :: v_dual_mov_b32 v3, v1
	.p2align	6
.LBB85_61:                              ; =>This Inner Loop Header: Depth=1
	scratch_load_b128 v[81:84], v9, off offset:-8
	ds_load_b128 v[85:88], v8
	v_add_nc_u32_e32 v7, 1, v7
	v_add_nc_u32_e32 v8, 16, v8
	;; [unrolled: 1-line block ×3, first 2 shown]
	s_delay_alu instid0(VALU_DEP_3) | instskip(SKIP_4) | instid1(VALU_DEP_2)
	v_cmp_lt_u32_e32 vcc_lo, 10, v7
	s_or_b32 s3, vcc_lo, s3
	s_waitcnt vmcnt(0) lgkmcnt(0)
	v_mul_f64 v[10:11], v[87:88], v[83:84]
	v_mul_f64 v[83:84], v[85:86], v[83:84]
	v_fma_f64 v[10:11], v[85:86], v[81:82], -v[10:11]
	s_delay_alu instid0(VALU_DEP_2) | instskip(NEXT) | instid1(VALU_DEP_2)
	v_fma_f64 v[81:82], v[87:88], v[81:82], v[83:84]
	v_add_f64 v[3:4], v[3:4], v[10:11]
	s_delay_alu instid0(VALU_DEP_2)
	v_add_f64 v[1:2], v[1:2], v[81:82]
	s_and_not1_b32 exec_lo, exec_lo, s3
	s_cbranch_execnz .LBB85_61
; %bb.62:
	s_or_b32 exec_lo, exec_lo, s3
	v_mov_b32_e32 v7, 0
	ds_load_b128 v[7:10], v7 offset:192
	s_waitcnt lgkmcnt(0)
	v_mul_f64 v[11:12], v[1:2], v[9:10]
	v_mul_f64 v[81:82], v[3:4], v[9:10]
	s_delay_alu instid0(VALU_DEP_2) | instskip(NEXT) | instid1(VALU_DEP_2)
	v_fma_f64 v[9:10], v[3:4], v[7:8], -v[11:12]
	v_fma_f64 v[11:12], v[1:2], v[7:8], v[81:82]
	scratch_store_b128 off, v[9:12], off offset:192
.LBB85_63:
	s_or_b32 exec_lo, exec_lo, s2
	s_waitcnt_vscnt null, 0x0
	s_barrier
	buffer_gl0_inv
	scratch_load_b128 v[1:4], v69, off
	s_mov_b32 s2, exec_lo
	s_waitcnt vmcnt(0)
	ds_store_b128 v5, v[1:4]
	s_waitcnt lgkmcnt(0)
	s_barrier
	buffer_gl0_inv
	v_cmpx_gt_u32_e32 13, v57
	s_cbranch_execz .LBB85_67
; %bb.64:
	v_dual_mov_b32 v1, 0 :: v_dual_add_nc_u32 v8, 0x160, v79
	v_dual_mov_b32 v2, 0 :: v_dual_add_nc_u32 v7, -1, v57
	v_or_b32_e32 v9, 8, v80
	s_mov_b32 s3, 0
	s_delay_alu instid0(VALU_DEP_2)
	v_dual_mov_b32 v4, v2 :: v_dual_mov_b32 v3, v1
	.p2align	6
.LBB85_65:                              ; =>This Inner Loop Header: Depth=1
	scratch_load_b128 v[81:84], v9, off offset:-8
	ds_load_b128 v[85:88], v8
	v_add_nc_u32_e32 v7, 1, v7
	v_add_nc_u32_e32 v8, 16, v8
	;; [unrolled: 1-line block ×3, first 2 shown]
	s_delay_alu instid0(VALU_DEP_3) | instskip(SKIP_4) | instid1(VALU_DEP_2)
	v_cmp_lt_u32_e32 vcc_lo, 11, v7
	s_or_b32 s3, vcc_lo, s3
	s_waitcnt vmcnt(0) lgkmcnt(0)
	v_mul_f64 v[10:11], v[87:88], v[83:84]
	v_mul_f64 v[83:84], v[85:86], v[83:84]
	v_fma_f64 v[10:11], v[85:86], v[81:82], -v[10:11]
	s_delay_alu instid0(VALU_DEP_2) | instskip(NEXT) | instid1(VALU_DEP_2)
	v_fma_f64 v[81:82], v[87:88], v[81:82], v[83:84]
	v_add_f64 v[3:4], v[3:4], v[10:11]
	s_delay_alu instid0(VALU_DEP_2)
	v_add_f64 v[1:2], v[1:2], v[81:82]
	s_and_not1_b32 exec_lo, exec_lo, s3
	s_cbranch_execnz .LBB85_65
; %bb.66:
	s_or_b32 exec_lo, exec_lo, s3
	v_mov_b32_e32 v7, 0
	ds_load_b128 v[7:10], v7 offset:208
	s_waitcnt lgkmcnt(0)
	v_mul_f64 v[11:12], v[1:2], v[9:10]
	v_mul_f64 v[81:82], v[3:4], v[9:10]
	s_delay_alu instid0(VALU_DEP_2) | instskip(NEXT) | instid1(VALU_DEP_2)
	v_fma_f64 v[9:10], v[3:4], v[7:8], -v[11:12]
	v_fma_f64 v[11:12], v[1:2], v[7:8], v[81:82]
	scratch_store_b128 off, v[9:12], off offset:208
.LBB85_67:
	s_or_b32 exec_lo, exec_lo, s2
	s_waitcnt_vscnt null, 0x0
	s_barrier
	buffer_gl0_inv
	scratch_load_b128 v[1:4], v72, off
	s_mov_b32 s2, exec_lo
	s_waitcnt vmcnt(0)
	ds_store_b128 v5, v[1:4]
	s_waitcnt lgkmcnt(0)
	s_barrier
	buffer_gl0_inv
	v_cmpx_gt_u32_e32 14, v57
	s_cbranch_execz .LBB85_71
; %bb.68:
	v_dual_mov_b32 v1, 0 :: v_dual_add_nc_u32 v8, 0x160, v79
	v_dual_mov_b32 v2, 0 :: v_dual_add_nc_u32 v7, -1, v57
	v_or_b32_e32 v9, 8, v80
	s_mov_b32 s3, 0
	s_delay_alu instid0(VALU_DEP_2)
	v_dual_mov_b32 v4, v2 :: v_dual_mov_b32 v3, v1
	.p2align	6
.LBB85_69:                              ; =>This Inner Loop Header: Depth=1
	scratch_load_b128 v[81:84], v9, off offset:-8
	ds_load_b128 v[85:88], v8
	v_add_nc_u32_e32 v7, 1, v7
	v_add_nc_u32_e32 v8, 16, v8
	;; [unrolled: 1-line block ×3, first 2 shown]
	s_delay_alu instid0(VALU_DEP_3) | instskip(SKIP_4) | instid1(VALU_DEP_2)
	v_cmp_lt_u32_e32 vcc_lo, 12, v7
	s_or_b32 s3, vcc_lo, s3
	s_waitcnt vmcnt(0) lgkmcnt(0)
	v_mul_f64 v[10:11], v[87:88], v[83:84]
	v_mul_f64 v[83:84], v[85:86], v[83:84]
	v_fma_f64 v[10:11], v[85:86], v[81:82], -v[10:11]
	s_delay_alu instid0(VALU_DEP_2) | instskip(NEXT) | instid1(VALU_DEP_2)
	v_fma_f64 v[81:82], v[87:88], v[81:82], v[83:84]
	v_add_f64 v[3:4], v[3:4], v[10:11]
	s_delay_alu instid0(VALU_DEP_2)
	v_add_f64 v[1:2], v[1:2], v[81:82]
	s_and_not1_b32 exec_lo, exec_lo, s3
	s_cbranch_execnz .LBB85_69
; %bb.70:
	s_or_b32 exec_lo, exec_lo, s3
	v_mov_b32_e32 v7, 0
	ds_load_b128 v[7:10], v7 offset:224
	s_waitcnt lgkmcnt(0)
	v_mul_f64 v[11:12], v[1:2], v[9:10]
	v_mul_f64 v[81:82], v[3:4], v[9:10]
	s_delay_alu instid0(VALU_DEP_2) | instskip(NEXT) | instid1(VALU_DEP_2)
	v_fma_f64 v[9:10], v[3:4], v[7:8], -v[11:12]
	v_fma_f64 v[11:12], v[1:2], v[7:8], v[81:82]
	scratch_store_b128 off, v[9:12], off offset:224
.LBB85_71:
	s_or_b32 exec_lo, exec_lo, s2
	s_waitcnt_vscnt null, 0x0
	s_barrier
	buffer_gl0_inv
	scratch_load_b128 v[1:4], v71, off
	s_mov_b32 s2, exec_lo
	s_waitcnt vmcnt(0)
	ds_store_b128 v5, v[1:4]
	s_waitcnt lgkmcnt(0)
	s_barrier
	buffer_gl0_inv
	v_cmpx_gt_u32_e32 15, v57
	s_cbranch_execz .LBB85_75
; %bb.72:
	v_dual_mov_b32 v1, 0 :: v_dual_add_nc_u32 v8, 0x160, v79
	v_dual_mov_b32 v2, 0 :: v_dual_add_nc_u32 v7, -1, v57
	v_or_b32_e32 v9, 8, v80
	s_mov_b32 s3, 0
	s_delay_alu instid0(VALU_DEP_2)
	v_dual_mov_b32 v4, v2 :: v_dual_mov_b32 v3, v1
	.p2align	6
.LBB85_73:                              ; =>This Inner Loop Header: Depth=1
	scratch_load_b128 v[81:84], v9, off offset:-8
	ds_load_b128 v[85:88], v8
	v_add_nc_u32_e32 v7, 1, v7
	v_add_nc_u32_e32 v8, 16, v8
	;; [unrolled: 1-line block ×3, first 2 shown]
	s_delay_alu instid0(VALU_DEP_3) | instskip(SKIP_4) | instid1(VALU_DEP_2)
	v_cmp_lt_u32_e32 vcc_lo, 13, v7
	s_or_b32 s3, vcc_lo, s3
	s_waitcnt vmcnt(0) lgkmcnt(0)
	v_mul_f64 v[10:11], v[87:88], v[83:84]
	v_mul_f64 v[83:84], v[85:86], v[83:84]
	v_fma_f64 v[10:11], v[85:86], v[81:82], -v[10:11]
	s_delay_alu instid0(VALU_DEP_2) | instskip(NEXT) | instid1(VALU_DEP_2)
	v_fma_f64 v[81:82], v[87:88], v[81:82], v[83:84]
	v_add_f64 v[3:4], v[3:4], v[10:11]
	s_delay_alu instid0(VALU_DEP_2)
	v_add_f64 v[1:2], v[1:2], v[81:82]
	s_and_not1_b32 exec_lo, exec_lo, s3
	s_cbranch_execnz .LBB85_73
; %bb.74:
	s_or_b32 exec_lo, exec_lo, s3
	v_mov_b32_e32 v7, 0
	ds_load_b128 v[7:10], v7 offset:240
	s_waitcnt lgkmcnt(0)
	v_mul_f64 v[11:12], v[1:2], v[9:10]
	v_mul_f64 v[81:82], v[3:4], v[9:10]
	s_delay_alu instid0(VALU_DEP_2) | instskip(NEXT) | instid1(VALU_DEP_2)
	v_fma_f64 v[9:10], v[3:4], v[7:8], -v[11:12]
	v_fma_f64 v[11:12], v[1:2], v[7:8], v[81:82]
	scratch_store_b128 off, v[9:12], off offset:240
.LBB85_75:
	s_or_b32 exec_lo, exec_lo, s2
	s_waitcnt_vscnt null, 0x0
	s_barrier
	buffer_gl0_inv
	scratch_load_b128 v[1:4], v74, off
	s_mov_b32 s2, exec_lo
	s_waitcnt vmcnt(0)
	ds_store_b128 v5, v[1:4]
	s_waitcnt lgkmcnt(0)
	s_barrier
	buffer_gl0_inv
	v_cmpx_gt_u32_e32 16, v57
	s_cbranch_execz .LBB85_79
; %bb.76:
	v_dual_mov_b32 v1, 0 :: v_dual_add_nc_u32 v8, 0x160, v79
	v_dual_mov_b32 v2, 0 :: v_dual_add_nc_u32 v7, -1, v57
	v_or_b32_e32 v9, 8, v80
	s_mov_b32 s3, 0
	s_delay_alu instid0(VALU_DEP_2)
	v_dual_mov_b32 v4, v2 :: v_dual_mov_b32 v3, v1
	.p2align	6
.LBB85_77:                              ; =>This Inner Loop Header: Depth=1
	scratch_load_b128 v[81:84], v9, off offset:-8
	ds_load_b128 v[85:88], v8
	v_add_nc_u32_e32 v7, 1, v7
	v_add_nc_u32_e32 v8, 16, v8
	;; [unrolled: 1-line block ×3, first 2 shown]
	s_delay_alu instid0(VALU_DEP_3) | instskip(SKIP_4) | instid1(VALU_DEP_2)
	v_cmp_lt_u32_e32 vcc_lo, 14, v7
	s_or_b32 s3, vcc_lo, s3
	s_waitcnt vmcnt(0) lgkmcnt(0)
	v_mul_f64 v[10:11], v[87:88], v[83:84]
	v_mul_f64 v[83:84], v[85:86], v[83:84]
	v_fma_f64 v[10:11], v[85:86], v[81:82], -v[10:11]
	s_delay_alu instid0(VALU_DEP_2) | instskip(NEXT) | instid1(VALU_DEP_2)
	v_fma_f64 v[81:82], v[87:88], v[81:82], v[83:84]
	v_add_f64 v[3:4], v[3:4], v[10:11]
	s_delay_alu instid0(VALU_DEP_2)
	v_add_f64 v[1:2], v[1:2], v[81:82]
	s_and_not1_b32 exec_lo, exec_lo, s3
	s_cbranch_execnz .LBB85_77
; %bb.78:
	s_or_b32 exec_lo, exec_lo, s3
	v_mov_b32_e32 v7, 0
	ds_load_b128 v[7:10], v7 offset:256
	s_waitcnt lgkmcnt(0)
	v_mul_f64 v[11:12], v[1:2], v[9:10]
	v_mul_f64 v[81:82], v[3:4], v[9:10]
	s_delay_alu instid0(VALU_DEP_2) | instskip(NEXT) | instid1(VALU_DEP_2)
	v_fma_f64 v[9:10], v[3:4], v[7:8], -v[11:12]
	v_fma_f64 v[11:12], v[1:2], v[7:8], v[81:82]
	scratch_store_b128 off, v[9:12], off offset:256
.LBB85_79:
	s_or_b32 exec_lo, exec_lo, s2
	s_waitcnt_vscnt null, 0x0
	s_barrier
	buffer_gl0_inv
	scratch_load_b128 v[1:4], v73, off
	s_mov_b32 s2, exec_lo
	s_waitcnt vmcnt(0)
	ds_store_b128 v5, v[1:4]
	s_waitcnt lgkmcnt(0)
	s_barrier
	buffer_gl0_inv
	v_cmpx_gt_u32_e32 17, v57
	s_cbranch_execz .LBB85_83
; %bb.80:
	v_dual_mov_b32 v1, 0 :: v_dual_add_nc_u32 v8, 0x160, v79
	v_dual_mov_b32 v2, 0 :: v_dual_add_nc_u32 v7, -1, v57
	v_or_b32_e32 v9, 8, v80
	s_mov_b32 s3, 0
	s_delay_alu instid0(VALU_DEP_2)
	v_dual_mov_b32 v4, v2 :: v_dual_mov_b32 v3, v1
	.p2align	6
.LBB85_81:                              ; =>This Inner Loop Header: Depth=1
	scratch_load_b128 v[81:84], v9, off offset:-8
	ds_load_b128 v[85:88], v8
	v_add_nc_u32_e32 v7, 1, v7
	v_add_nc_u32_e32 v8, 16, v8
	;; [unrolled: 1-line block ×3, first 2 shown]
	s_delay_alu instid0(VALU_DEP_3) | instskip(SKIP_4) | instid1(VALU_DEP_2)
	v_cmp_lt_u32_e32 vcc_lo, 15, v7
	s_or_b32 s3, vcc_lo, s3
	s_waitcnt vmcnt(0) lgkmcnt(0)
	v_mul_f64 v[10:11], v[87:88], v[83:84]
	v_mul_f64 v[83:84], v[85:86], v[83:84]
	v_fma_f64 v[10:11], v[85:86], v[81:82], -v[10:11]
	s_delay_alu instid0(VALU_DEP_2) | instskip(NEXT) | instid1(VALU_DEP_2)
	v_fma_f64 v[81:82], v[87:88], v[81:82], v[83:84]
	v_add_f64 v[3:4], v[3:4], v[10:11]
	s_delay_alu instid0(VALU_DEP_2)
	v_add_f64 v[1:2], v[1:2], v[81:82]
	s_and_not1_b32 exec_lo, exec_lo, s3
	s_cbranch_execnz .LBB85_81
; %bb.82:
	s_or_b32 exec_lo, exec_lo, s3
	v_mov_b32_e32 v7, 0
	ds_load_b128 v[7:10], v7 offset:272
	s_waitcnt lgkmcnt(0)
	v_mul_f64 v[11:12], v[1:2], v[9:10]
	v_mul_f64 v[81:82], v[3:4], v[9:10]
	s_delay_alu instid0(VALU_DEP_2) | instskip(NEXT) | instid1(VALU_DEP_2)
	v_fma_f64 v[9:10], v[3:4], v[7:8], -v[11:12]
	v_fma_f64 v[11:12], v[1:2], v[7:8], v[81:82]
	scratch_store_b128 off, v[9:12], off offset:272
.LBB85_83:
	s_or_b32 exec_lo, exec_lo, s2
	s_waitcnt_vscnt null, 0x0
	s_barrier
	buffer_gl0_inv
	scratch_load_b128 v[1:4], v76, off
	s_mov_b32 s2, exec_lo
	s_waitcnt vmcnt(0)
	ds_store_b128 v5, v[1:4]
	s_waitcnt lgkmcnt(0)
	s_barrier
	buffer_gl0_inv
	v_cmpx_gt_u32_e32 18, v57
	s_cbranch_execz .LBB85_87
; %bb.84:
	v_dual_mov_b32 v1, 0 :: v_dual_add_nc_u32 v8, 0x160, v79
	v_dual_mov_b32 v2, 0 :: v_dual_add_nc_u32 v7, -1, v57
	v_or_b32_e32 v9, 8, v80
	s_mov_b32 s3, 0
	s_delay_alu instid0(VALU_DEP_2)
	v_dual_mov_b32 v4, v2 :: v_dual_mov_b32 v3, v1
	.p2align	6
.LBB85_85:                              ; =>This Inner Loop Header: Depth=1
	scratch_load_b128 v[81:84], v9, off offset:-8
	ds_load_b128 v[85:88], v8
	v_add_nc_u32_e32 v7, 1, v7
	v_add_nc_u32_e32 v8, 16, v8
	;; [unrolled: 1-line block ×3, first 2 shown]
	s_delay_alu instid0(VALU_DEP_3) | instskip(SKIP_4) | instid1(VALU_DEP_2)
	v_cmp_lt_u32_e32 vcc_lo, 16, v7
	s_or_b32 s3, vcc_lo, s3
	s_waitcnt vmcnt(0) lgkmcnt(0)
	v_mul_f64 v[10:11], v[87:88], v[83:84]
	v_mul_f64 v[83:84], v[85:86], v[83:84]
	v_fma_f64 v[10:11], v[85:86], v[81:82], -v[10:11]
	s_delay_alu instid0(VALU_DEP_2) | instskip(NEXT) | instid1(VALU_DEP_2)
	v_fma_f64 v[81:82], v[87:88], v[81:82], v[83:84]
	v_add_f64 v[3:4], v[3:4], v[10:11]
	s_delay_alu instid0(VALU_DEP_2)
	v_add_f64 v[1:2], v[1:2], v[81:82]
	s_and_not1_b32 exec_lo, exec_lo, s3
	s_cbranch_execnz .LBB85_85
; %bb.86:
	s_or_b32 exec_lo, exec_lo, s3
	v_mov_b32_e32 v7, 0
	ds_load_b128 v[7:10], v7 offset:288
	s_waitcnt lgkmcnt(0)
	v_mul_f64 v[11:12], v[1:2], v[9:10]
	v_mul_f64 v[81:82], v[3:4], v[9:10]
	s_delay_alu instid0(VALU_DEP_2) | instskip(NEXT) | instid1(VALU_DEP_2)
	v_fma_f64 v[9:10], v[3:4], v[7:8], -v[11:12]
	v_fma_f64 v[11:12], v[1:2], v[7:8], v[81:82]
	scratch_store_b128 off, v[9:12], off offset:288
.LBB85_87:
	s_or_b32 exec_lo, exec_lo, s2
	s_waitcnt_vscnt null, 0x0
	s_barrier
	buffer_gl0_inv
	scratch_load_b128 v[1:4], v75, off
	s_mov_b32 s2, exec_lo
	s_waitcnt vmcnt(0)
	ds_store_b128 v5, v[1:4]
	s_waitcnt lgkmcnt(0)
	s_barrier
	buffer_gl0_inv
	v_cmpx_gt_u32_e32 19, v57
	s_cbranch_execz .LBB85_91
; %bb.88:
	v_dual_mov_b32 v1, 0 :: v_dual_add_nc_u32 v8, 0x160, v79
	v_dual_mov_b32 v2, 0 :: v_dual_add_nc_u32 v7, -1, v57
	v_or_b32_e32 v9, 8, v80
	s_mov_b32 s3, 0
	s_delay_alu instid0(VALU_DEP_2)
	v_dual_mov_b32 v4, v2 :: v_dual_mov_b32 v3, v1
	.p2align	6
.LBB85_89:                              ; =>This Inner Loop Header: Depth=1
	scratch_load_b128 v[81:84], v9, off offset:-8
	ds_load_b128 v[85:88], v8
	v_add_nc_u32_e32 v7, 1, v7
	v_add_nc_u32_e32 v8, 16, v8
	;; [unrolled: 1-line block ×3, first 2 shown]
	s_delay_alu instid0(VALU_DEP_3) | instskip(SKIP_4) | instid1(VALU_DEP_2)
	v_cmp_lt_u32_e32 vcc_lo, 17, v7
	s_or_b32 s3, vcc_lo, s3
	s_waitcnt vmcnt(0) lgkmcnt(0)
	v_mul_f64 v[10:11], v[87:88], v[83:84]
	v_mul_f64 v[83:84], v[85:86], v[83:84]
	v_fma_f64 v[10:11], v[85:86], v[81:82], -v[10:11]
	s_delay_alu instid0(VALU_DEP_2) | instskip(NEXT) | instid1(VALU_DEP_2)
	v_fma_f64 v[81:82], v[87:88], v[81:82], v[83:84]
	v_add_f64 v[3:4], v[3:4], v[10:11]
	s_delay_alu instid0(VALU_DEP_2)
	v_add_f64 v[1:2], v[1:2], v[81:82]
	s_and_not1_b32 exec_lo, exec_lo, s3
	s_cbranch_execnz .LBB85_89
; %bb.90:
	s_or_b32 exec_lo, exec_lo, s3
	v_mov_b32_e32 v7, 0
	ds_load_b128 v[7:10], v7 offset:304
	s_waitcnt lgkmcnt(0)
	v_mul_f64 v[11:12], v[1:2], v[9:10]
	v_mul_f64 v[81:82], v[3:4], v[9:10]
	s_delay_alu instid0(VALU_DEP_2) | instskip(NEXT) | instid1(VALU_DEP_2)
	v_fma_f64 v[9:10], v[3:4], v[7:8], -v[11:12]
	v_fma_f64 v[11:12], v[1:2], v[7:8], v[81:82]
	scratch_store_b128 off, v[9:12], off offset:304
.LBB85_91:
	s_or_b32 exec_lo, exec_lo, s2
	s_waitcnt_vscnt null, 0x0
	s_barrier
	buffer_gl0_inv
	scratch_load_b128 v[1:4], v78, off
	s_mov_b32 s2, exec_lo
	s_waitcnt vmcnt(0)
	ds_store_b128 v5, v[1:4]
	s_waitcnt lgkmcnt(0)
	s_barrier
	buffer_gl0_inv
	v_cmpx_gt_u32_e32 20, v57
	s_cbranch_execz .LBB85_95
; %bb.92:
	v_dual_mov_b32 v1, 0 :: v_dual_add_nc_u32 v8, 0x160, v79
	v_dual_mov_b32 v2, 0 :: v_dual_add_nc_u32 v7, -1, v57
	v_or_b32_e32 v9, 8, v80
	s_mov_b32 s3, 0
	s_delay_alu instid0(VALU_DEP_2)
	v_dual_mov_b32 v4, v2 :: v_dual_mov_b32 v3, v1
	.p2align	6
.LBB85_93:                              ; =>This Inner Loop Header: Depth=1
	scratch_load_b128 v[81:84], v9, off offset:-8
	ds_load_b128 v[85:88], v8
	v_add_nc_u32_e32 v7, 1, v7
	v_add_nc_u32_e32 v8, 16, v8
	;; [unrolled: 1-line block ×3, first 2 shown]
	s_delay_alu instid0(VALU_DEP_3) | instskip(SKIP_4) | instid1(VALU_DEP_2)
	v_cmp_lt_u32_e32 vcc_lo, 18, v7
	s_or_b32 s3, vcc_lo, s3
	s_waitcnt vmcnt(0) lgkmcnt(0)
	v_mul_f64 v[10:11], v[87:88], v[83:84]
	v_mul_f64 v[83:84], v[85:86], v[83:84]
	v_fma_f64 v[10:11], v[85:86], v[81:82], -v[10:11]
	s_delay_alu instid0(VALU_DEP_2) | instskip(NEXT) | instid1(VALU_DEP_2)
	v_fma_f64 v[81:82], v[87:88], v[81:82], v[83:84]
	v_add_f64 v[3:4], v[3:4], v[10:11]
	s_delay_alu instid0(VALU_DEP_2)
	v_add_f64 v[1:2], v[1:2], v[81:82]
	s_and_not1_b32 exec_lo, exec_lo, s3
	s_cbranch_execnz .LBB85_93
; %bb.94:
	s_or_b32 exec_lo, exec_lo, s3
	v_mov_b32_e32 v7, 0
	ds_load_b128 v[7:10], v7 offset:320
	s_waitcnt lgkmcnt(0)
	v_mul_f64 v[11:12], v[1:2], v[9:10]
	v_mul_f64 v[81:82], v[3:4], v[9:10]
	s_delay_alu instid0(VALU_DEP_2) | instskip(NEXT) | instid1(VALU_DEP_2)
	v_fma_f64 v[9:10], v[3:4], v[7:8], -v[11:12]
	v_fma_f64 v[11:12], v[1:2], v[7:8], v[81:82]
	scratch_store_b128 off, v[9:12], off offset:320
.LBB85_95:
	s_or_b32 exec_lo, exec_lo, s2
	s_waitcnt_vscnt null, 0x0
	s_barrier
	buffer_gl0_inv
	scratch_load_b128 v[1:4], v77, off
	s_mov_b32 s2, exec_lo
	s_waitcnt vmcnt(0)
	ds_store_b128 v5, v[1:4]
	s_waitcnt lgkmcnt(0)
	s_barrier
	buffer_gl0_inv
	v_cmpx_ne_u32_e32 21, v57
	s_cbranch_execz .LBB85_99
; %bb.96:
	v_mov_b32_e32 v1, 0
	v_mov_b32_e32 v2, 0
	v_or_b32_e32 v7, 8, v80
	s_mov_b32 s3, 0
	s_delay_alu instid0(VALU_DEP_2)
	v_dual_mov_b32 v4, v2 :: v_dual_mov_b32 v3, v1
	.p2align	6
.LBB85_97:                              ; =>This Inner Loop Header: Depth=1
	scratch_load_b128 v[8:11], v7, off offset:-8
	ds_load_b128 v[79:82], v5
	v_add_nc_u32_e32 v6, 1, v6
	v_add_nc_u32_e32 v5, 16, v5
	;; [unrolled: 1-line block ×3, first 2 shown]
	s_delay_alu instid0(VALU_DEP_3) | instskip(SKIP_4) | instid1(VALU_DEP_2)
	v_cmp_lt_u32_e32 vcc_lo, 19, v6
	s_or_b32 s3, vcc_lo, s3
	s_waitcnt vmcnt(0) lgkmcnt(0)
	v_mul_f64 v[83:84], v[81:82], v[10:11]
	v_mul_f64 v[10:11], v[79:80], v[10:11]
	v_fma_f64 v[79:80], v[79:80], v[8:9], -v[83:84]
	s_delay_alu instid0(VALU_DEP_2) | instskip(NEXT) | instid1(VALU_DEP_2)
	v_fma_f64 v[8:9], v[81:82], v[8:9], v[10:11]
	v_add_f64 v[3:4], v[3:4], v[79:80]
	s_delay_alu instid0(VALU_DEP_2)
	v_add_f64 v[1:2], v[1:2], v[8:9]
	s_and_not1_b32 exec_lo, exec_lo, s3
	s_cbranch_execnz .LBB85_97
; %bb.98:
	s_or_b32 exec_lo, exec_lo, s3
	v_mov_b32_e32 v5, 0
	ds_load_b128 v[5:8], v5 offset:336
	s_waitcnt lgkmcnt(0)
	v_mul_f64 v[9:10], v[1:2], v[7:8]
	v_mul_f64 v[7:8], v[3:4], v[7:8]
	s_delay_alu instid0(VALU_DEP_2) | instskip(NEXT) | instid1(VALU_DEP_2)
	v_fma_f64 v[3:4], v[3:4], v[5:6], -v[9:10]
	v_fma_f64 v[5:6], v[1:2], v[5:6], v[7:8]
	scratch_store_b128 off, v[3:6], off offset:336
.LBB85_99:
	s_or_b32 exec_lo, exec_lo, s2
	s_mov_b32 s3, -1
	s_waitcnt_vscnt null, 0x0
	s_barrier
	buffer_gl0_inv
.LBB85_100:
	s_and_b32 vcc_lo, exec_lo, s3
	s_cbranch_vccz .LBB85_102
; %bb.101:
	s_lshl_b64 s[2:3], s[10:11], 2
	v_mov_b32_e32 v1, 0
	s_add_u32 s2, s6, s2
	s_addc_u32 s3, s7, s3
	global_load_b32 v1, v1, s[2:3]
	s_waitcnt vmcnt(0)
	v_cmp_ne_u32_e32 vcc_lo, 0, v1
	s_cbranch_vccz .LBB85_103
.LBB85_102:
	s_endpgm
.LBB85_103:
	v_lshl_add_u32 v5, v57, 4, 0x160
	s_mov_b32 s2, exec_lo
	v_cmpx_eq_u32_e32 21, v57
	s_cbranch_execz .LBB85_105
; %bb.104:
	scratch_load_b128 v[1:4], v78, off
	v_mov_b32_e32 v6, 0
	s_delay_alu instid0(VALU_DEP_1)
	v_mov_b32_e32 v7, v6
	v_mov_b32_e32 v8, v6
	;; [unrolled: 1-line block ×3, first 2 shown]
	scratch_store_b128 off, v[6:9], off offset:320
	s_waitcnt vmcnt(0)
	ds_store_b128 v5, v[1:4]
.LBB85_105:
	s_or_b32 exec_lo, exec_lo, s2
	s_waitcnt lgkmcnt(0)
	s_waitcnt_vscnt null, 0x0
	s_barrier
	buffer_gl0_inv
	s_clause 0x1
	scratch_load_b128 v[6:9], off, off offset:336
	scratch_load_b128 v[79:82], off, off offset:320
	v_mov_b32_e32 v1, 0
	s_mov_b32 s2, exec_lo
	ds_load_b128 v[83:86], v1 offset:688
	s_waitcnt vmcnt(1) lgkmcnt(0)
	v_mul_f64 v[2:3], v[85:86], v[8:9]
	v_mul_f64 v[8:9], v[83:84], v[8:9]
	s_delay_alu instid0(VALU_DEP_2) | instskip(NEXT) | instid1(VALU_DEP_2)
	v_fma_f64 v[2:3], v[83:84], v[6:7], -v[2:3]
	v_fma_f64 v[6:7], v[85:86], v[6:7], v[8:9]
	s_delay_alu instid0(VALU_DEP_2) | instskip(NEXT) | instid1(VALU_DEP_2)
	v_add_f64 v[2:3], v[2:3], 0
	v_add_f64 v[8:9], v[6:7], 0
	s_waitcnt vmcnt(0)
	s_delay_alu instid0(VALU_DEP_2) | instskip(NEXT) | instid1(VALU_DEP_2)
	v_add_f64 v[6:7], v[79:80], -v[2:3]
	v_add_f64 v[8:9], v[81:82], -v[8:9]
	scratch_store_b128 off, v[6:9], off offset:320
	v_cmpx_lt_u32_e32 19, v57
	s_cbranch_execz .LBB85_107
; %bb.106:
	scratch_load_b128 v[6:9], v75, off
	v_mov_b32_e32 v2, v1
	v_mov_b32_e32 v3, v1
	;; [unrolled: 1-line block ×3, first 2 shown]
	scratch_store_b128 off, v[1:4], off offset:304
	s_waitcnt vmcnt(0)
	ds_store_b128 v5, v[6:9]
.LBB85_107:
	s_or_b32 exec_lo, exec_lo, s2
	s_waitcnt lgkmcnt(0)
	s_waitcnt_vscnt null, 0x0
	s_barrier
	buffer_gl0_inv
	s_clause 0x2
	scratch_load_b128 v[6:9], off, off offset:320
	scratch_load_b128 v[79:82], off, off offset:336
	;; [unrolled: 1-line block ×3, first 2 shown]
	ds_load_b128 v[87:90], v1 offset:672
	ds_load_b128 v[1:4], v1 offset:688
	s_mov_b32 s2, exec_lo
	s_waitcnt vmcnt(2) lgkmcnt(1)
	v_mul_f64 v[10:11], v[89:90], v[8:9]
	v_mul_f64 v[8:9], v[87:88], v[8:9]
	s_waitcnt vmcnt(1) lgkmcnt(0)
	v_mul_f64 v[91:92], v[1:2], v[81:82]
	v_mul_f64 v[81:82], v[3:4], v[81:82]
	s_delay_alu instid0(VALU_DEP_4) | instskip(NEXT) | instid1(VALU_DEP_4)
	v_fma_f64 v[10:11], v[87:88], v[6:7], -v[10:11]
	v_fma_f64 v[6:7], v[89:90], v[6:7], v[8:9]
	s_delay_alu instid0(VALU_DEP_4) | instskip(NEXT) | instid1(VALU_DEP_4)
	v_fma_f64 v[3:4], v[3:4], v[79:80], v[91:92]
	v_fma_f64 v[1:2], v[1:2], v[79:80], -v[81:82]
	s_delay_alu instid0(VALU_DEP_4) | instskip(NEXT) | instid1(VALU_DEP_4)
	v_add_f64 v[8:9], v[10:11], 0
	v_add_f64 v[6:7], v[6:7], 0
	s_delay_alu instid0(VALU_DEP_2) | instskip(NEXT) | instid1(VALU_DEP_2)
	v_add_f64 v[1:2], v[8:9], v[1:2]
	v_add_f64 v[3:4], v[6:7], v[3:4]
	s_waitcnt vmcnt(0)
	s_delay_alu instid0(VALU_DEP_2) | instskip(NEXT) | instid1(VALU_DEP_2)
	v_add_f64 v[1:2], v[83:84], -v[1:2]
	v_add_f64 v[3:4], v[85:86], -v[3:4]
	scratch_store_b128 off, v[1:4], off offset:304
	v_cmpx_lt_u32_e32 18, v57
	s_cbranch_execz .LBB85_109
; %bb.108:
	scratch_load_b128 v[1:4], v76, off
	v_mov_b32_e32 v6, 0
	s_delay_alu instid0(VALU_DEP_1)
	v_mov_b32_e32 v7, v6
	v_mov_b32_e32 v8, v6
	;; [unrolled: 1-line block ×3, first 2 shown]
	scratch_store_b128 off, v[6:9], off offset:288
	s_waitcnt vmcnt(0)
	ds_store_b128 v5, v[1:4]
.LBB85_109:
	s_or_b32 exec_lo, exec_lo, s2
	s_waitcnt lgkmcnt(0)
	s_waitcnt_vscnt null, 0x0
	s_barrier
	buffer_gl0_inv
	s_clause 0x3
	scratch_load_b128 v[6:9], off, off offset:304
	scratch_load_b128 v[79:82], off, off offset:320
	;; [unrolled: 1-line block ×4, first 2 shown]
	v_mov_b32_e32 v1, 0
	ds_load_b128 v[91:94], v1 offset:656
	ds_load_b128 v[95:98], v1 offset:672
	s_mov_b32 s2, exec_lo
	s_waitcnt vmcnt(3) lgkmcnt(1)
	v_mul_f64 v[2:3], v[93:94], v[8:9]
	v_mul_f64 v[8:9], v[91:92], v[8:9]
	s_waitcnt vmcnt(2) lgkmcnt(0)
	v_mul_f64 v[10:11], v[95:96], v[81:82]
	v_mul_f64 v[81:82], v[97:98], v[81:82]
	s_delay_alu instid0(VALU_DEP_4) | instskip(NEXT) | instid1(VALU_DEP_4)
	v_fma_f64 v[2:3], v[91:92], v[6:7], -v[2:3]
	v_fma_f64 v[91:92], v[93:94], v[6:7], v[8:9]
	ds_load_b128 v[6:9], v1 offset:688
	v_fma_f64 v[10:11], v[97:98], v[79:80], v[10:11]
	v_fma_f64 v[79:80], v[95:96], v[79:80], -v[81:82]
	s_waitcnt vmcnt(1) lgkmcnt(0)
	v_mul_f64 v[93:94], v[6:7], v[85:86]
	v_mul_f64 v[85:86], v[8:9], v[85:86]
	v_add_f64 v[2:3], v[2:3], 0
	v_add_f64 v[81:82], v[91:92], 0
	s_delay_alu instid0(VALU_DEP_4) | instskip(NEXT) | instid1(VALU_DEP_4)
	v_fma_f64 v[8:9], v[8:9], v[83:84], v[93:94]
	v_fma_f64 v[6:7], v[6:7], v[83:84], -v[85:86]
	s_delay_alu instid0(VALU_DEP_4) | instskip(NEXT) | instid1(VALU_DEP_4)
	v_add_f64 v[2:3], v[2:3], v[79:80]
	v_add_f64 v[10:11], v[81:82], v[10:11]
	s_delay_alu instid0(VALU_DEP_2) | instskip(NEXT) | instid1(VALU_DEP_2)
	v_add_f64 v[2:3], v[2:3], v[6:7]
	v_add_f64 v[8:9], v[10:11], v[8:9]
	s_waitcnt vmcnt(0)
	s_delay_alu instid0(VALU_DEP_2) | instskip(NEXT) | instid1(VALU_DEP_2)
	v_add_f64 v[6:7], v[87:88], -v[2:3]
	v_add_f64 v[8:9], v[89:90], -v[8:9]
	scratch_store_b128 off, v[6:9], off offset:288
	v_cmpx_lt_u32_e32 17, v57
	s_cbranch_execz .LBB85_111
; %bb.110:
	scratch_load_b128 v[6:9], v73, off
	v_mov_b32_e32 v2, v1
	v_mov_b32_e32 v3, v1
	;; [unrolled: 1-line block ×3, first 2 shown]
	scratch_store_b128 off, v[1:4], off offset:272
	s_waitcnt vmcnt(0)
	ds_store_b128 v5, v[6:9]
.LBB85_111:
	s_or_b32 exec_lo, exec_lo, s2
	s_waitcnt lgkmcnt(0)
	s_waitcnt_vscnt null, 0x0
	s_barrier
	buffer_gl0_inv
	s_clause 0x4
	scratch_load_b128 v[6:9], off, off offset:288
	scratch_load_b128 v[79:82], off, off offset:304
	;; [unrolled: 1-line block ×5, first 2 shown]
	ds_load_b128 v[95:98], v1 offset:640
	ds_load_b128 v[99:102], v1 offset:656
	s_mov_b32 s2, exec_lo
	s_waitcnt vmcnt(4) lgkmcnt(1)
	v_mul_f64 v[2:3], v[97:98], v[8:9]
	v_mul_f64 v[8:9], v[95:96], v[8:9]
	s_waitcnt vmcnt(3) lgkmcnt(0)
	v_mul_f64 v[10:11], v[99:100], v[81:82]
	v_mul_f64 v[81:82], v[101:102], v[81:82]
	s_delay_alu instid0(VALU_DEP_4) | instskip(NEXT) | instid1(VALU_DEP_4)
	v_fma_f64 v[95:96], v[95:96], v[6:7], -v[2:3]
	v_fma_f64 v[97:98], v[97:98], v[6:7], v[8:9]
	ds_load_b128 v[6:9], v1 offset:672
	ds_load_b128 v[1:4], v1 offset:688
	v_fma_f64 v[10:11], v[101:102], v[79:80], v[10:11]
	v_fma_f64 v[79:80], v[99:100], v[79:80], -v[81:82]
	s_waitcnt vmcnt(2) lgkmcnt(1)
	v_mul_f64 v[103:104], v[6:7], v[85:86]
	v_mul_f64 v[85:86], v[8:9], v[85:86]
	v_add_f64 v[81:82], v[95:96], 0
	v_add_f64 v[95:96], v[97:98], 0
	s_waitcnt vmcnt(1) lgkmcnt(0)
	v_mul_f64 v[97:98], v[1:2], v[89:90]
	v_mul_f64 v[89:90], v[3:4], v[89:90]
	v_fma_f64 v[8:9], v[8:9], v[83:84], v[103:104]
	v_fma_f64 v[6:7], v[6:7], v[83:84], -v[85:86]
	v_add_f64 v[79:80], v[81:82], v[79:80]
	v_add_f64 v[10:11], v[95:96], v[10:11]
	v_fma_f64 v[3:4], v[3:4], v[87:88], v[97:98]
	v_fma_f64 v[1:2], v[1:2], v[87:88], -v[89:90]
	s_delay_alu instid0(VALU_DEP_4) | instskip(NEXT) | instid1(VALU_DEP_4)
	v_add_f64 v[6:7], v[79:80], v[6:7]
	v_add_f64 v[8:9], v[10:11], v[8:9]
	s_delay_alu instid0(VALU_DEP_2) | instskip(NEXT) | instid1(VALU_DEP_2)
	v_add_f64 v[1:2], v[6:7], v[1:2]
	v_add_f64 v[3:4], v[8:9], v[3:4]
	s_waitcnt vmcnt(0)
	s_delay_alu instid0(VALU_DEP_2) | instskip(NEXT) | instid1(VALU_DEP_2)
	v_add_f64 v[1:2], v[91:92], -v[1:2]
	v_add_f64 v[3:4], v[93:94], -v[3:4]
	scratch_store_b128 off, v[1:4], off offset:272
	v_cmpx_lt_u32_e32 16, v57
	s_cbranch_execz .LBB85_113
; %bb.112:
	scratch_load_b128 v[1:4], v74, off
	v_mov_b32_e32 v6, 0
	s_delay_alu instid0(VALU_DEP_1)
	v_mov_b32_e32 v7, v6
	v_mov_b32_e32 v8, v6
	;; [unrolled: 1-line block ×3, first 2 shown]
	scratch_store_b128 off, v[6:9], off offset:256
	s_waitcnt vmcnt(0)
	ds_store_b128 v5, v[1:4]
.LBB85_113:
	s_or_b32 exec_lo, exec_lo, s2
	s_waitcnt lgkmcnt(0)
	s_waitcnt_vscnt null, 0x0
	s_barrier
	buffer_gl0_inv
	s_clause 0x5
	scratch_load_b128 v[6:9], off, off offset:272
	scratch_load_b128 v[79:82], off, off offset:288
	;; [unrolled: 1-line block ×6, first 2 shown]
	v_mov_b32_e32 v1, 0
	ds_load_b128 v[99:102], v1 offset:624
	ds_load_b128 v[103:106], v1 offset:640
	s_mov_b32 s2, exec_lo
	s_waitcnt vmcnt(5) lgkmcnt(1)
	v_mul_f64 v[2:3], v[101:102], v[8:9]
	v_mul_f64 v[8:9], v[99:100], v[8:9]
	s_waitcnt vmcnt(4) lgkmcnt(0)
	v_mul_f64 v[10:11], v[103:104], v[81:82]
	v_mul_f64 v[81:82], v[105:106], v[81:82]
	s_delay_alu instid0(VALU_DEP_4) | instskip(NEXT) | instid1(VALU_DEP_4)
	v_fma_f64 v[2:3], v[99:100], v[6:7], -v[2:3]
	v_fma_f64 v[107:108], v[101:102], v[6:7], v[8:9]
	ds_load_b128 v[6:9], v1 offset:656
	ds_load_b128 v[99:102], v1 offset:672
	v_fma_f64 v[10:11], v[105:106], v[79:80], v[10:11]
	v_fma_f64 v[79:80], v[103:104], v[79:80], -v[81:82]
	s_waitcnt vmcnt(3) lgkmcnt(1)
	v_mul_f64 v[109:110], v[6:7], v[85:86]
	v_mul_f64 v[85:86], v[8:9], v[85:86]
	s_waitcnt vmcnt(2) lgkmcnt(0)
	v_mul_f64 v[103:104], v[99:100], v[89:90]
	v_mul_f64 v[89:90], v[101:102], v[89:90]
	v_add_f64 v[2:3], v[2:3], 0
	v_add_f64 v[81:82], v[107:108], 0
	v_fma_f64 v[105:106], v[8:9], v[83:84], v[109:110]
	v_fma_f64 v[83:84], v[6:7], v[83:84], -v[85:86]
	ds_load_b128 v[6:9], v1 offset:688
	v_fma_f64 v[85:86], v[101:102], v[87:88], v[103:104]
	v_fma_f64 v[87:88], v[99:100], v[87:88], -v[89:90]
	v_add_f64 v[2:3], v[2:3], v[79:80]
	v_add_f64 v[10:11], v[81:82], v[10:11]
	s_waitcnt vmcnt(1) lgkmcnt(0)
	v_mul_f64 v[79:80], v[6:7], v[93:94]
	v_mul_f64 v[81:82], v[8:9], v[93:94]
	s_delay_alu instid0(VALU_DEP_4) | instskip(NEXT) | instid1(VALU_DEP_4)
	v_add_f64 v[2:3], v[2:3], v[83:84]
	v_add_f64 v[10:11], v[10:11], v[105:106]
	s_delay_alu instid0(VALU_DEP_4) | instskip(NEXT) | instid1(VALU_DEP_4)
	v_fma_f64 v[8:9], v[8:9], v[91:92], v[79:80]
	v_fma_f64 v[6:7], v[6:7], v[91:92], -v[81:82]
	s_delay_alu instid0(VALU_DEP_4) | instskip(NEXT) | instid1(VALU_DEP_4)
	v_add_f64 v[2:3], v[2:3], v[87:88]
	v_add_f64 v[10:11], v[10:11], v[85:86]
	s_delay_alu instid0(VALU_DEP_2) | instskip(NEXT) | instid1(VALU_DEP_2)
	v_add_f64 v[2:3], v[2:3], v[6:7]
	v_add_f64 v[8:9], v[10:11], v[8:9]
	s_waitcnt vmcnt(0)
	s_delay_alu instid0(VALU_DEP_2) | instskip(NEXT) | instid1(VALU_DEP_2)
	v_add_f64 v[6:7], v[95:96], -v[2:3]
	v_add_f64 v[8:9], v[97:98], -v[8:9]
	scratch_store_b128 off, v[6:9], off offset:256
	v_cmpx_lt_u32_e32 15, v57
	s_cbranch_execz .LBB85_115
; %bb.114:
	scratch_load_b128 v[6:9], v71, off
	v_mov_b32_e32 v2, v1
	v_mov_b32_e32 v3, v1
	;; [unrolled: 1-line block ×3, first 2 shown]
	scratch_store_b128 off, v[1:4], off offset:240
	s_waitcnt vmcnt(0)
	ds_store_b128 v5, v[6:9]
.LBB85_115:
	s_or_b32 exec_lo, exec_lo, s2
	s_waitcnt lgkmcnt(0)
	s_waitcnt_vscnt null, 0x0
	s_barrier
	buffer_gl0_inv
	s_clause 0x5
	scratch_load_b128 v[6:9], off, off offset:256
	scratch_load_b128 v[79:82], off, off offset:272
	scratch_load_b128 v[83:86], off, off offset:288
	scratch_load_b128 v[87:90], off, off offset:304
	scratch_load_b128 v[91:94], off, off offset:320
	scratch_load_b128 v[95:98], off, off offset:336
	ds_load_b128 v[99:102], v1 offset:608
	ds_load_b128 v[107:110], v1 offset:624
	scratch_load_b128 v[103:106], off, off offset:240
	s_mov_b32 s2, exec_lo
	s_waitcnt vmcnt(6) lgkmcnt(1)
	v_mul_f64 v[2:3], v[101:102], v[8:9]
	v_mul_f64 v[8:9], v[99:100], v[8:9]
	s_waitcnt vmcnt(5) lgkmcnt(0)
	v_mul_f64 v[10:11], v[107:108], v[81:82]
	v_mul_f64 v[81:82], v[109:110], v[81:82]
	s_delay_alu instid0(VALU_DEP_4) | instskip(NEXT) | instid1(VALU_DEP_4)
	v_fma_f64 v[2:3], v[99:100], v[6:7], -v[2:3]
	v_fma_f64 v[111:112], v[101:102], v[6:7], v[8:9]
	ds_load_b128 v[6:9], v1 offset:640
	ds_load_b128 v[99:102], v1 offset:656
	v_fma_f64 v[10:11], v[109:110], v[79:80], v[10:11]
	v_fma_f64 v[79:80], v[107:108], v[79:80], -v[81:82]
	s_waitcnt vmcnt(4) lgkmcnt(1)
	v_mul_f64 v[113:114], v[6:7], v[85:86]
	v_mul_f64 v[85:86], v[8:9], v[85:86]
	s_waitcnt vmcnt(3) lgkmcnt(0)
	v_mul_f64 v[107:108], v[99:100], v[89:90]
	v_mul_f64 v[89:90], v[101:102], v[89:90]
	v_add_f64 v[2:3], v[2:3], 0
	v_add_f64 v[81:82], v[111:112], 0
	v_fma_f64 v[109:110], v[8:9], v[83:84], v[113:114]
	v_fma_f64 v[83:84], v[6:7], v[83:84], -v[85:86]
	s_delay_alu instid0(VALU_DEP_4) | instskip(NEXT) | instid1(VALU_DEP_4)
	v_add_f64 v[79:80], v[2:3], v[79:80]
	v_add_f64 v[10:11], v[81:82], v[10:11]
	ds_load_b128 v[6:9], v1 offset:672
	ds_load_b128 v[1:4], v1 offset:688
	s_waitcnt vmcnt(2) lgkmcnt(1)
	v_mul_f64 v[81:82], v[6:7], v[93:94]
	v_mul_f64 v[85:86], v[8:9], v[93:94]
	v_fma_f64 v[93:94], v[101:102], v[87:88], v[107:108]
	v_fma_f64 v[87:88], v[99:100], v[87:88], -v[89:90]
	s_waitcnt vmcnt(1) lgkmcnt(0)
	v_mul_f64 v[89:90], v[3:4], v[97:98]
	v_add_f64 v[79:80], v[79:80], v[83:84]
	v_add_f64 v[10:11], v[10:11], v[109:110]
	v_mul_f64 v[83:84], v[1:2], v[97:98]
	v_fma_f64 v[8:9], v[8:9], v[91:92], v[81:82]
	v_fma_f64 v[6:7], v[6:7], v[91:92], -v[85:86]
	v_fma_f64 v[1:2], v[1:2], v[95:96], -v[89:90]
	v_add_f64 v[79:80], v[79:80], v[87:88]
	v_add_f64 v[10:11], v[10:11], v[93:94]
	v_fma_f64 v[3:4], v[3:4], v[95:96], v[83:84]
	s_delay_alu instid0(VALU_DEP_3) | instskip(NEXT) | instid1(VALU_DEP_3)
	v_add_f64 v[6:7], v[79:80], v[6:7]
	v_add_f64 v[8:9], v[10:11], v[8:9]
	s_delay_alu instid0(VALU_DEP_2) | instskip(NEXT) | instid1(VALU_DEP_2)
	v_add_f64 v[1:2], v[6:7], v[1:2]
	v_add_f64 v[3:4], v[8:9], v[3:4]
	s_waitcnt vmcnt(0)
	s_delay_alu instid0(VALU_DEP_2) | instskip(NEXT) | instid1(VALU_DEP_2)
	v_add_f64 v[1:2], v[103:104], -v[1:2]
	v_add_f64 v[3:4], v[105:106], -v[3:4]
	scratch_store_b128 off, v[1:4], off offset:240
	v_cmpx_lt_u32_e32 14, v57
	s_cbranch_execz .LBB85_117
; %bb.116:
	scratch_load_b128 v[1:4], v72, off
	v_mov_b32_e32 v6, 0
	s_delay_alu instid0(VALU_DEP_1)
	v_mov_b32_e32 v7, v6
	v_mov_b32_e32 v8, v6
	;; [unrolled: 1-line block ×3, first 2 shown]
	scratch_store_b128 off, v[6:9], off offset:224
	s_waitcnt vmcnt(0)
	ds_store_b128 v5, v[1:4]
.LBB85_117:
	s_or_b32 exec_lo, exec_lo, s2
	s_waitcnt lgkmcnt(0)
	s_waitcnt_vscnt null, 0x0
	s_barrier
	buffer_gl0_inv
	s_clause 0x6
	scratch_load_b128 v[6:9], off, off offset:240
	scratch_load_b128 v[79:82], off, off offset:256
	;; [unrolled: 1-line block ×7, first 2 shown]
	v_mov_b32_e32 v1, 0
	scratch_load_b128 v[107:110], off, off offset:224
	s_mov_b32 s2, exec_lo
	ds_load_b128 v[103:106], v1 offset:592
	ds_load_b128 v[111:114], v1 offset:608
	s_waitcnt vmcnt(7) lgkmcnt(1)
	v_mul_f64 v[2:3], v[105:106], v[8:9]
	v_mul_f64 v[8:9], v[103:104], v[8:9]
	s_waitcnt vmcnt(6) lgkmcnt(0)
	v_mul_f64 v[10:11], v[111:112], v[81:82]
	v_mul_f64 v[81:82], v[113:114], v[81:82]
	s_delay_alu instid0(VALU_DEP_4) | instskip(NEXT) | instid1(VALU_DEP_4)
	v_fma_f64 v[2:3], v[103:104], v[6:7], -v[2:3]
	v_fma_f64 v[115:116], v[105:106], v[6:7], v[8:9]
	ds_load_b128 v[6:9], v1 offset:624
	ds_load_b128 v[103:106], v1 offset:640
	v_fma_f64 v[10:11], v[113:114], v[79:80], v[10:11]
	v_fma_f64 v[79:80], v[111:112], v[79:80], -v[81:82]
	s_waitcnt vmcnt(5) lgkmcnt(1)
	v_mul_f64 v[117:118], v[6:7], v[85:86]
	v_mul_f64 v[85:86], v[8:9], v[85:86]
	s_waitcnt vmcnt(4) lgkmcnt(0)
	v_mul_f64 v[111:112], v[103:104], v[89:90]
	v_mul_f64 v[89:90], v[105:106], v[89:90]
	v_add_f64 v[2:3], v[2:3], 0
	v_add_f64 v[81:82], v[115:116], 0
	v_fma_f64 v[113:114], v[8:9], v[83:84], v[117:118]
	v_fma_f64 v[83:84], v[6:7], v[83:84], -v[85:86]
	v_fma_f64 v[105:106], v[105:106], v[87:88], v[111:112]
	v_fma_f64 v[87:88], v[103:104], v[87:88], -v[89:90]
	v_add_f64 v[2:3], v[2:3], v[79:80]
	v_add_f64 v[10:11], v[81:82], v[10:11]
	ds_load_b128 v[6:9], v1 offset:656
	ds_load_b128 v[79:82], v1 offset:672
	s_waitcnt vmcnt(3) lgkmcnt(1)
	v_mul_f64 v[85:86], v[6:7], v[93:94]
	v_mul_f64 v[93:94], v[8:9], v[93:94]
	s_waitcnt vmcnt(2) lgkmcnt(0)
	v_mul_f64 v[89:90], v[81:82], v[97:98]
	v_add_f64 v[2:3], v[2:3], v[83:84]
	v_add_f64 v[10:11], v[10:11], v[113:114]
	v_mul_f64 v[83:84], v[79:80], v[97:98]
	v_fma_f64 v[85:86], v[8:9], v[91:92], v[85:86]
	v_fma_f64 v[91:92], v[6:7], v[91:92], -v[93:94]
	ds_load_b128 v[6:9], v1 offset:688
	v_fma_f64 v[79:80], v[79:80], v[95:96], -v[89:90]
	v_add_f64 v[2:3], v[2:3], v[87:88]
	v_add_f64 v[10:11], v[10:11], v[105:106]
	v_fma_f64 v[81:82], v[81:82], v[95:96], v[83:84]
	s_waitcnt vmcnt(1) lgkmcnt(0)
	v_mul_f64 v[87:88], v[6:7], v[101:102]
	v_mul_f64 v[93:94], v[8:9], v[101:102]
	v_add_f64 v[2:3], v[2:3], v[91:92]
	v_add_f64 v[10:11], v[10:11], v[85:86]
	s_delay_alu instid0(VALU_DEP_4) | instskip(NEXT) | instid1(VALU_DEP_4)
	v_fma_f64 v[8:9], v[8:9], v[99:100], v[87:88]
	v_fma_f64 v[6:7], v[6:7], v[99:100], -v[93:94]
	s_delay_alu instid0(VALU_DEP_4) | instskip(NEXT) | instid1(VALU_DEP_4)
	v_add_f64 v[2:3], v[2:3], v[79:80]
	v_add_f64 v[10:11], v[10:11], v[81:82]
	s_delay_alu instid0(VALU_DEP_2) | instskip(NEXT) | instid1(VALU_DEP_2)
	v_add_f64 v[2:3], v[2:3], v[6:7]
	v_add_f64 v[8:9], v[10:11], v[8:9]
	s_waitcnt vmcnt(0)
	s_delay_alu instid0(VALU_DEP_2) | instskip(NEXT) | instid1(VALU_DEP_2)
	v_add_f64 v[6:7], v[107:108], -v[2:3]
	v_add_f64 v[8:9], v[109:110], -v[8:9]
	scratch_store_b128 off, v[6:9], off offset:224
	v_cmpx_lt_u32_e32 13, v57
	s_cbranch_execz .LBB85_119
; %bb.118:
	scratch_load_b128 v[6:9], v69, off
	v_mov_b32_e32 v2, v1
	v_mov_b32_e32 v3, v1
	;; [unrolled: 1-line block ×3, first 2 shown]
	scratch_store_b128 off, v[1:4], off offset:208
	s_waitcnt vmcnt(0)
	ds_store_b128 v5, v[6:9]
.LBB85_119:
	s_or_b32 exec_lo, exec_lo, s2
	s_waitcnt lgkmcnt(0)
	s_waitcnt_vscnt null, 0x0
	s_barrier
	buffer_gl0_inv
	s_clause 0x7
	scratch_load_b128 v[6:9], off, off offset:224
	scratch_load_b128 v[79:82], off, off offset:240
	;; [unrolled: 1-line block ×8, first 2 shown]
	ds_load_b128 v[107:110], v1 offset:576
	s_mov_b32 s2, exec_lo
	s_waitcnt vmcnt(7) lgkmcnt(0)
	v_mul_f64 v[2:3], v[109:110], v[8:9]
	v_mul_f64 v[111:112], v[107:108], v[8:9]
	ds_load_b128 v[8:11], v1 offset:592
	v_fma_f64 v[2:3], v[107:108], v[6:7], -v[2:3]
	v_fma_f64 v[6:7], v[109:110], v[6:7], v[111:112]
	ds_load_b128 v[107:110], v1 offset:608
	s_waitcnt vmcnt(6) lgkmcnt(1)
	v_mul_f64 v[115:116], v[8:9], v[81:82]
	v_mul_f64 v[81:82], v[10:11], v[81:82]
	scratch_load_b128 v[111:114], off, off offset:208
	s_waitcnt vmcnt(6) lgkmcnt(0)
	v_mul_f64 v[117:118], v[107:108], v[85:86]
	v_mul_f64 v[85:86], v[109:110], v[85:86]
	v_add_f64 v[2:3], v[2:3], 0
	v_fma_f64 v[10:11], v[10:11], v[79:80], v[115:116]
	v_fma_f64 v[79:80], v[8:9], v[79:80], -v[81:82]
	v_add_f64 v[81:82], v[6:7], 0
	ds_load_b128 v[6:9], v1 offset:624
	v_fma_f64 v[109:110], v[109:110], v[83:84], v[117:118]
	v_fma_f64 v[83:84], v[107:108], v[83:84], -v[85:86]
	v_add_f64 v[2:3], v[2:3], v[79:80]
	v_add_f64 v[10:11], v[81:82], v[10:11]
	ds_load_b128 v[79:82], v1 offset:640
	s_waitcnt vmcnt(5) lgkmcnt(1)
	v_mul_f64 v[115:116], v[6:7], v[89:90]
	v_mul_f64 v[89:90], v[8:9], v[89:90]
	s_waitcnt vmcnt(4) lgkmcnt(0)
	v_mul_f64 v[85:86], v[79:80], v[93:94]
	v_mul_f64 v[93:94], v[81:82], v[93:94]
	v_add_f64 v[2:3], v[2:3], v[83:84]
	v_add_f64 v[10:11], v[10:11], v[109:110]
	v_fma_f64 v[107:108], v[8:9], v[87:88], v[115:116]
	v_fma_f64 v[87:88], v[6:7], v[87:88], -v[89:90]
	ds_load_b128 v[6:9], v1 offset:656
	v_fma_f64 v[85:86], v[81:82], v[91:92], v[85:86]
	v_fma_f64 v[91:92], v[79:80], v[91:92], -v[93:94]
	ds_load_b128 v[79:82], v1 offset:672
	s_waitcnt vmcnt(3) lgkmcnt(1)
	v_mul_f64 v[83:84], v[6:7], v[97:98]
	v_mul_f64 v[89:90], v[8:9], v[97:98]
	v_add_f64 v[10:11], v[10:11], v[107:108]
	v_add_f64 v[2:3], v[2:3], v[87:88]
	s_waitcnt vmcnt(2) lgkmcnt(0)
	v_mul_f64 v[87:88], v[79:80], v[101:102]
	v_mul_f64 v[93:94], v[81:82], v[101:102]
	v_fma_f64 v[8:9], v[8:9], v[95:96], v[83:84]
	v_fma_f64 v[6:7], v[6:7], v[95:96], -v[89:90]
	v_add_f64 v[10:11], v[10:11], v[85:86]
	v_add_f64 v[83:84], v[2:3], v[91:92]
	ds_load_b128 v[1:4], v1 offset:688
	v_fma_f64 v[81:82], v[81:82], v[99:100], v[87:88]
	v_fma_f64 v[79:80], v[79:80], v[99:100], -v[93:94]
	s_waitcnt vmcnt(1) lgkmcnt(0)
	v_mul_f64 v[85:86], v[1:2], v[105:106]
	v_mul_f64 v[89:90], v[3:4], v[105:106]
	v_add_f64 v[8:9], v[10:11], v[8:9]
	v_add_f64 v[6:7], v[83:84], v[6:7]
	s_delay_alu instid0(VALU_DEP_4) | instskip(NEXT) | instid1(VALU_DEP_4)
	v_fma_f64 v[3:4], v[3:4], v[103:104], v[85:86]
	v_fma_f64 v[1:2], v[1:2], v[103:104], -v[89:90]
	s_delay_alu instid0(VALU_DEP_4) | instskip(NEXT) | instid1(VALU_DEP_4)
	v_add_f64 v[8:9], v[8:9], v[81:82]
	v_add_f64 v[6:7], v[6:7], v[79:80]
	s_delay_alu instid0(VALU_DEP_2) | instskip(NEXT) | instid1(VALU_DEP_2)
	v_add_f64 v[3:4], v[8:9], v[3:4]
	v_add_f64 v[1:2], v[6:7], v[1:2]
	s_waitcnt vmcnt(0)
	s_delay_alu instid0(VALU_DEP_2) | instskip(NEXT) | instid1(VALU_DEP_2)
	v_add_f64 v[3:4], v[113:114], -v[3:4]
	v_add_f64 v[1:2], v[111:112], -v[1:2]
	scratch_store_b128 off, v[1:4], off offset:208
	v_cmpx_lt_u32_e32 12, v57
	s_cbranch_execz .LBB85_121
; %bb.120:
	scratch_load_b128 v[1:4], v68, off
	v_mov_b32_e32 v6, 0
	s_delay_alu instid0(VALU_DEP_1)
	v_mov_b32_e32 v7, v6
	v_mov_b32_e32 v8, v6
	;; [unrolled: 1-line block ×3, first 2 shown]
	scratch_store_b128 off, v[6:9], off offset:192
	s_waitcnt vmcnt(0)
	ds_store_b128 v5, v[1:4]
.LBB85_121:
	s_or_b32 exec_lo, exec_lo, s2
	s_waitcnt lgkmcnt(0)
	s_waitcnt_vscnt null, 0x0
	s_barrier
	buffer_gl0_inv
	s_clause 0x7
	scratch_load_b128 v[6:9], off, off offset:208
	scratch_load_b128 v[79:82], off, off offset:224
	;; [unrolled: 1-line block ×8, first 2 shown]
	v_mov_b32_e32 v1, 0
	scratch_load_b128 v[111:114], off, off offset:336
	s_mov_b32 s2, exec_lo
	ds_load_b128 v[107:110], v1 offset:560
	s_waitcnt vmcnt(8) lgkmcnt(0)
	v_mul_f64 v[2:3], v[109:110], v[8:9]
	v_mul_f64 v[115:116], v[107:108], v[8:9]
	ds_load_b128 v[8:11], v1 offset:576
	v_fma_f64 v[2:3], v[107:108], v[6:7], -v[2:3]
	v_fma_f64 v[6:7], v[109:110], v[6:7], v[115:116]
	ds_load_b128 v[107:110], v1 offset:592
	s_waitcnt vmcnt(7) lgkmcnt(1)
	v_mul_f64 v[117:118], v[8:9], v[81:82]
	v_mul_f64 v[81:82], v[10:11], v[81:82]
	s_waitcnt vmcnt(6) lgkmcnt(0)
	v_mul_f64 v[115:116], v[107:108], v[85:86]
	v_mul_f64 v[85:86], v[109:110], v[85:86]
	v_add_f64 v[2:3], v[2:3], 0
	v_add_f64 v[119:120], v[6:7], 0
	v_fma_f64 v[10:11], v[10:11], v[79:80], v[117:118]
	v_fma_f64 v[117:118], v[8:9], v[79:80], -v[81:82]
	ds_load_b128 v[6:9], v1 offset:608
	scratch_load_b128 v[79:82], off, off offset:192
	v_fma_f64 v[109:110], v[109:110], v[83:84], v[115:116]
	v_fma_f64 v[107:108], v[107:108], v[83:84], -v[85:86]
	ds_load_b128 v[83:86], v1 offset:624
	s_waitcnt vmcnt(6) lgkmcnt(1)
	v_mul_f64 v[121:122], v[6:7], v[89:90]
	v_mul_f64 v[89:90], v[8:9], v[89:90]
	v_add_f64 v[10:11], v[119:120], v[10:11]
	v_add_f64 v[2:3], v[2:3], v[117:118]
	s_waitcnt vmcnt(5) lgkmcnt(0)
	v_mul_f64 v[115:116], v[83:84], v[93:94]
	v_mul_f64 v[93:94], v[85:86], v[93:94]
	v_fma_f64 v[117:118], v[8:9], v[87:88], v[121:122]
	v_fma_f64 v[87:88], v[6:7], v[87:88], -v[89:90]
	ds_load_b128 v[6:9], v1 offset:640
	v_add_f64 v[10:11], v[10:11], v[109:110]
	v_add_f64 v[2:3], v[2:3], v[107:108]
	v_fma_f64 v[107:108], v[85:86], v[91:92], v[115:116]
	v_fma_f64 v[91:92], v[83:84], v[91:92], -v[93:94]
	ds_load_b128 v[83:86], v1 offset:656
	s_waitcnt vmcnt(4) lgkmcnt(1)
	v_mul_f64 v[89:90], v[6:7], v[97:98]
	v_mul_f64 v[97:98], v[8:9], v[97:98]
	s_waitcnt vmcnt(3) lgkmcnt(0)
	v_mul_f64 v[93:94], v[85:86], v[101:102]
	v_add_f64 v[10:11], v[10:11], v[117:118]
	v_add_f64 v[2:3], v[2:3], v[87:88]
	v_mul_f64 v[87:88], v[83:84], v[101:102]
	v_fma_f64 v[89:90], v[8:9], v[95:96], v[89:90]
	v_fma_f64 v[95:96], v[6:7], v[95:96], -v[97:98]
	ds_load_b128 v[6:9], v1 offset:672
	v_fma_f64 v[93:94], v[83:84], v[99:100], -v[93:94]
	v_add_f64 v[10:11], v[10:11], v[107:108]
	v_add_f64 v[2:3], v[2:3], v[91:92]
	v_fma_f64 v[87:88], v[85:86], v[99:100], v[87:88]
	ds_load_b128 v[83:86], v1 offset:688
	s_waitcnt vmcnt(2) lgkmcnt(1)
	v_mul_f64 v[91:92], v[6:7], v[105:106]
	v_mul_f64 v[97:98], v[8:9], v[105:106]
	v_add_f64 v[10:11], v[10:11], v[89:90]
	v_add_f64 v[2:3], v[2:3], v[95:96]
	s_waitcnt vmcnt(1) lgkmcnt(0)
	v_mul_f64 v[89:90], v[83:84], v[113:114]
	v_mul_f64 v[95:96], v[85:86], v[113:114]
	v_fma_f64 v[8:9], v[8:9], v[103:104], v[91:92]
	v_fma_f64 v[6:7], v[6:7], v[103:104], -v[97:98]
	v_add_f64 v[10:11], v[10:11], v[87:88]
	v_add_f64 v[2:3], v[2:3], v[93:94]
	v_fma_f64 v[85:86], v[85:86], v[111:112], v[89:90]
	v_fma_f64 v[83:84], v[83:84], v[111:112], -v[95:96]
	s_delay_alu instid0(VALU_DEP_3) | instskip(SKIP_1) | instid1(VALU_DEP_2)
	v_add_f64 v[2:3], v[2:3], v[6:7]
	v_add_f64 v[6:7], v[10:11], v[8:9]
	;; [unrolled: 1-line block ×3, first 2 shown]
	s_delay_alu instid0(VALU_DEP_2) | instskip(SKIP_1) | instid1(VALU_DEP_2)
	v_add_f64 v[8:9], v[6:7], v[85:86]
	s_waitcnt vmcnt(0)
	v_add_f64 v[6:7], v[79:80], -v[2:3]
	s_delay_alu instid0(VALU_DEP_2)
	v_add_f64 v[8:9], v[81:82], -v[8:9]
	scratch_store_b128 off, v[6:9], off offset:192
	v_cmpx_lt_u32_e32 11, v57
	s_cbranch_execz .LBB85_123
; %bb.122:
	scratch_load_b128 v[6:9], v70, off
	v_mov_b32_e32 v2, v1
	v_mov_b32_e32 v3, v1
	;; [unrolled: 1-line block ×3, first 2 shown]
	scratch_store_b128 off, v[1:4], off offset:176
	s_waitcnt vmcnt(0)
	ds_store_b128 v5, v[6:9]
.LBB85_123:
	s_or_b32 exec_lo, exec_lo, s2
	s_waitcnt lgkmcnt(0)
	s_waitcnt_vscnt null, 0x0
	s_barrier
	buffer_gl0_inv
	s_clause 0x8
	scratch_load_b128 v[6:9], off, off offset:192
	scratch_load_b128 v[79:82], off, off offset:208
	;; [unrolled: 1-line block ×9, first 2 shown]
	ds_load_b128 v[111:114], v1 offset:544
	ds_load_b128 v[115:118], v1 offset:560
	scratch_load_b128 v[119:122], off, off offset:176
	s_mov_b32 s2, exec_lo
	s_waitcnt vmcnt(9) lgkmcnt(1)
	v_mul_f64 v[2:3], v[113:114], v[8:9]
	v_mul_f64 v[123:124], v[111:112], v[8:9]
	scratch_load_b128 v[8:11], off, off offset:336
	s_waitcnt vmcnt(9) lgkmcnt(0)
	v_mul_f64 v[127:128], v[115:116], v[81:82]
	v_mul_f64 v[81:82], v[117:118], v[81:82]
	v_fma_f64 v[2:3], v[111:112], v[6:7], -v[2:3]
	v_fma_f64 v[6:7], v[113:114], v[6:7], v[123:124]
	ds_load_b128 v[111:114], v1 offset:576
	ds_load_b128 v[123:126], v1 offset:592
	v_fma_f64 v[117:118], v[117:118], v[79:80], v[127:128]
	v_fma_f64 v[79:80], v[115:116], v[79:80], -v[81:82]
	s_waitcnt vmcnt(8) lgkmcnt(1)
	v_mul_f64 v[129:130], v[111:112], v[85:86]
	v_mul_f64 v[85:86], v[113:114], v[85:86]
	s_waitcnt vmcnt(7) lgkmcnt(0)
	v_mul_f64 v[115:116], v[123:124], v[89:90]
	v_mul_f64 v[89:90], v[125:126], v[89:90]
	v_add_f64 v[2:3], v[2:3], 0
	v_add_f64 v[6:7], v[6:7], 0
	v_fma_f64 v[113:114], v[113:114], v[83:84], v[129:130]
	v_fma_f64 v[111:112], v[111:112], v[83:84], -v[85:86]
	v_fma_f64 v[115:116], v[125:126], v[87:88], v[115:116]
	v_fma_f64 v[87:88], v[123:124], v[87:88], -v[89:90]
	v_add_f64 v[2:3], v[2:3], v[79:80]
	v_add_f64 v[6:7], v[6:7], v[117:118]
	ds_load_b128 v[79:82], v1 offset:608
	ds_load_b128 v[83:86], v1 offset:624
	s_waitcnt vmcnt(6) lgkmcnt(1)
	v_mul_f64 v[117:118], v[79:80], v[93:94]
	v_mul_f64 v[93:94], v[81:82], v[93:94]
	v_add_f64 v[2:3], v[2:3], v[111:112]
	v_add_f64 v[6:7], v[6:7], v[113:114]
	s_waitcnt vmcnt(5) lgkmcnt(0)
	v_mul_f64 v[111:112], v[83:84], v[97:98]
	v_mul_f64 v[97:98], v[85:86], v[97:98]
	v_fma_f64 v[113:114], v[81:82], v[91:92], v[117:118]
	v_fma_f64 v[91:92], v[79:80], v[91:92], -v[93:94]
	v_add_f64 v[2:3], v[2:3], v[87:88]
	v_add_f64 v[6:7], v[6:7], v[115:116]
	ds_load_b128 v[79:82], v1 offset:640
	ds_load_b128 v[87:90], v1 offset:656
	v_fma_f64 v[85:86], v[85:86], v[95:96], v[111:112]
	v_fma_f64 v[83:84], v[83:84], v[95:96], -v[97:98]
	s_waitcnt vmcnt(4) lgkmcnt(1)
	v_mul_f64 v[93:94], v[79:80], v[101:102]
	v_mul_f64 v[101:102], v[81:82], v[101:102]
	s_waitcnt vmcnt(3) lgkmcnt(0)
	v_mul_f64 v[95:96], v[89:90], v[105:106]
	v_add_f64 v[2:3], v[2:3], v[91:92]
	v_add_f64 v[6:7], v[6:7], v[113:114]
	v_mul_f64 v[91:92], v[87:88], v[105:106]
	v_fma_f64 v[93:94], v[81:82], v[99:100], v[93:94]
	v_fma_f64 v[97:98], v[79:80], v[99:100], -v[101:102]
	v_fma_f64 v[87:88], v[87:88], v[103:104], -v[95:96]
	v_add_f64 v[83:84], v[2:3], v[83:84]
	v_add_f64 v[6:7], v[6:7], v[85:86]
	ds_load_b128 v[79:82], v1 offset:672
	ds_load_b128 v[1:4], v1 offset:688
	v_fma_f64 v[89:90], v[89:90], v[103:104], v[91:92]
	s_waitcnt vmcnt(2) lgkmcnt(1)
	v_mul_f64 v[85:86], v[79:80], v[109:110]
	v_mul_f64 v[99:100], v[81:82], v[109:110]
	v_add_f64 v[83:84], v[83:84], v[97:98]
	v_add_f64 v[6:7], v[6:7], v[93:94]
	s_waitcnt vmcnt(0) lgkmcnt(0)
	v_mul_f64 v[91:92], v[1:2], v[10:11]
	v_mul_f64 v[10:11], v[3:4], v[10:11]
	v_fma_f64 v[81:82], v[81:82], v[107:108], v[85:86]
	v_fma_f64 v[79:80], v[79:80], v[107:108], -v[99:100]
	v_add_f64 v[83:84], v[83:84], v[87:88]
	v_add_f64 v[6:7], v[6:7], v[89:90]
	v_fma_f64 v[3:4], v[3:4], v[8:9], v[91:92]
	v_fma_f64 v[1:2], v[1:2], v[8:9], -v[10:11]
	s_delay_alu instid0(VALU_DEP_4) | instskip(NEXT) | instid1(VALU_DEP_4)
	v_add_f64 v[8:9], v[83:84], v[79:80]
	v_add_f64 v[6:7], v[6:7], v[81:82]
	s_delay_alu instid0(VALU_DEP_2) | instskip(NEXT) | instid1(VALU_DEP_2)
	v_add_f64 v[1:2], v[8:9], v[1:2]
	v_add_f64 v[3:4], v[6:7], v[3:4]
	s_delay_alu instid0(VALU_DEP_2) | instskip(NEXT) | instid1(VALU_DEP_2)
	v_add_f64 v[1:2], v[119:120], -v[1:2]
	v_add_f64 v[3:4], v[121:122], -v[3:4]
	scratch_store_b128 off, v[1:4], off offset:176
	v_cmpx_lt_u32_e32 10, v57
	s_cbranch_execz .LBB85_125
; %bb.124:
	scratch_load_b128 v[1:4], v61, off
	v_mov_b32_e32 v6, 0
	s_delay_alu instid0(VALU_DEP_1)
	v_mov_b32_e32 v7, v6
	v_mov_b32_e32 v8, v6
	;; [unrolled: 1-line block ×3, first 2 shown]
	scratch_store_b128 off, v[6:9], off offset:160
	s_waitcnt vmcnt(0)
	ds_store_b128 v5, v[1:4]
.LBB85_125:
	s_or_b32 exec_lo, exec_lo, s2
	s_waitcnt lgkmcnt(0)
	s_waitcnt_vscnt null, 0x0
	s_barrier
	buffer_gl0_inv
	s_clause 0x7
	scratch_load_b128 v[6:9], off, off offset:176
	scratch_load_b128 v[79:82], off, off offset:192
	;; [unrolled: 1-line block ×8, first 2 shown]
	v_mov_b32_e32 v1, 0
	s_mov_b32 s2, exec_lo
	ds_load_b128 v[107:110], v1 offset:528
	s_clause 0x1
	scratch_load_b128 v[111:114], off, off offset:304
	scratch_load_b128 v[115:118], off, off offset:160
	ds_load_b128 v[119:122], v1 offset:544
	ds_load_b128 v[127:130], v1 offset:576
	s_waitcnt vmcnt(9) lgkmcnt(2)
	v_mul_f64 v[2:3], v[109:110], v[8:9]
	v_mul_f64 v[123:124], v[107:108], v[8:9]
	scratch_load_b128 v[8:11], off, off offset:320
	v_fma_f64 v[2:3], v[107:108], v[6:7], -v[2:3]
	v_fma_f64 v[6:7], v[109:110], v[6:7], v[123:124]
	scratch_load_b128 v[123:126], off, off offset:336
	ds_load_b128 v[107:110], v1 offset:560
	s_waitcnt vmcnt(10) lgkmcnt(2)
	v_mul_f64 v[131:132], v[119:120], v[81:82]
	v_mul_f64 v[81:82], v[121:122], v[81:82]
	s_waitcnt vmcnt(9) lgkmcnt(0)
	v_mul_f64 v[133:134], v[107:108], v[85:86]
	v_mul_f64 v[85:86], v[109:110], v[85:86]
	v_add_f64 v[2:3], v[2:3], 0
	v_add_f64 v[6:7], v[6:7], 0
	v_fma_f64 v[121:122], v[121:122], v[79:80], v[131:132]
	v_fma_f64 v[79:80], v[119:120], v[79:80], -v[81:82]
	s_waitcnt vmcnt(8)
	v_mul_f64 v[119:120], v[127:128], v[89:90]
	v_mul_f64 v[89:90], v[129:130], v[89:90]
	v_fma_f64 v[109:110], v[109:110], v[83:84], v[133:134]
	v_fma_f64 v[107:108], v[107:108], v[83:84], -v[85:86]
	v_add_f64 v[6:7], v[6:7], v[121:122]
	v_add_f64 v[2:3], v[2:3], v[79:80]
	ds_load_b128 v[79:82], v1 offset:592
	ds_load_b128 v[83:86], v1 offset:608
	v_fma_f64 v[119:120], v[129:130], v[87:88], v[119:120]
	v_fma_f64 v[87:88], v[127:128], v[87:88], -v[89:90]
	s_waitcnt vmcnt(7) lgkmcnt(1)
	v_mul_f64 v[121:122], v[79:80], v[93:94]
	v_mul_f64 v[93:94], v[81:82], v[93:94]
	v_add_f64 v[6:7], v[6:7], v[109:110]
	v_add_f64 v[2:3], v[2:3], v[107:108]
	s_waitcnt vmcnt(6) lgkmcnt(0)
	v_mul_f64 v[107:108], v[83:84], v[97:98]
	v_mul_f64 v[97:98], v[85:86], v[97:98]
	v_fma_f64 v[109:110], v[81:82], v[91:92], v[121:122]
	v_fma_f64 v[91:92], v[79:80], v[91:92], -v[93:94]
	v_add_f64 v[6:7], v[6:7], v[119:120]
	v_add_f64 v[2:3], v[2:3], v[87:88]
	ds_load_b128 v[79:82], v1 offset:624
	ds_load_b128 v[87:90], v1 offset:640
	v_fma_f64 v[85:86], v[85:86], v[95:96], v[107:108]
	v_fma_f64 v[83:84], v[83:84], v[95:96], -v[97:98]
	s_waitcnt vmcnt(5) lgkmcnt(1)
	v_mul_f64 v[93:94], v[79:80], v[101:102]
	v_mul_f64 v[101:102], v[81:82], v[101:102]
	s_waitcnt vmcnt(4) lgkmcnt(0)
	v_mul_f64 v[95:96], v[89:90], v[105:106]
	v_add_f64 v[6:7], v[6:7], v[109:110]
	v_add_f64 v[2:3], v[2:3], v[91:92]
	v_mul_f64 v[91:92], v[87:88], v[105:106]
	v_fma_f64 v[93:94], v[81:82], v[99:100], v[93:94]
	v_fma_f64 v[97:98], v[79:80], v[99:100], -v[101:102]
	v_fma_f64 v[87:88], v[87:88], v[103:104], -v[95:96]
	v_add_f64 v[6:7], v[6:7], v[85:86]
	v_add_f64 v[2:3], v[2:3], v[83:84]
	ds_load_b128 v[79:82], v1 offset:656
	ds_load_b128 v[83:86], v1 offset:672
	v_fma_f64 v[89:90], v[89:90], v[103:104], v[91:92]
	s_waitcnt vmcnt(3) lgkmcnt(1)
	v_mul_f64 v[99:100], v[79:80], v[113:114]
	v_mul_f64 v[101:102], v[81:82], v[113:114]
	v_add_f64 v[6:7], v[6:7], v[93:94]
	v_add_f64 v[2:3], v[2:3], v[97:98]
	s_waitcnt vmcnt(1) lgkmcnt(0)
	v_mul_f64 v[91:92], v[83:84], v[10:11]
	v_mul_f64 v[10:11], v[85:86], v[10:11]
	v_fma_f64 v[93:94], v[81:82], v[111:112], v[99:100]
	v_fma_f64 v[95:96], v[79:80], v[111:112], -v[101:102]
	ds_load_b128 v[79:82], v1 offset:688
	v_add_f64 v[6:7], v[6:7], v[89:90]
	v_add_f64 v[2:3], v[2:3], v[87:88]
	s_waitcnt vmcnt(0) lgkmcnt(0)
	v_mul_f64 v[87:88], v[79:80], v[125:126]
	v_mul_f64 v[89:90], v[81:82], v[125:126]
	v_fma_f64 v[85:86], v[85:86], v[8:9], v[91:92]
	v_fma_f64 v[8:9], v[83:84], v[8:9], -v[10:11]
	v_add_f64 v[6:7], v[6:7], v[93:94]
	v_add_f64 v[2:3], v[2:3], v[95:96]
	v_fma_f64 v[10:11], v[81:82], v[123:124], v[87:88]
	v_fma_f64 v[79:80], v[79:80], v[123:124], -v[89:90]
	s_delay_alu instid0(VALU_DEP_4) | instskip(NEXT) | instid1(VALU_DEP_4)
	v_add_f64 v[6:7], v[6:7], v[85:86]
	v_add_f64 v[2:3], v[2:3], v[8:9]
	s_delay_alu instid0(VALU_DEP_2) | instskip(NEXT) | instid1(VALU_DEP_2)
	v_add_f64 v[8:9], v[6:7], v[10:11]
	v_add_f64 v[2:3], v[2:3], v[79:80]
	s_delay_alu instid0(VALU_DEP_2) | instskip(NEXT) | instid1(VALU_DEP_2)
	v_add_f64 v[8:9], v[117:118], -v[8:9]
	v_add_f64 v[6:7], v[115:116], -v[2:3]
	scratch_store_b128 off, v[6:9], off offset:160
	v_cmpx_lt_u32_e32 9, v57
	s_cbranch_execz .LBB85_127
; %bb.126:
	scratch_load_b128 v[6:9], v66, off
	v_mov_b32_e32 v2, v1
	v_mov_b32_e32 v3, v1
	;; [unrolled: 1-line block ×3, first 2 shown]
	scratch_store_b128 off, v[1:4], off offset:144
	s_waitcnt vmcnt(0)
	ds_store_b128 v5, v[6:9]
.LBB85_127:
	s_or_b32 exec_lo, exec_lo, s2
	s_waitcnt lgkmcnt(0)
	s_waitcnt_vscnt null, 0x0
	s_barrier
	buffer_gl0_inv
	s_clause 0x8
	scratch_load_b128 v[6:9], off, off offset:160
	scratch_load_b128 v[79:82], off, off offset:176
	;; [unrolled: 1-line block ×9, first 2 shown]
	ds_load_b128 v[111:114], v1 offset:512
	ds_load_b128 v[115:118], v1 offset:528
	scratch_load_b128 v[119:122], off, off offset:144
	s_mov_b32 s2, exec_lo
	ds_load_b128 v[127:130], v1 offset:560
	s_waitcnt vmcnt(9) lgkmcnt(2)
	v_mul_f64 v[2:3], v[113:114], v[8:9]
	v_mul_f64 v[123:124], v[111:112], v[8:9]
	scratch_load_b128 v[8:11], off, off offset:304
	s_waitcnt vmcnt(9) lgkmcnt(1)
	v_mul_f64 v[131:132], v[115:116], v[81:82]
	v_mul_f64 v[81:82], v[117:118], v[81:82]
	v_fma_f64 v[2:3], v[111:112], v[6:7], -v[2:3]
	v_fma_f64 v[6:7], v[113:114], v[6:7], v[123:124]
	ds_load_b128 v[111:114], v1 offset:544
	scratch_load_b128 v[123:126], off, off offset:320
	v_fma_f64 v[117:118], v[117:118], v[79:80], v[131:132]
	v_fma_f64 v[115:116], v[115:116], v[79:80], -v[81:82]
	scratch_load_b128 v[79:82], off, off offset:336
	s_waitcnt vmcnt(9) lgkmcnt(1)
	v_mul_f64 v[131:132], v[127:128], v[89:90]
	v_mul_f64 v[89:90], v[129:130], v[89:90]
	s_waitcnt lgkmcnt(0)
	v_mul_f64 v[133:134], v[111:112], v[85:86]
	v_mul_f64 v[85:86], v[113:114], v[85:86]
	v_add_f64 v[2:3], v[2:3], 0
	v_add_f64 v[6:7], v[6:7], 0
	s_delay_alu instid0(VALU_DEP_4) | instskip(NEXT) | instid1(VALU_DEP_4)
	v_fma_f64 v[133:134], v[113:114], v[83:84], v[133:134]
	v_fma_f64 v[135:136], v[111:112], v[83:84], -v[85:86]
	ds_load_b128 v[83:86], v1 offset:576
	ds_load_b128 v[111:114], v1 offset:592
	v_add_f64 v[2:3], v[2:3], v[115:116]
	v_add_f64 v[6:7], v[6:7], v[117:118]
	v_fma_f64 v[117:118], v[129:130], v[87:88], v[131:132]
	v_fma_f64 v[87:88], v[127:128], v[87:88], -v[89:90]
	s_waitcnt vmcnt(8) lgkmcnt(1)
	v_mul_f64 v[115:116], v[83:84], v[93:94]
	v_mul_f64 v[93:94], v[85:86], v[93:94]
	s_waitcnt vmcnt(7) lgkmcnt(0)
	v_mul_f64 v[127:128], v[111:112], v[97:98]
	v_mul_f64 v[97:98], v[113:114], v[97:98]
	v_add_f64 v[2:3], v[2:3], v[135:136]
	v_add_f64 v[6:7], v[6:7], v[133:134]
	v_fma_f64 v[115:116], v[85:86], v[91:92], v[115:116]
	v_fma_f64 v[91:92], v[83:84], v[91:92], -v[93:94]
	v_fma_f64 v[113:114], v[113:114], v[95:96], v[127:128]
	v_fma_f64 v[95:96], v[111:112], v[95:96], -v[97:98]
	v_add_f64 v[2:3], v[2:3], v[87:88]
	v_add_f64 v[6:7], v[6:7], v[117:118]
	ds_load_b128 v[83:86], v1 offset:608
	ds_load_b128 v[87:90], v1 offset:624
	s_waitcnt vmcnt(6) lgkmcnt(1)
	v_mul_f64 v[93:94], v[83:84], v[101:102]
	v_mul_f64 v[101:102], v[85:86], v[101:102]
	s_waitcnt vmcnt(5) lgkmcnt(0)
	v_mul_f64 v[97:98], v[87:88], v[105:106]
	v_mul_f64 v[105:106], v[89:90], v[105:106]
	v_add_f64 v[2:3], v[2:3], v[91:92]
	v_add_f64 v[6:7], v[6:7], v[115:116]
	v_fma_f64 v[111:112], v[85:86], v[99:100], v[93:94]
	v_fma_f64 v[99:100], v[83:84], v[99:100], -v[101:102]
	ds_load_b128 v[83:86], v1 offset:640
	ds_load_b128 v[91:94], v1 offset:656
	v_fma_f64 v[89:90], v[89:90], v[103:104], v[97:98]
	v_fma_f64 v[87:88], v[87:88], v[103:104], -v[105:106]
	v_add_f64 v[2:3], v[2:3], v[95:96]
	v_add_f64 v[6:7], v[6:7], v[113:114]
	s_waitcnt vmcnt(4) lgkmcnt(1)
	v_mul_f64 v[95:96], v[83:84], v[109:110]
	v_mul_f64 v[101:102], v[85:86], v[109:110]
	s_delay_alu instid0(VALU_DEP_4) | instskip(NEXT) | instid1(VALU_DEP_4)
	v_add_f64 v[2:3], v[2:3], v[99:100]
	v_add_f64 v[6:7], v[6:7], v[111:112]
	s_delay_alu instid0(VALU_DEP_4) | instskip(NEXT) | instid1(VALU_DEP_4)
	v_fma_f64 v[95:96], v[85:86], v[107:108], v[95:96]
	v_fma_f64 v[99:100], v[83:84], v[107:108], -v[101:102]
	s_waitcnt vmcnt(2) lgkmcnt(0)
	v_mul_f64 v[97:98], v[91:92], v[10:11]
	v_mul_f64 v[10:11], v[93:94], v[10:11]
	v_add_f64 v[87:88], v[2:3], v[87:88]
	v_add_f64 v[6:7], v[6:7], v[89:90]
	ds_load_b128 v[83:86], v1 offset:672
	ds_load_b128 v[1:4], v1 offset:688
	v_fma_f64 v[93:94], v[93:94], v[8:9], v[97:98]
	v_fma_f64 v[8:9], v[91:92], v[8:9], -v[10:11]
	s_waitcnt vmcnt(1) lgkmcnt(1)
	v_mul_f64 v[89:90], v[83:84], v[125:126]
	v_mul_f64 v[101:102], v[85:86], v[125:126]
	v_add_f64 v[10:11], v[87:88], v[99:100]
	v_add_f64 v[6:7], v[6:7], v[95:96]
	s_waitcnt vmcnt(0) lgkmcnt(0)
	v_mul_f64 v[87:88], v[1:2], v[81:82]
	v_mul_f64 v[81:82], v[3:4], v[81:82]
	v_fma_f64 v[85:86], v[85:86], v[123:124], v[89:90]
	v_fma_f64 v[83:84], v[83:84], v[123:124], -v[101:102]
	v_add_f64 v[8:9], v[10:11], v[8:9]
	v_add_f64 v[6:7], v[6:7], v[93:94]
	v_fma_f64 v[3:4], v[3:4], v[79:80], v[87:88]
	v_fma_f64 v[1:2], v[1:2], v[79:80], -v[81:82]
	s_delay_alu instid0(VALU_DEP_4) | instskip(NEXT) | instid1(VALU_DEP_4)
	v_add_f64 v[8:9], v[8:9], v[83:84]
	v_add_f64 v[6:7], v[6:7], v[85:86]
	s_delay_alu instid0(VALU_DEP_2) | instskip(NEXT) | instid1(VALU_DEP_2)
	v_add_f64 v[1:2], v[8:9], v[1:2]
	v_add_f64 v[3:4], v[6:7], v[3:4]
	s_delay_alu instid0(VALU_DEP_2) | instskip(NEXT) | instid1(VALU_DEP_2)
	v_add_f64 v[1:2], v[119:120], -v[1:2]
	v_add_f64 v[3:4], v[121:122], -v[3:4]
	scratch_store_b128 off, v[1:4], off offset:144
	v_cmpx_lt_u32_e32 8, v57
	s_cbranch_execz .LBB85_129
; %bb.128:
	scratch_load_b128 v[1:4], v62, off
	v_mov_b32_e32 v6, 0
	s_delay_alu instid0(VALU_DEP_1)
	v_mov_b32_e32 v7, v6
	v_mov_b32_e32 v8, v6
	v_mov_b32_e32 v9, v6
	scratch_store_b128 off, v[6:9], off offset:128
	s_waitcnt vmcnt(0)
	ds_store_b128 v5, v[1:4]
.LBB85_129:
	s_or_b32 exec_lo, exec_lo, s2
	s_waitcnt lgkmcnt(0)
	s_waitcnt_vscnt null, 0x0
	s_barrier
	buffer_gl0_inv
	s_clause 0x7
	scratch_load_b128 v[6:9], off, off offset:144
	scratch_load_b128 v[79:82], off, off offset:160
	;; [unrolled: 1-line block ×8, first 2 shown]
	v_mov_b32_e32 v1, 0
	s_mov_b32 s2, exec_lo
	ds_load_b128 v[107:110], v1 offset:496
	s_clause 0x1
	scratch_load_b128 v[111:114], off, off offset:272
	scratch_load_b128 v[115:118], off, off offset:128
	ds_load_b128 v[119:122], v1 offset:512
	ds_load_b128 v[127:130], v1 offset:544
	s_waitcnt vmcnt(9) lgkmcnt(2)
	v_mul_f64 v[2:3], v[109:110], v[8:9]
	v_mul_f64 v[123:124], v[107:108], v[8:9]
	scratch_load_b128 v[8:11], off, off offset:288
	v_fma_f64 v[2:3], v[107:108], v[6:7], -v[2:3]
	v_fma_f64 v[6:7], v[109:110], v[6:7], v[123:124]
	scratch_load_b128 v[123:126], off, off offset:304
	ds_load_b128 v[107:110], v1 offset:528
	s_waitcnt vmcnt(10) lgkmcnt(2)
	v_mul_f64 v[131:132], v[119:120], v[81:82]
	v_mul_f64 v[81:82], v[121:122], v[81:82]
	s_waitcnt vmcnt(9) lgkmcnt(0)
	v_mul_f64 v[133:134], v[107:108], v[85:86]
	v_mul_f64 v[85:86], v[109:110], v[85:86]
	v_add_f64 v[2:3], v[2:3], 0
	v_add_f64 v[6:7], v[6:7], 0
	v_fma_f64 v[121:122], v[121:122], v[79:80], v[131:132]
	v_fma_f64 v[119:120], v[119:120], v[79:80], -v[81:82]
	scratch_load_b128 v[79:82], off, off offset:320
	v_fma_f64 v[133:134], v[109:110], v[83:84], v[133:134]
	v_fma_f64 v[135:136], v[107:108], v[83:84], -v[85:86]
	scratch_load_b128 v[107:110], off, off offset:336
	ds_load_b128 v[83:86], v1 offset:560
	s_waitcnt vmcnt(10)
	v_mul_f64 v[131:132], v[127:128], v[89:90]
	v_mul_f64 v[89:90], v[129:130], v[89:90]
	v_add_f64 v[6:7], v[6:7], v[121:122]
	v_add_f64 v[2:3], v[2:3], v[119:120]
	ds_load_b128 v[119:122], v1 offset:576
	s_waitcnt vmcnt(9) lgkmcnt(1)
	v_mul_f64 v[137:138], v[83:84], v[93:94]
	v_mul_f64 v[93:94], v[85:86], v[93:94]
	v_fma_f64 v[129:130], v[129:130], v[87:88], v[131:132]
	v_fma_f64 v[87:88], v[127:128], v[87:88], -v[89:90]
	s_waitcnt vmcnt(8) lgkmcnt(0)
	v_mul_f64 v[127:128], v[119:120], v[97:98]
	v_mul_f64 v[97:98], v[121:122], v[97:98]
	v_add_f64 v[6:7], v[6:7], v[133:134]
	v_add_f64 v[2:3], v[2:3], v[135:136]
	v_fma_f64 v[131:132], v[85:86], v[91:92], v[137:138]
	v_fma_f64 v[91:92], v[83:84], v[91:92], -v[93:94]
	v_fma_f64 v[121:122], v[121:122], v[95:96], v[127:128]
	v_fma_f64 v[95:96], v[119:120], v[95:96], -v[97:98]
	v_add_f64 v[6:7], v[6:7], v[129:130]
	v_add_f64 v[2:3], v[2:3], v[87:88]
	ds_load_b128 v[83:86], v1 offset:592
	ds_load_b128 v[87:90], v1 offset:608
	s_waitcnt vmcnt(7) lgkmcnt(1)
	v_mul_f64 v[93:94], v[83:84], v[101:102]
	v_mul_f64 v[101:102], v[85:86], v[101:102]
	s_waitcnt vmcnt(6) lgkmcnt(0)
	v_mul_f64 v[97:98], v[87:88], v[105:106]
	v_mul_f64 v[105:106], v[89:90], v[105:106]
	v_add_f64 v[6:7], v[6:7], v[131:132]
	v_add_f64 v[2:3], v[2:3], v[91:92]
	v_fma_f64 v[119:120], v[85:86], v[99:100], v[93:94]
	v_fma_f64 v[99:100], v[83:84], v[99:100], -v[101:102]
	ds_load_b128 v[83:86], v1 offset:624
	ds_load_b128 v[91:94], v1 offset:640
	v_fma_f64 v[89:90], v[89:90], v[103:104], v[97:98]
	v_fma_f64 v[87:88], v[87:88], v[103:104], -v[105:106]
	v_add_f64 v[6:7], v[6:7], v[121:122]
	v_add_f64 v[2:3], v[2:3], v[95:96]
	s_waitcnt vmcnt(5) lgkmcnt(1)
	v_mul_f64 v[95:96], v[83:84], v[113:114]
	v_mul_f64 v[101:102], v[85:86], v[113:114]
	s_delay_alu instid0(VALU_DEP_4) | instskip(NEXT) | instid1(VALU_DEP_4)
	v_add_f64 v[6:7], v[6:7], v[119:120]
	v_add_f64 v[2:3], v[2:3], v[99:100]
	s_delay_alu instid0(VALU_DEP_4) | instskip(NEXT) | instid1(VALU_DEP_4)
	v_fma_f64 v[95:96], v[85:86], v[111:112], v[95:96]
	v_fma_f64 v[99:100], v[83:84], v[111:112], -v[101:102]
	s_waitcnt vmcnt(3) lgkmcnt(0)
	v_mul_f64 v[97:98], v[91:92], v[10:11]
	v_mul_f64 v[10:11], v[93:94], v[10:11]
	v_add_f64 v[6:7], v[6:7], v[89:90]
	v_add_f64 v[2:3], v[2:3], v[87:88]
	ds_load_b128 v[83:86], v1 offset:656
	ds_load_b128 v[87:90], v1 offset:672
	v_fma_f64 v[93:94], v[93:94], v[8:9], v[97:98]
	v_fma_f64 v[8:9], v[91:92], v[8:9], -v[10:11]
	s_waitcnt vmcnt(2) lgkmcnt(1)
	v_mul_f64 v[101:102], v[83:84], v[125:126]
	v_mul_f64 v[103:104], v[85:86], v[125:126]
	v_add_f64 v[6:7], v[6:7], v[95:96]
	v_add_f64 v[2:3], v[2:3], v[99:100]
	s_waitcnt vmcnt(1) lgkmcnt(0)
	v_mul_f64 v[10:11], v[87:88], v[81:82]
	v_mul_f64 v[81:82], v[89:90], v[81:82]
	v_fma_f64 v[85:86], v[85:86], v[123:124], v[101:102]
	v_fma_f64 v[83:84], v[83:84], v[123:124], -v[103:104]
	v_add_f64 v[91:92], v[6:7], v[93:94]
	v_add_f64 v[2:3], v[2:3], v[8:9]
	ds_load_b128 v[6:9], v1 offset:688
	v_fma_f64 v[10:11], v[89:90], v[79:80], v[10:11]
	v_fma_f64 v[79:80], v[87:88], v[79:80], -v[81:82]
	s_waitcnt vmcnt(0) lgkmcnt(0)
	v_mul_f64 v[93:94], v[6:7], v[109:110]
	v_mul_f64 v[95:96], v[8:9], v[109:110]
	v_add_f64 v[81:82], v[91:92], v[85:86]
	v_add_f64 v[2:3], v[2:3], v[83:84]
	s_delay_alu instid0(VALU_DEP_4) | instskip(NEXT) | instid1(VALU_DEP_4)
	v_fma_f64 v[8:9], v[8:9], v[107:108], v[93:94]
	v_fma_f64 v[6:7], v[6:7], v[107:108], -v[95:96]
	s_delay_alu instid0(VALU_DEP_4) | instskip(NEXT) | instid1(VALU_DEP_4)
	v_add_f64 v[10:11], v[81:82], v[10:11]
	v_add_f64 v[2:3], v[2:3], v[79:80]
	s_delay_alu instid0(VALU_DEP_2) | instskip(NEXT) | instid1(VALU_DEP_2)
	v_add_f64 v[8:9], v[10:11], v[8:9]
	v_add_f64 v[2:3], v[2:3], v[6:7]
	s_delay_alu instid0(VALU_DEP_2) | instskip(NEXT) | instid1(VALU_DEP_2)
	v_add_f64 v[8:9], v[117:118], -v[8:9]
	v_add_f64 v[6:7], v[115:116], -v[2:3]
	scratch_store_b128 off, v[6:9], off offset:128
	v_cmpx_lt_u32_e32 7, v57
	s_cbranch_execz .LBB85_131
; %bb.130:
	scratch_load_b128 v[6:9], v67, off
	v_mov_b32_e32 v2, v1
	v_mov_b32_e32 v3, v1
	;; [unrolled: 1-line block ×3, first 2 shown]
	scratch_store_b128 off, v[1:4], off offset:112
	s_waitcnt vmcnt(0)
	ds_store_b128 v5, v[6:9]
.LBB85_131:
	s_or_b32 exec_lo, exec_lo, s2
	s_waitcnt lgkmcnt(0)
	s_waitcnt_vscnt null, 0x0
	s_barrier
	buffer_gl0_inv
	s_clause 0x8
	scratch_load_b128 v[6:9], off, off offset:128
	scratch_load_b128 v[79:82], off, off offset:144
	;; [unrolled: 1-line block ×9, first 2 shown]
	ds_load_b128 v[111:114], v1 offset:480
	ds_load_b128 v[115:118], v1 offset:496
	scratch_load_b128 v[119:122], off, off offset:112
	s_mov_b32 s2, exec_lo
	ds_load_b128 v[127:130], v1 offset:528
	s_waitcnt vmcnt(9) lgkmcnt(2)
	v_mul_f64 v[2:3], v[113:114], v[8:9]
	v_mul_f64 v[123:124], v[111:112], v[8:9]
	scratch_load_b128 v[8:11], off, off offset:272
	s_waitcnt vmcnt(9) lgkmcnt(1)
	v_mul_f64 v[131:132], v[115:116], v[81:82]
	v_mul_f64 v[81:82], v[117:118], v[81:82]
	v_fma_f64 v[2:3], v[111:112], v[6:7], -v[2:3]
	v_fma_f64 v[6:7], v[113:114], v[6:7], v[123:124]
	ds_load_b128 v[111:114], v1 offset:512
	scratch_load_b128 v[123:126], off, off offset:288
	v_fma_f64 v[117:118], v[117:118], v[79:80], v[131:132]
	v_fma_f64 v[115:116], v[115:116], v[79:80], -v[81:82]
	scratch_load_b128 v[79:82], off, off offset:304
	s_waitcnt vmcnt(9) lgkmcnt(1)
	v_mul_f64 v[131:132], v[127:128], v[89:90]
	v_mul_f64 v[89:90], v[129:130], v[89:90]
	s_waitcnt lgkmcnt(0)
	v_mul_f64 v[133:134], v[111:112], v[85:86]
	v_mul_f64 v[85:86], v[113:114], v[85:86]
	v_add_f64 v[2:3], v[2:3], 0
	v_add_f64 v[6:7], v[6:7], 0
	v_fma_f64 v[129:130], v[129:130], v[87:88], v[131:132]
	v_fma_f64 v[127:128], v[127:128], v[87:88], -v[89:90]
	scratch_load_b128 v[87:90], off, off offset:336
	v_fma_f64 v[133:134], v[113:114], v[83:84], v[133:134]
	v_fma_f64 v[135:136], v[111:112], v[83:84], -v[85:86]
	ds_load_b128 v[83:86], v1 offset:544
	scratch_load_b128 v[111:114], off, off offset:320
	v_add_f64 v[2:3], v[2:3], v[115:116]
	v_add_f64 v[6:7], v[6:7], v[117:118]
	ds_load_b128 v[115:118], v1 offset:560
	s_waitcnt vmcnt(10) lgkmcnt(1)
	v_mul_f64 v[137:138], v[83:84], v[93:94]
	v_mul_f64 v[93:94], v[85:86], v[93:94]
	s_waitcnt vmcnt(9) lgkmcnt(0)
	v_mul_f64 v[131:132], v[115:116], v[97:98]
	v_mul_f64 v[97:98], v[117:118], v[97:98]
	v_add_f64 v[2:3], v[2:3], v[135:136]
	v_add_f64 v[6:7], v[6:7], v[133:134]
	v_fma_f64 v[133:134], v[85:86], v[91:92], v[137:138]
	v_fma_f64 v[135:136], v[83:84], v[91:92], -v[93:94]
	ds_load_b128 v[83:86], v1 offset:576
	ds_load_b128 v[91:94], v1 offset:592
	v_fma_f64 v[117:118], v[117:118], v[95:96], v[131:132]
	v_fma_f64 v[95:96], v[115:116], v[95:96], -v[97:98]
	s_waitcnt vmcnt(7) lgkmcnt(0)
	v_mul_f64 v[115:116], v[91:92], v[105:106]
	v_mul_f64 v[105:106], v[93:94], v[105:106]
	v_add_f64 v[2:3], v[2:3], v[127:128]
	v_add_f64 v[6:7], v[6:7], v[129:130]
	v_mul_f64 v[127:128], v[83:84], v[101:102]
	v_mul_f64 v[101:102], v[85:86], v[101:102]
	v_fma_f64 v[93:94], v[93:94], v[103:104], v[115:116]
	v_fma_f64 v[91:92], v[91:92], v[103:104], -v[105:106]
	v_add_f64 v[2:3], v[2:3], v[135:136]
	v_add_f64 v[6:7], v[6:7], v[133:134]
	v_fma_f64 v[127:128], v[85:86], v[99:100], v[127:128]
	v_fma_f64 v[99:100], v[83:84], v[99:100], -v[101:102]
	s_delay_alu instid0(VALU_DEP_4) | instskip(NEXT) | instid1(VALU_DEP_4)
	v_add_f64 v[2:3], v[2:3], v[95:96]
	v_add_f64 v[6:7], v[6:7], v[117:118]
	ds_load_b128 v[83:86], v1 offset:608
	ds_load_b128 v[95:98], v1 offset:624
	s_waitcnt vmcnt(6) lgkmcnt(1)
	v_mul_f64 v[101:102], v[83:84], v[109:110]
	v_mul_f64 v[109:110], v[85:86], v[109:110]
	v_add_f64 v[2:3], v[2:3], v[99:100]
	v_add_f64 v[6:7], v[6:7], v[127:128]
	s_waitcnt vmcnt(4) lgkmcnt(0)
	v_mul_f64 v[99:100], v[95:96], v[10:11]
	v_mul_f64 v[10:11], v[97:98], v[10:11]
	v_fma_f64 v[101:102], v[85:86], v[107:108], v[101:102]
	v_fma_f64 v[103:104], v[83:84], v[107:108], -v[109:110]
	v_add_f64 v[2:3], v[2:3], v[91:92]
	v_add_f64 v[6:7], v[6:7], v[93:94]
	ds_load_b128 v[83:86], v1 offset:640
	ds_load_b128 v[91:94], v1 offset:656
	v_fma_f64 v[97:98], v[97:98], v[8:9], v[99:100]
	v_fma_f64 v[8:9], v[95:96], v[8:9], -v[10:11]
	s_waitcnt vmcnt(3) lgkmcnt(1)
	v_mul_f64 v[105:106], v[83:84], v[125:126]
	v_mul_f64 v[107:108], v[85:86], v[125:126]
	s_waitcnt vmcnt(2) lgkmcnt(0)
	v_mul_f64 v[10:11], v[91:92], v[81:82]
	v_mul_f64 v[81:82], v[93:94], v[81:82]
	v_add_f64 v[2:3], v[2:3], v[103:104]
	v_add_f64 v[6:7], v[6:7], v[101:102]
	v_fma_f64 v[85:86], v[85:86], v[123:124], v[105:106]
	v_fma_f64 v[83:84], v[83:84], v[123:124], -v[107:108]
	v_fma_f64 v[10:11], v[93:94], v[79:80], v[10:11]
	v_fma_f64 v[79:80], v[91:92], v[79:80], -v[81:82]
	v_add_f64 v[95:96], v[2:3], v[8:9]
	v_add_f64 v[97:98], v[6:7], v[97:98]
	ds_load_b128 v[6:9], v1 offset:672
	ds_load_b128 v[1:4], v1 offset:688
	s_waitcnt vmcnt(0) lgkmcnt(1)
	v_mul_f64 v[99:100], v[6:7], v[113:114]
	v_mul_f64 v[101:102], v[8:9], v[113:114]
	v_add_f64 v[81:82], v[95:96], v[83:84]
	v_add_f64 v[83:84], v[97:98], v[85:86]
	s_waitcnt lgkmcnt(0)
	v_mul_f64 v[85:86], v[1:2], v[89:90]
	v_mul_f64 v[89:90], v[3:4], v[89:90]
	v_fma_f64 v[8:9], v[8:9], v[111:112], v[99:100]
	v_fma_f64 v[6:7], v[6:7], v[111:112], -v[101:102]
	v_add_f64 v[79:80], v[81:82], v[79:80]
	v_add_f64 v[10:11], v[83:84], v[10:11]
	v_fma_f64 v[3:4], v[3:4], v[87:88], v[85:86]
	v_fma_f64 v[1:2], v[1:2], v[87:88], -v[89:90]
	s_delay_alu instid0(VALU_DEP_4) | instskip(NEXT) | instid1(VALU_DEP_4)
	v_add_f64 v[6:7], v[79:80], v[6:7]
	v_add_f64 v[8:9], v[10:11], v[8:9]
	s_delay_alu instid0(VALU_DEP_2) | instskip(NEXT) | instid1(VALU_DEP_2)
	v_add_f64 v[1:2], v[6:7], v[1:2]
	v_add_f64 v[3:4], v[8:9], v[3:4]
	s_delay_alu instid0(VALU_DEP_2) | instskip(NEXT) | instid1(VALU_DEP_2)
	v_add_f64 v[1:2], v[119:120], -v[1:2]
	v_add_f64 v[3:4], v[121:122], -v[3:4]
	scratch_store_b128 off, v[1:4], off offset:112
	v_cmpx_lt_u32_e32 6, v57
	s_cbranch_execz .LBB85_133
; %bb.132:
	scratch_load_b128 v[1:4], v58, off
	v_mov_b32_e32 v6, 0
	s_delay_alu instid0(VALU_DEP_1)
	v_mov_b32_e32 v7, v6
	v_mov_b32_e32 v8, v6
	;; [unrolled: 1-line block ×3, first 2 shown]
	scratch_store_b128 off, v[6:9], off offset:96
	s_waitcnt vmcnt(0)
	ds_store_b128 v5, v[1:4]
.LBB85_133:
	s_or_b32 exec_lo, exec_lo, s2
	s_waitcnt lgkmcnt(0)
	s_waitcnt_vscnt null, 0x0
	s_barrier
	buffer_gl0_inv
	s_clause 0x7
	scratch_load_b128 v[6:9], off, off offset:112
	scratch_load_b128 v[79:82], off, off offset:128
	;; [unrolled: 1-line block ×8, first 2 shown]
	v_mov_b32_e32 v1, 0
	s_mov_b32 s2, exec_lo
	ds_load_b128 v[107:110], v1 offset:464
	s_clause 0x1
	scratch_load_b128 v[111:114], off, off offset:240
	scratch_load_b128 v[115:118], off, off offset:96
	ds_load_b128 v[119:122], v1 offset:480
	ds_load_b128 v[127:130], v1 offset:512
	s_waitcnt vmcnt(9) lgkmcnt(2)
	v_mul_f64 v[2:3], v[109:110], v[8:9]
	v_mul_f64 v[123:124], v[107:108], v[8:9]
	scratch_load_b128 v[8:11], off, off offset:256
	v_fma_f64 v[2:3], v[107:108], v[6:7], -v[2:3]
	v_fma_f64 v[6:7], v[109:110], v[6:7], v[123:124]
	scratch_load_b128 v[123:126], off, off offset:272
	ds_load_b128 v[107:110], v1 offset:496
	s_waitcnt vmcnt(10) lgkmcnt(2)
	v_mul_f64 v[131:132], v[119:120], v[81:82]
	v_mul_f64 v[81:82], v[121:122], v[81:82]
	s_waitcnt vmcnt(9) lgkmcnt(0)
	v_mul_f64 v[133:134], v[107:108], v[85:86]
	v_mul_f64 v[85:86], v[109:110], v[85:86]
	v_add_f64 v[2:3], v[2:3], 0
	v_add_f64 v[6:7], v[6:7], 0
	v_fma_f64 v[121:122], v[121:122], v[79:80], v[131:132]
	v_fma_f64 v[119:120], v[119:120], v[79:80], -v[81:82]
	scratch_load_b128 v[79:82], off, off offset:288
	v_fma_f64 v[133:134], v[109:110], v[83:84], v[133:134]
	v_fma_f64 v[135:136], v[107:108], v[83:84], -v[85:86]
	scratch_load_b128 v[107:110], off, off offset:304
	ds_load_b128 v[83:86], v1 offset:528
	s_waitcnt vmcnt(10)
	v_mul_f64 v[131:132], v[127:128], v[89:90]
	v_mul_f64 v[89:90], v[129:130], v[89:90]
	v_add_f64 v[6:7], v[6:7], v[121:122]
	v_add_f64 v[2:3], v[2:3], v[119:120]
	ds_load_b128 v[119:122], v1 offset:544
	s_waitcnt vmcnt(9) lgkmcnt(1)
	v_mul_f64 v[137:138], v[83:84], v[93:94]
	v_mul_f64 v[93:94], v[85:86], v[93:94]
	v_fma_f64 v[129:130], v[129:130], v[87:88], v[131:132]
	v_fma_f64 v[127:128], v[127:128], v[87:88], -v[89:90]
	scratch_load_b128 v[87:90], off, off offset:320
	v_add_f64 v[6:7], v[6:7], v[133:134]
	v_add_f64 v[2:3], v[2:3], v[135:136]
	v_fma_f64 v[133:134], v[85:86], v[91:92], v[137:138]
	v_fma_f64 v[135:136], v[83:84], v[91:92], -v[93:94]
	scratch_load_b128 v[91:94], off, off offset:336
	ds_load_b128 v[83:86], v1 offset:560
	s_waitcnt vmcnt(10) lgkmcnt(1)
	v_mul_f64 v[131:132], v[119:120], v[97:98]
	v_mul_f64 v[97:98], v[121:122], v[97:98]
	s_waitcnt vmcnt(9) lgkmcnt(0)
	v_mul_f64 v[137:138], v[83:84], v[101:102]
	v_mul_f64 v[101:102], v[85:86], v[101:102]
	v_add_f64 v[6:7], v[6:7], v[129:130]
	v_add_f64 v[2:3], v[2:3], v[127:128]
	ds_load_b128 v[127:130], v1 offset:576
	v_fma_f64 v[121:122], v[121:122], v[95:96], v[131:132]
	v_fma_f64 v[95:96], v[119:120], v[95:96], -v[97:98]
	s_waitcnt vmcnt(8) lgkmcnt(0)
	v_mul_f64 v[119:120], v[127:128], v[105:106]
	v_mul_f64 v[105:106], v[129:130], v[105:106]
	v_fma_f64 v[131:132], v[85:86], v[99:100], v[137:138]
	v_fma_f64 v[99:100], v[83:84], v[99:100], -v[101:102]
	v_add_f64 v[6:7], v[6:7], v[133:134]
	v_add_f64 v[2:3], v[2:3], v[135:136]
	v_fma_f64 v[119:120], v[129:130], v[103:104], v[119:120]
	v_fma_f64 v[103:104], v[127:128], v[103:104], -v[105:106]
	s_delay_alu instid0(VALU_DEP_4) | instskip(NEXT) | instid1(VALU_DEP_4)
	v_add_f64 v[6:7], v[6:7], v[121:122]
	v_add_f64 v[2:3], v[2:3], v[95:96]
	ds_load_b128 v[83:86], v1 offset:592
	ds_load_b128 v[95:98], v1 offset:608
	s_waitcnt vmcnt(7) lgkmcnt(1)
	v_mul_f64 v[101:102], v[83:84], v[113:114]
	v_mul_f64 v[113:114], v[85:86], v[113:114]
	v_add_f64 v[6:7], v[6:7], v[131:132]
	v_add_f64 v[2:3], v[2:3], v[99:100]
	s_waitcnt vmcnt(5) lgkmcnt(0)
	v_mul_f64 v[105:106], v[95:96], v[10:11]
	v_mul_f64 v[10:11], v[97:98], v[10:11]
	v_fma_f64 v[121:122], v[85:86], v[111:112], v[101:102]
	v_fma_f64 v[111:112], v[83:84], v[111:112], -v[113:114]
	ds_load_b128 v[83:86], v1 offset:624
	ds_load_b128 v[99:102], v1 offset:640
	v_add_f64 v[6:7], v[6:7], v[119:120]
	v_add_f64 v[2:3], v[2:3], v[103:104]
	s_waitcnt vmcnt(4) lgkmcnt(1)
	v_mul_f64 v[103:104], v[83:84], v[125:126]
	v_mul_f64 v[113:114], v[85:86], v[125:126]
	v_fma_f64 v[97:98], v[97:98], v[8:9], v[105:106]
	v_fma_f64 v[8:9], v[95:96], v[8:9], -v[10:11]
	v_add_f64 v[6:7], v[6:7], v[121:122]
	v_add_f64 v[2:3], v[2:3], v[111:112]
	v_fma_f64 v[85:86], v[85:86], v[123:124], v[103:104]
	v_fma_f64 v[103:104], v[83:84], v[123:124], -v[113:114]
	s_waitcnt vmcnt(3) lgkmcnt(0)
	v_mul_f64 v[10:11], v[99:100], v[81:82]
	v_mul_f64 v[95:96], v[101:102], v[81:82]
	v_add_f64 v[97:98], v[6:7], v[97:98]
	v_add_f64 v[2:3], v[2:3], v[8:9]
	ds_load_b128 v[6:9], v1 offset:656
	ds_load_b128 v[81:84], v1 offset:672
	v_fma_f64 v[10:11], v[101:102], v[79:80], v[10:11]
	v_fma_f64 v[79:80], v[99:100], v[79:80], -v[95:96]
	s_waitcnt vmcnt(2) lgkmcnt(1)
	v_mul_f64 v[105:106], v[6:7], v[109:110]
	v_mul_f64 v[109:110], v[8:9], v[109:110]
	v_add_f64 v[85:86], v[97:98], v[85:86]
	v_add_f64 v[2:3], v[2:3], v[103:104]
	s_waitcnt vmcnt(1) lgkmcnt(0)
	v_mul_f64 v[95:96], v[81:82], v[89:90]
	v_mul_f64 v[89:90], v[83:84], v[89:90]
	v_fma_f64 v[97:98], v[8:9], v[107:108], v[105:106]
	v_fma_f64 v[99:100], v[6:7], v[107:108], -v[109:110]
	ds_load_b128 v[6:9], v1 offset:688
	v_add_f64 v[10:11], v[85:86], v[10:11]
	v_add_f64 v[2:3], v[2:3], v[79:80]
	v_fma_f64 v[83:84], v[83:84], v[87:88], v[95:96]
	v_fma_f64 v[81:82], v[81:82], v[87:88], -v[89:90]
	s_waitcnt vmcnt(0) lgkmcnt(0)
	v_mul_f64 v[79:80], v[6:7], v[93:94]
	v_mul_f64 v[85:86], v[8:9], v[93:94]
	v_add_f64 v[10:11], v[10:11], v[97:98]
	v_add_f64 v[2:3], v[2:3], v[99:100]
	s_delay_alu instid0(VALU_DEP_4) | instskip(NEXT) | instid1(VALU_DEP_4)
	v_fma_f64 v[8:9], v[8:9], v[91:92], v[79:80]
	v_fma_f64 v[6:7], v[6:7], v[91:92], -v[85:86]
	s_delay_alu instid0(VALU_DEP_4) | instskip(NEXT) | instid1(VALU_DEP_4)
	v_add_f64 v[10:11], v[10:11], v[83:84]
	v_add_f64 v[2:3], v[2:3], v[81:82]
	s_delay_alu instid0(VALU_DEP_2) | instskip(NEXT) | instid1(VALU_DEP_2)
	v_add_f64 v[8:9], v[10:11], v[8:9]
	v_add_f64 v[2:3], v[2:3], v[6:7]
	s_delay_alu instid0(VALU_DEP_2) | instskip(NEXT) | instid1(VALU_DEP_2)
	v_add_f64 v[8:9], v[117:118], -v[8:9]
	v_add_f64 v[6:7], v[115:116], -v[2:3]
	scratch_store_b128 off, v[6:9], off offset:96
	v_cmpx_lt_u32_e32 5, v57
	s_cbranch_execz .LBB85_135
; %bb.134:
	scratch_load_b128 v[6:9], v63, off
	v_mov_b32_e32 v2, v1
	v_mov_b32_e32 v3, v1
	;; [unrolled: 1-line block ×3, first 2 shown]
	scratch_store_b128 off, v[1:4], off offset:80
	s_waitcnt vmcnt(0)
	ds_store_b128 v5, v[6:9]
.LBB85_135:
	s_or_b32 exec_lo, exec_lo, s2
	s_waitcnt lgkmcnt(0)
	s_waitcnt_vscnt null, 0x0
	s_barrier
	buffer_gl0_inv
	s_clause 0x8
	scratch_load_b128 v[6:9], off, off offset:96
	scratch_load_b128 v[79:82], off, off offset:112
	;; [unrolled: 1-line block ×9, first 2 shown]
	ds_load_b128 v[111:114], v1 offset:448
	ds_load_b128 v[115:118], v1 offset:464
	scratch_load_b128 v[119:122], off, off offset:80
	s_mov_b32 s2, exec_lo
	ds_load_b128 v[127:130], v1 offset:496
	s_waitcnt vmcnt(9) lgkmcnt(2)
	v_mul_f64 v[2:3], v[113:114], v[8:9]
	v_mul_f64 v[123:124], v[111:112], v[8:9]
	scratch_load_b128 v[8:11], off, off offset:240
	s_waitcnt vmcnt(9) lgkmcnt(1)
	v_mul_f64 v[131:132], v[115:116], v[81:82]
	v_mul_f64 v[81:82], v[117:118], v[81:82]
	v_fma_f64 v[2:3], v[111:112], v[6:7], -v[2:3]
	v_fma_f64 v[6:7], v[113:114], v[6:7], v[123:124]
	ds_load_b128 v[111:114], v1 offset:480
	scratch_load_b128 v[123:126], off, off offset:256
	v_fma_f64 v[117:118], v[117:118], v[79:80], v[131:132]
	v_fma_f64 v[115:116], v[115:116], v[79:80], -v[81:82]
	scratch_load_b128 v[79:82], off, off offset:272
	s_waitcnt vmcnt(9) lgkmcnt(1)
	v_mul_f64 v[131:132], v[127:128], v[89:90]
	v_mul_f64 v[89:90], v[129:130], v[89:90]
	s_waitcnt lgkmcnt(0)
	v_mul_f64 v[133:134], v[111:112], v[85:86]
	v_mul_f64 v[85:86], v[113:114], v[85:86]
	v_add_f64 v[2:3], v[2:3], 0
	v_add_f64 v[6:7], v[6:7], 0
	v_fma_f64 v[129:130], v[129:130], v[87:88], v[131:132]
	v_fma_f64 v[127:128], v[127:128], v[87:88], -v[89:90]
	scratch_load_b128 v[87:90], off, off offset:304
	v_fma_f64 v[133:134], v[113:114], v[83:84], v[133:134]
	v_fma_f64 v[135:136], v[111:112], v[83:84], -v[85:86]
	ds_load_b128 v[83:86], v1 offset:512
	scratch_load_b128 v[111:114], off, off offset:288
	v_add_f64 v[2:3], v[2:3], v[115:116]
	v_add_f64 v[6:7], v[6:7], v[117:118]
	ds_load_b128 v[115:118], v1 offset:528
	s_waitcnt vmcnt(10) lgkmcnt(1)
	v_mul_f64 v[137:138], v[83:84], v[93:94]
	v_mul_f64 v[93:94], v[85:86], v[93:94]
	s_waitcnt vmcnt(9) lgkmcnt(0)
	v_mul_f64 v[131:132], v[115:116], v[97:98]
	v_mul_f64 v[97:98], v[117:118], v[97:98]
	v_add_f64 v[2:3], v[2:3], v[135:136]
	v_add_f64 v[6:7], v[6:7], v[133:134]
	v_fma_f64 v[133:134], v[85:86], v[91:92], v[137:138]
	v_fma_f64 v[135:136], v[83:84], v[91:92], -v[93:94]
	ds_load_b128 v[83:86], v1 offset:544
	scratch_load_b128 v[91:94], off, off offset:320
	v_fma_f64 v[117:118], v[117:118], v[95:96], v[131:132]
	v_fma_f64 v[115:116], v[115:116], v[95:96], -v[97:98]
	scratch_load_b128 v[95:98], off, off offset:336
	v_add_f64 v[2:3], v[2:3], v[127:128]
	v_add_f64 v[6:7], v[6:7], v[129:130]
	ds_load_b128 v[127:130], v1 offset:560
	s_waitcnt vmcnt(10) lgkmcnt(1)
	v_mul_f64 v[137:138], v[83:84], v[101:102]
	v_mul_f64 v[101:102], v[85:86], v[101:102]
	s_waitcnt vmcnt(9) lgkmcnt(0)
	v_mul_f64 v[131:132], v[127:128], v[105:106]
	v_mul_f64 v[105:106], v[129:130], v[105:106]
	v_add_f64 v[2:3], v[2:3], v[135:136]
	v_add_f64 v[6:7], v[6:7], v[133:134]
	v_fma_f64 v[133:134], v[85:86], v[99:100], v[137:138]
	v_fma_f64 v[135:136], v[83:84], v[99:100], -v[101:102]
	ds_load_b128 v[83:86], v1 offset:576
	ds_load_b128 v[99:102], v1 offset:592
	v_add_f64 v[2:3], v[2:3], v[115:116]
	v_add_f64 v[6:7], v[6:7], v[117:118]
	s_waitcnt vmcnt(8) lgkmcnt(1)
	v_mul_f64 v[115:116], v[83:84], v[109:110]
	v_mul_f64 v[109:110], v[85:86], v[109:110]
	v_fma_f64 v[117:118], v[129:130], v[103:104], v[131:132]
	v_fma_f64 v[103:104], v[127:128], v[103:104], -v[105:106]
	v_add_f64 v[2:3], v[2:3], v[135:136]
	v_add_f64 v[6:7], v[6:7], v[133:134]
	v_fma_f64 v[115:116], v[85:86], v[107:108], v[115:116]
	v_fma_f64 v[107:108], v[83:84], v[107:108], -v[109:110]
	s_waitcnt vmcnt(6) lgkmcnt(0)
	v_mul_f64 v[127:128], v[99:100], v[10:11]
	v_mul_f64 v[10:11], v[101:102], v[10:11]
	v_add_f64 v[2:3], v[2:3], v[103:104]
	v_add_f64 v[6:7], v[6:7], v[117:118]
	ds_load_b128 v[83:86], v1 offset:608
	ds_load_b128 v[103:106], v1 offset:624
	v_fma_f64 v[101:102], v[101:102], v[8:9], v[127:128]
	v_fma_f64 v[8:9], v[99:100], v[8:9], -v[10:11]
	s_waitcnt vmcnt(5) lgkmcnt(1)
	v_mul_f64 v[109:110], v[83:84], v[125:126]
	v_mul_f64 v[117:118], v[85:86], v[125:126]
	s_waitcnt vmcnt(4) lgkmcnt(0)
	v_mul_f64 v[10:11], v[103:104], v[81:82]
	v_mul_f64 v[99:100], v[105:106], v[81:82]
	v_add_f64 v[2:3], v[2:3], v[107:108]
	v_add_f64 v[6:7], v[6:7], v[115:116]
	v_fma_f64 v[85:86], v[85:86], v[123:124], v[109:110]
	v_fma_f64 v[107:108], v[83:84], v[123:124], -v[117:118]
	v_fma_f64 v[10:11], v[105:106], v[79:80], v[10:11]
	v_fma_f64 v[79:80], v[103:104], v[79:80], -v[99:100]
	v_add_f64 v[2:3], v[2:3], v[8:9]
	v_add_f64 v[101:102], v[6:7], v[101:102]
	ds_load_b128 v[6:9], v1 offset:640
	ds_load_b128 v[81:84], v1 offset:656
	s_waitcnt vmcnt(2) lgkmcnt(1)
	v_mul_f64 v[109:110], v[6:7], v[113:114]
	v_mul_f64 v[113:114], v[8:9], v[113:114]
	s_waitcnt lgkmcnt(0)
	v_mul_f64 v[99:100], v[81:82], v[89:90]
	v_mul_f64 v[89:90], v[83:84], v[89:90]
	v_add_f64 v[2:3], v[2:3], v[107:108]
	v_add_f64 v[85:86], v[101:102], v[85:86]
	v_fma_f64 v[101:102], v[8:9], v[111:112], v[109:110]
	v_fma_f64 v[103:104], v[6:7], v[111:112], -v[113:114]
	v_fma_f64 v[83:84], v[83:84], v[87:88], v[99:100]
	v_fma_f64 v[81:82], v[81:82], v[87:88], -v[89:90]
	v_add_f64 v[79:80], v[2:3], v[79:80]
	v_add_f64 v[10:11], v[85:86], v[10:11]
	ds_load_b128 v[6:9], v1 offset:672
	ds_load_b128 v[1:4], v1 offset:688
	s_waitcnt vmcnt(1) lgkmcnt(1)
	v_mul_f64 v[85:86], v[6:7], v[93:94]
	v_mul_f64 v[93:94], v[8:9], v[93:94]
	s_waitcnt vmcnt(0) lgkmcnt(0)
	v_mul_f64 v[87:88], v[1:2], v[97:98]
	v_mul_f64 v[89:90], v[3:4], v[97:98]
	v_add_f64 v[79:80], v[79:80], v[103:104]
	v_add_f64 v[10:11], v[10:11], v[101:102]
	v_fma_f64 v[8:9], v[8:9], v[91:92], v[85:86]
	v_fma_f64 v[6:7], v[6:7], v[91:92], -v[93:94]
	v_fma_f64 v[3:4], v[3:4], v[95:96], v[87:88]
	v_fma_f64 v[1:2], v[1:2], v[95:96], -v[89:90]
	v_add_f64 v[79:80], v[79:80], v[81:82]
	v_add_f64 v[10:11], v[10:11], v[83:84]
	s_delay_alu instid0(VALU_DEP_2) | instskip(NEXT) | instid1(VALU_DEP_2)
	v_add_f64 v[6:7], v[79:80], v[6:7]
	v_add_f64 v[8:9], v[10:11], v[8:9]
	s_delay_alu instid0(VALU_DEP_2) | instskip(NEXT) | instid1(VALU_DEP_2)
	v_add_f64 v[1:2], v[6:7], v[1:2]
	v_add_f64 v[3:4], v[8:9], v[3:4]
	s_delay_alu instid0(VALU_DEP_2) | instskip(NEXT) | instid1(VALU_DEP_2)
	v_add_f64 v[1:2], v[119:120], -v[1:2]
	v_add_f64 v[3:4], v[121:122], -v[3:4]
	scratch_store_b128 off, v[1:4], off offset:80
	v_cmpx_lt_u32_e32 4, v57
	s_cbranch_execz .LBB85_137
; %bb.136:
	scratch_load_b128 v[1:4], v59, off
	v_mov_b32_e32 v6, 0
	s_delay_alu instid0(VALU_DEP_1)
	v_mov_b32_e32 v7, v6
	v_mov_b32_e32 v8, v6
	;; [unrolled: 1-line block ×3, first 2 shown]
	scratch_store_b128 off, v[6:9], off offset:64
	s_waitcnt vmcnt(0)
	ds_store_b128 v5, v[1:4]
.LBB85_137:
	s_or_b32 exec_lo, exec_lo, s2
	s_waitcnt lgkmcnt(0)
	s_waitcnt_vscnt null, 0x0
	s_barrier
	buffer_gl0_inv
	s_clause 0x7
	scratch_load_b128 v[6:9], off, off offset:80
	scratch_load_b128 v[79:82], off, off offset:96
	;; [unrolled: 1-line block ×8, first 2 shown]
	v_mov_b32_e32 v1, 0
	s_mov_b32 s2, exec_lo
	ds_load_b128 v[107:110], v1 offset:432
	s_clause 0x1
	scratch_load_b128 v[111:114], off, off offset:208
	scratch_load_b128 v[115:118], off, off offset:64
	ds_load_b128 v[119:122], v1 offset:448
	ds_load_b128 v[127:130], v1 offset:480
	s_waitcnt vmcnt(9) lgkmcnt(2)
	v_mul_f64 v[2:3], v[109:110], v[8:9]
	v_mul_f64 v[123:124], v[107:108], v[8:9]
	scratch_load_b128 v[8:11], off, off offset:224
	v_fma_f64 v[2:3], v[107:108], v[6:7], -v[2:3]
	v_fma_f64 v[6:7], v[109:110], v[6:7], v[123:124]
	scratch_load_b128 v[123:126], off, off offset:240
	ds_load_b128 v[107:110], v1 offset:464
	s_waitcnt vmcnt(10) lgkmcnt(2)
	v_mul_f64 v[131:132], v[119:120], v[81:82]
	v_mul_f64 v[81:82], v[121:122], v[81:82]
	s_waitcnt vmcnt(9) lgkmcnt(0)
	v_mul_f64 v[133:134], v[107:108], v[85:86]
	v_mul_f64 v[85:86], v[109:110], v[85:86]
	v_add_f64 v[2:3], v[2:3], 0
	v_add_f64 v[6:7], v[6:7], 0
	v_fma_f64 v[121:122], v[121:122], v[79:80], v[131:132]
	v_fma_f64 v[119:120], v[119:120], v[79:80], -v[81:82]
	scratch_load_b128 v[79:82], off, off offset:256
	v_fma_f64 v[133:134], v[109:110], v[83:84], v[133:134]
	v_fma_f64 v[135:136], v[107:108], v[83:84], -v[85:86]
	scratch_load_b128 v[107:110], off, off offset:272
	ds_load_b128 v[83:86], v1 offset:496
	s_waitcnt vmcnt(10)
	v_mul_f64 v[131:132], v[127:128], v[89:90]
	v_mul_f64 v[89:90], v[129:130], v[89:90]
	v_add_f64 v[6:7], v[6:7], v[121:122]
	v_add_f64 v[2:3], v[2:3], v[119:120]
	ds_load_b128 v[119:122], v1 offset:512
	s_waitcnt vmcnt(9) lgkmcnt(1)
	v_mul_f64 v[137:138], v[83:84], v[93:94]
	v_mul_f64 v[93:94], v[85:86], v[93:94]
	v_fma_f64 v[129:130], v[129:130], v[87:88], v[131:132]
	v_fma_f64 v[127:128], v[127:128], v[87:88], -v[89:90]
	scratch_load_b128 v[87:90], off, off offset:288
	v_add_f64 v[6:7], v[6:7], v[133:134]
	v_add_f64 v[2:3], v[2:3], v[135:136]
	v_fma_f64 v[133:134], v[85:86], v[91:92], v[137:138]
	v_fma_f64 v[135:136], v[83:84], v[91:92], -v[93:94]
	scratch_load_b128 v[91:94], off, off offset:304
	ds_load_b128 v[83:86], v1 offset:528
	s_waitcnt vmcnt(10) lgkmcnt(1)
	v_mul_f64 v[131:132], v[119:120], v[97:98]
	v_mul_f64 v[97:98], v[121:122], v[97:98]
	s_waitcnt vmcnt(9) lgkmcnt(0)
	v_mul_f64 v[137:138], v[83:84], v[101:102]
	v_mul_f64 v[101:102], v[85:86], v[101:102]
	v_add_f64 v[6:7], v[6:7], v[129:130]
	v_add_f64 v[2:3], v[2:3], v[127:128]
	ds_load_b128 v[127:130], v1 offset:544
	v_fma_f64 v[121:122], v[121:122], v[95:96], v[131:132]
	v_fma_f64 v[119:120], v[119:120], v[95:96], -v[97:98]
	scratch_load_b128 v[95:98], off, off offset:320
	v_add_f64 v[6:7], v[6:7], v[133:134]
	v_add_f64 v[2:3], v[2:3], v[135:136]
	v_fma_f64 v[133:134], v[85:86], v[99:100], v[137:138]
	v_fma_f64 v[135:136], v[83:84], v[99:100], -v[101:102]
	scratch_load_b128 v[99:102], off, off offset:336
	ds_load_b128 v[83:86], v1 offset:560
	s_waitcnt vmcnt(10) lgkmcnt(1)
	v_mul_f64 v[131:132], v[127:128], v[105:106]
	v_mul_f64 v[105:106], v[129:130], v[105:106]
	s_waitcnt vmcnt(9) lgkmcnt(0)
	v_mul_f64 v[137:138], v[83:84], v[113:114]
	v_mul_f64 v[113:114], v[85:86], v[113:114]
	v_add_f64 v[6:7], v[6:7], v[121:122]
	v_add_f64 v[2:3], v[2:3], v[119:120]
	ds_load_b128 v[119:122], v1 offset:576
	v_fma_f64 v[129:130], v[129:130], v[103:104], v[131:132]
	v_fma_f64 v[103:104], v[127:128], v[103:104], -v[105:106]
	v_fma_f64 v[131:132], v[85:86], v[111:112], v[137:138]
	v_fma_f64 v[111:112], v[83:84], v[111:112], -v[113:114]
	v_add_f64 v[6:7], v[6:7], v[133:134]
	v_add_f64 v[2:3], v[2:3], v[135:136]
	s_waitcnt vmcnt(7) lgkmcnt(0)
	v_mul_f64 v[127:128], v[119:120], v[10:11]
	v_mul_f64 v[10:11], v[121:122], v[10:11]
	s_delay_alu instid0(VALU_DEP_4) | instskip(NEXT) | instid1(VALU_DEP_4)
	v_add_f64 v[6:7], v[6:7], v[129:130]
	v_add_f64 v[2:3], v[2:3], v[103:104]
	ds_load_b128 v[83:86], v1 offset:592
	ds_load_b128 v[103:106], v1 offset:608
	v_fma_f64 v[121:122], v[121:122], v[8:9], v[127:128]
	v_fma_f64 v[8:9], v[119:120], v[8:9], -v[10:11]
	s_waitcnt vmcnt(6) lgkmcnt(1)
	v_mul_f64 v[113:114], v[83:84], v[125:126]
	v_mul_f64 v[125:126], v[85:86], v[125:126]
	v_add_f64 v[6:7], v[6:7], v[131:132]
	v_add_f64 v[2:3], v[2:3], v[111:112]
	s_waitcnt vmcnt(5) lgkmcnt(0)
	v_mul_f64 v[10:11], v[103:104], v[81:82]
	v_mul_f64 v[111:112], v[105:106], v[81:82]
	v_fma_f64 v[85:86], v[85:86], v[123:124], v[113:114]
	v_fma_f64 v[113:114], v[83:84], v[123:124], -v[125:126]
	v_add_f64 v[119:120], v[6:7], v[121:122]
	v_add_f64 v[2:3], v[2:3], v[8:9]
	ds_load_b128 v[6:9], v1 offset:624
	ds_load_b128 v[81:84], v1 offset:640
	v_fma_f64 v[10:11], v[105:106], v[79:80], v[10:11]
	v_fma_f64 v[79:80], v[103:104], v[79:80], -v[111:112]
	s_waitcnt vmcnt(4) lgkmcnt(1)
	v_mul_f64 v[121:122], v[6:7], v[109:110]
	v_mul_f64 v[109:110], v[8:9], v[109:110]
	v_add_f64 v[85:86], v[119:120], v[85:86]
	v_add_f64 v[2:3], v[2:3], v[113:114]
	s_waitcnt vmcnt(3) lgkmcnt(0)
	v_mul_f64 v[111:112], v[81:82], v[89:90]
	v_mul_f64 v[89:90], v[83:84], v[89:90]
	v_fma_f64 v[113:114], v[8:9], v[107:108], v[121:122]
	v_fma_f64 v[107:108], v[6:7], v[107:108], -v[109:110]
	ds_load_b128 v[6:9], v1 offset:656
	ds_load_b128 v[103:106], v1 offset:672
	v_add_f64 v[10:11], v[85:86], v[10:11]
	v_add_f64 v[2:3], v[2:3], v[79:80]
	v_fma_f64 v[83:84], v[83:84], v[87:88], v[111:112]
	s_waitcnt vmcnt(2) lgkmcnt(1)
	v_mul_f64 v[79:80], v[6:7], v[93:94]
	v_mul_f64 v[85:86], v[8:9], v[93:94]
	v_fma_f64 v[81:82], v[81:82], v[87:88], -v[89:90]
	s_waitcnt vmcnt(1) lgkmcnt(0)
	v_mul_f64 v[87:88], v[103:104], v[97:98]
	v_mul_f64 v[89:90], v[105:106], v[97:98]
	v_add_f64 v[10:11], v[10:11], v[113:114]
	v_add_f64 v[2:3], v[2:3], v[107:108]
	v_fma_f64 v[79:80], v[8:9], v[91:92], v[79:80]
	v_fma_f64 v[85:86], v[6:7], v[91:92], -v[85:86]
	ds_load_b128 v[6:9], v1 offset:688
	v_fma_f64 v[87:88], v[105:106], v[95:96], v[87:88]
	v_fma_f64 v[89:90], v[103:104], v[95:96], -v[89:90]
	v_add_f64 v[10:11], v[10:11], v[83:84]
	v_add_f64 v[2:3], v[2:3], v[81:82]
	s_waitcnt vmcnt(0) lgkmcnt(0)
	v_mul_f64 v[81:82], v[6:7], v[101:102]
	v_mul_f64 v[83:84], v[8:9], v[101:102]
	s_delay_alu instid0(VALU_DEP_4) | instskip(NEXT) | instid1(VALU_DEP_4)
	v_add_f64 v[10:11], v[10:11], v[79:80]
	v_add_f64 v[2:3], v[2:3], v[85:86]
	s_delay_alu instid0(VALU_DEP_4) | instskip(NEXT) | instid1(VALU_DEP_4)
	v_fma_f64 v[8:9], v[8:9], v[99:100], v[81:82]
	v_fma_f64 v[6:7], v[6:7], v[99:100], -v[83:84]
	s_delay_alu instid0(VALU_DEP_4) | instskip(NEXT) | instid1(VALU_DEP_4)
	v_add_f64 v[10:11], v[10:11], v[87:88]
	v_add_f64 v[2:3], v[2:3], v[89:90]
	s_delay_alu instid0(VALU_DEP_2) | instskip(NEXT) | instid1(VALU_DEP_2)
	v_add_f64 v[8:9], v[10:11], v[8:9]
	v_add_f64 v[2:3], v[2:3], v[6:7]
	s_delay_alu instid0(VALU_DEP_2) | instskip(NEXT) | instid1(VALU_DEP_2)
	v_add_f64 v[8:9], v[117:118], -v[8:9]
	v_add_f64 v[6:7], v[115:116], -v[2:3]
	scratch_store_b128 off, v[6:9], off offset:64
	v_cmpx_lt_u32_e32 3, v57
	s_cbranch_execz .LBB85_139
; %bb.138:
	scratch_load_b128 v[6:9], v64, off
	v_mov_b32_e32 v2, v1
	v_mov_b32_e32 v3, v1
	;; [unrolled: 1-line block ×3, first 2 shown]
	scratch_store_b128 off, v[1:4], off offset:48
	s_waitcnt vmcnt(0)
	ds_store_b128 v5, v[6:9]
.LBB85_139:
	s_or_b32 exec_lo, exec_lo, s2
	s_waitcnt lgkmcnt(0)
	s_waitcnt_vscnt null, 0x0
	s_barrier
	buffer_gl0_inv
	s_clause 0x8
	scratch_load_b128 v[6:9], off, off offset:64
	scratch_load_b128 v[79:82], off, off offset:80
	;; [unrolled: 1-line block ×9, first 2 shown]
	ds_load_b128 v[111:114], v1 offset:416
	ds_load_b128 v[115:118], v1 offset:432
	scratch_load_b128 v[119:122], off, off offset:48
	s_mov_b32 s2, exec_lo
	ds_load_b128 v[127:130], v1 offset:464
	s_waitcnt vmcnt(9) lgkmcnt(2)
	v_mul_f64 v[2:3], v[113:114], v[8:9]
	v_mul_f64 v[123:124], v[111:112], v[8:9]
	scratch_load_b128 v[8:11], off, off offset:208
	s_waitcnt vmcnt(9) lgkmcnt(1)
	v_mul_f64 v[131:132], v[115:116], v[81:82]
	v_mul_f64 v[81:82], v[117:118], v[81:82]
	v_fma_f64 v[2:3], v[111:112], v[6:7], -v[2:3]
	v_fma_f64 v[6:7], v[113:114], v[6:7], v[123:124]
	ds_load_b128 v[111:114], v1 offset:448
	scratch_load_b128 v[123:126], off, off offset:224
	v_fma_f64 v[117:118], v[117:118], v[79:80], v[131:132]
	v_fma_f64 v[115:116], v[115:116], v[79:80], -v[81:82]
	scratch_load_b128 v[79:82], off, off offset:240
	s_waitcnt vmcnt(9) lgkmcnt(1)
	v_mul_f64 v[131:132], v[127:128], v[89:90]
	v_mul_f64 v[89:90], v[129:130], v[89:90]
	s_waitcnt lgkmcnt(0)
	v_mul_f64 v[133:134], v[111:112], v[85:86]
	v_mul_f64 v[85:86], v[113:114], v[85:86]
	v_add_f64 v[2:3], v[2:3], 0
	v_add_f64 v[6:7], v[6:7], 0
	v_fma_f64 v[129:130], v[129:130], v[87:88], v[131:132]
	v_fma_f64 v[127:128], v[127:128], v[87:88], -v[89:90]
	scratch_load_b128 v[87:90], off, off offset:272
	v_fma_f64 v[133:134], v[113:114], v[83:84], v[133:134]
	v_fma_f64 v[135:136], v[111:112], v[83:84], -v[85:86]
	ds_load_b128 v[83:86], v1 offset:480
	scratch_load_b128 v[111:114], off, off offset:256
	v_add_f64 v[2:3], v[2:3], v[115:116]
	v_add_f64 v[6:7], v[6:7], v[117:118]
	ds_load_b128 v[115:118], v1 offset:496
	s_waitcnt vmcnt(10) lgkmcnt(1)
	v_mul_f64 v[137:138], v[83:84], v[93:94]
	v_mul_f64 v[93:94], v[85:86], v[93:94]
	s_waitcnt vmcnt(9) lgkmcnt(0)
	v_mul_f64 v[131:132], v[115:116], v[97:98]
	v_mul_f64 v[97:98], v[117:118], v[97:98]
	v_add_f64 v[2:3], v[2:3], v[135:136]
	v_add_f64 v[6:7], v[6:7], v[133:134]
	v_fma_f64 v[133:134], v[85:86], v[91:92], v[137:138]
	v_fma_f64 v[135:136], v[83:84], v[91:92], -v[93:94]
	ds_load_b128 v[83:86], v1 offset:512
	scratch_load_b128 v[91:94], off, off offset:288
	v_fma_f64 v[117:118], v[117:118], v[95:96], v[131:132]
	v_fma_f64 v[115:116], v[115:116], v[95:96], -v[97:98]
	scratch_load_b128 v[95:98], off, off offset:304
	v_add_f64 v[2:3], v[2:3], v[127:128]
	v_add_f64 v[6:7], v[6:7], v[129:130]
	ds_load_b128 v[127:130], v1 offset:528
	s_waitcnt vmcnt(10) lgkmcnt(1)
	v_mul_f64 v[137:138], v[83:84], v[101:102]
	v_mul_f64 v[101:102], v[85:86], v[101:102]
	s_waitcnt vmcnt(9) lgkmcnt(0)
	v_mul_f64 v[131:132], v[127:128], v[105:106]
	v_mul_f64 v[105:106], v[129:130], v[105:106]
	v_add_f64 v[2:3], v[2:3], v[135:136]
	v_add_f64 v[6:7], v[6:7], v[133:134]
	v_fma_f64 v[133:134], v[85:86], v[99:100], v[137:138]
	v_fma_f64 v[135:136], v[83:84], v[99:100], -v[101:102]
	ds_load_b128 v[83:86], v1 offset:544
	scratch_load_b128 v[99:102], off, off offset:320
	v_fma_f64 v[129:130], v[129:130], v[103:104], v[131:132]
	v_fma_f64 v[127:128], v[127:128], v[103:104], -v[105:106]
	scratch_load_b128 v[103:106], off, off offset:336
	v_add_f64 v[2:3], v[2:3], v[115:116]
	v_add_f64 v[6:7], v[6:7], v[117:118]
	ds_load_b128 v[115:118], v1 offset:560
	s_waitcnt vmcnt(10) lgkmcnt(1)
	v_mul_f64 v[137:138], v[83:84], v[109:110]
	v_mul_f64 v[109:110], v[85:86], v[109:110]
	v_add_f64 v[2:3], v[2:3], v[135:136]
	v_add_f64 v[6:7], v[6:7], v[133:134]
	s_delay_alu instid0(VALU_DEP_4) | instskip(NEXT) | instid1(VALU_DEP_4)
	v_fma_f64 v[133:134], v[85:86], v[107:108], v[137:138]
	v_fma_f64 v[135:136], v[83:84], v[107:108], -v[109:110]
	ds_load_b128 v[83:86], v1 offset:576
	ds_load_b128 v[107:110], v1 offset:592
	s_waitcnt vmcnt(8) lgkmcnt(2)
	v_mul_f64 v[131:132], v[115:116], v[10:11]
	v_mul_f64 v[10:11], v[117:118], v[10:11]
	v_add_f64 v[2:3], v[2:3], v[127:128]
	v_add_f64 v[6:7], v[6:7], v[129:130]
	s_delay_alu instid0(VALU_DEP_4)
	v_fma_f64 v[117:118], v[117:118], v[8:9], v[131:132]
	s_waitcnt vmcnt(7) lgkmcnt(1)
	v_mul_f64 v[127:128], v[83:84], v[125:126]
	v_mul_f64 v[125:126], v[85:86], v[125:126]
	v_fma_f64 v[8:9], v[115:116], v[8:9], -v[10:11]
	s_waitcnt vmcnt(6) lgkmcnt(0)
	v_mul_f64 v[10:11], v[107:108], v[81:82]
	v_mul_f64 v[115:116], v[109:110], v[81:82]
	v_add_f64 v[2:3], v[2:3], v[135:136]
	v_add_f64 v[6:7], v[6:7], v[133:134]
	v_fma_f64 v[85:86], v[85:86], v[123:124], v[127:128]
	v_fma_f64 v[123:124], v[83:84], v[123:124], -v[125:126]
	v_fma_f64 v[10:11], v[109:110], v[79:80], v[10:11]
	v_fma_f64 v[79:80], v[107:108], v[79:80], -v[115:116]
	v_add_f64 v[2:3], v[2:3], v[8:9]
	v_add_f64 v[117:118], v[6:7], v[117:118]
	ds_load_b128 v[6:9], v1 offset:608
	ds_load_b128 v[81:84], v1 offset:624
	s_waitcnt vmcnt(4) lgkmcnt(1)
	v_mul_f64 v[125:126], v[6:7], v[113:114]
	v_mul_f64 v[113:114], v[8:9], v[113:114]
	s_waitcnt lgkmcnt(0)
	v_mul_f64 v[115:116], v[81:82], v[89:90]
	v_mul_f64 v[89:90], v[83:84], v[89:90]
	v_add_f64 v[2:3], v[2:3], v[123:124]
	v_add_f64 v[85:86], v[117:118], v[85:86]
	v_fma_f64 v[117:118], v[8:9], v[111:112], v[125:126]
	v_fma_f64 v[111:112], v[6:7], v[111:112], -v[113:114]
	ds_load_b128 v[6:9], v1 offset:640
	ds_load_b128 v[107:110], v1 offset:656
	v_fma_f64 v[83:84], v[83:84], v[87:88], v[115:116]
	v_fma_f64 v[81:82], v[81:82], v[87:88], -v[89:90]
	v_add_f64 v[2:3], v[2:3], v[79:80]
	v_add_f64 v[10:11], v[85:86], v[10:11]
	s_waitcnt vmcnt(3) lgkmcnt(1)
	v_mul_f64 v[79:80], v[6:7], v[93:94]
	v_mul_f64 v[85:86], v[8:9], v[93:94]
	s_waitcnt vmcnt(2) lgkmcnt(0)
	v_mul_f64 v[87:88], v[107:108], v[97:98]
	v_mul_f64 v[89:90], v[109:110], v[97:98]
	v_add_f64 v[2:3], v[2:3], v[111:112]
	v_add_f64 v[10:11], v[10:11], v[117:118]
	v_fma_f64 v[79:80], v[8:9], v[91:92], v[79:80]
	v_fma_f64 v[85:86], v[6:7], v[91:92], -v[85:86]
	v_fma_f64 v[87:88], v[109:110], v[95:96], v[87:88]
	v_fma_f64 v[89:90], v[107:108], v[95:96], -v[89:90]
	v_add_f64 v[81:82], v[2:3], v[81:82]
	v_add_f64 v[10:11], v[10:11], v[83:84]
	ds_load_b128 v[6:9], v1 offset:672
	ds_load_b128 v[1:4], v1 offset:688
	s_waitcnt vmcnt(1) lgkmcnt(1)
	v_mul_f64 v[83:84], v[6:7], v[101:102]
	v_mul_f64 v[91:92], v[8:9], v[101:102]
	v_add_f64 v[81:82], v[81:82], v[85:86]
	v_add_f64 v[10:11], v[10:11], v[79:80]
	s_waitcnt vmcnt(0) lgkmcnt(0)
	v_mul_f64 v[79:80], v[1:2], v[105:106]
	v_mul_f64 v[85:86], v[3:4], v[105:106]
	v_fma_f64 v[8:9], v[8:9], v[99:100], v[83:84]
	v_fma_f64 v[6:7], v[6:7], v[99:100], -v[91:92]
	v_add_f64 v[81:82], v[81:82], v[89:90]
	v_add_f64 v[10:11], v[10:11], v[87:88]
	v_fma_f64 v[3:4], v[3:4], v[103:104], v[79:80]
	v_fma_f64 v[1:2], v[1:2], v[103:104], -v[85:86]
	s_delay_alu instid0(VALU_DEP_4) | instskip(NEXT) | instid1(VALU_DEP_4)
	v_add_f64 v[6:7], v[81:82], v[6:7]
	v_add_f64 v[8:9], v[10:11], v[8:9]
	s_delay_alu instid0(VALU_DEP_2) | instskip(NEXT) | instid1(VALU_DEP_2)
	v_add_f64 v[1:2], v[6:7], v[1:2]
	v_add_f64 v[3:4], v[8:9], v[3:4]
	s_delay_alu instid0(VALU_DEP_2) | instskip(NEXT) | instid1(VALU_DEP_2)
	v_add_f64 v[1:2], v[119:120], -v[1:2]
	v_add_f64 v[3:4], v[121:122], -v[3:4]
	scratch_store_b128 off, v[1:4], off offset:48
	v_cmpx_lt_u32_e32 2, v57
	s_cbranch_execz .LBB85_141
; %bb.140:
	scratch_load_b128 v[1:4], v60, off
	v_mov_b32_e32 v6, 0
	s_delay_alu instid0(VALU_DEP_1)
	v_mov_b32_e32 v7, v6
	v_mov_b32_e32 v8, v6
	;; [unrolled: 1-line block ×3, first 2 shown]
	scratch_store_b128 off, v[6:9], off offset:32
	s_waitcnt vmcnt(0)
	ds_store_b128 v5, v[1:4]
.LBB85_141:
	s_or_b32 exec_lo, exec_lo, s2
	s_waitcnt lgkmcnt(0)
	s_waitcnt_vscnt null, 0x0
	s_barrier
	buffer_gl0_inv
	s_clause 0x7
	scratch_load_b128 v[6:9], off, off offset:48
	scratch_load_b128 v[79:82], off, off offset:64
	;; [unrolled: 1-line block ×8, first 2 shown]
	v_mov_b32_e32 v1, 0
	s_mov_b32 s2, exec_lo
	ds_load_b128 v[107:110], v1 offset:400
	s_clause 0x1
	scratch_load_b128 v[111:114], off, off offset:176
	scratch_load_b128 v[115:118], off, off offset:32
	ds_load_b128 v[119:122], v1 offset:416
	ds_load_b128 v[127:130], v1 offset:448
	s_waitcnt vmcnt(9) lgkmcnt(2)
	v_mul_f64 v[2:3], v[109:110], v[8:9]
	v_mul_f64 v[123:124], v[107:108], v[8:9]
	scratch_load_b128 v[8:11], off, off offset:192
	v_fma_f64 v[2:3], v[107:108], v[6:7], -v[2:3]
	v_fma_f64 v[6:7], v[109:110], v[6:7], v[123:124]
	scratch_load_b128 v[123:126], off, off offset:208
	ds_load_b128 v[107:110], v1 offset:432
	s_waitcnt vmcnt(10) lgkmcnt(2)
	v_mul_f64 v[131:132], v[119:120], v[81:82]
	v_mul_f64 v[81:82], v[121:122], v[81:82]
	s_waitcnt vmcnt(9) lgkmcnt(0)
	v_mul_f64 v[133:134], v[107:108], v[85:86]
	v_mul_f64 v[85:86], v[109:110], v[85:86]
	v_add_f64 v[2:3], v[2:3], 0
	v_add_f64 v[6:7], v[6:7], 0
	v_fma_f64 v[121:122], v[121:122], v[79:80], v[131:132]
	v_fma_f64 v[119:120], v[119:120], v[79:80], -v[81:82]
	scratch_load_b128 v[79:82], off, off offset:224
	v_fma_f64 v[133:134], v[109:110], v[83:84], v[133:134]
	v_fma_f64 v[135:136], v[107:108], v[83:84], -v[85:86]
	scratch_load_b128 v[107:110], off, off offset:240
	ds_load_b128 v[83:86], v1 offset:464
	s_waitcnt vmcnt(10)
	v_mul_f64 v[131:132], v[127:128], v[89:90]
	v_mul_f64 v[89:90], v[129:130], v[89:90]
	v_add_f64 v[6:7], v[6:7], v[121:122]
	v_add_f64 v[2:3], v[2:3], v[119:120]
	ds_load_b128 v[119:122], v1 offset:480
	s_waitcnt vmcnt(9) lgkmcnt(1)
	v_mul_f64 v[137:138], v[83:84], v[93:94]
	v_mul_f64 v[93:94], v[85:86], v[93:94]
	v_fma_f64 v[129:130], v[129:130], v[87:88], v[131:132]
	v_fma_f64 v[127:128], v[127:128], v[87:88], -v[89:90]
	scratch_load_b128 v[87:90], off, off offset:256
	v_add_f64 v[6:7], v[6:7], v[133:134]
	v_add_f64 v[2:3], v[2:3], v[135:136]
	v_fma_f64 v[133:134], v[85:86], v[91:92], v[137:138]
	v_fma_f64 v[135:136], v[83:84], v[91:92], -v[93:94]
	scratch_load_b128 v[91:94], off, off offset:272
	ds_load_b128 v[83:86], v1 offset:496
	s_waitcnt vmcnt(10) lgkmcnt(1)
	v_mul_f64 v[131:132], v[119:120], v[97:98]
	v_mul_f64 v[97:98], v[121:122], v[97:98]
	s_waitcnt vmcnt(9) lgkmcnt(0)
	v_mul_f64 v[137:138], v[83:84], v[101:102]
	v_mul_f64 v[101:102], v[85:86], v[101:102]
	v_add_f64 v[6:7], v[6:7], v[129:130]
	v_add_f64 v[2:3], v[2:3], v[127:128]
	ds_load_b128 v[127:130], v1 offset:512
	v_fma_f64 v[121:122], v[121:122], v[95:96], v[131:132]
	v_fma_f64 v[119:120], v[119:120], v[95:96], -v[97:98]
	scratch_load_b128 v[95:98], off, off offset:288
	v_add_f64 v[6:7], v[6:7], v[133:134]
	v_add_f64 v[2:3], v[2:3], v[135:136]
	v_fma_f64 v[133:134], v[85:86], v[99:100], v[137:138]
	v_fma_f64 v[135:136], v[83:84], v[99:100], -v[101:102]
	scratch_load_b128 v[99:102], off, off offset:304
	ds_load_b128 v[83:86], v1 offset:528
	s_waitcnt vmcnt(10) lgkmcnt(1)
	v_mul_f64 v[131:132], v[127:128], v[105:106]
	v_mul_f64 v[105:106], v[129:130], v[105:106]
	s_waitcnt vmcnt(9) lgkmcnt(0)
	v_mul_f64 v[137:138], v[83:84], v[113:114]
	v_mul_f64 v[113:114], v[85:86], v[113:114]
	v_add_f64 v[6:7], v[6:7], v[121:122]
	v_add_f64 v[2:3], v[2:3], v[119:120]
	ds_load_b128 v[119:122], v1 offset:544
	v_fma_f64 v[129:130], v[129:130], v[103:104], v[131:132]
	v_fma_f64 v[127:128], v[127:128], v[103:104], -v[105:106]
	scratch_load_b128 v[103:106], off, off offset:320
	v_add_f64 v[6:7], v[6:7], v[133:134]
	v_add_f64 v[2:3], v[2:3], v[135:136]
	v_fma_f64 v[133:134], v[85:86], v[111:112], v[137:138]
	v_fma_f64 v[135:136], v[83:84], v[111:112], -v[113:114]
	scratch_load_b128 v[111:114], off, off offset:336
	ds_load_b128 v[83:86], v1 offset:560
	s_waitcnt vmcnt(9) lgkmcnt(1)
	v_mul_f64 v[131:132], v[119:120], v[10:11]
	v_mul_f64 v[10:11], v[121:122], v[10:11]
	v_add_f64 v[6:7], v[6:7], v[129:130]
	v_add_f64 v[2:3], v[2:3], v[127:128]
	ds_load_b128 v[127:130], v1 offset:576
	s_waitcnt vmcnt(8) lgkmcnt(1)
	v_mul_f64 v[137:138], v[83:84], v[125:126]
	v_mul_f64 v[125:126], v[85:86], v[125:126]
	v_fma_f64 v[121:122], v[121:122], v[8:9], v[131:132]
	v_fma_f64 v[8:9], v[119:120], v[8:9], -v[10:11]
	v_add_f64 v[6:7], v[6:7], v[133:134]
	v_add_f64 v[2:3], v[2:3], v[135:136]
	v_fma_f64 v[85:86], v[85:86], v[123:124], v[137:138]
	v_fma_f64 v[123:124], v[83:84], v[123:124], -v[125:126]
	s_waitcnt vmcnt(7) lgkmcnt(0)
	v_mul_f64 v[10:11], v[127:128], v[81:82]
	v_mul_f64 v[119:120], v[129:130], v[81:82]
	v_add_f64 v[121:122], v[6:7], v[121:122]
	v_add_f64 v[2:3], v[2:3], v[8:9]
	ds_load_b128 v[6:9], v1 offset:592
	ds_load_b128 v[81:84], v1 offset:608
	v_fma_f64 v[10:11], v[129:130], v[79:80], v[10:11]
	v_fma_f64 v[79:80], v[127:128], v[79:80], -v[119:120]
	s_waitcnt vmcnt(6) lgkmcnt(1)
	v_mul_f64 v[125:126], v[6:7], v[109:110]
	v_mul_f64 v[109:110], v[8:9], v[109:110]
	v_add_f64 v[85:86], v[121:122], v[85:86]
	v_add_f64 v[2:3], v[2:3], v[123:124]
	s_waitcnt vmcnt(5) lgkmcnt(0)
	v_mul_f64 v[119:120], v[81:82], v[89:90]
	v_mul_f64 v[89:90], v[83:84], v[89:90]
	v_fma_f64 v[121:122], v[8:9], v[107:108], v[125:126]
	v_fma_f64 v[123:124], v[6:7], v[107:108], -v[109:110]
	ds_load_b128 v[6:9], v1 offset:624
	ds_load_b128 v[107:110], v1 offset:640
	v_add_f64 v[10:11], v[85:86], v[10:11]
	v_add_f64 v[2:3], v[2:3], v[79:80]
	v_fma_f64 v[83:84], v[83:84], v[87:88], v[119:120]
	s_waitcnt vmcnt(4) lgkmcnt(1)
	v_mul_f64 v[79:80], v[6:7], v[93:94]
	v_mul_f64 v[85:86], v[8:9], v[93:94]
	v_fma_f64 v[81:82], v[81:82], v[87:88], -v[89:90]
	s_waitcnt vmcnt(3) lgkmcnt(0)
	v_mul_f64 v[87:88], v[107:108], v[97:98]
	v_mul_f64 v[89:90], v[109:110], v[97:98]
	v_add_f64 v[10:11], v[10:11], v[121:122]
	v_add_f64 v[2:3], v[2:3], v[123:124]
	v_fma_f64 v[93:94], v[8:9], v[91:92], v[79:80]
	v_fma_f64 v[85:86], v[6:7], v[91:92], -v[85:86]
	v_fma_f64 v[87:88], v[109:110], v[95:96], v[87:88]
	v_fma_f64 v[89:90], v[107:108], v[95:96], -v[89:90]
	v_add_f64 v[10:11], v[10:11], v[83:84]
	v_add_f64 v[2:3], v[2:3], v[81:82]
	ds_load_b128 v[6:9], v1 offset:656
	ds_load_b128 v[79:82], v1 offset:672
	s_waitcnt vmcnt(2) lgkmcnt(1)
	v_mul_f64 v[83:84], v[6:7], v[101:102]
	v_mul_f64 v[91:92], v[8:9], v[101:102]
	v_add_f64 v[10:11], v[10:11], v[93:94]
	v_add_f64 v[2:3], v[2:3], v[85:86]
	s_waitcnt vmcnt(1) lgkmcnt(0)
	v_mul_f64 v[85:86], v[79:80], v[105:106]
	v_mul_f64 v[93:94], v[81:82], v[105:106]
	v_fma_f64 v[83:84], v[8:9], v[99:100], v[83:84]
	v_fma_f64 v[91:92], v[6:7], v[99:100], -v[91:92]
	ds_load_b128 v[6:9], v1 offset:688
	v_add_f64 v[10:11], v[10:11], v[87:88]
	v_add_f64 v[2:3], v[2:3], v[89:90]
	v_fma_f64 v[81:82], v[81:82], v[103:104], v[85:86]
	v_fma_f64 v[79:80], v[79:80], v[103:104], -v[93:94]
	s_waitcnt vmcnt(0) lgkmcnt(0)
	v_mul_f64 v[87:88], v[6:7], v[113:114]
	v_mul_f64 v[89:90], v[8:9], v[113:114]
	v_add_f64 v[10:11], v[10:11], v[83:84]
	v_add_f64 v[2:3], v[2:3], v[91:92]
	s_delay_alu instid0(VALU_DEP_4) | instskip(NEXT) | instid1(VALU_DEP_4)
	v_fma_f64 v[8:9], v[8:9], v[111:112], v[87:88]
	v_fma_f64 v[6:7], v[6:7], v[111:112], -v[89:90]
	s_delay_alu instid0(VALU_DEP_4) | instskip(NEXT) | instid1(VALU_DEP_4)
	v_add_f64 v[10:11], v[10:11], v[81:82]
	v_add_f64 v[2:3], v[2:3], v[79:80]
	s_delay_alu instid0(VALU_DEP_2) | instskip(NEXT) | instid1(VALU_DEP_2)
	v_add_f64 v[8:9], v[10:11], v[8:9]
	v_add_f64 v[2:3], v[2:3], v[6:7]
	s_delay_alu instid0(VALU_DEP_2) | instskip(NEXT) | instid1(VALU_DEP_2)
	v_add_f64 v[8:9], v[117:118], -v[8:9]
	v_add_f64 v[6:7], v[115:116], -v[2:3]
	scratch_store_b128 off, v[6:9], off offset:32
	v_cmpx_lt_u32_e32 1, v57
	s_cbranch_execz .LBB85_143
; %bb.142:
	scratch_load_b128 v[6:9], v65, off
	v_mov_b32_e32 v2, v1
	v_mov_b32_e32 v3, v1
	;; [unrolled: 1-line block ×3, first 2 shown]
	scratch_store_b128 off, v[1:4], off offset:16
	s_waitcnt vmcnt(0)
	ds_store_b128 v5, v[6:9]
.LBB85_143:
	s_or_b32 exec_lo, exec_lo, s2
	s_waitcnt lgkmcnt(0)
	s_waitcnt_vscnt null, 0x0
	s_barrier
	buffer_gl0_inv
	s_clause 0x8
	scratch_load_b128 v[6:9], off, off offset:32
	scratch_load_b128 v[79:82], off, off offset:48
	scratch_load_b128 v[83:86], off, off offset:64
	scratch_load_b128 v[87:90], off, off offset:80
	scratch_load_b128 v[91:94], off, off offset:96
	scratch_load_b128 v[95:98], off, off offset:112
	scratch_load_b128 v[99:102], off, off offset:128
	scratch_load_b128 v[103:106], off, off offset:144
	scratch_load_b128 v[107:110], off, off offset:160
	ds_load_b128 v[111:114], v1 offset:384
	ds_load_b128 v[115:118], v1 offset:400
	scratch_load_b128 v[119:122], off, off offset:16
	s_mov_b32 s2, exec_lo
	ds_load_b128 v[127:130], v1 offset:432
	s_waitcnt vmcnt(9) lgkmcnt(2)
	v_mul_f64 v[2:3], v[113:114], v[8:9]
	v_mul_f64 v[123:124], v[111:112], v[8:9]
	scratch_load_b128 v[8:11], off, off offset:176
	s_waitcnt vmcnt(9) lgkmcnt(1)
	v_mul_f64 v[131:132], v[115:116], v[81:82]
	v_mul_f64 v[81:82], v[117:118], v[81:82]
	v_fma_f64 v[2:3], v[111:112], v[6:7], -v[2:3]
	v_fma_f64 v[6:7], v[113:114], v[6:7], v[123:124]
	ds_load_b128 v[111:114], v1 offset:416
	scratch_load_b128 v[123:126], off, off offset:192
	v_fma_f64 v[117:118], v[117:118], v[79:80], v[131:132]
	v_fma_f64 v[115:116], v[115:116], v[79:80], -v[81:82]
	scratch_load_b128 v[79:82], off, off offset:208
	s_waitcnt vmcnt(9) lgkmcnt(1)
	v_mul_f64 v[131:132], v[127:128], v[89:90]
	v_mul_f64 v[89:90], v[129:130], v[89:90]
	s_waitcnt lgkmcnt(0)
	v_mul_f64 v[133:134], v[111:112], v[85:86]
	v_mul_f64 v[85:86], v[113:114], v[85:86]
	v_add_f64 v[2:3], v[2:3], 0
	v_add_f64 v[6:7], v[6:7], 0
	v_fma_f64 v[129:130], v[129:130], v[87:88], v[131:132]
	v_fma_f64 v[127:128], v[127:128], v[87:88], -v[89:90]
	scratch_load_b128 v[87:90], off, off offset:240
	v_fma_f64 v[133:134], v[113:114], v[83:84], v[133:134]
	v_fma_f64 v[135:136], v[111:112], v[83:84], -v[85:86]
	ds_load_b128 v[83:86], v1 offset:448
	scratch_load_b128 v[111:114], off, off offset:224
	v_add_f64 v[2:3], v[2:3], v[115:116]
	v_add_f64 v[6:7], v[6:7], v[117:118]
	ds_load_b128 v[115:118], v1 offset:464
	s_waitcnt vmcnt(10) lgkmcnt(1)
	v_mul_f64 v[137:138], v[83:84], v[93:94]
	v_mul_f64 v[93:94], v[85:86], v[93:94]
	s_waitcnt vmcnt(9) lgkmcnt(0)
	v_mul_f64 v[131:132], v[115:116], v[97:98]
	v_mul_f64 v[97:98], v[117:118], v[97:98]
	v_add_f64 v[2:3], v[2:3], v[135:136]
	v_add_f64 v[6:7], v[6:7], v[133:134]
	v_fma_f64 v[133:134], v[85:86], v[91:92], v[137:138]
	v_fma_f64 v[135:136], v[83:84], v[91:92], -v[93:94]
	ds_load_b128 v[83:86], v1 offset:480
	scratch_load_b128 v[91:94], off, off offset:256
	v_fma_f64 v[117:118], v[117:118], v[95:96], v[131:132]
	v_fma_f64 v[115:116], v[115:116], v[95:96], -v[97:98]
	scratch_load_b128 v[95:98], off, off offset:272
	v_add_f64 v[2:3], v[2:3], v[127:128]
	v_add_f64 v[6:7], v[6:7], v[129:130]
	ds_load_b128 v[127:130], v1 offset:496
	s_waitcnt vmcnt(10) lgkmcnt(1)
	v_mul_f64 v[137:138], v[83:84], v[101:102]
	v_mul_f64 v[101:102], v[85:86], v[101:102]
	s_waitcnt vmcnt(9) lgkmcnt(0)
	v_mul_f64 v[131:132], v[127:128], v[105:106]
	v_mul_f64 v[105:106], v[129:130], v[105:106]
	v_add_f64 v[2:3], v[2:3], v[135:136]
	v_add_f64 v[6:7], v[6:7], v[133:134]
	v_fma_f64 v[133:134], v[85:86], v[99:100], v[137:138]
	v_fma_f64 v[135:136], v[83:84], v[99:100], -v[101:102]
	ds_load_b128 v[83:86], v1 offset:512
	scratch_load_b128 v[99:102], off, off offset:288
	v_fma_f64 v[129:130], v[129:130], v[103:104], v[131:132]
	v_fma_f64 v[127:128], v[127:128], v[103:104], -v[105:106]
	scratch_load_b128 v[103:106], off, off offset:304
	v_add_f64 v[2:3], v[2:3], v[115:116]
	v_add_f64 v[6:7], v[6:7], v[117:118]
	ds_load_b128 v[115:118], v1 offset:528
	s_waitcnt vmcnt(10) lgkmcnt(1)
	v_mul_f64 v[137:138], v[83:84], v[109:110]
	v_mul_f64 v[109:110], v[85:86], v[109:110]
	v_add_f64 v[2:3], v[2:3], v[135:136]
	v_add_f64 v[6:7], v[6:7], v[133:134]
	s_delay_alu instid0(VALU_DEP_4) | instskip(NEXT) | instid1(VALU_DEP_4)
	v_fma_f64 v[133:134], v[85:86], v[107:108], v[137:138]
	v_fma_f64 v[135:136], v[83:84], v[107:108], -v[109:110]
	ds_load_b128 v[83:86], v1 offset:544
	scratch_load_b128 v[107:110], off, off offset:320
	s_waitcnt vmcnt(9) lgkmcnt(1)
	v_mul_f64 v[131:132], v[115:116], v[10:11]
	v_mul_f64 v[10:11], v[117:118], v[10:11]
	v_add_f64 v[2:3], v[2:3], v[127:128]
	v_add_f64 v[6:7], v[6:7], v[129:130]
	ds_load_b128 v[127:130], v1 offset:560
	v_fma_f64 v[117:118], v[117:118], v[8:9], v[131:132]
	s_waitcnt vmcnt(8) lgkmcnt(1)
	v_mul_f64 v[137:138], v[83:84], v[125:126]
	v_mul_f64 v[125:126], v[85:86], v[125:126]
	v_fma_f64 v[10:11], v[115:116], v[8:9], -v[10:11]
	s_waitcnt vmcnt(7) lgkmcnt(0)
	v_mul_f64 v[131:132], v[127:128], v[81:82]
	v_add_f64 v[2:3], v[2:3], v[135:136]
	v_add_f64 v[115:116], v[6:7], v[133:134]
	scratch_load_b128 v[6:9], off, off offset:336
	v_mul_f64 v[133:134], v[129:130], v[81:82]
	v_fma_f64 v[85:86], v[85:86], v[123:124], v[137:138]
	v_fma_f64 v[123:124], v[83:84], v[123:124], -v[125:126]
	v_fma_f64 v[129:130], v[129:130], v[79:80], v[131:132]
	v_add_f64 v[2:3], v[2:3], v[10:11]
	v_add_f64 v[10:11], v[115:116], v[117:118]
	ds_load_b128 v[81:84], v1 offset:576
	ds_load_b128 v[115:118], v1 offset:592
	v_fma_f64 v[79:80], v[127:128], v[79:80], -v[133:134]
	s_waitcnt vmcnt(6) lgkmcnt(1)
	v_mul_f64 v[125:126], v[81:82], v[113:114]
	v_mul_f64 v[113:114], v[83:84], v[113:114]
	v_add_f64 v[2:3], v[2:3], v[123:124]
	v_add_f64 v[10:11], v[10:11], v[85:86]
	s_waitcnt lgkmcnt(0)
	v_mul_f64 v[123:124], v[115:116], v[89:90]
	v_mul_f64 v[89:90], v[117:118], v[89:90]
	v_fma_f64 v[125:126], v[83:84], v[111:112], v[125:126]
	v_fma_f64 v[111:112], v[81:82], v[111:112], -v[113:114]
	v_add_f64 v[2:3], v[2:3], v[79:80]
	v_add_f64 v[10:11], v[10:11], v[129:130]
	ds_load_b128 v[79:82], v1 offset:608
	ds_load_b128 v[83:86], v1 offset:624
	v_fma_f64 v[117:118], v[117:118], v[87:88], v[123:124]
	v_fma_f64 v[87:88], v[115:116], v[87:88], -v[89:90]
	s_waitcnt vmcnt(5) lgkmcnt(1)
	v_mul_f64 v[113:114], v[79:80], v[93:94]
	v_mul_f64 v[93:94], v[81:82], v[93:94]
	v_add_f64 v[2:3], v[2:3], v[111:112]
	v_add_f64 v[10:11], v[10:11], v[125:126]
	s_waitcnt vmcnt(4) lgkmcnt(0)
	v_mul_f64 v[111:112], v[83:84], v[97:98]
	v_mul_f64 v[97:98], v[85:86], v[97:98]
	v_fma_f64 v[113:114], v[81:82], v[91:92], v[113:114]
	v_fma_f64 v[91:92], v[79:80], v[91:92], -v[93:94]
	v_add_f64 v[2:3], v[2:3], v[87:88]
	v_add_f64 v[10:11], v[10:11], v[117:118]
	ds_load_b128 v[79:82], v1 offset:640
	ds_load_b128 v[87:90], v1 offset:656
	v_fma_f64 v[85:86], v[85:86], v[95:96], v[111:112]
	v_fma_f64 v[83:84], v[83:84], v[95:96], -v[97:98]
	s_waitcnt vmcnt(3) lgkmcnt(1)
	v_mul_f64 v[93:94], v[79:80], v[101:102]
	v_mul_f64 v[101:102], v[81:82], v[101:102]
	s_waitcnt vmcnt(2) lgkmcnt(0)
	v_mul_f64 v[95:96], v[89:90], v[105:106]
	v_add_f64 v[2:3], v[2:3], v[91:92]
	v_add_f64 v[10:11], v[10:11], v[113:114]
	v_mul_f64 v[91:92], v[87:88], v[105:106]
	v_fma_f64 v[93:94], v[81:82], v[99:100], v[93:94]
	v_fma_f64 v[97:98], v[79:80], v[99:100], -v[101:102]
	v_fma_f64 v[87:88], v[87:88], v[103:104], -v[95:96]
	v_add_f64 v[83:84], v[2:3], v[83:84]
	v_add_f64 v[10:11], v[10:11], v[85:86]
	ds_load_b128 v[79:82], v1 offset:672
	ds_load_b128 v[1:4], v1 offset:688
	v_fma_f64 v[89:90], v[89:90], v[103:104], v[91:92]
	s_waitcnt vmcnt(1) lgkmcnt(1)
	v_mul_f64 v[85:86], v[79:80], v[109:110]
	v_mul_f64 v[99:100], v[81:82], v[109:110]
	v_add_f64 v[83:84], v[83:84], v[97:98]
	v_add_f64 v[10:11], v[10:11], v[93:94]
	s_waitcnt vmcnt(0) lgkmcnt(0)
	v_mul_f64 v[91:92], v[1:2], v[8:9]
	v_mul_f64 v[8:9], v[3:4], v[8:9]
	v_fma_f64 v[81:82], v[81:82], v[107:108], v[85:86]
	v_fma_f64 v[79:80], v[79:80], v[107:108], -v[99:100]
	v_add_f64 v[83:84], v[83:84], v[87:88]
	v_add_f64 v[10:11], v[10:11], v[89:90]
	v_fma_f64 v[3:4], v[3:4], v[6:7], v[91:92]
	v_fma_f64 v[1:2], v[1:2], v[6:7], -v[8:9]
	s_delay_alu instid0(VALU_DEP_4) | instskip(NEXT) | instid1(VALU_DEP_4)
	v_add_f64 v[6:7], v[83:84], v[79:80]
	v_add_f64 v[8:9], v[10:11], v[81:82]
	s_delay_alu instid0(VALU_DEP_2) | instskip(NEXT) | instid1(VALU_DEP_2)
	v_add_f64 v[1:2], v[6:7], v[1:2]
	v_add_f64 v[3:4], v[8:9], v[3:4]
	s_delay_alu instid0(VALU_DEP_2) | instskip(NEXT) | instid1(VALU_DEP_2)
	v_add_f64 v[1:2], v[119:120], -v[1:2]
	v_add_f64 v[3:4], v[121:122], -v[3:4]
	scratch_store_b128 off, v[1:4], off offset:16
	v_cmpx_ne_u32_e32 0, v57
	s_cbranch_execz .LBB85_145
; %bb.144:
	scratch_load_b128 v[1:4], off, off
	v_mov_b32_e32 v6, 0
	s_delay_alu instid0(VALU_DEP_1)
	v_mov_b32_e32 v7, v6
	v_mov_b32_e32 v8, v6
	;; [unrolled: 1-line block ×3, first 2 shown]
	scratch_store_b128 off, v[6:9], off
	s_waitcnt vmcnt(0)
	ds_store_b128 v5, v[1:4]
.LBB85_145:
	s_or_b32 exec_lo, exec_lo, s2
	s_waitcnt lgkmcnt(0)
	s_waitcnt_vscnt null, 0x0
	s_barrier
	buffer_gl0_inv
	s_clause 0x7
	scratch_load_b128 v[1:4], off, off offset:16
	scratch_load_b128 v[5:8], off, off offset:32
	;; [unrolled: 1-line block ×8, first 2 shown]
	v_mov_b32_e32 v135, 0
	s_and_b32 vcc_lo, exec_lo, s14
	ds_load_b128 v[99:102], v135 offset:368
	s_clause 0x1
	scratch_load_b128 v[103:106], off, off offset:144
	scratch_load_b128 v[107:110], off, off
	ds_load_b128 v[111:114], v135 offset:384
	scratch_load_b128 v[115:118], off, off offset:160
	s_waitcnt vmcnt(10) lgkmcnt(1)
	v_mul_f64 v[119:120], v[101:102], v[3:4]
	v_mul_f64 v[3:4], v[99:100], v[3:4]
	s_delay_alu instid0(VALU_DEP_2) | instskip(NEXT) | instid1(VALU_DEP_2)
	v_fma_f64 v[125:126], v[99:100], v[1:2], -v[119:120]
	v_fma_f64 v[127:128], v[101:102], v[1:2], v[3:4]
	scratch_load_b128 v[99:102], off, off offset:176
	ds_load_b128 v[1:4], v135 offset:400
	s_waitcnt vmcnt(10) lgkmcnt(1)
	v_mul_f64 v[123:124], v[111:112], v[7:8]
	v_mul_f64 v[7:8], v[113:114], v[7:8]
	ds_load_b128 v[119:122], v135 offset:416
	s_waitcnt vmcnt(9) lgkmcnt(1)
	v_mul_f64 v[129:130], v[1:2], v[11:12]
	v_mul_f64 v[11:12], v[3:4], v[11:12]
	v_fma_f64 v[113:114], v[113:114], v[5:6], v[123:124]
	v_fma_f64 v[111:112], v[111:112], v[5:6], -v[7:8]
	v_add_f64 v[123:124], v[125:126], 0
	v_add_f64 v[125:126], v[127:128], 0
	scratch_load_b128 v[5:8], off, off offset:192
	v_fma_f64 v[129:130], v[3:4], v[9:10], v[129:130]
	v_fma_f64 v[131:132], v[1:2], v[9:10], -v[11:12]
	scratch_load_b128 v[9:12], off, off offset:208
	ds_load_b128 v[1:4], v135 offset:432
	s_waitcnt vmcnt(10) lgkmcnt(1)
	v_mul_f64 v[127:128], v[119:120], v[81:82]
	v_mul_f64 v[81:82], v[121:122], v[81:82]
	v_add_f64 v[123:124], v[123:124], v[111:112]
	v_add_f64 v[125:126], v[125:126], v[113:114]
	s_waitcnt vmcnt(9) lgkmcnt(0)
	v_mul_f64 v[133:134], v[1:2], v[85:86]
	v_mul_f64 v[85:86], v[3:4], v[85:86]
	ds_load_b128 v[111:114], v135 offset:448
	v_fma_f64 v[121:122], v[121:122], v[79:80], v[127:128]
	v_fma_f64 v[119:120], v[119:120], v[79:80], -v[81:82]
	scratch_load_b128 v[79:82], off, off offset:224
	v_add_f64 v[123:124], v[123:124], v[131:132]
	v_add_f64 v[125:126], v[125:126], v[129:130]
	v_fma_f64 v[129:130], v[3:4], v[83:84], v[133:134]
	v_fma_f64 v[131:132], v[1:2], v[83:84], -v[85:86]
	scratch_load_b128 v[83:86], off, off offset:240
	ds_load_b128 v[1:4], v135 offset:464
	s_waitcnt vmcnt(10) lgkmcnt(1)
	v_mul_f64 v[127:128], v[111:112], v[89:90]
	v_mul_f64 v[89:90], v[113:114], v[89:90]
	s_waitcnt vmcnt(9) lgkmcnt(0)
	v_mul_f64 v[133:134], v[1:2], v[93:94]
	v_mul_f64 v[93:94], v[3:4], v[93:94]
	v_add_f64 v[123:124], v[123:124], v[119:120]
	v_add_f64 v[125:126], v[125:126], v[121:122]
	ds_load_b128 v[119:122], v135 offset:480
	v_fma_f64 v[113:114], v[113:114], v[87:88], v[127:128]
	v_fma_f64 v[111:112], v[111:112], v[87:88], -v[89:90]
	scratch_load_b128 v[87:90], off, off offset:256
	v_add_f64 v[123:124], v[123:124], v[131:132]
	v_add_f64 v[125:126], v[125:126], v[129:130]
	v_fma_f64 v[129:130], v[3:4], v[91:92], v[133:134]
	v_fma_f64 v[131:132], v[1:2], v[91:92], -v[93:94]
	scratch_load_b128 v[91:94], off, off offset:272
	ds_load_b128 v[1:4], v135 offset:496
	s_waitcnt vmcnt(10) lgkmcnt(1)
	v_mul_f64 v[127:128], v[119:120], v[97:98]
	v_mul_f64 v[97:98], v[121:122], v[97:98]
	s_waitcnt vmcnt(9) lgkmcnt(0)
	v_mul_f64 v[133:134], v[1:2], v[105:106]
	v_mul_f64 v[105:106], v[3:4], v[105:106]
	v_add_f64 v[123:124], v[123:124], v[111:112]
	v_add_f64 v[125:126], v[125:126], v[113:114]
	ds_load_b128 v[111:114], v135 offset:512
	v_fma_f64 v[121:122], v[121:122], v[95:96], v[127:128]
	v_fma_f64 v[119:120], v[119:120], v[95:96], -v[97:98]
	scratch_load_b128 v[95:98], off, off offset:288
	v_add_f64 v[123:124], v[123:124], v[131:132]
	v_add_f64 v[125:126], v[125:126], v[129:130]
	v_fma_f64 v[131:132], v[3:4], v[103:104], v[133:134]
	v_fma_f64 v[133:134], v[1:2], v[103:104], -v[105:106]
	scratch_load_b128 v[103:106], off, off offset:304
	ds_load_b128 v[1:4], v135 offset:528
	s_waitcnt vmcnt(9) lgkmcnt(1)
	v_mul_f64 v[127:128], v[111:112], v[117:118]
	v_mul_f64 v[129:130], v[113:114], v[117:118]
	v_add_f64 v[123:124], v[123:124], v[119:120]
	v_add_f64 v[121:122], v[125:126], v[121:122]
	ds_load_b128 v[117:120], v135 offset:544
	v_fma_f64 v[127:128], v[113:114], v[115:116], v[127:128]
	v_fma_f64 v[115:116], v[111:112], v[115:116], -v[129:130]
	scratch_load_b128 v[111:114], off, off offset:320
	s_waitcnt vmcnt(9) lgkmcnt(1)
	v_mul_f64 v[125:126], v[1:2], v[101:102]
	v_mul_f64 v[101:102], v[3:4], v[101:102]
	v_add_f64 v[123:124], v[123:124], v[133:134]
	v_add_f64 v[121:122], v[121:122], v[131:132]
	s_delay_alu instid0(VALU_DEP_4) | instskip(NEXT) | instid1(VALU_DEP_4)
	v_fma_f64 v[125:126], v[3:4], v[99:100], v[125:126]
	v_fma_f64 v[131:132], v[1:2], v[99:100], -v[101:102]
	scratch_load_b128 v[99:102], off, off offset:336
	ds_load_b128 v[1:4], v135 offset:560
	s_waitcnt vmcnt(9) lgkmcnt(1)
	v_mul_f64 v[129:130], v[117:118], v[7:8]
	v_mul_f64 v[7:8], v[119:120], v[7:8]
	s_waitcnt vmcnt(8) lgkmcnt(0)
	v_mul_f64 v[133:134], v[1:2], v[11:12]
	v_mul_f64 v[11:12], v[3:4], v[11:12]
	v_add_f64 v[115:116], v[123:124], v[115:116]
	v_add_f64 v[127:128], v[121:122], v[127:128]
	ds_load_b128 v[121:124], v135 offset:576
	v_fma_f64 v[119:120], v[119:120], v[5:6], v[129:130]
	v_fma_f64 v[5:6], v[117:118], v[5:6], -v[7:8]
	v_add_f64 v[7:8], v[115:116], v[131:132]
	v_add_f64 v[115:116], v[127:128], v[125:126]
	s_waitcnt vmcnt(7) lgkmcnt(0)
	v_mul_f64 v[117:118], v[121:122], v[81:82]
	v_mul_f64 v[81:82], v[123:124], v[81:82]
	v_fma_f64 v[125:126], v[3:4], v[9:10], v[133:134]
	v_fma_f64 v[9:10], v[1:2], v[9:10], -v[11:12]
	v_add_f64 v[11:12], v[7:8], v[5:6]
	v_add_f64 v[115:116], v[115:116], v[119:120]
	ds_load_b128 v[1:4], v135 offset:592
	ds_load_b128 v[5:8], v135 offset:608
	v_fma_f64 v[117:118], v[123:124], v[79:80], v[117:118]
	v_fma_f64 v[79:80], v[121:122], v[79:80], -v[81:82]
	s_waitcnt vmcnt(6) lgkmcnt(1)
	v_mul_f64 v[119:120], v[1:2], v[85:86]
	v_mul_f64 v[85:86], v[3:4], v[85:86]
	s_waitcnt vmcnt(5) lgkmcnt(0)
	v_mul_f64 v[81:82], v[5:6], v[89:90]
	v_mul_f64 v[89:90], v[7:8], v[89:90]
	v_add_f64 v[9:10], v[11:12], v[9:10]
	v_add_f64 v[11:12], v[115:116], v[125:126]
	v_fma_f64 v[115:116], v[3:4], v[83:84], v[119:120]
	v_fma_f64 v[83:84], v[1:2], v[83:84], -v[85:86]
	v_fma_f64 v[7:8], v[7:8], v[87:88], v[81:82]
	v_fma_f64 v[5:6], v[5:6], v[87:88], -v[89:90]
	v_add_f64 v[79:80], v[9:10], v[79:80]
	v_add_f64 v[85:86], v[11:12], v[117:118]
	ds_load_b128 v[1:4], v135 offset:624
	ds_load_b128 v[9:12], v135 offset:640
	s_waitcnt vmcnt(4) lgkmcnt(1)
	v_mul_f64 v[117:118], v[1:2], v[93:94]
	v_mul_f64 v[93:94], v[3:4], v[93:94]
	v_add_f64 v[79:80], v[79:80], v[83:84]
	v_add_f64 v[81:82], v[85:86], v[115:116]
	s_waitcnt vmcnt(3) lgkmcnt(0)
	v_mul_f64 v[83:84], v[9:10], v[97:98]
	v_mul_f64 v[85:86], v[11:12], v[97:98]
	v_fma_f64 v[87:88], v[3:4], v[91:92], v[117:118]
	v_fma_f64 v[89:90], v[1:2], v[91:92], -v[93:94]
	v_add_f64 v[79:80], v[79:80], v[5:6]
	v_add_f64 v[81:82], v[81:82], v[7:8]
	ds_load_b128 v[1:4], v135 offset:656
	ds_load_b128 v[5:8], v135 offset:672
	v_fma_f64 v[11:12], v[11:12], v[95:96], v[83:84]
	v_fma_f64 v[9:10], v[9:10], v[95:96], -v[85:86]
	s_waitcnt vmcnt(2) lgkmcnt(1)
	v_mul_f64 v[91:92], v[1:2], v[105:106]
	v_mul_f64 v[93:94], v[3:4], v[105:106]
	s_waitcnt vmcnt(1) lgkmcnt(0)
	v_mul_f64 v[83:84], v[5:6], v[113:114]
	v_mul_f64 v[85:86], v[7:8], v[113:114]
	v_add_f64 v[79:80], v[79:80], v[89:90]
	v_add_f64 v[81:82], v[81:82], v[87:88]
	v_fma_f64 v[87:88], v[3:4], v[103:104], v[91:92]
	v_fma_f64 v[89:90], v[1:2], v[103:104], -v[93:94]
	ds_load_b128 v[1:4], v135 offset:688
	v_fma_f64 v[7:8], v[7:8], v[111:112], v[83:84]
	v_fma_f64 v[5:6], v[5:6], v[111:112], -v[85:86]
	v_add_f64 v[9:10], v[79:80], v[9:10]
	v_add_f64 v[11:12], v[81:82], v[11:12]
	s_waitcnt vmcnt(0) lgkmcnt(0)
	v_mul_f64 v[79:80], v[1:2], v[101:102]
	v_mul_f64 v[81:82], v[3:4], v[101:102]
	s_delay_alu instid0(VALU_DEP_4) | instskip(NEXT) | instid1(VALU_DEP_4)
	v_add_f64 v[9:10], v[9:10], v[89:90]
	v_add_f64 v[11:12], v[11:12], v[87:88]
	s_delay_alu instid0(VALU_DEP_4) | instskip(NEXT) | instid1(VALU_DEP_4)
	v_fma_f64 v[3:4], v[3:4], v[99:100], v[79:80]
	v_fma_f64 v[1:2], v[1:2], v[99:100], -v[81:82]
	s_delay_alu instid0(VALU_DEP_4) | instskip(NEXT) | instid1(VALU_DEP_4)
	v_add_f64 v[5:6], v[9:10], v[5:6]
	v_add_f64 v[7:8], v[11:12], v[7:8]
	s_delay_alu instid0(VALU_DEP_2) | instskip(NEXT) | instid1(VALU_DEP_2)
	v_add_f64 v[1:2], v[5:6], v[1:2]
	v_add_f64 v[3:4], v[7:8], v[3:4]
	s_delay_alu instid0(VALU_DEP_2) | instskip(NEXT) | instid1(VALU_DEP_2)
	v_add_f64 v[1:2], v[107:108], -v[1:2]
	v_add_f64 v[3:4], v[109:110], -v[3:4]
	scratch_store_b128 off, v[1:4], off
	s_cbranch_vccz .LBB85_189
; %bb.146:
	v_dual_mov_b32 v1, s8 :: v_dual_mov_b32 v2, s9
	s_load_b64 s[0:1], s[0:1], 0x4
	flat_load_b32 v1, v[1:2] offset:80
	v_bfe_u32 v2, v0, 10, 10
	v_bfe_u32 v0, v0, 20, 10
	s_waitcnt lgkmcnt(0)
	s_lshr_b32 s0, s0, 16
	s_delay_alu instid0(VALU_DEP_2) | instskip(SKIP_1) | instid1(SALU_CYCLE_1)
	v_mul_u32_u24_e32 v2, s1, v2
	s_mul_i32 s0, s0, s1
	v_mul_u32_u24_e32 v3, s0, v57
	s_mov_b32 s0, exec_lo
	s_delay_alu instid0(VALU_DEP_1) | instskip(NEXT) | instid1(VALU_DEP_1)
	v_add3_u32 v0, v3, v2, v0
	v_lshl_add_u32 v0, v0, 4, 0x2c8
	s_waitcnt vmcnt(0)
	v_cmpx_ne_u32_e32 21, v1
	s_cbranch_execz .LBB85_148
; %bb.147:
	v_lshl_add_u32 v9, v1, 4, 0
	s_clause 0x1
	scratch_load_b128 v[1:4], v78, off
	scratch_load_b128 v[5:8], v9, off offset:-16
	s_waitcnt vmcnt(1)
	ds_store_2addr_b64 v0, v[1:2], v[3:4] offset1:1
	s_waitcnt vmcnt(0)
	s_clause 0x1
	scratch_store_b128 v78, v[5:8], off
	scratch_store_b128 v9, v[1:4], off offset:-16
.LBB85_148:
	s_or_b32 exec_lo, exec_lo, s0
	v_dual_mov_b32 v1, s8 :: v_dual_mov_b32 v2, s9
	s_mov_b32 s0, exec_lo
	flat_load_b32 v1, v[1:2] offset:76
	s_waitcnt vmcnt(0) lgkmcnt(0)
	v_cmpx_ne_u32_e32 20, v1
	s_cbranch_execz .LBB85_150
; %bb.149:
	v_lshl_add_u32 v9, v1, 4, 0
	s_clause 0x1
	scratch_load_b128 v[1:4], v75, off
	scratch_load_b128 v[5:8], v9, off offset:-16
	s_waitcnt vmcnt(1)
	ds_store_2addr_b64 v0, v[1:2], v[3:4] offset1:1
	s_waitcnt vmcnt(0)
	s_clause 0x1
	scratch_store_b128 v75, v[5:8], off
	scratch_store_b128 v9, v[1:4], off offset:-16
.LBB85_150:
	s_or_b32 exec_lo, exec_lo, s0
	v_dual_mov_b32 v1, s8 :: v_dual_mov_b32 v2, s9
	s_mov_b32 s0, exec_lo
	flat_load_b32 v1, v[1:2] offset:72
	s_waitcnt vmcnt(0) lgkmcnt(0)
	;; [unrolled: 19-line block ×19, first 2 shown]
	v_cmpx_ne_u32_e32 2, v1
	s_cbranch_execz .LBB85_186
; %bb.185:
	v_lshl_add_u32 v9, v1, 4, 0
	s_clause 0x1
	scratch_load_b128 v[1:4], v65, off
	scratch_load_b128 v[5:8], v9, off offset:-16
	s_waitcnt vmcnt(1)
	ds_store_2addr_b64 v0, v[1:2], v[3:4] offset1:1
	s_waitcnt vmcnt(0)
	s_clause 0x1
	scratch_store_b128 v65, v[5:8], off
	scratch_store_b128 v9, v[1:4], off offset:-16
.LBB85_186:
	s_or_b32 exec_lo, exec_lo, s0
	v_dual_mov_b32 v1, s8 :: v_dual_mov_b32 v2, s9
	s_mov_b32 s0, exec_lo
	flat_load_b32 v1, v[1:2]
	s_waitcnt vmcnt(0) lgkmcnt(0)
	v_cmpx_ne_u32_e32 1, v1
	s_cbranch_execz .LBB85_188
; %bb.187:
	v_lshl_add_u32 v9, v1, 4, 0
	scratch_load_b128 v[1:4], off, off
	scratch_load_b128 v[5:8], v9, off offset:-16
	s_waitcnt vmcnt(1)
	ds_store_2addr_b64 v0, v[1:2], v[3:4] offset1:1
	s_waitcnt vmcnt(0)
	scratch_store_b128 off, v[5:8], off
	scratch_store_b128 v9, v[1:4], off offset:-16
.LBB85_188:
	s_or_b32 exec_lo, exec_lo, s0
.LBB85_189:
	scratch_load_b128 v[0:3], off, off
	s_clause 0x14
	scratch_load_b128 v[4:7], v65, off
	scratch_load_b128 v[8:11], v60, off
	;; [unrolled: 1-line block ×21, first 2 shown]
	s_waitcnt vmcnt(21)
	global_store_b128 v[13:14], v[0:3], off
	s_waitcnt vmcnt(20)
	global_store_b128 v[15:16], v[4:7], off
	;; [unrolled: 2-line block ×22, first 2 shown]
	s_endpgm
	.section	.rodata,"a",@progbits
	.p2align	6, 0x0
	.amdhsa_kernel _ZN9rocsolver6v33100L18getri_kernel_smallILi22E19rocblas_complex_numIdEPKPS3_EEvT1_iilPiilS8_bb
		.amdhsa_group_segment_fixed_size 1736
		.amdhsa_private_segment_fixed_size 368
		.amdhsa_kernarg_size 60
		.amdhsa_user_sgpr_count 15
		.amdhsa_user_sgpr_dispatch_ptr 1
		.amdhsa_user_sgpr_queue_ptr 0
		.amdhsa_user_sgpr_kernarg_segment_ptr 1
		.amdhsa_user_sgpr_dispatch_id 0
		.amdhsa_user_sgpr_private_segment_size 0
		.amdhsa_wavefront_size32 1
		.amdhsa_uses_dynamic_stack 0
		.amdhsa_enable_private_segment 1
		.amdhsa_system_sgpr_workgroup_id_x 1
		.amdhsa_system_sgpr_workgroup_id_y 0
		.amdhsa_system_sgpr_workgroup_id_z 0
		.amdhsa_system_sgpr_workgroup_info 0
		.amdhsa_system_vgpr_workitem_id 2
		.amdhsa_next_free_vgpr 139
		.amdhsa_next_free_sgpr 19
		.amdhsa_reserve_vcc 1
		.amdhsa_float_round_mode_32 0
		.amdhsa_float_round_mode_16_64 0
		.amdhsa_float_denorm_mode_32 3
		.amdhsa_float_denorm_mode_16_64 3
		.amdhsa_dx10_clamp 1
		.amdhsa_ieee_mode 1
		.amdhsa_fp16_overflow 0
		.amdhsa_workgroup_processor_mode 1
		.amdhsa_memory_ordered 1
		.amdhsa_forward_progress 0
		.amdhsa_shared_vgpr_count 0
		.amdhsa_exception_fp_ieee_invalid_op 0
		.amdhsa_exception_fp_denorm_src 0
		.amdhsa_exception_fp_ieee_div_zero 0
		.amdhsa_exception_fp_ieee_overflow 0
		.amdhsa_exception_fp_ieee_underflow 0
		.amdhsa_exception_fp_ieee_inexact 0
		.amdhsa_exception_int_div_zero 0
	.end_amdhsa_kernel
	.section	.text._ZN9rocsolver6v33100L18getri_kernel_smallILi22E19rocblas_complex_numIdEPKPS3_EEvT1_iilPiilS8_bb,"axG",@progbits,_ZN9rocsolver6v33100L18getri_kernel_smallILi22E19rocblas_complex_numIdEPKPS3_EEvT1_iilPiilS8_bb,comdat
.Lfunc_end85:
	.size	_ZN9rocsolver6v33100L18getri_kernel_smallILi22E19rocblas_complex_numIdEPKPS3_EEvT1_iilPiilS8_bb, .Lfunc_end85-_ZN9rocsolver6v33100L18getri_kernel_smallILi22E19rocblas_complex_numIdEPKPS3_EEvT1_iilPiilS8_bb
                                        ; -- End function
	.section	.AMDGPU.csdata,"",@progbits
; Kernel info:
; codeLenInByte = 29640
; NumSgprs: 21
; NumVgprs: 139
; ScratchSize: 368
; MemoryBound: 0
; FloatMode: 240
; IeeeMode: 1
; LDSByteSize: 1736 bytes/workgroup (compile time only)
; SGPRBlocks: 2
; VGPRBlocks: 17
; NumSGPRsForWavesPerEU: 21
; NumVGPRsForWavesPerEU: 139
; Occupancy: 10
; WaveLimiterHint : 1
; COMPUTE_PGM_RSRC2:SCRATCH_EN: 1
; COMPUTE_PGM_RSRC2:USER_SGPR: 15
; COMPUTE_PGM_RSRC2:TRAP_HANDLER: 0
; COMPUTE_PGM_RSRC2:TGID_X_EN: 1
; COMPUTE_PGM_RSRC2:TGID_Y_EN: 0
; COMPUTE_PGM_RSRC2:TGID_Z_EN: 0
; COMPUTE_PGM_RSRC2:TIDIG_COMP_CNT: 2
	.section	.text._ZN9rocsolver6v33100L18getri_kernel_smallILi23E19rocblas_complex_numIdEPKPS3_EEvT1_iilPiilS8_bb,"axG",@progbits,_ZN9rocsolver6v33100L18getri_kernel_smallILi23E19rocblas_complex_numIdEPKPS3_EEvT1_iilPiilS8_bb,comdat
	.globl	_ZN9rocsolver6v33100L18getri_kernel_smallILi23E19rocblas_complex_numIdEPKPS3_EEvT1_iilPiilS8_bb ; -- Begin function _ZN9rocsolver6v33100L18getri_kernel_smallILi23E19rocblas_complex_numIdEPKPS3_EEvT1_iilPiilS8_bb
	.p2align	8
	.type	_ZN9rocsolver6v33100L18getri_kernel_smallILi23E19rocblas_complex_numIdEPKPS3_EEvT1_iilPiilS8_bb,@function
_ZN9rocsolver6v33100L18getri_kernel_smallILi23E19rocblas_complex_numIdEPKPS3_EEvT1_iilPiilS8_bb: ; @_ZN9rocsolver6v33100L18getri_kernel_smallILi23E19rocblas_complex_numIdEPKPS3_EEvT1_iilPiilS8_bb
; %bb.0:
	v_and_b32_e32 v59, 0x3ff, v0
	s_mov_b32 s4, exec_lo
	s_delay_alu instid0(VALU_DEP_1)
	v_cmpx_gt_u32_e32 23, v59
	s_cbranch_execz .LBB86_106
; %bb.1:
	s_mov_b32 s10, s15
	s_clause 0x2
	s_load_b32 s15, s[2:3], 0x38
	s_load_b64 s[8:9], s[2:3], 0x0
	s_load_b128 s[4:7], s[2:3], 0x28
	s_waitcnt lgkmcnt(0)
	s_bitcmp1_b32 s15, 8
	s_cselect_b32 s14, -1, 0
	s_ashr_i32 s11, s10, 31
	s_delay_alu instid0(SALU_CYCLE_1) | instskip(NEXT) | instid1(SALU_CYCLE_1)
	s_lshl_b64 s[12:13], s[10:11], 3
	s_add_u32 s8, s8, s12
	s_addc_u32 s9, s9, s13
	s_load_b64 s[12:13], s[8:9], 0x0
	s_bfe_u32 s8, s15, 0x10008
	s_delay_alu instid0(SALU_CYCLE_1)
	s_cmp_eq_u32 s8, 0
                                        ; implicit-def: $sgpr8_sgpr9
	s_cbranch_scc1 .LBB86_3
; %bb.2:
	s_clause 0x1
	s_load_b32 s8, s[2:3], 0x20
	s_load_b64 s[16:17], s[2:3], 0x18
	s_mul_i32 s5, s10, s5
	s_mul_hi_u32 s9, s10, s4
	s_mul_i32 s18, s11, s4
	s_add_i32 s5, s9, s5
	s_mul_i32 s4, s10, s4
	s_add_i32 s5, s5, s18
	s_delay_alu instid0(SALU_CYCLE_1)
	s_lshl_b64 s[4:5], s[4:5], 2
	s_waitcnt lgkmcnt(0)
	s_ashr_i32 s9, s8, 31
	s_add_u32 s16, s16, s4
	s_addc_u32 s17, s17, s5
	s_lshl_b64 s[4:5], s[8:9], 2
	s_delay_alu instid0(SALU_CYCLE_1)
	s_add_u32 s8, s16, s4
	s_addc_u32 s9, s17, s5
.LBB86_3:
	s_load_b64 s[2:3], s[2:3], 0x8
	v_lshlrev_b32_e32 v82, 4, v59
	s_waitcnt lgkmcnt(0)
	v_add3_u32 v5, s3, s3, v59
	s_ashr_i32 s5, s2, 31
	s_mov_b32 s4, s2
	s_mov_b32 s16, s3
	s_lshl_b64 s[4:5], s[4:5], 4
	v_add_nc_u32_e32 v7, s3, v5
	v_ashrrev_i32_e32 v6, 31, v5
	s_add_u32 s4, s12, s4
	s_addc_u32 s5, s13, s5
	v_add_co_u32 v13, s2, s4, v82
	v_add_nc_u32_e32 v9, s3, v7
	v_ashrrev_i32_e32 v8, 31, v7
	s_ashr_i32 s17, s3, 31
	v_add_co_ci_u32_e64 v14, null, s5, 0, s2
	s_delay_alu instid0(VALU_DEP_3)
	v_add_nc_u32_e32 v21, s3, v9
	v_lshlrev_b64 v[5:6], 4, v[5:6]
	s_lshl_b64 s[12:13], s[16:17], 4
	v_ashrrev_i32_e32 v10, 31, v9
	v_add_co_u32 v15, vcc_lo, v13, s12
	v_add_nc_u32_e32 v25, s3, v21
	v_lshlrev_b64 v[19:20], 4, v[7:8]
	v_ashrrev_i32_e32 v22, 31, v21
	v_add_co_ci_u32_e32 v16, vcc_lo, s13, v14, vcc_lo
	v_add_co_u32 v17, vcc_lo, s4, v5
	v_lshlrev_b64 v[23:24], 4, v[9:10]
	v_add_nc_u32_e32 v29, s3, v25
	v_add_co_ci_u32_e32 v18, vcc_lo, s5, v6, vcc_lo
	v_add_co_u32 v19, vcc_lo, s4, v19
	v_lshlrev_b64 v[27:28], 4, v[21:22]
	v_add_co_ci_u32_e32 v20, vcc_lo, s5, v20, vcc_lo
	v_add_co_u32 v21, vcc_lo, s4, v23
	v_ashrrev_i32_e32 v30, 31, v29
	v_add_nc_u32_e32 v31, s3, v29
	v_add_co_ci_u32_e32 v22, vcc_lo, s5, v24, vcc_lo
	v_ashrrev_i32_e32 v26, 31, v25
	v_add_co_u32 v23, vcc_lo, s4, v27
	v_add_co_ci_u32_e32 v24, vcc_lo, s5, v28, vcc_lo
	v_lshlrev_b64 v[27:28], 4, v[29:30]
	v_add_nc_u32_e32 v29, s3, v31
	v_lshlrev_b64 v[25:26], 4, v[25:26]
	v_ashrrev_i32_e32 v32, 31, v31
	s_clause 0x2
	global_load_b128 v[1:4], v82, s[4:5]
	global_load_b128 v[5:8], v[15:16], off
	global_load_b128 v[9:12], v[17:18], off
	v_add_nc_u32_e32 v33, s3, v29
	v_ashrrev_i32_e32 v30, 31, v29
	v_add_co_u32 v25, vcc_lo, s4, v25
	v_lshlrev_b64 v[31:32], 4, v[31:32]
	s_delay_alu instid0(VALU_DEP_4)
	v_add_nc_u32_e32 v37, s3, v33
	v_add_co_ci_u32_e32 v26, vcc_lo, s5, v26, vcc_lo
	v_add_co_u32 v27, vcc_lo, s4, v27
	v_lshlrev_b64 v[35:36], 4, v[29:30]
	v_add_co_ci_u32_e32 v28, vcc_lo, s5, v28, vcc_lo
	v_add_co_u32 v29, vcc_lo, s4, v31
	v_ashrrev_i32_e32 v38, 31, v37
	v_add_nc_u32_e32 v39, s3, v37
	v_add_co_ci_u32_e32 v30, vcc_lo, s5, v32, vcc_lo
	v_ashrrev_i32_e32 v34, 31, v33
	v_add_co_u32 v31, vcc_lo, s4, v35
	v_add_co_ci_u32_e32 v32, vcc_lo, s5, v36, vcc_lo
	v_lshlrev_b64 v[35:36], 4, v[37:38]
	v_add_nc_u32_e32 v37, s3, v39
	v_lshlrev_b64 v[33:34], 4, v[33:34]
	v_ashrrev_i32_e32 v40, 31, v39
	s_clause 0x3
	global_load_b128 v[60:63], v[19:20], off
	global_load_b128 v[64:67], v[21:22], off
	;; [unrolled: 1-line block ×4, first 2 shown]
	v_add_nc_u32_e32 v41, s3, v37
	v_ashrrev_i32_e32 v38, 31, v37
	v_add_co_u32 v33, vcc_lo, s4, v33
	v_lshlrev_b64 v[39:40], 4, v[39:40]
	s_delay_alu instid0(VALU_DEP_4)
	v_add_nc_u32_e32 v45, s3, v41
	v_add_co_ci_u32_e32 v34, vcc_lo, s5, v34, vcc_lo
	v_add_co_u32 v35, vcc_lo, s4, v35
	v_lshlrev_b64 v[43:44], 4, v[37:38]
	v_add_co_ci_u32_e32 v36, vcc_lo, s5, v36, vcc_lo
	v_add_co_u32 v37, vcc_lo, s4, v39
	v_ashrrev_i32_e32 v46, 31, v45
	v_add_nc_u32_e32 v47, s3, v45
	v_add_co_ci_u32_e32 v38, vcc_lo, s5, v40, vcc_lo
	v_ashrrev_i32_e32 v42, 31, v41
	v_add_co_u32 v39, vcc_lo, s4, v43
	v_add_co_ci_u32_e32 v40, vcc_lo, s5, v44, vcc_lo
	v_lshlrev_b64 v[43:44], 4, v[45:46]
	v_add_nc_u32_e32 v45, s3, v47
	v_lshlrev_b64 v[41:42], 4, v[41:42]
	v_ashrrev_i32_e32 v48, 31, v47
	s_clause 0x4
	global_load_b128 v[76:79], v[27:28], off
	global_load_b128 v[83:86], v[29:30], off
	;; [unrolled: 1-line block ×5, first 2 shown]
	v_add_nc_u32_e32 v49, s3, v45
	v_ashrrev_i32_e32 v46, 31, v45
	v_add_co_u32 v41, vcc_lo, s4, v41
	v_lshlrev_b64 v[47:48], 4, v[47:48]
	s_delay_alu instid0(VALU_DEP_4)
	v_add_nc_u32_e32 v53, s3, v49
	v_add_co_ci_u32_e32 v42, vcc_lo, s5, v42, vcc_lo
	v_add_co_u32 v43, vcc_lo, s4, v43
	v_lshlrev_b64 v[51:52], 4, v[45:46]
	v_add_co_ci_u32_e32 v44, vcc_lo, s5, v44, vcc_lo
	v_add_co_u32 v45, vcc_lo, s4, v47
	v_ashrrev_i32_e32 v54, 31, v53
	v_add_nc_u32_e32 v55, s3, v53
	v_add_co_ci_u32_e32 v46, vcc_lo, s5, v48, vcc_lo
	v_ashrrev_i32_e32 v50, 31, v49
	v_add_co_u32 v47, vcc_lo, s4, v51
	v_add_co_ci_u32_e32 v48, vcc_lo, s5, v52, vcc_lo
	v_lshlrev_b64 v[51:52], 4, v[53:54]
	v_add_nc_u32_e32 v53, s3, v55
	v_lshlrev_b64 v[49:50], 4, v[49:50]
	v_ashrrev_i32_e32 v56, 31, v55
	s_clause 0x3
	global_load_b128 v[99:102], v[37:38], off
	global_load_b128 v[103:106], v[39:40], off
	;; [unrolled: 1-line block ×4, first 2 shown]
	v_add_nc_u32_e32 v57, s3, v53
	v_ashrrev_i32_e32 v54, 31, v53
	v_add_co_u32 v49, vcc_lo, s4, v49
	v_lshlrev_b64 v[55:56], 4, v[55:56]
	s_delay_alu instid0(VALU_DEP_4)
	v_ashrrev_i32_e32 v58, 31, v57
	v_add_co_ci_u32_e32 v50, vcc_lo, s5, v50, vcc_lo
	v_add_co_u32 v51, vcc_lo, s4, v51
	v_lshlrev_b64 v[80:81], 4, v[53:54]
	v_add_co_ci_u32_e32 v52, vcc_lo, s5, v52, vcc_lo
	v_add_co_u32 v53, vcc_lo, s4, v55
	v_lshlrev_b64 v[57:58], 4, v[57:58]
	v_add_co_ci_u32_e32 v54, vcc_lo, s5, v56, vcc_lo
	v_add_co_u32 v55, vcc_lo, s4, v80
	v_add_co_ci_u32_e32 v56, vcc_lo, s5, v81, vcc_lo
	s_delay_alu instid0(VALU_DEP_4)
	v_add_co_u32 v57, vcc_lo, s4, v57
	v_add_co_ci_u32_e32 v58, vcc_lo, s5, v58, vcc_lo
	s_clause 0x6
	global_load_b128 v[115:118], v[45:46], off
	global_load_b128 v[119:122], v[47:48], off
	;; [unrolled: 1-line block ×7, first 2 shown]
	s_movk_i32 s2, 0x50
	s_movk_i32 s3, 0x60
	s_bitcmp0_b32 s15, 0
	s_waitcnt vmcnt(22)
	scratch_store_b128 off, v[1:4], off
	s_waitcnt vmcnt(21)
	scratch_store_b128 off, v[5:8], off offset:16
	s_waitcnt vmcnt(20)
	scratch_store_b128 off, v[9:12], off offset:32
	;; [unrolled: 2-line block ×11, first 2 shown]
	v_add_nc_u32_e64 v68, s2, 0
	s_movk_i32 s2, 0x70
	v_add_nc_u32_e64 v63, s3, 0
	v_add_nc_u32_e64 v67, s2, 0
	s_movk_i32 s2, 0x90
	s_movk_i32 s3, 0x80
	v_add_nc_u32_e64 v71, s2, 0
	s_movk_i32 s2, 0xb0
	v_add_nc_u32_e64 v62, s3, 0
	s_movk_i32 s3, 0xa0
	v_add_nc_u32_e64 v70, s2, 0
	s_movk_i32 s2, 0xd0
	v_add_nc_u32_e64 v66, s3, 0
	s_movk_i32 s3, 0xc0
	v_add_nc_u32_e64 v74, s2, 0
	s_movk_i32 s2, 0xf0
	v_add_nc_u32_e64 v65, s3, 0
	s_movk_i32 s3, 0xe0
	v_add_nc_u32_e64 v73, s2, 0
	s_movk_i32 s2, 0x110
	v_add_nc_u32_e64 v72, s3, 0
	s_movk_i32 s3, 0x100
	v_add_nc_u32_e64 v75, s2, 0
	s_movk_i32 s2, 0x120
	v_add_nc_u32_e64 v76, s3, 0
	s_movk_i32 s3, 0x130
	v_add_nc_u32_e64 v78, s2, 0
	s_movk_i32 s2, 0x140
	v_add_nc_u32_e64 v77, s3, 0
	v_add_nc_u32_e64 v80, s2, 0
	s_movk_i32 s2, 0x150
	s_movk_i32 s3, 0x160
	v_add_nc_u32_e64 v69, 0, 16
	v_add_nc_u32_e64 v64, 0, 32
	v_add_nc_u32_e64 v61, 0, 48
	v_add_nc_u32_e64 v60, 0, 64
	v_add_nc_u32_e64 v81, s2, 0
	v_add_nc_u32_e64 v79, s3, 0
	s_mov_b32 s3, -1
	s_waitcnt vmcnt(10)
	scratch_store_b128 off, v[99:102], off offset:192
	s_waitcnt vmcnt(9)
	scratch_store_b128 off, v[103:106], off offset:208
	;; [unrolled: 2-line block ×11, first 2 shown]
	s_cbranch_scc1 .LBB86_104
; %bb.4:
	v_cmp_eq_u32_e64 s2, 0, v59
	s_delay_alu instid0(VALU_DEP_1)
	s_and_saveexec_b32 s3, s2
	s_cbranch_execz .LBB86_6
; %bb.5:
	v_mov_b32_e32 v1, 0
	ds_store_b32 v1, v1 offset:736
.LBB86_6:
	s_or_b32 exec_lo, exec_lo, s3
	s_waitcnt lgkmcnt(0)
	s_waitcnt_vscnt null, 0x0
	s_barrier
	buffer_gl0_inv
	scratch_load_b128 v[1:4], v82, off
	s_waitcnt vmcnt(0)
	v_cmp_eq_f64_e32 vcc_lo, 0, v[1:2]
	v_cmp_eq_f64_e64 s3, 0, v[3:4]
	s_delay_alu instid0(VALU_DEP_1) | instskip(NEXT) | instid1(SALU_CYCLE_1)
	s_and_b32 s3, vcc_lo, s3
	s_and_saveexec_b32 s4, s3
	s_cbranch_execz .LBB86_10
; %bb.7:
	v_mov_b32_e32 v1, 0
	s_mov_b32 s5, 0
	ds_load_b32 v2, v1 offset:736
	s_waitcnt lgkmcnt(0)
	v_readfirstlane_b32 s3, v2
	v_add_nc_u32_e32 v2, 1, v59
	s_delay_alu instid0(VALU_DEP_2) | instskip(NEXT) | instid1(VALU_DEP_1)
	s_cmp_eq_u32 s3, 0
	v_cmp_gt_i32_e32 vcc_lo, s3, v2
	s_cselect_b32 s12, -1, 0
	s_delay_alu instid0(SALU_CYCLE_1) | instskip(NEXT) | instid1(SALU_CYCLE_1)
	s_or_b32 s12, s12, vcc_lo
	s_and_b32 exec_lo, exec_lo, s12
	s_cbranch_execz .LBB86_10
; %bb.8:
	v_mov_b32_e32 v3, s3
.LBB86_9:                               ; =>This Inner Loop Header: Depth=1
	ds_cmpstore_rtn_b32 v3, v1, v2, v3 offset:736
	s_waitcnt lgkmcnt(0)
	v_cmp_ne_u32_e32 vcc_lo, 0, v3
	v_cmp_le_i32_e64 s3, v3, v2
	s_delay_alu instid0(VALU_DEP_1) | instskip(NEXT) | instid1(SALU_CYCLE_1)
	s_and_b32 s3, vcc_lo, s3
	s_and_b32 s3, exec_lo, s3
	s_delay_alu instid0(SALU_CYCLE_1) | instskip(NEXT) | instid1(SALU_CYCLE_1)
	s_or_b32 s5, s3, s5
	s_and_not1_b32 exec_lo, exec_lo, s5
	s_cbranch_execnz .LBB86_9
.LBB86_10:
	s_or_b32 exec_lo, exec_lo, s4
	v_mov_b32_e32 v1, 0
	s_barrier
	buffer_gl0_inv
	ds_load_b32 v2, v1 offset:736
	s_and_saveexec_b32 s3, s2
	s_cbranch_execz .LBB86_12
; %bb.11:
	s_lshl_b64 s[4:5], s[10:11], 2
	s_delay_alu instid0(SALU_CYCLE_1)
	s_add_u32 s4, s6, s4
	s_addc_u32 s5, s7, s5
	s_waitcnt lgkmcnt(0)
	global_store_b32 v1, v2, s[4:5]
.LBB86_12:
	s_or_b32 exec_lo, exec_lo, s3
	s_waitcnt lgkmcnt(0)
	v_cmp_ne_u32_e32 vcc_lo, 0, v2
	s_mov_b32 s3, 0
	s_cbranch_vccnz .LBB86_104
; %bb.13:
	v_add_nc_u32_e32 v83, 0, v82
                                        ; implicit-def: $vgpr9_vgpr10
	scratch_load_b128 v[1:4], v83, off
	s_waitcnt vmcnt(0)
	v_cmp_gt_f64_e32 vcc_lo, 0, v[1:2]
	v_xor_b32_e32 v6, 0x80000000, v2
	v_mov_b32_e32 v5, v1
	v_xor_b32_e32 v7, 0x80000000, v4
	s_delay_alu instid0(VALU_DEP_3) | instskip(SKIP_1) | instid1(VALU_DEP_3)
	v_cndmask_b32_e32 v6, v2, v6, vcc_lo
	v_cmp_gt_f64_e32 vcc_lo, 0, v[3:4]
	v_dual_cndmask_b32 v8, v4, v7 :: v_dual_mov_b32 v7, v3
	s_delay_alu instid0(VALU_DEP_1) | instskip(SKIP_1) | instid1(SALU_CYCLE_1)
	v_cmp_ngt_f64_e32 vcc_lo, v[5:6], v[7:8]
                                        ; implicit-def: $vgpr5_vgpr6
	s_and_saveexec_b32 s3, vcc_lo
	s_xor_b32 s3, exec_lo, s3
	s_cbranch_execz .LBB86_15
; %bb.14:
	v_div_scale_f64 v[5:6], null, v[3:4], v[3:4], v[1:2]
	v_div_scale_f64 v[11:12], vcc_lo, v[1:2], v[3:4], v[1:2]
	s_delay_alu instid0(VALU_DEP_2) | instskip(SKIP_2) | instid1(VALU_DEP_1)
	v_rcp_f64_e32 v[7:8], v[5:6]
	s_waitcnt_depctr 0xfff
	v_fma_f64 v[9:10], -v[5:6], v[7:8], 1.0
	v_fma_f64 v[7:8], v[7:8], v[9:10], v[7:8]
	s_delay_alu instid0(VALU_DEP_1) | instskip(NEXT) | instid1(VALU_DEP_1)
	v_fma_f64 v[9:10], -v[5:6], v[7:8], 1.0
	v_fma_f64 v[7:8], v[7:8], v[9:10], v[7:8]
	s_delay_alu instid0(VALU_DEP_1) | instskip(NEXT) | instid1(VALU_DEP_1)
	v_mul_f64 v[9:10], v[11:12], v[7:8]
	v_fma_f64 v[5:6], -v[5:6], v[9:10], v[11:12]
	s_delay_alu instid0(VALU_DEP_1) | instskip(NEXT) | instid1(VALU_DEP_1)
	v_div_fmas_f64 v[5:6], v[5:6], v[7:8], v[9:10]
	v_div_fixup_f64 v[5:6], v[5:6], v[3:4], v[1:2]
	s_delay_alu instid0(VALU_DEP_1) | instskip(NEXT) | instid1(VALU_DEP_1)
	v_fma_f64 v[1:2], v[1:2], v[5:6], v[3:4]
	v_div_scale_f64 v[3:4], null, v[1:2], v[1:2], 1.0
	v_div_scale_f64 v[11:12], vcc_lo, 1.0, v[1:2], 1.0
	s_delay_alu instid0(VALU_DEP_2) | instskip(SKIP_2) | instid1(VALU_DEP_1)
	v_rcp_f64_e32 v[7:8], v[3:4]
	s_waitcnt_depctr 0xfff
	v_fma_f64 v[9:10], -v[3:4], v[7:8], 1.0
	v_fma_f64 v[7:8], v[7:8], v[9:10], v[7:8]
	s_delay_alu instid0(VALU_DEP_1) | instskip(NEXT) | instid1(VALU_DEP_1)
	v_fma_f64 v[9:10], -v[3:4], v[7:8], 1.0
	v_fma_f64 v[7:8], v[7:8], v[9:10], v[7:8]
	s_delay_alu instid0(VALU_DEP_1) | instskip(NEXT) | instid1(VALU_DEP_1)
	v_mul_f64 v[9:10], v[11:12], v[7:8]
	v_fma_f64 v[3:4], -v[3:4], v[9:10], v[11:12]
	s_delay_alu instid0(VALU_DEP_1) | instskip(NEXT) | instid1(VALU_DEP_1)
	v_div_fmas_f64 v[3:4], v[3:4], v[7:8], v[9:10]
	v_div_fixup_f64 v[7:8], v[3:4], v[1:2], 1.0
                                        ; implicit-def: $vgpr1_vgpr2
	s_delay_alu instid0(VALU_DEP_1) | instskip(SKIP_1) | instid1(VALU_DEP_2)
	v_mul_f64 v[5:6], v[5:6], v[7:8]
	v_xor_b32_e32 v8, 0x80000000, v8
	v_xor_b32_e32 v10, 0x80000000, v6
	s_delay_alu instid0(VALU_DEP_3)
	v_mov_b32_e32 v9, v5
.LBB86_15:
	s_and_not1_saveexec_b32 s3, s3
	s_cbranch_execz .LBB86_17
; %bb.16:
	v_div_scale_f64 v[5:6], null, v[1:2], v[1:2], v[3:4]
	v_div_scale_f64 v[11:12], vcc_lo, v[3:4], v[1:2], v[3:4]
	s_delay_alu instid0(VALU_DEP_2) | instskip(SKIP_2) | instid1(VALU_DEP_1)
	v_rcp_f64_e32 v[7:8], v[5:6]
	s_waitcnt_depctr 0xfff
	v_fma_f64 v[9:10], -v[5:6], v[7:8], 1.0
	v_fma_f64 v[7:8], v[7:8], v[9:10], v[7:8]
	s_delay_alu instid0(VALU_DEP_1) | instskip(NEXT) | instid1(VALU_DEP_1)
	v_fma_f64 v[9:10], -v[5:6], v[7:8], 1.0
	v_fma_f64 v[7:8], v[7:8], v[9:10], v[7:8]
	s_delay_alu instid0(VALU_DEP_1) | instskip(NEXT) | instid1(VALU_DEP_1)
	v_mul_f64 v[9:10], v[11:12], v[7:8]
	v_fma_f64 v[5:6], -v[5:6], v[9:10], v[11:12]
	s_delay_alu instid0(VALU_DEP_1) | instskip(NEXT) | instid1(VALU_DEP_1)
	v_div_fmas_f64 v[5:6], v[5:6], v[7:8], v[9:10]
	v_div_fixup_f64 v[7:8], v[5:6], v[1:2], v[3:4]
	s_delay_alu instid0(VALU_DEP_1) | instskip(NEXT) | instid1(VALU_DEP_1)
	v_fma_f64 v[1:2], v[3:4], v[7:8], v[1:2]
	v_div_scale_f64 v[3:4], null, v[1:2], v[1:2], 1.0
	s_delay_alu instid0(VALU_DEP_1) | instskip(SKIP_2) | instid1(VALU_DEP_1)
	v_rcp_f64_e32 v[5:6], v[3:4]
	s_waitcnt_depctr 0xfff
	v_fma_f64 v[9:10], -v[3:4], v[5:6], 1.0
	v_fma_f64 v[5:6], v[5:6], v[9:10], v[5:6]
	s_delay_alu instid0(VALU_DEP_1) | instskip(NEXT) | instid1(VALU_DEP_1)
	v_fma_f64 v[9:10], -v[3:4], v[5:6], 1.0
	v_fma_f64 v[5:6], v[5:6], v[9:10], v[5:6]
	v_div_scale_f64 v[9:10], vcc_lo, 1.0, v[1:2], 1.0
	s_delay_alu instid0(VALU_DEP_1) | instskip(NEXT) | instid1(VALU_DEP_1)
	v_mul_f64 v[11:12], v[9:10], v[5:6]
	v_fma_f64 v[3:4], -v[3:4], v[11:12], v[9:10]
	s_delay_alu instid0(VALU_DEP_1) | instskip(NEXT) | instid1(VALU_DEP_1)
	v_div_fmas_f64 v[3:4], v[3:4], v[5:6], v[11:12]
	v_div_fixup_f64 v[5:6], v[3:4], v[1:2], 1.0
	s_delay_alu instid0(VALU_DEP_1)
	v_mul_f64 v[7:8], v[7:8], -v[5:6]
	v_xor_b32_e32 v10, 0x80000000, v6
	v_mov_b32_e32 v9, v5
.LBB86_17:
	s_or_b32 exec_lo, exec_lo, s3
	scratch_store_b128 v83, v[5:8], off
	scratch_load_b128 v[1:4], v69, off
	v_xor_b32_e32 v12, 0x80000000, v8
	v_mov_b32_e32 v11, v7
	v_add_nc_u32_e32 v5, 0x170, v82
	ds_store_b128 v82, v[9:12]
	s_waitcnt vmcnt(0)
	ds_store_b128 v82, v[1:4] offset:368
	s_waitcnt lgkmcnt(0)
	s_waitcnt_vscnt null, 0x0
	s_barrier
	buffer_gl0_inv
	s_and_saveexec_b32 s3, s2
	s_cbranch_execz .LBB86_19
; %bb.18:
	scratch_load_b128 v[1:4], v83, off
	ds_load_b128 v[6:9], v5
	v_mov_b32_e32 v10, 0
	ds_load_b128 v[84:87], v10 offset:16
	s_waitcnt vmcnt(0) lgkmcnt(1)
	v_mul_f64 v[10:11], v[6:7], v[3:4]
	v_mul_f64 v[3:4], v[8:9], v[3:4]
	s_delay_alu instid0(VALU_DEP_2) | instskip(NEXT) | instid1(VALU_DEP_2)
	v_fma_f64 v[8:9], v[8:9], v[1:2], v[10:11]
	v_fma_f64 v[1:2], v[6:7], v[1:2], -v[3:4]
	s_delay_alu instid0(VALU_DEP_2) | instskip(NEXT) | instid1(VALU_DEP_2)
	v_add_f64 v[3:4], v[8:9], 0
	v_add_f64 v[1:2], v[1:2], 0
	s_waitcnt lgkmcnt(0)
	s_delay_alu instid0(VALU_DEP_2) | instskip(NEXT) | instid1(VALU_DEP_2)
	v_mul_f64 v[6:7], v[3:4], v[86:87]
	v_mul_f64 v[8:9], v[1:2], v[86:87]
	s_delay_alu instid0(VALU_DEP_2) | instskip(NEXT) | instid1(VALU_DEP_2)
	v_fma_f64 v[1:2], v[1:2], v[84:85], -v[6:7]
	v_fma_f64 v[3:4], v[3:4], v[84:85], v[8:9]
	scratch_store_b128 off, v[1:4], off offset:16
.LBB86_19:
	s_or_b32 exec_lo, exec_lo, s3
	s_waitcnt_vscnt null, 0x0
	s_barrier
	buffer_gl0_inv
	scratch_load_b128 v[1:4], v64, off
	s_mov_b32 s3, exec_lo
	s_waitcnt vmcnt(0)
	ds_store_b128 v5, v[1:4]
	s_waitcnt lgkmcnt(0)
	s_barrier
	buffer_gl0_inv
	v_cmpx_gt_u32_e32 2, v59
	s_cbranch_execz .LBB86_23
; %bb.20:
	scratch_load_b128 v[1:4], v83, off
	ds_load_b128 v[6:9], v5
	s_waitcnt vmcnt(0) lgkmcnt(0)
	v_mul_f64 v[10:11], v[8:9], v[3:4]
	v_mul_f64 v[3:4], v[6:7], v[3:4]
	s_delay_alu instid0(VALU_DEP_2) | instskip(NEXT) | instid1(VALU_DEP_2)
	v_fma_f64 v[6:7], v[6:7], v[1:2], -v[10:11]
	v_fma_f64 v[3:4], v[8:9], v[1:2], v[3:4]
	s_delay_alu instid0(VALU_DEP_2) | instskip(NEXT) | instid1(VALU_DEP_2)
	v_add_f64 v[1:2], v[6:7], 0
	v_add_f64 v[3:4], v[3:4], 0
	s_and_saveexec_b32 s4, s2
	s_cbranch_execz .LBB86_22
; %bb.21:
	scratch_load_b128 v[6:9], off, off offset:16
	v_mov_b32_e32 v10, 0
	ds_load_b128 v[84:87], v10 offset:384
	s_waitcnt vmcnt(0) lgkmcnt(0)
	v_mul_f64 v[10:11], v[84:85], v[8:9]
	v_mul_f64 v[8:9], v[86:87], v[8:9]
	s_delay_alu instid0(VALU_DEP_2) | instskip(NEXT) | instid1(VALU_DEP_2)
	v_fma_f64 v[10:11], v[86:87], v[6:7], v[10:11]
	v_fma_f64 v[6:7], v[84:85], v[6:7], -v[8:9]
	s_delay_alu instid0(VALU_DEP_2) | instskip(NEXT) | instid1(VALU_DEP_2)
	v_add_f64 v[3:4], v[3:4], v[10:11]
	v_add_f64 v[1:2], v[1:2], v[6:7]
.LBB86_22:
	s_or_b32 exec_lo, exec_lo, s4
	v_mov_b32_e32 v6, 0
	ds_load_b128 v[6:9], v6 offset:32
	s_waitcnt lgkmcnt(0)
	v_mul_f64 v[10:11], v[3:4], v[8:9]
	v_mul_f64 v[8:9], v[1:2], v[8:9]
	s_delay_alu instid0(VALU_DEP_2) | instskip(NEXT) | instid1(VALU_DEP_2)
	v_fma_f64 v[1:2], v[1:2], v[6:7], -v[10:11]
	v_fma_f64 v[3:4], v[3:4], v[6:7], v[8:9]
	scratch_store_b128 off, v[1:4], off offset:32
.LBB86_23:
	s_or_b32 exec_lo, exec_lo, s3
	s_waitcnt_vscnt null, 0x0
	s_barrier
	buffer_gl0_inv
	scratch_load_b128 v[1:4], v61, off
	v_add_nc_u32_e32 v6, -1, v59
	s_mov_b32 s2, exec_lo
	s_waitcnt vmcnt(0)
	ds_store_b128 v5, v[1:4]
	s_waitcnt lgkmcnt(0)
	s_barrier
	buffer_gl0_inv
	v_cmpx_gt_u32_e32 3, v59
	s_cbranch_execz .LBB86_27
; %bb.24:
	v_dual_mov_b32 v1, 0 :: v_dual_add_nc_u32 v8, 0x170, v82
	v_dual_mov_b32 v2, 0 :: v_dual_add_nc_u32 v7, -1, v59
	v_or_b32_e32 v9, 8, v83
	s_mov_b32 s3, 0
	s_delay_alu instid0(VALU_DEP_2)
	v_dual_mov_b32 v4, v2 :: v_dual_mov_b32 v3, v1
	.p2align	6
.LBB86_25:                              ; =>This Inner Loop Header: Depth=1
	scratch_load_b128 v[84:87], v9, off offset:-8
	ds_load_b128 v[88:91], v8
	v_add_nc_u32_e32 v7, 1, v7
	v_add_nc_u32_e32 v8, 16, v8
	;; [unrolled: 1-line block ×3, first 2 shown]
	s_delay_alu instid0(VALU_DEP_3) | instskip(SKIP_4) | instid1(VALU_DEP_2)
	v_cmp_lt_u32_e32 vcc_lo, 1, v7
	s_or_b32 s3, vcc_lo, s3
	s_waitcnt vmcnt(0) lgkmcnt(0)
	v_mul_f64 v[10:11], v[90:91], v[86:87]
	v_mul_f64 v[86:87], v[88:89], v[86:87]
	v_fma_f64 v[10:11], v[88:89], v[84:85], -v[10:11]
	s_delay_alu instid0(VALU_DEP_2) | instskip(NEXT) | instid1(VALU_DEP_2)
	v_fma_f64 v[84:85], v[90:91], v[84:85], v[86:87]
	v_add_f64 v[3:4], v[3:4], v[10:11]
	s_delay_alu instid0(VALU_DEP_2)
	v_add_f64 v[1:2], v[1:2], v[84:85]
	s_and_not1_b32 exec_lo, exec_lo, s3
	s_cbranch_execnz .LBB86_25
; %bb.26:
	s_or_b32 exec_lo, exec_lo, s3
	v_mov_b32_e32 v7, 0
	ds_load_b128 v[7:10], v7 offset:48
	s_waitcnt lgkmcnt(0)
	v_mul_f64 v[11:12], v[1:2], v[9:10]
	v_mul_f64 v[84:85], v[3:4], v[9:10]
	s_delay_alu instid0(VALU_DEP_2) | instskip(NEXT) | instid1(VALU_DEP_2)
	v_fma_f64 v[9:10], v[3:4], v[7:8], -v[11:12]
	v_fma_f64 v[11:12], v[1:2], v[7:8], v[84:85]
	scratch_store_b128 off, v[9:12], off offset:48
.LBB86_27:
	s_or_b32 exec_lo, exec_lo, s2
	s_waitcnt_vscnt null, 0x0
	s_barrier
	buffer_gl0_inv
	scratch_load_b128 v[1:4], v60, off
	s_mov_b32 s2, exec_lo
	s_waitcnt vmcnt(0)
	ds_store_b128 v5, v[1:4]
	s_waitcnt lgkmcnt(0)
	s_barrier
	buffer_gl0_inv
	v_cmpx_gt_u32_e32 4, v59
	s_cbranch_execz .LBB86_31
; %bb.28:
	v_dual_mov_b32 v1, 0 :: v_dual_add_nc_u32 v8, 0x170, v82
	v_dual_mov_b32 v2, 0 :: v_dual_add_nc_u32 v7, -1, v59
	v_or_b32_e32 v9, 8, v83
	s_mov_b32 s3, 0
	s_delay_alu instid0(VALU_DEP_2)
	v_dual_mov_b32 v4, v2 :: v_dual_mov_b32 v3, v1
	.p2align	6
.LBB86_29:                              ; =>This Inner Loop Header: Depth=1
	scratch_load_b128 v[84:87], v9, off offset:-8
	ds_load_b128 v[88:91], v8
	v_add_nc_u32_e32 v7, 1, v7
	v_add_nc_u32_e32 v8, 16, v8
	;; [unrolled: 1-line block ×3, first 2 shown]
	s_delay_alu instid0(VALU_DEP_3) | instskip(SKIP_4) | instid1(VALU_DEP_2)
	v_cmp_lt_u32_e32 vcc_lo, 2, v7
	s_or_b32 s3, vcc_lo, s3
	s_waitcnt vmcnt(0) lgkmcnt(0)
	v_mul_f64 v[10:11], v[90:91], v[86:87]
	v_mul_f64 v[86:87], v[88:89], v[86:87]
	v_fma_f64 v[10:11], v[88:89], v[84:85], -v[10:11]
	s_delay_alu instid0(VALU_DEP_2) | instskip(NEXT) | instid1(VALU_DEP_2)
	v_fma_f64 v[84:85], v[90:91], v[84:85], v[86:87]
	v_add_f64 v[3:4], v[3:4], v[10:11]
	s_delay_alu instid0(VALU_DEP_2)
	v_add_f64 v[1:2], v[1:2], v[84:85]
	s_and_not1_b32 exec_lo, exec_lo, s3
	s_cbranch_execnz .LBB86_29
; %bb.30:
	s_or_b32 exec_lo, exec_lo, s3
	v_mov_b32_e32 v7, 0
	ds_load_b128 v[7:10], v7 offset:64
	s_waitcnt lgkmcnt(0)
	v_mul_f64 v[11:12], v[1:2], v[9:10]
	v_mul_f64 v[84:85], v[3:4], v[9:10]
	s_delay_alu instid0(VALU_DEP_2) | instskip(NEXT) | instid1(VALU_DEP_2)
	v_fma_f64 v[9:10], v[3:4], v[7:8], -v[11:12]
	v_fma_f64 v[11:12], v[1:2], v[7:8], v[84:85]
	scratch_store_b128 off, v[9:12], off offset:64
.LBB86_31:
	s_or_b32 exec_lo, exec_lo, s2
	s_waitcnt_vscnt null, 0x0
	s_barrier
	buffer_gl0_inv
	scratch_load_b128 v[1:4], v68, off
	s_mov_b32 s2, exec_lo
	s_waitcnt vmcnt(0)
	ds_store_b128 v5, v[1:4]
	s_waitcnt lgkmcnt(0)
	s_barrier
	buffer_gl0_inv
	v_cmpx_gt_u32_e32 5, v59
	s_cbranch_execz .LBB86_35
; %bb.32:
	v_dual_mov_b32 v1, 0 :: v_dual_add_nc_u32 v8, 0x170, v82
	v_dual_mov_b32 v2, 0 :: v_dual_add_nc_u32 v7, -1, v59
	v_or_b32_e32 v9, 8, v83
	s_mov_b32 s3, 0
	s_delay_alu instid0(VALU_DEP_2)
	v_dual_mov_b32 v4, v2 :: v_dual_mov_b32 v3, v1
	.p2align	6
.LBB86_33:                              ; =>This Inner Loop Header: Depth=1
	scratch_load_b128 v[84:87], v9, off offset:-8
	ds_load_b128 v[88:91], v8
	v_add_nc_u32_e32 v7, 1, v7
	v_add_nc_u32_e32 v8, 16, v8
	;; [unrolled: 1-line block ×3, first 2 shown]
	s_delay_alu instid0(VALU_DEP_3) | instskip(SKIP_4) | instid1(VALU_DEP_2)
	v_cmp_lt_u32_e32 vcc_lo, 3, v7
	s_or_b32 s3, vcc_lo, s3
	s_waitcnt vmcnt(0) lgkmcnt(0)
	v_mul_f64 v[10:11], v[90:91], v[86:87]
	v_mul_f64 v[86:87], v[88:89], v[86:87]
	v_fma_f64 v[10:11], v[88:89], v[84:85], -v[10:11]
	s_delay_alu instid0(VALU_DEP_2) | instskip(NEXT) | instid1(VALU_DEP_2)
	v_fma_f64 v[84:85], v[90:91], v[84:85], v[86:87]
	v_add_f64 v[3:4], v[3:4], v[10:11]
	s_delay_alu instid0(VALU_DEP_2)
	v_add_f64 v[1:2], v[1:2], v[84:85]
	s_and_not1_b32 exec_lo, exec_lo, s3
	s_cbranch_execnz .LBB86_33
; %bb.34:
	s_or_b32 exec_lo, exec_lo, s3
	v_mov_b32_e32 v7, 0
	ds_load_b128 v[7:10], v7 offset:80
	s_waitcnt lgkmcnt(0)
	v_mul_f64 v[11:12], v[1:2], v[9:10]
	v_mul_f64 v[84:85], v[3:4], v[9:10]
	s_delay_alu instid0(VALU_DEP_2) | instskip(NEXT) | instid1(VALU_DEP_2)
	v_fma_f64 v[9:10], v[3:4], v[7:8], -v[11:12]
	v_fma_f64 v[11:12], v[1:2], v[7:8], v[84:85]
	scratch_store_b128 off, v[9:12], off offset:80
.LBB86_35:
	s_or_b32 exec_lo, exec_lo, s2
	s_waitcnt_vscnt null, 0x0
	s_barrier
	buffer_gl0_inv
	scratch_load_b128 v[1:4], v63, off
	s_mov_b32 s2, exec_lo
	s_waitcnt vmcnt(0)
	ds_store_b128 v5, v[1:4]
	s_waitcnt lgkmcnt(0)
	s_barrier
	buffer_gl0_inv
	v_cmpx_gt_u32_e32 6, v59
	s_cbranch_execz .LBB86_39
; %bb.36:
	v_dual_mov_b32 v1, 0 :: v_dual_add_nc_u32 v8, 0x170, v82
	v_dual_mov_b32 v2, 0 :: v_dual_add_nc_u32 v7, -1, v59
	v_or_b32_e32 v9, 8, v83
	s_mov_b32 s3, 0
	s_delay_alu instid0(VALU_DEP_2)
	v_dual_mov_b32 v4, v2 :: v_dual_mov_b32 v3, v1
	.p2align	6
.LBB86_37:                              ; =>This Inner Loop Header: Depth=1
	scratch_load_b128 v[84:87], v9, off offset:-8
	ds_load_b128 v[88:91], v8
	v_add_nc_u32_e32 v7, 1, v7
	v_add_nc_u32_e32 v8, 16, v8
	;; [unrolled: 1-line block ×3, first 2 shown]
	s_delay_alu instid0(VALU_DEP_3) | instskip(SKIP_4) | instid1(VALU_DEP_2)
	v_cmp_lt_u32_e32 vcc_lo, 4, v7
	s_or_b32 s3, vcc_lo, s3
	s_waitcnt vmcnt(0) lgkmcnt(0)
	v_mul_f64 v[10:11], v[90:91], v[86:87]
	v_mul_f64 v[86:87], v[88:89], v[86:87]
	v_fma_f64 v[10:11], v[88:89], v[84:85], -v[10:11]
	s_delay_alu instid0(VALU_DEP_2) | instskip(NEXT) | instid1(VALU_DEP_2)
	v_fma_f64 v[84:85], v[90:91], v[84:85], v[86:87]
	v_add_f64 v[3:4], v[3:4], v[10:11]
	s_delay_alu instid0(VALU_DEP_2)
	v_add_f64 v[1:2], v[1:2], v[84:85]
	s_and_not1_b32 exec_lo, exec_lo, s3
	s_cbranch_execnz .LBB86_37
; %bb.38:
	s_or_b32 exec_lo, exec_lo, s3
	v_mov_b32_e32 v7, 0
	ds_load_b128 v[7:10], v7 offset:96
	s_waitcnt lgkmcnt(0)
	v_mul_f64 v[11:12], v[1:2], v[9:10]
	v_mul_f64 v[84:85], v[3:4], v[9:10]
	s_delay_alu instid0(VALU_DEP_2) | instskip(NEXT) | instid1(VALU_DEP_2)
	v_fma_f64 v[9:10], v[3:4], v[7:8], -v[11:12]
	v_fma_f64 v[11:12], v[1:2], v[7:8], v[84:85]
	scratch_store_b128 off, v[9:12], off offset:96
.LBB86_39:
	s_or_b32 exec_lo, exec_lo, s2
	s_waitcnt_vscnt null, 0x0
	s_barrier
	buffer_gl0_inv
	scratch_load_b128 v[1:4], v67, off
	s_mov_b32 s2, exec_lo
	s_waitcnt vmcnt(0)
	ds_store_b128 v5, v[1:4]
	s_waitcnt lgkmcnt(0)
	s_barrier
	buffer_gl0_inv
	v_cmpx_gt_u32_e32 7, v59
	s_cbranch_execz .LBB86_43
; %bb.40:
	v_dual_mov_b32 v1, 0 :: v_dual_add_nc_u32 v8, 0x170, v82
	v_dual_mov_b32 v2, 0 :: v_dual_add_nc_u32 v7, -1, v59
	v_or_b32_e32 v9, 8, v83
	s_mov_b32 s3, 0
	s_delay_alu instid0(VALU_DEP_2)
	v_dual_mov_b32 v4, v2 :: v_dual_mov_b32 v3, v1
	.p2align	6
.LBB86_41:                              ; =>This Inner Loop Header: Depth=1
	scratch_load_b128 v[84:87], v9, off offset:-8
	ds_load_b128 v[88:91], v8
	v_add_nc_u32_e32 v7, 1, v7
	v_add_nc_u32_e32 v8, 16, v8
	;; [unrolled: 1-line block ×3, first 2 shown]
	s_delay_alu instid0(VALU_DEP_3) | instskip(SKIP_4) | instid1(VALU_DEP_2)
	v_cmp_lt_u32_e32 vcc_lo, 5, v7
	s_or_b32 s3, vcc_lo, s3
	s_waitcnt vmcnt(0) lgkmcnt(0)
	v_mul_f64 v[10:11], v[90:91], v[86:87]
	v_mul_f64 v[86:87], v[88:89], v[86:87]
	v_fma_f64 v[10:11], v[88:89], v[84:85], -v[10:11]
	s_delay_alu instid0(VALU_DEP_2) | instskip(NEXT) | instid1(VALU_DEP_2)
	v_fma_f64 v[84:85], v[90:91], v[84:85], v[86:87]
	v_add_f64 v[3:4], v[3:4], v[10:11]
	s_delay_alu instid0(VALU_DEP_2)
	v_add_f64 v[1:2], v[1:2], v[84:85]
	s_and_not1_b32 exec_lo, exec_lo, s3
	s_cbranch_execnz .LBB86_41
; %bb.42:
	s_or_b32 exec_lo, exec_lo, s3
	v_mov_b32_e32 v7, 0
	ds_load_b128 v[7:10], v7 offset:112
	s_waitcnt lgkmcnt(0)
	v_mul_f64 v[11:12], v[1:2], v[9:10]
	v_mul_f64 v[84:85], v[3:4], v[9:10]
	s_delay_alu instid0(VALU_DEP_2) | instskip(NEXT) | instid1(VALU_DEP_2)
	v_fma_f64 v[9:10], v[3:4], v[7:8], -v[11:12]
	v_fma_f64 v[11:12], v[1:2], v[7:8], v[84:85]
	scratch_store_b128 off, v[9:12], off offset:112
.LBB86_43:
	s_or_b32 exec_lo, exec_lo, s2
	s_waitcnt_vscnt null, 0x0
	s_barrier
	buffer_gl0_inv
	scratch_load_b128 v[1:4], v62, off
	s_mov_b32 s2, exec_lo
	s_waitcnt vmcnt(0)
	ds_store_b128 v5, v[1:4]
	s_waitcnt lgkmcnt(0)
	s_barrier
	buffer_gl0_inv
	v_cmpx_gt_u32_e32 8, v59
	s_cbranch_execz .LBB86_47
; %bb.44:
	v_dual_mov_b32 v1, 0 :: v_dual_add_nc_u32 v8, 0x170, v82
	v_dual_mov_b32 v2, 0 :: v_dual_add_nc_u32 v7, -1, v59
	v_or_b32_e32 v9, 8, v83
	s_mov_b32 s3, 0
	s_delay_alu instid0(VALU_DEP_2)
	v_dual_mov_b32 v4, v2 :: v_dual_mov_b32 v3, v1
	.p2align	6
.LBB86_45:                              ; =>This Inner Loop Header: Depth=1
	scratch_load_b128 v[84:87], v9, off offset:-8
	ds_load_b128 v[88:91], v8
	v_add_nc_u32_e32 v7, 1, v7
	v_add_nc_u32_e32 v8, 16, v8
	;; [unrolled: 1-line block ×3, first 2 shown]
	s_delay_alu instid0(VALU_DEP_3) | instskip(SKIP_4) | instid1(VALU_DEP_2)
	v_cmp_lt_u32_e32 vcc_lo, 6, v7
	s_or_b32 s3, vcc_lo, s3
	s_waitcnt vmcnt(0) lgkmcnt(0)
	v_mul_f64 v[10:11], v[90:91], v[86:87]
	v_mul_f64 v[86:87], v[88:89], v[86:87]
	v_fma_f64 v[10:11], v[88:89], v[84:85], -v[10:11]
	s_delay_alu instid0(VALU_DEP_2) | instskip(NEXT) | instid1(VALU_DEP_2)
	v_fma_f64 v[84:85], v[90:91], v[84:85], v[86:87]
	v_add_f64 v[3:4], v[3:4], v[10:11]
	s_delay_alu instid0(VALU_DEP_2)
	v_add_f64 v[1:2], v[1:2], v[84:85]
	s_and_not1_b32 exec_lo, exec_lo, s3
	s_cbranch_execnz .LBB86_45
; %bb.46:
	s_or_b32 exec_lo, exec_lo, s3
	v_mov_b32_e32 v7, 0
	ds_load_b128 v[7:10], v7 offset:128
	s_waitcnt lgkmcnt(0)
	v_mul_f64 v[11:12], v[1:2], v[9:10]
	v_mul_f64 v[84:85], v[3:4], v[9:10]
	s_delay_alu instid0(VALU_DEP_2) | instskip(NEXT) | instid1(VALU_DEP_2)
	v_fma_f64 v[9:10], v[3:4], v[7:8], -v[11:12]
	v_fma_f64 v[11:12], v[1:2], v[7:8], v[84:85]
	scratch_store_b128 off, v[9:12], off offset:128
.LBB86_47:
	s_or_b32 exec_lo, exec_lo, s2
	s_waitcnt_vscnt null, 0x0
	s_barrier
	buffer_gl0_inv
	scratch_load_b128 v[1:4], v71, off
	s_mov_b32 s2, exec_lo
	s_waitcnt vmcnt(0)
	ds_store_b128 v5, v[1:4]
	s_waitcnt lgkmcnt(0)
	s_barrier
	buffer_gl0_inv
	v_cmpx_gt_u32_e32 9, v59
	s_cbranch_execz .LBB86_51
; %bb.48:
	v_dual_mov_b32 v1, 0 :: v_dual_add_nc_u32 v8, 0x170, v82
	v_dual_mov_b32 v2, 0 :: v_dual_add_nc_u32 v7, -1, v59
	v_or_b32_e32 v9, 8, v83
	s_mov_b32 s3, 0
	s_delay_alu instid0(VALU_DEP_2)
	v_dual_mov_b32 v4, v2 :: v_dual_mov_b32 v3, v1
	.p2align	6
.LBB86_49:                              ; =>This Inner Loop Header: Depth=1
	scratch_load_b128 v[84:87], v9, off offset:-8
	ds_load_b128 v[88:91], v8
	v_add_nc_u32_e32 v7, 1, v7
	v_add_nc_u32_e32 v8, 16, v8
	;; [unrolled: 1-line block ×3, first 2 shown]
	s_delay_alu instid0(VALU_DEP_3) | instskip(SKIP_4) | instid1(VALU_DEP_2)
	v_cmp_lt_u32_e32 vcc_lo, 7, v7
	s_or_b32 s3, vcc_lo, s3
	s_waitcnt vmcnt(0) lgkmcnt(0)
	v_mul_f64 v[10:11], v[90:91], v[86:87]
	v_mul_f64 v[86:87], v[88:89], v[86:87]
	v_fma_f64 v[10:11], v[88:89], v[84:85], -v[10:11]
	s_delay_alu instid0(VALU_DEP_2) | instskip(NEXT) | instid1(VALU_DEP_2)
	v_fma_f64 v[84:85], v[90:91], v[84:85], v[86:87]
	v_add_f64 v[3:4], v[3:4], v[10:11]
	s_delay_alu instid0(VALU_DEP_2)
	v_add_f64 v[1:2], v[1:2], v[84:85]
	s_and_not1_b32 exec_lo, exec_lo, s3
	s_cbranch_execnz .LBB86_49
; %bb.50:
	s_or_b32 exec_lo, exec_lo, s3
	v_mov_b32_e32 v7, 0
	ds_load_b128 v[7:10], v7 offset:144
	s_waitcnt lgkmcnt(0)
	v_mul_f64 v[11:12], v[1:2], v[9:10]
	v_mul_f64 v[84:85], v[3:4], v[9:10]
	s_delay_alu instid0(VALU_DEP_2) | instskip(NEXT) | instid1(VALU_DEP_2)
	v_fma_f64 v[9:10], v[3:4], v[7:8], -v[11:12]
	v_fma_f64 v[11:12], v[1:2], v[7:8], v[84:85]
	scratch_store_b128 off, v[9:12], off offset:144
.LBB86_51:
	s_or_b32 exec_lo, exec_lo, s2
	s_waitcnt_vscnt null, 0x0
	s_barrier
	buffer_gl0_inv
	scratch_load_b128 v[1:4], v66, off
	s_mov_b32 s2, exec_lo
	s_waitcnt vmcnt(0)
	ds_store_b128 v5, v[1:4]
	s_waitcnt lgkmcnt(0)
	s_barrier
	buffer_gl0_inv
	v_cmpx_gt_u32_e32 10, v59
	s_cbranch_execz .LBB86_55
; %bb.52:
	v_dual_mov_b32 v1, 0 :: v_dual_add_nc_u32 v8, 0x170, v82
	v_dual_mov_b32 v2, 0 :: v_dual_add_nc_u32 v7, -1, v59
	v_or_b32_e32 v9, 8, v83
	s_mov_b32 s3, 0
	s_delay_alu instid0(VALU_DEP_2)
	v_dual_mov_b32 v4, v2 :: v_dual_mov_b32 v3, v1
	.p2align	6
.LBB86_53:                              ; =>This Inner Loop Header: Depth=1
	scratch_load_b128 v[84:87], v9, off offset:-8
	ds_load_b128 v[88:91], v8
	v_add_nc_u32_e32 v7, 1, v7
	v_add_nc_u32_e32 v8, 16, v8
	;; [unrolled: 1-line block ×3, first 2 shown]
	s_delay_alu instid0(VALU_DEP_3) | instskip(SKIP_4) | instid1(VALU_DEP_2)
	v_cmp_lt_u32_e32 vcc_lo, 8, v7
	s_or_b32 s3, vcc_lo, s3
	s_waitcnt vmcnt(0) lgkmcnt(0)
	v_mul_f64 v[10:11], v[90:91], v[86:87]
	v_mul_f64 v[86:87], v[88:89], v[86:87]
	v_fma_f64 v[10:11], v[88:89], v[84:85], -v[10:11]
	s_delay_alu instid0(VALU_DEP_2) | instskip(NEXT) | instid1(VALU_DEP_2)
	v_fma_f64 v[84:85], v[90:91], v[84:85], v[86:87]
	v_add_f64 v[3:4], v[3:4], v[10:11]
	s_delay_alu instid0(VALU_DEP_2)
	v_add_f64 v[1:2], v[1:2], v[84:85]
	s_and_not1_b32 exec_lo, exec_lo, s3
	s_cbranch_execnz .LBB86_53
; %bb.54:
	s_or_b32 exec_lo, exec_lo, s3
	v_mov_b32_e32 v7, 0
	ds_load_b128 v[7:10], v7 offset:160
	s_waitcnt lgkmcnt(0)
	v_mul_f64 v[11:12], v[1:2], v[9:10]
	v_mul_f64 v[84:85], v[3:4], v[9:10]
	s_delay_alu instid0(VALU_DEP_2) | instskip(NEXT) | instid1(VALU_DEP_2)
	v_fma_f64 v[9:10], v[3:4], v[7:8], -v[11:12]
	v_fma_f64 v[11:12], v[1:2], v[7:8], v[84:85]
	scratch_store_b128 off, v[9:12], off offset:160
.LBB86_55:
	s_or_b32 exec_lo, exec_lo, s2
	s_waitcnt_vscnt null, 0x0
	s_barrier
	buffer_gl0_inv
	scratch_load_b128 v[1:4], v70, off
	s_mov_b32 s2, exec_lo
	s_waitcnt vmcnt(0)
	ds_store_b128 v5, v[1:4]
	s_waitcnt lgkmcnt(0)
	s_barrier
	buffer_gl0_inv
	v_cmpx_gt_u32_e32 11, v59
	s_cbranch_execz .LBB86_59
; %bb.56:
	v_dual_mov_b32 v1, 0 :: v_dual_add_nc_u32 v8, 0x170, v82
	v_dual_mov_b32 v2, 0 :: v_dual_add_nc_u32 v7, -1, v59
	v_or_b32_e32 v9, 8, v83
	s_mov_b32 s3, 0
	s_delay_alu instid0(VALU_DEP_2)
	v_dual_mov_b32 v4, v2 :: v_dual_mov_b32 v3, v1
	.p2align	6
.LBB86_57:                              ; =>This Inner Loop Header: Depth=1
	scratch_load_b128 v[84:87], v9, off offset:-8
	ds_load_b128 v[88:91], v8
	v_add_nc_u32_e32 v7, 1, v7
	v_add_nc_u32_e32 v8, 16, v8
	;; [unrolled: 1-line block ×3, first 2 shown]
	s_delay_alu instid0(VALU_DEP_3) | instskip(SKIP_4) | instid1(VALU_DEP_2)
	v_cmp_lt_u32_e32 vcc_lo, 9, v7
	s_or_b32 s3, vcc_lo, s3
	s_waitcnt vmcnt(0) lgkmcnt(0)
	v_mul_f64 v[10:11], v[90:91], v[86:87]
	v_mul_f64 v[86:87], v[88:89], v[86:87]
	v_fma_f64 v[10:11], v[88:89], v[84:85], -v[10:11]
	s_delay_alu instid0(VALU_DEP_2) | instskip(NEXT) | instid1(VALU_DEP_2)
	v_fma_f64 v[84:85], v[90:91], v[84:85], v[86:87]
	v_add_f64 v[3:4], v[3:4], v[10:11]
	s_delay_alu instid0(VALU_DEP_2)
	v_add_f64 v[1:2], v[1:2], v[84:85]
	s_and_not1_b32 exec_lo, exec_lo, s3
	s_cbranch_execnz .LBB86_57
; %bb.58:
	s_or_b32 exec_lo, exec_lo, s3
	v_mov_b32_e32 v7, 0
	ds_load_b128 v[7:10], v7 offset:176
	s_waitcnt lgkmcnt(0)
	v_mul_f64 v[11:12], v[1:2], v[9:10]
	v_mul_f64 v[84:85], v[3:4], v[9:10]
	s_delay_alu instid0(VALU_DEP_2) | instskip(NEXT) | instid1(VALU_DEP_2)
	v_fma_f64 v[9:10], v[3:4], v[7:8], -v[11:12]
	v_fma_f64 v[11:12], v[1:2], v[7:8], v[84:85]
	scratch_store_b128 off, v[9:12], off offset:176
.LBB86_59:
	s_or_b32 exec_lo, exec_lo, s2
	s_waitcnt_vscnt null, 0x0
	s_barrier
	buffer_gl0_inv
	scratch_load_b128 v[1:4], v65, off
	s_mov_b32 s2, exec_lo
	s_waitcnt vmcnt(0)
	ds_store_b128 v5, v[1:4]
	s_waitcnt lgkmcnt(0)
	s_barrier
	buffer_gl0_inv
	v_cmpx_gt_u32_e32 12, v59
	s_cbranch_execz .LBB86_63
; %bb.60:
	v_dual_mov_b32 v1, 0 :: v_dual_add_nc_u32 v8, 0x170, v82
	v_dual_mov_b32 v2, 0 :: v_dual_add_nc_u32 v7, -1, v59
	v_or_b32_e32 v9, 8, v83
	s_mov_b32 s3, 0
	s_delay_alu instid0(VALU_DEP_2)
	v_dual_mov_b32 v4, v2 :: v_dual_mov_b32 v3, v1
	.p2align	6
.LBB86_61:                              ; =>This Inner Loop Header: Depth=1
	scratch_load_b128 v[84:87], v9, off offset:-8
	ds_load_b128 v[88:91], v8
	v_add_nc_u32_e32 v7, 1, v7
	v_add_nc_u32_e32 v8, 16, v8
	;; [unrolled: 1-line block ×3, first 2 shown]
	s_delay_alu instid0(VALU_DEP_3) | instskip(SKIP_4) | instid1(VALU_DEP_2)
	v_cmp_lt_u32_e32 vcc_lo, 10, v7
	s_or_b32 s3, vcc_lo, s3
	s_waitcnt vmcnt(0) lgkmcnt(0)
	v_mul_f64 v[10:11], v[90:91], v[86:87]
	v_mul_f64 v[86:87], v[88:89], v[86:87]
	v_fma_f64 v[10:11], v[88:89], v[84:85], -v[10:11]
	s_delay_alu instid0(VALU_DEP_2) | instskip(NEXT) | instid1(VALU_DEP_2)
	v_fma_f64 v[84:85], v[90:91], v[84:85], v[86:87]
	v_add_f64 v[3:4], v[3:4], v[10:11]
	s_delay_alu instid0(VALU_DEP_2)
	v_add_f64 v[1:2], v[1:2], v[84:85]
	s_and_not1_b32 exec_lo, exec_lo, s3
	s_cbranch_execnz .LBB86_61
; %bb.62:
	s_or_b32 exec_lo, exec_lo, s3
	v_mov_b32_e32 v7, 0
	ds_load_b128 v[7:10], v7 offset:192
	s_waitcnt lgkmcnt(0)
	v_mul_f64 v[11:12], v[1:2], v[9:10]
	v_mul_f64 v[84:85], v[3:4], v[9:10]
	s_delay_alu instid0(VALU_DEP_2) | instskip(NEXT) | instid1(VALU_DEP_2)
	v_fma_f64 v[9:10], v[3:4], v[7:8], -v[11:12]
	v_fma_f64 v[11:12], v[1:2], v[7:8], v[84:85]
	scratch_store_b128 off, v[9:12], off offset:192
.LBB86_63:
	s_or_b32 exec_lo, exec_lo, s2
	s_waitcnt_vscnt null, 0x0
	s_barrier
	buffer_gl0_inv
	scratch_load_b128 v[1:4], v74, off
	s_mov_b32 s2, exec_lo
	s_waitcnt vmcnt(0)
	ds_store_b128 v5, v[1:4]
	s_waitcnt lgkmcnt(0)
	s_barrier
	buffer_gl0_inv
	v_cmpx_gt_u32_e32 13, v59
	s_cbranch_execz .LBB86_67
; %bb.64:
	v_dual_mov_b32 v1, 0 :: v_dual_add_nc_u32 v8, 0x170, v82
	v_dual_mov_b32 v2, 0 :: v_dual_add_nc_u32 v7, -1, v59
	v_or_b32_e32 v9, 8, v83
	s_mov_b32 s3, 0
	s_delay_alu instid0(VALU_DEP_2)
	v_dual_mov_b32 v4, v2 :: v_dual_mov_b32 v3, v1
	.p2align	6
.LBB86_65:                              ; =>This Inner Loop Header: Depth=1
	scratch_load_b128 v[84:87], v9, off offset:-8
	ds_load_b128 v[88:91], v8
	v_add_nc_u32_e32 v7, 1, v7
	v_add_nc_u32_e32 v8, 16, v8
	v_add_nc_u32_e32 v9, 16, v9
	s_delay_alu instid0(VALU_DEP_3) | instskip(SKIP_4) | instid1(VALU_DEP_2)
	v_cmp_lt_u32_e32 vcc_lo, 11, v7
	s_or_b32 s3, vcc_lo, s3
	s_waitcnt vmcnt(0) lgkmcnt(0)
	v_mul_f64 v[10:11], v[90:91], v[86:87]
	v_mul_f64 v[86:87], v[88:89], v[86:87]
	v_fma_f64 v[10:11], v[88:89], v[84:85], -v[10:11]
	s_delay_alu instid0(VALU_DEP_2) | instskip(NEXT) | instid1(VALU_DEP_2)
	v_fma_f64 v[84:85], v[90:91], v[84:85], v[86:87]
	v_add_f64 v[3:4], v[3:4], v[10:11]
	s_delay_alu instid0(VALU_DEP_2)
	v_add_f64 v[1:2], v[1:2], v[84:85]
	s_and_not1_b32 exec_lo, exec_lo, s3
	s_cbranch_execnz .LBB86_65
; %bb.66:
	s_or_b32 exec_lo, exec_lo, s3
	v_mov_b32_e32 v7, 0
	ds_load_b128 v[7:10], v7 offset:208
	s_waitcnt lgkmcnt(0)
	v_mul_f64 v[11:12], v[1:2], v[9:10]
	v_mul_f64 v[84:85], v[3:4], v[9:10]
	s_delay_alu instid0(VALU_DEP_2) | instskip(NEXT) | instid1(VALU_DEP_2)
	v_fma_f64 v[9:10], v[3:4], v[7:8], -v[11:12]
	v_fma_f64 v[11:12], v[1:2], v[7:8], v[84:85]
	scratch_store_b128 off, v[9:12], off offset:208
.LBB86_67:
	s_or_b32 exec_lo, exec_lo, s2
	s_waitcnt_vscnt null, 0x0
	s_barrier
	buffer_gl0_inv
	scratch_load_b128 v[1:4], v72, off
	s_mov_b32 s2, exec_lo
	s_waitcnt vmcnt(0)
	ds_store_b128 v5, v[1:4]
	s_waitcnt lgkmcnt(0)
	s_barrier
	buffer_gl0_inv
	v_cmpx_gt_u32_e32 14, v59
	s_cbranch_execz .LBB86_71
; %bb.68:
	v_dual_mov_b32 v1, 0 :: v_dual_add_nc_u32 v8, 0x170, v82
	v_dual_mov_b32 v2, 0 :: v_dual_add_nc_u32 v7, -1, v59
	v_or_b32_e32 v9, 8, v83
	s_mov_b32 s3, 0
	s_delay_alu instid0(VALU_DEP_2)
	v_dual_mov_b32 v4, v2 :: v_dual_mov_b32 v3, v1
	.p2align	6
.LBB86_69:                              ; =>This Inner Loop Header: Depth=1
	scratch_load_b128 v[84:87], v9, off offset:-8
	ds_load_b128 v[88:91], v8
	v_add_nc_u32_e32 v7, 1, v7
	v_add_nc_u32_e32 v8, 16, v8
	;; [unrolled: 1-line block ×3, first 2 shown]
	s_delay_alu instid0(VALU_DEP_3) | instskip(SKIP_4) | instid1(VALU_DEP_2)
	v_cmp_lt_u32_e32 vcc_lo, 12, v7
	s_or_b32 s3, vcc_lo, s3
	s_waitcnt vmcnt(0) lgkmcnt(0)
	v_mul_f64 v[10:11], v[90:91], v[86:87]
	v_mul_f64 v[86:87], v[88:89], v[86:87]
	v_fma_f64 v[10:11], v[88:89], v[84:85], -v[10:11]
	s_delay_alu instid0(VALU_DEP_2) | instskip(NEXT) | instid1(VALU_DEP_2)
	v_fma_f64 v[84:85], v[90:91], v[84:85], v[86:87]
	v_add_f64 v[3:4], v[3:4], v[10:11]
	s_delay_alu instid0(VALU_DEP_2)
	v_add_f64 v[1:2], v[1:2], v[84:85]
	s_and_not1_b32 exec_lo, exec_lo, s3
	s_cbranch_execnz .LBB86_69
; %bb.70:
	s_or_b32 exec_lo, exec_lo, s3
	v_mov_b32_e32 v7, 0
	ds_load_b128 v[7:10], v7 offset:224
	s_waitcnt lgkmcnt(0)
	v_mul_f64 v[11:12], v[1:2], v[9:10]
	v_mul_f64 v[84:85], v[3:4], v[9:10]
	s_delay_alu instid0(VALU_DEP_2) | instskip(NEXT) | instid1(VALU_DEP_2)
	v_fma_f64 v[9:10], v[3:4], v[7:8], -v[11:12]
	v_fma_f64 v[11:12], v[1:2], v[7:8], v[84:85]
	scratch_store_b128 off, v[9:12], off offset:224
.LBB86_71:
	s_or_b32 exec_lo, exec_lo, s2
	s_waitcnt_vscnt null, 0x0
	s_barrier
	buffer_gl0_inv
	scratch_load_b128 v[1:4], v73, off
	s_mov_b32 s2, exec_lo
	s_waitcnt vmcnt(0)
	ds_store_b128 v5, v[1:4]
	s_waitcnt lgkmcnt(0)
	s_barrier
	buffer_gl0_inv
	v_cmpx_gt_u32_e32 15, v59
	s_cbranch_execz .LBB86_75
; %bb.72:
	v_dual_mov_b32 v1, 0 :: v_dual_add_nc_u32 v8, 0x170, v82
	v_dual_mov_b32 v2, 0 :: v_dual_add_nc_u32 v7, -1, v59
	v_or_b32_e32 v9, 8, v83
	s_mov_b32 s3, 0
	s_delay_alu instid0(VALU_DEP_2)
	v_dual_mov_b32 v4, v2 :: v_dual_mov_b32 v3, v1
	.p2align	6
.LBB86_73:                              ; =>This Inner Loop Header: Depth=1
	scratch_load_b128 v[84:87], v9, off offset:-8
	ds_load_b128 v[88:91], v8
	v_add_nc_u32_e32 v7, 1, v7
	v_add_nc_u32_e32 v8, 16, v8
	;; [unrolled: 1-line block ×3, first 2 shown]
	s_delay_alu instid0(VALU_DEP_3) | instskip(SKIP_4) | instid1(VALU_DEP_2)
	v_cmp_lt_u32_e32 vcc_lo, 13, v7
	s_or_b32 s3, vcc_lo, s3
	s_waitcnt vmcnt(0) lgkmcnt(0)
	v_mul_f64 v[10:11], v[90:91], v[86:87]
	v_mul_f64 v[86:87], v[88:89], v[86:87]
	v_fma_f64 v[10:11], v[88:89], v[84:85], -v[10:11]
	s_delay_alu instid0(VALU_DEP_2) | instskip(NEXT) | instid1(VALU_DEP_2)
	v_fma_f64 v[84:85], v[90:91], v[84:85], v[86:87]
	v_add_f64 v[3:4], v[3:4], v[10:11]
	s_delay_alu instid0(VALU_DEP_2)
	v_add_f64 v[1:2], v[1:2], v[84:85]
	s_and_not1_b32 exec_lo, exec_lo, s3
	s_cbranch_execnz .LBB86_73
; %bb.74:
	s_or_b32 exec_lo, exec_lo, s3
	v_mov_b32_e32 v7, 0
	ds_load_b128 v[7:10], v7 offset:240
	s_waitcnt lgkmcnt(0)
	v_mul_f64 v[11:12], v[1:2], v[9:10]
	v_mul_f64 v[84:85], v[3:4], v[9:10]
	s_delay_alu instid0(VALU_DEP_2) | instskip(NEXT) | instid1(VALU_DEP_2)
	v_fma_f64 v[9:10], v[3:4], v[7:8], -v[11:12]
	v_fma_f64 v[11:12], v[1:2], v[7:8], v[84:85]
	scratch_store_b128 off, v[9:12], off offset:240
.LBB86_75:
	s_or_b32 exec_lo, exec_lo, s2
	s_waitcnt_vscnt null, 0x0
	s_barrier
	buffer_gl0_inv
	scratch_load_b128 v[1:4], v76, off
	s_mov_b32 s2, exec_lo
	s_waitcnt vmcnt(0)
	ds_store_b128 v5, v[1:4]
	s_waitcnt lgkmcnt(0)
	s_barrier
	buffer_gl0_inv
	v_cmpx_gt_u32_e32 16, v59
	s_cbranch_execz .LBB86_79
; %bb.76:
	v_dual_mov_b32 v1, 0 :: v_dual_add_nc_u32 v8, 0x170, v82
	v_dual_mov_b32 v2, 0 :: v_dual_add_nc_u32 v7, -1, v59
	v_or_b32_e32 v9, 8, v83
	s_mov_b32 s3, 0
	s_delay_alu instid0(VALU_DEP_2)
	v_dual_mov_b32 v4, v2 :: v_dual_mov_b32 v3, v1
	.p2align	6
.LBB86_77:                              ; =>This Inner Loop Header: Depth=1
	scratch_load_b128 v[84:87], v9, off offset:-8
	ds_load_b128 v[88:91], v8
	v_add_nc_u32_e32 v7, 1, v7
	v_add_nc_u32_e32 v8, 16, v8
	;; [unrolled: 1-line block ×3, first 2 shown]
	s_delay_alu instid0(VALU_DEP_3) | instskip(SKIP_4) | instid1(VALU_DEP_2)
	v_cmp_lt_u32_e32 vcc_lo, 14, v7
	s_or_b32 s3, vcc_lo, s3
	s_waitcnt vmcnt(0) lgkmcnt(0)
	v_mul_f64 v[10:11], v[90:91], v[86:87]
	v_mul_f64 v[86:87], v[88:89], v[86:87]
	v_fma_f64 v[10:11], v[88:89], v[84:85], -v[10:11]
	s_delay_alu instid0(VALU_DEP_2) | instskip(NEXT) | instid1(VALU_DEP_2)
	v_fma_f64 v[84:85], v[90:91], v[84:85], v[86:87]
	v_add_f64 v[3:4], v[3:4], v[10:11]
	s_delay_alu instid0(VALU_DEP_2)
	v_add_f64 v[1:2], v[1:2], v[84:85]
	s_and_not1_b32 exec_lo, exec_lo, s3
	s_cbranch_execnz .LBB86_77
; %bb.78:
	s_or_b32 exec_lo, exec_lo, s3
	v_mov_b32_e32 v7, 0
	ds_load_b128 v[7:10], v7 offset:256
	s_waitcnt lgkmcnt(0)
	v_mul_f64 v[11:12], v[1:2], v[9:10]
	v_mul_f64 v[84:85], v[3:4], v[9:10]
	s_delay_alu instid0(VALU_DEP_2) | instskip(NEXT) | instid1(VALU_DEP_2)
	v_fma_f64 v[9:10], v[3:4], v[7:8], -v[11:12]
	v_fma_f64 v[11:12], v[1:2], v[7:8], v[84:85]
	scratch_store_b128 off, v[9:12], off offset:256
.LBB86_79:
	s_or_b32 exec_lo, exec_lo, s2
	s_waitcnt_vscnt null, 0x0
	s_barrier
	buffer_gl0_inv
	scratch_load_b128 v[1:4], v75, off
	s_mov_b32 s2, exec_lo
	s_waitcnt vmcnt(0)
	ds_store_b128 v5, v[1:4]
	s_waitcnt lgkmcnt(0)
	s_barrier
	buffer_gl0_inv
	v_cmpx_gt_u32_e32 17, v59
	s_cbranch_execz .LBB86_83
; %bb.80:
	v_dual_mov_b32 v1, 0 :: v_dual_add_nc_u32 v8, 0x170, v82
	v_dual_mov_b32 v2, 0 :: v_dual_add_nc_u32 v7, -1, v59
	v_or_b32_e32 v9, 8, v83
	s_mov_b32 s3, 0
	s_delay_alu instid0(VALU_DEP_2)
	v_dual_mov_b32 v4, v2 :: v_dual_mov_b32 v3, v1
	.p2align	6
.LBB86_81:                              ; =>This Inner Loop Header: Depth=1
	scratch_load_b128 v[84:87], v9, off offset:-8
	ds_load_b128 v[88:91], v8
	v_add_nc_u32_e32 v7, 1, v7
	v_add_nc_u32_e32 v8, 16, v8
	;; [unrolled: 1-line block ×3, first 2 shown]
	s_delay_alu instid0(VALU_DEP_3) | instskip(SKIP_4) | instid1(VALU_DEP_2)
	v_cmp_lt_u32_e32 vcc_lo, 15, v7
	s_or_b32 s3, vcc_lo, s3
	s_waitcnt vmcnt(0) lgkmcnt(0)
	v_mul_f64 v[10:11], v[90:91], v[86:87]
	v_mul_f64 v[86:87], v[88:89], v[86:87]
	v_fma_f64 v[10:11], v[88:89], v[84:85], -v[10:11]
	s_delay_alu instid0(VALU_DEP_2) | instskip(NEXT) | instid1(VALU_DEP_2)
	v_fma_f64 v[84:85], v[90:91], v[84:85], v[86:87]
	v_add_f64 v[3:4], v[3:4], v[10:11]
	s_delay_alu instid0(VALU_DEP_2)
	v_add_f64 v[1:2], v[1:2], v[84:85]
	s_and_not1_b32 exec_lo, exec_lo, s3
	s_cbranch_execnz .LBB86_81
; %bb.82:
	s_or_b32 exec_lo, exec_lo, s3
	v_mov_b32_e32 v7, 0
	ds_load_b128 v[7:10], v7 offset:272
	s_waitcnt lgkmcnt(0)
	v_mul_f64 v[11:12], v[1:2], v[9:10]
	v_mul_f64 v[84:85], v[3:4], v[9:10]
	s_delay_alu instid0(VALU_DEP_2) | instskip(NEXT) | instid1(VALU_DEP_2)
	v_fma_f64 v[9:10], v[3:4], v[7:8], -v[11:12]
	v_fma_f64 v[11:12], v[1:2], v[7:8], v[84:85]
	scratch_store_b128 off, v[9:12], off offset:272
.LBB86_83:
	s_or_b32 exec_lo, exec_lo, s2
	s_waitcnt_vscnt null, 0x0
	s_barrier
	buffer_gl0_inv
	scratch_load_b128 v[1:4], v78, off
	s_mov_b32 s2, exec_lo
	s_waitcnt vmcnt(0)
	ds_store_b128 v5, v[1:4]
	s_waitcnt lgkmcnt(0)
	s_barrier
	buffer_gl0_inv
	v_cmpx_gt_u32_e32 18, v59
	s_cbranch_execz .LBB86_87
; %bb.84:
	v_dual_mov_b32 v1, 0 :: v_dual_add_nc_u32 v8, 0x170, v82
	v_dual_mov_b32 v2, 0 :: v_dual_add_nc_u32 v7, -1, v59
	v_or_b32_e32 v9, 8, v83
	s_mov_b32 s3, 0
	s_delay_alu instid0(VALU_DEP_2)
	v_dual_mov_b32 v4, v2 :: v_dual_mov_b32 v3, v1
	.p2align	6
.LBB86_85:                              ; =>This Inner Loop Header: Depth=1
	scratch_load_b128 v[84:87], v9, off offset:-8
	ds_load_b128 v[88:91], v8
	v_add_nc_u32_e32 v7, 1, v7
	v_add_nc_u32_e32 v8, 16, v8
	;; [unrolled: 1-line block ×3, first 2 shown]
	s_delay_alu instid0(VALU_DEP_3) | instskip(SKIP_4) | instid1(VALU_DEP_2)
	v_cmp_lt_u32_e32 vcc_lo, 16, v7
	s_or_b32 s3, vcc_lo, s3
	s_waitcnt vmcnt(0) lgkmcnt(0)
	v_mul_f64 v[10:11], v[90:91], v[86:87]
	v_mul_f64 v[86:87], v[88:89], v[86:87]
	v_fma_f64 v[10:11], v[88:89], v[84:85], -v[10:11]
	s_delay_alu instid0(VALU_DEP_2) | instskip(NEXT) | instid1(VALU_DEP_2)
	v_fma_f64 v[84:85], v[90:91], v[84:85], v[86:87]
	v_add_f64 v[3:4], v[3:4], v[10:11]
	s_delay_alu instid0(VALU_DEP_2)
	v_add_f64 v[1:2], v[1:2], v[84:85]
	s_and_not1_b32 exec_lo, exec_lo, s3
	s_cbranch_execnz .LBB86_85
; %bb.86:
	s_or_b32 exec_lo, exec_lo, s3
	v_mov_b32_e32 v7, 0
	ds_load_b128 v[7:10], v7 offset:288
	s_waitcnt lgkmcnt(0)
	v_mul_f64 v[11:12], v[1:2], v[9:10]
	v_mul_f64 v[84:85], v[3:4], v[9:10]
	s_delay_alu instid0(VALU_DEP_2) | instskip(NEXT) | instid1(VALU_DEP_2)
	v_fma_f64 v[9:10], v[3:4], v[7:8], -v[11:12]
	v_fma_f64 v[11:12], v[1:2], v[7:8], v[84:85]
	scratch_store_b128 off, v[9:12], off offset:288
.LBB86_87:
	s_or_b32 exec_lo, exec_lo, s2
	s_waitcnt_vscnt null, 0x0
	s_barrier
	buffer_gl0_inv
	scratch_load_b128 v[1:4], v77, off
	s_mov_b32 s2, exec_lo
	s_waitcnt vmcnt(0)
	ds_store_b128 v5, v[1:4]
	s_waitcnt lgkmcnt(0)
	s_barrier
	buffer_gl0_inv
	v_cmpx_gt_u32_e32 19, v59
	s_cbranch_execz .LBB86_91
; %bb.88:
	v_dual_mov_b32 v1, 0 :: v_dual_add_nc_u32 v8, 0x170, v82
	v_dual_mov_b32 v2, 0 :: v_dual_add_nc_u32 v7, -1, v59
	v_or_b32_e32 v9, 8, v83
	s_mov_b32 s3, 0
	s_delay_alu instid0(VALU_DEP_2)
	v_dual_mov_b32 v4, v2 :: v_dual_mov_b32 v3, v1
	.p2align	6
.LBB86_89:                              ; =>This Inner Loop Header: Depth=1
	scratch_load_b128 v[84:87], v9, off offset:-8
	ds_load_b128 v[88:91], v8
	v_add_nc_u32_e32 v7, 1, v7
	v_add_nc_u32_e32 v8, 16, v8
	;; [unrolled: 1-line block ×3, first 2 shown]
	s_delay_alu instid0(VALU_DEP_3) | instskip(SKIP_4) | instid1(VALU_DEP_2)
	v_cmp_lt_u32_e32 vcc_lo, 17, v7
	s_or_b32 s3, vcc_lo, s3
	s_waitcnt vmcnt(0) lgkmcnt(0)
	v_mul_f64 v[10:11], v[90:91], v[86:87]
	v_mul_f64 v[86:87], v[88:89], v[86:87]
	v_fma_f64 v[10:11], v[88:89], v[84:85], -v[10:11]
	s_delay_alu instid0(VALU_DEP_2) | instskip(NEXT) | instid1(VALU_DEP_2)
	v_fma_f64 v[84:85], v[90:91], v[84:85], v[86:87]
	v_add_f64 v[3:4], v[3:4], v[10:11]
	s_delay_alu instid0(VALU_DEP_2)
	v_add_f64 v[1:2], v[1:2], v[84:85]
	s_and_not1_b32 exec_lo, exec_lo, s3
	s_cbranch_execnz .LBB86_89
; %bb.90:
	s_or_b32 exec_lo, exec_lo, s3
	v_mov_b32_e32 v7, 0
	ds_load_b128 v[7:10], v7 offset:304
	s_waitcnt lgkmcnt(0)
	v_mul_f64 v[11:12], v[1:2], v[9:10]
	v_mul_f64 v[84:85], v[3:4], v[9:10]
	s_delay_alu instid0(VALU_DEP_2) | instskip(NEXT) | instid1(VALU_DEP_2)
	v_fma_f64 v[9:10], v[3:4], v[7:8], -v[11:12]
	v_fma_f64 v[11:12], v[1:2], v[7:8], v[84:85]
	scratch_store_b128 off, v[9:12], off offset:304
.LBB86_91:
	s_or_b32 exec_lo, exec_lo, s2
	s_waitcnt_vscnt null, 0x0
	s_barrier
	buffer_gl0_inv
	scratch_load_b128 v[1:4], v80, off
	s_mov_b32 s2, exec_lo
	s_waitcnt vmcnt(0)
	ds_store_b128 v5, v[1:4]
	s_waitcnt lgkmcnt(0)
	s_barrier
	buffer_gl0_inv
	v_cmpx_gt_u32_e32 20, v59
	s_cbranch_execz .LBB86_95
; %bb.92:
	v_dual_mov_b32 v1, 0 :: v_dual_add_nc_u32 v8, 0x170, v82
	v_dual_mov_b32 v2, 0 :: v_dual_add_nc_u32 v7, -1, v59
	v_or_b32_e32 v9, 8, v83
	s_mov_b32 s3, 0
	s_delay_alu instid0(VALU_DEP_2)
	v_dual_mov_b32 v4, v2 :: v_dual_mov_b32 v3, v1
	.p2align	6
.LBB86_93:                              ; =>This Inner Loop Header: Depth=1
	scratch_load_b128 v[84:87], v9, off offset:-8
	ds_load_b128 v[88:91], v8
	v_add_nc_u32_e32 v7, 1, v7
	v_add_nc_u32_e32 v8, 16, v8
	;; [unrolled: 1-line block ×3, first 2 shown]
	s_delay_alu instid0(VALU_DEP_3) | instskip(SKIP_4) | instid1(VALU_DEP_2)
	v_cmp_lt_u32_e32 vcc_lo, 18, v7
	s_or_b32 s3, vcc_lo, s3
	s_waitcnt vmcnt(0) lgkmcnt(0)
	v_mul_f64 v[10:11], v[90:91], v[86:87]
	v_mul_f64 v[86:87], v[88:89], v[86:87]
	v_fma_f64 v[10:11], v[88:89], v[84:85], -v[10:11]
	s_delay_alu instid0(VALU_DEP_2) | instskip(NEXT) | instid1(VALU_DEP_2)
	v_fma_f64 v[84:85], v[90:91], v[84:85], v[86:87]
	v_add_f64 v[3:4], v[3:4], v[10:11]
	s_delay_alu instid0(VALU_DEP_2)
	v_add_f64 v[1:2], v[1:2], v[84:85]
	s_and_not1_b32 exec_lo, exec_lo, s3
	s_cbranch_execnz .LBB86_93
; %bb.94:
	s_or_b32 exec_lo, exec_lo, s3
	v_mov_b32_e32 v7, 0
	ds_load_b128 v[7:10], v7 offset:320
	s_waitcnt lgkmcnt(0)
	v_mul_f64 v[11:12], v[1:2], v[9:10]
	v_mul_f64 v[84:85], v[3:4], v[9:10]
	s_delay_alu instid0(VALU_DEP_2) | instskip(NEXT) | instid1(VALU_DEP_2)
	v_fma_f64 v[9:10], v[3:4], v[7:8], -v[11:12]
	v_fma_f64 v[11:12], v[1:2], v[7:8], v[84:85]
	scratch_store_b128 off, v[9:12], off offset:320
.LBB86_95:
	s_or_b32 exec_lo, exec_lo, s2
	s_waitcnt_vscnt null, 0x0
	s_barrier
	buffer_gl0_inv
	scratch_load_b128 v[1:4], v81, off
	s_mov_b32 s2, exec_lo
	s_waitcnt vmcnt(0)
	ds_store_b128 v5, v[1:4]
	s_waitcnt lgkmcnt(0)
	s_barrier
	buffer_gl0_inv
	v_cmpx_gt_u32_e32 21, v59
	s_cbranch_execz .LBB86_99
; %bb.96:
	v_dual_mov_b32 v1, 0 :: v_dual_add_nc_u32 v8, 0x170, v82
	v_dual_mov_b32 v2, 0 :: v_dual_add_nc_u32 v7, -1, v59
	v_or_b32_e32 v9, 8, v83
	s_mov_b32 s3, 0
	s_delay_alu instid0(VALU_DEP_2)
	v_dual_mov_b32 v4, v2 :: v_dual_mov_b32 v3, v1
	.p2align	6
.LBB86_97:                              ; =>This Inner Loop Header: Depth=1
	scratch_load_b128 v[84:87], v9, off offset:-8
	ds_load_b128 v[88:91], v8
	v_add_nc_u32_e32 v7, 1, v7
	v_add_nc_u32_e32 v8, 16, v8
	;; [unrolled: 1-line block ×3, first 2 shown]
	s_delay_alu instid0(VALU_DEP_3) | instskip(SKIP_4) | instid1(VALU_DEP_2)
	v_cmp_lt_u32_e32 vcc_lo, 19, v7
	s_or_b32 s3, vcc_lo, s3
	s_waitcnt vmcnt(0) lgkmcnt(0)
	v_mul_f64 v[10:11], v[90:91], v[86:87]
	v_mul_f64 v[86:87], v[88:89], v[86:87]
	v_fma_f64 v[10:11], v[88:89], v[84:85], -v[10:11]
	s_delay_alu instid0(VALU_DEP_2) | instskip(NEXT) | instid1(VALU_DEP_2)
	v_fma_f64 v[84:85], v[90:91], v[84:85], v[86:87]
	v_add_f64 v[3:4], v[3:4], v[10:11]
	s_delay_alu instid0(VALU_DEP_2)
	v_add_f64 v[1:2], v[1:2], v[84:85]
	s_and_not1_b32 exec_lo, exec_lo, s3
	s_cbranch_execnz .LBB86_97
; %bb.98:
	s_or_b32 exec_lo, exec_lo, s3
	v_mov_b32_e32 v7, 0
	ds_load_b128 v[7:10], v7 offset:336
	s_waitcnt lgkmcnt(0)
	v_mul_f64 v[11:12], v[1:2], v[9:10]
	v_mul_f64 v[84:85], v[3:4], v[9:10]
	s_delay_alu instid0(VALU_DEP_2) | instskip(NEXT) | instid1(VALU_DEP_2)
	v_fma_f64 v[9:10], v[3:4], v[7:8], -v[11:12]
	v_fma_f64 v[11:12], v[1:2], v[7:8], v[84:85]
	scratch_store_b128 off, v[9:12], off offset:336
.LBB86_99:
	s_or_b32 exec_lo, exec_lo, s2
	s_waitcnt_vscnt null, 0x0
	s_barrier
	buffer_gl0_inv
	scratch_load_b128 v[1:4], v79, off
	s_mov_b32 s2, exec_lo
	s_waitcnt vmcnt(0)
	ds_store_b128 v5, v[1:4]
	s_waitcnt lgkmcnt(0)
	s_barrier
	buffer_gl0_inv
	v_cmpx_ne_u32_e32 22, v59
	s_cbranch_execz .LBB86_103
; %bb.100:
	v_mov_b32_e32 v1, 0
	v_mov_b32_e32 v2, 0
	v_or_b32_e32 v7, 8, v83
	s_mov_b32 s3, 0
	s_delay_alu instid0(VALU_DEP_2)
	v_dual_mov_b32 v4, v2 :: v_dual_mov_b32 v3, v1
	.p2align	6
.LBB86_101:                             ; =>This Inner Loop Header: Depth=1
	scratch_load_b128 v[8:11], v7, off offset:-8
	ds_load_b128 v[82:85], v5
	v_add_nc_u32_e32 v6, 1, v6
	v_add_nc_u32_e32 v5, 16, v5
	v_add_nc_u32_e32 v7, 16, v7
	s_delay_alu instid0(VALU_DEP_3) | instskip(SKIP_4) | instid1(VALU_DEP_2)
	v_cmp_lt_u32_e32 vcc_lo, 20, v6
	s_or_b32 s3, vcc_lo, s3
	s_waitcnt vmcnt(0) lgkmcnt(0)
	v_mul_f64 v[86:87], v[84:85], v[10:11]
	v_mul_f64 v[10:11], v[82:83], v[10:11]
	v_fma_f64 v[82:83], v[82:83], v[8:9], -v[86:87]
	s_delay_alu instid0(VALU_DEP_2) | instskip(NEXT) | instid1(VALU_DEP_2)
	v_fma_f64 v[8:9], v[84:85], v[8:9], v[10:11]
	v_add_f64 v[3:4], v[3:4], v[82:83]
	s_delay_alu instid0(VALU_DEP_2)
	v_add_f64 v[1:2], v[1:2], v[8:9]
	s_and_not1_b32 exec_lo, exec_lo, s3
	s_cbranch_execnz .LBB86_101
; %bb.102:
	s_or_b32 exec_lo, exec_lo, s3
	v_mov_b32_e32 v5, 0
	ds_load_b128 v[5:8], v5 offset:352
	s_waitcnt lgkmcnt(0)
	v_mul_f64 v[9:10], v[1:2], v[7:8]
	v_mul_f64 v[7:8], v[3:4], v[7:8]
	s_delay_alu instid0(VALU_DEP_2) | instskip(NEXT) | instid1(VALU_DEP_2)
	v_fma_f64 v[3:4], v[3:4], v[5:6], -v[9:10]
	v_fma_f64 v[5:6], v[1:2], v[5:6], v[7:8]
	scratch_store_b128 off, v[3:6], off offset:352
.LBB86_103:
	s_or_b32 exec_lo, exec_lo, s2
	s_mov_b32 s3, -1
	s_waitcnt_vscnt null, 0x0
	s_barrier
	buffer_gl0_inv
.LBB86_104:
	s_and_b32 vcc_lo, exec_lo, s3
	s_cbranch_vccz .LBB86_106
; %bb.105:
	s_lshl_b64 s[2:3], s[10:11], 2
	v_mov_b32_e32 v1, 0
	s_add_u32 s2, s6, s2
	s_addc_u32 s3, s7, s3
	global_load_b32 v1, v1, s[2:3]
	s_waitcnt vmcnt(0)
	v_cmp_ne_u32_e32 vcc_lo, 0, v1
	s_cbranch_vccz .LBB86_107
.LBB86_106:
	s_endpgm
.LBB86_107:
	v_lshl_add_u32 v5, v59, 4, 0x170
	s_mov_b32 s2, exec_lo
	v_cmpx_eq_u32_e32 22, v59
	s_cbranch_execz .LBB86_109
; %bb.108:
	scratch_load_b128 v[1:4], v81, off
	v_mov_b32_e32 v6, 0
	s_delay_alu instid0(VALU_DEP_1)
	v_mov_b32_e32 v7, v6
	v_mov_b32_e32 v8, v6
	;; [unrolled: 1-line block ×3, first 2 shown]
	scratch_store_b128 off, v[6:9], off offset:336
	s_waitcnt vmcnt(0)
	ds_store_b128 v5, v[1:4]
.LBB86_109:
	s_or_b32 exec_lo, exec_lo, s2
	s_waitcnt lgkmcnt(0)
	s_waitcnt_vscnt null, 0x0
	s_barrier
	buffer_gl0_inv
	s_clause 0x1
	scratch_load_b128 v[6:9], off, off offset:352
	scratch_load_b128 v[82:85], off, off offset:336
	v_mov_b32_e32 v1, 0
	s_mov_b32 s2, exec_lo
	ds_load_b128 v[86:89], v1 offset:720
	s_waitcnt vmcnt(1) lgkmcnt(0)
	v_mul_f64 v[2:3], v[88:89], v[8:9]
	v_mul_f64 v[8:9], v[86:87], v[8:9]
	s_delay_alu instid0(VALU_DEP_2) | instskip(NEXT) | instid1(VALU_DEP_2)
	v_fma_f64 v[2:3], v[86:87], v[6:7], -v[2:3]
	v_fma_f64 v[6:7], v[88:89], v[6:7], v[8:9]
	s_delay_alu instid0(VALU_DEP_2) | instskip(NEXT) | instid1(VALU_DEP_2)
	v_add_f64 v[2:3], v[2:3], 0
	v_add_f64 v[8:9], v[6:7], 0
	s_waitcnt vmcnt(0)
	s_delay_alu instid0(VALU_DEP_2) | instskip(NEXT) | instid1(VALU_DEP_2)
	v_add_f64 v[6:7], v[82:83], -v[2:3]
	v_add_f64 v[8:9], v[84:85], -v[8:9]
	scratch_store_b128 off, v[6:9], off offset:336
	v_cmpx_lt_u32_e32 20, v59
	s_cbranch_execz .LBB86_111
; %bb.110:
	scratch_load_b128 v[6:9], v80, off
	v_mov_b32_e32 v2, v1
	v_mov_b32_e32 v3, v1
	;; [unrolled: 1-line block ×3, first 2 shown]
	scratch_store_b128 off, v[1:4], off offset:320
	s_waitcnt vmcnt(0)
	ds_store_b128 v5, v[6:9]
.LBB86_111:
	s_or_b32 exec_lo, exec_lo, s2
	s_waitcnt lgkmcnt(0)
	s_waitcnt_vscnt null, 0x0
	s_barrier
	buffer_gl0_inv
	s_clause 0x2
	scratch_load_b128 v[6:9], off, off offset:336
	scratch_load_b128 v[82:85], off, off offset:352
	;; [unrolled: 1-line block ×3, first 2 shown]
	ds_load_b128 v[90:93], v1 offset:704
	ds_load_b128 v[1:4], v1 offset:720
	s_mov_b32 s2, exec_lo
	s_waitcnt vmcnt(2) lgkmcnt(1)
	v_mul_f64 v[10:11], v[92:93], v[8:9]
	v_mul_f64 v[8:9], v[90:91], v[8:9]
	s_waitcnt vmcnt(1) lgkmcnt(0)
	v_mul_f64 v[94:95], v[1:2], v[84:85]
	v_mul_f64 v[84:85], v[3:4], v[84:85]
	s_delay_alu instid0(VALU_DEP_4) | instskip(NEXT) | instid1(VALU_DEP_4)
	v_fma_f64 v[10:11], v[90:91], v[6:7], -v[10:11]
	v_fma_f64 v[6:7], v[92:93], v[6:7], v[8:9]
	s_delay_alu instid0(VALU_DEP_4) | instskip(NEXT) | instid1(VALU_DEP_4)
	v_fma_f64 v[3:4], v[3:4], v[82:83], v[94:95]
	v_fma_f64 v[1:2], v[1:2], v[82:83], -v[84:85]
	s_delay_alu instid0(VALU_DEP_4) | instskip(NEXT) | instid1(VALU_DEP_4)
	v_add_f64 v[8:9], v[10:11], 0
	v_add_f64 v[6:7], v[6:7], 0
	s_delay_alu instid0(VALU_DEP_2) | instskip(NEXT) | instid1(VALU_DEP_2)
	v_add_f64 v[1:2], v[8:9], v[1:2]
	v_add_f64 v[3:4], v[6:7], v[3:4]
	s_waitcnt vmcnt(0)
	s_delay_alu instid0(VALU_DEP_2) | instskip(NEXT) | instid1(VALU_DEP_2)
	v_add_f64 v[1:2], v[86:87], -v[1:2]
	v_add_f64 v[3:4], v[88:89], -v[3:4]
	scratch_store_b128 off, v[1:4], off offset:320
	v_cmpx_lt_u32_e32 19, v59
	s_cbranch_execz .LBB86_113
; %bb.112:
	scratch_load_b128 v[1:4], v77, off
	v_mov_b32_e32 v6, 0
	s_delay_alu instid0(VALU_DEP_1)
	v_mov_b32_e32 v7, v6
	v_mov_b32_e32 v8, v6
	;; [unrolled: 1-line block ×3, first 2 shown]
	scratch_store_b128 off, v[6:9], off offset:304
	s_waitcnt vmcnt(0)
	ds_store_b128 v5, v[1:4]
.LBB86_113:
	s_or_b32 exec_lo, exec_lo, s2
	s_waitcnt lgkmcnt(0)
	s_waitcnt_vscnt null, 0x0
	s_barrier
	buffer_gl0_inv
	s_clause 0x3
	scratch_load_b128 v[6:9], off, off offset:320
	scratch_load_b128 v[82:85], off, off offset:336
	;; [unrolled: 1-line block ×4, first 2 shown]
	v_mov_b32_e32 v1, 0
	ds_load_b128 v[94:97], v1 offset:688
	ds_load_b128 v[98:101], v1 offset:704
	s_mov_b32 s2, exec_lo
	s_waitcnt vmcnt(3) lgkmcnt(1)
	v_mul_f64 v[2:3], v[96:97], v[8:9]
	v_mul_f64 v[8:9], v[94:95], v[8:9]
	s_waitcnt vmcnt(2) lgkmcnt(0)
	v_mul_f64 v[10:11], v[98:99], v[84:85]
	v_mul_f64 v[84:85], v[100:101], v[84:85]
	s_delay_alu instid0(VALU_DEP_4) | instskip(NEXT) | instid1(VALU_DEP_4)
	v_fma_f64 v[2:3], v[94:95], v[6:7], -v[2:3]
	v_fma_f64 v[94:95], v[96:97], v[6:7], v[8:9]
	ds_load_b128 v[6:9], v1 offset:720
	v_fma_f64 v[10:11], v[100:101], v[82:83], v[10:11]
	v_fma_f64 v[82:83], v[98:99], v[82:83], -v[84:85]
	s_waitcnt vmcnt(1) lgkmcnt(0)
	v_mul_f64 v[96:97], v[6:7], v[88:89]
	v_mul_f64 v[88:89], v[8:9], v[88:89]
	v_add_f64 v[2:3], v[2:3], 0
	v_add_f64 v[84:85], v[94:95], 0
	s_delay_alu instid0(VALU_DEP_4) | instskip(NEXT) | instid1(VALU_DEP_4)
	v_fma_f64 v[8:9], v[8:9], v[86:87], v[96:97]
	v_fma_f64 v[6:7], v[6:7], v[86:87], -v[88:89]
	s_delay_alu instid0(VALU_DEP_4) | instskip(NEXT) | instid1(VALU_DEP_4)
	v_add_f64 v[2:3], v[2:3], v[82:83]
	v_add_f64 v[10:11], v[84:85], v[10:11]
	s_delay_alu instid0(VALU_DEP_2) | instskip(NEXT) | instid1(VALU_DEP_2)
	v_add_f64 v[2:3], v[2:3], v[6:7]
	v_add_f64 v[8:9], v[10:11], v[8:9]
	s_waitcnt vmcnt(0)
	s_delay_alu instid0(VALU_DEP_2) | instskip(NEXT) | instid1(VALU_DEP_2)
	v_add_f64 v[6:7], v[90:91], -v[2:3]
	v_add_f64 v[8:9], v[92:93], -v[8:9]
	scratch_store_b128 off, v[6:9], off offset:304
	v_cmpx_lt_u32_e32 18, v59
	s_cbranch_execz .LBB86_115
; %bb.114:
	scratch_load_b128 v[6:9], v78, off
	v_mov_b32_e32 v2, v1
	v_mov_b32_e32 v3, v1
	;; [unrolled: 1-line block ×3, first 2 shown]
	scratch_store_b128 off, v[1:4], off offset:288
	s_waitcnt vmcnt(0)
	ds_store_b128 v5, v[6:9]
.LBB86_115:
	s_or_b32 exec_lo, exec_lo, s2
	s_waitcnt lgkmcnt(0)
	s_waitcnt_vscnt null, 0x0
	s_barrier
	buffer_gl0_inv
	s_clause 0x4
	scratch_load_b128 v[6:9], off, off offset:304
	scratch_load_b128 v[82:85], off, off offset:320
	;; [unrolled: 1-line block ×5, first 2 shown]
	ds_load_b128 v[98:101], v1 offset:672
	ds_load_b128 v[102:105], v1 offset:688
	s_mov_b32 s2, exec_lo
	s_waitcnt vmcnt(4) lgkmcnt(1)
	v_mul_f64 v[2:3], v[100:101], v[8:9]
	v_mul_f64 v[8:9], v[98:99], v[8:9]
	s_waitcnt vmcnt(3) lgkmcnt(0)
	v_mul_f64 v[10:11], v[102:103], v[84:85]
	v_mul_f64 v[84:85], v[104:105], v[84:85]
	s_delay_alu instid0(VALU_DEP_4) | instskip(NEXT) | instid1(VALU_DEP_4)
	v_fma_f64 v[98:99], v[98:99], v[6:7], -v[2:3]
	v_fma_f64 v[100:101], v[100:101], v[6:7], v[8:9]
	ds_load_b128 v[6:9], v1 offset:704
	ds_load_b128 v[1:4], v1 offset:720
	v_fma_f64 v[10:11], v[104:105], v[82:83], v[10:11]
	v_fma_f64 v[82:83], v[102:103], v[82:83], -v[84:85]
	s_waitcnt vmcnt(2) lgkmcnt(1)
	v_mul_f64 v[106:107], v[6:7], v[88:89]
	v_mul_f64 v[88:89], v[8:9], v[88:89]
	v_add_f64 v[84:85], v[98:99], 0
	v_add_f64 v[98:99], v[100:101], 0
	s_waitcnt vmcnt(1) lgkmcnt(0)
	v_mul_f64 v[100:101], v[1:2], v[92:93]
	v_mul_f64 v[92:93], v[3:4], v[92:93]
	v_fma_f64 v[8:9], v[8:9], v[86:87], v[106:107]
	v_fma_f64 v[6:7], v[6:7], v[86:87], -v[88:89]
	v_add_f64 v[82:83], v[84:85], v[82:83]
	v_add_f64 v[10:11], v[98:99], v[10:11]
	v_fma_f64 v[3:4], v[3:4], v[90:91], v[100:101]
	v_fma_f64 v[1:2], v[1:2], v[90:91], -v[92:93]
	s_delay_alu instid0(VALU_DEP_4) | instskip(NEXT) | instid1(VALU_DEP_4)
	v_add_f64 v[6:7], v[82:83], v[6:7]
	v_add_f64 v[8:9], v[10:11], v[8:9]
	s_delay_alu instid0(VALU_DEP_2) | instskip(NEXT) | instid1(VALU_DEP_2)
	v_add_f64 v[1:2], v[6:7], v[1:2]
	v_add_f64 v[3:4], v[8:9], v[3:4]
	s_waitcnt vmcnt(0)
	s_delay_alu instid0(VALU_DEP_2) | instskip(NEXT) | instid1(VALU_DEP_2)
	v_add_f64 v[1:2], v[94:95], -v[1:2]
	v_add_f64 v[3:4], v[96:97], -v[3:4]
	scratch_store_b128 off, v[1:4], off offset:288
	v_cmpx_lt_u32_e32 17, v59
	s_cbranch_execz .LBB86_117
; %bb.116:
	scratch_load_b128 v[1:4], v75, off
	v_mov_b32_e32 v6, 0
	s_delay_alu instid0(VALU_DEP_1)
	v_mov_b32_e32 v7, v6
	v_mov_b32_e32 v8, v6
	v_mov_b32_e32 v9, v6
	scratch_store_b128 off, v[6:9], off offset:272
	s_waitcnt vmcnt(0)
	ds_store_b128 v5, v[1:4]
.LBB86_117:
	s_or_b32 exec_lo, exec_lo, s2
	s_waitcnt lgkmcnt(0)
	s_waitcnt_vscnt null, 0x0
	s_barrier
	buffer_gl0_inv
	s_clause 0x5
	scratch_load_b128 v[6:9], off, off offset:288
	scratch_load_b128 v[82:85], off, off offset:304
	;; [unrolled: 1-line block ×6, first 2 shown]
	v_mov_b32_e32 v1, 0
	ds_load_b128 v[102:105], v1 offset:656
	ds_load_b128 v[106:109], v1 offset:672
	s_mov_b32 s2, exec_lo
	s_waitcnt vmcnt(5) lgkmcnt(1)
	v_mul_f64 v[2:3], v[104:105], v[8:9]
	v_mul_f64 v[8:9], v[102:103], v[8:9]
	s_waitcnt vmcnt(4) lgkmcnt(0)
	v_mul_f64 v[10:11], v[106:107], v[84:85]
	v_mul_f64 v[84:85], v[108:109], v[84:85]
	s_delay_alu instid0(VALU_DEP_4) | instskip(NEXT) | instid1(VALU_DEP_4)
	v_fma_f64 v[2:3], v[102:103], v[6:7], -v[2:3]
	v_fma_f64 v[110:111], v[104:105], v[6:7], v[8:9]
	ds_load_b128 v[6:9], v1 offset:688
	ds_load_b128 v[102:105], v1 offset:704
	v_fma_f64 v[10:11], v[108:109], v[82:83], v[10:11]
	v_fma_f64 v[82:83], v[106:107], v[82:83], -v[84:85]
	s_waitcnt vmcnt(3) lgkmcnt(1)
	v_mul_f64 v[112:113], v[6:7], v[88:89]
	v_mul_f64 v[88:89], v[8:9], v[88:89]
	s_waitcnt vmcnt(2) lgkmcnt(0)
	v_mul_f64 v[106:107], v[102:103], v[92:93]
	v_mul_f64 v[92:93], v[104:105], v[92:93]
	v_add_f64 v[2:3], v[2:3], 0
	v_add_f64 v[84:85], v[110:111], 0
	v_fma_f64 v[108:109], v[8:9], v[86:87], v[112:113]
	v_fma_f64 v[86:87], v[6:7], v[86:87], -v[88:89]
	ds_load_b128 v[6:9], v1 offset:720
	v_fma_f64 v[88:89], v[104:105], v[90:91], v[106:107]
	v_fma_f64 v[90:91], v[102:103], v[90:91], -v[92:93]
	v_add_f64 v[2:3], v[2:3], v[82:83]
	v_add_f64 v[10:11], v[84:85], v[10:11]
	s_waitcnt vmcnt(1) lgkmcnt(0)
	v_mul_f64 v[82:83], v[6:7], v[96:97]
	v_mul_f64 v[84:85], v[8:9], v[96:97]
	s_delay_alu instid0(VALU_DEP_4) | instskip(NEXT) | instid1(VALU_DEP_4)
	v_add_f64 v[2:3], v[2:3], v[86:87]
	v_add_f64 v[10:11], v[10:11], v[108:109]
	s_delay_alu instid0(VALU_DEP_4) | instskip(NEXT) | instid1(VALU_DEP_4)
	v_fma_f64 v[8:9], v[8:9], v[94:95], v[82:83]
	v_fma_f64 v[6:7], v[6:7], v[94:95], -v[84:85]
	s_delay_alu instid0(VALU_DEP_4) | instskip(NEXT) | instid1(VALU_DEP_4)
	v_add_f64 v[2:3], v[2:3], v[90:91]
	v_add_f64 v[10:11], v[10:11], v[88:89]
	s_delay_alu instid0(VALU_DEP_2) | instskip(NEXT) | instid1(VALU_DEP_2)
	v_add_f64 v[2:3], v[2:3], v[6:7]
	v_add_f64 v[8:9], v[10:11], v[8:9]
	s_waitcnt vmcnt(0)
	s_delay_alu instid0(VALU_DEP_2) | instskip(NEXT) | instid1(VALU_DEP_2)
	v_add_f64 v[6:7], v[98:99], -v[2:3]
	v_add_f64 v[8:9], v[100:101], -v[8:9]
	scratch_store_b128 off, v[6:9], off offset:272
	v_cmpx_lt_u32_e32 16, v59
	s_cbranch_execz .LBB86_119
; %bb.118:
	scratch_load_b128 v[6:9], v76, off
	v_mov_b32_e32 v2, v1
	v_mov_b32_e32 v3, v1
	;; [unrolled: 1-line block ×3, first 2 shown]
	scratch_store_b128 off, v[1:4], off offset:256
	s_waitcnt vmcnt(0)
	ds_store_b128 v5, v[6:9]
.LBB86_119:
	s_or_b32 exec_lo, exec_lo, s2
	s_waitcnt lgkmcnt(0)
	s_waitcnt_vscnt null, 0x0
	s_barrier
	buffer_gl0_inv
	s_clause 0x5
	scratch_load_b128 v[6:9], off, off offset:272
	scratch_load_b128 v[82:85], off, off offset:288
	;; [unrolled: 1-line block ×6, first 2 shown]
	ds_load_b128 v[102:105], v1 offset:640
	ds_load_b128 v[110:113], v1 offset:656
	scratch_load_b128 v[106:109], off, off offset:256
	s_mov_b32 s2, exec_lo
	s_waitcnt vmcnt(6) lgkmcnt(1)
	v_mul_f64 v[2:3], v[104:105], v[8:9]
	v_mul_f64 v[8:9], v[102:103], v[8:9]
	s_waitcnt vmcnt(5) lgkmcnt(0)
	v_mul_f64 v[10:11], v[110:111], v[84:85]
	v_mul_f64 v[84:85], v[112:113], v[84:85]
	s_delay_alu instid0(VALU_DEP_4) | instskip(NEXT) | instid1(VALU_DEP_4)
	v_fma_f64 v[2:3], v[102:103], v[6:7], -v[2:3]
	v_fma_f64 v[114:115], v[104:105], v[6:7], v[8:9]
	ds_load_b128 v[6:9], v1 offset:672
	ds_load_b128 v[102:105], v1 offset:688
	v_fma_f64 v[10:11], v[112:113], v[82:83], v[10:11]
	v_fma_f64 v[82:83], v[110:111], v[82:83], -v[84:85]
	s_waitcnt vmcnt(4) lgkmcnt(1)
	v_mul_f64 v[116:117], v[6:7], v[88:89]
	v_mul_f64 v[88:89], v[8:9], v[88:89]
	s_waitcnt vmcnt(3) lgkmcnt(0)
	v_mul_f64 v[110:111], v[102:103], v[92:93]
	v_mul_f64 v[92:93], v[104:105], v[92:93]
	v_add_f64 v[2:3], v[2:3], 0
	v_add_f64 v[84:85], v[114:115], 0
	v_fma_f64 v[112:113], v[8:9], v[86:87], v[116:117]
	v_fma_f64 v[86:87], v[6:7], v[86:87], -v[88:89]
	s_delay_alu instid0(VALU_DEP_4) | instskip(NEXT) | instid1(VALU_DEP_4)
	v_add_f64 v[82:83], v[2:3], v[82:83]
	v_add_f64 v[10:11], v[84:85], v[10:11]
	ds_load_b128 v[6:9], v1 offset:704
	ds_load_b128 v[1:4], v1 offset:720
	s_waitcnt vmcnt(2) lgkmcnt(1)
	v_mul_f64 v[84:85], v[6:7], v[96:97]
	v_mul_f64 v[88:89], v[8:9], v[96:97]
	v_fma_f64 v[96:97], v[104:105], v[90:91], v[110:111]
	v_fma_f64 v[90:91], v[102:103], v[90:91], -v[92:93]
	s_waitcnt vmcnt(1) lgkmcnt(0)
	v_mul_f64 v[92:93], v[3:4], v[100:101]
	v_add_f64 v[82:83], v[82:83], v[86:87]
	v_add_f64 v[10:11], v[10:11], v[112:113]
	v_mul_f64 v[86:87], v[1:2], v[100:101]
	v_fma_f64 v[8:9], v[8:9], v[94:95], v[84:85]
	v_fma_f64 v[6:7], v[6:7], v[94:95], -v[88:89]
	v_fma_f64 v[1:2], v[1:2], v[98:99], -v[92:93]
	v_add_f64 v[82:83], v[82:83], v[90:91]
	v_add_f64 v[10:11], v[10:11], v[96:97]
	v_fma_f64 v[3:4], v[3:4], v[98:99], v[86:87]
	s_delay_alu instid0(VALU_DEP_3) | instskip(NEXT) | instid1(VALU_DEP_3)
	v_add_f64 v[6:7], v[82:83], v[6:7]
	v_add_f64 v[8:9], v[10:11], v[8:9]
	s_delay_alu instid0(VALU_DEP_2) | instskip(NEXT) | instid1(VALU_DEP_2)
	v_add_f64 v[1:2], v[6:7], v[1:2]
	v_add_f64 v[3:4], v[8:9], v[3:4]
	s_waitcnt vmcnt(0)
	s_delay_alu instid0(VALU_DEP_2) | instskip(NEXT) | instid1(VALU_DEP_2)
	v_add_f64 v[1:2], v[106:107], -v[1:2]
	v_add_f64 v[3:4], v[108:109], -v[3:4]
	scratch_store_b128 off, v[1:4], off offset:256
	v_cmpx_lt_u32_e32 15, v59
	s_cbranch_execz .LBB86_121
; %bb.120:
	scratch_load_b128 v[1:4], v73, off
	v_mov_b32_e32 v6, 0
	s_delay_alu instid0(VALU_DEP_1)
	v_mov_b32_e32 v7, v6
	v_mov_b32_e32 v8, v6
	;; [unrolled: 1-line block ×3, first 2 shown]
	scratch_store_b128 off, v[6:9], off offset:240
	s_waitcnt vmcnt(0)
	ds_store_b128 v5, v[1:4]
.LBB86_121:
	s_or_b32 exec_lo, exec_lo, s2
	s_waitcnt lgkmcnt(0)
	s_waitcnt_vscnt null, 0x0
	s_barrier
	buffer_gl0_inv
	s_clause 0x6
	scratch_load_b128 v[6:9], off, off offset:256
	scratch_load_b128 v[82:85], off, off offset:272
	;; [unrolled: 1-line block ×7, first 2 shown]
	v_mov_b32_e32 v1, 0
	scratch_load_b128 v[110:113], off, off offset:240
	s_mov_b32 s2, exec_lo
	ds_load_b128 v[106:109], v1 offset:624
	s_waitcnt vmcnt(7) lgkmcnt(0)
	v_mul_f64 v[2:3], v[108:109], v[8:9]
	v_mul_f64 v[114:115], v[106:107], v[8:9]
	ds_load_b128 v[8:11], v1 offset:640
	v_fma_f64 v[2:3], v[106:107], v[6:7], -v[2:3]
	v_fma_f64 v[6:7], v[108:109], v[6:7], v[114:115]
	ds_load_b128 v[106:109], v1 offset:656
	s_waitcnt vmcnt(6) lgkmcnt(1)
	v_mul_f64 v[116:117], v[8:9], v[84:85]
	v_mul_f64 v[84:85], v[10:11], v[84:85]
	s_waitcnt vmcnt(5) lgkmcnt(0)
	v_mul_f64 v[114:115], v[106:107], v[88:89]
	v_mul_f64 v[88:89], v[108:109], v[88:89]
	v_add_f64 v[2:3], v[2:3], 0
	v_fma_f64 v[10:11], v[10:11], v[82:83], v[116:117]
	v_fma_f64 v[82:83], v[8:9], v[82:83], -v[84:85]
	v_add_f64 v[84:85], v[6:7], 0
	ds_load_b128 v[6:9], v1 offset:672
	v_fma_f64 v[108:109], v[108:109], v[86:87], v[114:115]
	v_fma_f64 v[86:87], v[106:107], v[86:87], -v[88:89]
	v_add_f64 v[2:3], v[2:3], v[82:83]
	v_add_f64 v[10:11], v[84:85], v[10:11]
	ds_load_b128 v[82:85], v1 offset:688
	s_waitcnt vmcnt(4) lgkmcnt(1)
	v_mul_f64 v[116:117], v[6:7], v[92:93]
	v_mul_f64 v[92:93], v[8:9], v[92:93]
	s_waitcnt vmcnt(3) lgkmcnt(0)
	v_mul_f64 v[88:89], v[82:83], v[96:97]
	v_mul_f64 v[96:97], v[84:85], v[96:97]
	v_add_f64 v[2:3], v[2:3], v[86:87]
	v_add_f64 v[10:11], v[10:11], v[108:109]
	v_fma_f64 v[106:107], v[8:9], v[90:91], v[116:117]
	v_fma_f64 v[90:91], v[6:7], v[90:91], -v[92:93]
	ds_load_b128 v[6:9], v1 offset:704
	v_fma_f64 v[88:89], v[84:85], v[94:95], v[88:89]
	v_fma_f64 v[94:95], v[82:83], v[94:95], -v[96:97]
	ds_load_b128 v[82:85], v1 offset:720
	s_waitcnt vmcnt(2) lgkmcnt(1)
	v_mul_f64 v[86:87], v[6:7], v[100:101]
	v_mul_f64 v[92:93], v[8:9], v[100:101]
	v_add_f64 v[10:11], v[10:11], v[106:107]
	v_add_f64 v[2:3], v[2:3], v[90:91]
	s_waitcnt vmcnt(1) lgkmcnt(0)
	v_mul_f64 v[90:91], v[82:83], v[104:105]
	v_mul_f64 v[96:97], v[84:85], v[104:105]
	v_fma_f64 v[8:9], v[8:9], v[98:99], v[86:87]
	v_fma_f64 v[6:7], v[6:7], v[98:99], -v[92:93]
	v_add_f64 v[10:11], v[10:11], v[88:89]
	v_add_f64 v[2:3], v[2:3], v[94:95]
	v_fma_f64 v[84:85], v[84:85], v[102:103], v[90:91]
	v_fma_f64 v[82:83], v[82:83], v[102:103], -v[96:97]
	s_delay_alu instid0(VALU_DEP_3) | instskip(SKIP_1) | instid1(VALU_DEP_2)
	v_add_f64 v[2:3], v[2:3], v[6:7]
	v_add_f64 v[6:7], v[10:11], v[8:9]
	;; [unrolled: 1-line block ×3, first 2 shown]
	s_delay_alu instid0(VALU_DEP_2) | instskip(SKIP_1) | instid1(VALU_DEP_2)
	v_add_f64 v[8:9], v[6:7], v[84:85]
	s_waitcnt vmcnt(0)
	v_add_f64 v[6:7], v[110:111], -v[2:3]
	s_delay_alu instid0(VALU_DEP_2)
	v_add_f64 v[8:9], v[112:113], -v[8:9]
	scratch_store_b128 off, v[6:9], off offset:240
	v_cmpx_lt_u32_e32 14, v59
	s_cbranch_execz .LBB86_123
; %bb.122:
	scratch_load_b128 v[6:9], v72, off
	v_mov_b32_e32 v2, v1
	v_mov_b32_e32 v3, v1
	;; [unrolled: 1-line block ×3, first 2 shown]
	scratch_store_b128 off, v[1:4], off offset:224
	s_waitcnt vmcnt(0)
	ds_store_b128 v5, v[6:9]
.LBB86_123:
	s_or_b32 exec_lo, exec_lo, s2
	s_waitcnt lgkmcnt(0)
	s_waitcnt_vscnt null, 0x0
	s_barrier
	buffer_gl0_inv
	s_clause 0x7
	scratch_load_b128 v[6:9], off, off offset:240
	scratch_load_b128 v[82:85], off, off offset:256
	;; [unrolled: 1-line block ×8, first 2 shown]
	ds_load_b128 v[110:113], v1 offset:608
	s_mov_b32 s2, exec_lo
	s_waitcnt vmcnt(7) lgkmcnt(0)
	v_mul_f64 v[2:3], v[112:113], v[8:9]
	v_mul_f64 v[114:115], v[110:111], v[8:9]
	ds_load_b128 v[8:11], v1 offset:624
	v_fma_f64 v[2:3], v[110:111], v[6:7], -v[2:3]
	v_fma_f64 v[6:7], v[112:113], v[6:7], v[114:115]
	ds_load_b128 v[110:113], v1 offset:640
	s_waitcnt vmcnt(6) lgkmcnt(1)
	v_mul_f64 v[118:119], v[8:9], v[84:85]
	v_mul_f64 v[84:85], v[10:11], v[84:85]
	scratch_load_b128 v[114:117], off, off offset:224
	s_waitcnt vmcnt(6) lgkmcnt(0)
	v_mul_f64 v[120:121], v[110:111], v[88:89]
	v_mul_f64 v[88:89], v[112:113], v[88:89]
	v_add_f64 v[2:3], v[2:3], 0
	v_fma_f64 v[10:11], v[10:11], v[82:83], v[118:119]
	v_fma_f64 v[82:83], v[8:9], v[82:83], -v[84:85]
	v_add_f64 v[84:85], v[6:7], 0
	ds_load_b128 v[6:9], v1 offset:656
	v_fma_f64 v[112:113], v[112:113], v[86:87], v[120:121]
	v_fma_f64 v[86:87], v[110:111], v[86:87], -v[88:89]
	v_add_f64 v[2:3], v[2:3], v[82:83]
	v_add_f64 v[10:11], v[84:85], v[10:11]
	ds_load_b128 v[82:85], v1 offset:672
	s_waitcnt vmcnt(5) lgkmcnt(1)
	v_mul_f64 v[118:119], v[6:7], v[92:93]
	v_mul_f64 v[92:93], v[8:9], v[92:93]
	s_waitcnt vmcnt(4) lgkmcnt(0)
	v_mul_f64 v[88:89], v[82:83], v[96:97]
	v_mul_f64 v[96:97], v[84:85], v[96:97]
	v_add_f64 v[2:3], v[2:3], v[86:87]
	v_add_f64 v[10:11], v[10:11], v[112:113]
	v_fma_f64 v[110:111], v[8:9], v[90:91], v[118:119]
	v_fma_f64 v[90:91], v[6:7], v[90:91], -v[92:93]
	ds_load_b128 v[6:9], v1 offset:688
	v_fma_f64 v[88:89], v[84:85], v[94:95], v[88:89]
	v_fma_f64 v[94:95], v[82:83], v[94:95], -v[96:97]
	ds_load_b128 v[82:85], v1 offset:704
	s_waitcnt vmcnt(3) lgkmcnt(1)
	v_mul_f64 v[86:87], v[6:7], v[100:101]
	v_mul_f64 v[92:93], v[8:9], v[100:101]
	v_add_f64 v[10:11], v[10:11], v[110:111]
	v_add_f64 v[2:3], v[2:3], v[90:91]
	s_waitcnt vmcnt(2) lgkmcnt(0)
	v_mul_f64 v[90:91], v[82:83], v[104:105]
	v_mul_f64 v[96:97], v[84:85], v[104:105]
	v_fma_f64 v[8:9], v[8:9], v[98:99], v[86:87]
	v_fma_f64 v[6:7], v[6:7], v[98:99], -v[92:93]
	v_add_f64 v[10:11], v[10:11], v[88:89]
	v_add_f64 v[86:87], v[2:3], v[94:95]
	ds_load_b128 v[1:4], v1 offset:720
	v_fma_f64 v[84:85], v[84:85], v[102:103], v[90:91]
	v_fma_f64 v[82:83], v[82:83], v[102:103], -v[96:97]
	s_waitcnt vmcnt(1) lgkmcnt(0)
	v_mul_f64 v[88:89], v[1:2], v[108:109]
	v_mul_f64 v[92:93], v[3:4], v[108:109]
	v_add_f64 v[8:9], v[10:11], v[8:9]
	v_add_f64 v[6:7], v[86:87], v[6:7]
	s_delay_alu instid0(VALU_DEP_4) | instskip(NEXT) | instid1(VALU_DEP_4)
	v_fma_f64 v[3:4], v[3:4], v[106:107], v[88:89]
	v_fma_f64 v[1:2], v[1:2], v[106:107], -v[92:93]
	s_delay_alu instid0(VALU_DEP_4) | instskip(NEXT) | instid1(VALU_DEP_4)
	v_add_f64 v[8:9], v[8:9], v[84:85]
	v_add_f64 v[6:7], v[6:7], v[82:83]
	s_delay_alu instid0(VALU_DEP_2) | instskip(NEXT) | instid1(VALU_DEP_2)
	v_add_f64 v[3:4], v[8:9], v[3:4]
	v_add_f64 v[1:2], v[6:7], v[1:2]
	s_waitcnt vmcnt(0)
	s_delay_alu instid0(VALU_DEP_2) | instskip(NEXT) | instid1(VALU_DEP_2)
	v_add_f64 v[3:4], v[116:117], -v[3:4]
	v_add_f64 v[1:2], v[114:115], -v[1:2]
	scratch_store_b128 off, v[1:4], off offset:224
	v_cmpx_lt_u32_e32 13, v59
	s_cbranch_execz .LBB86_125
; %bb.124:
	scratch_load_b128 v[1:4], v74, off
	v_mov_b32_e32 v6, 0
	s_delay_alu instid0(VALU_DEP_1)
	v_mov_b32_e32 v7, v6
	v_mov_b32_e32 v8, v6
	;; [unrolled: 1-line block ×3, first 2 shown]
	scratch_store_b128 off, v[6:9], off offset:208
	s_waitcnt vmcnt(0)
	ds_store_b128 v5, v[1:4]
.LBB86_125:
	s_or_b32 exec_lo, exec_lo, s2
	s_waitcnt lgkmcnt(0)
	s_waitcnt_vscnt null, 0x0
	s_barrier
	buffer_gl0_inv
	s_clause 0x7
	scratch_load_b128 v[6:9], off, off offset:224
	scratch_load_b128 v[82:85], off, off offset:240
	scratch_load_b128 v[86:89], off, off offset:256
	scratch_load_b128 v[90:93], off, off offset:272
	scratch_load_b128 v[94:97], off, off offset:288
	scratch_load_b128 v[98:101], off, off offset:304
	scratch_load_b128 v[102:105], off, off offset:320
	scratch_load_b128 v[106:109], off, off offset:336
	v_mov_b32_e32 v1, 0
	s_mov_b32 s2, exec_lo
	ds_load_b128 v[110:113], v1 offset:592
	s_clause 0x1
	scratch_load_b128 v[114:117], off, off offset:352
	scratch_load_b128 v[118:121], off, off offset:208
	ds_load_b128 v[122:125], v1 offset:608
	s_waitcnt vmcnt(9) lgkmcnt(1)
	v_mul_f64 v[2:3], v[112:113], v[8:9]
	v_mul_f64 v[8:9], v[110:111], v[8:9]
	s_waitcnt vmcnt(8) lgkmcnt(0)
	v_mul_f64 v[10:11], v[122:123], v[84:85]
	v_mul_f64 v[84:85], v[124:125], v[84:85]
	s_delay_alu instid0(VALU_DEP_4) | instskip(NEXT) | instid1(VALU_DEP_4)
	v_fma_f64 v[2:3], v[110:111], v[6:7], -v[2:3]
	v_fma_f64 v[126:127], v[112:113], v[6:7], v[8:9]
	ds_load_b128 v[6:9], v1 offset:624
	ds_load_b128 v[110:113], v1 offset:640
	v_fma_f64 v[10:11], v[124:125], v[82:83], v[10:11]
	v_fma_f64 v[82:83], v[122:123], v[82:83], -v[84:85]
	s_waitcnt vmcnt(7) lgkmcnt(1)
	v_mul_f64 v[128:129], v[6:7], v[88:89]
	v_mul_f64 v[88:89], v[8:9], v[88:89]
	s_waitcnt vmcnt(6) lgkmcnt(0)
	v_mul_f64 v[122:123], v[110:111], v[92:93]
	v_mul_f64 v[92:93], v[112:113], v[92:93]
	v_add_f64 v[2:3], v[2:3], 0
	v_add_f64 v[84:85], v[126:127], 0
	v_fma_f64 v[124:125], v[8:9], v[86:87], v[128:129]
	v_fma_f64 v[86:87], v[6:7], v[86:87], -v[88:89]
	v_fma_f64 v[112:113], v[112:113], v[90:91], v[122:123]
	v_fma_f64 v[90:91], v[110:111], v[90:91], -v[92:93]
	v_add_f64 v[2:3], v[2:3], v[82:83]
	v_add_f64 v[10:11], v[84:85], v[10:11]
	ds_load_b128 v[6:9], v1 offset:656
	ds_load_b128 v[82:85], v1 offset:672
	s_waitcnt vmcnt(5) lgkmcnt(1)
	v_mul_f64 v[88:89], v[6:7], v[96:97]
	v_mul_f64 v[96:97], v[8:9], v[96:97]
	s_waitcnt vmcnt(4) lgkmcnt(0)
	v_mul_f64 v[92:93], v[82:83], v[100:101]
	v_mul_f64 v[100:101], v[84:85], v[100:101]
	v_add_f64 v[2:3], v[2:3], v[86:87]
	v_add_f64 v[10:11], v[10:11], v[124:125]
	v_fma_f64 v[110:111], v[8:9], v[94:95], v[88:89]
	v_fma_f64 v[94:95], v[6:7], v[94:95], -v[96:97]
	ds_load_b128 v[6:9], v1 offset:688
	ds_load_b128 v[86:89], v1 offset:704
	v_fma_f64 v[84:85], v[84:85], v[98:99], v[92:93]
	v_fma_f64 v[82:83], v[82:83], v[98:99], -v[100:101]
	v_add_f64 v[2:3], v[2:3], v[90:91]
	v_add_f64 v[10:11], v[10:11], v[112:113]
	s_waitcnt vmcnt(3) lgkmcnt(1)
	v_mul_f64 v[90:91], v[6:7], v[104:105]
	v_mul_f64 v[96:97], v[8:9], v[104:105]
	s_waitcnt vmcnt(2) lgkmcnt(0)
	v_mul_f64 v[92:93], v[86:87], v[108:109]
	v_add_f64 v[2:3], v[2:3], v[94:95]
	v_add_f64 v[10:11], v[10:11], v[110:111]
	v_mul_f64 v[94:95], v[88:89], v[108:109]
	v_fma_f64 v[90:91], v[8:9], v[102:103], v[90:91]
	v_fma_f64 v[96:97], v[6:7], v[102:103], -v[96:97]
	ds_load_b128 v[6:9], v1 offset:720
	v_fma_f64 v[88:89], v[88:89], v[106:107], v[92:93]
	v_add_f64 v[2:3], v[2:3], v[82:83]
	v_add_f64 v[10:11], v[10:11], v[84:85]
	s_waitcnt vmcnt(1) lgkmcnt(0)
	v_mul_f64 v[82:83], v[6:7], v[116:117]
	v_mul_f64 v[84:85], v[8:9], v[116:117]
	v_fma_f64 v[86:87], v[86:87], v[106:107], -v[94:95]
	v_add_f64 v[2:3], v[2:3], v[96:97]
	v_add_f64 v[10:11], v[10:11], v[90:91]
	v_fma_f64 v[8:9], v[8:9], v[114:115], v[82:83]
	v_fma_f64 v[6:7], v[6:7], v[114:115], -v[84:85]
	s_delay_alu instid0(VALU_DEP_4) | instskip(NEXT) | instid1(VALU_DEP_4)
	v_add_f64 v[2:3], v[2:3], v[86:87]
	v_add_f64 v[10:11], v[10:11], v[88:89]
	s_delay_alu instid0(VALU_DEP_2) | instskip(NEXT) | instid1(VALU_DEP_2)
	v_add_f64 v[2:3], v[2:3], v[6:7]
	v_add_f64 v[8:9], v[10:11], v[8:9]
	s_waitcnt vmcnt(0)
	s_delay_alu instid0(VALU_DEP_2) | instskip(NEXT) | instid1(VALU_DEP_2)
	v_add_f64 v[6:7], v[118:119], -v[2:3]
	v_add_f64 v[8:9], v[120:121], -v[8:9]
	scratch_store_b128 off, v[6:9], off offset:208
	v_cmpx_lt_u32_e32 12, v59
	s_cbranch_execz .LBB86_127
; %bb.126:
	scratch_load_b128 v[6:9], v65, off
	v_mov_b32_e32 v2, v1
	v_mov_b32_e32 v3, v1
	;; [unrolled: 1-line block ×3, first 2 shown]
	scratch_store_b128 off, v[1:4], off offset:192
	s_waitcnt vmcnt(0)
	ds_store_b128 v5, v[6:9]
.LBB86_127:
	s_or_b32 exec_lo, exec_lo, s2
	s_waitcnt lgkmcnt(0)
	s_waitcnt_vscnt null, 0x0
	s_barrier
	buffer_gl0_inv
	s_clause 0x8
	scratch_load_b128 v[6:9], off, off offset:208
	scratch_load_b128 v[82:85], off, off offset:224
	scratch_load_b128 v[86:89], off, off offset:240
	scratch_load_b128 v[90:93], off, off offset:256
	scratch_load_b128 v[94:97], off, off offset:272
	scratch_load_b128 v[98:101], off, off offset:288
	scratch_load_b128 v[102:105], off, off offset:304
	scratch_load_b128 v[106:109], off, off offset:320
	scratch_load_b128 v[110:113], off, off offset:336
	ds_load_b128 v[114:117], v1 offset:576
	ds_load_b128 v[118:121], v1 offset:592
	scratch_load_b128 v[122:125], off, off offset:192
	s_mov_b32 s2, exec_lo
	s_waitcnt vmcnt(9) lgkmcnt(1)
	v_mul_f64 v[2:3], v[116:117], v[8:9]
	v_mul_f64 v[126:127], v[114:115], v[8:9]
	scratch_load_b128 v[8:11], off, off offset:352
	s_waitcnt vmcnt(9) lgkmcnt(0)
	v_mul_f64 v[130:131], v[118:119], v[84:85]
	v_mul_f64 v[84:85], v[120:121], v[84:85]
	v_fma_f64 v[2:3], v[114:115], v[6:7], -v[2:3]
	v_fma_f64 v[6:7], v[116:117], v[6:7], v[126:127]
	ds_load_b128 v[114:117], v1 offset:608
	ds_load_b128 v[126:129], v1 offset:624
	v_fma_f64 v[120:121], v[120:121], v[82:83], v[130:131]
	v_fma_f64 v[82:83], v[118:119], v[82:83], -v[84:85]
	s_waitcnt vmcnt(8) lgkmcnt(1)
	v_mul_f64 v[132:133], v[114:115], v[88:89]
	v_mul_f64 v[88:89], v[116:117], v[88:89]
	s_waitcnt vmcnt(7) lgkmcnt(0)
	v_mul_f64 v[118:119], v[126:127], v[92:93]
	v_mul_f64 v[92:93], v[128:129], v[92:93]
	v_add_f64 v[2:3], v[2:3], 0
	v_add_f64 v[6:7], v[6:7], 0
	v_fma_f64 v[116:117], v[116:117], v[86:87], v[132:133]
	v_fma_f64 v[114:115], v[114:115], v[86:87], -v[88:89]
	v_fma_f64 v[118:119], v[128:129], v[90:91], v[118:119]
	v_fma_f64 v[90:91], v[126:127], v[90:91], -v[92:93]
	v_add_f64 v[2:3], v[2:3], v[82:83]
	v_add_f64 v[6:7], v[6:7], v[120:121]
	ds_load_b128 v[82:85], v1 offset:640
	ds_load_b128 v[86:89], v1 offset:656
	s_waitcnt vmcnt(6) lgkmcnt(1)
	v_mul_f64 v[120:121], v[82:83], v[96:97]
	v_mul_f64 v[96:97], v[84:85], v[96:97]
	v_add_f64 v[2:3], v[2:3], v[114:115]
	v_add_f64 v[6:7], v[6:7], v[116:117]
	s_waitcnt vmcnt(5) lgkmcnt(0)
	v_mul_f64 v[114:115], v[86:87], v[100:101]
	v_mul_f64 v[100:101], v[88:89], v[100:101]
	v_fma_f64 v[116:117], v[84:85], v[94:95], v[120:121]
	v_fma_f64 v[94:95], v[82:83], v[94:95], -v[96:97]
	v_add_f64 v[2:3], v[2:3], v[90:91]
	v_add_f64 v[6:7], v[6:7], v[118:119]
	ds_load_b128 v[82:85], v1 offset:672
	ds_load_b128 v[90:93], v1 offset:688
	v_fma_f64 v[88:89], v[88:89], v[98:99], v[114:115]
	v_fma_f64 v[86:87], v[86:87], v[98:99], -v[100:101]
	s_waitcnt vmcnt(4) lgkmcnt(1)
	v_mul_f64 v[96:97], v[82:83], v[104:105]
	v_mul_f64 v[104:105], v[84:85], v[104:105]
	s_waitcnt vmcnt(3) lgkmcnt(0)
	v_mul_f64 v[98:99], v[92:93], v[108:109]
	v_add_f64 v[2:3], v[2:3], v[94:95]
	v_add_f64 v[6:7], v[6:7], v[116:117]
	v_mul_f64 v[94:95], v[90:91], v[108:109]
	v_fma_f64 v[96:97], v[84:85], v[102:103], v[96:97]
	v_fma_f64 v[100:101], v[82:83], v[102:103], -v[104:105]
	v_fma_f64 v[90:91], v[90:91], v[106:107], -v[98:99]
	v_add_f64 v[86:87], v[2:3], v[86:87]
	v_add_f64 v[6:7], v[6:7], v[88:89]
	ds_load_b128 v[82:85], v1 offset:704
	ds_load_b128 v[1:4], v1 offset:720
	v_fma_f64 v[92:93], v[92:93], v[106:107], v[94:95]
	s_waitcnt vmcnt(2) lgkmcnt(1)
	v_mul_f64 v[88:89], v[82:83], v[112:113]
	v_mul_f64 v[102:103], v[84:85], v[112:113]
	v_add_f64 v[86:87], v[86:87], v[100:101]
	v_add_f64 v[6:7], v[6:7], v[96:97]
	s_waitcnt vmcnt(0) lgkmcnt(0)
	v_mul_f64 v[94:95], v[1:2], v[10:11]
	v_mul_f64 v[10:11], v[3:4], v[10:11]
	v_fma_f64 v[84:85], v[84:85], v[110:111], v[88:89]
	v_fma_f64 v[82:83], v[82:83], v[110:111], -v[102:103]
	v_add_f64 v[86:87], v[86:87], v[90:91]
	v_add_f64 v[6:7], v[6:7], v[92:93]
	v_fma_f64 v[3:4], v[3:4], v[8:9], v[94:95]
	v_fma_f64 v[1:2], v[1:2], v[8:9], -v[10:11]
	s_delay_alu instid0(VALU_DEP_4) | instskip(NEXT) | instid1(VALU_DEP_4)
	v_add_f64 v[8:9], v[86:87], v[82:83]
	v_add_f64 v[6:7], v[6:7], v[84:85]
	s_delay_alu instid0(VALU_DEP_2) | instskip(NEXT) | instid1(VALU_DEP_2)
	v_add_f64 v[1:2], v[8:9], v[1:2]
	v_add_f64 v[3:4], v[6:7], v[3:4]
	s_delay_alu instid0(VALU_DEP_2) | instskip(NEXT) | instid1(VALU_DEP_2)
	v_add_f64 v[1:2], v[122:123], -v[1:2]
	v_add_f64 v[3:4], v[124:125], -v[3:4]
	scratch_store_b128 off, v[1:4], off offset:192
	v_cmpx_lt_u32_e32 11, v59
	s_cbranch_execz .LBB86_129
; %bb.128:
	scratch_load_b128 v[1:4], v70, off
	v_mov_b32_e32 v6, 0
	s_delay_alu instid0(VALU_DEP_1)
	v_mov_b32_e32 v7, v6
	v_mov_b32_e32 v8, v6
	;; [unrolled: 1-line block ×3, first 2 shown]
	scratch_store_b128 off, v[6:9], off offset:176
	s_waitcnt vmcnt(0)
	ds_store_b128 v5, v[1:4]
.LBB86_129:
	s_or_b32 exec_lo, exec_lo, s2
	s_waitcnt lgkmcnt(0)
	s_waitcnt_vscnt null, 0x0
	s_barrier
	buffer_gl0_inv
	s_clause 0x7
	scratch_load_b128 v[6:9], off, off offset:192
	scratch_load_b128 v[82:85], off, off offset:208
	scratch_load_b128 v[86:89], off, off offset:224
	scratch_load_b128 v[90:93], off, off offset:240
	scratch_load_b128 v[94:97], off, off offset:256
	scratch_load_b128 v[98:101], off, off offset:272
	scratch_load_b128 v[102:105], off, off offset:288
	scratch_load_b128 v[106:109], off, off offset:304
	v_mov_b32_e32 v1, 0
	s_mov_b32 s2, exec_lo
	ds_load_b128 v[110:113], v1 offset:560
	s_clause 0x1
	scratch_load_b128 v[114:117], off, off offset:320
	scratch_load_b128 v[118:121], off, off offset:176
	ds_load_b128 v[122:125], v1 offset:576
	ds_load_b128 v[130:133], v1 offset:608
	s_waitcnt vmcnt(9) lgkmcnt(2)
	v_mul_f64 v[2:3], v[112:113], v[8:9]
	v_mul_f64 v[126:127], v[110:111], v[8:9]
	scratch_load_b128 v[8:11], off, off offset:336
	v_fma_f64 v[2:3], v[110:111], v[6:7], -v[2:3]
	v_fma_f64 v[6:7], v[112:113], v[6:7], v[126:127]
	scratch_load_b128 v[126:129], off, off offset:352
	ds_load_b128 v[110:113], v1 offset:592
	s_waitcnt vmcnt(10) lgkmcnt(2)
	v_mul_f64 v[134:135], v[122:123], v[84:85]
	v_mul_f64 v[84:85], v[124:125], v[84:85]
	s_waitcnt vmcnt(9) lgkmcnt(0)
	v_mul_f64 v[136:137], v[110:111], v[88:89]
	v_mul_f64 v[88:89], v[112:113], v[88:89]
	v_add_f64 v[2:3], v[2:3], 0
	v_add_f64 v[6:7], v[6:7], 0
	v_fma_f64 v[124:125], v[124:125], v[82:83], v[134:135]
	v_fma_f64 v[82:83], v[122:123], v[82:83], -v[84:85]
	s_waitcnt vmcnt(8)
	v_mul_f64 v[122:123], v[130:131], v[92:93]
	v_mul_f64 v[92:93], v[132:133], v[92:93]
	v_fma_f64 v[112:113], v[112:113], v[86:87], v[136:137]
	v_fma_f64 v[110:111], v[110:111], v[86:87], -v[88:89]
	v_add_f64 v[6:7], v[6:7], v[124:125]
	v_add_f64 v[2:3], v[2:3], v[82:83]
	ds_load_b128 v[82:85], v1 offset:624
	ds_load_b128 v[86:89], v1 offset:640
	v_fma_f64 v[122:123], v[132:133], v[90:91], v[122:123]
	v_fma_f64 v[90:91], v[130:131], v[90:91], -v[92:93]
	s_waitcnt vmcnt(7) lgkmcnt(1)
	v_mul_f64 v[124:125], v[82:83], v[96:97]
	v_mul_f64 v[96:97], v[84:85], v[96:97]
	v_add_f64 v[6:7], v[6:7], v[112:113]
	v_add_f64 v[2:3], v[2:3], v[110:111]
	s_waitcnt vmcnt(6) lgkmcnt(0)
	v_mul_f64 v[110:111], v[86:87], v[100:101]
	v_mul_f64 v[100:101], v[88:89], v[100:101]
	v_fma_f64 v[112:113], v[84:85], v[94:95], v[124:125]
	v_fma_f64 v[94:95], v[82:83], v[94:95], -v[96:97]
	v_add_f64 v[6:7], v[6:7], v[122:123]
	v_add_f64 v[2:3], v[2:3], v[90:91]
	ds_load_b128 v[82:85], v1 offset:656
	ds_load_b128 v[90:93], v1 offset:672
	v_fma_f64 v[88:89], v[88:89], v[98:99], v[110:111]
	v_fma_f64 v[86:87], v[86:87], v[98:99], -v[100:101]
	s_waitcnt vmcnt(5) lgkmcnt(1)
	v_mul_f64 v[96:97], v[82:83], v[104:105]
	v_mul_f64 v[104:105], v[84:85], v[104:105]
	s_waitcnt vmcnt(4) lgkmcnt(0)
	v_mul_f64 v[98:99], v[92:93], v[108:109]
	v_add_f64 v[6:7], v[6:7], v[112:113]
	v_add_f64 v[2:3], v[2:3], v[94:95]
	v_mul_f64 v[94:95], v[90:91], v[108:109]
	v_fma_f64 v[96:97], v[84:85], v[102:103], v[96:97]
	v_fma_f64 v[100:101], v[82:83], v[102:103], -v[104:105]
	v_fma_f64 v[90:91], v[90:91], v[106:107], -v[98:99]
	v_add_f64 v[6:7], v[6:7], v[88:89]
	v_add_f64 v[2:3], v[2:3], v[86:87]
	ds_load_b128 v[82:85], v1 offset:688
	ds_load_b128 v[86:89], v1 offset:704
	v_fma_f64 v[92:93], v[92:93], v[106:107], v[94:95]
	s_waitcnt vmcnt(3) lgkmcnt(1)
	v_mul_f64 v[102:103], v[82:83], v[116:117]
	v_mul_f64 v[104:105], v[84:85], v[116:117]
	v_add_f64 v[6:7], v[6:7], v[96:97]
	v_add_f64 v[2:3], v[2:3], v[100:101]
	s_waitcnt vmcnt(1) lgkmcnt(0)
	v_mul_f64 v[94:95], v[86:87], v[10:11]
	v_mul_f64 v[10:11], v[88:89], v[10:11]
	v_fma_f64 v[96:97], v[84:85], v[114:115], v[102:103]
	v_fma_f64 v[98:99], v[82:83], v[114:115], -v[104:105]
	ds_load_b128 v[82:85], v1 offset:720
	v_add_f64 v[6:7], v[6:7], v[92:93]
	v_add_f64 v[2:3], v[2:3], v[90:91]
	s_waitcnt vmcnt(0) lgkmcnt(0)
	v_mul_f64 v[90:91], v[82:83], v[128:129]
	v_mul_f64 v[92:93], v[84:85], v[128:129]
	v_fma_f64 v[88:89], v[88:89], v[8:9], v[94:95]
	v_fma_f64 v[8:9], v[86:87], v[8:9], -v[10:11]
	v_add_f64 v[6:7], v[6:7], v[96:97]
	v_add_f64 v[2:3], v[2:3], v[98:99]
	v_fma_f64 v[10:11], v[84:85], v[126:127], v[90:91]
	v_fma_f64 v[82:83], v[82:83], v[126:127], -v[92:93]
	s_delay_alu instid0(VALU_DEP_4) | instskip(NEXT) | instid1(VALU_DEP_4)
	v_add_f64 v[6:7], v[6:7], v[88:89]
	v_add_f64 v[2:3], v[2:3], v[8:9]
	s_delay_alu instid0(VALU_DEP_2) | instskip(NEXT) | instid1(VALU_DEP_2)
	v_add_f64 v[8:9], v[6:7], v[10:11]
	v_add_f64 v[2:3], v[2:3], v[82:83]
	s_delay_alu instid0(VALU_DEP_2) | instskip(NEXT) | instid1(VALU_DEP_2)
	v_add_f64 v[8:9], v[120:121], -v[8:9]
	v_add_f64 v[6:7], v[118:119], -v[2:3]
	scratch_store_b128 off, v[6:9], off offset:176
	v_cmpx_lt_u32_e32 10, v59
	s_cbranch_execz .LBB86_131
; %bb.130:
	scratch_load_b128 v[6:9], v66, off
	v_mov_b32_e32 v2, v1
	v_mov_b32_e32 v3, v1
	;; [unrolled: 1-line block ×3, first 2 shown]
	scratch_store_b128 off, v[1:4], off offset:160
	s_waitcnt vmcnt(0)
	ds_store_b128 v5, v[6:9]
.LBB86_131:
	s_or_b32 exec_lo, exec_lo, s2
	s_waitcnt lgkmcnt(0)
	s_waitcnt_vscnt null, 0x0
	s_barrier
	buffer_gl0_inv
	s_clause 0x8
	scratch_load_b128 v[6:9], off, off offset:176
	scratch_load_b128 v[82:85], off, off offset:192
	;; [unrolled: 1-line block ×9, first 2 shown]
	ds_load_b128 v[114:117], v1 offset:544
	ds_load_b128 v[118:121], v1 offset:560
	scratch_load_b128 v[122:125], off, off offset:160
	s_mov_b32 s2, exec_lo
	ds_load_b128 v[130:133], v1 offset:592
	s_waitcnt vmcnt(9) lgkmcnt(2)
	v_mul_f64 v[2:3], v[116:117], v[8:9]
	v_mul_f64 v[126:127], v[114:115], v[8:9]
	scratch_load_b128 v[8:11], off, off offset:320
	s_waitcnt vmcnt(9) lgkmcnt(1)
	v_mul_f64 v[134:135], v[118:119], v[84:85]
	v_mul_f64 v[84:85], v[120:121], v[84:85]
	v_fma_f64 v[2:3], v[114:115], v[6:7], -v[2:3]
	v_fma_f64 v[6:7], v[116:117], v[6:7], v[126:127]
	ds_load_b128 v[114:117], v1 offset:576
	scratch_load_b128 v[126:129], off, off offset:336
	v_fma_f64 v[120:121], v[120:121], v[82:83], v[134:135]
	v_fma_f64 v[118:119], v[118:119], v[82:83], -v[84:85]
	scratch_load_b128 v[82:85], off, off offset:352
	s_waitcnt vmcnt(9) lgkmcnt(1)
	v_mul_f64 v[134:135], v[130:131], v[92:93]
	v_mul_f64 v[92:93], v[132:133], v[92:93]
	s_waitcnt lgkmcnt(0)
	v_mul_f64 v[136:137], v[114:115], v[88:89]
	v_mul_f64 v[88:89], v[116:117], v[88:89]
	v_add_f64 v[2:3], v[2:3], 0
	v_add_f64 v[6:7], v[6:7], 0
	s_delay_alu instid0(VALU_DEP_4) | instskip(NEXT) | instid1(VALU_DEP_4)
	v_fma_f64 v[136:137], v[116:117], v[86:87], v[136:137]
	v_fma_f64 v[138:139], v[114:115], v[86:87], -v[88:89]
	ds_load_b128 v[86:89], v1 offset:608
	ds_load_b128 v[114:117], v1 offset:624
	v_add_f64 v[2:3], v[2:3], v[118:119]
	v_add_f64 v[6:7], v[6:7], v[120:121]
	v_fma_f64 v[120:121], v[132:133], v[90:91], v[134:135]
	v_fma_f64 v[90:91], v[130:131], v[90:91], -v[92:93]
	s_waitcnt vmcnt(8) lgkmcnt(1)
	v_mul_f64 v[118:119], v[86:87], v[96:97]
	v_mul_f64 v[96:97], v[88:89], v[96:97]
	s_waitcnt vmcnt(7) lgkmcnt(0)
	v_mul_f64 v[130:131], v[114:115], v[100:101]
	v_mul_f64 v[100:101], v[116:117], v[100:101]
	v_add_f64 v[2:3], v[2:3], v[138:139]
	v_add_f64 v[6:7], v[6:7], v[136:137]
	v_fma_f64 v[118:119], v[88:89], v[94:95], v[118:119]
	v_fma_f64 v[94:95], v[86:87], v[94:95], -v[96:97]
	v_fma_f64 v[116:117], v[116:117], v[98:99], v[130:131]
	v_fma_f64 v[98:99], v[114:115], v[98:99], -v[100:101]
	v_add_f64 v[2:3], v[2:3], v[90:91]
	v_add_f64 v[6:7], v[6:7], v[120:121]
	ds_load_b128 v[86:89], v1 offset:640
	ds_load_b128 v[90:93], v1 offset:656
	s_waitcnt vmcnt(6) lgkmcnt(1)
	v_mul_f64 v[96:97], v[86:87], v[104:105]
	v_mul_f64 v[104:105], v[88:89], v[104:105]
	s_waitcnt vmcnt(5) lgkmcnt(0)
	v_mul_f64 v[100:101], v[90:91], v[108:109]
	v_mul_f64 v[108:109], v[92:93], v[108:109]
	v_add_f64 v[2:3], v[2:3], v[94:95]
	v_add_f64 v[6:7], v[6:7], v[118:119]
	v_fma_f64 v[114:115], v[88:89], v[102:103], v[96:97]
	v_fma_f64 v[102:103], v[86:87], v[102:103], -v[104:105]
	ds_load_b128 v[86:89], v1 offset:672
	ds_load_b128 v[94:97], v1 offset:688
	v_fma_f64 v[92:93], v[92:93], v[106:107], v[100:101]
	v_fma_f64 v[90:91], v[90:91], v[106:107], -v[108:109]
	v_add_f64 v[2:3], v[2:3], v[98:99]
	v_add_f64 v[6:7], v[6:7], v[116:117]
	s_waitcnt vmcnt(4) lgkmcnt(1)
	v_mul_f64 v[98:99], v[86:87], v[112:113]
	v_mul_f64 v[104:105], v[88:89], v[112:113]
	s_delay_alu instid0(VALU_DEP_4) | instskip(NEXT) | instid1(VALU_DEP_4)
	v_add_f64 v[2:3], v[2:3], v[102:103]
	v_add_f64 v[6:7], v[6:7], v[114:115]
	s_delay_alu instid0(VALU_DEP_4) | instskip(NEXT) | instid1(VALU_DEP_4)
	v_fma_f64 v[98:99], v[88:89], v[110:111], v[98:99]
	v_fma_f64 v[102:103], v[86:87], v[110:111], -v[104:105]
	s_waitcnt vmcnt(2) lgkmcnt(0)
	v_mul_f64 v[100:101], v[94:95], v[10:11]
	v_mul_f64 v[10:11], v[96:97], v[10:11]
	v_add_f64 v[90:91], v[2:3], v[90:91]
	v_add_f64 v[6:7], v[6:7], v[92:93]
	ds_load_b128 v[86:89], v1 offset:704
	ds_load_b128 v[1:4], v1 offset:720
	v_fma_f64 v[96:97], v[96:97], v[8:9], v[100:101]
	v_fma_f64 v[8:9], v[94:95], v[8:9], -v[10:11]
	s_waitcnt vmcnt(1) lgkmcnt(1)
	v_mul_f64 v[92:93], v[86:87], v[128:129]
	v_mul_f64 v[104:105], v[88:89], v[128:129]
	v_add_f64 v[10:11], v[90:91], v[102:103]
	v_add_f64 v[6:7], v[6:7], v[98:99]
	s_waitcnt vmcnt(0) lgkmcnt(0)
	v_mul_f64 v[90:91], v[1:2], v[84:85]
	v_mul_f64 v[84:85], v[3:4], v[84:85]
	v_fma_f64 v[88:89], v[88:89], v[126:127], v[92:93]
	v_fma_f64 v[86:87], v[86:87], v[126:127], -v[104:105]
	v_add_f64 v[8:9], v[10:11], v[8:9]
	v_add_f64 v[6:7], v[6:7], v[96:97]
	v_fma_f64 v[3:4], v[3:4], v[82:83], v[90:91]
	v_fma_f64 v[1:2], v[1:2], v[82:83], -v[84:85]
	s_delay_alu instid0(VALU_DEP_4) | instskip(NEXT) | instid1(VALU_DEP_4)
	v_add_f64 v[8:9], v[8:9], v[86:87]
	v_add_f64 v[6:7], v[6:7], v[88:89]
	s_delay_alu instid0(VALU_DEP_2) | instskip(NEXT) | instid1(VALU_DEP_2)
	v_add_f64 v[1:2], v[8:9], v[1:2]
	v_add_f64 v[3:4], v[6:7], v[3:4]
	s_delay_alu instid0(VALU_DEP_2) | instskip(NEXT) | instid1(VALU_DEP_2)
	v_add_f64 v[1:2], v[122:123], -v[1:2]
	v_add_f64 v[3:4], v[124:125], -v[3:4]
	scratch_store_b128 off, v[1:4], off offset:160
	v_cmpx_lt_u32_e32 9, v59
	s_cbranch_execz .LBB86_133
; %bb.132:
	scratch_load_b128 v[1:4], v71, off
	v_mov_b32_e32 v6, 0
	s_delay_alu instid0(VALU_DEP_1)
	v_mov_b32_e32 v7, v6
	v_mov_b32_e32 v8, v6
	;; [unrolled: 1-line block ×3, first 2 shown]
	scratch_store_b128 off, v[6:9], off offset:144
	s_waitcnt vmcnt(0)
	ds_store_b128 v5, v[1:4]
.LBB86_133:
	s_or_b32 exec_lo, exec_lo, s2
	s_waitcnt lgkmcnt(0)
	s_waitcnt_vscnt null, 0x0
	s_barrier
	buffer_gl0_inv
	s_clause 0x7
	scratch_load_b128 v[6:9], off, off offset:160
	scratch_load_b128 v[82:85], off, off offset:176
	;; [unrolled: 1-line block ×8, first 2 shown]
	v_mov_b32_e32 v1, 0
	s_mov_b32 s2, exec_lo
	ds_load_b128 v[110:113], v1 offset:528
	s_clause 0x1
	scratch_load_b128 v[114:117], off, off offset:288
	scratch_load_b128 v[118:121], off, off offset:144
	ds_load_b128 v[122:125], v1 offset:544
	ds_load_b128 v[130:133], v1 offset:576
	s_waitcnt vmcnt(9) lgkmcnt(2)
	v_mul_f64 v[2:3], v[112:113], v[8:9]
	v_mul_f64 v[126:127], v[110:111], v[8:9]
	scratch_load_b128 v[8:11], off, off offset:304
	v_fma_f64 v[2:3], v[110:111], v[6:7], -v[2:3]
	v_fma_f64 v[6:7], v[112:113], v[6:7], v[126:127]
	scratch_load_b128 v[126:129], off, off offset:320
	ds_load_b128 v[110:113], v1 offset:560
	s_waitcnt vmcnt(10) lgkmcnt(2)
	v_mul_f64 v[134:135], v[122:123], v[84:85]
	v_mul_f64 v[84:85], v[124:125], v[84:85]
	s_waitcnt vmcnt(9) lgkmcnt(0)
	v_mul_f64 v[136:137], v[110:111], v[88:89]
	v_mul_f64 v[88:89], v[112:113], v[88:89]
	v_add_f64 v[2:3], v[2:3], 0
	v_add_f64 v[6:7], v[6:7], 0
	v_fma_f64 v[124:125], v[124:125], v[82:83], v[134:135]
	v_fma_f64 v[122:123], v[122:123], v[82:83], -v[84:85]
	scratch_load_b128 v[82:85], off, off offset:336
	v_fma_f64 v[136:137], v[112:113], v[86:87], v[136:137]
	v_fma_f64 v[138:139], v[110:111], v[86:87], -v[88:89]
	scratch_load_b128 v[110:113], off, off offset:352
	ds_load_b128 v[86:89], v1 offset:592
	s_waitcnt vmcnt(10)
	v_mul_f64 v[134:135], v[130:131], v[92:93]
	v_mul_f64 v[92:93], v[132:133], v[92:93]
	v_add_f64 v[6:7], v[6:7], v[124:125]
	v_add_f64 v[2:3], v[2:3], v[122:123]
	ds_load_b128 v[122:125], v1 offset:608
	s_waitcnt vmcnt(9) lgkmcnt(1)
	v_mul_f64 v[140:141], v[86:87], v[96:97]
	v_mul_f64 v[96:97], v[88:89], v[96:97]
	v_fma_f64 v[132:133], v[132:133], v[90:91], v[134:135]
	v_fma_f64 v[90:91], v[130:131], v[90:91], -v[92:93]
	s_waitcnt vmcnt(8) lgkmcnt(0)
	v_mul_f64 v[130:131], v[122:123], v[100:101]
	v_mul_f64 v[100:101], v[124:125], v[100:101]
	v_add_f64 v[6:7], v[6:7], v[136:137]
	v_add_f64 v[2:3], v[2:3], v[138:139]
	v_fma_f64 v[134:135], v[88:89], v[94:95], v[140:141]
	v_fma_f64 v[94:95], v[86:87], v[94:95], -v[96:97]
	v_fma_f64 v[124:125], v[124:125], v[98:99], v[130:131]
	v_fma_f64 v[98:99], v[122:123], v[98:99], -v[100:101]
	v_add_f64 v[6:7], v[6:7], v[132:133]
	v_add_f64 v[2:3], v[2:3], v[90:91]
	ds_load_b128 v[86:89], v1 offset:624
	ds_load_b128 v[90:93], v1 offset:640
	s_waitcnt vmcnt(7) lgkmcnt(1)
	v_mul_f64 v[96:97], v[86:87], v[104:105]
	v_mul_f64 v[104:105], v[88:89], v[104:105]
	s_waitcnt vmcnt(6) lgkmcnt(0)
	v_mul_f64 v[100:101], v[90:91], v[108:109]
	v_mul_f64 v[108:109], v[92:93], v[108:109]
	v_add_f64 v[6:7], v[6:7], v[134:135]
	v_add_f64 v[2:3], v[2:3], v[94:95]
	v_fma_f64 v[122:123], v[88:89], v[102:103], v[96:97]
	v_fma_f64 v[102:103], v[86:87], v[102:103], -v[104:105]
	ds_load_b128 v[86:89], v1 offset:656
	ds_load_b128 v[94:97], v1 offset:672
	v_fma_f64 v[92:93], v[92:93], v[106:107], v[100:101]
	v_fma_f64 v[90:91], v[90:91], v[106:107], -v[108:109]
	v_add_f64 v[6:7], v[6:7], v[124:125]
	v_add_f64 v[2:3], v[2:3], v[98:99]
	s_waitcnt vmcnt(5) lgkmcnt(1)
	v_mul_f64 v[98:99], v[86:87], v[116:117]
	v_mul_f64 v[104:105], v[88:89], v[116:117]
	s_delay_alu instid0(VALU_DEP_4) | instskip(NEXT) | instid1(VALU_DEP_4)
	v_add_f64 v[6:7], v[6:7], v[122:123]
	v_add_f64 v[2:3], v[2:3], v[102:103]
	s_delay_alu instid0(VALU_DEP_4) | instskip(NEXT) | instid1(VALU_DEP_4)
	v_fma_f64 v[98:99], v[88:89], v[114:115], v[98:99]
	v_fma_f64 v[102:103], v[86:87], v[114:115], -v[104:105]
	s_waitcnt vmcnt(3) lgkmcnt(0)
	v_mul_f64 v[100:101], v[94:95], v[10:11]
	v_mul_f64 v[10:11], v[96:97], v[10:11]
	v_add_f64 v[6:7], v[6:7], v[92:93]
	v_add_f64 v[2:3], v[2:3], v[90:91]
	ds_load_b128 v[86:89], v1 offset:688
	ds_load_b128 v[90:93], v1 offset:704
	v_fma_f64 v[96:97], v[96:97], v[8:9], v[100:101]
	v_fma_f64 v[8:9], v[94:95], v[8:9], -v[10:11]
	s_waitcnt vmcnt(2) lgkmcnt(1)
	v_mul_f64 v[104:105], v[86:87], v[128:129]
	v_mul_f64 v[106:107], v[88:89], v[128:129]
	v_add_f64 v[6:7], v[6:7], v[98:99]
	v_add_f64 v[2:3], v[2:3], v[102:103]
	s_waitcnt vmcnt(1) lgkmcnt(0)
	v_mul_f64 v[10:11], v[90:91], v[84:85]
	v_mul_f64 v[84:85], v[92:93], v[84:85]
	v_fma_f64 v[88:89], v[88:89], v[126:127], v[104:105]
	v_fma_f64 v[86:87], v[86:87], v[126:127], -v[106:107]
	v_add_f64 v[94:95], v[6:7], v[96:97]
	v_add_f64 v[2:3], v[2:3], v[8:9]
	ds_load_b128 v[6:9], v1 offset:720
	v_fma_f64 v[10:11], v[92:93], v[82:83], v[10:11]
	v_fma_f64 v[82:83], v[90:91], v[82:83], -v[84:85]
	s_waitcnt vmcnt(0) lgkmcnt(0)
	v_mul_f64 v[96:97], v[6:7], v[112:113]
	v_mul_f64 v[98:99], v[8:9], v[112:113]
	v_add_f64 v[84:85], v[94:95], v[88:89]
	v_add_f64 v[2:3], v[2:3], v[86:87]
	s_delay_alu instid0(VALU_DEP_4) | instskip(NEXT) | instid1(VALU_DEP_4)
	v_fma_f64 v[8:9], v[8:9], v[110:111], v[96:97]
	v_fma_f64 v[6:7], v[6:7], v[110:111], -v[98:99]
	s_delay_alu instid0(VALU_DEP_4) | instskip(NEXT) | instid1(VALU_DEP_4)
	v_add_f64 v[10:11], v[84:85], v[10:11]
	v_add_f64 v[2:3], v[2:3], v[82:83]
	s_delay_alu instid0(VALU_DEP_2) | instskip(NEXT) | instid1(VALU_DEP_2)
	v_add_f64 v[8:9], v[10:11], v[8:9]
	v_add_f64 v[2:3], v[2:3], v[6:7]
	s_delay_alu instid0(VALU_DEP_2) | instskip(NEXT) | instid1(VALU_DEP_2)
	v_add_f64 v[8:9], v[120:121], -v[8:9]
	v_add_f64 v[6:7], v[118:119], -v[2:3]
	scratch_store_b128 off, v[6:9], off offset:144
	v_cmpx_lt_u32_e32 8, v59
	s_cbranch_execz .LBB86_135
; %bb.134:
	scratch_load_b128 v[6:9], v62, off
	v_mov_b32_e32 v2, v1
	v_mov_b32_e32 v3, v1
	;; [unrolled: 1-line block ×3, first 2 shown]
	scratch_store_b128 off, v[1:4], off offset:128
	s_waitcnt vmcnt(0)
	ds_store_b128 v5, v[6:9]
.LBB86_135:
	s_or_b32 exec_lo, exec_lo, s2
	s_waitcnt lgkmcnt(0)
	s_waitcnt_vscnt null, 0x0
	s_barrier
	buffer_gl0_inv
	s_clause 0x8
	scratch_load_b128 v[6:9], off, off offset:144
	scratch_load_b128 v[82:85], off, off offset:160
	;; [unrolled: 1-line block ×9, first 2 shown]
	ds_load_b128 v[114:117], v1 offset:512
	ds_load_b128 v[118:121], v1 offset:528
	scratch_load_b128 v[122:125], off, off offset:128
	s_mov_b32 s2, exec_lo
	ds_load_b128 v[130:133], v1 offset:560
	s_waitcnt vmcnt(9) lgkmcnt(2)
	v_mul_f64 v[2:3], v[116:117], v[8:9]
	v_mul_f64 v[126:127], v[114:115], v[8:9]
	scratch_load_b128 v[8:11], off, off offset:288
	s_waitcnt vmcnt(9) lgkmcnt(1)
	v_mul_f64 v[134:135], v[118:119], v[84:85]
	v_mul_f64 v[84:85], v[120:121], v[84:85]
	v_fma_f64 v[2:3], v[114:115], v[6:7], -v[2:3]
	v_fma_f64 v[6:7], v[116:117], v[6:7], v[126:127]
	ds_load_b128 v[114:117], v1 offset:544
	scratch_load_b128 v[126:129], off, off offset:304
	v_fma_f64 v[120:121], v[120:121], v[82:83], v[134:135]
	v_fma_f64 v[118:119], v[118:119], v[82:83], -v[84:85]
	scratch_load_b128 v[82:85], off, off offset:320
	s_waitcnt vmcnt(9) lgkmcnt(1)
	v_mul_f64 v[134:135], v[130:131], v[92:93]
	v_mul_f64 v[92:93], v[132:133], v[92:93]
	s_waitcnt lgkmcnt(0)
	v_mul_f64 v[136:137], v[114:115], v[88:89]
	v_mul_f64 v[88:89], v[116:117], v[88:89]
	v_add_f64 v[2:3], v[2:3], 0
	v_add_f64 v[6:7], v[6:7], 0
	v_fma_f64 v[132:133], v[132:133], v[90:91], v[134:135]
	v_fma_f64 v[130:131], v[130:131], v[90:91], -v[92:93]
	scratch_load_b128 v[90:93], off, off offset:352
	v_fma_f64 v[136:137], v[116:117], v[86:87], v[136:137]
	v_fma_f64 v[138:139], v[114:115], v[86:87], -v[88:89]
	ds_load_b128 v[86:89], v1 offset:576
	scratch_load_b128 v[114:117], off, off offset:336
	v_add_f64 v[2:3], v[2:3], v[118:119]
	v_add_f64 v[6:7], v[6:7], v[120:121]
	ds_load_b128 v[118:121], v1 offset:592
	s_waitcnt vmcnt(10) lgkmcnt(1)
	v_mul_f64 v[140:141], v[86:87], v[96:97]
	v_mul_f64 v[96:97], v[88:89], v[96:97]
	s_waitcnt vmcnt(9) lgkmcnt(0)
	v_mul_f64 v[134:135], v[118:119], v[100:101]
	v_mul_f64 v[100:101], v[120:121], v[100:101]
	v_add_f64 v[2:3], v[2:3], v[138:139]
	v_add_f64 v[6:7], v[6:7], v[136:137]
	v_fma_f64 v[136:137], v[88:89], v[94:95], v[140:141]
	v_fma_f64 v[138:139], v[86:87], v[94:95], -v[96:97]
	ds_load_b128 v[86:89], v1 offset:608
	ds_load_b128 v[94:97], v1 offset:624
	v_fma_f64 v[120:121], v[120:121], v[98:99], v[134:135]
	v_fma_f64 v[98:99], v[118:119], v[98:99], -v[100:101]
	s_waitcnt vmcnt(7) lgkmcnt(0)
	v_mul_f64 v[118:119], v[94:95], v[108:109]
	v_mul_f64 v[108:109], v[96:97], v[108:109]
	v_add_f64 v[2:3], v[2:3], v[130:131]
	v_add_f64 v[6:7], v[6:7], v[132:133]
	v_mul_f64 v[130:131], v[86:87], v[104:105]
	v_mul_f64 v[104:105], v[88:89], v[104:105]
	v_fma_f64 v[96:97], v[96:97], v[106:107], v[118:119]
	v_fma_f64 v[94:95], v[94:95], v[106:107], -v[108:109]
	v_add_f64 v[2:3], v[2:3], v[138:139]
	v_add_f64 v[6:7], v[6:7], v[136:137]
	v_fma_f64 v[130:131], v[88:89], v[102:103], v[130:131]
	v_fma_f64 v[102:103], v[86:87], v[102:103], -v[104:105]
	s_delay_alu instid0(VALU_DEP_4) | instskip(NEXT) | instid1(VALU_DEP_4)
	v_add_f64 v[2:3], v[2:3], v[98:99]
	v_add_f64 v[6:7], v[6:7], v[120:121]
	ds_load_b128 v[86:89], v1 offset:640
	ds_load_b128 v[98:101], v1 offset:656
	s_waitcnt vmcnt(6) lgkmcnt(1)
	v_mul_f64 v[104:105], v[86:87], v[112:113]
	v_mul_f64 v[112:113], v[88:89], v[112:113]
	v_add_f64 v[2:3], v[2:3], v[102:103]
	v_add_f64 v[6:7], v[6:7], v[130:131]
	s_waitcnt vmcnt(4) lgkmcnt(0)
	v_mul_f64 v[102:103], v[98:99], v[10:11]
	v_mul_f64 v[10:11], v[100:101], v[10:11]
	v_fma_f64 v[104:105], v[88:89], v[110:111], v[104:105]
	v_fma_f64 v[106:107], v[86:87], v[110:111], -v[112:113]
	v_add_f64 v[2:3], v[2:3], v[94:95]
	v_add_f64 v[6:7], v[6:7], v[96:97]
	ds_load_b128 v[86:89], v1 offset:672
	ds_load_b128 v[94:97], v1 offset:688
	v_fma_f64 v[100:101], v[100:101], v[8:9], v[102:103]
	v_fma_f64 v[8:9], v[98:99], v[8:9], -v[10:11]
	s_waitcnt vmcnt(3) lgkmcnt(1)
	v_mul_f64 v[108:109], v[86:87], v[128:129]
	v_mul_f64 v[110:111], v[88:89], v[128:129]
	s_waitcnt vmcnt(2) lgkmcnt(0)
	v_mul_f64 v[10:11], v[94:95], v[84:85]
	v_mul_f64 v[84:85], v[96:97], v[84:85]
	v_add_f64 v[2:3], v[2:3], v[106:107]
	v_add_f64 v[6:7], v[6:7], v[104:105]
	v_fma_f64 v[88:89], v[88:89], v[126:127], v[108:109]
	v_fma_f64 v[86:87], v[86:87], v[126:127], -v[110:111]
	v_fma_f64 v[10:11], v[96:97], v[82:83], v[10:11]
	v_fma_f64 v[82:83], v[94:95], v[82:83], -v[84:85]
	v_add_f64 v[98:99], v[2:3], v[8:9]
	v_add_f64 v[100:101], v[6:7], v[100:101]
	ds_load_b128 v[6:9], v1 offset:704
	ds_load_b128 v[1:4], v1 offset:720
	s_waitcnt vmcnt(0) lgkmcnt(1)
	v_mul_f64 v[102:103], v[6:7], v[116:117]
	v_mul_f64 v[104:105], v[8:9], v[116:117]
	v_add_f64 v[84:85], v[98:99], v[86:87]
	v_add_f64 v[86:87], v[100:101], v[88:89]
	s_waitcnt lgkmcnt(0)
	v_mul_f64 v[88:89], v[1:2], v[92:93]
	v_mul_f64 v[92:93], v[3:4], v[92:93]
	v_fma_f64 v[8:9], v[8:9], v[114:115], v[102:103]
	v_fma_f64 v[6:7], v[6:7], v[114:115], -v[104:105]
	v_add_f64 v[82:83], v[84:85], v[82:83]
	v_add_f64 v[10:11], v[86:87], v[10:11]
	v_fma_f64 v[3:4], v[3:4], v[90:91], v[88:89]
	v_fma_f64 v[1:2], v[1:2], v[90:91], -v[92:93]
	s_delay_alu instid0(VALU_DEP_4) | instskip(NEXT) | instid1(VALU_DEP_4)
	v_add_f64 v[6:7], v[82:83], v[6:7]
	v_add_f64 v[8:9], v[10:11], v[8:9]
	s_delay_alu instid0(VALU_DEP_2) | instskip(NEXT) | instid1(VALU_DEP_2)
	v_add_f64 v[1:2], v[6:7], v[1:2]
	v_add_f64 v[3:4], v[8:9], v[3:4]
	s_delay_alu instid0(VALU_DEP_2) | instskip(NEXT) | instid1(VALU_DEP_2)
	v_add_f64 v[1:2], v[122:123], -v[1:2]
	v_add_f64 v[3:4], v[124:125], -v[3:4]
	scratch_store_b128 off, v[1:4], off offset:128
	v_cmpx_lt_u32_e32 7, v59
	s_cbranch_execz .LBB86_137
; %bb.136:
	scratch_load_b128 v[1:4], v67, off
	v_mov_b32_e32 v6, 0
	s_delay_alu instid0(VALU_DEP_1)
	v_mov_b32_e32 v7, v6
	v_mov_b32_e32 v8, v6
	;; [unrolled: 1-line block ×3, first 2 shown]
	scratch_store_b128 off, v[6:9], off offset:112
	s_waitcnt vmcnt(0)
	ds_store_b128 v5, v[1:4]
.LBB86_137:
	s_or_b32 exec_lo, exec_lo, s2
	s_waitcnt lgkmcnt(0)
	s_waitcnt_vscnt null, 0x0
	s_barrier
	buffer_gl0_inv
	s_clause 0x7
	scratch_load_b128 v[6:9], off, off offset:128
	scratch_load_b128 v[82:85], off, off offset:144
	;; [unrolled: 1-line block ×8, first 2 shown]
	v_mov_b32_e32 v1, 0
	s_mov_b32 s2, exec_lo
	ds_load_b128 v[110:113], v1 offset:496
	s_clause 0x1
	scratch_load_b128 v[114:117], off, off offset:256
	scratch_load_b128 v[118:121], off, off offset:112
	ds_load_b128 v[122:125], v1 offset:512
	ds_load_b128 v[130:133], v1 offset:544
	s_waitcnt vmcnt(9) lgkmcnt(2)
	v_mul_f64 v[2:3], v[112:113], v[8:9]
	v_mul_f64 v[126:127], v[110:111], v[8:9]
	scratch_load_b128 v[8:11], off, off offset:272
	v_fma_f64 v[2:3], v[110:111], v[6:7], -v[2:3]
	v_fma_f64 v[6:7], v[112:113], v[6:7], v[126:127]
	scratch_load_b128 v[126:129], off, off offset:288
	ds_load_b128 v[110:113], v1 offset:528
	s_waitcnt vmcnt(10) lgkmcnt(2)
	v_mul_f64 v[134:135], v[122:123], v[84:85]
	v_mul_f64 v[84:85], v[124:125], v[84:85]
	s_waitcnt vmcnt(9) lgkmcnt(0)
	v_mul_f64 v[136:137], v[110:111], v[88:89]
	v_mul_f64 v[88:89], v[112:113], v[88:89]
	v_add_f64 v[2:3], v[2:3], 0
	v_add_f64 v[6:7], v[6:7], 0
	v_fma_f64 v[124:125], v[124:125], v[82:83], v[134:135]
	v_fma_f64 v[122:123], v[122:123], v[82:83], -v[84:85]
	scratch_load_b128 v[82:85], off, off offset:304
	v_fma_f64 v[136:137], v[112:113], v[86:87], v[136:137]
	v_fma_f64 v[138:139], v[110:111], v[86:87], -v[88:89]
	scratch_load_b128 v[110:113], off, off offset:320
	ds_load_b128 v[86:89], v1 offset:560
	s_waitcnt vmcnt(10)
	v_mul_f64 v[134:135], v[130:131], v[92:93]
	v_mul_f64 v[92:93], v[132:133], v[92:93]
	v_add_f64 v[6:7], v[6:7], v[124:125]
	v_add_f64 v[2:3], v[2:3], v[122:123]
	ds_load_b128 v[122:125], v1 offset:576
	s_waitcnt vmcnt(9) lgkmcnt(1)
	v_mul_f64 v[140:141], v[86:87], v[96:97]
	v_mul_f64 v[96:97], v[88:89], v[96:97]
	v_fma_f64 v[132:133], v[132:133], v[90:91], v[134:135]
	v_fma_f64 v[130:131], v[130:131], v[90:91], -v[92:93]
	scratch_load_b128 v[90:93], off, off offset:336
	v_add_f64 v[6:7], v[6:7], v[136:137]
	v_add_f64 v[2:3], v[2:3], v[138:139]
	v_fma_f64 v[136:137], v[88:89], v[94:95], v[140:141]
	v_fma_f64 v[138:139], v[86:87], v[94:95], -v[96:97]
	scratch_load_b128 v[94:97], off, off offset:352
	ds_load_b128 v[86:89], v1 offset:592
	s_waitcnt vmcnt(10) lgkmcnt(1)
	v_mul_f64 v[134:135], v[122:123], v[100:101]
	v_mul_f64 v[100:101], v[124:125], v[100:101]
	s_waitcnt vmcnt(9) lgkmcnt(0)
	v_mul_f64 v[140:141], v[86:87], v[104:105]
	v_mul_f64 v[104:105], v[88:89], v[104:105]
	v_add_f64 v[6:7], v[6:7], v[132:133]
	v_add_f64 v[2:3], v[2:3], v[130:131]
	ds_load_b128 v[130:133], v1 offset:608
	v_fma_f64 v[124:125], v[124:125], v[98:99], v[134:135]
	v_fma_f64 v[98:99], v[122:123], v[98:99], -v[100:101]
	s_waitcnt vmcnt(8) lgkmcnt(0)
	v_mul_f64 v[122:123], v[130:131], v[108:109]
	v_mul_f64 v[108:109], v[132:133], v[108:109]
	v_fma_f64 v[134:135], v[88:89], v[102:103], v[140:141]
	v_fma_f64 v[102:103], v[86:87], v[102:103], -v[104:105]
	v_add_f64 v[6:7], v[6:7], v[136:137]
	v_add_f64 v[2:3], v[2:3], v[138:139]
	v_fma_f64 v[122:123], v[132:133], v[106:107], v[122:123]
	v_fma_f64 v[106:107], v[130:131], v[106:107], -v[108:109]
	s_delay_alu instid0(VALU_DEP_4) | instskip(NEXT) | instid1(VALU_DEP_4)
	v_add_f64 v[6:7], v[6:7], v[124:125]
	v_add_f64 v[2:3], v[2:3], v[98:99]
	ds_load_b128 v[86:89], v1 offset:624
	ds_load_b128 v[98:101], v1 offset:640
	s_waitcnt vmcnt(7) lgkmcnt(1)
	v_mul_f64 v[104:105], v[86:87], v[116:117]
	v_mul_f64 v[116:117], v[88:89], v[116:117]
	v_add_f64 v[6:7], v[6:7], v[134:135]
	v_add_f64 v[2:3], v[2:3], v[102:103]
	s_waitcnt vmcnt(5) lgkmcnt(0)
	v_mul_f64 v[108:109], v[98:99], v[10:11]
	v_mul_f64 v[10:11], v[100:101], v[10:11]
	v_fma_f64 v[124:125], v[88:89], v[114:115], v[104:105]
	v_fma_f64 v[114:115], v[86:87], v[114:115], -v[116:117]
	ds_load_b128 v[86:89], v1 offset:656
	ds_load_b128 v[102:105], v1 offset:672
	v_add_f64 v[6:7], v[6:7], v[122:123]
	v_add_f64 v[2:3], v[2:3], v[106:107]
	s_waitcnt vmcnt(4) lgkmcnt(1)
	v_mul_f64 v[106:107], v[86:87], v[128:129]
	v_mul_f64 v[116:117], v[88:89], v[128:129]
	v_fma_f64 v[100:101], v[100:101], v[8:9], v[108:109]
	v_fma_f64 v[8:9], v[98:99], v[8:9], -v[10:11]
	v_add_f64 v[6:7], v[6:7], v[124:125]
	v_add_f64 v[2:3], v[2:3], v[114:115]
	v_fma_f64 v[88:89], v[88:89], v[126:127], v[106:107]
	v_fma_f64 v[106:107], v[86:87], v[126:127], -v[116:117]
	s_waitcnt vmcnt(3) lgkmcnt(0)
	v_mul_f64 v[10:11], v[102:103], v[84:85]
	v_mul_f64 v[98:99], v[104:105], v[84:85]
	v_add_f64 v[100:101], v[6:7], v[100:101]
	v_add_f64 v[2:3], v[2:3], v[8:9]
	ds_load_b128 v[6:9], v1 offset:688
	ds_load_b128 v[84:87], v1 offset:704
	v_fma_f64 v[10:11], v[104:105], v[82:83], v[10:11]
	v_fma_f64 v[82:83], v[102:103], v[82:83], -v[98:99]
	s_waitcnt vmcnt(2) lgkmcnt(1)
	v_mul_f64 v[108:109], v[6:7], v[112:113]
	v_mul_f64 v[112:113], v[8:9], v[112:113]
	v_add_f64 v[88:89], v[100:101], v[88:89]
	v_add_f64 v[2:3], v[2:3], v[106:107]
	s_waitcnt vmcnt(1) lgkmcnt(0)
	v_mul_f64 v[98:99], v[84:85], v[92:93]
	v_mul_f64 v[92:93], v[86:87], v[92:93]
	v_fma_f64 v[100:101], v[8:9], v[110:111], v[108:109]
	v_fma_f64 v[102:103], v[6:7], v[110:111], -v[112:113]
	ds_load_b128 v[6:9], v1 offset:720
	v_add_f64 v[10:11], v[88:89], v[10:11]
	v_add_f64 v[2:3], v[2:3], v[82:83]
	v_fma_f64 v[86:87], v[86:87], v[90:91], v[98:99]
	v_fma_f64 v[84:85], v[84:85], v[90:91], -v[92:93]
	s_waitcnt vmcnt(0) lgkmcnt(0)
	v_mul_f64 v[82:83], v[6:7], v[96:97]
	v_mul_f64 v[88:89], v[8:9], v[96:97]
	v_add_f64 v[10:11], v[10:11], v[100:101]
	v_add_f64 v[2:3], v[2:3], v[102:103]
	s_delay_alu instid0(VALU_DEP_4) | instskip(NEXT) | instid1(VALU_DEP_4)
	v_fma_f64 v[8:9], v[8:9], v[94:95], v[82:83]
	v_fma_f64 v[6:7], v[6:7], v[94:95], -v[88:89]
	s_delay_alu instid0(VALU_DEP_4) | instskip(NEXT) | instid1(VALU_DEP_4)
	v_add_f64 v[10:11], v[10:11], v[86:87]
	v_add_f64 v[2:3], v[2:3], v[84:85]
	s_delay_alu instid0(VALU_DEP_2) | instskip(NEXT) | instid1(VALU_DEP_2)
	v_add_f64 v[8:9], v[10:11], v[8:9]
	v_add_f64 v[2:3], v[2:3], v[6:7]
	s_delay_alu instid0(VALU_DEP_2) | instskip(NEXT) | instid1(VALU_DEP_2)
	v_add_f64 v[8:9], v[120:121], -v[8:9]
	v_add_f64 v[6:7], v[118:119], -v[2:3]
	scratch_store_b128 off, v[6:9], off offset:112
	v_cmpx_lt_u32_e32 6, v59
	s_cbranch_execz .LBB86_139
; %bb.138:
	scratch_load_b128 v[6:9], v63, off
	v_mov_b32_e32 v2, v1
	v_mov_b32_e32 v3, v1
	;; [unrolled: 1-line block ×3, first 2 shown]
	scratch_store_b128 off, v[1:4], off offset:96
	s_waitcnt vmcnt(0)
	ds_store_b128 v5, v[6:9]
.LBB86_139:
	s_or_b32 exec_lo, exec_lo, s2
	s_waitcnt lgkmcnt(0)
	s_waitcnt_vscnt null, 0x0
	s_barrier
	buffer_gl0_inv
	s_clause 0x8
	scratch_load_b128 v[6:9], off, off offset:112
	scratch_load_b128 v[82:85], off, off offset:128
	;; [unrolled: 1-line block ×9, first 2 shown]
	ds_load_b128 v[114:117], v1 offset:480
	ds_load_b128 v[118:121], v1 offset:496
	scratch_load_b128 v[122:125], off, off offset:96
	s_mov_b32 s2, exec_lo
	ds_load_b128 v[130:133], v1 offset:528
	s_waitcnt vmcnt(9) lgkmcnt(2)
	v_mul_f64 v[2:3], v[116:117], v[8:9]
	v_mul_f64 v[126:127], v[114:115], v[8:9]
	scratch_load_b128 v[8:11], off, off offset:256
	s_waitcnt vmcnt(9) lgkmcnt(1)
	v_mul_f64 v[134:135], v[118:119], v[84:85]
	v_mul_f64 v[84:85], v[120:121], v[84:85]
	v_fma_f64 v[2:3], v[114:115], v[6:7], -v[2:3]
	v_fma_f64 v[6:7], v[116:117], v[6:7], v[126:127]
	ds_load_b128 v[114:117], v1 offset:512
	scratch_load_b128 v[126:129], off, off offset:272
	v_fma_f64 v[120:121], v[120:121], v[82:83], v[134:135]
	v_fma_f64 v[118:119], v[118:119], v[82:83], -v[84:85]
	scratch_load_b128 v[82:85], off, off offset:288
	s_waitcnt vmcnt(9) lgkmcnt(1)
	v_mul_f64 v[134:135], v[130:131], v[92:93]
	v_mul_f64 v[92:93], v[132:133], v[92:93]
	s_waitcnt lgkmcnt(0)
	v_mul_f64 v[136:137], v[114:115], v[88:89]
	v_mul_f64 v[88:89], v[116:117], v[88:89]
	v_add_f64 v[2:3], v[2:3], 0
	v_add_f64 v[6:7], v[6:7], 0
	v_fma_f64 v[132:133], v[132:133], v[90:91], v[134:135]
	v_fma_f64 v[130:131], v[130:131], v[90:91], -v[92:93]
	scratch_load_b128 v[90:93], off, off offset:320
	v_fma_f64 v[136:137], v[116:117], v[86:87], v[136:137]
	v_fma_f64 v[138:139], v[114:115], v[86:87], -v[88:89]
	ds_load_b128 v[86:89], v1 offset:544
	scratch_load_b128 v[114:117], off, off offset:304
	v_add_f64 v[2:3], v[2:3], v[118:119]
	v_add_f64 v[6:7], v[6:7], v[120:121]
	ds_load_b128 v[118:121], v1 offset:560
	s_waitcnt vmcnt(10) lgkmcnt(1)
	v_mul_f64 v[140:141], v[86:87], v[96:97]
	v_mul_f64 v[96:97], v[88:89], v[96:97]
	s_waitcnt vmcnt(9) lgkmcnt(0)
	v_mul_f64 v[134:135], v[118:119], v[100:101]
	v_mul_f64 v[100:101], v[120:121], v[100:101]
	v_add_f64 v[2:3], v[2:3], v[138:139]
	v_add_f64 v[6:7], v[6:7], v[136:137]
	v_fma_f64 v[136:137], v[88:89], v[94:95], v[140:141]
	v_fma_f64 v[138:139], v[86:87], v[94:95], -v[96:97]
	ds_load_b128 v[86:89], v1 offset:576
	scratch_load_b128 v[94:97], off, off offset:336
	v_fma_f64 v[120:121], v[120:121], v[98:99], v[134:135]
	v_fma_f64 v[118:119], v[118:119], v[98:99], -v[100:101]
	scratch_load_b128 v[98:101], off, off offset:352
	v_add_f64 v[2:3], v[2:3], v[130:131]
	v_add_f64 v[6:7], v[6:7], v[132:133]
	ds_load_b128 v[130:133], v1 offset:592
	s_waitcnt vmcnt(10) lgkmcnt(1)
	v_mul_f64 v[140:141], v[86:87], v[104:105]
	v_mul_f64 v[104:105], v[88:89], v[104:105]
	s_waitcnt vmcnt(9) lgkmcnt(0)
	v_mul_f64 v[134:135], v[130:131], v[108:109]
	v_mul_f64 v[108:109], v[132:133], v[108:109]
	v_add_f64 v[2:3], v[2:3], v[138:139]
	v_add_f64 v[6:7], v[6:7], v[136:137]
	v_fma_f64 v[136:137], v[88:89], v[102:103], v[140:141]
	v_fma_f64 v[138:139], v[86:87], v[102:103], -v[104:105]
	ds_load_b128 v[86:89], v1 offset:608
	ds_load_b128 v[102:105], v1 offset:624
	v_add_f64 v[2:3], v[2:3], v[118:119]
	v_add_f64 v[6:7], v[6:7], v[120:121]
	s_waitcnt vmcnt(8) lgkmcnt(1)
	v_mul_f64 v[118:119], v[86:87], v[112:113]
	v_mul_f64 v[112:113], v[88:89], v[112:113]
	v_fma_f64 v[120:121], v[132:133], v[106:107], v[134:135]
	v_fma_f64 v[106:107], v[130:131], v[106:107], -v[108:109]
	v_add_f64 v[2:3], v[2:3], v[138:139]
	v_add_f64 v[6:7], v[6:7], v[136:137]
	v_fma_f64 v[118:119], v[88:89], v[110:111], v[118:119]
	v_fma_f64 v[110:111], v[86:87], v[110:111], -v[112:113]
	s_waitcnt vmcnt(6) lgkmcnt(0)
	v_mul_f64 v[130:131], v[102:103], v[10:11]
	v_mul_f64 v[10:11], v[104:105], v[10:11]
	v_add_f64 v[2:3], v[2:3], v[106:107]
	v_add_f64 v[6:7], v[6:7], v[120:121]
	ds_load_b128 v[86:89], v1 offset:640
	ds_load_b128 v[106:109], v1 offset:656
	v_fma_f64 v[104:105], v[104:105], v[8:9], v[130:131]
	v_fma_f64 v[8:9], v[102:103], v[8:9], -v[10:11]
	s_waitcnt vmcnt(5) lgkmcnt(1)
	v_mul_f64 v[112:113], v[86:87], v[128:129]
	v_mul_f64 v[120:121], v[88:89], v[128:129]
	s_waitcnt vmcnt(4) lgkmcnt(0)
	v_mul_f64 v[10:11], v[106:107], v[84:85]
	v_mul_f64 v[102:103], v[108:109], v[84:85]
	v_add_f64 v[2:3], v[2:3], v[110:111]
	v_add_f64 v[6:7], v[6:7], v[118:119]
	v_fma_f64 v[88:89], v[88:89], v[126:127], v[112:113]
	v_fma_f64 v[110:111], v[86:87], v[126:127], -v[120:121]
	v_fma_f64 v[10:11], v[108:109], v[82:83], v[10:11]
	v_fma_f64 v[82:83], v[106:107], v[82:83], -v[102:103]
	v_add_f64 v[2:3], v[2:3], v[8:9]
	v_add_f64 v[104:105], v[6:7], v[104:105]
	ds_load_b128 v[6:9], v1 offset:672
	ds_load_b128 v[84:87], v1 offset:688
	s_waitcnt vmcnt(2) lgkmcnt(1)
	v_mul_f64 v[112:113], v[6:7], v[116:117]
	v_mul_f64 v[116:117], v[8:9], v[116:117]
	s_waitcnt lgkmcnt(0)
	v_mul_f64 v[102:103], v[84:85], v[92:93]
	v_mul_f64 v[92:93], v[86:87], v[92:93]
	v_add_f64 v[2:3], v[2:3], v[110:111]
	v_add_f64 v[88:89], v[104:105], v[88:89]
	v_fma_f64 v[104:105], v[8:9], v[114:115], v[112:113]
	v_fma_f64 v[106:107], v[6:7], v[114:115], -v[116:117]
	v_fma_f64 v[86:87], v[86:87], v[90:91], v[102:103]
	v_fma_f64 v[84:85], v[84:85], v[90:91], -v[92:93]
	v_add_f64 v[82:83], v[2:3], v[82:83]
	v_add_f64 v[10:11], v[88:89], v[10:11]
	ds_load_b128 v[6:9], v1 offset:704
	ds_load_b128 v[1:4], v1 offset:720
	s_waitcnt vmcnt(1) lgkmcnt(1)
	v_mul_f64 v[88:89], v[6:7], v[96:97]
	v_mul_f64 v[96:97], v[8:9], v[96:97]
	s_waitcnt vmcnt(0) lgkmcnt(0)
	v_mul_f64 v[90:91], v[1:2], v[100:101]
	v_mul_f64 v[92:93], v[3:4], v[100:101]
	v_add_f64 v[82:83], v[82:83], v[106:107]
	v_add_f64 v[10:11], v[10:11], v[104:105]
	v_fma_f64 v[8:9], v[8:9], v[94:95], v[88:89]
	v_fma_f64 v[6:7], v[6:7], v[94:95], -v[96:97]
	v_fma_f64 v[3:4], v[3:4], v[98:99], v[90:91]
	v_fma_f64 v[1:2], v[1:2], v[98:99], -v[92:93]
	v_add_f64 v[82:83], v[82:83], v[84:85]
	v_add_f64 v[10:11], v[10:11], v[86:87]
	s_delay_alu instid0(VALU_DEP_2) | instskip(NEXT) | instid1(VALU_DEP_2)
	v_add_f64 v[6:7], v[82:83], v[6:7]
	v_add_f64 v[8:9], v[10:11], v[8:9]
	s_delay_alu instid0(VALU_DEP_2) | instskip(NEXT) | instid1(VALU_DEP_2)
	v_add_f64 v[1:2], v[6:7], v[1:2]
	v_add_f64 v[3:4], v[8:9], v[3:4]
	s_delay_alu instid0(VALU_DEP_2) | instskip(NEXT) | instid1(VALU_DEP_2)
	v_add_f64 v[1:2], v[122:123], -v[1:2]
	v_add_f64 v[3:4], v[124:125], -v[3:4]
	scratch_store_b128 off, v[1:4], off offset:96
	v_cmpx_lt_u32_e32 5, v59
	s_cbranch_execz .LBB86_141
; %bb.140:
	scratch_load_b128 v[1:4], v68, off
	v_mov_b32_e32 v6, 0
	s_delay_alu instid0(VALU_DEP_1)
	v_mov_b32_e32 v7, v6
	v_mov_b32_e32 v8, v6
	;; [unrolled: 1-line block ×3, first 2 shown]
	scratch_store_b128 off, v[6:9], off offset:80
	s_waitcnt vmcnt(0)
	ds_store_b128 v5, v[1:4]
.LBB86_141:
	s_or_b32 exec_lo, exec_lo, s2
	s_waitcnt lgkmcnt(0)
	s_waitcnt_vscnt null, 0x0
	s_barrier
	buffer_gl0_inv
	s_clause 0x7
	scratch_load_b128 v[6:9], off, off offset:96
	scratch_load_b128 v[82:85], off, off offset:112
	;; [unrolled: 1-line block ×8, first 2 shown]
	v_mov_b32_e32 v1, 0
	s_mov_b32 s2, exec_lo
	ds_load_b128 v[110:113], v1 offset:464
	s_clause 0x1
	scratch_load_b128 v[114:117], off, off offset:224
	scratch_load_b128 v[118:121], off, off offset:80
	ds_load_b128 v[122:125], v1 offset:480
	ds_load_b128 v[130:133], v1 offset:512
	s_waitcnt vmcnt(9) lgkmcnt(2)
	v_mul_f64 v[2:3], v[112:113], v[8:9]
	v_mul_f64 v[126:127], v[110:111], v[8:9]
	scratch_load_b128 v[8:11], off, off offset:240
	v_fma_f64 v[2:3], v[110:111], v[6:7], -v[2:3]
	v_fma_f64 v[6:7], v[112:113], v[6:7], v[126:127]
	scratch_load_b128 v[126:129], off, off offset:256
	ds_load_b128 v[110:113], v1 offset:496
	s_waitcnt vmcnt(10) lgkmcnt(2)
	v_mul_f64 v[134:135], v[122:123], v[84:85]
	v_mul_f64 v[84:85], v[124:125], v[84:85]
	s_waitcnt vmcnt(9) lgkmcnt(0)
	v_mul_f64 v[136:137], v[110:111], v[88:89]
	v_mul_f64 v[88:89], v[112:113], v[88:89]
	v_add_f64 v[2:3], v[2:3], 0
	v_add_f64 v[6:7], v[6:7], 0
	v_fma_f64 v[124:125], v[124:125], v[82:83], v[134:135]
	v_fma_f64 v[122:123], v[122:123], v[82:83], -v[84:85]
	scratch_load_b128 v[82:85], off, off offset:272
	v_fma_f64 v[136:137], v[112:113], v[86:87], v[136:137]
	v_fma_f64 v[138:139], v[110:111], v[86:87], -v[88:89]
	scratch_load_b128 v[110:113], off, off offset:288
	ds_load_b128 v[86:89], v1 offset:528
	s_waitcnt vmcnt(10)
	v_mul_f64 v[134:135], v[130:131], v[92:93]
	v_mul_f64 v[92:93], v[132:133], v[92:93]
	v_add_f64 v[6:7], v[6:7], v[124:125]
	v_add_f64 v[2:3], v[2:3], v[122:123]
	ds_load_b128 v[122:125], v1 offset:544
	s_waitcnt vmcnt(9) lgkmcnt(1)
	v_mul_f64 v[140:141], v[86:87], v[96:97]
	v_mul_f64 v[96:97], v[88:89], v[96:97]
	v_fma_f64 v[132:133], v[132:133], v[90:91], v[134:135]
	v_fma_f64 v[130:131], v[130:131], v[90:91], -v[92:93]
	scratch_load_b128 v[90:93], off, off offset:304
	v_add_f64 v[6:7], v[6:7], v[136:137]
	v_add_f64 v[2:3], v[2:3], v[138:139]
	v_fma_f64 v[136:137], v[88:89], v[94:95], v[140:141]
	v_fma_f64 v[138:139], v[86:87], v[94:95], -v[96:97]
	scratch_load_b128 v[94:97], off, off offset:320
	ds_load_b128 v[86:89], v1 offset:560
	s_waitcnt vmcnt(10) lgkmcnt(1)
	v_mul_f64 v[134:135], v[122:123], v[100:101]
	v_mul_f64 v[100:101], v[124:125], v[100:101]
	s_waitcnt vmcnt(9) lgkmcnt(0)
	v_mul_f64 v[140:141], v[86:87], v[104:105]
	v_mul_f64 v[104:105], v[88:89], v[104:105]
	v_add_f64 v[6:7], v[6:7], v[132:133]
	v_add_f64 v[2:3], v[2:3], v[130:131]
	ds_load_b128 v[130:133], v1 offset:576
	v_fma_f64 v[124:125], v[124:125], v[98:99], v[134:135]
	v_fma_f64 v[122:123], v[122:123], v[98:99], -v[100:101]
	scratch_load_b128 v[98:101], off, off offset:336
	v_add_f64 v[6:7], v[6:7], v[136:137]
	v_add_f64 v[2:3], v[2:3], v[138:139]
	v_fma_f64 v[136:137], v[88:89], v[102:103], v[140:141]
	v_fma_f64 v[138:139], v[86:87], v[102:103], -v[104:105]
	scratch_load_b128 v[102:105], off, off offset:352
	ds_load_b128 v[86:89], v1 offset:592
	s_waitcnt vmcnt(10) lgkmcnt(1)
	v_mul_f64 v[134:135], v[130:131], v[108:109]
	v_mul_f64 v[108:109], v[132:133], v[108:109]
	s_waitcnt vmcnt(9) lgkmcnt(0)
	v_mul_f64 v[140:141], v[86:87], v[116:117]
	v_mul_f64 v[116:117], v[88:89], v[116:117]
	v_add_f64 v[6:7], v[6:7], v[124:125]
	v_add_f64 v[2:3], v[2:3], v[122:123]
	ds_load_b128 v[122:125], v1 offset:608
	v_fma_f64 v[132:133], v[132:133], v[106:107], v[134:135]
	v_fma_f64 v[106:107], v[130:131], v[106:107], -v[108:109]
	v_fma_f64 v[134:135], v[88:89], v[114:115], v[140:141]
	v_fma_f64 v[114:115], v[86:87], v[114:115], -v[116:117]
	v_add_f64 v[6:7], v[6:7], v[136:137]
	v_add_f64 v[2:3], v[2:3], v[138:139]
	s_waitcnt vmcnt(7) lgkmcnt(0)
	v_mul_f64 v[130:131], v[122:123], v[10:11]
	v_mul_f64 v[10:11], v[124:125], v[10:11]
	s_delay_alu instid0(VALU_DEP_4) | instskip(NEXT) | instid1(VALU_DEP_4)
	v_add_f64 v[6:7], v[6:7], v[132:133]
	v_add_f64 v[2:3], v[2:3], v[106:107]
	ds_load_b128 v[86:89], v1 offset:624
	ds_load_b128 v[106:109], v1 offset:640
	v_fma_f64 v[124:125], v[124:125], v[8:9], v[130:131]
	v_fma_f64 v[8:9], v[122:123], v[8:9], -v[10:11]
	s_waitcnt vmcnt(6) lgkmcnt(1)
	v_mul_f64 v[116:117], v[86:87], v[128:129]
	v_mul_f64 v[128:129], v[88:89], v[128:129]
	v_add_f64 v[6:7], v[6:7], v[134:135]
	v_add_f64 v[2:3], v[2:3], v[114:115]
	s_waitcnt vmcnt(5) lgkmcnt(0)
	v_mul_f64 v[10:11], v[106:107], v[84:85]
	v_mul_f64 v[114:115], v[108:109], v[84:85]
	v_fma_f64 v[88:89], v[88:89], v[126:127], v[116:117]
	v_fma_f64 v[116:117], v[86:87], v[126:127], -v[128:129]
	v_add_f64 v[122:123], v[6:7], v[124:125]
	v_add_f64 v[2:3], v[2:3], v[8:9]
	ds_load_b128 v[6:9], v1 offset:656
	ds_load_b128 v[84:87], v1 offset:672
	v_fma_f64 v[10:11], v[108:109], v[82:83], v[10:11]
	v_fma_f64 v[82:83], v[106:107], v[82:83], -v[114:115]
	s_waitcnt vmcnt(4) lgkmcnt(1)
	v_mul_f64 v[124:125], v[6:7], v[112:113]
	v_mul_f64 v[112:113], v[8:9], v[112:113]
	v_add_f64 v[88:89], v[122:123], v[88:89]
	v_add_f64 v[2:3], v[2:3], v[116:117]
	s_waitcnt vmcnt(3) lgkmcnt(0)
	v_mul_f64 v[114:115], v[84:85], v[92:93]
	v_mul_f64 v[92:93], v[86:87], v[92:93]
	v_fma_f64 v[116:117], v[8:9], v[110:111], v[124:125]
	v_fma_f64 v[110:111], v[6:7], v[110:111], -v[112:113]
	ds_load_b128 v[6:9], v1 offset:688
	ds_load_b128 v[106:109], v1 offset:704
	v_add_f64 v[10:11], v[88:89], v[10:11]
	v_add_f64 v[2:3], v[2:3], v[82:83]
	v_fma_f64 v[86:87], v[86:87], v[90:91], v[114:115]
	s_waitcnt vmcnt(2) lgkmcnt(1)
	v_mul_f64 v[82:83], v[6:7], v[96:97]
	v_mul_f64 v[88:89], v[8:9], v[96:97]
	v_fma_f64 v[84:85], v[84:85], v[90:91], -v[92:93]
	s_waitcnt vmcnt(1) lgkmcnt(0)
	v_mul_f64 v[90:91], v[106:107], v[100:101]
	v_mul_f64 v[92:93], v[108:109], v[100:101]
	v_add_f64 v[10:11], v[10:11], v[116:117]
	v_add_f64 v[2:3], v[2:3], v[110:111]
	v_fma_f64 v[82:83], v[8:9], v[94:95], v[82:83]
	v_fma_f64 v[88:89], v[6:7], v[94:95], -v[88:89]
	ds_load_b128 v[6:9], v1 offset:720
	v_fma_f64 v[90:91], v[108:109], v[98:99], v[90:91]
	v_fma_f64 v[92:93], v[106:107], v[98:99], -v[92:93]
	v_add_f64 v[10:11], v[10:11], v[86:87]
	v_add_f64 v[2:3], v[2:3], v[84:85]
	s_waitcnt vmcnt(0) lgkmcnt(0)
	v_mul_f64 v[84:85], v[6:7], v[104:105]
	v_mul_f64 v[86:87], v[8:9], v[104:105]
	s_delay_alu instid0(VALU_DEP_4) | instskip(NEXT) | instid1(VALU_DEP_4)
	v_add_f64 v[10:11], v[10:11], v[82:83]
	v_add_f64 v[2:3], v[2:3], v[88:89]
	s_delay_alu instid0(VALU_DEP_4) | instskip(NEXT) | instid1(VALU_DEP_4)
	v_fma_f64 v[8:9], v[8:9], v[102:103], v[84:85]
	v_fma_f64 v[6:7], v[6:7], v[102:103], -v[86:87]
	s_delay_alu instid0(VALU_DEP_4) | instskip(NEXT) | instid1(VALU_DEP_4)
	v_add_f64 v[10:11], v[10:11], v[90:91]
	v_add_f64 v[2:3], v[2:3], v[92:93]
	s_delay_alu instid0(VALU_DEP_2) | instskip(NEXT) | instid1(VALU_DEP_2)
	v_add_f64 v[8:9], v[10:11], v[8:9]
	v_add_f64 v[2:3], v[2:3], v[6:7]
	s_delay_alu instid0(VALU_DEP_2) | instskip(NEXT) | instid1(VALU_DEP_2)
	v_add_f64 v[8:9], v[120:121], -v[8:9]
	v_add_f64 v[6:7], v[118:119], -v[2:3]
	scratch_store_b128 off, v[6:9], off offset:80
	v_cmpx_lt_u32_e32 4, v59
	s_cbranch_execz .LBB86_143
; %bb.142:
	scratch_load_b128 v[6:9], v60, off
	v_mov_b32_e32 v2, v1
	v_mov_b32_e32 v3, v1
	;; [unrolled: 1-line block ×3, first 2 shown]
	scratch_store_b128 off, v[1:4], off offset:64
	s_waitcnt vmcnt(0)
	ds_store_b128 v5, v[6:9]
.LBB86_143:
	s_or_b32 exec_lo, exec_lo, s2
	s_waitcnt lgkmcnt(0)
	s_waitcnt_vscnt null, 0x0
	s_barrier
	buffer_gl0_inv
	s_clause 0x8
	scratch_load_b128 v[6:9], off, off offset:80
	scratch_load_b128 v[82:85], off, off offset:96
	;; [unrolled: 1-line block ×9, first 2 shown]
	ds_load_b128 v[114:117], v1 offset:448
	ds_load_b128 v[118:121], v1 offset:464
	scratch_load_b128 v[122:125], off, off offset:64
	s_mov_b32 s2, exec_lo
	ds_load_b128 v[130:133], v1 offset:496
	s_waitcnt vmcnt(9) lgkmcnt(2)
	v_mul_f64 v[2:3], v[116:117], v[8:9]
	v_mul_f64 v[126:127], v[114:115], v[8:9]
	scratch_load_b128 v[8:11], off, off offset:224
	s_waitcnt vmcnt(9) lgkmcnt(1)
	v_mul_f64 v[134:135], v[118:119], v[84:85]
	v_mul_f64 v[84:85], v[120:121], v[84:85]
	v_fma_f64 v[2:3], v[114:115], v[6:7], -v[2:3]
	v_fma_f64 v[6:7], v[116:117], v[6:7], v[126:127]
	ds_load_b128 v[114:117], v1 offset:480
	scratch_load_b128 v[126:129], off, off offset:240
	v_fma_f64 v[120:121], v[120:121], v[82:83], v[134:135]
	v_fma_f64 v[118:119], v[118:119], v[82:83], -v[84:85]
	scratch_load_b128 v[82:85], off, off offset:256
	s_waitcnt vmcnt(9) lgkmcnt(1)
	v_mul_f64 v[134:135], v[130:131], v[92:93]
	v_mul_f64 v[92:93], v[132:133], v[92:93]
	s_waitcnt lgkmcnt(0)
	v_mul_f64 v[136:137], v[114:115], v[88:89]
	v_mul_f64 v[88:89], v[116:117], v[88:89]
	v_add_f64 v[2:3], v[2:3], 0
	v_add_f64 v[6:7], v[6:7], 0
	v_fma_f64 v[132:133], v[132:133], v[90:91], v[134:135]
	v_fma_f64 v[130:131], v[130:131], v[90:91], -v[92:93]
	scratch_load_b128 v[90:93], off, off offset:288
	v_fma_f64 v[136:137], v[116:117], v[86:87], v[136:137]
	v_fma_f64 v[138:139], v[114:115], v[86:87], -v[88:89]
	ds_load_b128 v[86:89], v1 offset:512
	scratch_load_b128 v[114:117], off, off offset:272
	v_add_f64 v[2:3], v[2:3], v[118:119]
	v_add_f64 v[6:7], v[6:7], v[120:121]
	ds_load_b128 v[118:121], v1 offset:528
	s_waitcnt vmcnt(10) lgkmcnt(1)
	v_mul_f64 v[140:141], v[86:87], v[96:97]
	v_mul_f64 v[96:97], v[88:89], v[96:97]
	s_waitcnt vmcnt(9) lgkmcnt(0)
	v_mul_f64 v[134:135], v[118:119], v[100:101]
	v_mul_f64 v[100:101], v[120:121], v[100:101]
	v_add_f64 v[2:3], v[2:3], v[138:139]
	v_add_f64 v[6:7], v[6:7], v[136:137]
	v_fma_f64 v[136:137], v[88:89], v[94:95], v[140:141]
	v_fma_f64 v[138:139], v[86:87], v[94:95], -v[96:97]
	ds_load_b128 v[86:89], v1 offset:544
	scratch_load_b128 v[94:97], off, off offset:304
	v_fma_f64 v[120:121], v[120:121], v[98:99], v[134:135]
	v_fma_f64 v[118:119], v[118:119], v[98:99], -v[100:101]
	scratch_load_b128 v[98:101], off, off offset:320
	v_add_f64 v[2:3], v[2:3], v[130:131]
	v_add_f64 v[6:7], v[6:7], v[132:133]
	ds_load_b128 v[130:133], v1 offset:560
	s_waitcnt vmcnt(10) lgkmcnt(1)
	v_mul_f64 v[140:141], v[86:87], v[104:105]
	v_mul_f64 v[104:105], v[88:89], v[104:105]
	s_waitcnt vmcnt(9) lgkmcnt(0)
	v_mul_f64 v[134:135], v[130:131], v[108:109]
	v_mul_f64 v[108:109], v[132:133], v[108:109]
	v_add_f64 v[2:3], v[2:3], v[138:139]
	v_add_f64 v[6:7], v[6:7], v[136:137]
	v_fma_f64 v[136:137], v[88:89], v[102:103], v[140:141]
	v_fma_f64 v[138:139], v[86:87], v[102:103], -v[104:105]
	ds_load_b128 v[86:89], v1 offset:576
	scratch_load_b128 v[102:105], off, off offset:336
	v_fma_f64 v[132:133], v[132:133], v[106:107], v[134:135]
	v_fma_f64 v[130:131], v[130:131], v[106:107], -v[108:109]
	scratch_load_b128 v[106:109], off, off offset:352
	v_add_f64 v[2:3], v[2:3], v[118:119]
	v_add_f64 v[6:7], v[6:7], v[120:121]
	ds_load_b128 v[118:121], v1 offset:592
	s_waitcnt vmcnt(10) lgkmcnt(1)
	v_mul_f64 v[140:141], v[86:87], v[112:113]
	v_mul_f64 v[112:113], v[88:89], v[112:113]
	v_add_f64 v[2:3], v[2:3], v[138:139]
	v_add_f64 v[6:7], v[6:7], v[136:137]
	s_delay_alu instid0(VALU_DEP_4) | instskip(NEXT) | instid1(VALU_DEP_4)
	v_fma_f64 v[136:137], v[88:89], v[110:111], v[140:141]
	v_fma_f64 v[138:139], v[86:87], v[110:111], -v[112:113]
	ds_load_b128 v[86:89], v1 offset:608
	ds_load_b128 v[110:113], v1 offset:624
	s_waitcnt vmcnt(8) lgkmcnt(2)
	v_mul_f64 v[134:135], v[118:119], v[10:11]
	v_mul_f64 v[10:11], v[120:121], v[10:11]
	v_add_f64 v[2:3], v[2:3], v[130:131]
	v_add_f64 v[6:7], v[6:7], v[132:133]
	s_delay_alu instid0(VALU_DEP_4)
	v_fma_f64 v[120:121], v[120:121], v[8:9], v[134:135]
	s_waitcnt vmcnt(7) lgkmcnt(1)
	v_mul_f64 v[130:131], v[86:87], v[128:129]
	v_mul_f64 v[128:129], v[88:89], v[128:129]
	v_fma_f64 v[8:9], v[118:119], v[8:9], -v[10:11]
	s_waitcnt vmcnt(6) lgkmcnt(0)
	v_mul_f64 v[10:11], v[110:111], v[84:85]
	v_mul_f64 v[118:119], v[112:113], v[84:85]
	v_add_f64 v[2:3], v[2:3], v[138:139]
	v_add_f64 v[6:7], v[6:7], v[136:137]
	v_fma_f64 v[88:89], v[88:89], v[126:127], v[130:131]
	v_fma_f64 v[126:127], v[86:87], v[126:127], -v[128:129]
	v_fma_f64 v[10:11], v[112:113], v[82:83], v[10:11]
	v_fma_f64 v[82:83], v[110:111], v[82:83], -v[118:119]
	v_add_f64 v[2:3], v[2:3], v[8:9]
	v_add_f64 v[120:121], v[6:7], v[120:121]
	ds_load_b128 v[6:9], v1 offset:640
	ds_load_b128 v[84:87], v1 offset:656
	s_waitcnt vmcnt(4) lgkmcnt(1)
	v_mul_f64 v[128:129], v[6:7], v[116:117]
	v_mul_f64 v[116:117], v[8:9], v[116:117]
	s_waitcnt lgkmcnt(0)
	v_mul_f64 v[118:119], v[84:85], v[92:93]
	v_mul_f64 v[92:93], v[86:87], v[92:93]
	v_add_f64 v[2:3], v[2:3], v[126:127]
	v_add_f64 v[88:89], v[120:121], v[88:89]
	v_fma_f64 v[120:121], v[8:9], v[114:115], v[128:129]
	v_fma_f64 v[114:115], v[6:7], v[114:115], -v[116:117]
	ds_load_b128 v[6:9], v1 offset:672
	ds_load_b128 v[110:113], v1 offset:688
	v_fma_f64 v[86:87], v[86:87], v[90:91], v[118:119]
	v_fma_f64 v[84:85], v[84:85], v[90:91], -v[92:93]
	v_add_f64 v[2:3], v[2:3], v[82:83]
	v_add_f64 v[10:11], v[88:89], v[10:11]
	s_waitcnt vmcnt(3) lgkmcnt(1)
	v_mul_f64 v[82:83], v[6:7], v[96:97]
	v_mul_f64 v[88:89], v[8:9], v[96:97]
	s_waitcnt vmcnt(2) lgkmcnt(0)
	v_mul_f64 v[90:91], v[110:111], v[100:101]
	v_mul_f64 v[92:93], v[112:113], v[100:101]
	v_add_f64 v[2:3], v[2:3], v[114:115]
	v_add_f64 v[10:11], v[10:11], v[120:121]
	v_fma_f64 v[82:83], v[8:9], v[94:95], v[82:83]
	v_fma_f64 v[88:89], v[6:7], v[94:95], -v[88:89]
	v_fma_f64 v[90:91], v[112:113], v[98:99], v[90:91]
	v_fma_f64 v[92:93], v[110:111], v[98:99], -v[92:93]
	v_add_f64 v[84:85], v[2:3], v[84:85]
	v_add_f64 v[10:11], v[10:11], v[86:87]
	ds_load_b128 v[6:9], v1 offset:704
	ds_load_b128 v[1:4], v1 offset:720
	s_waitcnt vmcnt(1) lgkmcnt(1)
	v_mul_f64 v[86:87], v[6:7], v[104:105]
	v_mul_f64 v[94:95], v[8:9], v[104:105]
	v_add_f64 v[84:85], v[84:85], v[88:89]
	v_add_f64 v[10:11], v[10:11], v[82:83]
	s_waitcnt vmcnt(0) lgkmcnt(0)
	v_mul_f64 v[82:83], v[1:2], v[108:109]
	v_mul_f64 v[88:89], v[3:4], v[108:109]
	v_fma_f64 v[8:9], v[8:9], v[102:103], v[86:87]
	v_fma_f64 v[6:7], v[6:7], v[102:103], -v[94:95]
	v_add_f64 v[84:85], v[84:85], v[92:93]
	v_add_f64 v[10:11], v[10:11], v[90:91]
	v_fma_f64 v[3:4], v[3:4], v[106:107], v[82:83]
	v_fma_f64 v[1:2], v[1:2], v[106:107], -v[88:89]
	s_delay_alu instid0(VALU_DEP_4) | instskip(NEXT) | instid1(VALU_DEP_4)
	v_add_f64 v[6:7], v[84:85], v[6:7]
	v_add_f64 v[8:9], v[10:11], v[8:9]
	s_delay_alu instid0(VALU_DEP_2) | instskip(NEXT) | instid1(VALU_DEP_2)
	v_add_f64 v[1:2], v[6:7], v[1:2]
	v_add_f64 v[3:4], v[8:9], v[3:4]
	s_delay_alu instid0(VALU_DEP_2) | instskip(NEXT) | instid1(VALU_DEP_2)
	v_add_f64 v[1:2], v[122:123], -v[1:2]
	v_add_f64 v[3:4], v[124:125], -v[3:4]
	scratch_store_b128 off, v[1:4], off offset:64
	v_cmpx_lt_u32_e32 3, v59
	s_cbranch_execz .LBB86_145
; %bb.144:
	scratch_load_b128 v[1:4], v61, off
	v_mov_b32_e32 v6, 0
	s_delay_alu instid0(VALU_DEP_1)
	v_mov_b32_e32 v7, v6
	v_mov_b32_e32 v8, v6
	;; [unrolled: 1-line block ×3, first 2 shown]
	scratch_store_b128 off, v[6:9], off offset:48
	s_waitcnt vmcnt(0)
	ds_store_b128 v5, v[1:4]
.LBB86_145:
	s_or_b32 exec_lo, exec_lo, s2
	s_waitcnt lgkmcnt(0)
	s_waitcnt_vscnt null, 0x0
	s_barrier
	buffer_gl0_inv
	s_clause 0x7
	scratch_load_b128 v[6:9], off, off offset:64
	scratch_load_b128 v[82:85], off, off offset:80
	;; [unrolled: 1-line block ×8, first 2 shown]
	v_mov_b32_e32 v1, 0
	s_mov_b32 s2, exec_lo
	ds_load_b128 v[110:113], v1 offset:432
	s_clause 0x1
	scratch_load_b128 v[114:117], off, off offset:192
	scratch_load_b128 v[118:121], off, off offset:48
	ds_load_b128 v[122:125], v1 offset:448
	ds_load_b128 v[130:133], v1 offset:480
	s_waitcnt vmcnt(9) lgkmcnt(2)
	v_mul_f64 v[2:3], v[112:113], v[8:9]
	v_mul_f64 v[126:127], v[110:111], v[8:9]
	scratch_load_b128 v[8:11], off, off offset:208
	v_fma_f64 v[2:3], v[110:111], v[6:7], -v[2:3]
	v_fma_f64 v[6:7], v[112:113], v[6:7], v[126:127]
	scratch_load_b128 v[126:129], off, off offset:224
	ds_load_b128 v[110:113], v1 offset:464
	s_waitcnt vmcnt(10) lgkmcnt(2)
	v_mul_f64 v[134:135], v[122:123], v[84:85]
	v_mul_f64 v[84:85], v[124:125], v[84:85]
	s_waitcnt vmcnt(9) lgkmcnt(0)
	v_mul_f64 v[136:137], v[110:111], v[88:89]
	v_mul_f64 v[88:89], v[112:113], v[88:89]
	v_add_f64 v[2:3], v[2:3], 0
	v_add_f64 v[6:7], v[6:7], 0
	v_fma_f64 v[124:125], v[124:125], v[82:83], v[134:135]
	v_fma_f64 v[122:123], v[122:123], v[82:83], -v[84:85]
	scratch_load_b128 v[82:85], off, off offset:240
	v_fma_f64 v[136:137], v[112:113], v[86:87], v[136:137]
	v_fma_f64 v[138:139], v[110:111], v[86:87], -v[88:89]
	scratch_load_b128 v[110:113], off, off offset:256
	ds_load_b128 v[86:89], v1 offset:496
	s_waitcnt vmcnt(10)
	v_mul_f64 v[134:135], v[130:131], v[92:93]
	v_mul_f64 v[92:93], v[132:133], v[92:93]
	v_add_f64 v[6:7], v[6:7], v[124:125]
	v_add_f64 v[2:3], v[2:3], v[122:123]
	ds_load_b128 v[122:125], v1 offset:512
	s_waitcnt vmcnt(9) lgkmcnt(1)
	v_mul_f64 v[140:141], v[86:87], v[96:97]
	v_mul_f64 v[96:97], v[88:89], v[96:97]
	v_fma_f64 v[132:133], v[132:133], v[90:91], v[134:135]
	v_fma_f64 v[130:131], v[130:131], v[90:91], -v[92:93]
	scratch_load_b128 v[90:93], off, off offset:272
	v_add_f64 v[6:7], v[6:7], v[136:137]
	v_add_f64 v[2:3], v[2:3], v[138:139]
	v_fma_f64 v[136:137], v[88:89], v[94:95], v[140:141]
	v_fma_f64 v[138:139], v[86:87], v[94:95], -v[96:97]
	scratch_load_b128 v[94:97], off, off offset:288
	ds_load_b128 v[86:89], v1 offset:528
	s_waitcnt vmcnt(10) lgkmcnt(1)
	v_mul_f64 v[134:135], v[122:123], v[100:101]
	v_mul_f64 v[100:101], v[124:125], v[100:101]
	s_waitcnt vmcnt(9) lgkmcnt(0)
	v_mul_f64 v[140:141], v[86:87], v[104:105]
	v_mul_f64 v[104:105], v[88:89], v[104:105]
	v_add_f64 v[6:7], v[6:7], v[132:133]
	v_add_f64 v[2:3], v[2:3], v[130:131]
	ds_load_b128 v[130:133], v1 offset:544
	v_fma_f64 v[124:125], v[124:125], v[98:99], v[134:135]
	v_fma_f64 v[122:123], v[122:123], v[98:99], -v[100:101]
	scratch_load_b128 v[98:101], off, off offset:304
	v_add_f64 v[6:7], v[6:7], v[136:137]
	v_add_f64 v[2:3], v[2:3], v[138:139]
	v_fma_f64 v[136:137], v[88:89], v[102:103], v[140:141]
	v_fma_f64 v[138:139], v[86:87], v[102:103], -v[104:105]
	scratch_load_b128 v[102:105], off, off offset:320
	ds_load_b128 v[86:89], v1 offset:560
	s_waitcnt vmcnt(10) lgkmcnt(1)
	v_mul_f64 v[134:135], v[130:131], v[108:109]
	v_mul_f64 v[108:109], v[132:133], v[108:109]
	s_waitcnt vmcnt(9) lgkmcnt(0)
	v_mul_f64 v[140:141], v[86:87], v[116:117]
	v_mul_f64 v[116:117], v[88:89], v[116:117]
	v_add_f64 v[6:7], v[6:7], v[124:125]
	v_add_f64 v[2:3], v[2:3], v[122:123]
	ds_load_b128 v[122:125], v1 offset:576
	v_fma_f64 v[132:133], v[132:133], v[106:107], v[134:135]
	v_fma_f64 v[130:131], v[130:131], v[106:107], -v[108:109]
	scratch_load_b128 v[106:109], off, off offset:336
	v_add_f64 v[6:7], v[6:7], v[136:137]
	v_add_f64 v[2:3], v[2:3], v[138:139]
	v_fma_f64 v[136:137], v[88:89], v[114:115], v[140:141]
	v_fma_f64 v[138:139], v[86:87], v[114:115], -v[116:117]
	scratch_load_b128 v[114:117], off, off offset:352
	ds_load_b128 v[86:89], v1 offset:592
	s_waitcnt vmcnt(9) lgkmcnt(1)
	v_mul_f64 v[134:135], v[122:123], v[10:11]
	v_mul_f64 v[10:11], v[124:125], v[10:11]
	v_add_f64 v[6:7], v[6:7], v[132:133]
	v_add_f64 v[2:3], v[2:3], v[130:131]
	ds_load_b128 v[130:133], v1 offset:608
	s_waitcnt vmcnt(8) lgkmcnt(1)
	v_mul_f64 v[140:141], v[86:87], v[128:129]
	v_mul_f64 v[128:129], v[88:89], v[128:129]
	v_fma_f64 v[124:125], v[124:125], v[8:9], v[134:135]
	v_fma_f64 v[8:9], v[122:123], v[8:9], -v[10:11]
	v_add_f64 v[6:7], v[6:7], v[136:137]
	v_add_f64 v[2:3], v[2:3], v[138:139]
	v_fma_f64 v[88:89], v[88:89], v[126:127], v[140:141]
	v_fma_f64 v[126:127], v[86:87], v[126:127], -v[128:129]
	s_waitcnt vmcnt(7) lgkmcnt(0)
	v_mul_f64 v[10:11], v[130:131], v[84:85]
	v_mul_f64 v[122:123], v[132:133], v[84:85]
	v_add_f64 v[124:125], v[6:7], v[124:125]
	v_add_f64 v[2:3], v[2:3], v[8:9]
	ds_load_b128 v[6:9], v1 offset:624
	ds_load_b128 v[84:87], v1 offset:640
	v_fma_f64 v[10:11], v[132:133], v[82:83], v[10:11]
	v_fma_f64 v[82:83], v[130:131], v[82:83], -v[122:123]
	s_waitcnt vmcnt(6) lgkmcnt(1)
	v_mul_f64 v[128:129], v[6:7], v[112:113]
	v_mul_f64 v[112:113], v[8:9], v[112:113]
	v_add_f64 v[88:89], v[124:125], v[88:89]
	v_add_f64 v[2:3], v[2:3], v[126:127]
	s_waitcnt vmcnt(5) lgkmcnt(0)
	v_mul_f64 v[122:123], v[84:85], v[92:93]
	v_mul_f64 v[92:93], v[86:87], v[92:93]
	v_fma_f64 v[124:125], v[8:9], v[110:111], v[128:129]
	v_fma_f64 v[126:127], v[6:7], v[110:111], -v[112:113]
	ds_load_b128 v[6:9], v1 offset:656
	ds_load_b128 v[110:113], v1 offset:672
	v_add_f64 v[10:11], v[88:89], v[10:11]
	v_add_f64 v[2:3], v[2:3], v[82:83]
	v_fma_f64 v[86:87], v[86:87], v[90:91], v[122:123]
	s_waitcnt vmcnt(4) lgkmcnt(1)
	v_mul_f64 v[82:83], v[6:7], v[96:97]
	v_mul_f64 v[88:89], v[8:9], v[96:97]
	v_fma_f64 v[84:85], v[84:85], v[90:91], -v[92:93]
	s_waitcnt vmcnt(3) lgkmcnt(0)
	v_mul_f64 v[90:91], v[110:111], v[100:101]
	v_mul_f64 v[92:93], v[112:113], v[100:101]
	v_add_f64 v[10:11], v[10:11], v[124:125]
	v_add_f64 v[2:3], v[2:3], v[126:127]
	v_fma_f64 v[96:97], v[8:9], v[94:95], v[82:83]
	v_fma_f64 v[88:89], v[6:7], v[94:95], -v[88:89]
	v_fma_f64 v[90:91], v[112:113], v[98:99], v[90:91]
	v_fma_f64 v[92:93], v[110:111], v[98:99], -v[92:93]
	v_add_f64 v[10:11], v[10:11], v[86:87]
	v_add_f64 v[2:3], v[2:3], v[84:85]
	ds_load_b128 v[6:9], v1 offset:688
	ds_load_b128 v[82:85], v1 offset:704
	s_waitcnt vmcnt(2) lgkmcnt(1)
	v_mul_f64 v[86:87], v[6:7], v[104:105]
	v_mul_f64 v[94:95], v[8:9], v[104:105]
	v_add_f64 v[10:11], v[10:11], v[96:97]
	v_add_f64 v[2:3], v[2:3], v[88:89]
	s_waitcnt vmcnt(1) lgkmcnt(0)
	v_mul_f64 v[88:89], v[82:83], v[108:109]
	v_mul_f64 v[96:97], v[84:85], v[108:109]
	v_fma_f64 v[86:87], v[8:9], v[102:103], v[86:87]
	v_fma_f64 v[94:95], v[6:7], v[102:103], -v[94:95]
	ds_load_b128 v[6:9], v1 offset:720
	v_add_f64 v[10:11], v[10:11], v[90:91]
	v_add_f64 v[2:3], v[2:3], v[92:93]
	v_fma_f64 v[84:85], v[84:85], v[106:107], v[88:89]
	v_fma_f64 v[82:83], v[82:83], v[106:107], -v[96:97]
	s_waitcnt vmcnt(0) lgkmcnt(0)
	v_mul_f64 v[90:91], v[6:7], v[116:117]
	v_mul_f64 v[92:93], v[8:9], v[116:117]
	v_add_f64 v[10:11], v[10:11], v[86:87]
	v_add_f64 v[2:3], v[2:3], v[94:95]
	s_delay_alu instid0(VALU_DEP_4) | instskip(NEXT) | instid1(VALU_DEP_4)
	v_fma_f64 v[8:9], v[8:9], v[114:115], v[90:91]
	v_fma_f64 v[6:7], v[6:7], v[114:115], -v[92:93]
	s_delay_alu instid0(VALU_DEP_4) | instskip(NEXT) | instid1(VALU_DEP_4)
	v_add_f64 v[10:11], v[10:11], v[84:85]
	v_add_f64 v[2:3], v[2:3], v[82:83]
	s_delay_alu instid0(VALU_DEP_2) | instskip(NEXT) | instid1(VALU_DEP_2)
	v_add_f64 v[8:9], v[10:11], v[8:9]
	v_add_f64 v[2:3], v[2:3], v[6:7]
	s_delay_alu instid0(VALU_DEP_2) | instskip(NEXT) | instid1(VALU_DEP_2)
	v_add_f64 v[8:9], v[120:121], -v[8:9]
	v_add_f64 v[6:7], v[118:119], -v[2:3]
	scratch_store_b128 off, v[6:9], off offset:48
	v_cmpx_lt_u32_e32 2, v59
	s_cbranch_execz .LBB86_147
; %bb.146:
	scratch_load_b128 v[6:9], v64, off
	v_mov_b32_e32 v2, v1
	v_mov_b32_e32 v3, v1
	;; [unrolled: 1-line block ×3, first 2 shown]
	scratch_store_b128 off, v[1:4], off offset:32
	s_waitcnt vmcnt(0)
	ds_store_b128 v5, v[6:9]
.LBB86_147:
	s_or_b32 exec_lo, exec_lo, s2
	s_waitcnt lgkmcnt(0)
	s_waitcnt_vscnt null, 0x0
	s_barrier
	buffer_gl0_inv
	s_clause 0x8
	scratch_load_b128 v[6:9], off, off offset:48
	scratch_load_b128 v[82:85], off, off offset:64
	;; [unrolled: 1-line block ×9, first 2 shown]
	ds_load_b128 v[114:117], v1 offset:416
	ds_load_b128 v[118:121], v1 offset:432
	scratch_load_b128 v[122:125], off, off offset:32
	s_mov_b32 s2, exec_lo
	ds_load_b128 v[130:133], v1 offset:464
	s_waitcnt vmcnt(9) lgkmcnt(2)
	v_mul_f64 v[2:3], v[116:117], v[8:9]
	v_mul_f64 v[126:127], v[114:115], v[8:9]
	scratch_load_b128 v[8:11], off, off offset:192
	s_waitcnt vmcnt(9) lgkmcnt(1)
	v_mul_f64 v[134:135], v[118:119], v[84:85]
	v_mul_f64 v[84:85], v[120:121], v[84:85]
	v_fma_f64 v[2:3], v[114:115], v[6:7], -v[2:3]
	v_fma_f64 v[6:7], v[116:117], v[6:7], v[126:127]
	ds_load_b128 v[114:117], v1 offset:448
	scratch_load_b128 v[126:129], off, off offset:208
	v_fma_f64 v[120:121], v[120:121], v[82:83], v[134:135]
	v_fma_f64 v[118:119], v[118:119], v[82:83], -v[84:85]
	scratch_load_b128 v[82:85], off, off offset:224
	s_waitcnt vmcnt(9) lgkmcnt(1)
	v_mul_f64 v[134:135], v[130:131], v[92:93]
	v_mul_f64 v[92:93], v[132:133], v[92:93]
	s_waitcnt lgkmcnt(0)
	v_mul_f64 v[136:137], v[114:115], v[88:89]
	v_mul_f64 v[88:89], v[116:117], v[88:89]
	v_add_f64 v[2:3], v[2:3], 0
	v_add_f64 v[6:7], v[6:7], 0
	v_fma_f64 v[132:133], v[132:133], v[90:91], v[134:135]
	v_fma_f64 v[130:131], v[130:131], v[90:91], -v[92:93]
	scratch_load_b128 v[90:93], off, off offset:256
	v_fma_f64 v[136:137], v[116:117], v[86:87], v[136:137]
	v_fma_f64 v[138:139], v[114:115], v[86:87], -v[88:89]
	ds_load_b128 v[86:89], v1 offset:480
	scratch_load_b128 v[114:117], off, off offset:240
	v_add_f64 v[2:3], v[2:3], v[118:119]
	v_add_f64 v[6:7], v[6:7], v[120:121]
	ds_load_b128 v[118:121], v1 offset:496
	s_waitcnt vmcnt(10) lgkmcnt(1)
	v_mul_f64 v[140:141], v[86:87], v[96:97]
	v_mul_f64 v[96:97], v[88:89], v[96:97]
	s_waitcnt vmcnt(9) lgkmcnt(0)
	v_mul_f64 v[134:135], v[118:119], v[100:101]
	v_mul_f64 v[100:101], v[120:121], v[100:101]
	v_add_f64 v[2:3], v[2:3], v[138:139]
	v_add_f64 v[6:7], v[6:7], v[136:137]
	v_fma_f64 v[136:137], v[88:89], v[94:95], v[140:141]
	v_fma_f64 v[138:139], v[86:87], v[94:95], -v[96:97]
	ds_load_b128 v[86:89], v1 offset:512
	scratch_load_b128 v[94:97], off, off offset:272
	v_fma_f64 v[120:121], v[120:121], v[98:99], v[134:135]
	v_fma_f64 v[118:119], v[118:119], v[98:99], -v[100:101]
	scratch_load_b128 v[98:101], off, off offset:288
	v_add_f64 v[2:3], v[2:3], v[130:131]
	v_add_f64 v[6:7], v[6:7], v[132:133]
	ds_load_b128 v[130:133], v1 offset:528
	s_waitcnt vmcnt(10) lgkmcnt(1)
	v_mul_f64 v[140:141], v[86:87], v[104:105]
	v_mul_f64 v[104:105], v[88:89], v[104:105]
	s_waitcnt vmcnt(9) lgkmcnt(0)
	v_mul_f64 v[134:135], v[130:131], v[108:109]
	v_mul_f64 v[108:109], v[132:133], v[108:109]
	v_add_f64 v[2:3], v[2:3], v[138:139]
	v_add_f64 v[6:7], v[6:7], v[136:137]
	v_fma_f64 v[136:137], v[88:89], v[102:103], v[140:141]
	v_fma_f64 v[138:139], v[86:87], v[102:103], -v[104:105]
	ds_load_b128 v[86:89], v1 offset:544
	scratch_load_b128 v[102:105], off, off offset:304
	v_fma_f64 v[132:133], v[132:133], v[106:107], v[134:135]
	v_fma_f64 v[130:131], v[130:131], v[106:107], -v[108:109]
	scratch_load_b128 v[106:109], off, off offset:320
	v_add_f64 v[2:3], v[2:3], v[118:119]
	v_add_f64 v[6:7], v[6:7], v[120:121]
	ds_load_b128 v[118:121], v1 offset:560
	s_waitcnt vmcnt(10) lgkmcnt(1)
	v_mul_f64 v[140:141], v[86:87], v[112:113]
	v_mul_f64 v[112:113], v[88:89], v[112:113]
	v_add_f64 v[2:3], v[2:3], v[138:139]
	v_add_f64 v[6:7], v[6:7], v[136:137]
	s_delay_alu instid0(VALU_DEP_4) | instskip(NEXT) | instid1(VALU_DEP_4)
	v_fma_f64 v[136:137], v[88:89], v[110:111], v[140:141]
	v_fma_f64 v[138:139], v[86:87], v[110:111], -v[112:113]
	ds_load_b128 v[86:89], v1 offset:576
	scratch_load_b128 v[110:113], off, off offset:336
	s_waitcnt vmcnt(9) lgkmcnt(1)
	v_mul_f64 v[134:135], v[118:119], v[10:11]
	v_mul_f64 v[10:11], v[120:121], v[10:11]
	v_add_f64 v[2:3], v[2:3], v[130:131]
	v_add_f64 v[6:7], v[6:7], v[132:133]
	ds_load_b128 v[130:133], v1 offset:592
	v_fma_f64 v[120:121], v[120:121], v[8:9], v[134:135]
	s_waitcnt vmcnt(8) lgkmcnt(1)
	v_mul_f64 v[140:141], v[86:87], v[128:129]
	v_mul_f64 v[128:129], v[88:89], v[128:129]
	v_fma_f64 v[10:11], v[118:119], v[8:9], -v[10:11]
	s_waitcnt vmcnt(7) lgkmcnt(0)
	v_mul_f64 v[134:135], v[130:131], v[84:85]
	v_add_f64 v[2:3], v[2:3], v[138:139]
	v_add_f64 v[118:119], v[6:7], v[136:137]
	scratch_load_b128 v[6:9], off, off offset:352
	v_mul_f64 v[136:137], v[132:133], v[84:85]
	v_fma_f64 v[88:89], v[88:89], v[126:127], v[140:141]
	v_fma_f64 v[126:127], v[86:87], v[126:127], -v[128:129]
	v_fma_f64 v[132:133], v[132:133], v[82:83], v[134:135]
	v_add_f64 v[2:3], v[2:3], v[10:11]
	v_add_f64 v[10:11], v[118:119], v[120:121]
	ds_load_b128 v[84:87], v1 offset:608
	ds_load_b128 v[118:121], v1 offset:624
	v_fma_f64 v[82:83], v[130:131], v[82:83], -v[136:137]
	s_waitcnt vmcnt(6) lgkmcnt(1)
	v_mul_f64 v[128:129], v[84:85], v[116:117]
	v_mul_f64 v[116:117], v[86:87], v[116:117]
	v_add_f64 v[2:3], v[2:3], v[126:127]
	v_add_f64 v[10:11], v[10:11], v[88:89]
	s_waitcnt lgkmcnt(0)
	v_mul_f64 v[126:127], v[118:119], v[92:93]
	v_mul_f64 v[92:93], v[120:121], v[92:93]
	v_fma_f64 v[128:129], v[86:87], v[114:115], v[128:129]
	v_fma_f64 v[114:115], v[84:85], v[114:115], -v[116:117]
	v_add_f64 v[2:3], v[2:3], v[82:83]
	v_add_f64 v[10:11], v[10:11], v[132:133]
	ds_load_b128 v[82:85], v1 offset:640
	ds_load_b128 v[86:89], v1 offset:656
	v_fma_f64 v[120:121], v[120:121], v[90:91], v[126:127]
	v_fma_f64 v[90:91], v[118:119], v[90:91], -v[92:93]
	s_waitcnt vmcnt(5) lgkmcnt(1)
	v_mul_f64 v[116:117], v[82:83], v[96:97]
	v_mul_f64 v[96:97], v[84:85], v[96:97]
	v_add_f64 v[2:3], v[2:3], v[114:115]
	v_add_f64 v[10:11], v[10:11], v[128:129]
	s_waitcnt vmcnt(4) lgkmcnt(0)
	v_mul_f64 v[114:115], v[86:87], v[100:101]
	v_mul_f64 v[100:101], v[88:89], v[100:101]
	v_fma_f64 v[116:117], v[84:85], v[94:95], v[116:117]
	v_fma_f64 v[94:95], v[82:83], v[94:95], -v[96:97]
	v_add_f64 v[2:3], v[2:3], v[90:91]
	v_add_f64 v[10:11], v[10:11], v[120:121]
	ds_load_b128 v[82:85], v1 offset:672
	ds_load_b128 v[90:93], v1 offset:688
	v_fma_f64 v[88:89], v[88:89], v[98:99], v[114:115]
	v_fma_f64 v[86:87], v[86:87], v[98:99], -v[100:101]
	s_waitcnt vmcnt(3) lgkmcnt(1)
	v_mul_f64 v[96:97], v[82:83], v[104:105]
	v_mul_f64 v[104:105], v[84:85], v[104:105]
	s_waitcnt vmcnt(2) lgkmcnt(0)
	v_mul_f64 v[98:99], v[92:93], v[108:109]
	v_add_f64 v[2:3], v[2:3], v[94:95]
	v_add_f64 v[10:11], v[10:11], v[116:117]
	v_mul_f64 v[94:95], v[90:91], v[108:109]
	v_fma_f64 v[96:97], v[84:85], v[102:103], v[96:97]
	v_fma_f64 v[100:101], v[82:83], v[102:103], -v[104:105]
	v_fma_f64 v[90:91], v[90:91], v[106:107], -v[98:99]
	v_add_f64 v[86:87], v[2:3], v[86:87]
	v_add_f64 v[10:11], v[10:11], v[88:89]
	ds_load_b128 v[82:85], v1 offset:704
	ds_load_b128 v[1:4], v1 offset:720
	v_fma_f64 v[92:93], v[92:93], v[106:107], v[94:95]
	s_waitcnt vmcnt(1) lgkmcnt(1)
	v_mul_f64 v[88:89], v[82:83], v[112:113]
	v_mul_f64 v[102:103], v[84:85], v[112:113]
	v_add_f64 v[86:87], v[86:87], v[100:101]
	v_add_f64 v[10:11], v[10:11], v[96:97]
	s_waitcnt vmcnt(0) lgkmcnt(0)
	v_mul_f64 v[94:95], v[1:2], v[8:9]
	v_mul_f64 v[8:9], v[3:4], v[8:9]
	v_fma_f64 v[84:85], v[84:85], v[110:111], v[88:89]
	v_fma_f64 v[82:83], v[82:83], v[110:111], -v[102:103]
	v_add_f64 v[86:87], v[86:87], v[90:91]
	v_add_f64 v[10:11], v[10:11], v[92:93]
	v_fma_f64 v[3:4], v[3:4], v[6:7], v[94:95]
	v_fma_f64 v[1:2], v[1:2], v[6:7], -v[8:9]
	s_delay_alu instid0(VALU_DEP_4) | instskip(NEXT) | instid1(VALU_DEP_4)
	v_add_f64 v[6:7], v[86:87], v[82:83]
	v_add_f64 v[8:9], v[10:11], v[84:85]
	s_delay_alu instid0(VALU_DEP_2) | instskip(NEXT) | instid1(VALU_DEP_2)
	v_add_f64 v[1:2], v[6:7], v[1:2]
	v_add_f64 v[3:4], v[8:9], v[3:4]
	s_delay_alu instid0(VALU_DEP_2) | instskip(NEXT) | instid1(VALU_DEP_2)
	v_add_f64 v[1:2], v[122:123], -v[1:2]
	v_add_f64 v[3:4], v[124:125], -v[3:4]
	scratch_store_b128 off, v[1:4], off offset:32
	v_cmpx_lt_u32_e32 1, v59
	s_cbranch_execz .LBB86_149
; %bb.148:
	scratch_load_b128 v[1:4], v69, off
	v_mov_b32_e32 v6, 0
	s_delay_alu instid0(VALU_DEP_1)
	v_mov_b32_e32 v7, v6
	v_mov_b32_e32 v8, v6
	;; [unrolled: 1-line block ×3, first 2 shown]
	scratch_store_b128 off, v[6:9], off offset:16
	s_waitcnt vmcnt(0)
	ds_store_b128 v5, v[1:4]
.LBB86_149:
	s_or_b32 exec_lo, exec_lo, s2
	s_waitcnt lgkmcnt(0)
	s_waitcnt_vscnt null, 0x0
	s_barrier
	buffer_gl0_inv
	s_clause 0x7
	scratch_load_b128 v[6:9], off, off offset:32
	scratch_load_b128 v[82:85], off, off offset:48
	;; [unrolled: 1-line block ×8, first 2 shown]
	v_mov_b32_e32 v1, 0
	s_mov_b32 s2, exec_lo
	ds_load_b128 v[110:113], v1 offset:400
	s_clause 0x1
	scratch_load_b128 v[114:117], off, off offset:160
	scratch_load_b128 v[118:121], off, off offset:16
	ds_load_b128 v[122:125], v1 offset:416
	ds_load_b128 v[130:133], v1 offset:448
	s_waitcnt vmcnt(9) lgkmcnt(2)
	v_mul_f64 v[2:3], v[112:113], v[8:9]
	v_mul_f64 v[126:127], v[110:111], v[8:9]
	scratch_load_b128 v[8:11], off, off offset:176
	v_fma_f64 v[2:3], v[110:111], v[6:7], -v[2:3]
	v_fma_f64 v[6:7], v[112:113], v[6:7], v[126:127]
	scratch_load_b128 v[126:129], off, off offset:192
	ds_load_b128 v[110:113], v1 offset:432
	s_waitcnt vmcnt(10) lgkmcnt(2)
	v_mul_f64 v[134:135], v[122:123], v[84:85]
	v_mul_f64 v[84:85], v[124:125], v[84:85]
	s_waitcnt vmcnt(9) lgkmcnt(0)
	v_mul_f64 v[136:137], v[110:111], v[88:89]
	v_mul_f64 v[88:89], v[112:113], v[88:89]
	v_add_f64 v[2:3], v[2:3], 0
	v_add_f64 v[6:7], v[6:7], 0
	v_fma_f64 v[124:125], v[124:125], v[82:83], v[134:135]
	v_fma_f64 v[122:123], v[122:123], v[82:83], -v[84:85]
	scratch_load_b128 v[82:85], off, off offset:208
	v_fma_f64 v[136:137], v[112:113], v[86:87], v[136:137]
	v_fma_f64 v[138:139], v[110:111], v[86:87], -v[88:89]
	scratch_load_b128 v[110:113], off, off offset:224
	ds_load_b128 v[86:89], v1 offset:464
	s_waitcnt vmcnt(10)
	v_mul_f64 v[134:135], v[130:131], v[92:93]
	v_mul_f64 v[92:93], v[132:133], v[92:93]
	v_add_f64 v[6:7], v[6:7], v[124:125]
	v_add_f64 v[2:3], v[2:3], v[122:123]
	ds_load_b128 v[122:125], v1 offset:480
	s_waitcnt vmcnt(9) lgkmcnt(1)
	v_mul_f64 v[140:141], v[86:87], v[96:97]
	v_mul_f64 v[96:97], v[88:89], v[96:97]
	v_fma_f64 v[132:133], v[132:133], v[90:91], v[134:135]
	v_fma_f64 v[130:131], v[130:131], v[90:91], -v[92:93]
	scratch_load_b128 v[90:93], off, off offset:240
	v_add_f64 v[6:7], v[6:7], v[136:137]
	v_add_f64 v[2:3], v[2:3], v[138:139]
	v_fma_f64 v[136:137], v[88:89], v[94:95], v[140:141]
	v_fma_f64 v[138:139], v[86:87], v[94:95], -v[96:97]
	scratch_load_b128 v[94:97], off, off offset:256
	ds_load_b128 v[86:89], v1 offset:496
	s_waitcnt vmcnt(10) lgkmcnt(1)
	v_mul_f64 v[134:135], v[122:123], v[100:101]
	v_mul_f64 v[100:101], v[124:125], v[100:101]
	s_waitcnt vmcnt(9) lgkmcnt(0)
	v_mul_f64 v[140:141], v[86:87], v[104:105]
	v_mul_f64 v[104:105], v[88:89], v[104:105]
	v_add_f64 v[6:7], v[6:7], v[132:133]
	v_add_f64 v[2:3], v[2:3], v[130:131]
	ds_load_b128 v[130:133], v1 offset:512
	v_fma_f64 v[124:125], v[124:125], v[98:99], v[134:135]
	v_fma_f64 v[122:123], v[122:123], v[98:99], -v[100:101]
	scratch_load_b128 v[98:101], off, off offset:272
	v_add_f64 v[6:7], v[6:7], v[136:137]
	v_add_f64 v[2:3], v[2:3], v[138:139]
	v_fma_f64 v[136:137], v[88:89], v[102:103], v[140:141]
	v_fma_f64 v[138:139], v[86:87], v[102:103], -v[104:105]
	scratch_load_b128 v[102:105], off, off offset:288
	ds_load_b128 v[86:89], v1 offset:528
	s_waitcnt vmcnt(10) lgkmcnt(1)
	v_mul_f64 v[134:135], v[130:131], v[108:109]
	v_mul_f64 v[108:109], v[132:133], v[108:109]
	s_waitcnt vmcnt(9) lgkmcnt(0)
	v_mul_f64 v[140:141], v[86:87], v[116:117]
	v_mul_f64 v[116:117], v[88:89], v[116:117]
	v_add_f64 v[6:7], v[6:7], v[124:125]
	v_add_f64 v[2:3], v[2:3], v[122:123]
	ds_load_b128 v[122:125], v1 offset:544
	v_fma_f64 v[132:133], v[132:133], v[106:107], v[134:135]
	v_fma_f64 v[130:131], v[130:131], v[106:107], -v[108:109]
	scratch_load_b128 v[106:109], off, off offset:304
	v_add_f64 v[6:7], v[6:7], v[136:137]
	v_add_f64 v[2:3], v[2:3], v[138:139]
	v_fma_f64 v[136:137], v[88:89], v[114:115], v[140:141]
	v_fma_f64 v[138:139], v[86:87], v[114:115], -v[116:117]
	scratch_load_b128 v[114:117], off, off offset:320
	ds_load_b128 v[86:89], v1 offset:560
	s_waitcnt vmcnt(9) lgkmcnt(1)
	v_mul_f64 v[134:135], v[122:123], v[10:11]
	v_mul_f64 v[10:11], v[124:125], v[10:11]
	v_add_f64 v[6:7], v[6:7], v[132:133]
	v_add_f64 v[2:3], v[2:3], v[130:131]
	ds_load_b128 v[130:133], v1 offset:576
	s_waitcnt vmcnt(8) lgkmcnt(1)
	v_mul_f64 v[140:141], v[86:87], v[128:129]
	v_mul_f64 v[128:129], v[88:89], v[128:129]
	v_fma_f64 v[124:125], v[124:125], v[8:9], v[134:135]
	v_fma_f64 v[10:11], v[122:123], v[8:9], -v[10:11]
	v_add_f64 v[122:123], v[6:7], v[136:137]
	v_add_f64 v[2:3], v[2:3], v[138:139]
	scratch_load_b128 v[6:9], off, off offset:336
	v_fma_f64 v[88:89], v[88:89], v[126:127], v[140:141]
	v_fma_f64 v[138:139], v[86:87], v[126:127], -v[128:129]
	ds_load_b128 v[126:129], v1 offset:608
	s_waitcnt vmcnt(8) lgkmcnt(1)
	v_mul_f64 v[134:135], v[130:131], v[84:85]
	v_mul_f64 v[136:137], v[132:133], v[84:85]
	ds_load_b128 v[84:87], v1 offset:592
	v_add_f64 v[2:3], v[2:3], v[10:11]
	v_add_f64 v[10:11], v[122:123], v[124:125]
	scratch_load_b128 v[122:125], off, off offset:352
	s_waitcnt vmcnt(8) lgkmcnt(0)
	v_mul_f64 v[140:141], v[84:85], v[112:113]
	v_mul_f64 v[112:113], v[86:87], v[112:113]
	v_fma_f64 v[132:133], v[132:133], v[82:83], v[134:135]
	v_fma_f64 v[82:83], v[130:131], v[82:83], -v[136:137]
	v_add_f64 v[2:3], v[2:3], v[138:139]
	v_add_f64 v[10:11], v[10:11], v[88:89]
	s_waitcnt vmcnt(7)
	v_mul_f64 v[130:131], v[126:127], v[92:93]
	v_mul_f64 v[92:93], v[128:129], v[92:93]
	v_fma_f64 v[134:135], v[86:87], v[110:111], v[140:141]
	v_fma_f64 v[110:111], v[84:85], v[110:111], -v[112:113]
	v_add_f64 v[2:3], v[2:3], v[82:83]
	v_add_f64 v[10:11], v[10:11], v[132:133]
	ds_load_b128 v[82:85], v1 offset:624
	ds_load_b128 v[86:89], v1 offset:640
	v_fma_f64 v[128:129], v[128:129], v[90:91], v[130:131]
	v_fma_f64 v[90:91], v[126:127], v[90:91], -v[92:93]
	s_waitcnt vmcnt(6) lgkmcnt(1)
	v_mul_f64 v[112:113], v[82:83], v[96:97]
	v_mul_f64 v[96:97], v[84:85], v[96:97]
	v_add_f64 v[2:3], v[2:3], v[110:111]
	v_add_f64 v[10:11], v[10:11], v[134:135]
	s_waitcnt vmcnt(5) lgkmcnt(0)
	v_mul_f64 v[110:111], v[86:87], v[100:101]
	v_mul_f64 v[100:101], v[88:89], v[100:101]
	v_fma_f64 v[112:113], v[84:85], v[94:95], v[112:113]
	v_fma_f64 v[94:95], v[82:83], v[94:95], -v[96:97]
	v_add_f64 v[2:3], v[2:3], v[90:91]
	v_add_f64 v[10:11], v[10:11], v[128:129]
	ds_load_b128 v[82:85], v1 offset:656
	ds_load_b128 v[90:93], v1 offset:672
	v_fma_f64 v[88:89], v[88:89], v[98:99], v[110:111]
	v_fma_f64 v[86:87], v[86:87], v[98:99], -v[100:101]
	s_waitcnt vmcnt(4) lgkmcnt(1)
	v_mul_f64 v[96:97], v[82:83], v[104:105]
	v_mul_f64 v[104:105], v[84:85], v[104:105]
	s_waitcnt vmcnt(3) lgkmcnt(0)
	v_mul_f64 v[98:99], v[92:93], v[108:109]
	v_add_f64 v[2:3], v[2:3], v[94:95]
	v_add_f64 v[10:11], v[10:11], v[112:113]
	v_mul_f64 v[94:95], v[90:91], v[108:109]
	v_fma_f64 v[96:97], v[84:85], v[102:103], v[96:97]
	v_fma_f64 v[100:101], v[82:83], v[102:103], -v[104:105]
	v_fma_f64 v[90:91], v[90:91], v[106:107], -v[98:99]
	v_add_f64 v[2:3], v[2:3], v[86:87]
	v_add_f64 v[10:11], v[10:11], v[88:89]
	ds_load_b128 v[82:85], v1 offset:688
	ds_load_b128 v[86:89], v1 offset:704
	v_fma_f64 v[92:93], v[92:93], v[106:107], v[94:95]
	s_waitcnt vmcnt(2) lgkmcnt(1)
	v_mul_f64 v[102:103], v[82:83], v[116:117]
	v_mul_f64 v[104:105], v[84:85], v[116:117]
	v_add_f64 v[2:3], v[2:3], v[100:101]
	v_add_f64 v[10:11], v[10:11], v[96:97]
	s_waitcnt vmcnt(1) lgkmcnt(0)
	v_mul_f64 v[94:95], v[86:87], v[8:9]
	v_mul_f64 v[96:97], v[88:89], v[8:9]
	v_fma_f64 v[84:85], v[84:85], v[114:115], v[102:103]
	v_fma_f64 v[82:83], v[82:83], v[114:115], -v[104:105]
	v_add_f64 v[2:3], v[2:3], v[90:91]
	v_add_f64 v[90:91], v[10:11], v[92:93]
	ds_load_b128 v[8:11], v1 offset:720
	v_fma_f64 v[88:89], v[88:89], v[6:7], v[94:95]
	v_fma_f64 v[6:7], v[86:87], v[6:7], -v[96:97]
	s_waitcnt vmcnt(0) lgkmcnt(0)
	v_mul_f64 v[92:93], v[8:9], v[124:125]
	v_mul_f64 v[98:99], v[10:11], v[124:125]
	v_add_f64 v[2:3], v[2:3], v[82:83]
	v_add_f64 v[82:83], v[90:91], v[84:85]
	s_delay_alu instid0(VALU_DEP_4) | instskip(NEXT) | instid1(VALU_DEP_4)
	v_fma_f64 v[10:11], v[10:11], v[122:123], v[92:93]
	v_fma_f64 v[8:9], v[8:9], v[122:123], -v[98:99]
	s_delay_alu instid0(VALU_DEP_4) | instskip(NEXT) | instid1(VALU_DEP_4)
	v_add_f64 v[2:3], v[2:3], v[6:7]
	v_add_f64 v[6:7], v[82:83], v[88:89]
	s_delay_alu instid0(VALU_DEP_2) | instskip(NEXT) | instid1(VALU_DEP_2)
	v_add_f64 v[2:3], v[2:3], v[8:9]
	v_add_f64 v[8:9], v[6:7], v[10:11]
	s_delay_alu instid0(VALU_DEP_2) | instskip(NEXT) | instid1(VALU_DEP_2)
	v_add_f64 v[6:7], v[118:119], -v[2:3]
	v_add_f64 v[8:9], v[120:121], -v[8:9]
	scratch_store_b128 off, v[6:9], off offset:16
	v_cmpx_ne_u32_e32 0, v59
	s_cbranch_execz .LBB86_151
; %bb.150:
	scratch_load_b128 v[6:9], off, off
	v_mov_b32_e32 v2, v1
	v_mov_b32_e32 v3, v1
	;; [unrolled: 1-line block ×3, first 2 shown]
	scratch_store_b128 off, v[1:4], off
	s_waitcnt vmcnt(0)
	ds_store_b128 v5, v[6:9]
.LBB86_151:
	s_or_b32 exec_lo, exec_lo, s2
	s_waitcnt lgkmcnt(0)
	s_waitcnt_vscnt null, 0x0
	s_barrier
	buffer_gl0_inv
	s_clause 0x8
	scratch_load_b128 v[2:5], off, off offset:16
	scratch_load_b128 v[6:9], off, off offset:32
	;; [unrolled: 1-line block ×9, first 2 shown]
	ds_load_b128 v[110:113], v1 offset:384
	ds_load_b128 v[114:117], v1 offset:400
	s_clause 0x1
	scratch_load_b128 v[118:121], off, off
	scratch_load_b128 v[122:125], off, off offset:160
	s_and_b32 vcc_lo, exec_lo, s14
	s_waitcnt vmcnt(10) lgkmcnt(1)
	v_mul_f64 v[10:11], v[112:113], v[4:5]
	v_mul_f64 v[4:5], v[110:111], v[4:5]
	s_waitcnt vmcnt(9) lgkmcnt(0)
	v_mul_f64 v[126:127], v[114:115], v[8:9]
	v_mul_f64 v[128:129], v[116:117], v[8:9]
	s_delay_alu instid0(VALU_DEP_4) | instskip(NEXT) | instid1(VALU_DEP_4)
	v_fma_f64 v[130:131], v[110:111], v[2:3], -v[10:11]
	v_fma_f64 v[132:133], v[112:113], v[2:3], v[4:5]
	ds_load_b128 v[2:5], v1 offset:416
	ds_load_b128 v[110:113], v1 offset:432
	scratch_load_b128 v[8:11], off, off offset:176
	v_fma_f64 v[126:127], v[116:117], v[6:7], v[126:127]
	v_fma_f64 v[6:7], v[114:115], v[6:7], -v[128:129]
	scratch_load_b128 v[114:117], off, off offset:192
	s_waitcnt vmcnt(10) lgkmcnt(1)
	v_mul_f64 v[134:135], v[2:3], v[84:85]
	v_mul_f64 v[84:85], v[4:5], v[84:85]
	v_add_f64 v[128:129], v[130:131], 0
	v_add_f64 v[130:131], v[132:133], 0
	s_waitcnt vmcnt(9) lgkmcnt(0)
	v_mul_f64 v[132:133], v[110:111], v[88:89]
	v_mul_f64 v[88:89], v[112:113], v[88:89]
	v_fma_f64 v[134:135], v[4:5], v[82:83], v[134:135]
	v_fma_f64 v[136:137], v[2:3], v[82:83], -v[84:85]
	ds_load_b128 v[2:5], v1 offset:448
	scratch_load_b128 v[82:85], off, off offset:208
	v_add_f64 v[6:7], v[128:129], v[6:7]
	v_add_f64 v[130:131], v[130:131], v[126:127]
	ds_load_b128 v[126:129], v1 offset:464
	v_fma_f64 v[112:113], v[112:113], v[86:87], v[132:133]
	v_fma_f64 v[110:111], v[110:111], v[86:87], -v[88:89]
	scratch_load_b128 v[86:89], off, off offset:224
	s_waitcnt vmcnt(10) lgkmcnt(1)
	v_mul_f64 v[138:139], v[2:3], v[92:93]
	v_mul_f64 v[92:93], v[4:5], v[92:93]
	s_waitcnt vmcnt(9) lgkmcnt(0)
	v_mul_f64 v[132:133], v[126:127], v[96:97]
	v_mul_f64 v[96:97], v[128:129], v[96:97]
	v_add_f64 v[6:7], v[6:7], v[136:137]
	v_add_f64 v[130:131], v[130:131], v[134:135]
	v_fma_f64 v[134:135], v[4:5], v[90:91], v[138:139]
	v_fma_f64 v[136:137], v[2:3], v[90:91], -v[92:93]
	ds_load_b128 v[2:5], v1 offset:480
	scratch_load_b128 v[90:93], off, off offset:240
	v_fma_f64 v[128:129], v[128:129], v[94:95], v[132:133]
	v_fma_f64 v[126:127], v[126:127], v[94:95], -v[96:97]
	scratch_load_b128 v[94:97], off, off offset:256
	v_add_f64 v[6:7], v[6:7], v[110:111]
	v_add_f64 v[130:131], v[130:131], v[112:113]
	ds_load_b128 v[110:113], v1 offset:496
	s_waitcnt vmcnt(10) lgkmcnt(1)
	v_mul_f64 v[138:139], v[2:3], v[100:101]
	v_mul_f64 v[100:101], v[4:5], v[100:101]
	s_waitcnt vmcnt(9) lgkmcnt(0)
	v_mul_f64 v[132:133], v[110:111], v[104:105]
	v_mul_f64 v[104:105], v[112:113], v[104:105]
	v_add_f64 v[6:7], v[6:7], v[136:137]
	v_add_f64 v[130:131], v[130:131], v[134:135]
	v_fma_f64 v[134:135], v[4:5], v[98:99], v[138:139]
	v_fma_f64 v[136:137], v[2:3], v[98:99], -v[100:101]
	ds_load_b128 v[2:5], v1 offset:512
	scratch_load_b128 v[98:101], off, off offset:272
	v_fma_f64 v[112:113], v[112:113], v[102:103], v[132:133]
	v_fma_f64 v[110:111], v[110:111], v[102:103], -v[104:105]
	scratch_load_b128 v[102:105], off, off offset:288
	v_add_f64 v[6:7], v[6:7], v[126:127]
	v_add_f64 v[130:131], v[130:131], v[128:129]
	ds_load_b128 v[126:129], v1 offset:528
	;; [unrolled: 18-line block ×3, first 2 shown]
	s_waitcnt vmcnt(9) lgkmcnt(1)
	v_mul_f64 v[138:139], v[2:3], v[10:11]
	v_mul_f64 v[10:11], v[4:5], v[10:11]
	s_waitcnt vmcnt(8) lgkmcnt(0)
	v_mul_f64 v[132:133], v[110:111], v[116:117]
	v_mul_f64 v[116:117], v[112:113], v[116:117]
	v_add_f64 v[6:7], v[6:7], v[136:137]
	v_add_f64 v[130:131], v[130:131], v[134:135]
	v_fma_f64 v[134:135], v[4:5], v[8:9], v[138:139]
	v_fma_f64 v[10:11], v[2:3], v[8:9], -v[10:11]
	ds_load_b128 v[2:5], v1 offset:576
	v_fma_f64 v[132:133], v[112:113], v[114:115], v[132:133]
	v_fma_f64 v[114:115], v[110:111], v[114:115], -v[116:117]
	scratch_load_b128 v[110:113], off, off offset:352
	v_add_f64 v[136:137], v[6:7], v[126:127]
	v_add_f64 v[130:131], v[130:131], v[128:129]
	ds_load_b128 v[126:129], v1 offset:592
	scratch_load_b128 v[6:9], off, off offset:336
	s_waitcnt vmcnt(9) lgkmcnt(1)
	v_mul_f64 v[138:139], v[2:3], v[84:85]
	v_mul_f64 v[84:85], v[4:5], v[84:85]
	v_add_f64 v[10:11], v[136:137], v[10:11]
	v_add_f64 v[116:117], v[130:131], v[134:135]
	s_waitcnt vmcnt(8) lgkmcnt(0)
	v_mul_f64 v[130:131], v[126:127], v[88:89]
	v_mul_f64 v[88:89], v[128:129], v[88:89]
	v_fma_f64 v[134:135], v[4:5], v[82:83], v[138:139]
	v_fma_f64 v[136:137], v[2:3], v[82:83], -v[84:85]
	ds_load_b128 v[2:5], v1 offset:608
	ds_load_b128 v[82:85], v1 offset:624
	v_add_f64 v[10:11], v[10:11], v[114:115]
	v_add_f64 v[114:115], v[116:117], v[132:133]
	s_waitcnt vmcnt(7) lgkmcnt(1)
	v_mul_f64 v[116:117], v[2:3], v[92:93]
	v_mul_f64 v[92:93], v[4:5], v[92:93]
	v_fma_f64 v[128:129], v[128:129], v[86:87], v[130:131]
	v_fma_f64 v[86:87], v[126:127], v[86:87], -v[88:89]
	v_add_f64 v[10:11], v[10:11], v[136:137]
	v_add_f64 v[88:89], v[114:115], v[134:135]
	s_waitcnt vmcnt(6) lgkmcnt(0)
	v_mul_f64 v[114:115], v[82:83], v[96:97]
	v_mul_f64 v[96:97], v[84:85], v[96:97]
	v_fma_f64 v[116:117], v[4:5], v[90:91], v[116:117]
	v_fma_f64 v[90:91], v[2:3], v[90:91], -v[92:93]
	v_add_f64 v[10:11], v[10:11], v[86:87]
	v_add_f64 v[92:93], v[88:89], v[128:129]
	ds_load_b128 v[2:5], v1 offset:640
	ds_load_b128 v[86:89], v1 offset:656
	v_fma_f64 v[84:85], v[84:85], v[94:95], v[114:115]
	v_fma_f64 v[82:83], v[82:83], v[94:95], -v[96:97]
	s_waitcnt vmcnt(5) lgkmcnt(1)
	v_mul_f64 v[126:127], v[2:3], v[100:101]
	v_mul_f64 v[100:101], v[4:5], v[100:101]
	s_waitcnt vmcnt(4) lgkmcnt(0)
	v_mul_f64 v[94:95], v[88:89], v[104:105]
	v_add_f64 v[10:11], v[10:11], v[90:91]
	v_add_f64 v[90:91], v[92:93], v[116:117]
	v_mul_f64 v[92:93], v[86:87], v[104:105]
	v_fma_f64 v[96:97], v[4:5], v[98:99], v[126:127]
	v_fma_f64 v[98:99], v[2:3], v[98:99], -v[100:101]
	v_fma_f64 v[86:87], v[86:87], v[102:103], -v[94:95]
	v_add_f64 v[10:11], v[10:11], v[82:83]
	v_add_f64 v[90:91], v[90:91], v[84:85]
	ds_load_b128 v[2:5], v1 offset:672
	ds_load_b128 v[82:85], v1 offset:688
	v_fma_f64 v[88:89], v[88:89], v[102:103], v[92:93]
	s_waitcnt vmcnt(3) lgkmcnt(1)
	v_mul_f64 v[100:101], v[2:3], v[108:109]
	v_mul_f64 v[104:105], v[4:5], v[108:109]
	s_waitcnt vmcnt(2) lgkmcnt(0)
	v_mul_f64 v[92:93], v[82:83], v[124:125]
	v_mul_f64 v[94:95], v[84:85], v[124:125]
	v_add_f64 v[10:11], v[10:11], v[98:99]
	v_add_f64 v[90:91], v[90:91], v[96:97]
	v_fma_f64 v[96:97], v[4:5], v[106:107], v[100:101]
	v_fma_f64 v[98:99], v[2:3], v[106:107], -v[104:105]
	v_fma_f64 v[84:85], v[84:85], v[122:123], v[92:93]
	v_fma_f64 v[82:83], v[82:83], v[122:123], -v[94:95]
	v_add_f64 v[10:11], v[10:11], v[86:87]
	v_add_f64 v[90:91], v[90:91], v[88:89]
	ds_load_b128 v[2:5], v1 offset:704
	ds_load_b128 v[86:89], v1 offset:720
	s_waitcnt vmcnt(0) lgkmcnt(1)
	v_mul_f64 v[100:101], v[2:3], v[8:9]
	v_mul_f64 v[8:9], v[4:5], v[8:9]
	s_waitcnt lgkmcnt(0)
	v_mul_f64 v[92:93], v[86:87], v[112:113]
	v_mul_f64 v[94:95], v[88:89], v[112:113]
	v_add_f64 v[10:11], v[10:11], v[98:99]
	v_add_f64 v[90:91], v[90:91], v[96:97]
	v_fma_f64 v[4:5], v[4:5], v[6:7], v[100:101]
	v_fma_f64 v[1:2], v[2:3], v[6:7], -v[8:9]
	s_delay_alu instid0(VALU_DEP_4) | instskip(NEXT) | instid1(VALU_DEP_4)
	v_add_f64 v[6:7], v[10:11], v[82:83]
	v_add_f64 v[8:9], v[90:91], v[84:85]
	v_fma_f64 v[10:11], v[88:89], v[110:111], v[92:93]
	v_fma_f64 v[82:83], v[86:87], v[110:111], -v[94:95]
	s_delay_alu instid0(VALU_DEP_4) | instskip(NEXT) | instid1(VALU_DEP_4)
	v_add_f64 v[1:2], v[6:7], v[1:2]
	v_add_f64 v[3:4], v[8:9], v[4:5]
	s_delay_alu instid0(VALU_DEP_2) | instskip(NEXT) | instid1(VALU_DEP_2)
	v_add_f64 v[1:2], v[1:2], v[82:83]
	v_add_f64 v[3:4], v[3:4], v[10:11]
	s_delay_alu instid0(VALU_DEP_2) | instskip(NEXT) | instid1(VALU_DEP_2)
	v_add_f64 v[1:2], v[118:119], -v[1:2]
	v_add_f64 v[3:4], v[120:121], -v[3:4]
	scratch_store_b128 off, v[1:4], off
	s_cbranch_vccz .LBB86_197
; %bb.152:
	v_dual_mov_b32 v1, s8 :: v_dual_mov_b32 v2, s9
	s_load_b64 s[0:1], s[0:1], 0x4
	flat_load_b32 v1, v[1:2] offset:84
	v_bfe_u32 v2, v0, 10, 10
	v_bfe_u32 v0, v0, 20, 10
	s_waitcnt lgkmcnt(0)
	s_lshr_b32 s0, s0, 16
	s_delay_alu instid0(VALU_DEP_2) | instskip(SKIP_1) | instid1(SALU_CYCLE_1)
	v_mul_u32_u24_e32 v2, s1, v2
	s_mul_i32 s0, s0, s1
	v_mul_u32_u24_e32 v3, s0, v59
	s_mov_b32 s0, exec_lo
	s_delay_alu instid0(VALU_DEP_1) | instskip(NEXT) | instid1(VALU_DEP_1)
	v_add3_u32 v0, v3, v2, v0
	v_lshl_add_u32 v0, v0, 4, 0x2e8
	s_waitcnt vmcnt(0)
	v_cmpx_ne_u32_e32 22, v1
	s_cbranch_execz .LBB86_154
; %bb.153:
	v_lshl_add_u32 v9, v1, 4, 0
	s_clause 0x1
	scratch_load_b128 v[1:4], v81, off
	scratch_load_b128 v[5:8], v9, off offset:-16
	s_waitcnt vmcnt(1)
	ds_store_2addr_b64 v0, v[1:2], v[3:4] offset1:1
	s_waitcnt vmcnt(0)
	s_clause 0x1
	scratch_store_b128 v81, v[5:8], off
	scratch_store_b128 v9, v[1:4], off offset:-16
.LBB86_154:
	s_or_b32 exec_lo, exec_lo, s0
	v_dual_mov_b32 v1, s8 :: v_dual_mov_b32 v2, s9
	s_mov_b32 s0, exec_lo
	flat_load_b32 v1, v[1:2] offset:80
	s_waitcnt vmcnt(0) lgkmcnt(0)
	v_cmpx_ne_u32_e32 21, v1
	s_cbranch_execz .LBB86_156
; %bb.155:
	v_lshl_add_u32 v9, v1, 4, 0
	s_clause 0x1
	scratch_load_b128 v[1:4], v80, off
	scratch_load_b128 v[5:8], v9, off offset:-16
	s_waitcnt vmcnt(1)
	ds_store_2addr_b64 v0, v[1:2], v[3:4] offset1:1
	s_waitcnt vmcnt(0)
	s_clause 0x1
	scratch_store_b128 v80, v[5:8], off
	scratch_store_b128 v9, v[1:4], off offset:-16
.LBB86_156:
	s_or_b32 exec_lo, exec_lo, s0
	v_dual_mov_b32 v1, s8 :: v_dual_mov_b32 v2, s9
	s_mov_b32 s0, exec_lo
	flat_load_b32 v1, v[1:2] offset:76
	s_waitcnt vmcnt(0) lgkmcnt(0)
	;; [unrolled: 19-line block ×20, first 2 shown]
	v_cmpx_ne_u32_e32 2, v1
	s_cbranch_execz .LBB86_194
; %bb.193:
	v_lshl_add_u32 v9, v1, 4, 0
	s_clause 0x1
	scratch_load_b128 v[1:4], v69, off
	scratch_load_b128 v[5:8], v9, off offset:-16
	s_waitcnt vmcnt(1)
	ds_store_2addr_b64 v0, v[1:2], v[3:4] offset1:1
	s_waitcnt vmcnt(0)
	s_clause 0x1
	scratch_store_b128 v69, v[5:8], off
	scratch_store_b128 v9, v[1:4], off offset:-16
.LBB86_194:
	s_or_b32 exec_lo, exec_lo, s0
	v_dual_mov_b32 v1, s8 :: v_dual_mov_b32 v2, s9
	s_mov_b32 s0, exec_lo
	flat_load_b32 v1, v[1:2]
	s_waitcnt vmcnt(0) lgkmcnt(0)
	v_cmpx_ne_u32_e32 1, v1
	s_cbranch_execz .LBB86_196
; %bb.195:
	v_lshl_add_u32 v9, v1, 4, 0
	scratch_load_b128 v[1:4], off, off
	scratch_load_b128 v[5:8], v9, off offset:-16
	s_waitcnt vmcnt(1)
	ds_store_2addr_b64 v0, v[1:2], v[3:4] offset1:1
	s_waitcnt vmcnt(0)
	scratch_store_b128 off, v[5:8], off
	scratch_store_b128 v9, v[1:4], off offset:-16
.LBB86_196:
	s_or_b32 exec_lo, exec_lo, s0
.LBB86_197:
	scratch_load_b128 v[0:3], off, off
	s_clause 0x15
	scratch_load_b128 v[4:7], v69, off
	scratch_load_b128 v[8:11], v64, off
	;; [unrolled: 1-line block ×22, first 2 shown]
	s_waitcnt vmcnt(22)
	global_store_b128 v[13:14], v[0:3], off
	s_waitcnt vmcnt(21)
	global_store_b128 v[15:16], v[4:7], off
	;; [unrolled: 2-line block ×23, first 2 shown]
	s_endpgm
	.section	.rodata,"a",@progbits
	.p2align	6, 0x0
	.amdhsa_kernel _ZN9rocsolver6v33100L18getri_kernel_smallILi23E19rocblas_complex_numIdEPKPS3_EEvT1_iilPiilS8_bb
		.amdhsa_group_segment_fixed_size 1768
		.amdhsa_private_segment_fixed_size 384
		.amdhsa_kernarg_size 60
		.amdhsa_user_sgpr_count 15
		.amdhsa_user_sgpr_dispatch_ptr 1
		.amdhsa_user_sgpr_queue_ptr 0
		.amdhsa_user_sgpr_kernarg_segment_ptr 1
		.amdhsa_user_sgpr_dispatch_id 0
		.amdhsa_user_sgpr_private_segment_size 0
		.amdhsa_wavefront_size32 1
		.amdhsa_uses_dynamic_stack 0
		.amdhsa_enable_private_segment 1
		.amdhsa_system_sgpr_workgroup_id_x 1
		.amdhsa_system_sgpr_workgroup_id_y 0
		.amdhsa_system_sgpr_workgroup_id_z 0
		.amdhsa_system_sgpr_workgroup_info 0
		.amdhsa_system_vgpr_workitem_id 2
		.amdhsa_next_free_vgpr 143
		.amdhsa_next_free_sgpr 19
		.amdhsa_reserve_vcc 1
		.amdhsa_float_round_mode_32 0
		.amdhsa_float_round_mode_16_64 0
		.amdhsa_float_denorm_mode_32 3
		.amdhsa_float_denorm_mode_16_64 3
		.amdhsa_dx10_clamp 1
		.amdhsa_ieee_mode 1
		.amdhsa_fp16_overflow 0
		.amdhsa_workgroup_processor_mode 1
		.amdhsa_memory_ordered 1
		.amdhsa_forward_progress 0
		.amdhsa_shared_vgpr_count 0
		.amdhsa_exception_fp_ieee_invalid_op 0
		.amdhsa_exception_fp_denorm_src 0
		.amdhsa_exception_fp_ieee_div_zero 0
		.amdhsa_exception_fp_ieee_overflow 0
		.amdhsa_exception_fp_ieee_underflow 0
		.amdhsa_exception_fp_ieee_inexact 0
		.amdhsa_exception_int_div_zero 0
	.end_amdhsa_kernel
	.section	.text._ZN9rocsolver6v33100L18getri_kernel_smallILi23E19rocblas_complex_numIdEPKPS3_EEvT1_iilPiilS8_bb,"axG",@progbits,_ZN9rocsolver6v33100L18getri_kernel_smallILi23E19rocblas_complex_numIdEPKPS3_EEvT1_iilPiilS8_bb,comdat
.Lfunc_end86:
	.size	_ZN9rocsolver6v33100L18getri_kernel_smallILi23E19rocblas_complex_numIdEPKPS3_EEvT1_iilPiilS8_bb, .Lfunc_end86-_ZN9rocsolver6v33100L18getri_kernel_smallILi23E19rocblas_complex_numIdEPKPS3_EEvT1_iilPiilS8_bb
                                        ; -- End function
	.section	.AMDGPU.csdata,"",@progbits
; Kernel info:
; codeLenInByte = 31708
; NumSgprs: 21
; NumVgprs: 143
; ScratchSize: 384
; MemoryBound: 0
; FloatMode: 240
; IeeeMode: 1
; LDSByteSize: 1768 bytes/workgroup (compile time only)
; SGPRBlocks: 2
; VGPRBlocks: 17
; NumSGPRsForWavesPerEU: 21
; NumVGPRsForWavesPerEU: 143
; Occupancy: 10
; WaveLimiterHint : 1
; COMPUTE_PGM_RSRC2:SCRATCH_EN: 1
; COMPUTE_PGM_RSRC2:USER_SGPR: 15
; COMPUTE_PGM_RSRC2:TRAP_HANDLER: 0
; COMPUTE_PGM_RSRC2:TGID_X_EN: 1
; COMPUTE_PGM_RSRC2:TGID_Y_EN: 0
; COMPUTE_PGM_RSRC2:TGID_Z_EN: 0
; COMPUTE_PGM_RSRC2:TIDIG_COMP_CNT: 2
	.section	.text._ZN9rocsolver6v33100L18getri_kernel_smallILi24E19rocblas_complex_numIdEPKPS3_EEvT1_iilPiilS8_bb,"axG",@progbits,_ZN9rocsolver6v33100L18getri_kernel_smallILi24E19rocblas_complex_numIdEPKPS3_EEvT1_iilPiilS8_bb,comdat
	.globl	_ZN9rocsolver6v33100L18getri_kernel_smallILi24E19rocblas_complex_numIdEPKPS3_EEvT1_iilPiilS8_bb ; -- Begin function _ZN9rocsolver6v33100L18getri_kernel_smallILi24E19rocblas_complex_numIdEPKPS3_EEvT1_iilPiilS8_bb
	.p2align	8
	.type	_ZN9rocsolver6v33100L18getri_kernel_smallILi24E19rocblas_complex_numIdEPKPS3_EEvT1_iilPiilS8_bb,@function
_ZN9rocsolver6v33100L18getri_kernel_smallILi24E19rocblas_complex_numIdEPKPS3_EEvT1_iilPiilS8_bb: ; @_ZN9rocsolver6v33100L18getri_kernel_smallILi24E19rocblas_complex_numIdEPKPS3_EEvT1_iilPiilS8_bb
; %bb.0:
	v_and_b32_e32 v65, 0x3ff, v0
	s_mov_b32 s4, exec_lo
	s_delay_alu instid0(VALU_DEP_1)
	v_cmpx_gt_u32_e32 24, v65
	s_cbranch_execz .LBB87_110
; %bb.1:
	s_mov_b32 s10, s15
	s_clause 0x2
	s_load_b32 s15, s[2:3], 0x38
	s_load_b64 s[8:9], s[2:3], 0x0
	s_load_b128 s[4:7], s[2:3], 0x28
	s_waitcnt lgkmcnt(0)
	s_bitcmp1_b32 s15, 8
	s_cselect_b32 s14, -1, 0
	s_ashr_i32 s11, s10, 31
	s_delay_alu instid0(SALU_CYCLE_1) | instskip(NEXT) | instid1(SALU_CYCLE_1)
	s_lshl_b64 s[12:13], s[10:11], 3
	s_add_u32 s8, s8, s12
	s_addc_u32 s9, s9, s13
	s_load_b64 s[12:13], s[8:9], 0x0
	s_bfe_u32 s8, s15, 0x10008
	s_delay_alu instid0(SALU_CYCLE_1)
	s_cmp_eq_u32 s8, 0
                                        ; implicit-def: $sgpr8_sgpr9
	s_cbranch_scc1 .LBB87_3
; %bb.2:
	s_clause 0x1
	s_load_b32 s8, s[2:3], 0x20
	s_load_b64 s[16:17], s[2:3], 0x18
	s_mul_i32 s5, s10, s5
	s_mul_hi_u32 s9, s10, s4
	s_mul_i32 s18, s11, s4
	s_add_i32 s5, s9, s5
	s_mul_i32 s4, s10, s4
	s_add_i32 s5, s5, s18
	s_delay_alu instid0(SALU_CYCLE_1)
	s_lshl_b64 s[4:5], s[4:5], 2
	s_waitcnt lgkmcnt(0)
	s_ashr_i32 s9, s8, 31
	s_add_u32 s16, s16, s4
	s_addc_u32 s17, s17, s5
	s_lshl_b64 s[4:5], s[8:9], 2
	s_delay_alu instid0(SALU_CYCLE_1)
	s_add_u32 s8, s16, s4
	s_addc_u32 s9, s17, s5
.LBB87_3:
	s_load_b64 s[2:3], s[2:3], 0x8
	v_lshlrev_b32_e32 v13, 4, v65
	v_add_nc_u32_e64 v69, 0, 16
	v_add_nc_u32_e64 v67, 0, 32
	;; [unrolled: 1-line block ×4, first 2 shown]
	s_waitcnt lgkmcnt(0)
	s_ashr_i32 s5, s2, 31
	s_mov_b32 s4, s2
	s_mov_b32 s16, s3
	s_lshl_b64 s[4:5], s[4:5], 4
	v_add3_u32 v9, s3, s3, v65
	s_add_u32 s4, s12, s4
	s_addc_u32 s5, s13, s5
	v_add_co_u32 v17, s2, s4, v13
	s_ashr_i32 s17, s3, 31
	v_add_co_ci_u32_e64 v18, null, s5, 0, s2
	s_lshl_b64 s[12:13], s[16:17], 4
	global_load_b128 v[1:4], v13, s[4:5]
	v_add_co_u32 v19, vcc_lo, v17, s12
	v_add_co_ci_u32_e32 v20, vcc_lo, s13, v18, vcc_lo
	v_add_nc_u32_e32 v11, s3, v9
	v_ashrrev_i32_e32 v10, 31, v9
	s_movk_i32 s2, 0x50
	global_load_b128 v[5:8], v[19:20], off
	v_add_nc_u32_e64 v72, s2, 0
	v_add_nc_u32_e32 v14, s3, v11
	v_ashrrev_i32_e32 v12, 31, v11
	v_lshlrev_b64 v[9:10], 4, v[9:10]
	s_movk_i32 s2, 0x90
	s_bitcmp0_b32 s15, 0
	v_add_nc_u32_e32 v25, s3, v14
	v_ashrrev_i32_e32 v15, 31, v14
	v_lshlrev_b64 v[11:12], 4, v[11:12]
	v_add_co_u32 v21, vcc_lo, s4, v9
	s_delay_alu instid0(VALU_DEP_4) | instskip(NEXT) | instid1(VALU_DEP_4)
	v_add_nc_u32_e32 v27, s3, v25
	v_lshlrev_b64 v[14:15], 4, v[14:15]
	v_ashrrev_i32_e32 v26, 31, v25
	v_add_co_ci_u32_e32 v22, vcc_lo, s5, v10, vcc_lo
	s_delay_alu instid0(VALU_DEP_4)
	v_add_nc_u32_e32 v29, s3, v27
	v_add_co_u32 v23, vcc_lo, s4, v11
	v_add_co_ci_u32_e32 v24, vcc_lo, s5, v12, vcc_lo
	v_lshlrev_b64 v[31:32], 4, v[25:26]
	v_add_co_u32 v25, vcc_lo, s4, v14
	v_add_nc_u32_e32 v14, s3, v29
	v_ashrrev_i32_e32 v28, 31, v27
	v_ashrrev_i32_e32 v30, 31, v29
	v_add_co_ci_u32_e32 v26, vcc_lo, s5, v15, vcc_lo
	s_delay_alu instid0(VALU_DEP_4) | instskip(NEXT) | instid1(VALU_DEP_4)
	v_add_nc_u32_e32 v35, s3, v14
	v_lshlrev_b64 v[33:34], 4, v[27:28]
	v_add_co_u32 v27, vcc_lo, s4, v31
	v_ashrrev_i32_e32 v15, 31, v14
	s_delay_alu instid0(VALU_DEP_4)
	v_add_nc_u32_e32 v37, s3, v35
	v_add_co_ci_u32_e32 v28, vcc_lo, s5, v32, vcc_lo
	v_lshlrev_b64 v[31:32], 4, v[29:30]
	v_add_co_u32 v29, vcc_lo, s4, v33
	v_lshlrev_b64 v[14:15], 4, v[14:15]
	v_add_nc_u32_e32 v39, s3, v37
	v_add_co_ci_u32_e32 v30, vcc_lo, s5, v34, vcc_lo
	v_add_co_u32 v31, vcc_lo, s4, v31
	v_add_co_ci_u32_e32 v32, vcc_lo, s5, v32, vcc_lo
	v_ashrrev_i32_e32 v36, 31, v35
	v_add_co_u32 v33, vcc_lo, s4, v14
	v_add_nc_u32_e32 v14, s3, v39
	v_ashrrev_i32_e32 v38, 31, v37
	s_delay_alu instid0(VALU_DEP_4)
	v_lshlrev_b64 v[35:36], 4, v[35:36]
	v_ashrrev_i32_e32 v40, 31, v39
	v_add_co_ci_u32_e32 v34, vcc_lo, s5, v15, vcc_lo
	v_add_nc_u32_e32 v41, s3, v14
	v_lshlrev_b64 v[37:38], 4, v[37:38]
	v_ashrrev_i32_e32 v15, 31, v14
	v_add_co_u32 v35, vcc_lo, s4, v35
	s_delay_alu instid0(VALU_DEP_4)
	v_add_nc_u32_e32 v43, s3, v41
	v_lshlrev_b64 v[39:40], 4, v[39:40]
	v_add_co_ci_u32_e32 v36, vcc_lo, s5, v36, vcc_lo
	v_add_co_u32 v37, vcc_lo, s4, v37
	v_lshlrev_b64 v[14:15], 4, v[14:15]
	v_ashrrev_i32_e32 v42, 31, v41
	v_add_nc_u32_e32 v45, s3, v43
	v_add_co_ci_u32_e32 v38, vcc_lo, s5, v38, vcc_lo
	v_add_co_u32 v39, vcc_lo, s4, v39
	v_add_co_ci_u32_e32 v40, vcc_lo, s5, v40, vcc_lo
	v_lshlrev_b64 v[47:48], 4, v[41:42]
	v_add_co_u32 v41, vcc_lo, s4, v14
	v_add_nc_u32_e32 v14, s3, v45
	v_ashrrev_i32_e32 v44, 31, v43
	v_ashrrev_i32_e32 v46, 31, v45
	v_add_co_ci_u32_e32 v42, vcc_lo, s5, v15, vcc_lo
	s_delay_alu instid0(VALU_DEP_4) | instskip(NEXT) | instid1(VALU_DEP_4)
	v_add_nc_u32_e32 v51, s3, v14
	v_lshlrev_b64 v[49:50], 4, v[43:44]
	v_add_co_u32 v43, vcc_lo, s4, v47
	v_ashrrev_i32_e32 v15, 31, v14
	s_delay_alu instid0(VALU_DEP_4)
	v_add_nc_u32_e32 v53, s3, v51
	v_add_co_ci_u32_e32 v44, vcc_lo, s5, v48, vcc_lo
	v_lshlrev_b64 v[47:48], 4, v[45:46]
	v_add_co_u32 v45, vcc_lo, s4, v49
	v_lshlrev_b64 v[14:15], 4, v[14:15]
	v_add_nc_u32_e32 v55, s3, v53
	v_add_co_ci_u32_e32 v46, vcc_lo, s5, v50, vcc_lo
	v_add_co_u32 v47, vcc_lo, s4, v47
	v_add_co_ci_u32_e32 v48, vcc_lo, s5, v48, vcc_lo
	v_add_co_u32 v49, vcc_lo, s4, v14
	v_add_nc_u32_e32 v14, s3, v55
	v_ashrrev_i32_e32 v52, 31, v51
	v_ashrrev_i32_e32 v54, 31, v53
	;; [unrolled: 1-line block ×3, first 2 shown]
	v_add_co_ci_u32_e32 v50, vcc_lo, s5, v15, vcc_lo
	v_add_nc_u32_e32 v57, s3, v14
	v_lshlrev_b64 v[51:52], 4, v[51:52]
	v_lshlrev_b64 v[53:54], 4, v[53:54]
	v_ashrrev_i32_e32 v15, 31, v14
	v_lshlrev_b64 v[55:56], 4, v[55:56]
	v_add_nc_u32_e32 v59, s3, v57
	v_ashrrev_i32_e32 v58, 31, v57
	v_add_co_u32 v51, vcc_lo, s4, v51
	v_add_co_ci_u32_e32 v52, vcc_lo, s5, v52, vcc_lo
	s_delay_alu instid0(VALU_DEP_4) | instskip(SKIP_3) | instid1(VALU_DEP_4)
	v_add_nc_u32_e32 v61, s3, v59
	v_add_co_u32 v53, vcc_lo, s4, v53
	v_lshlrev_b64 v[14:15], 4, v[14:15]
	v_add_co_ci_u32_e32 v54, vcc_lo, s5, v54, vcc_lo
	v_ashrrev_i32_e32 v62, 31, v61
	s_clause 0xc
	global_load_b128 v[9:12], v[21:22], off
	global_load_b128 v[73:76], v[23:24], off
	;; [unrolled: 1-line block ×13, first 2 shown]
	v_add_co_u32 v55, vcc_lo, s4, v55
	v_lshlrev_b64 v[61:62], 4, v[61:62]
	s_clause 0x1
	global_load_b128 v[121:124], v[47:48], off
	global_load_b128 v[125:128], v[49:50], off
	v_ashrrev_i32_e32 v60, 31, v59
	v_add_co_ci_u32_e32 v56, vcc_lo, s5, v56, vcc_lo
	v_lshlrev_b64 v[63:64], 4, v[57:58]
	v_add_co_u32 v57, vcc_lo, s4, v14
	v_add_co_ci_u32_e32 v58, vcc_lo, s5, v15, vcc_lo
	v_lshlrev_b64 v[14:15], 4, v[59:60]
	v_add_co_u32 v59, vcc_lo, s4, v61
	v_add_co_ci_u32_e32 v60, vcc_lo, s5, v62, vcc_lo
	v_add_co_u32 v61, vcc_lo, s4, v63
	v_add_co_ci_u32_e32 v62, vcc_lo, s5, v64, vcc_lo
	;; [unrolled: 2-line block ×3, first 2 shown]
	s_clause 0x4
	global_load_b128 v[129:132], v[51:52], off
	global_load_b128 v[133:136], v[53:54], off
	;; [unrolled: 1-line block ×5, first 2 shown]
	s_movk_i32 s3, 0x60
	s_movk_i32 s4, 0x70
	v_add_nc_u32_e64 v70, s3, 0
	s_movk_i32 s3, 0xa0
	s_movk_i32 s5, 0x80
	v_add_nc_u32_e64 v71, s4, 0
	s_waitcnt vmcnt(21)
	scratch_store_b128 off, v[1:4], off
	global_load_b128 v[1:4], v[61:62], off
	s_waitcnt vmcnt(21)
	scratch_store_b128 off, v[5:8], off offset:16
	global_load_b128 v[5:8], v[63:64], off
	s_waitcnt vmcnt(21)
	scratch_store_b128 off, v[9:12], off offset:32
	s_waitcnt vmcnt(20)
	scratch_store_b128 off, v[73:76], off offset:48
	;; [unrolled: 2-line block ×14, first 2 shown]
	v_add_nc_u32_e64 v79, s2, 0
	s_movk_i32 s2, 0xb0
	v_add_nc_u32_e64 v75, s3, 0
	s_movk_i32 s3, 0xc0
	v_add_nc_u32_e64 v83, s2, 0
	s_movk_i32 s2, 0xd0
	v_add_nc_u32_e64 v78, s3, 0
	s_movk_i32 s3, 0xe0
	v_add_nc_u32_e64 v82, s2, 0
	s_movk_i32 s2, 0xf0
	v_add_nc_u32_e64 v77, s3, 0
	s_movk_i32 s3, 0x100
	v_add_nc_u32_e64 v86, s2, 0
	s_movk_i32 s2, 0x110
	v_add_nc_u32_e64 v84, s3, 0
	s_movk_i32 s3, 0x120
	v_add_nc_u32_e64 v85, s2, 0
	s_movk_i32 s2, 0x130
	v_add_nc_u32_e64 v88, s3, 0
	v_add_nc_u32_e64 v87, s2, 0
	s_movk_i32 s2, 0x140
	s_movk_i32 s3, 0x150
	v_add_nc_u32_e64 v74, s2, 0
	v_add_nc_u32_e64 v73, s3, 0
	s_movk_i32 s2, 0x160
	s_movk_i32 s3, 0x170
	v_add_nc_u32_e64 v76, s5, 0
	v_add_nc_u32_e64 v81, s2, 0
	;; [unrolled: 1-line block ×3, first 2 shown]
	s_mov_b32 s3, -1
	s_waitcnt vmcnt(7)
	scratch_store_b128 off, v[125:128], off offset:256
	s_waitcnt vmcnt(6)
	scratch_store_b128 off, v[129:132], off offset:272
	;; [unrolled: 2-line block ×6, first 2 shown]
	s_waitcnt vmcnt(0)
	s_clause 0x1
	scratch_store_b128 off, v[5:8], off offset:352
	scratch_store_b128 off, v[145:148], off offset:368
	s_cbranch_scc1 .LBB87_108
; %bb.4:
	v_cmp_eq_u32_e64 s2, 0, v65
	s_delay_alu instid0(VALU_DEP_1)
	s_and_saveexec_b32 s3, s2
	s_cbranch_execz .LBB87_6
; %bb.5:
	v_mov_b32_e32 v1, 0
	ds_store_b32 v1, v1 offset:768
.LBB87_6:
	s_or_b32 exec_lo, exec_lo, s3
	s_waitcnt lgkmcnt(0)
	s_waitcnt_vscnt null, 0x0
	s_barrier
	buffer_gl0_inv
	scratch_load_b128 v[1:4], v13, off
	s_waitcnt vmcnt(0)
	v_cmp_eq_f64_e32 vcc_lo, 0, v[1:2]
	v_cmp_eq_f64_e64 s3, 0, v[3:4]
	s_delay_alu instid0(VALU_DEP_1) | instskip(NEXT) | instid1(SALU_CYCLE_1)
	s_and_b32 s3, vcc_lo, s3
	s_and_saveexec_b32 s4, s3
	s_cbranch_execz .LBB87_10
; %bb.7:
	v_mov_b32_e32 v1, 0
	s_mov_b32 s5, 0
	ds_load_b32 v2, v1 offset:768
	s_waitcnt lgkmcnt(0)
	v_readfirstlane_b32 s3, v2
	v_add_nc_u32_e32 v2, 1, v65
	s_delay_alu instid0(VALU_DEP_2) | instskip(NEXT) | instid1(VALU_DEP_1)
	s_cmp_eq_u32 s3, 0
	v_cmp_gt_i32_e32 vcc_lo, s3, v2
	s_cselect_b32 s12, -1, 0
	s_delay_alu instid0(SALU_CYCLE_1) | instskip(NEXT) | instid1(SALU_CYCLE_1)
	s_or_b32 s12, s12, vcc_lo
	s_and_b32 exec_lo, exec_lo, s12
	s_cbranch_execz .LBB87_10
; %bb.8:
	v_mov_b32_e32 v3, s3
.LBB87_9:                               ; =>This Inner Loop Header: Depth=1
	ds_cmpstore_rtn_b32 v3, v1, v2, v3 offset:768
	s_waitcnt lgkmcnt(0)
	v_cmp_ne_u32_e32 vcc_lo, 0, v3
	v_cmp_le_i32_e64 s3, v3, v2
	s_delay_alu instid0(VALU_DEP_1) | instskip(NEXT) | instid1(SALU_CYCLE_1)
	s_and_b32 s3, vcc_lo, s3
	s_and_b32 s3, exec_lo, s3
	s_delay_alu instid0(SALU_CYCLE_1) | instskip(NEXT) | instid1(SALU_CYCLE_1)
	s_or_b32 s5, s3, s5
	s_and_not1_b32 exec_lo, exec_lo, s5
	s_cbranch_execnz .LBB87_9
.LBB87_10:
	s_or_b32 exec_lo, exec_lo, s4
	v_mov_b32_e32 v1, 0
	s_barrier
	buffer_gl0_inv
	ds_load_b32 v2, v1 offset:768
	s_and_saveexec_b32 s3, s2
	s_cbranch_execz .LBB87_12
; %bb.11:
	s_lshl_b64 s[4:5], s[10:11], 2
	s_delay_alu instid0(SALU_CYCLE_1)
	s_add_u32 s4, s6, s4
	s_addc_u32 s5, s7, s5
	s_waitcnt lgkmcnt(0)
	global_store_b32 v1, v2, s[4:5]
.LBB87_12:
	s_or_b32 exec_lo, exec_lo, s3
	s_waitcnt lgkmcnt(0)
	v_cmp_ne_u32_e32 vcc_lo, 0, v2
	s_mov_b32 s3, 0
	s_cbranch_vccnz .LBB87_108
; %bb.13:
	v_add_nc_u32_e32 v14, 0, v13
                                        ; implicit-def: $vgpr9_vgpr10
	scratch_load_b128 v[1:4], v14, off
	s_waitcnt vmcnt(0)
	v_mov_b32_e32 v5, v1
	v_cmp_gt_f64_e32 vcc_lo, 0, v[1:2]
	v_xor_b32_e32 v6, 0x80000000, v2
	v_xor_b32_e32 v7, 0x80000000, v4
	s_delay_alu instid0(VALU_DEP_2) | instskip(SKIP_1) | instid1(VALU_DEP_3)
	v_cndmask_b32_e32 v6, v2, v6, vcc_lo
	v_cmp_gt_f64_e32 vcc_lo, 0, v[3:4]
	v_dual_cndmask_b32 v8, v4, v7 :: v_dual_mov_b32 v7, v3
	s_delay_alu instid0(VALU_DEP_1) | instskip(SKIP_1) | instid1(SALU_CYCLE_1)
	v_cmp_ngt_f64_e32 vcc_lo, v[5:6], v[7:8]
                                        ; implicit-def: $vgpr5_vgpr6
	s_and_saveexec_b32 s3, vcc_lo
	s_xor_b32 s3, exec_lo, s3
	s_cbranch_execz .LBB87_15
; %bb.14:
	v_div_scale_f64 v[5:6], null, v[3:4], v[3:4], v[1:2]
	v_div_scale_f64 v[11:12], vcc_lo, v[1:2], v[3:4], v[1:2]
	s_delay_alu instid0(VALU_DEP_2) | instskip(SKIP_2) | instid1(VALU_DEP_1)
	v_rcp_f64_e32 v[7:8], v[5:6]
	s_waitcnt_depctr 0xfff
	v_fma_f64 v[9:10], -v[5:6], v[7:8], 1.0
	v_fma_f64 v[7:8], v[7:8], v[9:10], v[7:8]
	s_delay_alu instid0(VALU_DEP_1) | instskip(NEXT) | instid1(VALU_DEP_1)
	v_fma_f64 v[9:10], -v[5:6], v[7:8], 1.0
	v_fma_f64 v[7:8], v[7:8], v[9:10], v[7:8]
	s_delay_alu instid0(VALU_DEP_1) | instskip(NEXT) | instid1(VALU_DEP_1)
	v_mul_f64 v[9:10], v[11:12], v[7:8]
	v_fma_f64 v[5:6], -v[5:6], v[9:10], v[11:12]
	s_delay_alu instid0(VALU_DEP_1) | instskip(NEXT) | instid1(VALU_DEP_1)
	v_div_fmas_f64 v[5:6], v[5:6], v[7:8], v[9:10]
	v_div_fixup_f64 v[5:6], v[5:6], v[3:4], v[1:2]
	s_delay_alu instid0(VALU_DEP_1) | instskip(NEXT) | instid1(VALU_DEP_1)
	v_fma_f64 v[1:2], v[1:2], v[5:6], v[3:4]
	v_div_scale_f64 v[3:4], null, v[1:2], v[1:2], 1.0
	v_div_scale_f64 v[11:12], vcc_lo, 1.0, v[1:2], 1.0
	s_delay_alu instid0(VALU_DEP_2) | instskip(SKIP_2) | instid1(VALU_DEP_1)
	v_rcp_f64_e32 v[7:8], v[3:4]
	s_waitcnt_depctr 0xfff
	v_fma_f64 v[9:10], -v[3:4], v[7:8], 1.0
	v_fma_f64 v[7:8], v[7:8], v[9:10], v[7:8]
	s_delay_alu instid0(VALU_DEP_1) | instskip(NEXT) | instid1(VALU_DEP_1)
	v_fma_f64 v[9:10], -v[3:4], v[7:8], 1.0
	v_fma_f64 v[7:8], v[7:8], v[9:10], v[7:8]
	s_delay_alu instid0(VALU_DEP_1) | instskip(NEXT) | instid1(VALU_DEP_1)
	v_mul_f64 v[9:10], v[11:12], v[7:8]
	v_fma_f64 v[3:4], -v[3:4], v[9:10], v[11:12]
	s_delay_alu instid0(VALU_DEP_1) | instskip(NEXT) | instid1(VALU_DEP_1)
	v_div_fmas_f64 v[3:4], v[3:4], v[7:8], v[9:10]
	v_div_fixup_f64 v[7:8], v[3:4], v[1:2], 1.0
                                        ; implicit-def: $vgpr1_vgpr2
	s_delay_alu instid0(VALU_DEP_1) | instskip(SKIP_1) | instid1(VALU_DEP_2)
	v_mul_f64 v[5:6], v[5:6], v[7:8]
	v_xor_b32_e32 v8, 0x80000000, v8
	v_xor_b32_e32 v10, 0x80000000, v6
	s_delay_alu instid0(VALU_DEP_3)
	v_mov_b32_e32 v9, v5
.LBB87_15:
	s_and_not1_saveexec_b32 s3, s3
	s_cbranch_execz .LBB87_17
; %bb.16:
	v_div_scale_f64 v[5:6], null, v[1:2], v[1:2], v[3:4]
	v_div_scale_f64 v[11:12], vcc_lo, v[3:4], v[1:2], v[3:4]
	s_delay_alu instid0(VALU_DEP_2) | instskip(SKIP_2) | instid1(VALU_DEP_1)
	v_rcp_f64_e32 v[7:8], v[5:6]
	s_waitcnt_depctr 0xfff
	v_fma_f64 v[9:10], -v[5:6], v[7:8], 1.0
	v_fma_f64 v[7:8], v[7:8], v[9:10], v[7:8]
	s_delay_alu instid0(VALU_DEP_1) | instskip(NEXT) | instid1(VALU_DEP_1)
	v_fma_f64 v[9:10], -v[5:6], v[7:8], 1.0
	v_fma_f64 v[7:8], v[7:8], v[9:10], v[7:8]
	s_delay_alu instid0(VALU_DEP_1) | instskip(NEXT) | instid1(VALU_DEP_1)
	v_mul_f64 v[9:10], v[11:12], v[7:8]
	v_fma_f64 v[5:6], -v[5:6], v[9:10], v[11:12]
	s_delay_alu instid0(VALU_DEP_1) | instskip(NEXT) | instid1(VALU_DEP_1)
	v_div_fmas_f64 v[5:6], v[5:6], v[7:8], v[9:10]
	v_div_fixup_f64 v[7:8], v[5:6], v[1:2], v[3:4]
	s_delay_alu instid0(VALU_DEP_1) | instskip(NEXT) | instid1(VALU_DEP_1)
	v_fma_f64 v[1:2], v[3:4], v[7:8], v[1:2]
	v_div_scale_f64 v[3:4], null, v[1:2], v[1:2], 1.0
	s_delay_alu instid0(VALU_DEP_1) | instskip(SKIP_2) | instid1(VALU_DEP_1)
	v_rcp_f64_e32 v[5:6], v[3:4]
	s_waitcnt_depctr 0xfff
	v_fma_f64 v[9:10], -v[3:4], v[5:6], 1.0
	v_fma_f64 v[5:6], v[5:6], v[9:10], v[5:6]
	s_delay_alu instid0(VALU_DEP_1) | instskip(NEXT) | instid1(VALU_DEP_1)
	v_fma_f64 v[9:10], -v[3:4], v[5:6], 1.0
	v_fma_f64 v[5:6], v[5:6], v[9:10], v[5:6]
	v_div_scale_f64 v[9:10], vcc_lo, 1.0, v[1:2], 1.0
	s_delay_alu instid0(VALU_DEP_1) | instskip(NEXT) | instid1(VALU_DEP_1)
	v_mul_f64 v[11:12], v[9:10], v[5:6]
	v_fma_f64 v[3:4], -v[3:4], v[11:12], v[9:10]
	s_delay_alu instid0(VALU_DEP_1) | instskip(NEXT) | instid1(VALU_DEP_1)
	v_div_fmas_f64 v[3:4], v[3:4], v[5:6], v[11:12]
	v_div_fixup_f64 v[5:6], v[3:4], v[1:2], 1.0
	s_delay_alu instid0(VALU_DEP_1)
	v_mul_f64 v[7:8], v[7:8], -v[5:6]
	v_xor_b32_e32 v10, 0x80000000, v6
	v_mov_b32_e32 v9, v5
.LBB87_17:
	s_or_b32 exec_lo, exec_lo, s3
	scratch_store_b128 v14, v[5:8], off
	scratch_load_b128 v[1:4], v69, off
	v_xor_b32_e32 v12, 0x80000000, v8
	v_mov_b32_e32 v11, v7
	v_add_nc_u32_e32 v5, 0x180, v13
	ds_store_b128 v13, v[9:12]
	s_waitcnt vmcnt(0)
	ds_store_b128 v13, v[1:4] offset:384
	s_waitcnt lgkmcnt(0)
	s_waitcnt_vscnt null, 0x0
	s_barrier
	buffer_gl0_inv
	s_and_saveexec_b32 s3, s2
	s_cbranch_execz .LBB87_19
; %bb.18:
	scratch_load_b128 v[1:4], v14, off
	ds_load_b128 v[6:9], v5
	v_mov_b32_e32 v10, 0
	ds_load_b128 v[89:92], v10 offset:16
	s_waitcnt vmcnt(0) lgkmcnt(1)
	v_mul_f64 v[10:11], v[6:7], v[3:4]
	v_mul_f64 v[3:4], v[8:9], v[3:4]
	s_delay_alu instid0(VALU_DEP_2) | instskip(NEXT) | instid1(VALU_DEP_2)
	v_fma_f64 v[8:9], v[8:9], v[1:2], v[10:11]
	v_fma_f64 v[1:2], v[6:7], v[1:2], -v[3:4]
	s_delay_alu instid0(VALU_DEP_2) | instskip(NEXT) | instid1(VALU_DEP_2)
	v_add_f64 v[3:4], v[8:9], 0
	v_add_f64 v[1:2], v[1:2], 0
	s_waitcnt lgkmcnt(0)
	s_delay_alu instid0(VALU_DEP_2) | instskip(NEXT) | instid1(VALU_DEP_2)
	v_mul_f64 v[6:7], v[3:4], v[91:92]
	v_mul_f64 v[8:9], v[1:2], v[91:92]
	s_delay_alu instid0(VALU_DEP_2) | instskip(NEXT) | instid1(VALU_DEP_2)
	v_fma_f64 v[1:2], v[1:2], v[89:90], -v[6:7]
	v_fma_f64 v[3:4], v[3:4], v[89:90], v[8:9]
	scratch_store_b128 off, v[1:4], off offset:16
.LBB87_19:
	s_or_b32 exec_lo, exec_lo, s3
	s_waitcnt_vscnt null, 0x0
	s_barrier
	buffer_gl0_inv
	scratch_load_b128 v[1:4], v67, off
	s_mov_b32 s3, exec_lo
	s_waitcnt vmcnt(0)
	ds_store_b128 v5, v[1:4]
	s_waitcnt lgkmcnt(0)
	s_barrier
	buffer_gl0_inv
	v_cmpx_gt_u32_e32 2, v65
	s_cbranch_execz .LBB87_23
; %bb.20:
	scratch_load_b128 v[1:4], v14, off
	ds_load_b128 v[6:9], v5
	s_waitcnt vmcnt(0) lgkmcnt(0)
	v_mul_f64 v[10:11], v[8:9], v[3:4]
	v_mul_f64 v[3:4], v[6:7], v[3:4]
	s_delay_alu instid0(VALU_DEP_2) | instskip(NEXT) | instid1(VALU_DEP_2)
	v_fma_f64 v[6:7], v[6:7], v[1:2], -v[10:11]
	v_fma_f64 v[3:4], v[8:9], v[1:2], v[3:4]
	s_delay_alu instid0(VALU_DEP_2) | instskip(NEXT) | instid1(VALU_DEP_2)
	v_add_f64 v[1:2], v[6:7], 0
	v_add_f64 v[3:4], v[3:4], 0
	s_and_saveexec_b32 s4, s2
	s_cbranch_execz .LBB87_22
; %bb.21:
	scratch_load_b128 v[6:9], off, off offset:16
	v_mov_b32_e32 v10, 0
	ds_load_b128 v[89:92], v10 offset:400
	s_waitcnt vmcnt(0) lgkmcnt(0)
	v_mul_f64 v[10:11], v[89:90], v[8:9]
	v_mul_f64 v[8:9], v[91:92], v[8:9]
	s_delay_alu instid0(VALU_DEP_2) | instskip(NEXT) | instid1(VALU_DEP_2)
	v_fma_f64 v[10:11], v[91:92], v[6:7], v[10:11]
	v_fma_f64 v[6:7], v[89:90], v[6:7], -v[8:9]
	s_delay_alu instid0(VALU_DEP_2) | instskip(NEXT) | instid1(VALU_DEP_2)
	v_add_f64 v[3:4], v[3:4], v[10:11]
	v_add_f64 v[1:2], v[1:2], v[6:7]
.LBB87_22:
	s_or_b32 exec_lo, exec_lo, s4
	v_mov_b32_e32 v6, 0
	ds_load_b128 v[6:9], v6 offset:32
	s_waitcnt lgkmcnt(0)
	v_mul_f64 v[10:11], v[3:4], v[8:9]
	v_mul_f64 v[8:9], v[1:2], v[8:9]
	s_delay_alu instid0(VALU_DEP_2) | instskip(NEXT) | instid1(VALU_DEP_2)
	v_fma_f64 v[1:2], v[1:2], v[6:7], -v[10:11]
	v_fma_f64 v[3:4], v[3:4], v[6:7], v[8:9]
	scratch_store_b128 off, v[1:4], off offset:32
.LBB87_23:
	s_or_b32 exec_lo, exec_lo, s3
	s_waitcnt_vscnt null, 0x0
	s_barrier
	buffer_gl0_inv
	scratch_load_b128 v[1:4], v68, off
	v_add_nc_u32_e32 v6, -1, v65
	s_mov_b32 s2, exec_lo
	s_waitcnt vmcnt(0)
	ds_store_b128 v5, v[1:4]
	s_waitcnt lgkmcnt(0)
	s_barrier
	buffer_gl0_inv
	v_cmpx_gt_u32_e32 3, v65
	s_cbranch_execz .LBB87_27
; %bb.24:
	v_dual_mov_b32 v1, 0 :: v_dual_add_nc_u32 v8, 0x180, v13
	v_dual_mov_b32 v2, 0 :: v_dual_add_nc_u32 v7, -1, v65
	v_or_b32_e32 v9, 8, v14
	s_mov_b32 s3, 0
	s_delay_alu instid0(VALU_DEP_2)
	v_dual_mov_b32 v4, v2 :: v_dual_mov_b32 v3, v1
	.p2align	6
.LBB87_25:                              ; =>This Inner Loop Header: Depth=1
	scratch_load_b128 v[89:92], v9, off offset:-8
	ds_load_b128 v[93:96], v8
	v_add_nc_u32_e32 v7, 1, v7
	v_add_nc_u32_e32 v8, 16, v8
	;; [unrolled: 1-line block ×3, first 2 shown]
	s_delay_alu instid0(VALU_DEP_3) | instskip(SKIP_4) | instid1(VALU_DEP_2)
	v_cmp_lt_u32_e32 vcc_lo, 1, v7
	s_or_b32 s3, vcc_lo, s3
	s_waitcnt vmcnt(0) lgkmcnt(0)
	v_mul_f64 v[10:11], v[95:96], v[91:92]
	v_mul_f64 v[15:16], v[93:94], v[91:92]
	v_fma_f64 v[10:11], v[93:94], v[89:90], -v[10:11]
	s_delay_alu instid0(VALU_DEP_2) | instskip(NEXT) | instid1(VALU_DEP_2)
	v_fma_f64 v[15:16], v[95:96], v[89:90], v[15:16]
	v_add_f64 v[3:4], v[3:4], v[10:11]
	s_delay_alu instid0(VALU_DEP_2)
	v_add_f64 v[1:2], v[1:2], v[15:16]
	s_and_not1_b32 exec_lo, exec_lo, s3
	s_cbranch_execnz .LBB87_25
; %bb.26:
	s_or_b32 exec_lo, exec_lo, s3
	v_mov_b32_e32 v7, 0
	ds_load_b128 v[7:10], v7 offset:48
	s_waitcnt lgkmcnt(0)
	v_mul_f64 v[11:12], v[1:2], v[9:10]
	v_mul_f64 v[15:16], v[3:4], v[9:10]
	s_delay_alu instid0(VALU_DEP_2) | instskip(NEXT) | instid1(VALU_DEP_2)
	v_fma_f64 v[9:10], v[3:4], v[7:8], -v[11:12]
	v_fma_f64 v[11:12], v[1:2], v[7:8], v[15:16]
	scratch_store_b128 off, v[9:12], off offset:48
.LBB87_27:
	s_or_b32 exec_lo, exec_lo, s2
	s_waitcnt_vscnt null, 0x0
	s_barrier
	buffer_gl0_inv
	scratch_load_b128 v[1:4], v66, off
	s_mov_b32 s2, exec_lo
	s_waitcnt vmcnt(0)
	ds_store_b128 v5, v[1:4]
	s_waitcnt lgkmcnt(0)
	s_barrier
	buffer_gl0_inv
	v_cmpx_gt_u32_e32 4, v65
	s_cbranch_execz .LBB87_31
; %bb.28:
	v_dual_mov_b32 v1, 0 :: v_dual_add_nc_u32 v8, 0x180, v13
	v_dual_mov_b32 v2, 0 :: v_dual_add_nc_u32 v7, -1, v65
	v_or_b32_e32 v9, 8, v14
	s_mov_b32 s3, 0
	s_delay_alu instid0(VALU_DEP_2)
	v_dual_mov_b32 v4, v2 :: v_dual_mov_b32 v3, v1
	.p2align	6
.LBB87_29:                              ; =>This Inner Loop Header: Depth=1
	scratch_load_b128 v[89:92], v9, off offset:-8
	ds_load_b128 v[93:96], v8
	v_add_nc_u32_e32 v7, 1, v7
	v_add_nc_u32_e32 v8, 16, v8
	;; [unrolled: 1-line block ×3, first 2 shown]
	s_delay_alu instid0(VALU_DEP_3) | instskip(SKIP_4) | instid1(VALU_DEP_2)
	v_cmp_lt_u32_e32 vcc_lo, 2, v7
	s_or_b32 s3, vcc_lo, s3
	s_waitcnt vmcnt(0) lgkmcnt(0)
	v_mul_f64 v[10:11], v[95:96], v[91:92]
	v_mul_f64 v[15:16], v[93:94], v[91:92]
	v_fma_f64 v[10:11], v[93:94], v[89:90], -v[10:11]
	s_delay_alu instid0(VALU_DEP_2) | instskip(NEXT) | instid1(VALU_DEP_2)
	v_fma_f64 v[15:16], v[95:96], v[89:90], v[15:16]
	v_add_f64 v[3:4], v[3:4], v[10:11]
	s_delay_alu instid0(VALU_DEP_2)
	v_add_f64 v[1:2], v[1:2], v[15:16]
	s_and_not1_b32 exec_lo, exec_lo, s3
	s_cbranch_execnz .LBB87_29
; %bb.30:
	s_or_b32 exec_lo, exec_lo, s3
	v_mov_b32_e32 v7, 0
	ds_load_b128 v[7:10], v7 offset:64
	s_waitcnt lgkmcnt(0)
	v_mul_f64 v[11:12], v[1:2], v[9:10]
	v_mul_f64 v[15:16], v[3:4], v[9:10]
	s_delay_alu instid0(VALU_DEP_2) | instskip(NEXT) | instid1(VALU_DEP_2)
	v_fma_f64 v[9:10], v[3:4], v[7:8], -v[11:12]
	v_fma_f64 v[11:12], v[1:2], v[7:8], v[15:16]
	scratch_store_b128 off, v[9:12], off offset:64
.LBB87_31:
	s_or_b32 exec_lo, exec_lo, s2
	s_waitcnt_vscnt null, 0x0
	s_barrier
	buffer_gl0_inv
	scratch_load_b128 v[1:4], v72, off
	s_mov_b32 s2, exec_lo
	s_waitcnt vmcnt(0)
	ds_store_b128 v5, v[1:4]
	s_waitcnt lgkmcnt(0)
	s_barrier
	buffer_gl0_inv
	v_cmpx_gt_u32_e32 5, v65
	s_cbranch_execz .LBB87_35
; %bb.32:
	v_dual_mov_b32 v1, 0 :: v_dual_add_nc_u32 v8, 0x180, v13
	v_dual_mov_b32 v2, 0 :: v_dual_add_nc_u32 v7, -1, v65
	v_or_b32_e32 v9, 8, v14
	s_mov_b32 s3, 0
	s_delay_alu instid0(VALU_DEP_2)
	v_dual_mov_b32 v4, v2 :: v_dual_mov_b32 v3, v1
	.p2align	6
.LBB87_33:                              ; =>This Inner Loop Header: Depth=1
	scratch_load_b128 v[89:92], v9, off offset:-8
	ds_load_b128 v[93:96], v8
	v_add_nc_u32_e32 v7, 1, v7
	v_add_nc_u32_e32 v8, 16, v8
	;; [unrolled: 1-line block ×3, first 2 shown]
	s_delay_alu instid0(VALU_DEP_3) | instskip(SKIP_4) | instid1(VALU_DEP_2)
	v_cmp_lt_u32_e32 vcc_lo, 3, v7
	s_or_b32 s3, vcc_lo, s3
	s_waitcnt vmcnt(0) lgkmcnt(0)
	v_mul_f64 v[10:11], v[95:96], v[91:92]
	v_mul_f64 v[15:16], v[93:94], v[91:92]
	v_fma_f64 v[10:11], v[93:94], v[89:90], -v[10:11]
	s_delay_alu instid0(VALU_DEP_2) | instskip(NEXT) | instid1(VALU_DEP_2)
	v_fma_f64 v[15:16], v[95:96], v[89:90], v[15:16]
	v_add_f64 v[3:4], v[3:4], v[10:11]
	s_delay_alu instid0(VALU_DEP_2)
	v_add_f64 v[1:2], v[1:2], v[15:16]
	s_and_not1_b32 exec_lo, exec_lo, s3
	s_cbranch_execnz .LBB87_33
; %bb.34:
	s_or_b32 exec_lo, exec_lo, s3
	v_mov_b32_e32 v7, 0
	ds_load_b128 v[7:10], v7 offset:80
	s_waitcnt lgkmcnt(0)
	v_mul_f64 v[11:12], v[1:2], v[9:10]
	v_mul_f64 v[15:16], v[3:4], v[9:10]
	s_delay_alu instid0(VALU_DEP_2) | instskip(NEXT) | instid1(VALU_DEP_2)
	v_fma_f64 v[9:10], v[3:4], v[7:8], -v[11:12]
	v_fma_f64 v[11:12], v[1:2], v[7:8], v[15:16]
	scratch_store_b128 off, v[9:12], off offset:80
.LBB87_35:
	s_or_b32 exec_lo, exec_lo, s2
	s_waitcnt_vscnt null, 0x0
	s_barrier
	buffer_gl0_inv
	scratch_load_b128 v[1:4], v70, off
	s_mov_b32 s2, exec_lo
	s_waitcnt vmcnt(0)
	ds_store_b128 v5, v[1:4]
	s_waitcnt lgkmcnt(0)
	s_barrier
	buffer_gl0_inv
	v_cmpx_gt_u32_e32 6, v65
	s_cbranch_execz .LBB87_39
; %bb.36:
	v_dual_mov_b32 v1, 0 :: v_dual_add_nc_u32 v8, 0x180, v13
	v_dual_mov_b32 v2, 0 :: v_dual_add_nc_u32 v7, -1, v65
	v_or_b32_e32 v9, 8, v14
	s_mov_b32 s3, 0
	s_delay_alu instid0(VALU_DEP_2)
	v_dual_mov_b32 v4, v2 :: v_dual_mov_b32 v3, v1
	.p2align	6
.LBB87_37:                              ; =>This Inner Loop Header: Depth=1
	scratch_load_b128 v[89:92], v9, off offset:-8
	ds_load_b128 v[93:96], v8
	v_add_nc_u32_e32 v7, 1, v7
	v_add_nc_u32_e32 v8, 16, v8
	;; [unrolled: 1-line block ×3, first 2 shown]
	s_delay_alu instid0(VALU_DEP_3) | instskip(SKIP_4) | instid1(VALU_DEP_2)
	v_cmp_lt_u32_e32 vcc_lo, 4, v7
	s_or_b32 s3, vcc_lo, s3
	s_waitcnt vmcnt(0) lgkmcnt(0)
	v_mul_f64 v[10:11], v[95:96], v[91:92]
	v_mul_f64 v[15:16], v[93:94], v[91:92]
	v_fma_f64 v[10:11], v[93:94], v[89:90], -v[10:11]
	s_delay_alu instid0(VALU_DEP_2) | instskip(NEXT) | instid1(VALU_DEP_2)
	v_fma_f64 v[15:16], v[95:96], v[89:90], v[15:16]
	v_add_f64 v[3:4], v[3:4], v[10:11]
	s_delay_alu instid0(VALU_DEP_2)
	v_add_f64 v[1:2], v[1:2], v[15:16]
	s_and_not1_b32 exec_lo, exec_lo, s3
	s_cbranch_execnz .LBB87_37
; %bb.38:
	s_or_b32 exec_lo, exec_lo, s3
	v_mov_b32_e32 v7, 0
	ds_load_b128 v[7:10], v7 offset:96
	s_waitcnt lgkmcnt(0)
	v_mul_f64 v[11:12], v[1:2], v[9:10]
	v_mul_f64 v[15:16], v[3:4], v[9:10]
	s_delay_alu instid0(VALU_DEP_2) | instskip(NEXT) | instid1(VALU_DEP_2)
	v_fma_f64 v[9:10], v[3:4], v[7:8], -v[11:12]
	v_fma_f64 v[11:12], v[1:2], v[7:8], v[15:16]
	scratch_store_b128 off, v[9:12], off offset:96
.LBB87_39:
	s_or_b32 exec_lo, exec_lo, s2
	s_waitcnt_vscnt null, 0x0
	s_barrier
	buffer_gl0_inv
	scratch_load_b128 v[1:4], v71, off
	s_mov_b32 s2, exec_lo
	s_waitcnt vmcnt(0)
	ds_store_b128 v5, v[1:4]
	s_waitcnt lgkmcnt(0)
	s_barrier
	buffer_gl0_inv
	v_cmpx_gt_u32_e32 7, v65
	s_cbranch_execz .LBB87_43
; %bb.40:
	v_dual_mov_b32 v1, 0 :: v_dual_add_nc_u32 v8, 0x180, v13
	v_dual_mov_b32 v2, 0 :: v_dual_add_nc_u32 v7, -1, v65
	v_or_b32_e32 v9, 8, v14
	s_mov_b32 s3, 0
	s_delay_alu instid0(VALU_DEP_2)
	v_dual_mov_b32 v4, v2 :: v_dual_mov_b32 v3, v1
	.p2align	6
.LBB87_41:                              ; =>This Inner Loop Header: Depth=1
	scratch_load_b128 v[89:92], v9, off offset:-8
	ds_load_b128 v[93:96], v8
	v_add_nc_u32_e32 v7, 1, v7
	v_add_nc_u32_e32 v8, 16, v8
	;; [unrolled: 1-line block ×3, first 2 shown]
	s_delay_alu instid0(VALU_DEP_3) | instskip(SKIP_4) | instid1(VALU_DEP_2)
	v_cmp_lt_u32_e32 vcc_lo, 5, v7
	s_or_b32 s3, vcc_lo, s3
	s_waitcnt vmcnt(0) lgkmcnt(0)
	v_mul_f64 v[10:11], v[95:96], v[91:92]
	v_mul_f64 v[15:16], v[93:94], v[91:92]
	v_fma_f64 v[10:11], v[93:94], v[89:90], -v[10:11]
	s_delay_alu instid0(VALU_DEP_2) | instskip(NEXT) | instid1(VALU_DEP_2)
	v_fma_f64 v[15:16], v[95:96], v[89:90], v[15:16]
	v_add_f64 v[3:4], v[3:4], v[10:11]
	s_delay_alu instid0(VALU_DEP_2)
	v_add_f64 v[1:2], v[1:2], v[15:16]
	s_and_not1_b32 exec_lo, exec_lo, s3
	s_cbranch_execnz .LBB87_41
; %bb.42:
	s_or_b32 exec_lo, exec_lo, s3
	v_mov_b32_e32 v7, 0
	ds_load_b128 v[7:10], v7 offset:112
	s_waitcnt lgkmcnt(0)
	v_mul_f64 v[11:12], v[1:2], v[9:10]
	v_mul_f64 v[15:16], v[3:4], v[9:10]
	s_delay_alu instid0(VALU_DEP_2) | instskip(NEXT) | instid1(VALU_DEP_2)
	v_fma_f64 v[9:10], v[3:4], v[7:8], -v[11:12]
	v_fma_f64 v[11:12], v[1:2], v[7:8], v[15:16]
	scratch_store_b128 off, v[9:12], off offset:112
.LBB87_43:
	s_or_b32 exec_lo, exec_lo, s2
	s_waitcnt_vscnt null, 0x0
	s_barrier
	buffer_gl0_inv
	scratch_load_b128 v[1:4], v76, off
	s_mov_b32 s2, exec_lo
	s_waitcnt vmcnt(0)
	ds_store_b128 v5, v[1:4]
	s_waitcnt lgkmcnt(0)
	s_barrier
	buffer_gl0_inv
	v_cmpx_gt_u32_e32 8, v65
	s_cbranch_execz .LBB87_47
; %bb.44:
	v_dual_mov_b32 v1, 0 :: v_dual_add_nc_u32 v8, 0x180, v13
	v_dual_mov_b32 v2, 0 :: v_dual_add_nc_u32 v7, -1, v65
	v_or_b32_e32 v9, 8, v14
	s_mov_b32 s3, 0
	s_delay_alu instid0(VALU_DEP_2)
	v_dual_mov_b32 v4, v2 :: v_dual_mov_b32 v3, v1
	.p2align	6
.LBB87_45:                              ; =>This Inner Loop Header: Depth=1
	scratch_load_b128 v[89:92], v9, off offset:-8
	ds_load_b128 v[93:96], v8
	v_add_nc_u32_e32 v7, 1, v7
	v_add_nc_u32_e32 v8, 16, v8
	;; [unrolled: 1-line block ×3, first 2 shown]
	s_delay_alu instid0(VALU_DEP_3) | instskip(SKIP_4) | instid1(VALU_DEP_2)
	v_cmp_lt_u32_e32 vcc_lo, 6, v7
	s_or_b32 s3, vcc_lo, s3
	s_waitcnt vmcnt(0) lgkmcnt(0)
	v_mul_f64 v[10:11], v[95:96], v[91:92]
	v_mul_f64 v[15:16], v[93:94], v[91:92]
	v_fma_f64 v[10:11], v[93:94], v[89:90], -v[10:11]
	s_delay_alu instid0(VALU_DEP_2) | instskip(NEXT) | instid1(VALU_DEP_2)
	v_fma_f64 v[15:16], v[95:96], v[89:90], v[15:16]
	v_add_f64 v[3:4], v[3:4], v[10:11]
	s_delay_alu instid0(VALU_DEP_2)
	v_add_f64 v[1:2], v[1:2], v[15:16]
	s_and_not1_b32 exec_lo, exec_lo, s3
	s_cbranch_execnz .LBB87_45
; %bb.46:
	s_or_b32 exec_lo, exec_lo, s3
	v_mov_b32_e32 v7, 0
	ds_load_b128 v[7:10], v7 offset:128
	s_waitcnt lgkmcnt(0)
	v_mul_f64 v[11:12], v[1:2], v[9:10]
	v_mul_f64 v[15:16], v[3:4], v[9:10]
	s_delay_alu instid0(VALU_DEP_2) | instskip(NEXT) | instid1(VALU_DEP_2)
	v_fma_f64 v[9:10], v[3:4], v[7:8], -v[11:12]
	v_fma_f64 v[11:12], v[1:2], v[7:8], v[15:16]
	scratch_store_b128 off, v[9:12], off offset:128
.LBB87_47:
	s_or_b32 exec_lo, exec_lo, s2
	s_waitcnt_vscnt null, 0x0
	s_barrier
	buffer_gl0_inv
	scratch_load_b128 v[1:4], v79, off
	s_mov_b32 s2, exec_lo
	s_waitcnt vmcnt(0)
	ds_store_b128 v5, v[1:4]
	s_waitcnt lgkmcnt(0)
	s_barrier
	buffer_gl0_inv
	v_cmpx_gt_u32_e32 9, v65
	s_cbranch_execz .LBB87_51
; %bb.48:
	v_dual_mov_b32 v1, 0 :: v_dual_add_nc_u32 v8, 0x180, v13
	v_dual_mov_b32 v2, 0 :: v_dual_add_nc_u32 v7, -1, v65
	v_or_b32_e32 v9, 8, v14
	s_mov_b32 s3, 0
	s_delay_alu instid0(VALU_DEP_2)
	v_dual_mov_b32 v4, v2 :: v_dual_mov_b32 v3, v1
	.p2align	6
.LBB87_49:                              ; =>This Inner Loop Header: Depth=1
	scratch_load_b128 v[89:92], v9, off offset:-8
	ds_load_b128 v[93:96], v8
	v_add_nc_u32_e32 v7, 1, v7
	v_add_nc_u32_e32 v8, 16, v8
	;; [unrolled: 1-line block ×3, first 2 shown]
	s_delay_alu instid0(VALU_DEP_3) | instskip(SKIP_4) | instid1(VALU_DEP_2)
	v_cmp_lt_u32_e32 vcc_lo, 7, v7
	s_or_b32 s3, vcc_lo, s3
	s_waitcnt vmcnt(0) lgkmcnt(0)
	v_mul_f64 v[10:11], v[95:96], v[91:92]
	v_mul_f64 v[15:16], v[93:94], v[91:92]
	v_fma_f64 v[10:11], v[93:94], v[89:90], -v[10:11]
	s_delay_alu instid0(VALU_DEP_2) | instskip(NEXT) | instid1(VALU_DEP_2)
	v_fma_f64 v[15:16], v[95:96], v[89:90], v[15:16]
	v_add_f64 v[3:4], v[3:4], v[10:11]
	s_delay_alu instid0(VALU_DEP_2)
	v_add_f64 v[1:2], v[1:2], v[15:16]
	s_and_not1_b32 exec_lo, exec_lo, s3
	s_cbranch_execnz .LBB87_49
; %bb.50:
	s_or_b32 exec_lo, exec_lo, s3
	v_mov_b32_e32 v7, 0
	ds_load_b128 v[7:10], v7 offset:144
	s_waitcnt lgkmcnt(0)
	v_mul_f64 v[11:12], v[1:2], v[9:10]
	v_mul_f64 v[15:16], v[3:4], v[9:10]
	s_delay_alu instid0(VALU_DEP_2) | instskip(NEXT) | instid1(VALU_DEP_2)
	v_fma_f64 v[9:10], v[3:4], v[7:8], -v[11:12]
	v_fma_f64 v[11:12], v[1:2], v[7:8], v[15:16]
	scratch_store_b128 off, v[9:12], off offset:144
.LBB87_51:
	s_or_b32 exec_lo, exec_lo, s2
	s_waitcnt_vscnt null, 0x0
	s_barrier
	buffer_gl0_inv
	scratch_load_b128 v[1:4], v75, off
	s_mov_b32 s2, exec_lo
	s_waitcnt vmcnt(0)
	ds_store_b128 v5, v[1:4]
	s_waitcnt lgkmcnt(0)
	s_barrier
	buffer_gl0_inv
	v_cmpx_gt_u32_e32 10, v65
	s_cbranch_execz .LBB87_55
; %bb.52:
	v_dual_mov_b32 v1, 0 :: v_dual_add_nc_u32 v8, 0x180, v13
	v_dual_mov_b32 v2, 0 :: v_dual_add_nc_u32 v7, -1, v65
	v_or_b32_e32 v9, 8, v14
	s_mov_b32 s3, 0
	s_delay_alu instid0(VALU_DEP_2)
	v_dual_mov_b32 v4, v2 :: v_dual_mov_b32 v3, v1
	.p2align	6
.LBB87_53:                              ; =>This Inner Loop Header: Depth=1
	scratch_load_b128 v[89:92], v9, off offset:-8
	ds_load_b128 v[93:96], v8
	v_add_nc_u32_e32 v7, 1, v7
	v_add_nc_u32_e32 v8, 16, v8
	;; [unrolled: 1-line block ×3, first 2 shown]
	s_delay_alu instid0(VALU_DEP_3) | instskip(SKIP_4) | instid1(VALU_DEP_2)
	v_cmp_lt_u32_e32 vcc_lo, 8, v7
	s_or_b32 s3, vcc_lo, s3
	s_waitcnt vmcnt(0) lgkmcnt(0)
	v_mul_f64 v[10:11], v[95:96], v[91:92]
	v_mul_f64 v[15:16], v[93:94], v[91:92]
	v_fma_f64 v[10:11], v[93:94], v[89:90], -v[10:11]
	s_delay_alu instid0(VALU_DEP_2) | instskip(NEXT) | instid1(VALU_DEP_2)
	v_fma_f64 v[15:16], v[95:96], v[89:90], v[15:16]
	v_add_f64 v[3:4], v[3:4], v[10:11]
	s_delay_alu instid0(VALU_DEP_2)
	v_add_f64 v[1:2], v[1:2], v[15:16]
	s_and_not1_b32 exec_lo, exec_lo, s3
	s_cbranch_execnz .LBB87_53
; %bb.54:
	s_or_b32 exec_lo, exec_lo, s3
	v_mov_b32_e32 v7, 0
	ds_load_b128 v[7:10], v7 offset:160
	s_waitcnt lgkmcnt(0)
	v_mul_f64 v[11:12], v[1:2], v[9:10]
	v_mul_f64 v[15:16], v[3:4], v[9:10]
	s_delay_alu instid0(VALU_DEP_2) | instskip(NEXT) | instid1(VALU_DEP_2)
	v_fma_f64 v[9:10], v[3:4], v[7:8], -v[11:12]
	v_fma_f64 v[11:12], v[1:2], v[7:8], v[15:16]
	scratch_store_b128 off, v[9:12], off offset:160
.LBB87_55:
	s_or_b32 exec_lo, exec_lo, s2
	s_waitcnt_vscnt null, 0x0
	s_barrier
	buffer_gl0_inv
	scratch_load_b128 v[1:4], v83, off
	s_mov_b32 s2, exec_lo
	s_waitcnt vmcnt(0)
	ds_store_b128 v5, v[1:4]
	s_waitcnt lgkmcnt(0)
	s_barrier
	buffer_gl0_inv
	v_cmpx_gt_u32_e32 11, v65
	s_cbranch_execz .LBB87_59
; %bb.56:
	v_dual_mov_b32 v1, 0 :: v_dual_add_nc_u32 v8, 0x180, v13
	v_dual_mov_b32 v2, 0 :: v_dual_add_nc_u32 v7, -1, v65
	v_or_b32_e32 v9, 8, v14
	s_mov_b32 s3, 0
	s_delay_alu instid0(VALU_DEP_2)
	v_dual_mov_b32 v4, v2 :: v_dual_mov_b32 v3, v1
	.p2align	6
.LBB87_57:                              ; =>This Inner Loop Header: Depth=1
	scratch_load_b128 v[89:92], v9, off offset:-8
	ds_load_b128 v[93:96], v8
	v_add_nc_u32_e32 v7, 1, v7
	v_add_nc_u32_e32 v8, 16, v8
	;; [unrolled: 1-line block ×3, first 2 shown]
	s_delay_alu instid0(VALU_DEP_3) | instskip(SKIP_4) | instid1(VALU_DEP_2)
	v_cmp_lt_u32_e32 vcc_lo, 9, v7
	s_or_b32 s3, vcc_lo, s3
	s_waitcnt vmcnt(0) lgkmcnt(0)
	v_mul_f64 v[10:11], v[95:96], v[91:92]
	v_mul_f64 v[15:16], v[93:94], v[91:92]
	v_fma_f64 v[10:11], v[93:94], v[89:90], -v[10:11]
	s_delay_alu instid0(VALU_DEP_2) | instskip(NEXT) | instid1(VALU_DEP_2)
	v_fma_f64 v[15:16], v[95:96], v[89:90], v[15:16]
	v_add_f64 v[3:4], v[3:4], v[10:11]
	s_delay_alu instid0(VALU_DEP_2)
	v_add_f64 v[1:2], v[1:2], v[15:16]
	s_and_not1_b32 exec_lo, exec_lo, s3
	s_cbranch_execnz .LBB87_57
; %bb.58:
	s_or_b32 exec_lo, exec_lo, s3
	v_mov_b32_e32 v7, 0
	ds_load_b128 v[7:10], v7 offset:176
	s_waitcnt lgkmcnt(0)
	v_mul_f64 v[11:12], v[1:2], v[9:10]
	v_mul_f64 v[15:16], v[3:4], v[9:10]
	s_delay_alu instid0(VALU_DEP_2) | instskip(NEXT) | instid1(VALU_DEP_2)
	v_fma_f64 v[9:10], v[3:4], v[7:8], -v[11:12]
	v_fma_f64 v[11:12], v[1:2], v[7:8], v[15:16]
	scratch_store_b128 off, v[9:12], off offset:176
.LBB87_59:
	s_or_b32 exec_lo, exec_lo, s2
	s_waitcnt_vscnt null, 0x0
	s_barrier
	buffer_gl0_inv
	scratch_load_b128 v[1:4], v78, off
	s_mov_b32 s2, exec_lo
	s_waitcnt vmcnt(0)
	ds_store_b128 v5, v[1:4]
	s_waitcnt lgkmcnt(0)
	s_barrier
	buffer_gl0_inv
	v_cmpx_gt_u32_e32 12, v65
	s_cbranch_execz .LBB87_63
; %bb.60:
	v_dual_mov_b32 v1, 0 :: v_dual_add_nc_u32 v8, 0x180, v13
	v_dual_mov_b32 v2, 0 :: v_dual_add_nc_u32 v7, -1, v65
	v_or_b32_e32 v9, 8, v14
	s_mov_b32 s3, 0
	s_delay_alu instid0(VALU_DEP_2)
	v_dual_mov_b32 v4, v2 :: v_dual_mov_b32 v3, v1
	.p2align	6
.LBB87_61:                              ; =>This Inner Loop Header: Depth=1
	scratch_load_b128 v[89:92], v9, off offset:-8
	ds_load_b128 v[93:96], v8
	v_add_nc_u32_e32 v7, 1, v7
	v_add_nc_u32_e32 v8, 16, v8
	;; [unrolled: 1-line block ×3, first 2 shown]
	s_delay_alu instid0(VALU_DEP_3) | instskip(SKIP_4) | instid1(VALU_DEP_2)
	v_cmp_lt_u32_e32 vcc_lo, 10, v7
	s_or_b32 s3, vcc_lo, s3
	s_waitcnt vmcnt(0) lgkmcnt(0)
	v_mul_f64 v[10:11], v[95:96], v[91:92]
	v_mul_f64 v[15:16], v[93:94], v[91:92]
	v_fma_f64 v[10:11], v[93:94], v[89:90], -v[10:11]
	s_delay_alu instid0(VALU_DEP_2) | instskip(NEXT) | instid1(VALU_DEP_2)
	v_fma_f64 v[15:16], v[95:96], v[89:90], v[15:16]
	v_add_f64 v[3:4], v[3:4], v[10:11]
	s_delay_alu instid0(VALU_DEP_2)
	v_add_f64 v[1:2], v[1:2], v[15:16]
	s_and_not1_b32 exec_lo, exec_lo, s3
	s_cbranch_execnz .LBB87_61
; %bb.62:
	s_or_b32 exec_lo, exec_lo, s3
	v_mov_b32_e32 v7, 0
	ds_load_b128 v[7:10], v7 offset:192
	s_waitcnt lgkmcnt(0)
	v_mul_f64 v[11:12], v[1:2], v[9:10]
	v_mul_f64 v[15:16], v[3:4], v[9:10]
	s_delay_alu instid0(VALU_DEP_2) | instskip(NEXT) | instid1(VALU_DEP_2)
	v_fma_f64 v[9:10], v[3:4], v[7:8], -v[11:12]
	v_fma_f64 v[11:12], v[1:2], v[7:8], v[15:16]
	scratch_store_b128 off, v[9:12], off offset:192
.LBB87_63:
	s_or_b32 exec_lo, exec_lo, s2
	s_waitcnt_vscnt null, 0x0
	s_barrier
	buffer_gl0_inv
	scratch_load_b128 v[1:4], v82, off
	s_mov_b32 s2, exec_lo
	s_waitcnt vmcnt(0)
	ds_store_b128 v5, v[1:4]
	s_waitcnt lgkmcnt(0)
	s_barrier
	buffer_gl0_inv
	v_cmpx_gt_u32_e32 13, v65
	s_cbranch_execz .LBB87_67
; %bb.64:
	v_dual_mov_b32 v1, 0 :: v_dual_add_nc_u32 v8, 0x180, v13
	v_dual_mov_b32 v2, 0 :: v_dual_add_nc_u32 v7, -1, v65
	v_or_b32_e32 v9, 8, v14
	s_mov_b32 s3, 0
	s_delay_alu instid0(VALU_DEP_2)
	v_dual_mov_b32 v4, v2 :: v_dual_mov_b32 v3, v1
	.p2align	6
.LBB87_65:                              ; =>This Inner Loop Header: Depth=1
	scratch_load_b128 v[89:92], v9, off offset:-8
	ds_load_b128 v[93:96], v8
	v_add_nc_u32_e32 v7, 1, v7
	v_add_nc_u32_e32 v8, 16, v8
	;; [unrolled: 1-line block ×3, first 2 shown]
	s_delay_alu instid0(VALU_DEP_3) | instskip(SKIP_4) | instid1(VALU_DEP_2)
	v_cmp_lt_u32_e32 vcc_lo, 11, v7
	s_or_b32 s3, vcc_lo, s3
	s_waitcnt vmcnt(0) lgkmcnt(0)
	v_mul_f64 v[10:11], v[95:96], v[91:92]
	v_mul_f64 v[15:16], v[93:94], v[91:92]
	v_fma_f64 v[10:11], v[93:94], v[89:90], -v[10:11]
	s_delay_alu instid0(VALU_DEP_2) | instskip(NEXT) | instid1(VALU_DEP_2)
	v_fma_f64 v[15:16], v[95:96], v[89:90], v[15:16]
	v_add_f64 v[3:4], v[3:4], v[10:11]
	s_delay_alu instid0(VALU_DEP_2)
	v_add_f64 v[1:2], v[1:2], v[15:16]
	s_and_not1_b32 exec_lo, exec_lo, s3
	s_cbranch_execnz .LBB87_65
; %bb.66:
	s_or_b32 exec_lo, exec_lo, s3
	v_mov_b32_e32 v7, 0
	ds_load_b128 v[7:10], v7 offset:208
	s_waitcnt lgkmcnt(0)
	v_mul_f64 v[11:12], v[1:2], v[9:10]
	v_mul_f64 v[15:16], v[3:4], v[9:10]
	s_delay_alu instid0(VALU_DEP_2) | instskip(NEXT) | instid1(VALU_DEP_2)
	v_fma_f64 v[9:10], v[3:4], v[7:8], -v[11:12]
	v_fma_f64 v[11:12], v[1:2], v[7:8], v[15:16]
	scratch_store_b128 off, v[9:12], off offset:208
.LBB87_67:
	s_or_b32 exec_lo, exec_lo, s2
	s_waitcnt_vscnt null, 0x0
	s_barrier
	buffer_gl0_inv
	scratch_load_b128 v[1:4], v77, off
	s_mov_b32 s2, exec_lo
	s_waitcnt vmcnt(0)
	ds_store_b128 v5, v[1:4]
	s_waitcnt lgkmcnt(0)
	s_barrier
	buffer_gl0_inv
	v_cmpx_gt_u32_e32 14, v65
	s_cbranch_execz .LBB87_71
; %bb.68:
	v_dual_mov_b32 v1, 0 :: v_dual_add_nc_u32 v8, 0x180, v13
	v_dual_mov_b32 v2, 0 :: v_dual_add_nc_u32 v7, -1, v65
	v_or_b32_e32 v9, 8, v14
	s_mov_b32 s3, 0
	s_delay_alu instid0(VALU_DEP_2)
	v_dual_mov_b32 v4, v2 :: v_dual_mov_b32 v3, v1
	.p2align	6
.LBB87_69:                              ; =>This Inner Loop Header: Depth=1
	scratch_load_b128 v[89:92], v9, off offset:-8
	ds_load_b128 v[93:96], v8
	v_add_nc_u32_e32 v7, 1, v7
	v_add_nc_u32_e32 v8, 16, v8
	;; [unrolled: 1-line block ×3, first 2 shown]
	s_delay_alu instid0(VALU_DEP_3) | instskip(SKIP_4) | instid1(VALU_DEP_2)
	v_cmp_lt_u32_e32 vcc_lo, 12, v7
	s_or_b32 s3, vcc_lo, s3
	s_waitcnt vmcnt(0) lgkmcnt(0)
	v_mul_f64 v[10:11], v[95:96], v[91:92]
	v_mul_f64 v[15:16], v[93:94], v[91:92]
	v_fma_f64 v[10:11], v[93:94], v[89:90], -v[10:11]
	s_delay_alu instid0(VALU_DEP_2) | instskip(NEXT) | instid1(VALU_DEP_2)
	v_fma_f64 v[15:16], v[95:96], v[89:90], v[15:16]
	v_add_f64 v[3:4], v[3:4], v[10:11]
	s_delay_alu instid0(VALU_DEP_2)
	v_add_f64 v[1:2], v[1:2], v[15:16]
	s_and_not1_b32 exec_lo, exec_lo, s3
	s_cbranch_execnz .LBB87_69
; %bb.70:
	s_or_b32 exec_lo, exec_lo, s3
	v_mov_b32_e32 v7, 0
	ds_load_b128 v[7:10], v7 offset:224
	s_waitcnt lgkmcnt(0)
	v_mul_f64 v[11:12], v[1:2], v[9:10]
	v_mul_f64 v[15:16], v[3:4], v[9:10]
	s_delay_alu instid0(VALU_DEP_2) | instskip(NEXT) | instid1(VALU_DEP_2)
	v_fma_f64 v[9:10], v[3:4], v[7:8], -v[11:12]
	v_fma_f64 v[11:12], v[1:2], v[7:8], v[15:16]
	scratch_store_b128 off, v[9:12], off offset:224
.LBB87_71:
	s_or_b32 exec_lo, exec_lo, s2
	s_waitcnt_vscnt null, 0x0
	s_barrier
	buffer_gl0_inv
	scratch_load_b128 v[1:4], v86, off
	s_mov_b32 s2, exec_lo
	s_waitcnt vmcnt(0)
	ds_store_b128 v5, v[1:4]
	s_waitcnt lgkmcnt(0)
	s_barrier
	buffer_gl0_inv
	v_cmpx_gt_u32_e32 15, v65
	s_cbranch_execz .LBB87_75
; %bb.72:
	v_dual_mov_b32 v1, 0 :: v_dual_add_nc_u32 v8, 0x180, v13
	v_dual_mov_b32 v2, 0 :: v_dual_add_nc_u32 v7, -1, v65
	v_or_b32_e32 v9, 8, v14
	s_mov_b32 s3, 0
	s_delay_alu instid0(VALU_DEP_2)
	v_dual_mov_b32 v4, v2 :: v_dual_mov_b32 v3, v1
	.p2align	6
.LBB87_73:                              ; =>This Inner Loop Header: Depth=1
	scratch_load_b128 v[89:92], v9, off offset:-8
	ds_load_b128 v[93:96], v8
	v_add_nc_u32_e32 v7, 1, v7
	v_add_nc_u32_e32 v8, 16, v8
	;; [unrolled: 1-line block ×3, first 2 shown]
	s_delay_alu instid0(VALU_DEP_3) | instskip(SKIP_4) | instid1(VALU_DEP_2)
	v_cmp_lt_u32_e32 vcc_lo, 13, v7
	s_or_b32 s3, vcc_lo, s3
	s_waitcnt vmcnt(0) lgkmcnt(0)
	v_mul_f64 v[10:11], v[95:96], v[91:92]
	v_mul_f64 v[15:16], v[93:94], v[91:92]
	v_fma_f64 v[10:11], v[93:94], v[89:90], -v[10:11]
	s_delay_alu instid0(VALU_DEP_2) | instskip(NEXT) | instid1(VALU_DEP_2)
	v_fma_f64 v[15:16], v[95:96], v[89:90], v[15:16]
	v_add_f64 v[3:4], v[3:4], v[10:11]
	s_delay_alu instid0(VALU_DEP_2)
	v_add_f64 v[1:2], v[1:2], v[15:16]
	s_and_not1_b32 exec_lo, exec_lo, s3
	s_cbranch_execnz .LBB87_73
; %bb.74:
	s_or_b32 exec_lo, exec_lo, s3
	v_mov_b32_e32 v7, 0
	ds_load_b128 v[7:10], v7 offset:240
	s_waitcnt lgkmcnt(0)
	v_mul_f64 v[11:12], v[1:2], v[9:10]
	v_mul_f64 v[15:16], v[3:4], v[9:10]
	s_delay_alu instid0(VALU_DEP_2) | instskip(NEXT) | instid1(VALU_DEP_2)
	v_fma_f64 v[9:10], v[3:4], v[7:8], -v[11:12]
	v_fma_f64 v[11:12], v[1:2], v[7:8], v[15:16]
	scratch_store_b128 off, v[9:12], off offset:240
.LBB87_75:
	s_or_b32 exec_lo, exec_lo, s2
	s_waitcnt_vscnt null, 0x0
	s_barrier
	buffer_gl0_inv
	scratch_load_b128 v[1:4], v84, off
	s_mov_b32 s2, exec_lo
	s_waitcnt vmcnt(0)
	ds_store_b128 v5, v[1:4]
	s_waitcnt lgkmcnt(0)
	s_barrier
	buffer_gl0_inv
	v_cmpx_gt_u32_e32 16, v65
	s_cbranch_execz .LBB87_79
; %bb.76:
	v_dual_mov_b32 v1, 0 :: v_dual_add_nc_u32 v8, 0x180, v13
	v_dual_mov_b32 v2, 0 :: v_dual_add_nc_u32 v7, -1, v65
	v_or_b32_e32 v9, 8, v14
	s_mov_b32 s3, 0
	s_delay_alu instid0(VALU_DEP_2)
	v_dual_mov_b32 v4, v2 :: v_dual_mov_b32 v3, v1
	.p2align	6
.LBB87_77:                              ; =>This Inner Loop Header: Depth=1
	scratch_load_b128 v[89:92], v9, off offset:-8
	ds_load_b128 v[93:96], v8
	v_add_nc_u32_e32 v7, 1, v7
	v_add_nc_u32_e32 v8, 16, v8
	;; [unrolled: 1-line block ×3, first 2 shown]
	s_delay_alu instid0(VALU_DEP_3) | instskip(SKIP_4) | instid1(VALU_DEP_2)
	v_cmp_lt_u32_e32 vcc_lo, 14, v7
	s_or_b32 s3, vcc_lo, s3
	s_waitcnt vmcnt(0) lgkmcnt(0)
	v_mul_f64 v[10:11], v[95:96], v[91:92]
	v_mul_f64 v[15:16], v[93:94], v[91:92]
	v_fma_f64 v[10:11], v[93:94], v[89:90], -v[10:11]
	s_delay_alu instid0(VALU_DEP_2) | instskip(NEXT) | instid1(VALU_DEP_2)
	v_fma_f64 v[15:16], v[95:96], v[89:90], v[15:16]
	v_add_f64 v[3:4], v[3:4], v[10:11]
	s_delay_alu instid0(VALU_DEP_2)
	v_add_f64 v[1:2], v[1:2], v[15:16]
	s_and_not1_b32 exec_lo, exec_lo, s3
	s_cbranch_execnz .LBB87_77
; %bb.78:
	s_or_b32 exec_lo, exec_lo, s3
	v_mov_b32_e32 v7, 0
	ds_load_b128 v[7:10], v7 offset:256
	s_waitcnt lgkmcnt(0)
	v_mul_f64 v[11:12], v[1:2], v[9:10]
	v_mul_f64 v[15:16], v[3:4], v[9:10]
	s_delay_alu instid0(VALU_DEP_2) | instskip(NEXT) | instid1(VALU_DEP_2)
	v_fma_f64 v[9:10], v[3:4], v[7:8], -v[11:12]
	v_fma_f64 v[11:12], v[1:2], v[7:8], v[15:16]
	scratch_store_b128 off, v[9:12], off offset:256
.LBB87_79:
	s_or_b32 exec_lo, exec_lo, s2
	s_waitcnt_vscnt null, 0x0
	s_barrier
	buffer_gl0_inv
	scratch_load_b128 v[1:4], v85, off
	s_mov_b32 s2, exec_lo
	s_waitcnt vmcnt(0)
	ds_store_b128 v5, v[1:4]
	s_waitcnt lgkmcnt(0)
	s_barrier
	buffer_gl0_inv
	v_cmpx_gt_u32_e32 17, v65
	s_cbranch_execz .LBB87_83
; %bb.80:
	v_dual_mov_b32 v1, 0 :: v_dual_add_nc_u32 v8, 0x180, v13
	v_dual_mov_b32 v2, 0 :: v_dual_add_nc_u32 v7, -1, v65
	v_or_b32_e32 v9, 8, v14
	s_mov_b32 s3, 0
	s_delay_alu instid0(VALU_DEP_2)
	v_dual_mov_b32 v4, v2 :: v_dual_mov_b32 v3, v1
	.p2align	6
.LBB87_81:                              ; =>This Inner Loop Header: Depth=1
	scratch_load_b128 v[89:92], v9, off offset:-8
	ds_load_b128 v[93:96], v8
	v_add_nc_u32_e32 v7, 1, v7
	v_add_nc_u32_e32 v8, 16, v8
	;; [unrolled: 1-line block ×3, first 2 shown]
	s_delay_alu instid0(VALU_DEP_3) | instskip(SKIP_4) | instid1(VALU_DEP_2)
	v_cmp_lt_u32_e32 vcc_lo, 15, v7
	s_or_b32 s3, vcc_lo, s3
	s_waitcnt vmcnt(0) lgkmcnt(0)
	v_mul_f64 v[10:11], v[95:96], v[91:92]
	v_mul_f64 v[15:16], v[93:94], v[91:92]
	v_fma_f64 v[10:11], v[93:94], v[89:90], -v[10:11]
	s_delay_alu instid0(VALU_DEP_2) | instskip(NEXT) | instid1(VALU_DEP_2)
	v_fma_f64 v[15:16], v[95:96], v[89:90], v[15:16]
	v_add_f64 v[3:4], v[3:4], v[10:11]
	s_delay_alu instid0(VALU_DEP_2)
	v_add_f64 v[1:2], v[1:2], v[15:16]
	s_and_not1_b32 exec_lo, exec_lo, s3
	s_cbranch_execnz .LBB87_81
; %bb.82:
	s_or_b32 exec_lo, exec_lo, s3
	v_mov_b32_e32 v7, 0
	ds_load_b128 v[7:10], v7 offset:272
	s_waitcnt lgkmcnt(0)
	v_mul_f64 v[11:12], v[1:2], v[9:10]
	v_mul_f64 v[15:16], v[3:4], v[9:10]
	s_delay_alu instid0(VALU_DEP_2) | instskip(NEXT) | instid1(VALU_DEP_2)
	v_fma_f64 v[9:10], v[3:4], v[7:8], -v[11:12]
	v_fma_f64 v[11:12], v[1:2], v[7:8], v[15:16]
	scratch_store_b128 off, v[9:12], off offset:272
.LBB87_83:
	s_or_b32 exec_lo, exec_lo, s2
	s_waitcnt_vscnt null, 0x0
	s_barrier
	buffer_gl0_inv
	scratch_load_b128 v[1:4], v88, off
	s_mov_b32 s2, exec_lo
	s_waitcnt vmcnt(0)
	ds_store_b128 v5, v[1:4]
	s_waitcnt lgkmcnt(0)
	s_barrier
	buffer_gl0_inv
	v_cmpx_gt_u32_e32 18, v65
	s_cbranch_execz .LBB87_87
; %bb.84:
	v_dual_mov_b32 v1, 0 :: v_dual_add_nc_u32 v8, 0x180, v13
	v_dual_mov_b32 v2, 0 :: v_dual_add_nc_u32 v7, -1, v65
	v_or_b32_e32 v9, 8, v14
	s_mov_b32 s3, 0
	s_delay_alu instid0(VALU_DEP_2)
	v_dual_mov_b32 v4, v2 :: v_dual_mov_b32 v3, v1
	.p2align	6
.LBB87_85:                              ; =>This Inner Loop Header: Depth=1
	scratch_load_b128 v[89:92], v9, off offset:-8
	ds_load_b128 v[93:96], v8
	v_add_nc_u32_e32 v7, 1, v7
	v_add_nc_u32_e32 v8, 16, v8
	;; [unrolled: 1-line block ×3, first 2 shown]
	s_delay_alu instid0(VALU_DEP_3) | instskip(SKIP_4) | instid1(VALU_DEP_2)
	v_cmp_lt_u32_e32 vcc_lo, 16, v7
	s_or_b32 s3, vcc_lo, s3
	s_waitcnt vmcnt(0) lgkmcnt(0)
	v_mul_f64 v[10:11], v[95:96], v[91:92]
	v_mul_f64 v[15:16], v[93:94], v[91:92]
	v_fma_f64 v[10:11], v[93:94], v[89:90], -v[10:11]
	s_delay_alu instid0(VALU_DEP_2) | instskip(NEXT) | instid1(VALU_DEP_2)
	v_fma_f64 v[15:16], v[95:96], v[89:90], v[15:16]
	v_add_f64 v[3:4], v[3:4], v[10:11]
	s_delay_alu instid0(VALU_DEP_2)
	v_add_f64 v[1:2], v[1:2], v[15:16]
	s_and_not1_b32 exec_lo, exec_lo, s3
	s_cbranch_execnz .LBB87_85
; %bb.86:
	s_or_b32 exec_lo, exec_lo, s3
	v_mov_b32_e32 v7, 0
	ds_load_b128 v[7:10], v7 offset:288
	s_waitcnt lgkmcnt(0)
	v_mul_f64 v[11:12], v[1:2], v[9:10]
	v_mul_f64 v[15:16], v[3:4], v[9:10]
	s_delay_alu instid0(VALU_DEP_2) | instskip(NEXT) | instid1(VALU_DEP_2)
	v_fma_f64 v[9:10], v[3:4], v[7:8], -v[11:12]
	v_fma_f64 v[11:12], v[1:2], v[7:8], v[15:16]
	scratch_store_b128 off, v[9:12], off offset:288
.LBB87_87:
	s_or_b32 exec_lo, exec_lo, s2
	s_waitcnt_vscnt null, 0x0
	s_barrier
	buffer_gl0_inv
	scratch_load_b128 v[1:4], v87, off
	s_mov_b32 s2, exec_lo
	s_waitcnt vmcnt(0)
	ds_store_b128 v5, v[1:4]
	s_waitcnt lgkmcnt(0)
	s_barrier
	buffer_gl0_inv
	v_cmpx_gt_u32_e32 19, v65
	s_cbranch_execz .LBB87_91
; %bb.88:
	v_dual_mov_b32 v1, 0 :: v_dual_add_nc_u32 v8, 0x180, v13
	v_dual_mov_b32 v2, 0 :: v_dual_add_nc_u32 v7, -1, v65
	v_or_b32_e32 v9, 8, v14
	s_mov_b32 s3, 0
	s_delay_alu instid0(VALU_DEP_2)
	v_dual_mov_b32 v4, v2 :: v_dual_mov_b32 v3, v1
	.p2align	6
.LBB87_89:                              ; =>This Inner Loop Header: Depth=1
	scratch_load_b128 v[89:92], v9, off offset:-8
	ds_load_b128 v[93:96], v8
	v_add_nc_u32_e32 v7, 1, v7
	v_add_nc_u32_e32 v8, 16, v8
	;; [unrolled: 1-line block ×3, first 2 shown]
	s_delay_alu instid0(VALU_DEP_3) | instskip(SKIP_4) | instid1(VALU_DEP_2)
	v_cmp_lt_u32_e32 vcc_lo, 17, v7
	s_or_b32 s3, vcc_lo, s3
	s_waitcnt vmcnt(0) lgkmcnt(0)
	v_mul_f64 v[10:11], v[95:96], v[91:92]
	v_mul_f64 v[15:16], v[93:94], v[91:92]
	v_fma_f64 v[10:11], v[93:94], v[89:90], -v[10:11]
	s_delay_alu instid0(VALU_DEP_2) | instskip(NEXT) | instid1(VALU_DEP_2)
	v_fma_f64 v[15:16], v[95:96], v[89:90], v[15:16]
	v_add_f64 v[3:4], v[3:4], v[10:11]
	s_delay_alu instid0(VALU_DEP_2)
	v_add_f64 v[1:2], v[1:2], v[15:16]
	s_and_not1_b32 exec_lo, exec_lo, s3
	s_cbranch_execnz .LBB87_89
; %bb.90:
	s_or_b32 exec_lo, exec_lo, s3
	v_mov_b32_e32 v7, 0
	ds_load_b128 v[7:10], v7 offset:304
	s_waitcnt lgkmcnt(0)
	v_mul_f64 v[11:12], v[1:2], v[9:10]
	v_mul_f64 v[15:16], v[3:4], v[9:10]
	s_delay_alu instid0(VALU_DEP_2) | instskip(NEXT) | instid1(VALU_DEP_2)
	v_fma_f64 v[9:10], v[3:4], v[7:8], -v[11:12]
	v_fma_f64 v[11:12], v[1:2], v[7:8], v[15:16]
	scratch_store_b128 off, v[9:12], off offset:304
.LBB87_91:
	s_or_b32 exec_lo, exec_lo, s2
	s_waitcnt_vscnt null, 0x0
	s_barrier
	buffer_gl0_inv
	scratch_load_b128 v[1:4], v74, off
	s_mov_b32 s2, exec_lo
	s_waitcnt vmcnt(0)
	ds_store_b128 v5, v[1:4]
	s_waitcnt lgkmcnt(0)
	s_barrier
	buffer_gl0_inv
	v_cmpx_gt_u32_e32 20, v65
	s_cbranch_execz .LBB87_95
; %bb.92:
	v_dual_mov_b32 v1, 0 :: v_dual_add_nc_u32 v8, 0x180, v13
	v_dual_mov_b32 v2, 0 :: v_dual_add_nc_u32 v7, -1, v65
	v_or_b32_e32 v9, 8, v14
	s_mov_b32 s3, 0
	s_delay_alu instid0(VALU_DEP_2)
	v_dual_mov_b32 v4, v2 :: v_dual_mov_b32 v3, v1
	.p2align	6
.LBB87_93:                              ; =>This Inner Loop Header: Depth=1
	scratch_load_b128 v[89:92], v9, off offset:-8
	ds_load_b128 v[93:96], v8
	v_add_nc_u32_e32 v7, 1, v7
	v_add_nc_u32_e32 v8, 16, v8
	;; [unrolled: 1-line block ×3, first 2 shown]
	s_delay_alu instid0(VALU_DEP_3) | instskip(SKIP_4) | instid1(VALU_DEP_2)
	v_cmp_lt_u32_e32 vcc_lo, 18, v7
	s_or_b32 s3, vcc_lo, s3
	s_waitcnt vmcnt(0) lgkmcnt(0)
	v_mul_f64 v[10:11], v[95:96], v[91:92]
	v_mul_f64 v[15:16], v[93:94], v[91:92]
	v_fma_f64 v[10:11], v[93:94], v[89:90], -v[10:11]
	s_delay_alu instid0(VALU_DEP_2) | instskip(NEXT) | instid1(VALU_DEP_2)
	v_fma_f64 v[15:16], v[95:96], v[89:90], v[15:16]
	v_add_f64 v[3:4], v[3:4], v[10:11]
	s_delay_alu instid0(VALU_DEP_2)
	v_add_f64 v[1:2], v[1:2], v[15:16]
	s_and_not1_b32 exec_lo, exec_lo, s3
	s_cbranch_execnz .LBB87_93
; %bb.94:
	s_or_b32 exec_lo, exec_lo, s3
	v_mov_b32_e32 v7, 0
	ds_load_b128 v[7:10], v7 offset:320
	s_waitcnt lgkmcnt(0)
	v_mul_f64 v[11:12], v[1:2], v[9:10]
	v_mul_f64 v[15:16], v[3:4], v[9:10]
	s_delay_alu instid0(VALU_DEP_2) | instskip(NEXT) | instid1(VALU_DEP_2)
	v_fma_f64 v[9:10], v[3:4], v[7:8], -v[11:12]
	v_fma_f64 v[11:12], v[1:2], v[7:8], v[15:16]
	scratch_store_b128 off, v[9:12], off offset:320
.LBB87_95:
	s_or_b32 exec_lo, exec_lo, s2
	s_waitcnt_vscnt null, 0x0
	s_barrier
	buffer_gl0_inv
	scratch_load_b128 v[1:4], v73, off
	s_mov_b32 s2, exec_lo
	s_waitcnt vmcnt(0)
	ds_store_b128 v5, v[1:4]
	s_waitcnt lgkmcnt(0)
	s_barrier
	buffer_gl0_inv
	v_cmpx_gt_u32_e32 21, v65
	s_cbranch_execz .LBB87_99
; %bb.96:
	v_dual_mov_b32 v1, 0 :: v_dual_add_nc_u32 v8, 0x180, v13
	v_dual_mov_b32 v2, 0 :: v_dual_add_nc_u32 v7, -1, v65
	v_or_b32_e32 v9, 8, v14
	s_mov_b32 s3, 0
	s_delay_alu instid0(VALU_DEP_2)
	v_dual_mov_b32 v4, v2 :: v_dual_mov_b32 v3, v1
	.p2align	6
.LBB87_97:                              ; =>This Inner Loop Header: Depth=1
	scratch_load_b128 v[89:92], v9, off offset:-8
	ds_load_b128 v[93:96], v8
	v_add_nc_u32_e32 v7, 1, v7
	v_add_nc_u32_e32 v8, 16, v8
	;; [unrolled: 1-line block ×3, first 2 shown]
	s_delay_alu instid0(VALU_DEP_3) | instskip(SKIP_4) | instid1(VALU_DEP_2)
	v_cmp_lt_u32_e32 vcc_lo, 19, v7
	s_or_b32 s3, vcc_lo, s3
	s_waitcnt vmcnt(0) lgkmcnt(0)
	v_mul_f64 v[10:11], v[95:96], v[91:92]
	v_mul_f64 v[15:16], v[93:94], v[91:92]
	v_fma_f64 v[10:11], v[93:94], v[89:90], -v[10:11]
	s_delay_alu instid0(VALU_DEP_2) | instskip(NEXT) | instid1(VALU_DEP_2)
	v_fma_f64 v[15:16], v[95:96], v[89:90], v[15:16]
	v_add_f64 v[3:4], v[3:4], v[10:11]
	s_delay_alu instid0(VALU_DEP_2)
	v_add_f64 v[1:2], v[1:2], v[15:16]
	s_and_not1_b32 exec_lo, exec_lo, s3
	s_cbranch_execnz .LBB87_97
; %bb.98:
	s_or_b32 exec_lo, exec_lo, s3
	v_mov_b32_e32 v7, 0
	ds_load_b128 v[7:10], v7 offset:336
	s_waitcnt lgkmcnt(0)
	v_mul_f64 v[11:12], v[1:2], v[9:10]
	v_mul_f64 v[15:16], v[3:4], v[9:10]
	s_delay_alu instid0(VALU_DEP_2) | instskip(NEXT) | instid1(VALU_DEP_2)
	v_fma_f64 v[9:10], v[3:4], v[7:8], -v[11:12]
	v_fma_f64 v[11:12], v[1:2], v[7:8], v[15:16]
	scratch_store_b128 off, v[9:12], off offset:336
.LBB87_99:
	s_or_b32 exec_lo, exec_lo, s2
	s_waitcnt_vscnt null, 0x0
	s_barrier
	buffer_gl0_inv
	scratch_load_b128 v[1:4], v81, off
	s_mov_b32 s2, exec_lo
	s_waitcnt vmcnt(0)
	ds_store_b128 v5, v[1:4]
	s_waitcnt lgkmcnt(0)
	s_barrier
	buffer_gl0_inv
	v_cmpx_gt_u32_e32 22, v65
	s_cbranch_execz .LBB87_103
; %bb.100:
	v_dual_mov_b32 v1, 0 :: v_dual_add_nc_u32 v8, 0x180, v13
	v_dual_mov_b32 v2, 0 :: v_dual_add_nc_u32 v7, -1, v65
	v_or_b32_e32 v9, 8, v14
	s_mov_b32 s3, 0
	s_delay_alu instid0(VALU_DEP_2)
	v_dual_mov_b32 v4, v2 :: v_dual_mov_b32 v3, v1
	.p2align	6
.LBB87_101:                             ; =>This Inner Loop Header: Depth=1
	scratch_load_b128 v[10:13], v9, off offset:-8
	ds_load_b128 v[89:92], v8
	v_add_nc_u32_e32 v7, 1, v7
	v_add_nc_u32_e32 v8, 16, v8
	v_add_nc_u32_e32 v9, 16, v9
	s_delay_alu instid0(VALU_DEP_3) | instskip(SKIP_4) | instid1(VALU_DEP_2)
	v_cmp_lt_u32_e32 vcc_lo, 20, v7
	s_or_b32 s3, vcc_lo, s3
	s_waitcnt vmcnt(0) lgkmcnt(0)
	v_mul_f64 v[15:16], v[91:92], v[12:13]
	v_mul_f64 v[12:13], v[89:90], v[12:13]
	v_fma_f64 v[15:16], v[89:90], v[10:11], -v[15:16]
	s_delay_alu instid0(VALU_DEP_2) | instskip(NEXT) | instid1(VALU_DEP_2)
	v_fma_f64 v[10:11], v[91:92], v[10:11], v[12:13]
	v_add_f64 v[3:4], v[3:4], v[15:16]
	s_delay_alu instid0(VALU_DEP_2)
	v_add_f64 v[1:2], v[1:2], v[10:11]
	s_and_not1_b32 exec_lo, exec_lo, s3
	s_cbranch_execnz .LBB87_101
; %bb.102:
	s_or_b32 exec_lo, exec_lo, s3
	v_mov_b32_e32 v7, 0
	ds_load_b128 v[7:10], v7 offset:352
	s_waitcnt lgkmcnt(0)
	v_mul_f64 v[11:12], v[1:2], v[9:10]
	v_mul_f64 v[15:16], v[3:4], v[9:10]
	s_delay_alu instid0(VALU_DEP_2) | instskip(NEXT) | instid1(VALU_DEP_2)
	v_fma_f64 v[9:10], v[3:4], v[7:8], -v[11:12]
	v_fma_f64 v[11:12], v[1:2], v[7:8], v[15:16]
	scratch_store_b128 off, v[9:12], off offset:352
.LBB87_103:
	s_or_b32 exec_lo, exec_lo, s2
	s_waitcnt_vscnt null, 0x0
	s_barrier
	buffer_gl0_inv
	scratch_load_b128 v[1:4], v80, off
	s_mov_b32 s2, exec_lo
	s_waitcnt vmcnt(0)
	ds_store_b128 v5, v[1:4]
	s_waitcnt lgkmcnt(0)
	s_barrier
	buffer_gl0_inv
	v_cmpx_ne_u32_e32 23, v65
	s_cbranch_execz .LBB87_107
; %bb.104:
	v_mov_b32_e32 v1, 0
	v_mov_b32_e32 v2, 0
	v_or_b32_e32 v7, 8, v14
	s_mov_b32 s3, 0
	s_delay_alu instid0(VALU_DEP_2)
	v_dual_mov_b32 v4, v2 :: v_dual_mov_b32 v3, v1
	.p2align	6
.LBB87_105:                             ; =>This Inner Loop Header: Depth=1
	scratch_load_b128 v[8:11], v7, off offset:-8
	ds_load_b128 v[12:15], v5
	v_add_nc_u32_e32 v6, 1, v6
	v_add_nc_u32_e32 v5, 16, v5
	;; [unrolled: 1-line block ×3, first 2 shown]
	s_delay_alu instid0(VALU_DEP_3) | instskip(SKIP_4) | instid1(VALU_DEP_2)
	v_cmp_lt_u32_e32 vcc_lo, 21, v6
	s_or_b32 s3, vcc_lo, s3
	s_waitcnt vmcnt(0) lgkmcnt(0)
	v_mul_f64 v[89:90], v[14:15], v[10:11]
	v_mul_f64 v[10:11], v[12:13], v[10:11]
	v_fma_f64 v[12:13], v[12:13], v[8:9], -v[89:90]
	s_delay_alu instid0(VALU_DEP_2) | instskip(NEXT) | instid1(VALU_DEP_2)
	v_fma_f64 v[8:9], v[14:15], v[8:9], v[10:11]
	v_add_f64 v[3:4], v[3:4], v[12:13]
	s_delay_alu instid0(VALU_DEP_2)
	v_add_f64 v[1:2], v[1:2], v[8:9]
	s_and_not1_b32 exec_lo, exec_lo, s3
	s_cbranch_execnz .LBB87_105
; %bb.106:
	s_or_b32 exec_lo, exec_lo, s3
	v_mov_b32_e32 v5, 0
	ds_load_b128 v[5:8], v5 offset:368
	s_waitcnt lgkmcnt(0)
	v_mul_f64 v[9:10], v[1:2], v[7:8]
	v_mul_f64 v[7:8], v[3:4], v[7:8]
	s_delay_alu instid0(VALU_DEP_2) | instskip(NEXT) | instid1(VALU_DEP_2)
	v_fma_f64 v[3:4], v[3:4], v[5:6], -v[9:10]
	v_fma_f64 v[5:6], v[1:2], v[5:6], v[7:8]
	scratch_store_b128 off, v[3:6], off offset:368
.LBB87_107:
	s_or_b32 exec_lo, exec_lo, s2
	s_mov_b32 s3, -1
	s_waitcnt_vscnt null, 0x0
	s_barrier
	buffer_gl0_inv
.LBB87_108:
	s_and_b32 vcc_lo, exec_lo, s3
	s_cbranch_vccz .LBB87_110
; %bb.109:
	s_lshl_b64 s[2:3], s[10:11], 2
	v_mov_b32_e32 v1, 0
	s_add_u32 s2, s6, s2
	s_addc_u32 s3, s7, s3
	global_load_b32 v1, v1, s[2:3]
	s_waitcnt vmcnt(0)
	v_cmp_ne_u32_e32 vcc_lo, 0, v1
	s_cbranch_vccz .LBB87_111
.LBB87_110:
	s_endpgm
.LBB87_111:
	v_lshl_add_u32 v10, v65, 4, 0x180
	s_mov_b32 s2, exec_lo
	v_cmpx_eq_u32_e32 23, v65
	s_cbranch_execz .LBB87_113
; %bb.112:
	scratch_load_b128 v[1:4], v81, off
	v_mov_b32_e32 v5, 0
	s_delay_alu instid0(VALU_DEP_1)
	v_mov_b32_e32 v6, v5
	v_mov_b32_e32 v7, v5
	;; [unrolled: 1-line block ×3, first 2 shown]
	scratch_store_b128 off, v[5:8], off offset:352
	s_waitcnt vmcnt(0)
	ds_store_b128 v10, v[1:4]
.LBB87_113:
	s_or_b32 exec_lo, exec_lo, s2
	s_waitcnt lgkmcnt(0)
	s_waitcnt_vscnt null, 0x0
	s_barrier
	buffer_gl0_inv
	s_clause 0x1
	scratch_load_b128 v[2:5], off, off offset:368
	scratch_load_b128 v[6:9], off, off offset:352
	v_mov_b32_e32 v1, 0
	s_mov_b32 s2, exec_lo
	ds_load_b128 v[11:14], v1 offset:752
	s_waitcnt vmcnt(1) lgkmcnt(0)
	v_mul_f64 v[15:16], v[13:14], v[4:5]
	v_mul_f64 v[4:5], v[11:12], v[4:5]
	s_delay_alu instid0(VALU_DEP_2) | instskip(NEXT) | instid1(VALU_DEP_2)
	v_fma_f64 v[11:12], v[11:12], v[2:3], -v[15:16]
	v_fma_f64 v[2:3], v[13:14], v[2:3], v[4:5]
	s_delay_alu instid0(VALU_DEP_2) | instskip(NEXT) | instid1(VALU_DEP_2)
	v_add_f64 v[4:5], v[11:12], 0
	v_add_f64 v[11:12], v[2:3], 0
	s_waitcnt vmcnt(0)
	s_delay_alu instid0(VALU_DEP_2) | instskip(NEXT) | instid1(VALU_DEP_2)
	v_add_f64 v[2:3], v[6:7], -v[4:5]
	v_add_f64 v[4:5], v[8:9], -v[11:12]
	scratch_store_b128 off, v[2:5], off offset:352
	v_cmpx_lt_u32_e32 21, v65
	s_cbranch_execz .LBB87_115
; %bb.114:
	scratch_load_b128 v[5:8], v73, off
	v_mov_b32_e32 v2, v1
	v_mov_b32_e32 v3, v1
	;; [unrolled: 1-line block ×3, first 2 shown]
	scratch_store_b128 off, v[1:4], off offset:336
	s_waitcnt vmcnt(0)
	ds_store_b128 v10, v[5:8]
.LBB87_115:
	s_or_b32 exec_lo, exec_lo, s2
	s_waitcnt lgkmcnt(0)
	s_waitcnt_vscnt null, 0x0
	s_barrier
	buffer_gl0_inv
	s_clause 0x2
	scratch_load_b128 v[2:5], off, off offset:352
	scratch_load_b128 v[6:9], off, off offset:368
	scratch_load_b128 v[11:14], off, off offset:336
	ds_load_b128 v[89:92], v1 offset:736
	ds_load_b128 v[93:96], v1 offset:752
	s_mov_b32 s2, exec_lo
	s_waitcnt vmcnt(2) lgkmcnt(1)
	v_mul_f64 v[15:16], v[91:92], v[4:5]
	v_mul_f64 v[4:5], v[89:90], v[4:5]
	s_waitcnt vmcnt(1) lgkmcnt(0)
	v_mul_f64 v[97:98], v[93:94], v[8:9]
	v_mul_f64 v[8:9], v[95:96], v[8:9]
	s_delay_alu instid0(VALU_DEP_4) | instskip(NEXT) | instid1(VALU_DEP_4)
	v_fma_f64 v[15:16], v[89:90], v[2:3], -v[15:16]
	v_fma_f64 v[1:2], v[91:92], v[2:3], v[4:5]
	s_delay_alu instid0(VALU_DEP_4) | instskip(NEXT) | instid1(VALU_DEP_4)
	v_fma_f64 v[3:4], v[95:96], v[6:7], v[97:98]
	v_fma_f64 v[5:6], v[93:94], v[6:7], -v[8:9]
	s_delay_alu instid0(VALU_DEP_4) | instskip(NEXT) | instid1(VALU_DEP_4)
	v_add_f64 v[7:8], v[15:16], 0
	v_add_f64 v[1:2], v[1:2], 0
	s_delay_alu instid0(VALU_DEP_2) | instskip(NEXT) | instid1(VALU_DEP_2)
	v_add_f64 v[5:6], v[7:8], v[5:6]
	v_add_f64 v[3:4], v[1:2], v[3:4]
	s_waitcnt vmcnt(0)
	s_delay_alu instid0(VALU_DEP_2) | instskip(NEXT) | instid1(VALU_DEP_2)
	v_add_f64 v[1:2], v[11:12], -v[5:6]
	v_add_f64 v[3:4], v[13:14], -v[3:4]
	scratch_store_b128 off, v[1:4], off offset:336
	v_cmpx_lt_u32_e32 20, v65
	s_cbranch_execz .LBB87_117
; %bb.116:
	scratch_load_b128 v[1:4], v74, off
	v_mov_b32_e32 v5, 0
	s_delay_alu instid0(VALU_DEP_1)
	v_mov_b32_e32 v6, v5
	v_mov_b32_e32 v7, v5
	;; [unrolled: 1-line block ×3, first 2 shown]
	scratch_store_b128 off, v[5:8], off offset:320
	s_waitcnt vmcnt(0)
	ds_store_b128 v10, v[1:4]
.LBB87_117:
	s_or_b32 exec_lo, exec_lo, s2
	s_waitcnt lgkmcnt(0)
	s_waitcnt_vscnt null, 0x0
	s_barrier
	buffer_gl0_inv
	s_clause 0x3
	scratch_load_b128 v[2:5], off, off offset:336
	scratch_load_b128 v[6:9], off, off offset:352
	;; [unrolled: 1-line block ×4, first 2 shown]
	v_mov_b32_e32 v1, 0
	ds_load_b128 v[93:96], v1 offset:720
	ds_load_b128 v[97:100], v1 offset:736
	s_mov_b32 s2, exec_lo
	s_waitcnt vmcnt(3) lgkmcnt(1)
	v_mul_f64 v[15:16], v[95:96], v[4:5]
	v_mul_f64 v[4:5], v[93:94], v[4:5]
	s_waitcnt vmcnt(2) lgkmcnt(0)
	v_mul_f64 v[101:102], v[97:98], v[8:9]
	v_mul_f64 v[8:9], v[99:100], v[8:9]
	s_delay_alu instid0(VALU_DEP_4) | instskip(NEXT) | instid1(VALU_DEP_4)
	v_fma_f64 v[15:16], v[93:94], v[2:3], -v[15:16]
	v_fma_f64 v[93:94], v[95:96], v[2:3], v[4:5]
	ds_load_b128 v[2:5], v1 offset:752
	v_fma_f64 v[99:100], v[99:100], v[6:7], v[101:102]
	v_fma_f64 v[6:7], v[97:98], v[6:7], -v[8:9]
	s_waitcnt vmcnt(1) lgkmcnt(0)
	v_mul_f64 v[95:96], v[2:3], v[13:14]
	v_mul_f64 v[13:14], v[4:5], v[13:14]
	v_add_f64 v[8:9], v[15:16], 0
	v_add_f64 v[15:16], v[93:94], 0
	s_delay_alu instid0(VALU_DEP_4) | instskip(NEXT) | instid1(VALU_DEP_4)
	v_fma_f64 v[4:5], v[4:5], v[11:12], v[95:96]
	v_fma_f64 v[2:3], v[2:3], v[11:12], -v[13:14]
	s_delay_alu instid0(VALU_DEP_4) | instskip(NEXT) | instid1(VALU_DEP_4)
	v_add_f64 v[6:7], v[8:9], v[6:7]
	v_add_f64 v[8:9], v[15:16], v[99:100]
	s_delay_alu instid0(VALU_DEP_2) | instskip(NEXT) | instid1(VALU_DEP_2)
	v_add_f64 v[2:3], v[6:7], v[2:3]
	v_add_f64 v[4:5], v[8:9], v[4:5]
	s_waitcnt vmcnt(0)
	s_delay_alu instid0(VALU_DEP_2) | instskip(NEXT) | instid1(VALU_DEP_2)
	v_add_f64 v[2:3], v[89:90], -v[2:3]
	v_add_f64 v[4:5], v[91:92], -v[4:5]
	scratch_store_b128 off, v[2:5], off offset:320
	v_cmpx_lt_u32_e32 19, v65
	s_cbranch_execz .LBB87_119
; %bb.118:
	scratch_load_b128 v[5:8], v87, off
	v_mov_b32_e32 v2, v1
	v_mov_b32_e32 v3, v1
	;; [unrolled: 1-line block ×3, first 2 shown]
	scratch_store_b128 off, v[1:4], off offset:304
	s_waitcnt vmcnt(0)
	ds_store_b128 v10, v[5:8]
.LBB87_119:
	s_or_b32 exec_lo, exec_lo, s2
	s_waitcnt lgkmcnt(0)
	s_waitcnt_vscnt null, 0x0
	s_barrier
	buffer_gl0_inv
	s_clause 0x4
	scratch_load_b128 v[2:5], off, off offset:320
	scratch_load_b128 v[6:9], off, off offset:336
	;; [unrolled: 1-line block ×5, first 2 shown]
	ds_load_b128 v[97:100], v1 offset:704
	ds_load_b128 v[101:104], v1 offset:720
	s_mov_b32 s2, exec_lo
	s_waitcnt vmcnt(4) lgkmcnt(1)
	v_mul_f64 v[15:16], v[99:100], v[4:5]
	v_mul_f64 v[4:5], v[97:98], v[4:5]
	s_waitcnt vmcnt(3) lgkmcnt(0)
	v_mul_f64 v[105:106], v[101:102], v[8:9]
	v_mul_f64 v[8:9], v[103:104], v[8:9]
	s_delay_alu instid0(VALU_DEP_4) | instskip(NEXT) | instid1(VALU_DEP_4)
	v_fma_f64 v[15:16], v[97:98], v[2:3], -v[15:16]
	v_fma_f64 v[107:108], v[99:100], v[2:3], v[4:5]
	ds_load_b128 v[2:5], v1 offset:736
	ds_load_b128 v[97:100], v1 offset:752
	v_fma_f64 v[103:104], v[103:104], v[6:7], v[105:106]
	v_fma_f64 v[6:7], v[101:102], v[6:7], -v[8:9]
	s_waitcnt vmcnt(2) lgkmcnt(1)
	v_mul_f64 v[109:110], v[2:3], v[13:14]
	v_mul_f64 v[13:14], v[4:5], v[13:14]
	s_waitcnt vmcnt(1) lgkmcnt(0)
	v_mul_f64 v[101:102], v[97:98], v[91:92]
	v_mul_f64 v[91:92], v[99:100], v[91:92]
	v_add_f64 v[8:9], v[15:16], 0
	v_add_f64 v[15:16], v[107:108], 0
	v_fma_f64 v[4:5], v[4:5], v[11:12], v[109:110]
	v_fma_f64 v[1:2], v[2:3], v[11:12], -v[13:14]
	v_fma_f64 v[11:12], v[99:100], v[89:90], v[101:102]
	v_fma_f64 v[13:14], v[97:98], v[89:90], -v[91:92]
	v_add_f64 v[6:7], v[8:9], v[6:7]
	v_add_f64 v[8:9], v[15:16], v[103:104]
	s_delay_alu instid0(VALU_DEP_2) | instskip(NEXT) | instid1(VALU_DEP_2)
	v_add_f64 v[1:2], v[6:7], v[1:2]
	v_add_f64 v[3:4], v[8:9], v[4:5]
	s_delay_alu instid0(VALU_DEP_2) | instskip(NEXT) | instid1(VALU_DEP_2)
	v_add_f64 v[1:2], v[1:2], v[13:14]
	v_add_f64 v[3:4], v[3:4], v[11:12]
	s_waitcnt vmcnt(0)
	s_delay_alu instid0(VALU_DEP_2) | instskip(NEXT) | instid1(VALU_DEP_2)
	v_add_f64 v[1:2], v[93:94], -v[1:2]
	v_add_f64 v[3:4], v[95:96], -v[3:4]
	scratch_store_b128 off, v[1:4], off offset:304
	v_cmpx_lt_u32_e32 18, v65
	s_cbranch_execz .LBB87_121
; %bb.120:
	scratch_load_b128 v[1:4], v88, off
	v_mov_b32_e32 v5, 0
	s_delay_alu instid0(VALU_DEP_1)
	v_mov_b32_e32 v6, v5
	v_mov_b32_e32 v7, v5
	v_mov_b32_e32 v8, v5
	scratch_store_b128 off, v[5:8], off offset:288
	s_waitcnt vmcnt(0)
	ds_store_b128 v10, v[1:4]
.LBB87_121:
	s_or_b32 exec_lo, exec_lo, s2
	s_waitcnt lgkmcnt(0)
	s_waitcnt_vscnt null, 0x0
	s_barrier
	buffer_gl0_inv
	s_clause 0x5
	scratch_load_b128 v[2:5], off, off offset:304
	scratch_load_b128 v[6:9], off, off offset:320
	;; [unrolled: 1-line block ×6, first 2 shown]
	v_mov_b32_e32 v1, 0
	ds_load_b128 v[101:104], v1 offset:688
	ds_load_b128 v[105:108], v1 offset:704
	s_mov_b32 s2, exec_lo
	s_waitcnt vmcnt(5) lgkmcnt(1)
	v_mul_f64 v[15:16], v[103:104], v[4:5]
	v_mul_f64 v[4:5], v[101:102], v[4:5]
	s_waitcnt vmcnt(4) lgkmcnt(0)
	v_mul_f64 v[109:110], v[105:106], v[8:9]
	v_mul_f64 v[8:9], v[107:108], v[8:9]
	s_delay_alu instid0(VALU_DEP_4) | instskip(NEXT) | instid1(VALU_DEP_4)
	v_fma_f64 v[15:16], v[101:102], v[2:3], -v[15:16]
	v_fma_f64 v[111:112], v[103:104], v[2:3], v[4:5]
	ds_load_b128 v[2:5], v1 offset:720
	ds_load_b128 v[101:104], v1 offset:736
	v_fma_f64 v[107:108], v[107:108], v[6:7], v[109:110]
	v_fma_f64 v[6:7], v[105:106], v[6:7], -v[8:9]
	s_waitcnt vmcnt(3) lgkmcnt(1)
	v_mul_f64 v[113:114], v[2:3], v[13:14]
	v_mul_f64 v[13:14], v[4:5], v[13:14]
	s_waitcnt vmcnt(2) lgkmcnt(0)
	v_mul_f64 v[105:106], v[101:102], v[91:92]
	v_mul_f64 v[91:92], v[103:104], v[91:92]
	v_add_f64 v[8:9], v[15:16], 0
	v_add_f64 v[15:16], v[111:112], 0
	v_fma_f64 v[109:110], v[4:5], v[11:12], v[113:114]
	v_fma_f64 v[11:12], v[2:3], v[11:12], -v[13:14]
	ds_load_b128 v[2:5], v1 offset:752
	v_add_f64 v[6:7], v[8:9], v[6:7]
	v_add_f64 v[8:9], v[15:16], v[107:108]
	s_waitcnt vmcnt(1) lgkmcnt(0)
	v_mul_f64 v[13:14], v[2:3], v[95:96]
	v_mul_f64 v[15:16], v[4:5], v[95:96]
	v_fma_f64 v[95:96], v[103:104], v[89:90], v[105:106]
	v_fma_f64 v[89:90], v[101:102], v[89:90], -v[91:92]
	v_add_f64 v[6:7], v[6:7], v[11:12]
	v_add_f64 v[8:9], v[8:9], v[109:110]
	v_fma_f64 v[4:5], v[4:5], v[93:94], v[13:14]
	v_fma_f64 v[2:3], v[2:3], v[93:94], -v[15:16]
	s_delay_alu instid0(VALU_DEP_4) | instskip(NEXT) | instid1(VALU_DEP_4)
	v_add_f64 v[6:7], v[6:7], v[89:90]
	v_add_f64 v[8:9], v[8:9], v[95:96]
	s_delay_alu instid0(VALU_DEP_2) | instskip(NEXT) | instid1(VALU_DEP_2)
	v_add_f64 v[2:3], v[6:7], v[2:3]
	v_add_f64 v[4:5], v[8:9], v[4:5]
	s_waitcnt vmcnt(0)
	s_delay_alu instid0(VALU_DEP_2) | instskip(NEXT) | instid1(VALU_DEP_2)
	v_add_f64 v[2:3], v[97:98], -v[2:3]
	v_add_f64 v[4:5], v[99:100], -v[4:5]
	scratch_store_b128 off, v[2:5], off offset:288
	v_cmpx_lt_u32_e32 17, v65
	s_cbranch_execz .LBB87_123
; %bb.122:
	scratch_load_b128 v[5:8], v85, off
	v_mov_b32_e32 v2, v1
	v_mov_b32_e32 v3, v1
	v_mov_b32_e32 v4, v1
	scratch_store_b128 off, v[1:4], off offset:272
	s_waitcnt vmcnt(0)
	ds_store_b128 v10, v[5:8]
.LBB87_123:
	s_or_b32 exec_lo, exec_lo, s2
	s_waitcnt lgkmcnt(0)
	s_waitcnt_vscnt null, 0x0
	s_barrier
	buffer_gl0_inv
	s_clause 0x5
	scratch_load_b128 v[2:5], off, off offset:288
	scratch_load_b128 v[6:9], off, off offset:304
	;; [unrolled: 1-line block ×6, first 2 shown]
	ds_load_b128 v[101:104], v1 offset:672
	ds_load_b128 v[109:112], v1 offset:688
	scratch_load_b128 v[105:108], off, off offset:272
	s_mov_b32 s2, exec_lo
	s_waitcnt vmcnt(6) lgkmcnt(1)
	v_mul_f64 v[15:16], v[103:104], v[4:5]
	v_mul_f64 v[4:5], v[101:102], v[4:5]
	s_waitcnt vmcnt(5) lgkmcnt(0)
	v_mul_f64 v[113:114], v[109:110], v[8:9]
	v_mul_f64 v[8:9], v[111:112], v[8:9]
	s_delay_alu instid0(VALU_DEP_4) | instskip(NEXT) | instid1(VALU_DEP_4)
	v_fma_f64 v[15:16], v[101:102], v[2:3], -v[15:16]
	v_fma_f64 v[115:116], v[103:104], v[2:3], v[4:5]
	ds_load_b128 v[2:5], v1 offset:704
	ds_load_b128 v[101:104], v1 offset:720
	v_fma_f64 v[111:112], v[111:112], v[6:7], v[113:114]
	v_fma_f64 v[6:7], v[109:110], v[6:7], -v[8:9]
	s_waitcnt vmcnt(4) lgkmcnt(1)
	v_mul_f64 v[117:118], v[2:3], v[13:14]
	v_mul_f64 v[13:14], v[4:5], v[13:14]
	s_waitcnt vmcnt(3) lgkmcnt(0)
	v_mul_f64 v[109:110], v[101:102], v[91:92]
	v_mul_f64 v[91:92], v[103:104], v[91:92]
	v_add_f64 v[8:9], v[15:16], 0
	v_add_f64 v[15:16], v[115:116], 0
	v_fma_f64 v[113:114], v[4:5], v[11:12], v[117:118]
	v_fma_f64 v[11:12], v[2:3], v[11:12], -v[13:14]
	v_fma_f64 v[103:104], v[103:104], v[89:90], v[109:110]
	v_fma_f64 v[89:90], v[101:102], v[89:90], -v[91:92]
	v_add_f64 v[13:14], v[8:9], v[6:7]
	v_add_f64 v[15:16], v[15:16], v[111:112]
	ds_load_b128 v[2:5], v1 offset:736
	ds_load_b128 v[6:9], v1 offset:752
	s_waitcnt vmcnt(2) lgkmcnt(1)
	v_mul_f64 v[111:112], v[2:3], v[95:96]
	v_mul_f64 v[95:96], v[4:5], v[95:96]
	s_waitcnt vmcnt(1) lgkmcnt(0)
	v_mul_f64 v[91:92], v[8:9], v[99:100]
	v_add_f64 v[11:12], v[13:14], v[11:12]
	v_add_f64 v[13:14], v[15:16], v[113:114]
	v_mul_f64 v[15:16], v[6:7], v[99:100]
	v_fma_f64 v[4:5], v[4:5], v[93:94], v[111:112]
	v_fma_f64 v[1:2], v[2:3], v[93:94], -v[95:96]
	v_fma_f64 v[6:7], v[6:7], v[97:98], -v[91:92]
	v_add_f64 v[11:12], v[11:12], v[89:90]
	v_add_f64 v[13:14], v[13:14], v[103:104]
	v_fma_f64 v[8:9], v[8:9], v[97:98], v[15:16]
	s_delay_alu instid0(VALU_DEP_3) | instskip(NEXT) | instid1(VALU_DEP_3)
	v_add_f64 v[1:2], v[11:12], v[1:2]
	v_add_f64 v[3:4], v[13:14], v[4:5]
	s_delay_alu instid0(VALU_DEP_2) | instskip(NEXT) | instid1(VALU_DEP_2)
	v_add_f64 v[1:2], v[1:2], v[6:7]
	v_add_f64 v[3:4], v[3:4], v[8:9]
	s_waitcnt vmcnt(0)
	s_delay_alu instid0(VALU_DEP_2) | instskip(NEXT) | instid1(VALU_DEP_2)
	v_add_f64 v[1:2], v[105:106], -v[1:2]
	v_add_f64 v[3:4], v[107:108], -v[3:4]
	scratch_store_b128 off, v[1:4], off offset:272
	v_cmpx_lt_u32_e32 16, v65
	s_cbranch_execz .LBB87_125
; %bb.124:
	scratch_load_b128 v[1:4], v84, off
	v_mov_b32_e32 v5, 0
	s_delay_alu instid0(VALU_DEP_1)
	v_mov_b32_e32 v6, v5
	v_mov_b32_e32 v7, v5
	;; [unrolled: 1-line block ×3, first 2 shown]
	scratch_store_b128 off, v[5:8], off offset:256
	s_waitcnt vmcnt(0)
	ds_store_b128 v10, v[1:4]
.LBB87_125:
	s_or_b32 exec_lo, exec_lo, s2
	s_waitcnt lgkmcnt(0)
	s_waitcnt_vscnt null, 0x0
	s_barrier
	buffer_gl0_inv
	s_clause 0x6
	scratch_load_b128 v[2:5], off, off offset:272
	scratch_load_b128 v[6:9], off, off offset:288
	;; [unrolled: 1-line block ×7, first 2 shown]
	v_mov_b32_e32 v1, 0
	scratch_load_b128 v[109:112], off, off offset:256
	s_mov_b32 s2, exec_lo
	ds_load_b128 v[105:108], v1 offset:656
	ds_load_b128 v[113:116], v1 offset:672
	s_waitcnt vmcnt(7) lgkmcnt(1)
	v_mul_f64 v[15:16], v[107:108], v[4:5]
	v_mul_f64 v[4:5], v[105:106], v[4:5]
	s_waitcnt vmcnt(6) lgkmcnt(0)
	v_mul_f64 v[117:118], v[113:114], v[8:9]
	v_mul_f64 v[8:9], v[115:116], v[8:9]
	s_delay_alu instid0(VALU_DEP_4) | instskip(NEXT) | instid1(VALU_DEP_4)
	v_fma_f64 v[15:16], v[105:106], v[2:3], -v[15:16]
	v_fma_f64 v[119:120], v[107:108], v[2:3], v[4:5]
	ds_load_b128 v[2:5], v1 offset:688
	ds_load_b128 v[105:108], v1 offset:704
	v_fma_f64 v[115:116], v[115:116], v[6:7], v[117:118]
	v_fma_f64 v[6:7], v[113:114], v[6:7], -v[8:9]
	s_waitcnt vmcnt(5) lgkmcnt(1)
	v_mul_f64 v[121:122], v[2:3], v[13:14]
	v_mul_f64 v[13:14], v[4:5], v[13:14]
	s_waitcnt vmcnt(4) lgkmcnt(0)
	v_mul_f64 v[113:114], v[105:106], v[91:92]
	v_mul_f64 v[91:92], v[107:108], v[91:92]
	v_add_f64 v[8:9], v[15:16], 0
	v_add_f64 v[15:16], v[119:120], 0
	v_fma_f64 v[117:118], v[4:5], v[11:12], v[121:122]
	v_fma_f64 v[11:12], v[2:3], v[11:12], -v[13:14]
	v_fma_f64 v[107:108], v[107:108], v[89:90], v[113:114]
	v_fma_f64 v[89:90], v[105:106], v[89:90], -v[91:92]
	v_add_f64 v[13:14], v[8:9], v[6:7]
	v_add_f64 v[15:16], v[15:16], v[115:116]
	ds_load_b128 v[2:5], v1 offset:720
	ds_load_b128 v[6:9], v1 offset:736
	s_waitcnt vmcnt(3) lgkmcnt(1)
	v_mul_f64 v[115:116], v[2:3], v[95:96]
	v_mul_f64 v[95:96], v[4:5], v[95:96]
	s_waitcnt vmcnt(2) lgkmcnt(0)
	v_mul_f64 v[91:92], v[8:9], v[99:100]
	v_add_f64 v[11:12], v[13:14], v[11:12]
	v_add_f64 v[13:14], v[15:16], v[117:118]
	v_mul_f64 v[15:16], v[6:7], v[99:100]
	v_fma_f64 v[99:100], v[4:5], v[93:94], v[115:116]
	v_fma_f64 v[93:94], v[2:3], v[93:94], -v[95:96]
	ds_load_b128 v[2:5], v1 offset:752
	v_fma_f64 v[6:7], v[6:7], v[97:98], -v[91:92]
	v_add_f64 v[11:12], v[11:12], v[89:90]
	v_add_f64 v[13:14], v[13:14], v[107:108]
	v_fma_f64 v[8:9], v[8:9], v[97:98], v[15:16]
	s_waitcnt vmcnt(1) lgkmcnt(0)
	v_mul_f64 v[89:90], v[2:3], v[103:104]
	v_mul_f64 v[95:96], v[4:5], v[103:104]
	v_add_f64 v[11:12], v[11:12], v[93:94]
	v_add_f64 v[13:14], v[13:14], v[99:100]
	s_delay_alu instid0(VALU_DEP_4) | instskip(NEXT) | instid1(VALU_DEP_4)
	v_fma_f64 v[4:5], v[4:5], v[101:102], v[89:90]
	v_fma_f64 v[2:3], v[2:3], v[101:102], -v[95:96]
	s_delay_alu instid0(VALU_DEP_4) | instskip(NEXT) | instid1(VALU_DEP_4)
	v_add_f64 v[6:7], v[11:12], v[6:7]
	v_add_f64 v[8:9], v[13:14], v[8:9]
	s_delay_alu instid0(VALU_DEP_2) | instskip(NEXT) | instid1(VALU_DEP_2)
	v_add_f64 v[2:3], v[6:7], v[2:3]
	v_add_f64 v[4:5], v[8:9], v[4:5]
	s_waitcnt vmcnt(0)
	s_delay_alu instid0(VALU_DEP_2) | instskip(NEXT) | instid1(VALU_DEP_2)
	v_add_f64 v[2:3], v[109:110], -v[2:3]
	v_add_f64 v[4:5], v[111:112], -v[4:5]
	scratch_store_b128 off, v[2:5], off offset:256
	v_cmpx_lt_u32_e32 15, v65
	s_cbranch_execz .LBB87_127
; %bb.126:
	scratch_load_b128 v[5:8], v86, off
	v_mov_b32_e32 v2, v1
	v_mov_b32_e32 v3, v1
	;; [unrolled: 1-line block ×3, first 2 shown]
	scratch_store_b128 off, v[1:4], off offset:240
	s_waitcnt vmcnt(0)
	ds_store_b128 v10, v[5:8]
.LBB87_127:
	s_or_b32 exec_lo, exec_lo, s2
	s_waitcnt lgkmcnt(0)
	s_waitcnt_vscnt null, 0x0
	s_barrier
	buffer_gl0_inv
	s_clause 0x7
	scratch_load_b128 v[2:5], off, off offset:256
	scratch_load_b128 v[6:9], off, off offset:272
	;; [unrolled: 1-line block ×8, first 2 shown]
	ds_load_b128 v[109:112], v1 offset:640
	ds_load_b128 v[113:116], v1 offset:656
	scratch_load_b128 v[117:120], off, off offset:240
	s_mov_b32 s2, exec_lo
	s_waitcnt vmcnt(8) lgkmcnt(1)
	v_mul_f64 v[15:16], v[111:112], v[4:5]
	v_mul_f64 v[4:5], v[109:110], v[4:5]
	s_waitcnt vmcnt(7) lgkmcnt(0)
	v_mul_f64 v[121:122], v[113:114], v[8:9]
	v_mul_f64 v[8:9], v[115:116], v[8:9]
	s_delay_alu instid0(VALU_DEP_4) | instskip(NEXT) | instid1(VALU_DEP_4)
	v_fma_f64 v[15:16], v[109:110], v[2:3], -v[15:16]
	v_fma_f64 v[123:124], v[111:112], v[2:3], v[4:5]
	ds_load_b128 v[2:5], v1 offset:672
	ds_load_b128 v[109:112], v1 offset:688
	v_fma_f64 v[115:116], v[115:116], v[6:7], v[121:122]
	v_fma_f64 v[6:7], v[113:114], v[6:7], -v[8:9]
	s_waitcnt vmcnt(6) lgkmcnt(1)
	v_mul_f64 v[125:126], v[2:3], v[13:14]
	v_mul_f64 v[13:14], v[4:5], v[13:14]
	s_waitcnt vmcnt(5) lgkmcnt(0)
	v_mul_f64 v[113:114], v[109:110], v[91:92]
	v_mul_f64 v[91:92], v[111:112], v[91:92]
	v_add_f64 v[8:9], v[15:16], 0
	v_add_f64 v[15:16], v[123:124], 0
	v_fma_f64 v[121:122], v[4:5], v[11:12], v[125:126]
	v_fma_f64 v[11:12], v[2:3], v[11:12], -v[13:14]
	v_fma_f64 v[111:112], v[111:112], v[89:90], v[113:114]
	v_fma_f64 v[89:90], v[109:110], v[89:90], -v[91:92]
	v_add_f64 v[13:14], v[8:9], v[6:7]
	v_add_f64 v[15:16], v[15:16], v[115:116]
	ds_load_b128 v[2:5], v1 offset:704
	ds_load_b128 v[6:9], v1 offset:720
	s_waitcnt vmcnt(4) lgkmcnt(1)
	v_mul_f64 v[115:116], v[2:3], v[95:96]
	v_mul_f64 v[95:96], v[4:5], v[95:96]
	s_waitcnt vmcnt(3) lgkmcnt(0)
	v_mul_f64 v[91:92], v[8:9], v[99:100]
	v_add_f64 v[11:12], v[13:14], v[11:12]
	v_add_f64 v[13:14], v[15:16], v[121:122]
	v_mul_f64 v[15:16], v[6:7], v[99:100]
	v_fma_f64 v[99:100], v[4:5], v[93:94], v[115:116]
	v_fma_f64 v[93:94], v[2:3], v[93:94], -v[95:96]
	v_fma_f64 v[6:7], v[6:7], v[97:98], -v[91:92]
	v_add_f64 v[89:90], v[11:12], v[89:90]
	v_add_f64 v[95:96], v[13:14], v[111:112]
	ds_load_b128 v[2:5], v1 offset:736
	ds_load_b128 v[11:14], v1 offset:752
	v_fma_f64 v[8:9], v[8:9], v[97:98], v[15:16]
	s_waitcnt vmcnt(2) lgkmcnt(1)
	v_mul_f64 v[109:110], v[2:3], v[103:104]
	v_mul_f64 v[103:104], v[4:5], v[103:104]
	s_waitcnt vmcnt(1) lgkmcnt(0)
	v_mul_f64 v[91:92], v[11:12], v[107:108]
	v_add_f64 v[15:16], v[89:90], v[93:94]
	v_add_f64 v[89:90], v[95:96], v[99:100]
	v_mul_f64 v[93:94], v[13:14], v[107:108]
	v_fma_f64 v[4:5], v[4:5], v[101:102], v[109:110]
	v_fma_f64 v[1:2], v[2:3], v[101:102], -v[103:104]
	v_fma_f64 v[13:14], v[13:14], v[105:106], v[91:92]
	v_add_f64 v[6:7], v[15:16], v[6:7]
	v_add_f64 v[8:9], v[89:90], v[8:9]
	v_fma_f64 v[11:12], v[11:12], v[105:106], -v[93:94]
	s_delay_alu instid0(VALU_DEP_3) | instskip(NEXT) | instid1(VALU_DEP_3)
	v_add_f64 v[1:2], v[6:7], v[1:2]
	v_add_f64 v[3:4], v[8:9], v[4:5]
	s_delay_alu instid0(VALU_DEP_2) | instskip(NEXT) | instid1(VALU_DEP_2)
	v_add_f64 v[1:2], v[1:2], v[11:12]
	v_add_f64 v[3:4], v[3:4], v[13:14]
	s_waitcnt vmcnt(0)
	s_delay_alu instid0(VALU_DEP_2) | instskip(NEXT) | instid1(VALU_DEP_2)
	v_add_f64 v[1:2], v[117:118], -v[1:2]
	v_add_f64 v[3:4], v[119:120], -v[3:4]
	scratch_store_b128 off, v[1:4], off offset:240
	v_cmpx_lt_u32_e32 14, v65
	s_cbranch_execz .LBB87_129
; %bb.128:
	scratch_load_b128 v[1:4], v77, off
	v_mov_b32_e32 v5, 0
	s_delay_alu instid0(VALU_DEP_1)
	v_mov_b32_e32 v6, v5
	v_mov_b32_e32 v7, v5
	;; [unrolled: 1-line block ×3, first 2 shown]
	scratch_store_b128 off, v[5:8], off offset:224
	s_waitcnt vmcnt(0)
	ds_store_b128 v10, v[1:4]
.LBB87_129:
	s_or_b32 exec_lo, exec_lo, s2
	s_waitcnt lgkmcnt(0)
	s_waitcnt_vscnt null, 0x0
	s_barrier
	buffer_gl0_inv
	s_clause 0x7
	scratch_load_b128 v[2:5], off, off offset:240
	scratch_load_b128 v[6:9], off, off offset:256
	;; [unrolled: 1-line block ×8, first 2 shown]
	v_mov_b32_e32 v1, 0
	s_mov_b32 s2, exec_lo
	ds_load_b128 v[109:112], v1 offset:624
	s_clause 0x1
	scratch_load_b128 v[113:116], off, off offset:368
	scratch_load_b128 v[117:120], off, off offset:224
	ds_load_b128 v[121:124], v1 offset:640
	s_waitcnt vmcnt(9) lgkmcnt(1)
	v_mul_f64 v[15:16], v[111:112], v[4:5]
	v_mul_f64 v[4:5], v[109:110], v[4:5]
	s_waitcnt vmcnt(8) lgkmcnt(0)
	v_mul_f64 v[125:126], v[121:122], v[8:9]
	v_mul_f64 v[8:9], v[123:124], v[8:9]
	s_delay_alu instid0(VALU_DEP_4) | instskip(NEXT) | instid1(VALU_DEP_4)
	v_fma_f64 v[15:16], v[109:110], v[2:3], -v[15:16]
	v_fma_f64 v[127:128], v[111:112], v[2:3], v[4:5]
	ds_load_b128 v[2:5], v1 offset:656
	ds_load_b128 v[109:112], v1 offset:672
	v_fma_f64 v[123:124], v[123:124], v[6:7], v[125:126]
	v_fma_f64 v[6:7], v[121:122], v[6:7], -v[8:9]
	s_waitcnt vmcnt(7) lgkmcnt(1)
	v_mul_f64 v[129:130], v[2:3], v[13:14]
	v_mul_f64 v[13:14], v[4:5], v[13:14]
	s_waitcnt vmcnt(6) lgkmcnt(0)
	v_mul_f64 v[121:122], v[109:110], v[91:92]
	v_mul_f64 v[91:92], v[111:112], v[91:92]
	v_add_f64 v[8:9], v[15:16], 0
	v_add_f64 v[15:16], v[127:128], 0
	v_fma_f64 v[125:126], v[4:5], v[11:12], v[129:130]
	v_fma_f64 v[11:12], v[2:3], v[11:12], -v[13:14]
	v_fma_f64 v[111:112], v[111:112], v[89:90], v[121:122]
	v_fma_f64 v[89:90], v[109:110], v[89:90], -v[91:92]
	v_add_f64 v[13:14], v[8:9], v[6:7]
	v_add_f64 v[15:16], v[15:16], v[123:124]
	ds_load_b128 v[2:5], v1 offset:688
	ds_load_b128 v[6:9], v1 offset:704
	s_waitcnt vmcnt(5) lgkmcnt(1)
	v_mul_f64 v[123:124], v[2:3], v[95:96]
	v_mul_f64 v[95:96], v[4:5], v[95:96]
	s_waitcnt vmcnt(4) lgkmcnt(0)
	v_mul_f64 v[91:92], v[8:9], v[99:100]
	v_add_f64 v[11:12], v[13:14], v[11:12]
	v_add_f64 v[13:14], v[15:16], v[125:126]
	v_mul_f64 v[15:16], v[6:7], v[99:100]
	v_fma_f64 v[99:100], v[4:5], v[93:94], v[123:124]
	v_fma_f64 v[93:94], v[2:3], v[93:94], -v[95:96]
	v_fma_f64 v[6:7], v[6:7], v[97:98], -v[91:92]
	v_add_f64 v[89:90], v[11:12], v[89:90]
	v_add_f64 v[95:96], v[13:14], v[111:112]
	ds_load_b128 v[2:5], v1 offset:720
	ds_load_b128 v[11:14], v1 offset:736
	v_fma_f64 v[8:9], v[8:9], v[97:98], v[15:16]
	s_waitcnt vmcnt(3) lgkmcnt(1)
	v_mul_f64 v[109:110], v[2:3], v[103:104]
	v_mul_f64 v[103:104], v[4:5], v[103:104]
	s_waitcnt vmcnt(2) lgkmcnt(0)
	v_mul_f64 v[91:92], v[11:12], v[107:108]
	v_add_f64 v[15:16], v[89:90], v[93:94]
	v_add_f64 v[89:90], v[95:96], v[99:100]
	v_mul_f64 v[93:94], v[13:14], v[107:108]
	v_fma_f64 v[95:96], v[4:5], v[101:102], v[109:110]
	v_fma_f64 v[97:98], v[2:3], v[101:102], -v[103:104]
	ds_load_b128 v[2:5], v1 offset:752
	v_fma_f64 v[13:14], v[13:14], v[105:106], v[91:92]
	v_add_f64 v[6:7], v[15:16], v[6:7]
	v_add_f64 v[8:9], v[89:90], v[8:9]
	v_fma_f64 v[11:12], v[11:12], v[105:106], -v[93:94]
	s_waitcnt vmcnt(1) lgkmcnt(0)
	v_mul_f64 v[15:16], v[2:3], v[115:116]
	v_mul_f64 v[89:90], v[4:5], v[115:116]
	v_add_f64 v[6:7], v[6:7], v[97:98]
	v_add_f64 v[8:9], v[8:9], v[95:96]
	s_delay_alu instid0(VALU_DEP_4) | instskip(NEXT) | instid1(VALU_DEP_4)
	v_fma_f64 v[4:5], v[4:5], v[113:114], v[15:16]
	v_fma_f64 v[2:3], v[2:3], v[113:114], -v[89:90]
	s_delay_alu instid0(VALU_DEP_4) | instskip(NEXT) | instid1(VALU_DEP_4)
	v_add_f64 v[6:7], v[6:7], v[11:12]
	v_add_f64 v[8:9], v[8:9], v[13:14]
	s_delay_alu instid0(VALU_DEP_2) | instskip(NEXT) | instid1(VALU_DEP_2)
	v_add_f64 v[2:3], v[6:7], v[2:3]
	v_add_f64 v[4:5], v[8:9], v[4:5]
	s_waitcnt vmcnt(0)
	s_delay_alu instid0(VALU_DEP_2) | instskip(NEXT) | instid1(VALU_DEP_2)
	v_add_f64 v[2:3], v[117:118], -v[2:3]
	v_add_f64 v[4:5], v[119:120], -v[4:5]
	scratch_store_b128 off, v[2:5], off offset:224
	v_cmpx_lt_u32_e32 13, v65
	s_cbranch_execz .LBB87_131
; %bb.130:
	scratch_load_b128 v[5:8], v82, off
	v_mov_b32_e32 v2, v1
	v_mov_b32_e32 v3, v1
	;; [unrolled: 1-line block ×3, first 2 shown]
	scratch_store_b128 off, v[1:4], off offset:208
	s_waitcnt vmcnt(0)
	ds_store_b128 v10, v[5:8]
.LBB87_131:
	s_or_b32 exec_lo, exec_lo, s2
	s_waitcnt lgkmcnt(0)
	s_waitcnt_vscnt null, 0x0
	s_barrier
	buffer_gl0_inv
	s_clause 0x8
	scratch_load_b128 v[2:5], off, off offset:224
	scratch_load_b128 v[6:9], off, off offset:240
	;; [unrolled: 1-line block ×9, first 2 shown]
	ds_load_b128 v[113:116], v1 offset:608
	ds_load_b128 v[117:120], v1 offset:624
	s_clause 0x1
	scratch_load_b128 v[121:124], off, off offset:208
	scratch_load_b128 v[125:128], off, off offset:368
	s_mov_b32 s2, exec_lo
	s_waitcnt vmcnt(10) lgkmcnt(1)
	v_mul_f64 v[15:16], v[115:116], v[4:5]
	v_mul_f64 v[4:5], v[113:114], v[4:5]
	s_waitcnt vmcnt(9) lgkmcnt(0)
	v_mul_f64 v[129:130], v[117:118], v[8:9]
	v_mul_f64 v[8:9], v[119:120], v[8:9]
	s_delay_alu instid0(VALU_DEP_4) | instskip(NEXT) | instid1(VALU_DEP_4)
	v_fma_f64 v[15:16], v[113:114], v[2:3], -v[15:16]
	v_fma_f64 v[131:132], v[115:116], v[2:3], v[4:5]
	ds_load_b128 v[2:5], v1 offset:640
	ds_load_b128 v[113:116], v1 offset:656
	v_fma_f64 v[119:120], v[119:120], v[6:7], v[129:130]
	v_fma_f64 v[6:7], v[117:118], v[6:7], -v[8:9]
	s_waitcnt vmcnt(8) lgkmcnt(1)
	v_mul_f64 v[133:134], v[2:3], v[13:14]
	v_mul_f64 v[13:14], v[4:5], v[13:14]
	s_waitcnt vmcnt(7) lgkmcnt(0)
	v_mul_f64 v[117:118], v[113:114], v[91:92]
	v_mul_f64 v[91:92], v[115:116], v[91:92]
	v_add_f64 v[8:9], v[15:16], 0
	v_add_f64 v[15:16], v[131:132], 0
	v_fma_f64 v[129:130], v[4:5], v[11:12], v[133:134]
	v_fma_f64 v[11:12], v[2:3], v[11:12], -v[13:14]
	v_fma_f64 v[115:116], v[115:116], v[89:90], v[117:118]
	v_fma_f64 v[89:90], v[113:114], v[89:90], -v[91:92]
	v_add_f64 v[13:14], v[8:9], v[6:7]
	v_add_f64 v[15:16], v[15:16], v[119:120]
	ds_load_b128 v[2:5], v1 offset:672
	ds_load_b128 v[6:9], v1 offset:688
	s_waitcnt vmcnt(6) lgkmcnt(1)
	v_mul_f64 v[119:120], v[2:3], v[95:96]
	v_mul_f64 v[95:96], v[4:5], v[95:96]
	s_waitcnt vmcnt(5) lgkmcnt(0)
	v_mul_f64 v[91:92], v[8:9], v[99:100]
	v_add_f64 v[11:12], v[13:14], v[11:12]
	v_add_f64 v[13:14], v[15:16], v[129:130]
	v_mul_f64 v[15:16], v[6:7], v[99:100]
	v_fma_f64 v[99:100], v[4:5], v[93:94], v[119:120]
	v_fma_f64 v[93:94], v[2:3], v[93:94], -v[95:96]
	v_fma_f64 v[6:7], v[6:7], v[97:98], -v[91:92]
	v_add_f64 v[89:90], v[11:12], v[89:90]
	v_add_f64 v[95:96], v[13:14], v[115:116]
	ds_load_b128 v[2:5], v1 offset:704
	ds_load_b128 v[11:14], v1 offset:720
	v_fma_f64 v[8:9], v[8:9], v[97:98], v[15:16]
	s_waitcnt vmcnt(4) lgkmcnt(1)
	v_mul_f64 v[113:114], v[2:3], v[103:104]
	v_mul_f64 v[103:104], v[4:5], v[103:104]
	s_waitcnt vmcnt(3) lgkmcnt(0)
	v_mul_f64 v[91:92], v[11:12], v[107:108]
	v_add_f64 v[15:16], v[89:90], v[93:94]
	v_add_f64 v[89:90], v[95:96], v[99:100]
	v_mul_f64 v[93:94], v[13:14], v[107:108]
	v_fma_f64 v[95:96], v[4:5], v[101:102], v[113:114]
	v_fma_f64 v[97:98], v[2:3], v[101:102], -v[103:104]
	v_fma_f64 v[13:14], v[13:14], v[105:106], v[91:92]
	v_add_f64 v[15:16], v[15:16], v[6:7]
	v_add_f64 v[89:90], v[89:90], v[8:9]
	ds_load_b128 v[2:5], v1 offset:736
	ds_load_b128 v[6:9], v1 offset:752
	v_fma_f64 v[11:12], v[11:12], v[105:106], -v[93:94]
	s_waitcnt vmcnt(2) lgkmcnt(1)
	v_mul_f64 v[99:100], v[2:3], v[111:112]
	v_mul_f64 v[101:102], v[4:5], v[111:112]
	s_waitcnt vmcnt(0) lgkmcnt(0)
	v_mul_f64 v[91:92], v[6:7], v[127:128]
	v_mul_f64 v[93:94], v[8:9], v[127:128]
	v_add_f64 v[15:16], v[15:16], v[97:98]
	v_add_f64 v[89:90], v[89:90], v[95:96]
	v_fma_f64 v[4:5], v[4:5], v[109:110], v[99:100]
	v_fma_f64 v[1:2], v[2:3], v[109:110], -v[101:102]
	v_fma_f64 v[8:9], v[8:9], v[125:126], v[91:92]
	v_fma_f64 v[6:7], v[6:7], v[125:126], -v[93:94]
	v_add_f64 v[11:12], v[15:16], v[11:12]
	v_add_f64 v[13:14], v[89:90], v[13:14]
	s_delay_alu instid0(VALU_DEP_2) | instskip(NEXT) | instid1(VALU_DEP_2)
	v_add_f64 v[1:2], v[11:12], v[1:2]
	v_add_f64 v[3:4], v[13:14], v[4:5]
	s_delay_alu instid0(VALU_DEP_2) | instskip(NEXT) | instid1(VALU_DEP_2)
	;; [unrolled: 3-line block ×3, first 2 shown]
	v_add_f64 v[1:2], v[121:122], -v[1:2]
	v_add_f64 v[3:4], v[123:124], -v[3:4]
	scratch_store_b128 off, v[1:4], off offset:208
	v_cmpx_lt_u32_e32 12, v65
	s_cbranch_execz .LBB87_133
; %bb.132:
	scratch_load_b128 v[1:4], v78, off
	v_mov_b32_e32 v5, 0
	s_delay_alu instid0(VALU_DEP_1)
	v_mov_b32_e32 v6, v5
	v_mov_b32_e32 v7, v5
	;; [unrolled: 1-line block ×3, first 2 shown]
	scratch_store_b128 off, v[5:8], off offset:192
	s_waitcnt vmcnt(0)
	ds_store_b128 v10, v[1:4]
.LBB87_133:
	s_or_b32 exec_lo, exec_lo, s2
	s_waitcnt lgkmcnt(0)
	s_waitcnt_vscnt null, 0x0
	s_barrier
	buffer_gl0_inv
	s_clause 0x7
	scratch_load_b128 v[2:5], off, off offset:208
	scratch_load_b128 v[6:9], off, off offset:224
	;; [unrolled: 1-line block ×8, first 2 shown]
	v_mov_b32_e32 v1, 0
	s_mov_b32 s2, exec_lo
	ds_load_b128 v[109:112], v1 offset:592
	s_clause 0x1
	scratch_load_b128 v[113:116], off, off offset:336
	scratch_load_b128 v[117:120], off, off offset:192
	ds_load_b128 v[121:124], v1 offset:608
	scratch_load_b128 v[125:128], off, off offset:352
	ds_load_b128 v[129:132], v1 offset:640
	s_waitcnt vmcnt(10) lgkmcnt(2)
	v_mul_f64 v[15:16], v[111:112], v[4:5]
	v_mul_f64 v[4:5], v[109:110], v[4:5]
	s_delay_alu instid0(VALU_DEP_2) | instskip(NEXT) | instid1(VALU_DEP_2)
	v_fma_f64 v[15:16], v[109:110], v[2:3], -v[15:16]
	v_fma_f64 v[135:136], v[111:112], v[2:3], v[4:5]
	scratch_load_b128 v[109:112], off, off offset:368
	ds_load_b128 v[2:5], v1 offset:624
	s_waitcnt vmcnt(10) lgkmcnt(2)
	v_mul_f64 v[133:134], v[121:122], v[8:9]
	v_mul_f64 v[8:9], v[123:124], v[8:9]
	s_waitcnt vmcnt(9) lgkmcnt(0)
	v_mul_f64 v[137:138], v[2:3], v[13:14]
	v_mul_f64 v[13:14], v[4:5], v[13:14]
	s_delay_alu instid0(VALU_DEP_4) | instskip(NEXT) | instid1(VALU_DEP_4)
	v_fma_f64 v[123:124], v[123:124], v[6:7], v[133:134]
	v_fma_f64 v[6:7], v[121:122], v[6:7], -v[8:9]
	v_add_f64 v[8:9], v[15:16], 0
	v_add_f64 v[15:16], v[135:136], 0
	s_waitcnt vmcnt(8)
	v_mul_f64 v[121:122], v[129:130], v[91:92]
	v_mul_f64 v[91:92], v[131:132], v[91:92]
	v_fma_f64 v[133:134], v[4:5], v[11:12], v[137:138]
	v_fma_f64 v[11:12], v[2:3], v[11:12], -v[13:14]
	v_add_f64 v[13:14], v[8:9], v[6:7]
	v_add_f64 v[15:16], v[15:16], v[123:124]
	ds_load_b128 v[2:5], v1 offset:656
	ds_load_b128 v[6:9], v1 offset:672
	v_fma_f64 v[121:122], v[131:132], v[89:90], v[121:122]
	v_fma_f64 v[89:90], v[129:130], v[89:90], -v[91:92]
	s_waitcnt vmcnt(7) lgkmcnt(1)
	v_mul_f64 v[123:124], v[2:3], v[95:96]
	v_mul_f64 v[95:96], v[4:5], v[95:96]
	s_waitcnt vmcnt(6) lgkmcnt(0)
	v_mul_f64 v[91:92], v[8:9], v[99:100]
	v_add_f64 v[11:12], v[13:14], v[11:12]
	v_add_f64 v[13:14], v[15:16], v[133:134]
	v_mul_f64 v[15:16], v[6:7], v[99:100]
	v_fma_f64 v[99:100], v[4:5], v[93:94], v[123:124]
	v_fma_f64 v[93:94], v[2:3], v[93:94], -v[95:96]
	v_fma_f64 v[6:7], v[6:7], v[97:98], -v[91:92]
	v_add_f64 v[89:90], v[11:12], v[89:90]
	v_add_f64 v[95:96], v[13:14], v[121:122]
	ds_load_b128 v[2:5], v1 offset:688
	ds_load_b128 v[11:14], v1 offset:704
	v_fma_f64 v[8:9], v[8:9], v[97:98], v[15:16]
	s_waitcnt vmcnt(5) lgkmcnt(1)
	v_mul_f64 v[121:122], v[2:3], v[103:104]
	v_mul_f64 v[103:104], v[4:5], v[103:104]
	s_waitcnt vmcnt(4) lgkmcnt(0)
	v_mul_f64 v[91:92], v[11:12], v[107:108]
	v_add_f64 v[15:16], v[89:90], v[93:94]
	v_add_f64 v[89:90], v[95:96], v[99:100]
	v_mul_f64 v[93:94], v[13:14], v[107:108]
	v_fma_f64 v[95:96], v[4:5], v[101:102], v[121:122]
	v_fma_f64 v[97:98], v[2:3], v[101:102], -v[103:104]
	v_fma_f64 v[13:14], v[13:14], v[105:106], v[91:92]
	v_add_f64 v[15:16], v[15:16], v[6:7]
	v_add_f64 v[89:90], v[89:90], v[8:9]
	ds_load_b128 v[2:5], v1 offset:720
	ds_load_b128 v[6:9], v1 offset:736
	v_fma_f64 v[11:12], v[11:12], v[105:106], -v[93:94]
	s_waitcnt vmcnt(3) lgkmcnt(1)
	v_mul_f64 v[99:100], v[2:3], v[115:116]
	v_mul_f64 v[101:102], v[4:5], v[115:116]
	s_waitcnt vmcnt(1) lgkmcnt(0)
	v_mul_f64 v[91:92], v[6:7], v[127:128]
	v_mul_f64 v[93:94], v[8:9], v[127:128]
	v_add_f64 v[15:16], v[15:16], v[97:98]
	v_add_f64 v[89:90], v[89:90], v[95:96]
	v_fma_f64 v[95:96], v[4:5], v[113:114], v[99:100]
	v_fma_f64 v[97:98], v[2:3], v[113:114], -v[101:102]
	ds_load_b128 v[2:5], v1 offset:752
	v_fma_f64 v[8:9], v[8:9], v[125:126], v[91:92]
	v_fma_f64 v[6:7], v[6:7], v[125:126], -v[93:94]
	v_add_f64 v[11:12], v[15:16], v[11:12]
	v_add_f64 v[13:14], v[89:90], v[13:14]
	s_waitcnt vmcnt(0) lgkmcnt(0)
	v_mul_f64 v[15:16], v[2:3], v[111:112]
	v_mul_f64 v[89:90], v[4:5], v[111:112]
	s_delay_alu instid0(VALU_DEP_4) | instskip(NEXT) | instid1(VALU_DEP_4)
	v_add_f64 v[11:12], v[11:12], v[97:98]
	v_add_f64 v[13:14], v[13:14], v[95:96]
	s_delay_alu instid0(VALU_DEP_4) | instskip(NEXT) | instid1(VALU_DEP_4)
	v_fma_f64 v[4:5], v[4:5], v[109:110], v[15:16]
	v_fma_f64 v[2:3], v[2:3], v[109:110], -v[89:90]
	s_delay_alu instid0(VALU_DEP_4) | instskip(NEXT) | instid1(VALU_DEP_4)
	v_add_f64 v[6:7], v[11:12], v[6:7]
	v_add_f64 v[8:9], v[13:14], v[8:9]
	s_delay_alu instid0(VALU_DEP_2) | instskip(NEXT) | instid1(VALU_DEP_2)
	v_add_f64 v[2:3], v[6:7], v[2:3]
	v_add_f64 v[4:5], v[8:9], v[4:5]
	s_delay_alu instid0(VALU_DEP_2) | instskip(NEXT) | instid1(VALU_DEP_2)
	v_add_f64 v[2:3], v[117:118], -v[2:3]
	v_add_f64 v[4:5], v[119:120], -v[4:5]
	scratch_store_b128 off, v[2:5], off offset:192
	v_cmpx_lt_u32_e32 11, v65
	s_cbranch_execz .LBB87_135
; %bb.134:
	scratch_load_b128 v[5:8], v83, off
	v_mov_b32_e32 v2, v1
	v_mov_b32_e32 v3, v1
	;; [unrolled: 1-line block ×3, first 2 shown]
	scratch_store_b128 off, v[1:4], off offset:176
	s_waitcnt vmcnt(0)
	ds_store_b128 v10, v[5:8]
.LBB87_135:
	s_or_b32 exec_lo, exec_lo, s2
	s_waitcnt lgkmcnt(0)
	s_waitcnt_vscnt null, 0x0
	s_barrier
	buffer_gl0_inv
	s_clause 0x8
	scratch_load_b128 v[2:5], off, off offset:192
	scratch_load_b128 v[6:9], off, off offset:208
	;; [unrolled: 1-line block ×9, first 2 shown]
	ds_load_b128 v[113:116], v1 offset:576
	ds_load_b128 v[117:120], v1 offset:592
	s_clause 0x1
	scratch_load_b128 v[121:124], off, off offset:176
	scratch_load_b128 v[125:128], off, off offset:336
	s_mov_b32 s2, exec_lo
	ds_load_b128 v[129:132], v1 offset:624
	s_waitcnt vmcnt(10) lgkmcnt(2)
	v_mul_f64 v[15:16], v[115:116], v[4:5]
	v_mul_f64 v[4:5], v[113:114], v[4:5]
	s_waitcnt vmcnt(9) lgkmcnt(1)
	v_mul_f64 v[133:134], v[117:118], v[8:9]
	v_mul_f64 v[8:9], v[119:120], v[8:9]
	s_delay_alu instid0(VALU_DEP_4) | instskip(NEXT) | instid1(VALU_DEP_4)
	v_fma_f64 v[15:16], v[113:114], v[2:3], -v[15:16]
	v_fma_f64 v[135:136], v[115:116], v[2:3], v[4:5]
	ds_load_b128 v[2:5], v1 offset:608
	scratch_load_b128 v[113:116], off, off offset:352
	v_fma_f64 v[119:120], v[119:120], v[6:7], v[133:134]
	v_fma_f64 v[117:118], v[117:118], v[6:7], -v[8:9]
	scratch_load_b128 v[6:9], off, off offset:368
	s_waitcnt vmcnt(10) lgkmcnt(0)
	v_mul_f64 v[137:138], v[2:3], v[13:14]
	v_mul_f64 v[13:14], v[4:5], v[13:14]
	v_add_f64 v[15:16], v[15:16], 0
	v_add_f64 v[133:134], v[135:136], 0
	s_waitcnt vmcnt(9)
	v_mul_f64 v[135:136], v[129:130], v[91:92]
	v_mul_f64 v[91:92], v[131:132], v[91:92]
	v_fma_f64 v[137:138], v[4:5], v[11:12], v[137:138]
	v_fma_f64 v[139:140], v[2:3], v[11:12], -v[13:14]
	ds_load_b128 v[2:5], v1 offset:640
	ds_load_b128 v[11:14], v1 offset:656
	v_add_f64 v[15:16], v[15:16], v[117:118]
	v_add_f64 v[117:118], v[133:134], v[119:120]
	v_fma_f64 v[131:132], v[131:132], v[89:90], v[135:136]
	v_fma_f64 v[89:90], v[129:130], v[89:90], -v[91:92]
	s_waitcnt vmcnt(8) lgkmcnt(1)
	v_mul_f64 v[119:120], v[2:3], v[95:96]
	v_mul_f64 v[95:96], v[4:5], v[95:96]
	v_add_f64 v[15:16], v[15:16], v[139:140]
	v_add_f64 v[91:92], v[117:118], v[137:138]
	s_waitcnt vmcnt(7) lgkmcnt(0)
	v_mul_f64 v[117:118], v[11:12], v[99:100]
	v_mul_f64 v[99:100], v[13:14], v[99:100]
	v_fma_f64 v[119:120], v[4:5], v[93:94], v[119:120]
	v_fma_f64 v[93:94], v[2:3], v[93:94], -v[95:96]
	v_add_f64 v[15:16], v[15:16], v[89:90]
	v_add_f64 v[95:96], v[91:92], v[131:132]
	ds_load_b128 v[2:5], v1 offset:672
	ds_load_b128 v[89:92], v1 offset:688
	v_fma_f64 v[13:14], v[13:14], v[97:98], v[117:118]
	v_fma_f64 v[11:12], v[11:12], v[97:98], -v[99:100]
	s_waitcnt vmcnt(6) lgkmcnt(1)
	v_mul_f64 v[129:130], v[2:3], v[103:104]
	v_mul_f64 v[103:104], v[4:5], v[103:104]
	s_waitcnt vmcnt(5) lgkmcnt(0)
	v_mul_f64 v[97:98], v[91:92], v[107:108]
	v_add_f64 v[15:16], v[15:16], v[93:94]
	v_add_f64 v[93:94], v[95:96], v[119:120]
	v_mul_f64 v[95:96], v[89:90], v[107:108]
	v_fma_f64 v[99:100], v[4:5], v[101:102], v[129:130]
	v_fma_f64 v[101:102], v[2:3], v[101:102], -v[103:104]
	v_fma_f64 v[89:90], v[89:90], v[105:106], -v[97:98]
	v_add_f64 v[15:16], v[15:16], v[11:12]
	v_add_f64 v[93:94], v[93:94], v[13:14]
	ds_load_b128 v[2:5], v1 offset:704
	ds_load_b128 v[11:14], v1 offset:720
	v_fma_f64 v[91:92], v[91:92], v[105:106], v[95:96]
	s_waitcnt vmcnt(4) lgkmcnt(1)
	v_mul_f64 v[103:104], v[2:3], v[111:112]
	v_mul_f64 v[107:108], v[4:5], v[111:112]
	s_waitcnt vmcnt(2) lgkmcnt(0)
	v_mul_f64 v[95:96], v[11:12], v[127:128]
	v_mul_f64 v[97:98], v[13:14], v[127:128]
	v_add_f64 v[15:16], v[15:16], v[101:102]
	v_add_f64 v[93:94], v[93:94], v[99:100]
	v_fma_f64 v[99:100], v[4:5], v[109:110], v[103:104]
	v_fma_f64 v[101:102], v[2:3], v[109:110], -v[107:108]
	v_fma_f64 v[13:14], v[13:14], v[125:126], v[95:96]
	v_fma_f64 v[11:12], v[11:12], v[125:126], -v[97:98]
	v_add_f64 v[15:16], v[15:16], v[89:90]
	v_add_f64 v[93:94], v[93:94], v[91:92]
	ds_load_b128 v[2:5], v1 offset:736
	ds_load_b128 v[89:92], v1 offset:752
	s_waitcnt vmcnt(1) lgkmcnt(1)
	v_mul_f64 v[103:104], v[2:3], v[115:116]
	v_mul_f64 v[105:106], v[4:5], v[115:116]
	s_waitcnt vmcnt(0) lgkmcnt(0)
	v_mul_f64 v[95:96], v[89:90], v[8:9]
	v_mul_f64 v[8:9], v[91:92], v[8:9]
	v_add_f64 v[15:16], v[15:16], v[101:102]
	v_add_f64 v[93:94], v[93:94], v[99:100]
	v_fma_f64 v[4:5], v[4:5], v[113:114], v[103:104]
	v_fma_f64 v[1:2], v[2:3], v[113:114], -v[105:106]
	s_delay_alu instid0(VALU_DEP_4) | instskip(NEXT) | instid1(VALU_DEP_4)
	v_add_f64 v[11:12], v[15:16], v[11:12]
	v_add_f64 v[13:14], v[93:94], v[13:14]
	v_fma_f64 v[15:16], v[91:92], v[6:7], v[95:96]
	v_fma_f64 v[6:7], v[89:90], v[6:7], -v[8:9]
	s_delay_alu instid0(VALU_DEP_4) | instskip(NEXT) | instid1(VALU_DEP_4)
	v_add_f64 v[1:2], v[11:12], v[1:2]
	v_add_f64 v[3:4], v[13:14], v[4:5]
	s_delay_alu instid0(VALU_DEP_2) | instskip(NEXT) | instid1(VALU_DEP_2)
	v_add_f64 v[1:2], v[1:2], v[6:7]
	v_add_f64 v[3:4], v[3:4], v[15:16]
	s_delay_alu instid0(VALU_DEP_2) | instskip(NEXT) | instid1(VALU_DEP_2)
	v_add_f64 v[1:2], v[121:122], -v[1:2]
	v_add_f64 v[3:4], v[123:124], -v[3:4]
	scratch_store_b128 off, v[1:4], off offset:176
	v_cmpx_lt_u32_e32 10, v65
	s_cbranch_execz .LBB87_137
; %bb.136:
	scratch_load_b128 v[1:4], v75, off
	v_mov_b32_e32 v5, 0
	s_delay_alu instid0(VALU_DEP_1)
	v_mov_b32_e32 v6, v5
	v_mov_b32_e32 v7, v5
	v_mov_b32_e32 v8, v5
	scratch_store_b128 off, v[5:8], off offset:160
	s_waitcnt vmcnt(0)
	ds_store_b128 v10, v[1:4]
.LBB87_137:
	s_or_b32 exec_lo, exec_lo, s2
	s_waitcnt lgkmcnt(0)
	s_waitcnt_vscnt null, 0x0
	s_barrier
	buffer_gl0_inv
	s_clause 0x7
	scratch_load_b128 v[2:5], off, off offset:176
	scratch_load_b128 v[6:9], off, off offset:192
	;; [unrolled: 1-line block ×8, first 2 shown]
	v_mov_b32_e32 v1, 0
	s_clause 0x1
	scratch_load_b128 v[113:116], off, off offset:304
	scratch_load_b128 v[121:124], off, off offset:320
	s_mov_b32 s2, exec_lo
	ds_load_b128 v[109:112], v1 offset:560
	ds_load_b128 v[117:120], v1 offset:576
	s_waitcnt vmcnt(9) lgkmcnt(1)
	v_mul_f64 v[15:16], v[111:112], v[4:5]
	v_mul_f64 v[4:5], v[109:110], v[4:5]
	s_waitcnt vmcnt(8) lgkmcnt(0)
	v_mul_f64 v[125:126], v[117:118], v[8:9]
	v_mul_f64 v[8:9], v[119:120], v[8:9]
	s_delay_alu instid0(VALU_DEP_4) | instskip(NEXT) | instid1(VALU_DEP_4)
	v_fma_f64 v[15:16], v[109:110], v[2:3], -v[15:16]
	v_fma_f64 v[127:128], v[111:112], v[2:3], v[4:5]
	ds_load_b128 v[2:5], v1 offset:592
	scratch_load_b128 v[109:112], off, off offset:336
	v_fma_f64 v[119:120], v[119:120], v[6:7], v[125:126]
	v_fma_f64 v[117:118], v[117:118], v[6:7], -v[8:9]
	ds_load_b128 v[6:9], v1 offset:608
	s_waitcnt vmcnt(8) lgkmcnt(1)
	v_mul_f64 v[129:130], v[2:3], v[13:14]
	v_mul_f64 v[131:132], v[4:5], v[13:14]
	s_waitcnt vmcnt(7) lgkmcnt(0)
	v_mul_f64 v[133:134], v[6:7], v[91:92]
	v_mul_f64 v[91:92], v[8:9], v[91:92]
	v_add_f64 v[125:126], v[15:16], 0
	v_add_f64 v[127:128], v[127:128], 0
	scratch_load_b128 v[13:16], off, off offset:352
	v_fma_f64 v[129:130], v[4:5], v[11:12], v[129:130]
	v_fma_f64 v[11:12], v[2:3], v[11:12], -v[131:132]
	ds_load_b128 v[2:5], v1 offset:624
	v_fma_f64 v[133:134], v[8:9], v[89:90], v[133:134]
	v_fma_f64 v[89:90], v[6:7], v[89:90], -v[91:92]
	ds_load_b128 v[6:9], v1 offset:640
	v_add_f64 v[125:126], v[125:126], v[117:118]
	v_add_f64 v[127:128], v[127:128], v[119:120]
	scratch_load_b128 v[117:120], off, off offset:368
	s_waitcnt vmcnt(8) lgkmcnt(1)
	v_mul_f64 v[131:132], v[2:3], v[95:96]
	v_mul_f64 v[95:96], v[4:5], v[95:96]
	v_add_f64 v[11:12], v[125:126], v[11:12]
	v_add_f64 v[91:92], v[127:128], v[129:130]
	s_waitcnt vmcnt(7) lgkmcnt(0)
	v_mul_f64 v[125:126], v[6:7], v[99:100]
	v_mul_f64 v[99:100], v[8:9], v[99:100]
	v_fma_f64 v[127:128], v[4:5], v[93:94], v[131:132]
	v_fma_f64 v[93:94], v[2:3], v[93:94], -v[95:96]
	ds_load_b128 v[2:5], v1 offset:656
	v_add_f64 v[11:12], v[11:12], v[89:90]
	v_add_f64 v[89:90], v[91:92], v[133:134]
	v_fma_f64 v[125:126], v[8:9], v[97:98], v[125:126]
	v_fma_f64 v[97:98], v[6:7], v[97:98], -v[99:100]
	ds_load_b128 v[6:9], v1 offset:672
	s_waitcnt vmcnt(6) lgkmcnt(1)
	v_mul_f64 v[95:96], v[2:3], v[103:104]
	v_mul_f64 v[103:104], v[4:5], v[103:104]
	s_waitcnt vmcnt(5) lgkmcnt(0)
	v_mul_f64 v[99:100], v[6:7], v[107:108]
	v_mul_f64 v[107:108], v[8:9], v[107:108]
	v_add_f64 v[11:12], v[11:12], v[93:94]
	v_add_f64 v[93:94], v[89:90], v[127:128]
	scratch_load_b128 v[89:92], off, off offset:160
	v_fma_f64 v[95:96], v[4:5], v[101:102], v[95:96]
	v_fma_f64 v[101:102], v[2:3], v[101:102], -v[103:104]
	ds_load_b128 v[2:5], v1 offset:688
	v_fma_f64 v[99:100], v[8:9], v[105:106], v[99:100]
	v_fma_f64 v[105:106], v[6:7], v[105:106], -v[107:108]
	ds_load_b128 v[6:9], v1 offset:704
	s_waitcnt vmcnt(5) lgkmcnt(1)
	v_mul_f64 v[103:104], v[4:5], v[115:116]
	v_add_f64 v[11:12], v[11:12], v[97:98]
	v_add_f64 v[93:94], v[93:94], v[125:126]
	v_mul_f64 v[97:98], v[2:3], v[115:116]
	s_delay_alu instid0(VALU_DEP_4) | instskip(NEXT) | instid1(VALU_DEP_4)
	v_fma_f64 v[103:104], v[2:3], v[113:114], -v[103:104]
	v_add_f64 v[11:12], v[11:12], v[101:102]
	s_delay_alu instid0(VALU_DEP_4)
	v_add_f64 v[93:94], v[93:94], v[95:96]
	s_waitcnt vmcnt(4) lgkmcnt(0)
	v_mul_f64 v[95:96], v[6:7], v[123:124]
	v_mul_f64 v[101:102], v[8:9], v[123:124]
	v_fma_f64 v[97:98], v[4:5], v[113:114], v[97:98]
	ds_load_b128 v[2:5], v1 offset:720
	v_add_f64 v[11:12], v[11:12], v[105:106]
	v_add_f64 v[93:94], v[93:94], v[99:100]
	v_fma_f64 v[95:96], v[8:9], v[121:122], v[95:96]
	v_fma_f64 v[101:102], v[6:7], v[121:122], -v[101:102]
	ds_load_b128 v[6:9], v1 offset:736
	s_waitcnt vmcnt(3) lgkmcnt(1)
	v_mul_f64 v[99:100], v[2:3], v[111:112]
	v_mul_f64 v[105:106], v[4:5], v[111:112]
	v_add_f64 v[11:12], v[11:12], v[103:104]
	v_add_f64 v[93:94], v[93:94], v[97:98]
	s_waitcnt vmcnt(2) lgkmcnt(0)
	v_mul_f64 v[97:98], v[6:7], v[15:16]
	v_mul_f64 v[15:16], v[8:9], v[15:16]
	v_fma_f64 v[99:100], v[4:5], v[109:110], v[99:100]
	v_fma_f64 v[103:104], v[2:3], v[109:110], -v[105:106]
	ds_load_b128 v[2:5], v1 offset:752
	v_add_f64 v[11:12], v[11:12], v[101:102]
	v_add_f64 v[93:94], v[93:94], v[95:96]
	s_waitcnt vmcnt(1) lgkmcnt(0)
	v_mul_f64 v[95:96], v[2:3], v[119:120]
	v_mul_f64 v[101:102], v[4:5], v[119:120]
	v_fma_f64 v[8:9], v[8:9], v[13:14], v[97:98]
	v_fma_f64 v[6:7], v[6:7], v[13:14], -v[15:16]
	v_add_f64 v[11:12], v[11:12], v[103:104]
	v_add_f64 v[13:14], v[93:94], v[99:100]
	v_fma_f64 v[4:5], v[4:5], v[117:118], v[95:96]
	v_fma_f64 v[2:3], v[2:3], v[117:118], -v[101:102]
	s_delay_alu instid0(VALU_DEP_4) | instskip(NEXT) | instid1(VALU_DEP_4)
	v_add_f64 v[6:7], v[11:12], v[6:7]
	v_add_f64 v[8:9], v[13:14], v[8:9]
	s_delay_alu instid0(VALU_DEP_2) | instskip(NEXT) | instid1(VALU_DEP_2)
	v_add_f64 v[2:3], v[6:7], v[2:3]
	v_add_f64 v[4:5], v[8:9], v[4:5]
	s_waitcnt vmcnt(0)
	s_delay_alu instid0(VALU_DEP_2) | instskip(NEXT) | instid1(VALU_DEP_2)
	v_add_f64 v[2:3], v[89:90], -v[2:3]
	v_add_f64 v[4:5], v[91:92], -v[4:5]
	scratch_store_b128 off, v[2:5], off offset:160
	v_cmpx_lt_u32_e32 9, v65
	s_cbranch_execz .LBB87_139
; %bb.138:
	scratch_load_b128 v[5:8], v79, off
	v_mov_b32_e32 v2, v1
	v_mov_b32_e32 v3, v1
	;; [unrolled: 1-line block ×3, first 2 shown]
	scratch_store_b128 off, v[1:4], off offset:144
	s_waitcnt vmcnt(0)
	ds_store_b128 v10, v[5:8]
.LBB87_139:
	s_or_b32 exec_lo, exec_lo, s2
	s_waitcnt lgkmcnt(0)
	s_waitcnt_vscnt null, 0x0
	s_barrier
	buffer_gl0_inv
	s_clause 0x7
	scratch_load_b128 v[2:5], off, off offset:160
	scratch_load_b128 v[6:9], off, off offset:176
	;; [unrolled: 1-line block ×8, first 2 shown]
	ds_load_b128 v[109:112], v1 offset:544
	ds_load_b128 v[117:120], v1 offset:560
	s_clause 0x1
	scratch_load_b128 v[113:116], off, off offset:288
	scratch_load_b128 v[121:124], off, off offset:304
	s_mov_b32 s2, exec_lo
	s_waitcnt vmcnt(9) lgkmcnt(1)
	v_mul_f64 v[15:16], v[111:112], v[4:5]
	v_mul_f64 v[4:5], v[109:110], v[4:5]
	s_waitcnt vmcnt(8) lgkmcnt(0)
	v_mul_f64 v[125:126], v[117:118], v[8:9]
	v_mul_f64 v[8:9], v[119:120], v[8:9]
	s_delay_alu instid0(VALU_DEP_4) | instskip(NEXT) | instid1(VALU_DEP_4)
	v_fma_f64 v[15:16], v[109:110], v[2:3], -v[15:16]
	v_fma_f64 v[127:128], v[111:112], v[2:3], v[4:5]
	scratch_load_b128 v[109:112], off, off offset:320
	ds_load_b128 v[2:5], v1 offset:576
	v_fma_f64 v[119:120], v[119:120], v[6:7], v[125:126]
	v_fma_f64 v[117:118], v[117:118], v[6:7], -v[8:9]
	ds_load_b128 v[6:9], v1 offset:592
	s_waitcnt vmcnt(8) lgkmcnt(1)
	v_mul_f64 v[129:130], v[2:3], v[13:14]
	v_mul_f64 v[131:132], v[4:5], v[13:14]
	s_waitcnt vmcnt(7) lgkmcnt(0)
	v_mul_f64 v[133:134], v[6:7], v[91:92]
	v_mul_f64 v[91:92], v[8:9], v[91:92]
	v_add_f64 v[125:126], v[15:16], 0
	v_add_f64 v[127:128], v[127:128], 0
	scratch_load_b128 v[13:16], off, off offset:336
	v_fma_f64 v[129:130], v[4:5], v[11:12], v[129:130]
	v_fma_f64 v[11:12], v[2:3], v[11:12], -v[131:132]
	ds_load_b128 v[2:5], v1 offset:608
	v_fma_f64 v[133:134], v[8:9], v[89:90], v[133:134]
	v_fma_f64 v[135:136], v[6:7], v[89:90], -v[91:92]
	ds_load_b128 v[6:9], v1 offset:624
	scratch_load_b128 v[89:92], off, off offset:368
	v_add_f64 v[125:126], v[125:126], v[117:118]
	v_add_f64 v[127:128], v[127:128], v[119:120]
	scratch_load_b128 v[117:120], off, off offset:352
	s_waitcnt vmcnt(9) lgkmcnt(1)
	v_mul_f64 v[131:132], v[2:3], v[95:96]
	v_mul_f64 v[95:96], v[4:5], v[95:96]
	v_add_f64 v[11:12], v[125:126], v[11:12]
	v_add_f64 v[125:126], v[127:128], v[129:130]
	s_waitcnt vmcnt(8) lgkmcnt(0)
	v_mul_f64 v[127:128], v[6:7], v[99:100]
	v_mul_f64 v[99:100], v[8:9], v[99:100]
	v_fma_f64 v[129:130], v[4:5], v[93:94], v[131:132]
	v_fma_f64 v[93:94], v[2:3], v[93:94], -v[95:96]
	ds_load_b128 v[2:5], v1 offset:640
	v_add_f64 v[11:12], v[11:12], v[135:136]
	v_add_f64 v[95:96], v[125:126], v[133:134]
	v_fma_f64 v[127:128], v[8:9], v[97:98], v[127:128]
	v_fma_f64 v[97:98], v[6:7], v[97:98], -v[99:100]
	ds_load_b128 v[6:9], v1 offset:656
	s_waitcnt vmcnt(7) lgkmcnt(1)
	v_mul_f64 v[125:126], v[2:3], v[103:104]
	v_mul_f64 v[103:104], v[4:5], v[103:104]
	s_waitcnt vmcnt(6) lgkmcnt(0)
	v_mul_f64 v[99:100], v[6:7], v[107:108]
	v_mul_f64 v[107:108], v[8:9], v[107:108]
	v_add_f64 v[11:12], v[11:12], v[93:94]
	v_add_f64 v[93:94], v[95:96], v[129:130]
	v_fma_f64 v[125:126], v[4:5], v[101:102], v[125:126]
	v_fma_f64 v[101:102], v[2:3], v[101:102], -v[103:104]
	ds_load_b128 v[2:5], v1 offset:672
	v_fma_f64 v[99:100], v[8:9], v[105:106], v[99:100]
	v_fma_f64 v[105:106], v[6:7], v[105:106], -v[107:108]
	ds_load_b128 v[6:9], v1 offset:688
	v_add_f64 v[11:12], v[11:12], v[97:98]
	v_add_f64 v[97:98], v[93:94], v[127:128]
	scratch_load_b128 v[93:96], off, off offset:144
	s_waitcnt vmcnt(6) lgkmcnt(1)
	v_mul_f64 v[103:104], v[2:3], v[115:116]
	v_mul_f64 v[115:116], v[4:5], v[115:116]
	s_waitcnt vmcnt(5) lgkmcnt(0)
	v_mul_f64 v[107:108], v[8:9], v[123:124]
	v_add_f64 v[11:12], v[11:12], v[101:102]
	v_add_f64 v[97:98], v[97:98], v[125:126]
	v_mul_f64 v[101:102], v[6:7], v[123:124]
	v_fma_f64 v[103:104], v[4:5], v[113:114], v[103:104]
	v_fma_f64 v[113:114], v[2:3], v[113:114], -v[115:116]
	ds_load_b128 v[2:5], v1 offset:704
	v_fma_f64 v[107:108], v[6:7], v[121:122], -v[107:108]
	v_add_f64 v[11:12], v[11:12], v[105:106]
	v_add_f64 v[97:98], v[97:98], v[99:100]
	v_fma_f64 v[101:102], v[8:9], v[121:122], v[101:102]
	ds_load_b128 v[6:9], v1 offset:720
	s_waitcnt vmcnt(4) lgkmcnt(1)
	v_mul_f64 v[99:100], v[2:3], v[111:112]
	v_mul_f64 v[105:106], v[4:5], v[111:112]
	v_add_f64 v[11:12], v[11:12], v[113:114]
	v_add_f64 v[97:98], v[97:98], v[103:104]
	s_waitcnt vmcnt(3) lgkmcnt(0)
	v_mul_f64 v[103:104], v[6:7], v[15:16]
	v_mul_f64 v[15:16], v[8:9], v[15:16]
	v_fma_f64 v[99:100], v[4:5], v[109:110], v[99:100]
	v_fma_f64 v[105:106], v[2:3], v[109:110], -v[105:106]
	ds_load_b128 v[2:5], v1 offset:736
	v_add_f64 v[11:12], v[11:12], v[107:108]
	v_add_f64 v[97:98], v[97:98], v[101:102]
	v_fma_f64 v[103:104], v[8:9], v[13:14], v[103:104]
	v_fma_f64 v[13:14], v[6:7], v[13:14], -v[15:16]
	ds_load_b128 v[6:9], v1 offset:752
	s_waitcnt vmcnt(1) lgkmcnt(1)
	v_mul_f64 v[101:102], v[2:3], v[119:120]
	v_mul_f64 v[107:108], v[4:5], v[119:120]
	v_add_f64 v[11:12], v[11:12], v[105:106]
	v_add_f64 v[15:16], v[97:98], v[99:100]
	s_waitcnt lgkmcnt(0)
	v_mul_f64 v[97:98], v[6:7], v[91:92]
	v_mul_f64 v[91:92], v[8:9], v[91:92]
	v_fma_f64 v[4:5], v[4:5], v[117:118], v[101:102]
	v_fma_f64 v[1:2], v[2:3], v[117:118], -v[107:108]
	v_add_f64 v[11:12], v[11:12], v[13:14]
	v_add_f64 v[13:14], v[15:16], v[103:104]
	v_fma_f64 v[8:9], v[8:9], v[89:90], v[97:98]
	v_fma_f64 v[6:7], v[6:7], v[89:90], -v[91:92]
	s_delay_alu instid0(VALU_DEP_4) | instskip(NEXT) | instid1(VALU_DEP_4)
	v_add_f64 v[1:2], v[11:12], v[1:2]
	v_add_f64 v[3:4], v[13:14], v[4:5]
	s_delay_alu instid0(VALU_DEP_2) | instskip(NEXT) | instid1(VALU_DEP_2)
	v_add_f64 v[1:2], v[1:2], v[6:7]
	v_add_f64 v[3:4], v[3:4], v[8:9]
	s_waitcnt vmcnt(0)
	s_delay_alu instid0(VALU_DEP_2) | instskip(NEXT) | instid1(VALU_DEP_2)
	v_add_f64 v[1:2], v[93:94], -v[1:2]
	v_add_f64 v[3:4], v[95:96], -v[3:4]
	scratch_store_b128 off, v[1:4], off offset:144
	v_cmpx_lt_u32_e32 8, v65
	s_cbranch_execz .LBB87_141
; %bb.140:
	scratch_load_b128 v[1:4], v76, off
	v_mov_b32_e32 v5, 0
	s_delay_alu instid0(VALU_DEP_1)
	v_mov_b32_e32 v6, v5
	v_mov_b32_e32 v7, v5
	;; [unrolled: 1-line block ×3, first 2 shown]
	scratch_store_b128 off, v[5:8], off offset:128
	s_waitcnt vmcnt(0)
	ds_store_b128 v10, v[1:4]
.LBB87_141:
	s_or_b32 exec_lo, exec_lo, s2
	s_waitcnt lgkmcnt(0)
	s_waitcnt_vscnt null, 0x0
	s_barrier
	buffer_gl0_inv
	s_clause 0x7
	scratch_load_b128 v[2:5], off, off offset:144
	scratch_load_b128 v[6:9], off, off offset:160
	;; [unrolled: 1-line block ×8, first 2 shown]
	v_mov_b32_e32 v1, 0
	s_clause 0x1
	scratch_load_b128 v[113:116], off, off offset:272
	scratch_load_b128 v[121:124], off, off offset:288
	s_mov_b32 s2, exec_lo
	ds_load_b128 v[109:112], v1 offset:528
	ds_load_b128 v[117:120], v1 offset:544
	s_waitcnt vmcnt(9) lgkmcnt(1)
	v_mul_f64 v[15:16], v[111:112], v[4:5]
	v_mul_f64 v[4:5], v[109:110], v[4:5]
	s_waitcnt vmcnt(8) lgkmcnt(0)
	v_mul_f64 v[125:126], v[117:118], v[8:9]
	v_mul_f64 v[8:9], v[119:120], v[8:9]
	s_delay_alu instid0(VALU_DEP_4) | instskip(NEXT) | instid1(VALU_DEP_4)
	v_fma_f64 v[15:16], v[109:110], v[2:3], -v[15:16]
	v_fma_f64 v[127:128], v[111:112], v[2:3], v[4:5]
	ds_load_b128 v[2:5], v1 offset:560
	scratch_load_b128 v[109:112], off, off offset:304
	v_fma_f64 v[119:120], v[119:120], v[6:7], v[125:126]
	v_fma_f64 v[117:118], v[117:118], v[6:7], -v[8:9]
	ds_load_b128 v[6:9], v1 offset:576
	s_waitcnt vmcnt(8) lgkmcnt(1)
	v_mul_f64 v[129:130], v[2:3], v[13:14]
	v_mul_f64 v[131:132], v[4:5], v[13:14]
	s_waitcnt vmcnt(7) lgkmcnt(0)
	v_mul_f64 v[133:134], v[6:7], v[91:92]
	v_mul_f64 v[91:92], v[8:9], v[91:92]
	v_add_f64 v[125:126], v[15:16], 0
	v_add_f64 v[127:128], v[127:128], 0
	scratch_load_b128 v[13:16], off, off offset:320
	v_fma_f64 v[129:130], v[4:5], v[11:12], v[129:130]
	v_fma_f64 v[11:12], v[2:3], v[11:12], -v[131:132]
	ds_load_b128 v[2:5], v1 offset:592
	v_fma_f64 v[133:134], v[8:9], v[89:90], v[133:134]
	v_fma_f64 v[135:136], v[6:7], v[89:90], -v[91:92]
	ds_load_b128 v[6:9], v1 offset:608
	scratch_load_b128 v[89:92], off, off offset:352
	v_add_f64 v[125:126], v[125:126], v[117:118]
	v_add_f64 v[127:128], v[127:128], v[119:120]
	scratch_load_b128 v[117:120], off, off offset:336
	s_waitcnt vmcnt(9) lgkmcnt(1)
	v_mul_f64 v[131:132], v[2:3], v[95:96]
	v_mul_f64 v[95:96], v[4:5], v[95:96]
	v_add_f64 v[11:12], v[125:126], v[11:12]
	v_add_f64 v[125:126], v[127:128], v[129:130]
	s_waitcnt vmcnt(8) lgkmcnt(0)
	v_mul_f64 v[127:128], v[6:7], v[99:100]
	v_mul_f64 v[99:100], v[8:9], v[99:100]
	v_fma_f64 v[129:130], v[4:5], v[93:94], v[131:132]
	v_fma_f64 v[131:132], v[2:3], v[93:94], -v[95:96]
	scratch_load_b128 v[93:96], off, off offset:368
	ds_load_b128 v[2:5], v1 offset:624
	v_add_f64 v[11:12], v[11:12], v[135:136]
	v_add_f64 v[125:126], v[125:126], v[133:134]
	v_fma_f64 v[127:128], v[8:9], v[97:98], v[127:128]
	v_fma_f64 v[97:98], v[6:7], v[97:98], -v[99:100]
	ds_load_b128 v[6:9], v1 offset:640
	s_waitcnt vmcnt(8) lgkmcnt(1)
	v_mul_f64 v[133:134], v[2:3], v[103:104]
	v_mul_f64 v[103:104], v[4:5], v[103:104]
	v_add_f64 v[11:12], v[11:12], v[131:132]
	v_add_f64 v[99:100], v[125:126], v[129:130]
	s_waitcnt vmcnt(7) lgkmcnt(0)
	v_mul_f64 v[125:126], v[6:7], v[107:108]
	v_mul_f64 v[107:108], v[8:9], v[107:108]
	v_fma_f64 v[129:130], v[4:5], v[101:102], v[133:134]
	v_fma_f64 v[101:102], v[2:3], v[101:102], -v[103:104]
	ds_load_b128 v[2:5], v1 offset:656
	v_add_f64 v[11:12], v[11:12], v[97:98]
	v_add_f64 v[97:98], v[99:100], v[127:128]
	v_fma_f64 v[125:126], v[8:9], v[105:106], v[125:126]
	v_fma_f64 v[105:106], v[6:7], v[105:106], -v[107:108]
	ds_load_b128 v[6:9], v1 offset:672
	s_waitcnt vmcnt(5) lgkmcnt(0)
	v_mul_f64 v[107:108], v[6:7], v[123:124]
	v_mul_f64 v[123:124], v[8:9], v[123:124]
	v_add_f64 v[11:12], v[11:12], v[101:102]
	v_add_f64 v[101:102], v[97:98], v[129:130]
	scratch_load_b128 v[97:100], off, off offset:128
	v_mul_f64 v[103:104], v[2:3], v[115:116]
	v_mul_f64 v[115:116], v[4:5], v[115:116]
	v_fma_f64 v[107:108], v[8:9], v[121:122], v[107:108]
	v_add_f64 v[11:12], v[11:12], v[105:106]
	v_add_f64 v[101:102], v[101:102], v[125:126]
	v_fma_f64 v[103:104], v[4:5], v[113:114], v[103:104]
	v_fma_f64 v[113:114], v[2:3], v[113:114], -v[115:116]
	ds_load_b128 v[2:5], v1 offset:688
	v_fma_f64 v[115:116], v[6:7], v[121:122], -v[123:124]
	ds_load_b128 v[6:9], v1 offset:704
	s_waitcnt vmcnt(5) lgkmcnt(1)
	v_mul_f64 v[105:106], v[2:3], v[111:112]
	v_mul_f64 v[111:112], v[4:5], v[111:112]
	v_add_f64 v[101:102], v[101:102], v[103:104]
	v_add_f64 v[11:12], v[11:12], v[113:114]
	s_waitcnt vmcnt(4) lgkmcnt(0)
	v_mul_f64 v[103:104], v[6:7], v[15:16]
	v_mul_f64 v[15:16], v[8:9], v[15:16]
	v_fma_f64 v[105:106], v[4:5], v[109:110], v[105:106]
	v_fma_f64 v[109:110], v[2:3], v[109:110], -v[111:112]
	ds_load_b128 v[2:5], v1 offset:720
	v_add_f64 v[101:102], v[101:102], v[107:108]
	v_add_f64 v[11:12], v[11:12], v[115:116]
	v_fma_f64 v[103:104], v[8:9], v[13:14], v[103:104]
	v_fma_f64 v[13:14], v[6:7], v[13:14], -v[15:16]
	ds_load_b128 v[6:9], v1 offset:736
	s_waitcnt vmcnt(2) lgkmcnt(1)
	v_mul_f64 v[107:108], v[2:3], v[119:120]
	v_mul_f64 v[111:112], v[4:5], v[119:120]
	v_add_f64 v[15:16], v[101:102], v[105:106]
	v_add_f64 v[11:12], v[11:12], v[109:110]
	s_waitcnt lgkmcnt(0)
	v_mul_f64 v[101:102], v[6:7], v[91:92]
	v_mul_f64 v[91:92], v[8:9], v[91:92]
	v_fma_f64 v[105:106], v[4:5], v[117:118], v[107:108]
	v_fma_f64 v[107:108], v[2:3], v[117:118], -v[111:112]
	ds_load_b128 v[2:5], v1 offset:752
	v_add_f64 v[11:12], v[11:12], v[13:14]
	v_add_f64 v[13:14], v[15:16], v[103:104]
	s_waitcnt vmcnt(1) lgkmcnt(0)
	v_mul_f64 v[15:16], v[2:3], v[95:96]
	v_mul_f64 v[95:96], v[4:5], v[95:96]
	v_fma_f64 v[8:9], v[8:9], v[89:90], v[101:102]
	v_fma_f64 v[6:7], v[6:7], v[89:90], -v[91:92]
	v_add_f64 v[11:12], v[11:12], v[107:108]
	v_add_f64 v[13:14], v[13:14], v[105:106]
	v_fma_f64 v[4:5], v[4:5], v[93:94], v[15:16]
	v_fma_f64 v[2:3], v[2:3], v[93:94], -v[95:96]
	s_delay_alu instid0(VALU_DEP_4) | instskip(NEXT) | instid1(VALU_DEP_4)
	v_add_f64 v[6:7], v[11:12], v[6:7]
	v_add_f64 v[8:9], v[13:14], v[8:9]
	s_delay_alu instid0(VALU_DEP_2) | instskip(NEXT) | instid1(VALU_DEP_2)
	v_add_f64 v[2:3], v[6:7], v[2:3]
	v_add_f64 v[4:5], v[8:9], v[4:5]
	s_waitcnt vmcnt(0)
	s_delay_alu instid0(VALU_DEP_2) | instskip(NEXT) | instid1(VALU_DEP_2)
	v_add_f64 v[2:3], v[97:98], -v[2:3]
	v_add_f64 v[4:5], v[99:100], -v[4:5]
	scratch_store_b128 off, v[2:5], off offset:128
	v_cmpx_lt_u32_e32 7, v65
	s_cbranch_execz .LBB87_143
; %bb.142:
	scratch_load_b128 v[5:8], v71, off
	v_mov_b32_e32 v2, v1
	v_mov_b32_e32 v3, v1
	;; [unrolled: 1-line block ×3, first 2 shown]
	scratch_store_b128 off, v[1:4], off offset:112
	s_waitcnt vmcnt(0)
	ds_store_b128 v10, v[5:8]
.LBB87_143:
	s_or_b32 exec_lo, exec_lo, s2
	s_waitcnt lgkmcnt(0)
	s_waitcnt_vscnt null, 0x0
	s_barrier
	buffer_gl0_inv
	s_clause 0x7
	scratch_load_b128 v[2:5], off, off offset:128
	scratch_load_b128 v[6:9], off, off offset:144
	;; [unrolled: 1-line block ×8, first 2 shown]
	ds_load_b128 v[109:112], v1 offset:512
	ds_load_b128 v[117:120], v1 offset:528
	s_clause 0x1
	scratch_load_b128 v[113:116], off, off offset:256
	scratch_load_b128 v[121:124], off, off offset:272
	s_mov_b32 s2, exec_lo
	s_waitcnt vmcnt(9) lgkmcnt(1)
	v_mul_f64 v[15:16], v[111:112], v[4:5]
	v_mul_f64 v[4:5], v[109:110], v[4:5]
	s_waitcnt vmcnt(8) lgkmcnt(0)
	v_mul_f64 v[125:126], v[117:118], v[8:9]
	v_mul_f64 v[8:9], v[119:120], v[8:9]
	s_delay_alu instid0(VALU_DEP_4) | instskip(NEXT) | instid1(VALU_DEP_4)
	v_fma_f64 v[15:16], v[109:110], v[2:3], -v[15:16]
	v_fma_f64 v[127:128], v[111:112], v[2:3], v[4:5]
	scratch_load_b128 v[109:112], off, off offset:288
	ds_load_b128 v[2:5], v1 offset:544
	v_fma_f64 v[119:120], v[119:120], v[6:7], v[125:126]
	v_fma_f64 v[117:118], v[117:118], v[6:7], -v[8:9]
	ds_load_b128 v[6:9], v1 offset:560
	s_waitcnt vmcnt(8) lgkmcnt(1)
	v_mul_f64 v[129:130], v[2:3], v[13:14]
	v_mul_f64 v[131:132], v[4:5], v[13:14]
	s_waitcnt vmcnt(7) lgkmcnt(0)
	v_mul_f64 v[133:134], v[6:7], v[91:92]
	v_mul_f64 v[91:92], v[8:9], v[91:92]
	v_add_f64 v[125:126], v[15:16], 0
	v_add_f64 v[127:128], v[127:128], 0
	scratch_load_b128 v[13:16], off, off offset:304
	v_fma_f64 v[129:130], v[4:5], v[11:12], v[129:130]
	v_fma_f64 v[11:12], v[2:3], v[11:12], -v[131:132]
	ds_load_b128 v[2:5], v1 offset:576
	v_fma_f64 v[133:134], v[8:9], v[89:90], v[133:134]
	v_fma_f64 v[135:136], v[6:7], v[89:90], -v[91:92]
	ds_load_b128 v[6:9], v1 offset:592
	scratch_load_b128 v[89:92], off, off offset:336
	v_add_f64 v[125:126], v[125:126], v[117:118]
	v_add_f64 v[127:128], v[127:128], v[119:120]
	scratch_load_b128 v[117:120], off, off offset:320
	s_waitcnt vmcnt(9) lgkmcnt(1)
	v_mul_f64 v[131:132], v[2:3], v[95:96]
	v_mul_f64 v[95:96], v[4:5], v[95:96]
	v_add_f64 v[11:12], v[125:126], v[11:12]
	v_add_f64 v[125:126], v[127:128], v[129:130]
	s_waitcnt vmcnt(8) lgkmcnt(0)
	v_mul_f64 v[127:128], v[6:7], v[99:100]
	v_mul_f64 v[99:100], v[8:9], v[99:100]
	v_fma_f64 v[129:130], v[4:5], v[93:94], v[131:132]
	v_fma_f64 v[131:132], v[2:3], v[93:94], -v[95:96]
	scratch_load_b128 v[93:96], off, off offset:352
	ds_load_b128 v[2:5], v1 offset:608
	v_add_f64 v[11:12], v[11:12], v[135:136]
	v_add_f64 v[125:126], v[125:126], v[133:134]
	v_fma_f64 v[127:128], v[8:9], v[97:98], v[127:128]
	v_fma_f64 v[135:136], v[6:7], v[97:98], -v[99:100]
	ds_load_b128 v[6:9], v1 offset:624
	s_waitcnt vmcnt(8) lgkmcnt(1)
	v_mul_f64 v[133:134], v[2:3], v[103:104]
	v_mul_f64 v[103:104], v[4:5], v[103:104]
	scratch_load_b128 v[97:100], off, off offset:368
	v_add_f64 v[11:12], v[11:12], v[131:132]
	v_add_f64 v[125:126], v[125:126], v[129:130]
	s_waitcnt vmcnt(8) lgkmcnt(0)
	v_mul_f64 v[129:130], v[6:7], v[107:108]
	v_mul_f64 v[107:108], v[8:9], v[107:108]
	v_fma_f64 v[131:132], v[4:5], v[101:102], v[133:134]
	v_fma_f64 v[101:102], v[2:3], v[101:102], -v[103:104]
	ds_load_b128 v[2:5], v1 offset:640
	v_add_f64 v[11:12], v[11:12], v[135:136]
	v_add_f64 v[103:104], v[125:126], v[127:128]
	v_fma_f64 v[127:128], v[8:9], v[105:106], v[129:130]
	v_fma_f64 v[105:106], v[6:7], v[105:106], -v[107:108]
	ds_load_b128 v[6:9], v1 offset:656
	s_waitcnt vmcnt(6) lgkmcnt(0)
	v_mul_f64 v[107:108], v[6:7], v[123:124]
	v_mul_f64 v[123:124], v[8:9], v[123:124]
	v_add_f64 v[11:12], v[11:12], v[101:102]
	v_add_f64 v[101:102], v[103:104], v[131:132]
	s_delay_alu instid0(VALU_DEP_4) | instskip(NEXT) | instid1(VALU_DEP_4)
	v_fma_f64 v[107:108], v[8:9], v[121:122], v[107:108]
	v_fma_f64 v[121:122], v[6:7], v[121:122], -v[123:124]
	ds_load_b128 v[6:9], v1 offset:688
	v_add_f64 v[11:12], v[11:12], v[105:106]
	v_add_f64 v[105:106], v[101:102], v[127:128]
	scratch_load_b128 v[101:104], off, off offset:112
	v_mul_f64 v[125:126], v[2:3], v[115:116]
	v_mul_f64 v[115:116], v[4:5], v[115:116]
	s_delay_alu instid0(VALU_DEP_2) | instskip(NEXT) | instid1(VALU_DEP_2)
	v_fma_f64 v[125:126], v[4:5], v[113:114], v[125:126]
	v_fma_f64 v[113:114], v[2:3], v[113:114], -v[115:116]
	ds_load_b128 v[2:5], v1 offset:672
	s_waitcnt vmcnt(6) lgkmcnt(0)
	v_mul_f64 v[115:116], v[2:3], v[111:112]
	v_mul_f64 v[111:112], v[4:5], v[111:112]
	v_add_f64 v[105:106], v[105:106], v[125:126]
	v_add_f64 v[11:12], v[11:12], v[113:114]
	s_waitcnt vmcnt(5)
	v_mul_f64 v[113:114], v[6:7], v[15:16]
	v_mul_f64 v[15:16], v[8:9], v[15:16]
	v_fma_f64 v[115:116], v[4:5], v[109:110], v[115:116]
	v_fma_f64 v[109:110], v[2:3], v[109:110], -v[111:112]
	ds_load_b128 v[2:5], v1 offset:704
	v_add_f64 v[105:106], v[105:106], v[107:108]
	v_add_f64 v[11:12], v[11:12], v[121:122]
	v_fma_f64 v[113:114], v[8:9], v[13:14], v[113:114]
	v_fma_f64 v[13:14], v[6:7], v[13:14], -v[15:16]
	ds_load_b128 v[6:9], v1 offset:720
	s_waitcnt vmcnt(3) lgkmcnt(1)
	v_mul_f64 v[107:108], v[2:3], v[119:120]
	v_mul_f64 v[111:112], v[4:5], v[119:120]
	v_add_f64 v[15:16], v[105:106], v[115:116]
	v_add_f64 v[11:12], v[11:12], v[109:110]
	s_waitcnt lgkmcnt(0)
	v_mul_f64 v[105:106], v[6:7], v[91:92]
	v_mul_f64 v[91:92], v[8:9], v[91:92]
	v_fma_f64 v[107:108], v[4:5], v[117:118], v[107:108]
	v_fma_f64 v[109:110], v[2:3], v[117:118], -v[111:112]
	ds_load_b128 v[2:5], v1 offset:736
	v_add_f64 v[11:12], v[11:12], v[13:14]
	v_add_f64 v[13:14], v[15:16], v[113:114]
	v_fma_f64 v[105:106], v[8:9], v[89:90], v[105:106]
	v_fma_f64 v[89:90], v[6:7], v[89:90], -v[91:92]
	ds_load_b128 v[6:9], v1 offset:752
	s_waitcnt vmcnt(2) lgkmcnt(1)
	v_mul_f64 v[15:16], v[2:3], v[95:96]
	v_mul_f64 v[95:96], v[4:5], v[95:96]
	s_waitcnt vmcnt(1) lgkmcnt(0)
	v_mul_f64 v[91:92], v[6:7], v[99:100]
	v_mul_f64 v[99:100], v[8:9], v[99:100]
	v_add_f64 v[11:12], v[11:12], v[109:110]
	v_add_f64 v[13:14], v[13:14], v[107:108]
	v_fma_f64 v[4:5], v[4:5], v[93:94], v[15:16]
	v_fma_f64 v[1:2], v[2:3], v[93:94], -v[95:96]
	v_fma_f64 v[8:9], v[8:9], v[97:98], v[91:92]
	v_fma_f64 v[6:7], v[6:7], v[97:98], -v[99:100]
	v_add_f64 v[11:12], v[11:12], v[89:90]
	v_add_f64 v[13:14], v[13:14], v[105:106]
	s_delay_alu instid0(VALU_DEP_2) | instskip(NEXT) | instid1(VALU_DEP_2)
	v_add_f64 v[1:2], v[11:12], v[1:2]
	v_add_f64 v[3:4], v[13:14], v[4:5]
	s_delay_alu instid0(VALU_DEP_2) | instskip(NEXT) | instid1(VALU_DEP_2)
	v_add_f64 v[1:2], v[1:2], v[6:7]
	v_add_f64 v[3:4], v[3:4], v[8:9]
	s_waitcnt vmcnt(0)
	s_delay_alu instid0(VALU_DEP_2) | instskip(NEXT) | instid1(VALU_DEP_2)
	v_add_f64 v[1:2], v[101:102], -v[1:2]
	v_add_f64 v[3:4], v[103:104], -v[3:4]
	scratch_store_b128 off, v[1:4], off offset:112
	v_cmpx_lt_u32_e32 6, v65
	s_cbranch_execz .LBB87_145
; %bb.144:
	scratch_load_b128 v[1:4], v70, off
	v_mov_b32_e32 v5, 0
	s_delay_alu instid0(VALU_DEP_1)
	v_mov_b32_e32 v6, v5
	v_mov_b32_e32 v7, v5
	;; [unrolled: 1-line block ×3, first 2 shown]
	scratch_store_b128 off, v[5:8], off offset:96
	s_waitcnt vmcnt(0)
	ds_store_b128 v10, v[1:4]
.LBB87_145:
	s_or_b32 exec_lo, exec_lo, s2
	s_waitcnt lgkmcnt(0)
	s_waitcnt_vscnt null, 0x0
	s_barrier
	buffer_gl0_inv
	s_clause 0x7
	scratch_load_b128 v[2:5], off, off offset:112
	scratch_load_b128 v[6:9], off, off offset:128
	;; [unrolled: 1-line block ×8, first 2 shown]
	v_mov_b32_e32 v1, 0
	s_clause 0x1
	scratch_load_b128 v[113:116], off, off offset:240
	scratch_load_b128 v[121:124], off, off offset:256
	s_mov_b32 s2, exec_lo
	ds_load_b128 v[109:112], v1 offset:496
	ds_load_b128 v[117:120], v1 offset:512
	s_waitcnt vmcnt(9) lgkmcnt(1)
	v_mul_f64 v[15:16], v[111:112], v[4:5]
	v_mul_f64 v[4:5], v[109:110], v[4:5]
	s_waitcnt vmcnt(8) lgkmcnt(0)
	v_mul_f64 v[125:126], v[117:118], v[8:9]
	v_mul_f64 v[8:9], v[119:120], v[8:9]
	s_delay_alu instid0(VALU_DEP_4) | instskip(NEXT) | instid1(VALU_DEP_4)
	v_fma_f64 v[15:16], v[109:110], v[2:3], -v[15:16]
	v_fma_f64 v[127:128], v[111:112], v[2:3], v[4:5]
	ds_load_b128 v[2:5], v1 offset:528
	v_fma_f64 v[119:120], v[119:120], v[6:7], v[125:126]
	v_fma_f64 v[117:118], v[117:118], v[6:7], -v[8:9]
	ds_load_b128 v[6:9], v1 offset:544
	scratch_load_b128 v[109:112], off, off offset:272
	s_waitcnt vmcnt(8) lgkmcnt(1)
	v_mul_f64 v[129:130], v[2:3], v[13:14]
	v_mul_f64 v[131:132], v[4:5], v[13:14]
	s_waitcnt vmcnt(7) lgkmcnt(0)
	v_mul_f64 v[133:134], v[6:7], v[91:92]
	v_mul_f64 v[91:92], v[8:9], v[91:92]
	v_add_f64 v[125:126], v[15:16], 0
	v_add_f64 v[127:128], v[127:128], 0
	scratch_load_b128 v[13:16], off, off offset:288
	v_fma_f64 v[129:130], v[4:5], v[11:12], v[129:130]
	v_fma_f64 v[11:12], v[2:3], v[11:12], -v[131:132]
	ds_load_b128 v[2:5], v1 offset:560
	v_fma_f64 v[133:134], v[8:9], v[89:90], v[133:134]
	v_fma_f64 v[135:136], v[6:7], v[89:90], -v[91:92]
	ds_load_b128 v[6:9], v1 offset:576
	scratch_load_b128 v[89:92], off, off offset:320
	v_add_f64 v[125:126], v[125:126], v[117:118]
	v_add_f64 v[127:128], v[127:128], v[119:120]
	scratch_load_b128 v[117:120], off, off offset:304
	s_waitcnt vmcnt(9) lgkmcnt(1)
	v_mul_f64 v[131:132], v[2:3], v[95:96]
	v_mul_f64 v[95:96], v[4:5], v[95:96]
	v_add_f64 v[11:12], v[125:126], v[11:12]
	v_add_f64 v[125:126], v[127:128], v[129:130]
	s_waitcnt vmcnt(8) lgkmcnt(0)
	v_mul_f64 v[127:128], v[6:7], v[99:100]
	v_mul_f64 v[99:100], v[8:9], v[99:100]
	v_fma_f64 v[129:130], v[4:5], v[93:94], v[131:132]
	v_fma_f64 v[131:132], v[2:3], v[93:94], -v[95:96]
	scratch_load_b128 v[93:96], off, off offset:336
	ds_load_b128 v[2:5], v1 offset:592
	v_add_f64 v[11:12], v[11:12], v[135:136]
	v_add_f64 v[125:126], v[125:126], v[133:134]
	v_fma_f64 v[127:128], v[8:9], v[97:98], v[127:128]
	v_fma_f64 v[135:136], v[6:7], v[97:98], -v[99:100]
	ds_load_b128 v[6:9], v1 offset:608
	s_waitcnt vmcnt(8) lgkmcnt(1)
	v_mul_f64 v[133:134], v[2:3], v[103:104]
	v_mul_f64 v[103:104], v[4:5], v[103:104]
	scratch_load_b128 v[97:100], off, off offset:352
	v_add_f64 v[11:12], v[11:12], v[131:132]
	v_add_f64 v[125:126], v[125:126], v[129:130]
	s_waitcnt vmcnt(8) lgkmcnt(0)
	v_mul_f64 v[129:130], v[6:7], v[107:108]
	v_mul_f64 v[107:108], v[8:9], v[107:108]
	v_fma_f64 v[131:132], v[4:5], v[101:102], v[133:134]
	v_fma_f64 v[133:134], v[2:3], v[101:102], -v[103:104]
	scratch_load_b128 v[101:104], off, off offset:368
	ds_load_b128 v[2:5], v1 offset:624
	v_add_f64 v[11:12], v[11:12], v[135:136]
	v_add_f64 v[125:126], v[125:126], v[127:128]
	v_fma_f64 v[129:130], v[8:9], v[105:106], v[129:130]
	v_fma_f64 v[105:106], v[6:7], v[105:106], -v[107:108]
	ds_load_b128 v[6:9], v1 offset:640
	s_waitcnt vmcnt(8) lgkmcnt(1)
	v_mul_f64 v[127:128], v[2:3], v[115:116]
	v_mul_f64 v[115:116], v[4:5], v[115:116]
	v_add_f64 v[11:12], v[11:12], v[133:134]
	v_add_f64 v[107:108], v[125:126], v[131:132]
	s_delay_alu instid0(VALU_DEP_4) | instskip(NEXT) | instid1(VALU_DEP_4)
	v_fma_f64 v[127:128], v[4:5], v[113:114], v[127:128]
	v_fma_f64 v[113:114], v[2:3], v[113:114], -v[115:116]
	ds_load_b128 v[2:5], v1 offset:656
	v_add_f64 v[11:12], v[11:12], v[105:106]
	v_add_f64 v[105:106], v[107:108], v[129:130]
	s_delay_alu instid0(VALU_DEP_2) | instskip(NEXT) | instid1(VALU_DEP_2)
	v_add_f64 v[11:12], v[11:12], v[113:114]
	v_add_f64 v[113:114], v[105:106], v[127:128]
	scratch_load_b128 v[105:108], off, off offset:96
	s_waitcnt vmcnt(8) lgkmcnt(1)
	v_mul_f64 v[125:126], v[6:7], v[123:124]
	v_mul_f64 v[123:124], v[8:9], v[123:124]
	s_delay_alu instid0(VALU_DEP_2) | instskip(NEXT) | instid1(VALU_DEP_2)
	v_fma_f64 v[125:126], v[8:9], v[121:122], v[125:126]
	v_fma_f64 v[121:122], v[6:7], v[121:122], -v[123:124]
	ds_load_b128 v[6:9], v1 offset:672
	s_waitcnt vmcnt(7) lgkmcnt(1)
	v_mul_f64 v[115:116], v[2:3], v[111:112]
	v_mul_f64 v[111:112], v[4:5], v[111:112]
	s_waitcnt vmcnt(6) lgkmcnt(0)
	v_mul_f64 v[123:124], v[6:7], v[15:16]
	v_mul_f64 v[15:16], v[8:9], v[15:16]
	v_add_f64 v[11:12], v[11:12], v[121:122]
	v_fma_f64 v[115:116], v[4:5], v[109:110], v[115:116]
	v_fma_f64 v[109:110], v[2:3], v[109:110], -v[111:112]
	v_add_f64 v[111:112], v[113:114], v[125:126]
	ds_load_b128 v[2:5], v1 offset:688
	v_fma_f64 v[121:122], v[8:9], v[13:14], v[123:124]
	v_fma_f64 v[13:14], v[6:7], v[13:14], -v[15:16]
	ds_load_b128 v[6:9], v1 offset:704
	s_waitcnt vmcnt(4) lgkmcnt(1)
	v_mul_f64 v[113:114], v[2:3], v[119:120]
	v_mul_f64 v[119:120], v[4:5], v[119:120]
	v_add_f64 v[11:12], v[11:12], v[109:110]
	v_add_f64 v[15:16], v[111:112], v[115:116]
	s_waitcnt lgkmcnt(0)
	v_mul_f64 v[109:110], v[6:7], v[91:92]
	v_mul_f64 v[91:92], v[8:9], v[91:92]
	v_fma_f64 v[111:112], v[4:5], v[117:118], v[113:114]
	v_fma_f64 v[113:114], v[2:3], v[117:118], -v[119:120]
	ds_load_b128 v[2:5], v1 offset:720
	v_add_f64 v[11:12], v[11:12], v[13:14]
	v_add_f64 v[13:14], v[15:16], v[121:122]
	v_fma_f64 v[109:110], v[8:9], v[89:90], v[109:110]
	v_fma_f64 v[89:90], v[6:7], v[89:90], -v[91:92]
	ds_load_b128 v[6:9], v1 offset:736
	s_waitcnt vmcnt(3) lgkmcnt(1)
	v_mul_f64 v[15:16], v[2:3], v[95:96]
	v_mul_f64 v[95:96], v[4:5], v[95:96]
	s_waitcnt vmcnt(2) lgkmcnt(0)
	v_mul_f64 v[91:92], v[6:7], v[99:100]
	v_mul_f64 v[99:100], v[8:9], v[99:100]
	v_add_f64 v[11:12], v[11:12], v[113:114]
	v_add_f64 v[13:14], v[13:14], v[111:112]
	v_fma_f64 v[15:16], v[4:5], v[93:94], v[15:16]
	v_fma_f64 v[93:94], v[2:3], v[93:94], -v[95:96]
	ds_load_b128 v[2:5], v1 offset:752
	v_fma_f64 v[8:9], v[8:9], v[97:98], v[91:92]
	v_fma_f64 v[6:7], v[6:7], v[97:98], -v[99:100]
	s_waitcnt vmcnt(1) lgkmcnt(0)
	v_mul_f64 v[95:96], v[4:5], v[103:104]
	v_add_f64 v[11:12], v[11:12], v[89:90]
	v_add_f64 v[13:14], v[13:14], v[109:110]
	v_mul_f64 v[89:90], v[2:3], v[103:104]
	s_delay_alu instid0(VALU_DEP_4) | instskip(NEXT) | instid1(VALU_DEP_4)
	v_fma_f64 v[2:3], v[2:3], v[101:102], -v[95:96]
	v_add_f64 v[11:12], v[11:12], v[93:94]
	s_delay_alu instid0(VALU_DEP_4) | instskip(NEXT) | instid1(VALU_DEP_4)
	v_add_f64 v[13:14], v[13:14], v[15:16]
	v_fma_f64 v[4:5], v[4:5], v[101:102], v[89:90]
	s_delay_alu instid0(VALU_DEP_3) | instskip(NEXT) | instid1(VALU_DEP_3)
	v_add_f64 v[6:7], v[11:12], v[6:7]
	v_add_f64 v[8:9], v[13:14], v[8:9]
	s_delay_alu instid0(VALU_DEP_2) | instskip(NEXT) | instid1(VALU_DEP_2)
	v_add_f64 v[2:3], v[6:7], v[2:3]
	v_add_f64 v[4:5], v[8:9], v[4:5]
	s_waitcnt vmcnt(0)
	s_delay_alu instid0(VALU_DEP_2) | instskip(NEXT) | instid1(VALU_DEP_2)
	v_add_f64 v[2:3], v[105:106], -v[2:3]
	v_add_f64 v[4:5], v[107:108], -v[4:5]
	scratch_store_b128 off, v[2:5], off offset:96
	v_cmpx_lt_u32_e32 5, v65
	s_cbranch_execz .LBB87_147
; %bb.146:
	scratch_load_b128 v[5:8], v72, off
	v_mov_b32_e32 v2, v1
	v_mov_b32_e32 v3, v1
	v_mov_b32_e32 v4, v1
	scratch_store_b128 off, v[1:4], off offset:80
	s_waitcnt vmcnt(0)
	ds_store_b128 v10, v[5:8]
.LBB87_147:
	s_or_b32 exec_lo, exec_lo, s2
	s_waitcnt lgkmcnt(0)
	s_waitcnt_vscnt null, 0x0
	s_barrier
	buffer_gl0_inv
	s_clause 0x7
	scratch_load_b128 v[2:5], off, off offset:96
	scratch_load_b128 v[6:9], off, off offset:112
	scratch_load_b128 v[11:14], off, off offset:128
	scratch_load_b128 v[89:92], off, off offset:144
	scratch_load_b128 v[93:96], off, off offset:160
	scratch_load_b128 v[97:100], off, off offset:176
	scratch_load_b128 v[101:104], off, off offset:192
	scratch_load_b128 v[105:108], off, off offset:208
	ds_load_b128 v[109:112], v1 offset:480
	ds_load_b128 v[117:120], v1 offset:496
	s_clause 0x1
	scratch_load_b128 v[113:116], off, off offset:224
	scratch_load_b128 v[121:124], off, off offset:240
	s_mov_b32 s2, exec_lo
	s_waitcnt vmcnt(9) lgkmcnt(1)
	v_mul_f64 v[15:16], v[111:112], v[4:5]
	v_mul_f64 v[4:5], v[109:110], v[4:5]
	s_waitcnt vmcnt(8) lgkmcnt(0)
	v_mul_f64 v[125:126], v[117:118], v[8:9]
	v_mul_f64 v[8:9], v[119:120], v[8:9]
	s_delay_alu instid0(VALU_DEP_4) | instskip(NEXT) | instid1(VALU_DEP_4)
	v_fma_f64 v[15:16], v[109:110], v[2:3], -v[15:16]
	v_fma_f64 v[127:128], v[111:112], v[2:3], v[4:5]
	ds_load_b128 v[2:5], v1 offset:512
	scratch_load_b128 v[109:112], off, off offset:256
	v_fma_f64 v[119:120], v[119:120], v[6:7], v[125:126]
	v_fma_f64 v[117:118], v[117:118], v[6:7], -v[8:9]
	ds_load_b128 v[6:9], v1 offset:528
	s_waitcnt vmcnt(8) lgkmcnt(1)
	v_mul_f64 v[129:130], v[2:3], v[13:14]
	v_mul_f64 v[131:132], v[4:5], v[13:14]
	s_waitcnt vmcnt(7) lgkmcnt(0)
	v_mul_f64 v[133:134], v[6:7], v[91:92]
	v_mul_f64 v[91:92], v[8:9], v[91:92]
	v_add_f64 v[125:126], v[15:16], 0
	v_add_f64 v[127:128], v[127:128], 0
	scratch_load_b128 v[13:16], off, off offset:272
	v_fma_f64 v[129:130], v[4:5], v[11:12], v[129:130]
	v_fma_f64 v[11:12], v[2:3], v[11:12], -v[131:132]
	ds_load_b128 v[2:5], v1 offset:544
	v_fma_f64 v[133:134], v[8:9], v[89:90], v[133:134]
	v_fma_f64 v[135:136], v[6:7], v[89:90], -v[91:92]
	ds_load_b128 v[6:9], v1 offset:560
	scratch_load_b128 v[89:92], off, off offset:304
	v_add_f64 v[125:126], v[125:126], v[117:118]
	v_add_f64 v[127:128], v[127:128], v[119:120]
	scratch_load_b128 v[117:120], off, off offset:288
	s_waitcnt vmcnt(9) lgkmcnt(1)
	v_mul_f64 v[131:132], v[2:3], v[95:96]
	v_mul_f64 v[95:96], v[4:5], v[95:96]
	v_add_f64 v[11:12], v[125:126], v[11:12]
	v_add_f64 v[125:126], v[127:128], v[129:130]
	s_waitcnt vmcnt(8) lgkmcnt(0)
	v_mul_f64 v[127:128], v[6:7], v[99:100]
	v_mul_f64 v[99:100], v[8:9], v[99:100]
	v_fma_f64 v[129:130], v[4:5], v[93:94], v[131:132]
	v_fma_f64 v[131:132], v[2:3], v[93:94], -v[95:96]
	scratch_load_b128 v[93:96], off, off offset:320
	ds_load_b128 v[2:5], v1 offset:576
	v_add_f64 v[11:12], v[11:12], v[135:136]
	v_add_f64 v[125:126], v[125:126], v[133:134]
	v_fma_f64 v[127:128], v[8:9], v[97:98], v[127:128]
	v_fma_f64 v[135:136], v[6:7], v[97:98], -v[99:100]
	ds_load_b128 v[6:9], v1 offset:592
	s_waitcnt vmcnt(8) lgkmcnt(1)
	v_mul_f64 v[133:134], v[2:3], v[103:104]
	v_mul_f64 v[103:104], v[4:5], v[103:104]
	scratch_load_b128 v[97:100], off, off offset:336
	v_add_f64 v[11:12], v[11:12], v[131:132]
	v_add_f64 v[125:126], v[125:126], v[129:130]
	s_waitcnt vmcnt(8) lgkmcnt(0)
	v_mul_f64 v[129:130], v[6:7], v[107:108]
	v_mul_f64 v[107:108], v[8:9], v[107:108]
	v_fma_f64 v[131:132], v[4:5], v[101:102], v[133:134]
	v_fma_f64 v[133:134], v[2:3], v[101:102], -v[103:104]
	scratch_load_b128 v[101:104], off, off offset:352
	ds_load_b128 v[2:5], v1 offset:608
	v_add_f64 v[11:12], v[11:12], v[135:136]
	v_add_f64 v[125:126], v[125:126], v[127:128]
	v_fma_f64 v[129:130], v[8:9], v[105:106], v[129:130]
	v_fma_f64 v[135:136], v[6:7], v[105:106], -v[107:108]
	ds_load_b128 v[6:9], v1 offset:624
	s_waitcnt vmcnt(8) lgkmcnt(1)
	v_mul_f64 v[127:128], v[2:3], v[115:116]
	v_mul_f64 v[115:116], v[4:5], v[115:116]
	scratch_load_b128 v[105:108], off, off offset:368
	v_add_f64 v[11:12], v[11:12], v[133:134]
	v_add_f64 v[125:126], v[125:126], v[131:132]
	s_waitcnt vmcnt(8) lgkmcnt(0)
	v_mul_f64 v[131:132], v[6:7], v[123:124]
	v_mul_f64 v[123:124], v[8:9], v[123:124]
	v_fma_f64 v[127:128], v[4:5], v[113:114], v[127:128]
	v_fma_f64 v[113:114], v[2:3], v[113:114], -v[115:116]
	ds_load_b128 v[2:5], v1 offset:640
	v_add_f64 v[11:12], v[11:12], v[135:136]
	v_add_f64 v[115:116], v[125:126], v[129:130]
	v_fma_f64 v[129:130], v[8:9], v[121:122], v[131:132]
	v_fma_f64 v[121:122], v[6:7], v[121:122], -v[123:124]
	ds_load_b128 v[6:9], v1 offset:656
	s_waitcnt vmcnt(7) lgkmcnt(1)
	v_mul_f64 v[125:126], v[2:3], v[111:112]
	v_mul_f64 v[111:112], v[4:5], v[111:112]
	v_add_f64 v[11:12], v[11:12], v[113:114]
	v_add_f64 v[113:114], v[115:116], v[127:128]
	s_delay_alu instid0(VALU_DEP_4) | instskip(NEXT) | instid1(VALU_DEP_4)
	v_fma_f64 v[123:124], v[4:5], v[109:110], v[125:126]
	v_fma_f64 v[125:126], v[2:3], v[109:110], -v[111:112]
	scratch_load_b128 v[109:112], off, off offset:80
	s_waitcnt vmcnt(7) lgkmcnt(0)
	v_mul_f64 v[115:116], v[6:7], v[15:16]
	v_mul_f64 v[15:16], v[8:9], v[15:16]
	ds_load_b128 v[2:5], v1 offset:672
	v_add_f64 v[11:12], v[11:12], v[121:122]
	v_add_f64 v[113:114], v[113:114], v[129:130]
	v_fma_f64 v[115:116], v[8:9], v[13:14], v[115:116]
	v_fma_f64 v[13:14], v[6:7], v[13:14], -v[15:16]
	ds_load_b128 v[6:9], v1 offset:688
	s_waitcnt vmcnt(5) lgkmcnt(1)
	v_mul_f64 v[121:122], v[2:3], v[119:120]
	v_mul_f64 v[119:120], v[4:5], v[119:120]
	v_add_f64 v[11:12], v[11:12], v[125:126]
	v_add_f64 v[15:16], v[113:114], v[123:124]
	s_waitcnt lgkmcnt(0)
	v_mul_f64 v[113:114], v[6:7], v[91:92]
	v_mul_f64 v[91:92], v[8:9], v[91:92]
	v_fma_f64 v[121:122], v[4:5], v[117:118], v[121:122]
	v_fma_f64 v[117:118], v[2:3], v[117:118], -v[119:120]
	ds_load_b128 v[2:5], v1 offset:704
	v_add_f64 v[11:12], v[11:12], v[13:14]
	v_add_f64 v[13:14], v[15:16], v[115:116]
	v_fma_f64 v[113:114], v[8:9], v[89:90], v[113:114]
	v_fma_f64 v[89:90], v[6:7], v[89:90], -v[91:92]
	ds_load_b128 v[6:9], v1 offset:720
	s_waitcnt vmcnt(4) lgkmcnt(1)
	v_mul_f64 v[15:16], v[2:3], v[95:96]
	v_mul_f64 v[95:96], v[4:5], v[95:96]
	s_waitcnt vmcnt(3) lgkmcnt(0)
	v_mul_f64 v[91:92], v[6:7], v[99:100]
	v_mul_f64 v[99:100], v[8:9], v[99:100]
	v_add_f64 v[11:12], v[11:12], v[117:118]
	v_add_f64 v[13:14], v[13:14], v[121:122]
	v_fma_f64 v[15:16], v[4:5], v[93:94], v[15:16]
	v_fma_f64 v[93:94], v[2:3], v[93:94], -v[95:96]
	ds_load_b128 v[2:5], v1 offset:736
	v_fma_f64 v[91:92], v[8:9], v[97:98], v[91:92]
	v_fma_f64 v[97:98], v[6:7], v[97:98], -v[99:100]
	ds_load_b128 v[6:9], v1 offset:752
	s_waitcnt vmcnt(2) lgkmcnt(1)
	v_mul_f64 v[95:96], v[4:5], v[103:104]
	v_add_f64 v[11:12], v[11:12], v[89:90]
	v_add_f64 v[13:14], v[13:14], v[113:114]
	v_mul_f64 v[89:90], v[2:3], v[103:104]
	s_delay_alu instid0(VALU_DEP_4) | instskip(NEXT) | instid1(VALU_DEP_4)
	v_fma_f64 v[1:2], v[2:3], v[101:102], -v[95:96]
	v_add_f64 v[11:12], v[11:12], v[93:94]
	s_delay_alu instid0(VALU_DEP_4)
	v_add_f64 v[13:14], v[13:14], v[15:16]
	s_waitcnt vmcnt(1) lgkmcnt(0)
	v_mul_f64 v[15:16], v[6:7], v[107:108]
	v_mul_f64 v[93:94], v[8:9], v[107:108]
	v_fma_f64 v[4:5], v[4:5], v[101:102], v[89:90]
	v_add_f64 v[11:12], v[11:12], v[97:98]
	v_add_f64 v[13:14], v[13:14], v[91:92]
	v_fma_f64 v[8:9], v[8:9], v[105:106], v[15:16]
	v_fma_f64 v[6:7], v[6:7], v[105:106], -v[93:94]
	s_delay_alu instid0(VALU_DEP_4) | instskip(NEXT) | instid1(VALU_DEP_4)
	v_add_f64 v[1:2], v[11:12], v[1:2]
	v_add_f64 v[3:4], v[13:14], v[4:5]
	s_delay_alu instid0(VALU_DEP_2) | instskip(NEXT) | instid1(VALU_DEP_2)
	v_add_f64 v[1:2], v[1:2], v[6:7]
	v_add_f64 v[3:4], v[3:4], v[8:9]
	s_waitcnt vmcnt(0)
	s_delay_alu instid0(VALU_DEP_2) | instskip(NEXT) | instid1(VALU_DEP_2)
	v_add_f64 v[1:2], v[109:110], -v[1:2]
	v_add_f64 v[3:4], v[111:112], -v[3:4]
	scratch_store_b128 off, v[1:4], off offset:80
	v_cmpx_lt_u32_e32 4, v65
	s_cbranch_execz .LBB87_149
; %bb.148:
	scratch_load_b128 v[1:4], v66, off
	v_mov_b32_e32 v5, 0
	s_delay_alu instid0(VALU_DEP_1)
	v_mov_b32_e32 v6, v5
	v_mov_b32_e32 v7, v5
	;; [unrolled: 1-line block ×3, first 2 shown]
	scratch_store_b128 off, v[5:8], off offset:64
	s_waitcnt vmcnt(0)
	ds_store_b128 v10, v[1:4]
.LBB87_149:
	s_or_b32 exec_lo, exec_lo, s2
	s_waitcnt lgkmcnt(0)
	s_waitcnt_vscnt null, 0x0
	s_barrier
	buffer_gl0_inv
	s_clause 0x7
	scratch_load_b128 v[2:5], off, off offset:80
	scratch_load_b128 v[6:9], off, off offset:96
	;; [unrolled: 1-line block ×8, first 2 shown]
	v_mov_b32_e32 v1, 0
	s_clause 0x1
	scratch_load_b128 v[113:116], off, off offset:208
	scratch_load_b128 v[121:124], off, off offset:224
	s_mov_b32 s2, exec_lo
	ds_load_b128 v[109:112], v1 offset:464
	ds_load_b128 v[117:120], v1 offset:480
	s_waitcnt vmcnt(9) lgkmcnt(1)
	v_mul_f64 v[15:16], v[111:112], v[4:5]
	v_mul_f64 v[4:5], v[109:110], v[4:5]
	s_waitcnt vmcnt(8) lgkmcnt(0)
	v_mul_f64 v[125:126], v[117:118], v[8:9]
	v_mul_f64 v[8:9], v[119:120], v[8:9]
	s_delay_alu instid0(VALU_DEP_4) | instskip(NEXT) | instid1(VALU_DEP_4)
	v_fma_f64 v[15:16], v[109:110], v[2:3], -v[15:16]
	v_fma_f64 v[127:128], v[111:112], v[2:3], v[4:5]
	ds_load_b128 v[2:5], v1 offset:496
	scratch_load_b128 v[109:112], off, off offset:240
	v_fma_f64 v[119:120], v[119:120], v[6:7], v[125:126]
	v_fma_f64 v[117:118], v[117:118], v[6:7], -v[8:9]
	ds_load_b128 v[6:9], v1 offset:512
	s_waitcnt vmcnt(8) lgkmcnt(1)
	v_mul_f64 v[129:130], v[2:3], v[13:14]
	v_mul_f64 v[131:132], v[4:5], v[13:14]
	s_waitcnt vmcnt(7) lgkmcnt(0)
	v_mul_f64 v[133:134], v[6:7], v[91:92]
	v_mul_f64 v[91:92], v[8:9], v[91:92]
	v_add_f64 v[125:126], v[15:16], 0
	scratch_load_b128 v[13:16], off, off offset:256
	v_add_f64 v[127:128], v[127:128], 0
	v_fma_f64 v[129:130], v[4:5], v[11:12], v[129:130]
	v_fma_f64 v[11:12], v[2:3], v[11:12], -v[131:132]
	ds_load_b128 v[2:5], v1 offset:528
	v_fma_f64 v[133:134], v[8:9], v[89:90], v[133:134]
	v_fma_f64 v[135:136], v[6:7], v[89:90], -v[91:92]
	ds_load_b128 v[6:9], v1 offset:544
	scratch_load_b128 v[89:92], off, off offset:288
	v_add_f64 v[125:126], v[125:126], v[117:118]
	v_add_f64 v[127:128], v[127:128], v[119:120]
	scratch_load_b128 v[117:120], off, off offset:272
	s_waitcnt vmcnt(9) lgkmcnt(1)
	v_mul_f64 v[131:132], v[2:3], v[95:96]
	v_mul_f64 v[95:96], v[4:5], v[95:96]
	v_add_f64 v[11:12], v[125:126], v[11:12]
	v_add_f64 v[125:126], v[127:128], v[129:130]
	s_waitcnt vmcnt(8) lgkmcnt(0)
	v_mul_f64 v[127:128], v[6:7], v[99:100]
	v_mul_f64 v[99:100], v[8:9], v[99:100]
	v_fma_f64 v[129:130], v[4:5], v[93:94], v[131:132]
	v_fma_f64 v[131:132], v[2:3], v[93:94], -v[95:96]
	ds_load_b128 v[2:5], v1 offset:560
	scratch_load_b128 v[93:96], off, off offset:304
	v_add_f64 v[11:12], v[11:12], v[135:136]
	v_add_f64 v[125:126], v[125:126], v[133:134]
	v_fma_f64 v[127:128], v[8:9], v[97:98], v[127:128]
	v_fma_f64 v[135:136], v[6:7], v[97:98], -v[99:100]
	ds_load_b128 v[6:9], v1 offset:576
	s_waitcnt vmcnt(8) lgkmcnt(1)
	v_mul_f64 v[133:134], v[2:3], v[103:104]
	v_mul_f64 v[103:104], v[4:5], v[103:104]
	scratch_load_b128 v[97:100], off, off offset:320
	v_add_f64 v[11:12], v[11:12], v[131:132]
	v_add_f64 v[125:126], v[125:126], v[129:130]
	s_waitcnt vmcnt(8) lgkmcnt(0)
	v_mul_f64 v[129:130], v[6:7], v[107:108]
	v_mul_f64 v[107:108], v[8:9], v[107:108]
	v_fma_f64 v[131:132], v[4:5], v[101:102], v[133:134]
	v_fma_f64 v[133:134], v[2:3], v[101:102], -v[103:104]
	scratch_load_b128 v[101:104], off, off offset:336
	ds_load_b128 v[2:5], v1 offset:592
	v_add_f64 v[11:12], v[11:12], v[135:136]
	v_add_f64 v[125:126], v[125:126], v[127:128]
	v_fma_f64 v[129:130], v[8:9], v[105:106], v[129:130]
	v_fma_f64 v[135:136], v[6:7], v[105:106], -v[107:108]
	ds_load_b128 v[6:9], v1 offset:608
	s_waitcnt vmcnt(8) lgkmcnt(1)
	v_mul_f64 v[127:128], v[2:3], v[115:116]
	v_mul_f64 v[115:116], v[4:5], v[115:116]
	scratch_load_b128 v[105:108], off, off offset:352
	v_add_f64 v[11:12], v[11:12], v[133:134]
	v_add_f64 v[125:126], v[125:126], v[131:132]
	s_waitcnt vmcnt(8) lgkmcnt(0)
	v_mul_f64 v[131:132], v[6:7], v[123:124]
	v_mul_f64 v[123:124], v[8:9], v[123:124]
	v_fma_f64 v[127:128], v[4:5], v[113:114], v[127:128]
	v_fma_f64 v[133:134], v[2:3], v[113:114], -v[115:116]
	scratch_load_b128 v[113:116], off, off offset:368
	ds_load_b128 v[2:5], v1 offset:624
	v_add_f64 v[11:12], v[11:12], v[135:136]
	v_add_f64 v[125:126], v[125:126], v[129:130]
	v_fma_f64 v[131:132], v[8:9], v[121:122], v[131:132]
	v_fma_f64 v[121:122], v[6:7], v[121:122], -v[123:124]
	ds_load_b128 v[6:9], v1 offset:640
	s_waitcnt vmcnt(8) lgkmcnt(1)
	v_mul_f64 v[129:130], v[2:3], v[111:112]
	v_mul_f64 v[111:112], v[4:5], v[111:112]
	v_add_f64 v[11:12], v[11:12], v[133:134]
	v_add_f64 v[123:124], v[125:126], v[127:128]
	s_waitcnt vmcnt(7) lgkmcnt(0)
	v_mul_f64 v[125:126], v[6:7], v[15:16]
	v_mul_f64 v[15:16], v[8:9], v[15:16]
	v_fma_f64 v[127:128], v[4:5], v[109:110], v[129:130]
	v_fma_f64 v[109:110], v[2:3], v[109:110], -v[111:112]
	ds_load_b128 v[2:5], v1 offset:656
	v_add_f64 v[11:12], v[11:12], v[121:122]
	v_add_f64 v[111:112], v[123:124], v[131:132]
	v_fma_f64 v[123:124], v[8:9], v[13:14], v[125:126]
	v_fma_f64 v[15:16], v[6:7], v[13:14], -v[15:16]
	ds_load_b128 v[6:9], v1 offset:672
	v_add_f64 v[109:110], v[11:12], v[109:110]
	scratch_load_b128 v[11:14], off, off offset:64
	s_waitcnt vmcnt(6) lgkmcnt(1)
	v_mul_f64 v[121:122], v[2:3], v[119:120]
	v_mul_f64 v[119:120], v[4:5], v[119:120]
	v_add_f64 v[111:112], v[111:112], v[127:128]
	s_waitcnt lgkmcnt(0)
	v_mul_f64 v[125:126], v[6:7], v[91:92]
	v_mul_f64 v[91:92], v[8:9], v[91:92]
	v_add_f64 v[15:16], v[109:110], v[15:16]
	v_fma_f64 v[121:122], v[4:5], v[117:118], v[121:122]
	v_fma_f64 v[117:118], v[2:3], v[117:118], -v[119:120]
	v_add_f64 v[109:110], v[111:112], v[123:124]
	ds_load_b128 v[2:5], v1 offset:688
	v_fma_f64 v[119:120], v[8:9], v[89:90], v[125:126]
	v_fma_f64 v[89:90], v[6:7], v[89:90], -v[91:92]
	ds_load_b128 v[6:9], v1 offset:704
	s_waitcnt vmcnt(5) lgkmcnt(1)
	v_mul_f64 v[111:112], v[2:3], v[95:96]
	v_mul_f64 v[95:96], v[4:5], v[95:96]
	v_add_f64 v[15:16], v[15:16], v[117:118]
	v_add_f64 v[91:92], v[109:110], v[121:122]
	s_waitcnt vmcnt(4) lgkmcnt(0)
	v_mul_f64 v[109:110], v[6:7], v[99:100]
	v_mul_f64 v[99:100], v[8:9], v[99:100]
	v_fma_f64 v[111:112], v[4:5], v[93:94], v[111:112]
	v_fma_f64 v[93:94], v[2:3], v[93:94], -v[95:96]
	ds_load_b128 v[2:5], v1 offset:720
	v_add_f64 v[15:16], v[15:16], v[89:90]
	v_add_f64 v[89:90], v[91:92], v[119:120]
	s_waitcnt vmcnt(3) lgkmcnt(0)
	v_mul_f64 v[91:92], v[2:3], v[103:104]
	v_mul_f64 v[95:96], v[4:5], v[103:104]
	v_fma_f64 v[103:104], v[8:9], v[97:98], v[109:110]
	v_fma_f64 v[97:98], v[6:7], v[97:98], -v[99:100]
	ds_load_b128 v[6:9], v1 offset:736
	v_add_f64 v[15:16], v[15:16], v[93:94]
	v_add_f64 v[89:90], v[89:90], v[111:112]
	v_fma_f64 v[91:92], v[4:5], v[101:102], v[91:92]
	v_fma_f64 v[95:96], v[2:3], v[101:102], -v[95:96]
	ds_load_b128 v[2:5], v1 offset:752
	s_waitcnt vmcnt(2) lgkmcnt(1)
	v_mul_f64 v[93:94], v[6:7], v[107:108]
	v_mul_f64 v[99:100], v[8:9], v[107:108]
	s_waitcnt vmcnt(1) lgkmcnt(0)
	v_mul_f64 v[101:102], v[4:5], v[115:116]
	v_add_f64 v[15:16], v[15:16], v[97:98]
	v_add_f64 v[89:90], v[89:90], v[103:104]
	v_mul_f64 v[97:98], v[2:3], v[115:116]
	v_fma_f64 v[8:9], v[8:9], v[105:106], v[93:94]
	v_fma_f64 v[6:7], v[6:7], v[105:106], -v[99:100]
	v_fma_f64 v[2:3], v[2:3], v[113:114], -v[101:102]
	v_add_f64 v[15:16], v[15:16], v[95:96]
	v_add_f64 v[89:90], v[89:90], v[91:92]
	v_fma_f64 v[4:5], v[4:5], v[113:114], v[97:98]
	s_delay_alu instid0(VALU_DEP_3) | instskip(NEXT) | instid1(VALU_DEP_3)
	v_add_f64 v[6:7], v[15:16], v[6:7]
	v_add_f64 v[8:9], v[89:90], v[8:9]
	s_delay_alu instid0(VALU_DEP_2) | instskip(NEXT) | instid1(VALU_DEP_2)
	v_add_f64 v[2:3], v[6:7], v[2:3]
	v_add_f64 v[4:5], v[8:9], v[4:5]
	s_waitcnt vmcnt(0)
	s_delay_alu instid0(VALU_DEP_2) | instskip(NEXT) | instid1(VALU_DEP_2)
	v_add_f64 v[2:3], v[11:12], -v[2:3]
	v_add_f64 v[4:5], v[13:14], -v[4:5]
	scratch_store_b128 off, v[2:5], off offset:64
	v_cmpx_lt_u32_e32 3, v65
	s_cbranch_execz .LBB87_151
; %bb.150:
	scratch_load_b128 v[5:8], v68, off
	v_mov_b32_e32 v2, v1
	v_mov_b32_e32 v3, v1
	;; [unrolled: 1-line block ×3, first 2 shown]
	scratch_store_b128 off, v[1:4], off offset:48
	s_waitcnt vmcnt(0)
	ds_store_b128 v10, v[5:8]
.LBB87_151:
	s_or_b32 exec_lo, exec_lo, s2
	s_waitcnt lgkmcnt(0)
	s_waitcnt_vscnt null, 0x0
	s_barrier
	buffer_gl0_inv
	s_clause 0x7
	scratch_load_b128 v[2:5], off, off offset:64
	scratch_load_b128 v[6:9], off, off offset:80
	;; [unrolled: 1-line block ×8, first 2 shown]
	ds_load_b128 v[109:112], v1 offset:448
	ds_load_b128 v[117:120], v1 offset:464
	s_clause 0x1
	scratch_load_b128 v[113:116], off, off offset:192
	scratch_load_b128 v[121:124], off, off offset:208
	s_mov_b32 s2, exec_lo
	s_waitcnt vmcnt(9) lgkmcnt(1)
	v_mul_f64 v[15:16], v[111:112], v[4:5]
	v_mul_f64 v[4:5], v[109:110], v[4:5]
	s_waitcnt vmcnt(8) lgkmcnt(0)
	v_mul_f64 v[125:126], v[117:118], v[8:9]
	v_mul_f64 v[8:9], v[119:120], v[8:9]
	s_delay_alu instid0(VALU_DEP_4) | instskip(NEXT) | instid1(VALU_DEP_4)
	v_fma_f64 v[15:16], v[109:110], v[2:3], -v[15:16]
	v_fma_f64 v[127:128], v[111:112], v[2:3], v[4:5]
	ds_load_b128 v[2:5], v1 offset:480
	scratch_load_b128 v[109:112], off, off offset:224
	v_fma_f64 v[119:120], v[119:120], v[6:7], v[125:126]
	v_fma_f64 v[117:118], v[117:118], v[6:7], -v[8:9]
	ds_load_b128 v[6:9], v1 offset:496
	s_waitcnt vmcnt(8) lgkmcnt(1)
	v_mul_f64 v[129:130], v[2:3], v[13:14]
	v_mul_f64 v[131:132], v[4:5], v[13:14]
	s_waitcnt vmcnt(7) lgkmcnt(0)
	v_mul_f64 v[133:134], v[6:7], v[91:92]
	v_mul_f64 v[91:92], v[8:9], v[91:92]
	v_add_f64 v[125:126], v[15:16], 0
	scratch_load_b128 v[13:16], off, off offset:240
	v_add_f64 v[127:128], v[127:128], 0
	v_fma_f64 v[129:130], v[4:5], v[11:12], v[129:130]
	v_fma_f64 v[11:12], v[2:3], v[11:12], -v[131:132]
	ds_load_b128 v[2:5], v1 offset:512
	v_fma_f64 v[133:134], v[8:9], v[89:90], v[133:134]
	v_fma_f64 v[135:136], v[6:7], v[89:90], -v[91:92]
	ds_load_b128 v[6:9], v1 offset:528
	scratch_load_b128 v[89:92], off, off offset:272
	v_add_f64 v[125:126], v[125:126], v[117:118]
	v_add_f64 v[127:128], v[127:128], v[119:120]
	scratch_load_b128 v[117:120], off, off offset:256
	s_waitcnt vmcnt(9) lgkmcnt(1)
	v_mul_f64 v[131:132], v[2:3], v[95:96]
	v_mul_f64 v[95:96], v[4:5], v[95:96]
	v_add_f64 v[11:12], v[125:126], v[11:12]
	v_add_f64 v[125:126], v[127:128], v[129:130]
	s_waitcnt vmcnt(8) lgkmcnt(0)
	v_mul_f64 v[127:128], v[6:7], v[99:100]
	v_mul_f64 v[99:100], v[8:9], v[99:100]
	v_fma_f64 v[129:130], v[4:5], v[93:94], v[131:132]
	v_fma_f64 v[131:132], v[2:3], v[93:94], -v[95:96]
	scratch_load_b128 v[93:96], off, off offset:288
	ds_load_b128 v[2:5], v1 offset:544
	v_add_f64 v[11:12], v[11:12], v[135:136]
	v_add_f64 v[125:126], v[125:126], v[133:134]
	v_fma_f64 v[127:128], v[8:9], v[97:98], v[127:128]
	v_fma_f64 v[135:136], v[6:7], v[97:98], -v[99:100]
	ds_load_b128 v[6:9], v1 offset:560
	s_waitcnt vmcnt(8) lgkmcnt(1)
	v_mul_f64 v[133:134], v[2:3], v[103:104]
	v_mul_f64 v[103:104], v[4:5], v[103:104]
	scratch_load_b128 v[97:100], off, off offset:304
	v_add_f64 v[11:12], v[11:12], v[131:132]
	v_add_f64 v[125:126], v[125:126], v[129:130]
	s_waitcnt vmcnt(8) lgkmcnt(0)
	v_mul_f64 v[129:130], v[6:7], v[107:108]
	v_mul_f64 v[107:108], v[8:9], v[107:108]
	v_fma_f64 v[131:132], v[4:5], v[101:102], v[133:134]
	v_fma_f64 v[133:134], v[2:3], v[101:102], -v[103:104]
	scratch_load_b128 v[101:104], off, off offset:320
	ds_load_b128 v[2:5], v1 offset:576
	v_add_f64 v[11:12], v[11:12], v[135:136]
	v_add_f64 v[125:126], v[125:126], v[127:128]
	v_fma_f64 v[129:130], v[8:9], v[105:106], v[129:130]
	v_fma_f64 v[135:136], v[6:7], v[105:106], -v[107:108]
	ds_load_b128 v[6:9], v1 offset:592
	s_waitcnt vmcnt(8) lgkmcnt(1)
	v_mul_f64 v[127:128], v[2:3], v[115:116]
	v_mul_f64 v[115:116], v[4:5], v[115:116]
	scratch_load_b128 v[105:108], off, off offset:336
	v_add_f64 v[11:12], v[11:12], v[133:134]
	v_add_f64 v[125:126], v[125:126], v[131:132]
	s_waitcnt vmcnt(8) lgkmcnt(0)
	v_mul_f64 v[131:132], v[6:7], v[123:124]
	v_mul_f64 v[123:124], v[8:9], v[123:124]
	v_fma_f64 v[127:128], v[4:5], v[113:114], v[127:128]
	v_fma_f64 v[133:134], v[2:3], v[113:114], -v[115:116]
	scratch_load_b128 v[113:116], off, off offset:352
	ds_load_b128 v[2:5], v1 offset:608
	v_add_f64 v[11:12], v[11:12], v[135:136]
	v_add_f64 v[125:126], v[125:126], v[129:130]
	v_fma_f64 v[131:132], v[8:9], v[121:122], v[131:132]
	v_fma_f64 v[135:136], v[6:7], v[121:122], -v[123:124]
	ds_load_b128 v[6:9], v1 offset:624
	scratch_load_b128 v[121:124], off, off offset:368
	s_waitcnt vmcnt(9) lgkmcnt(1)
	v_mul_f64 v[129:130], v[2:3], v[111:112]
	v_mul_f64 v[111:112], v[4:5], v[111:112]
	v_add_f64 v[11:12], v[11:12], v[133:134]
	v_add_f64 v[125:126], v[125:126], v[127:128]
	s_waitcnt vmcnt(8) lgkmcnt(0)
	v_mul_f64 v[127:128], v[6:7], v[15:16]
	v_mul_f64 v[15:16], v[8:9], v[15:16]
	v_fma_f64 v[129:130], v[4:5], v[109:110], v[129:130]
	v_fma_f64 v[109:110], v[2:3], v[109:110], -v[111:112]
	ds_load_b128 v[2:5], v1 offset:640
	v_add_f64 v[11:12], v[11:12], v[135:136]
	v_add_f64 v[111:112], v[125:126], v[131:132]
	v_fma_f64 v[127:128], v[8:9], v[13:14], v[127:128]
	v_fma_f64 v[13:14], v[6:7], v[13:14], -v[15:16]
	ds_load_b128 v[6:9], v1 offset:656
	s_waitcnt vmcnt(6) lgkmcnt(1)
	v_mul_f64 v[125:126], v[2:3], v[119:120]
	v_mul_f64 v[119:120], v[4:5], v[119:120]
	v_add_f64 v[11:12], v[11:12], v[109:110]
	v_add_f64 v[15:16], v[111:112], v[129:130]
	s_delay_alu instid0(VALU_DEP_4) | instskip(NEXT) | instid1(VALU_DEP_4)
	v_fma_f64 v[111:112], v[4:5], v[117:118], v[125:126]
	v_fma_f64 v[117:118], v[2:3], v[117:118], -v[119:120]
	ds_load_b128 v[2:5], v1 offset:672
	v_add_f64 v[119:120], v[11:12], v[13:14]
	scratch_load_b128 v[11:14], off, off offset:48
	s_waitcnt lgkmcnt(1)
	v_mul_f64 v[109:110], v[6:7], v[91:92]
	v_mul_f64 v[91:92], v[8:9], v[91:92]
	v_add_f64 v[15:16], v[15:16], v[127:128]
	s_delay_alu instid0(VALU_DEP_3) | instskip(NEXT) | instid1(VALU_DEP_3)
	v_fma_f64 v[109:110], v[8:9], v[89:90], v[109:110]
	v_fma_f64 v[89:90], v[6:7], v[89:90], -v[91:92]
	ds_load_b128 v[6:9], v1 offset:688
	s_waitcnt vmcnt(6) lgkmcnt(1)
	v_mul_f64 v[125:126], v[2:3], v[95:96]
	v_mul_f64 v[95:96], v[4:5], v[95:96]
	v_add_f64 v[91:92], v[119:120], v[117:118]
	v_add_f64 v[15:16], v[15:16], v[111:112]
	s_waitcnt vmcnt(5) lgkmcnt(0)
	v_mul_f64 v[111:112], v[6:7], v[99:100]
	v_mul_f64 v[99:100], v[8:9], v[99:100]
	v_fma_f64 v[117:118], v[4:5], v[93:94], v[125:126]
	v_fma_f64 v[93:94], v[2:3], v[93:94], -v[95:96]
	v_add_f64 v[89:90], v[91:92], v[89:90]
	v_add_f64 v[15:16], v[15:16], v[109:110]
	ds_load_b128 v[2:5], v1 offset:704
	s_waitcnt vmcnt(4) lgkmcnt(0)
	v_mul_f64 v[91:92], v[2:3], v[103:104]
	v_mul_f64 v[95:96], v[4:5], v[103:104]
	v_fma_f64 v[103:104], v[8:9], v[97:98], v[111:112]
	v_fma_f64 v[97:98], v[6:7], v[97:98], -v[99:100]
	ds_load_b128 v[6:9], v1 offset:720
	v_add_f64 v[89:90], v[89:90], v[93:94]
	v_add_f64 v[15:16], v[15:16], v[117:118]
	v_fma_f64 v[91:92], v[4:5], v[101:102], v[91:92]
	v_fma_f64 v[95:96], v[2:3], v[101:102], -v[95:96]
	ds_load_b128 v[2:5], v1 offset:736
	s_waitcnt vmcnt(3) lgkmcnt(1)
	v_mul_f64 v[93:94], v[6:7], v[107:108]
	v_mul_f64 v[99:100], v[8:9], v[107:108]
	v_add_f64 v[89:90], v[89:90], v[97:98]
	v_add_f64 v[15:16], v[15:16], v[103:104]
	s_waitcnt vmcnt(2) lgkmcnt(0)
	v_mul_f64 v[97:98], v[2:3], v[115:116]
	v_mul_f64 v[101:102], v[4:5], v[115:116]
	v_fma_f64 v[93:94], v[8:9], v[105:106], v[93:94]
	v_fma_f64 v[99:100], v[6:7], v[105:106], -v[99:100]
	ds_load_b128 v[6:9], v1 offset:752
	v_add_f64 v[89:90], v[89:90], v[95:96]
	v_add_f64 v[15:16], v[15:16], v[91:92]
	v_fma_f64 v[4:5], v[4:5], v[113:114], v[97:98]
	v_fma_f64 v[1:2], v[2:3], v[113:114], -v[101:102]
	s_waitcnt vmcnt(1) lgkmcnt(0)
	v_mul_f64 v[91:92], v[6:7], v[123:124]
	v_mul_f64 v[95:96], v[8:9], v[123:124]
	v_add_f64 v[89:90], v[89:90], v[99:100]
	v_add_f64 v[15:16], v[15:16], v[93:94]
	s_delay_alu instid0(VALU_DEP_4) | instskip(NEXT) | instid1(VALU_DEP_4)
	v_fma_f64 v[8:9], v[8:9], v[121:122], v[91:92]
	v_fma_f64 v[6:7], v[6:7], v[121:122], -v[95:96]
	s_delay_alu instid0(VALU_DEP_4) | instskip(NEXT) | instid1(VALU_DEP_4)
	v_add_f64 v[1:2], v[89:90], v[1:2]
	v_add_f64 v[3:4], v[15:16], v[4:5]
	s_delay_alu instid0(VALU_DEP_2) | instskip(NEXT) | instid1(VALU_DEP_2)
	v_add_f64 v[1:2], v[1:2], v[6:7]
	v_add_f64 v[3:4], v[3:4], v[8:9]
	s_waitcnt vmcnt(0)
	s_delay_alu instid0(VALU_DEP_2) | instskip(NEXT) | instid1(VALU_DEP_2)
	v_add_f64 v[1:2], v[11:12], -v[1:2]
	v_add_f64 v[3:4], v[13:14], -v[3:4]
	scratch_store_b128 off, v[1:4], off offset:48
	v_cmpx_lt_u32_e32 2, v65
	s_cbranch_execz .LBB87_153
; %bb.152:
	scratch_load_b128 v[1:4], v67, off
	v_mov_b32_e32 v5, 0
	s_delay_alu instid0(VALU_DEP_1)
	v_mov_b32_e32 v6, v5
	v_mov_b32_e32 v7, v5
	;; [unrolled: 1-line block ×3, first 2 shown]
	scratch_store_b128 off, v[5:8], off offset:32
	s_waitcnt vmcnt(0)
	ds_store_b128 v10, v[1:4]
.LBB87_153:
	s_or_b32 exec_lo, exec_lo, s2
	s_waitcnt lgkmcnt(0)
	s_waitcnt_vscnt null, 0x0
	s_barrier
	buffer_gl0_inv
	s_clause 0x7
	scratch_load_b128 v[2:5], off, off offset:48
	scratch_load_b128 v[6:9], off, off offset:64
	;; [unrolled: 1-line block ×8, first 2 shown]
	v_mov_b32_e32 v1, 0
	s_clause 0x1
	scratch_load_b128 v[113:116], off, off offset:176
	scratch_load_b128 v[121:124], off, off offset:192
	s_mov_b32 s2, exec_lo
	ds_load_b128 v[109:112], v1 offset:432
	ds_load_b128 v[117:120], v1 offset:448
	s_waitcnt vmcnt(9) lgkmcnt(1)
	v_mul_f64 v[15:16], v[111:112], v[4:5]
	v_mul_f64 v[4:5], v[109:110], v[4:5]
	s_waitcnt vmcnt(8) lgkmcnt(0)
	v_mul_f64 v[125:126], v[117:118], v[8:9]
	v_mul_f64 v[8:9], v[119:120], v[8:9]
	s_delay_alu instid0(VALU_DEP_4) | instskip(NEXT) | instid1(VALU_DEP_4)
	v_fma_f64 v[15:16], v[109:110], v[2:3], -v[15:16]
	v_fma_f64 v[127:128], v[111:112], v[2:3], v[4:5]
	ds_load_b128 v[2:5], v1 offset:464
	scratch_load_b128 v[109:112], off, off offset:208
	v_fma_f64 v[119:120], v[119:120], v[6:7], v[125:126]
	v_fma_f64 v[117:118], v[117:118], v[6:7], -v[8:9]
	ds_load_b128 v[6:9], v1 offset:480
	s_waitcnt vmcnt(8) lgkmcnt(1)
	v_mul_f64 v[129:130], v[2:3], v[13:14]
	v_mul_f64 v[131:132], v[4:5], v[13:14]
	s_waitcnt vmcnt(7) lgkmcnt(0)
	v_mul_f64 v[133:134], v[6:7], v[91:92]
	v_mul_f64 v[91:92], v[8:9], v[91:92]
	v_add_f64 v[125:126], v[15:16], 0
	scratch_load_b128 v[13:16], off, off offset:224
	v_add_f64 v[127:128], v[127:128], 0
	v_fma_f64 v[129:130], v[4:5], v[11:12], v[129:130]
	v_fma_f64 v[11:12], v[2:3], v[11:12], -v[131:132]
	ds_load_b128 v[2:5], v1 offset:496
	v_fma_f64 v[133:134], v[8:9], v[89:90], v[133:134]
	v_fma_f64 v[135:136], v[6:7], v[89:90], -v[91:92]
	ds_load_b128 v[6:9], v1 offset:512
	scratch_load_b128 v[89:92], off, off offset:256
	v_add_f64 v[125:126], v[125:126], v[117:118]
	v_add_f64 v[127:128], v[127:128], v[119:120]
	scratch_load_b128 v[117:120], off, off offset:240
	s_waitcnt vmcnt(9) lgkmcnt(1)
	v_mul_f64 v[131:132], v[2:3], v[95:96]
	v_mul_f64 v[95:96], v[4:5], v[95:96]
	v_add_f64 v[11:12], v[125:126], v[11:12]
	v_add_f64 v[125:126], v[127:128], v[129:130]
	s_waitcnt vmcnt(8) lgkmcnt(0)
	v_mul_f64 v[127:128], v[6:7], v[99:100]
	v_mul_f64 v[99:100], v[8:9], v[99:100]
	v_fma_f64 v[129:130], v[4:5], v[93:94], v[131:132]
	v_fma_f64 v[131:132], v[2:3], v[93:94], -v[95:96]
	ds_load_b128 v[2:5], v1 offset:528
	scratch_load_b128 v[93:96], off, off offset:272
	v_add_f64 v[11:12], v[11:12], v[135:136]
	v_add_f64 v[125:126], v[125:126], v[133:134]
	v_fma_f64 v[127:128], v[8:9], v[97:98], v[127:128]
	v_fma_f64 v[135:136], v[6:7], v[97:98], -v[99:100]
	ds_load_b128 v[6:9], v1 offset:544
	s_waitcnt vmcnt(8) lgkmcnt(1)
	v_mul_f64 v[133:134], v[2:3], v[103:104]
	v_mul_f64 v[103:104], v[4:5], v[103:104]
	scratch_load_b128 v[97:100], off, off offset:288
	v_add_f64 v[11:12], v[11:12], v[131:132]
	v_add_f64 v[125:126], v[125:126], v[129:130]
	s_waitcnt vmcnt(8) lgkmcnt(0)
	v_mul_f64 v[129:130], v[6:7], v[107:108]
	v_mul_f64 v[107:108], v[8:9], v[107:108]
	v_fma_f64 v[131:132], v[4:5], v[101:102], v[133:134]
	v_fma_f64 v[133:134], v[2:3], v[101:102], -v[103:104]
	scratch_load_b128 v[101:104], off, off offset:304
	ds_load_b128 v[2:5], v1 offset:560
	v_add_f64 v[11:12], v[11:12], v[135:136]
	v_add_f64 v[125:126], v[125:126], v[127:128]
	v_fma_f64 v[129:130], v[8:9], v[105:106], v[129:130]
	v_fma_f64 v[135:136], v[6:7], v[105:106], -v[107:108]
	ds_load_b128 v[6:9], v1 offset:576
	s_waitcnt vmcnt(8) lgkmcnt(1)
	v_mul_f64 v[127:128], v[2:3], v[115:116]
	v_mul_f64 v[115:116], v[4:5], v[115:116]
	scratch_load_b128 v[105:108], off, off offset:320
	v_add_f64 v[11:12], v[11:12], v[133:134]
	v_add_f64 v[125:126], v[125:126], v[131:132]
	s_waitcnt vmcnt(8) lgkmcnt(0)
	v_mul_f64 v[131:132], v[6:7], v[123:124]
	v_mul_f64 v[123:124], v[8:9], v[123:124]
	v_fma_f64 v[127:128], v[4:5], v[113:114], v[127:128]
	v_fma_f64 v[133:134], v[2:3], v[113:114], -v[115:116]
	scratch_load_b128 v[113:116], off, off offset:336
	ds_load_b128 v[2:5], v1 offset:592
	v_add_f64 v[11:12], v[11:12], v[135:136]
	v_add_f64 v[125:126], v[125:126], v[129:130]
	v_fma_f64 v[131:132], v[8:9], v[121:122], v[131:132]
	v_fma_f64 v[135:136], v[6:7], v[121:122], -v[123:124]
	ds_load_b128 v[6:9], v1 offset:608
	scratch_load_b128 v[121:124], off, off offset:352
	s_waitcnt vmcnt(9) lgkmcnt(1)
	v_mul_f64 v[129:130], v[2:3], v[111:112]
	v_mul_f64 v[111:112], v[4:5], v[111:112]
	v_add_f64 v[11:12], v[11:12], v[133:134]
	v_add_f64 v[125:126], v[125:126], v[127:128]
	s_waitcnt vmcnt(8) lgkmcnt(0)
	v_mul_f64 v[127:128], v[6:7], v[15:16]
	v_mul_f64 v[15:16], v[8:9], v[15:16]
	v_fma_f64 v[129:130], v[4:5], v[109:110], v[129:130]
	v_fma_f64 v[133:134], v[2:3], v[109:110], -v[111:112]
	scratch_load_b128 v[109:112], off, off offset:368
	ds_load_b128 v[2:5], v1 offset:624
	v_add_f64 v[11:12], v[11:12], v[135:136]
	v_add_f64 v[125:126], v[125:126], v[131:132]
	v_fma_f64 v[127:128], v[8:9], v[13:14], v[127:128]
	v_fma_f64 v[13:14], v[6:7], v[13:14], -v[15:16]
	ds_load_b128 v[6:9], v1 offset:640
	s_waitcnt vmcnt(7) lgkmcnt(1)
	v_mul_f64 v[131:132], v[2:3], v[119:120]
	v_mul_f64 v[119:120], v[4:5], v[119:120]
	v_add_f64 v[11:12], v[11:12], v[133:134]
	v_add_f64 v[15:16], v[125:126], v[129:130]
	s_waitcnt lgkmcnt(0)
	v_mul_f64 v[125:126], v[6:7], v[91:92]
	v_mul_f64 v[91:92], v[8:9], v[91:92]
	v_fma_f64 v[129:130], v[4:5], v[117:118], v[131:132]
	v_fma_f64 v[117:118], v[2:3], v[117:118], -v[119:120]
	ds_load_b128 v[2:5], v1 offset:656
	v_add_f64 v[11:12], v[11:12], v[13:14]
	v_add_f64 v[13:14], v[15:16], v[127:128]
	v_fma_f64 v[119:120], v[8:9], v[89:90], v[125:126]
	v_fma_f64 v[89:90], v[6:7], v[89:90], -v[91:92]
	ds_load_b128 v[6:9], v1 offset:672
	s_waitcnt vmcnt(5) lgkmcnt(0)
	v_mul_f64 v[125:126], v[6:7], v[99:100]
	v_mul_f64 v[99:100], v[8:9], v[99:100]
	v_add_f64 v[91:92], v[11:12], v[117:118]
	v_add_f64 v[117:118], v[13:14], v[129:130]
	scratch_load_b128 v[11:14], off, off offset:32
	v_mul_f64 v[15:16], v[2:3], v[95:96]
	v_mul_f64 v[95:96], v[4:5], v[95:96]
	v_add_f64 v[89:90], v[91:92], v[89:90]
	v_add_f64 v[91:92], v[117:118], v[119:120]
	v_fma_f64 v[117:118], v[8:9], v[97:98], v[125:126]
	v_fma_f64 v[15:16], v[4:5], v[93:94], v[15:16]
	v_fma_f64 v[93:94], v[2:3], v[93:94], -v[95:96]
	ds_load_b128 v[2:5], v1 offset:688
	v_fma_f64 v[97:98], v[6:7], v[97:98], -v[99:100]
	ds_load_b128 v[6:9], v1 offset:704
	s_waitcnt vmcnt(5) lgkmcnt(1)
	v_mul_f64 v[95:96], v[2:3], v[103:104]
	v_mul_f64 v[103:104], v[4:5], v[103:104]
	v_add_f64 v[15:16], v[91:92], v[15:16]
	v_add_f64 v[89:90], v[89:90], v[93:94]
	s_waitcnt vmcnt(4) lgkmcnt(0)
	v_mul_f64 v[91:92], v[6:7], v[107:108]
	v_mul_f64 v[93:94], v[8:9], v[107:108]
	v_fma_f64 v[95:96], v[4:5], v[101:102], v[95:96]
	v_fma_f64 v[99:100], v[2:3], v[101:102], -v[103:104]
	ds_load_b128 v[2:5], v1 offset:720
	v_add_f64 v[15:16], v[15:16], v[117:118]
	v_add_f64 v[89:90], v[89:90], v[97:98]
	v_fma_f64 v[91:92], v[8:9], v[105:106], v[91:92]
	v_fma_f64 v[93:94], v[6:7], v[105:106], -v[93:94]
	ds_load_b128 v[6:9], v1 offset:736
	s_waitcnt vmcnt(3) lgkmcnt(1)
	v_mul_f64 v[97:98], v[2:3], v[115:116]
	v_mul_f64 v[101:102], v[4:5], v[115:116]
	v_add_f64 v[15:16], v[15:16], v[95:96]
	v_add_f64 v[89:90], v[89:90], v[99:100]
	s_waitcnt vmcnt(2) lgkmcnt(0)
	v_mul_f64 v[95:96], v[6:7], v[123:124]
	v_mul_f64 v[99:100], v[8:9], v[123:124]
	v_fma_f64 v[97:98], v[4:5], v[113:114], v[97:98]
	v_fma_f64 v[101:102], v[2:3], v[113:114], -v[101:102]
	ds_load_b128 v[2:5], v1 offset:752
	v_add_f64 v[15:16], v[15:16], v[91:92]
	v_add_f64 v[89:90], v[89:90], v[93:94]
	s_waitcnt vmcnt(1) lgkmcnt(0)
	v_mul_f64 v[91:92], v[2:3], v[111:112]
	v_mul_f64 v[93:94], v[4:5], v[111:112]
	v_fma_f64 v[8:9], v[8:9], v[121:122], v[95:96]
	v_fma_f64 v[6:7], v[6:7], v[121:122], -v[99:100]
	v_add_f64 v[15:16], v[15:16], v[97:98]
	v_add_f64 v[89:90], v[89:90], v[101:102]
	v_fma_f64 v[4:5], v[4:5], v[109:110], v[91:92]
	v_fma_f64 v[2:3], v[2:3], v[109:110], -v[93:94]
	s_delay_alu instid0(VALU_DEP_4) | instskip(NEXT) | instid1(VALU_DEP_4)
	v_add_f64 v[8:9], v[15:16], v[8:9]
	v_add_f64 v[6:7], v[89:90], v[6:7]
	s_delay_alu instid0(VALU_DEP_2) | instskip(NEXT) | instid1(VALU_DEP_2)
	v_add_f64 v[4:5], v[8:9], v[4:5]
	v_add_f64 v[2:3], v[6:7], v[2:3]
	s_waitcnt vmcnt(0)
	s_delay_alu instid0(VALU_DEP_2) | instskip(NEXT) | instid1(VALU_DEP_2)
	v_add_f64 v[4:5], v[13:14], -v[4:5]
	v_add_f64 v[2:3], v[11:12], -v[2:3]
	scratch_store_b128 off, v[2:5], off offset:32
	v_cmpx_lt_u32_e32 1, v65
	s_cbranch_execz .LBB87_155
; %bb.154:
	scratch_load_b128 v[5:8], v69, off
	v_mov_b32_e32 v2, v1
	v_mov_b32_e32 v3, v1
	;; [unrolled: 1-line block ×3, first 2 shown]
	scratch_store_b128 off, v[1:4], off offset:16
	s_waitcnt vmcnt(0)
	ds_store_b128 v10, v[5:8]
.LBB87_155:
	s_or_b32 exec_lo, exec_lo, s2
	s_waitcnt lgkmcnt(0)
	s_waitcnt_vscnt null, 0x0
	s_barrier
	buffer_gl0_inv
	s_clause 0x7
	scratch_load_b128 v[2:5], off, off offset:32
	scratch_load_b128 v[6:9], off, off offset:48
	;; [unrolled: 1-line block ×8, first 2 shown]
	ds_load_b128 v[109:112], v1 offset:416
	ds_load_b128 v[117:120], v1 offset:432
	s_clause 0x1
	scratch_load_b128 v[113:116], off, off offset:160
	scratch_load_b128 v[121:124], off, off offset:176
	s_mov_b32 s2, exec_lo
	s_waitcnt vmcnt(9) lgkmcnt(1)
	v_mul_f64 v[15:16], v[111:112], v[4:5]
	v_mul_f64 v[4:5], v[109:110], v[4:5]
	s_waitcnt vmcnt(8) lgkmcnt(0)
	v_mul_f64 v[125:126], v[117:118], v[8:9]
	v_mul_f64 v[8:9], v[119:120], v[8:9]
	s_delay_alu instid0(VALU_DEP_4) | instskip(NEXT) | instid1(VALU_DEP_4)
	v_fma_f64 v[15:16], v[109:110], v[2:3], -v[15:16]
	v_fma_f64 v[127:128], v[111:112], v[2:3], v[4:5]
	ds_load_b128 v[2:5], v1 offset:448
	scratch_load_b128 v[109:112], off, off offset:192
	v_fma_f64 v[119:120], v[119:120], v[6:7], v[125:126]
	v_fma_f64 v[117:118], v[117:118], v[6:7], -v[8:9]
	ds_load_b128 v[6:9], v1 offset:464
	s_waitcnt vmcnt(8) lgkmcnt(1)
	v_mul_f64 v[129:130], v[2:3], v[13:14]
	v_mul_f64 v[131:132], v[4:5], v[13:14]
	s_waitcnt vmcnt(7) lgkmcnt(0)
	v_mul_f64 v[133:134], v[6:7], v[91:92]
	v_mul_f64 v[91:92], v[8:9], v[91:92]
	v_add_f64 v[125:126], v[15:16], 0
	scratch_load_b128 v[13:16], off, off offset:208
	v_add_f64 v[127:128], v[127:128], 0
	v_fma_f64 v[129:130], v[4:5], v[11:12], v[129:130]
	v_fma_f64 v[11:12], v[2:3], v[11:12], -v[131:132]
	ds_load_b128 v[2:5], v1 offset:480
	v_fma_f64 v[133:134], v[8:9], v[89:90], v[133:134]
	v_fma_f64 v[135:136], v[6:7], v[89:90], -v[91:92]
	ds_load_b128 v[6:9], v1 offset:496
	scratch_load_b128 v[89:92], off, off offset:240
	v_add_f64 v[125:126], v[125:126], v[117:118]
	v_add_f64 v[127:128], v[127:128], v[119:120]
	scratch_load_b128 v[117:120], off, off offset:224
	s_waitcnt vmcnt(9) lgkmcnt(1)
	v_mul_f64 v[131:132], v[2:3], v[95:96]
	v_mul_f64 v[95:96], v[4:5], v[95:96]
	v_add_f64 v[11:12], v[125:126], v[11:12]
	v_add_f64 v[125:126], v[127:128], v[129:130]
	s_waitcnt vmcnt(8) lgkmcnt(0)
	v_mul_f64 v[127:128], v[6:7], v[99:100]
	v_mul_f64 v[99:100], v[8:9], v[99:100]
	v_fma_f64 v[129:130], v[4:5], v[93:94], v[131:132]
	v_fma_f64 v[131:132], v[2:3], v[93:94], -v[95:96]
	ds_load_b128 v[2:5], v1 offset:512
	scratch_load_b128 v[93:96], off, off offset:256
	v_add_f64 v[11:12], v[11:12], v[135:136]
	v_add_f64 v[125:126], v[125:126], v[133:134]
	v_fma_f64 v[127:128], v[8:9], v[97:98], v[127:128]
	v_fma_f64 v[135:136], v[6:7], v[97:98], -v[99:100]
	ds_load_b128 v[6:9], v1 offset:528
	s_waitcnt vmcnt(8) lgkmcnt(1)
	v_mul_f64 v[133:134], v[2:3], v[103:104]
	v_mul_f64 v[103:104], v[4:5], v[103:104]
	scratch_load_b128 v[97:100], off, off offset:272
	v_add_f64 v[11:12], v[11:12], v[131:132]
	v_add_f64 v[125:126], v[125:126], v[129:130]
	s_waitcnt vmcnt(8) lgkmcnt(0)
	v_mul_f64 v[129:130], v[6:7], v[107:108]
	v_mul_f64 v[107:108], v[8:9], v[107:108]
	v_fma_f64 v[131:132], v[4:5], v[101:102], v[133:134]
	v_fma_f64 v[133:134], v[2:3], v[101:102], -v[103:104]
	ds_load_b128 v[2:5], v1 offset:544
	scratch_load_b128 v[101:104], off, off offset:288
	v_add_f64 v[11:12], v[11:12], v[135:136]
	v_add_f64 v[125:126], v[125:126], v[127:128]
	v_fma_f64 v[129:130], v[8:9], v[105:106], v[129:130]
	v_fma_f64 v[135:136], v[6:7], v[105:106], -v[107:108]
	ds_load_b128 v[6:9], v1 offset:560
	s_waitcnt vmcnt(8) lgkmcnt(1)
	v_mul_f64 v[127:128], v[2:3], v[115:116]
	v_mul_f64 v[115:116], v[4:5], v[115:116]
	scratch_load_b128 v[105:108], off, off offset:304
	v_add_f64 v[11:12], v[11:12], v[133:134]
	v_add_f64 v[125:126], v[125:126], v[131:132]
	s_waitcnt vmcnt(8) lgkmcnt(0)
	v_mul_f64 v[131:132], v[6:7], v[123:124]
	v_mul_f64 v[123:124], v[8:9], v[123:124]
	v_fma_f64 v[127:128], v[4:5], v[113:114], v[127:128]
	v_fma_f64 v[133:134], v[2:3], v[113:114], -v[115:116]
	scratch_load_b128 v[113:116], off, off offset:320
	ds_load_b128 v[2:5], v1 offset:576
	v_add_f64 v[11:12], v[11:12], v[135:136]
	v_add_f64 v[125:126], v[125:126], v[129:130]
	v_fma_f64 v[131:132], v[8:9], v[121:122], v[131:132]
	v_fma_f64 v[135:136], v[6:7], v[121:122], -v[123:124]
	ds_load_b128 v[6:9], v1 offset:592
	scratch_load_b128 v[121:124], off, off offset:336
	s_waitcnt vmcnt(9) lgkmcnt(1)
	v_mul_f64 v[129:130], v[2:3], v[111:112]
	v_mul_f64 v[111:112], v[4:5], v[111:112]
	v_add_f64 v[11:12], v[11:12], v[133:134]
	v_add_f64 v[125:126], v[125:126], v[127:128]
	s_waitcnt vmcnt(8) lgkmcnt(0)
	v_mul_f64 v[127:128], v[6:7], v[15:16]
	v_mul_f64 v[15:16], v[8:9], v[15:16]
	v_fma_f64 v[129:130], v[4:5], v[109:110], v[129:130]
	v_fma_f64 v[133:134], v[2:3], v[109:110], -v[111:112]
	scratch_load_b128 v[109:112], off, off offset:352
	ds_load_b128 v[2:5], v1 offset:608
	v_add_f64 v[11:12], v[11:12], v[135:136]
	v_add_f64 v[125:126], v[125:126], v[131:132]
	v_fma_f64 v[127:128], v[8:9], v[13:14], v[127:128]
	v_fma_f64 v[15:16], v[6:7], v[13:14], -v[15:16]
	ds_load_b128 v[6:9], v1 offset:624
	s_waitcnt vmcnt(7) lgkmcnt(1)
	v_mul_f64 v[131:132], v[2:3], v[119:120]
	v_mul_f64 v[119:120], v[4:5], v[119:120]
	v_add_f64 v[133:134], v[11:12], v[133:134]
	scratch_load_b128 v[11:14], off, off offset:368
	v_add_f64 v[125:126], v[125:126], v[129:130]
	s_waitcnt lgkmcnt(0)
	v_mul_f64 v[129:130], v[6:7], v[91:92]
	v_mul_f64 v[91:92], v[8:9], v[91:92]
	v_fma_f64 v[131:132], v[4:5], v[117:118], v[131:132]
	v_fma_f64 v[117:118], v[2:3], v[117:118], -v[119:120]
	ds_load_b128 v[2:5], v1 offset:640
	v_add_f64 v[15:16], v[133:134], v[15:16]
	v_add_f64 v[119:120], v[125:126], v[127:128]
	v_fma_f64 v[127:128], v[8:9], v[89:90], v[129:130]
	v_fma_f64 v[89:90], v[6:7], v[89:90], -v[91:92]
	ds_load_b128 v[6:9], v1 offset:656
	s_waitcnt vmcnt(7) lgkmcnt(1)
	v_mul_f64 v[125:126], v[2:3], v[95:96]
	v_mul_f64 v[95:96], v[4:5], v[95:96]
	v_add_f64 v[15:16], v[15:16], v[117:118]
	v_add_f64 v[91:92], v[119:120], v[131:132]
	s_delay_alu instid0(VALU_DEP_4) | instskip(NEXT) | instid1(VALU_DEP_4)
	v_fma_f64 v[119:120], v[4:5], v[93:94], v[125:126]
	v_fma_f64 v[93:94], v[2:3], v[93:94], -v[95:96]
	ds_load_b128 v[2:5], v1 offset:672
	v_add_f64 v[15:16], v[15:16], v[89:90]
	v_add_f64 v[95:96], v[91:92], v[127:128]
	scratch_load_b128 v[89:92], off, off offset:16
	s_waitcnt vmcnt(7) lgkmcnt(1)
	v_mul_f64 v[117:118], v[6:7], v[99:100]
	v_mul_f64 v[99:100], v[8:9], v[99:100]
	v_add_f64 v[15:16], v[15:16], v[93:94]
	v_add_f64 v[93:94], v[95:96], v[119:120]
	s_delay_alu instid0(VALU_DEP_4) | instskip(NEXT) | instid1(VALU_DEP_4)
	v_fma_f64 v[117:118], v[8:9], v[97:98], v[117:118]
	v_fma_f64 v[97:98], v[6:7], v[97:98], -v[99:100]
	ds_load_b128 v[6:9], v1 offset:688
	s_waitcnt vmcnt(6) lgkmcnt(1)
	v_mul_f64 v[125:126], v[2:3], v[103:104]
	v_mul_f64 v[103:104], v[4:5], v[103:104]
	s_waitcnt vmcnt(5) lgkmcnt(0)
	v_mul_f64 v[95:96], v[6:7], v[107:108]
	v_mul_f64 v[99:100], v[8:9], v[107:108]
	v_add_f64 v[93:94], v[93:94], v[117:118]
	v_add_f64 v[15:16], v[15:16], v[97:98]
	v_fma_f64 v[107:108], v[4:5], v[101:102], v[125:126]
	v_fma_f64 v[101:102], v[2:3], v[101:102], -v[103:104]
	ds_load_b128 v[2:5], v1 offset:704
	v_fma_f64 v[95:96], v[8:9], v[105:106], v[95:96]
	v_fma_f64 v[99:100], v[6:7], v[105:106], -v[99:100]
	ds_load_b128 v[6:9], v1 offset:720
	s_waitcnt vmcnt(4) lgkmcnt(1)
	v_mul_f64 v[97:98], v[2:3], v[115:116]
	v_mul_f64 v[103:104], v[4:5], v[115:116]
	v_add_f64 v[93:94], v[93:94], v[107:108]
	v_add_f64 v[15:16], v[15:16], v[101:102]
	s_waitcnt vmcnt(3) lgkmcnt(0)
	v_mul_f64 v[101:102], v[6:7], v[123:124]
	v_mul_f64 v[105:106], v[8:9], v[123:124]
	v_fma_f64 v[97:98], v[4:5], v[113:114], v[97:98]
	v_fma_f64 v[103:104], v[2:3], v[113:114], -v[103:104]
	ds_load_b128 v[2:5], v1 offset:736
	v_add_f64 v[93:94], v[93:94], v[95:96]
	v_add_f64 v[15:16], v[15:16], v[99:100]
	v_fma_f64 v[101:102], v[8:9], v[121:122], v[101:102]
	v_fma_f64 v[105:106], v[6:7], v[121:122], -v[105:106]
	ds_load_b128 v[6:9], v1 offset:752
	s_waitcnt vmcnt(2) lgkmcnt(1)
	v_mul_f64 v[95:96], v[2:3], v[111:112]
	v_mul_f64 v[99:100], v[4:5], v[111:112]
	v_add_f64 v[93:94], v[93:94], v[97:98]
	v_add_f64 v[15:16], v[15:16], v[103:104]
	s_delay_alu instid0(VALU_DEP_4) | instskip(NEXT) | instid1(VALU_DEP_4)
	v_fma_f64 v[4:5], v[4:5], v[109:110], v[95:96]
	v_fma_f64 v[1:2], v[2:3], v[109:110], -v[99:100]
	s_waitcnt vmcnt(1) lgkmcnt(0)
	v_mul_f64 v[97:98], v[6:7], v[13:14]
	v_mul_f64 v[13:14], v[8:9], v[13:14]
	v_add_f64 v[93:94], v[93:94], v[101:102]
	v_add_f64 v[15:16], v[15:16], v[105:106]
	s_delay_alu instid0(VALU_DEP_4) | instskip(NEXT) | instid1(VALU_DEP_4)
	v_fma_f64 v[8:9], v[8:9], v[11:12], v[97:98]
	v_fma_f64 v[6:7], v[6:7], v[11:12], -v[13:14]
	s_delay_alu instid0(VALU_DEP_4) | instskip(NEXT) | instid1(VALU_DEP_4)
	v_add_f64 v[3:4], v[93:94], v[4:5]
	v_add_f64 v[1:2], v[15:16], v[1:2]
	s_delay_alu instid0(VALU_DEP_2) | instskip(NEXT) | instid1(VALU_DEP_2)
	v_add_f64 v[3:4], v[3:4], v[8:9]
	v_add_f64 v[1:2], v[1:2], v[6:7]
	s_waitcnt vmcnt(0)
	s_delay_alu instid0(VALU_DEP_2) | instskip(NEXT) | instid1(VALU_DEP_2)
	v_add_f64 v[3:4], v[91:92], -v[3:4]
	v_add_f64 v[1:2], v[89:90], -v[1:2]
	scratch_store_b128 off, v[1:4], off offset:16
	v_cmpx_ne_u32_e32 0, v65
	s_cbranch_execz .LBB87_157
; %bb.156:
	scratch_load_b128 v[1:4], off, off
	v_mov_b32_e32 v5, 0
	s_delay_alu instid0(VALU_DEP_1)
	v_mov_b32_e32 v6, v5
	v_mov_b32_e32 v7, v5
	;; [unrolled: 1-line block ×3, first 2 shown]
	scratch_store_b128 off, v[5:8], off
	s_waitcnt vmcnt(0)
	ds_store_b128 v10, v[1:4]
.LBB87_157:
	s_or_b32 exec_lo, exec_lo, s2
	s_waitcnt lgkmcnt(0)
	s_waitcnt_vscnt null, 0x0
	s_barrier
	buffer_gl0_inv
	s_clause 0x7
	scratch_load_b128 v[1:4], off, off offset:16
	scratch_load_b128 v[5:8], off, off offset:32
	;; [unrolled: 1-line block ×8, first 2 shown]
	v_mov_b32_e32 v89, 0
	s_and_b32 vcc_lo, exec_lo, s14
	ds_load_b128 v[106:109], v89 offset:400
	s_clause 0x1
	scratch_load_b128 v[110:113], off, off offset:144
	scratch_load_b128 v[114:117], off, off
	ds_load_b128 v[118:121], v89 offset:416
	scratch_load_b128 v[122:125], off, off offset:160
	s_waitcnt vmcnt(10) lgkmcnt(1)
	v_mul_f64 v[126:127], v[108:109], v[3:4]
	v_mul_f64 v[3:4], v[106:107], v[3:4]
	s_delay_alu instid0(VALU_DEP_2) | instskip(NEXT) | instid1(VALU_DEP_2)
	v_fma_f64 v[132:133], v[106:107], v[1:2], -v[126:127]
	v_fma_f64 v[134:135], v[108:109], v[1:2], v[3:4]
	scratch_load_b128 v[106:109], off, off offset:176
	ds_load_b128 v[1:4], v89 offset:432
	s_waitcnt vmcnt(10) lgkmcnt(1)
	v_mul_f64 v[130:131], v[118:119], v[7:8]
	v_mul_f64 v[7:8], v[120:121], v[7:8]
	ds_load_b128 v[126:129], v89 offset:448
	s_waitcnt vmcnt(9) lgkmcnt(1)
	v_mul_f64 v[136:137], v[1:2], v[11:12]
	v_mul_f64 v[11:12], v[3:4], v[11:12]
	v_fma_f64 v[120:121], v[120:121], v[5:6], v[130:131]
	v_fma_f64 v[118:119], v[118:119], v[5:6], -v[7:8]
	v_add_f64 v[130:131], v[132:133], 0
	v_add_f64 v[132:133], v[134:135], 0
	scratch_load_b128 v[5:8], off, off offset:192
	v_fma_f64 v[136:137], v[3:4], v[9:10], v[136:137]
	v_fma_f64 v[138:139], v[1:2], v[9:10], -v[11:12]
	scratch_load_b128 v[9:12], off, off offset:208
	ds_load_b128 v[1:4], v89 offset:464
	s_waitcnt vmcnt(10) lgkmcnt(1)
	v_mul_f64 v[134:135], v[126:127], v[15:16]
	v_mul_f64 v[15:16], v[128:129], v[15:16]
	v_add_f64 v[130:131], v[130:131], v[118:119]
	v_add_f64 v[132:133], v[132:133], v[120:121]
	s_waitcnt vmcnt(9) lgkmcnt(0)
	v_mul_f64 v[140:141], v[1:2], v[92:93]
	v_mul_f64 v[92:93], v[3:4], v[92:93]
	ds_load_b128 v[118:121], v89 offset:480
	v_fma_f64 v[128:129], v[128:129], v[13:14], v[134:135]
	v_fma_f64 v[126:127], v[126:127], v[13:14], -v[15:16]
	scratch_load_b128 v[13:16], off, off offset:224
	v_add_f64 v[130:131], v[130:131], v[138:139]
	v_add_f64 v[132:133], v[132:133], v[136:137]
	v_fma_f64 v[136:137], v[3:4], v[90:91], v[140:141]
	v_fma_f64 v[138:139], v[1:2], v[90:91], -v[92:93]
	scratch_load_b128 v[90:93], off, off offset:240
	ds_load_b128 v[1:4], v89 offset:496
	s_waitcnt vmcnt(10) lgkmcnt(1)
	v_mul_f64 v[134:135], v[118:119], v[96:97]
	v_mul_f64 v[96:97], v[120:121], v[96:97]
	s_waitcnt vmcnt(9) lgkmcnt(0)
	v_mul_f64 v[140:141], v[1:2], v[100:101]
	v_mul_f64 v[100:101], v[3:4], v[100:101]
	v_add_f64 v[130:131], v[130:131], v[126:127]
	v_add_f64 v[132:133], v[132:133], v[128:129]
	ds_load_b128 v[126:129], v89 offset:512
	v_fma_f64 v[120:121], v[120:121], v[94:95], v[134:135]
	v_fma_f64 v[118:119], v[118:119], v[94:95], -v[96:97]
	scratch_load_b128 v[94:97], off, off offset:256
	v_add_f64 v[130:131], v[130:131], v[138:139]
	v_add_f64 v[132:133], v[132:133], v[136:137]
	v_fma_f64 v[136:137], v[3:4], v[98:99], v[140:141]
	v_fma_f64 v[138:139], v[1:2], v[98:99], -v[100:101]
	scratch_load_b128 v[98:101], off, off offset:272
	ds_load_b128 v[1:4], v89 offset:528
	s_waitcnt vmcnt(10) lgkmcnt(1)
	v_mul_f64 v[134:135], v[126:127], v[104:105]
	v_mul_f64 v[104:105], v[128:129], v[104:105]
	s_waitcnt vmcnt(9) lgkmcnt(0)
	v_mul_f64 v[140:141], v[1:2], v[112:113]
	v_mul_f64 v[112:113], v[3:4], v[112:113]
	v_add_f64 v[130:131], v[130:131], v[118:119]
	v_add_f64 v[132:133], v[132:133], v[120:121]
	ds_load_b128 v[118:121], v89 offset:544
	v_fma_f64 v[128:129], v[128:129], v[102:103], v[134:135]
	v_fma_f64 v[126:127], v[126:127], v[102:103], -v[104:105]
	scratch_load_b128 v[102:105], off, off offset:288
	v_add_f64 v[130:131], v[130:131], v[138:139]
	v_add_f64 v[132:133], v[132:133], v[136:137]
	v_fma_f64 v[138:139], v[3:4], v[110:111], v[140:141]
	v_fma_f64 v[140:141], v[1:2], v[110:111], -v[112:113]
	scratch_load_b128 v[110:113], off, off offset:304
	ds_load_b128 v[1:4], v89 offset:560
	s_waitcnt vmcnt(9) lgkmcnt(1)
	v_mul_f64 v[134:135], v[118:119], v[124:125]
	v_mul_f64 v[136:137], v[120:121], v[124:125]
	v_add_f64 v[130:131], v[130:131], v[126:127]
	v_add_f64 v[128:129], v[132:133], v[128:129]
	ds_load_b128 v[124:127], v89 offset:576
	v_fma_f64 v[134:135], v[120:121], v[122:123], v[134:135]
	v_fma_f64 v[122:123], v[118:119], v[122:123], -v[136:137]
	scratch_load_b128 v[118:121], off, off offset:320
	s_waitcnt vmcnt(9) lgkmcnt(1)
	v_mul_f64 v[132:133], v[1:2], v[108:109]
	v_mul_f64 v[108:109], v[3:4], v[108:109]
	v_add_f64 v[130:131], v[130:131], v[140:141]
	v_add_f64 v[128:129], v[128:129], v[138:139]
	s_delay_alu instid0(VALU_DEP_4) | instskip(NEXT) | instid1(VALU_DEP_4)
	v_fma_f64 v[132:133], v[3:4], v[106:107], v[132:133]
	v_fma_f64 v[138:139], v[1:2], v[106:107], -v[108:109]
	scratch_load_b128 v[106:109], off, off offset:336
	ds_load_b128 v[1:4], v89 offset:592
	s_waitcnt vmcnt(9) lgkmcnt(1)
	v_mul_f64 v[136:137], v[124:125], v[7:8]
	v_mul_f64 v[7:8], v[126:127], v[7:8]
	s_waitcnt vmcnt(8) lgkmcnt(0)
	v_mul_f64 v[140:141], v[1:2], v[11:12]
	v_mul_f64 v[11:12], v[3:4], v[11:12]
	v_add_f64 v[122:123], v[130:131], v[122:123]
	v_add_f64 v[134:135], v[128:129], v[134:135]
	ds_load_b128 v[128:131], v89 offset:608
	v_fma_f64 v[126:127], v[126:127], v[5:6], v[136:137]
	v_fma_f64 v[124:125], v[124:125], v[5:6], -v[7:8]
	scratch_load_b128 v[5:8], off, off offset:352
	v_fma_f64 v[136:137], v[3:4], v[9:10], v[140:141]
	v_add_f64 v[122:123], v[122:123], v[138:139]
	v_add_f64 v[132:133], v[134:135], v[132:133]
	v_fma_f64 v[138:139], v[1:2], v[9:10], -v[11:12]
	scratch_load_b128 v[9:12], off, off offset:368
	ds_load_b128 v[1:4], v89 offset:624
	s_waitcnt vmcnt(9) lgkmcnt(1)
	v_mul_f64 v[134:135], v[128:129], v[15:16]
	v_mul_f64 v[15:16], v[130:131], v[15:16]
	v_add_f64 v[140:141], v[122:123], v[124:125]
	v_add_f64 v[126:127], v[132:133], v[126:127]
	s_waitcnt vmcnt(8) lgkmcnt(0)
	v_mul_f64 v[132:133], v[1:2], v[92:93]
	v_mul_f64 v[92:93], v[3:4], v[92:93]
	ds_load_b128 v[122:125], v89 offset:640
	v_fma_f64 v[130:131], v[130:131], v[13:14], v[134:135]
	v_fma_f64 v[13:14], v[128:129], v[13:14], -v[15:16]
	s_waitcnt vmcnt(7) lgkmcnt(0)
	v_mul_f64 v[128:129], v[122:123], v[96:97]
	v_mul_f64 v[96:97], v[124:125], v[96:97]
	v_add_f64 v[15:16], v[140:141], v[138:139]
	v_add_f64 v[126:127], v[126:127], v[136:137]
	v_fma_f64 v[132:133], v[3:4], v[90:91], v[132:133]
	v_fma_f64 v[90:91], v[1:2], v[90:91], -v[92:93]
	v_fma_f64 v[124:125], v[124:125], v[94:95], v[128:129]
	v_fma_f64 v[94:95], v[122:123], v[94:95], -v[96:97]
	v_add_f64 v[92:93], v[15:16], v[13:14]
	v_add_f64 v[126:127], v[126:127], v[130:131]
	ds_load_b128 v[1:4], v89 offset:656
	ds_load_b128 v[13:16], v89 offset:672
	s_waitcnt vmcnt(6) lgkmcnt(1)
	v_mul_f64 v[130:131], v[1:2], v[100:101]
	v_mul_f64 v[100:101], v[3:4], v[100:101]
	s_waitcnt vmcnt(5) lgkmcnt(0)
	v_mul_f64 v[96:97], v[13:14], v[104:105]
	v_mul_f64 v[104:105], v[15:16], v[104:105]
	v_add_f64 v[90:91], v[92:93], v[90:91]
	v_add_f64 v[92:93], v[126:127], v[132:133]
	v_fma_f64 v[122:123], v[3:4], v[98:99], v[130:131]
	v_fma_f64 v[98:99], v[1:2], v[98:99], -v[100:101]
	v_fma_f64 v[15:16], v[15:16], v[102:103], v[96:97]
	v_fma_f64 v[13:14], v[13:14], v[102:103], -v[104:105]
	v_add_f64 v[94:95], v[90:91], v[94:95]
	v_add_f64 v[100:101], v[92:93], v[124:125]
	ds_load_b128 v[1:4], v89 offset:688
	ds_load_b128 v[90:93], v89 offset:704
	s_waitcnt vmcnt(4) lgkmcnt(1)
	v_mul_f64 v[124:125], v[1:2], v[112:113]
	v_mul_f64 v[112:113], v[3:4], v[112:113]
	v_add_f64 v[94:95], v[94:95], v[98:99]
	v_add_f64 v[96:97], v[100:101], v[122:123]
	s_waitcnt vmcnt(3) lgkmcnt(0)
	v_mul_f64 v[98:99], v[90:91], v[120:121]
	v_mul_f64 v[100:101], v[92:93], v[120:121]
	v_fma_f64 v[102:103], v[3:4], v[110:111], v[124:125]
	v_fma_f64 v[104:105], v[1:2], v[110:111], -v[112:113]
	v_add_f64 v[94:95], v[94:95], v[13:14]
	v_add_f64 v[96:97], v[96:97], v[15:16]
	ds_load_b128 v[1:4], v89 offset:720
	ds_load_b128 v[13:16], v89 offset:736
	v_fma_f64 v[92:93], v[92:93], v[118:119], v[98:99]
	v_fma_f64 v[90:91], v[90:91], v[118:119], -v[100:101]
	s_waitcnt vmcnt(2) lgkmcnt(1)
	v_mul_f64 v[110:111], v[1:2], v[108:109]
	v_mul_f64 v[108:109], v[3:4], v[108:109]
	s_waitcnt vmcnt(1) lgkmcnt(0)
	v_mul_f64 v[98:99], v[13:14], v[7:8]
	v_mul_f64 v[7:8], v[15:16], v[7:8]
	v_add_f64 v[94:95], v[94:95], v[104:105]
	v_add_f64 v[96:97], v[96:97], v[102:103]
	v_fma_f64 v[100:101], v[3:4], v[106:107], v[110:111]
	v_fma_f64 v[102:103], v[1:2], v[106:107], -v[108:109]
	ds_load_b128 v[1:4], v89 offset:752
	v_fma_f64 v[15:16], v[15:16], v[5:6], v[98:99]
	v_fma_f64 v[5:6], v[13:14], v[5:6], -v[7:8]
	v_add_f64 v[90:91], v[94:95], v[90:91]
	v_add_f64 v[92:93], v[96:97], v[92:93]
	s_waitcnt vmcnt(0) lgkmcnt(0)
	v_mul_f64 v[94:95], v[1:2], v[11:12]
	v_mul_f64 v[11:12], v[3:4], v[11:12]
	s_delay_alu instid0(VALU_DEP_4) | instskip(NEXT) | instid1(VALU_DEP_4)
	v_add_f64 v[7:8], v[90:91], v[102:103]
	v_add_f64 v[13:14], v[92:93], v[100:101]
	s_delay_alu instid0(VALU_DEP_4) | instskip(NEXT) | instid1(VALU_DEP_4)
	v_fma_f64 v[3:4], v[3:4], v[9:10], v[94:95]
	v_fma_f64 v[1:2], v[1:2], v[9:10], -v[11:12]
	s_delay_alu instid0(VALU_DEP_4) | instskip(NEXT) | instid1(VALU_DEP_4)
	v_add_f64 v[5:6], v[7:8], v[5:6]
	v_add_f64 v[7:8], v[13:14], v[15:16]
	s_delay_alu instid0(VALU_DEP_2) | instskip(NEXT) | instid1(VALU_DEP_2)
	v_add_f64 v[1:2], v[5:6], v[1:2]
	v_add_f64 v[3:4], v[7:8], v[3:4]
	s_delay_alu instid0(VALU_DEP_2) | instskip(NEXT) | instid1(VALU_DEP_2)
	v_add_f64 v[1:2], v[114:115], -v[1:2]
	v_add_f64 v[3:4], v[116:117], -v[3:4]
	scratch_store_b128 off, v[1:4], off
	s_cbranch_vccz .LBB87_205
; %bb.158:
	v_dual_mov_b32 v1, s8 :: v_dual_mov_b32 v2, s9
	s_load_b64 s[0:1], s[0:1], 0x4
	flat_load_b32 v1, v[1:2] offset:88
	v_bfe_u32 v2, v0, 10, 10
	v_bfe_u32 v0, v0, 20, 10
	s_waitcnt lgkmcnt(0)
	s_lshr_b32 s0, s0, 16
	s_delay_alu instid0(VALU_DEP_2) | instskip(SKIP_1) | instid1(SALU_CYCLE_1)
	v_mul_u32_u24_e32 v2, s1, v2
	s_mul_i32 s0, s0, s1
	v_mul_u32_u24_e32 v3, s0, v65
	s_mov_b32 s0, exec_lo
	s_delay_alu instid0(VALU_DEP_1) | instskip(NEXT) | instid1(VALU_DEP_1)
	v_add3_u32 v0, v3, v2, v0
	v_lshl_add_u32 v0, v0, 4, 0x308
	s_waitcnt vmcnt(0)
	v_cmpx_ne_u32_e32 23, v1
	s_cbranch_execz .LBB87_160
; %bb.159:
	v_lshl_add_u32 v9, v1, 4, 0
	s_clause 0x1
	scratch_load_b128 v[1:4], v81, off
	scratch_load_b128 v[5:8], v9, off offset:-16
	s_waitcnt vmcnt(1)
	ds_store_2addr_b64 v0, v[1:2], v[3:4] offset1:1
	s_waitcnt vmcnt(0)
	s_clause 0x1
	scratch_store_b128 v81, v[5:8], off
	scratch_store_b128 v9, v[1:4], off offset:-16
.LBB87_160:
	s_or_b32 exec_lo, exec_lo, s0
	v_dual_mov_b32 v1, s8 :: v_dual_mov_b32 v2, s9
	s_mov_b32 s0, exec_lo
	flat_load_b32 v1, v[1:2] offset:84
	s_waitcnt vmcnt(0) lgkmcnt(0)
	v_cmpx_ne_u32_e32 22, v1
	s_cbranch_execz .LBB87_162
; %bb.161:
	v_lshl_add_u32 v9, v1, 4, 0
	s_clause 0x1
	scratch_load_b128 v[1:4], v73, off
	scratch_load_b128 v[5:8], v9, off offset:-16
	s_waitcnt vmcnt(1)
	ds_store_2addr_b64 v0, v[1:2], v[3:4] offset1:1
	s_waitcnt vmcnt(0)
	s_clause 0x1
	scratch_store_b128 v73, v[5:8], off
	scratch_store_b128 v9, v[1:4], off offset:-16
.LBB87_162:
	s_or_b32 exec_lo, exec_lo, s0
	v_dual_mov_b32 v1, s8 :: v_dual_mov_b32 v2, s9
	s_mov_b32 s0, exec_lo
	flat_load_b32 v1, v[1:2] offset:80
	s_waitcnt vmcnt(0) lgkmcnt(0)
	;; [unrolled: 19-line block ×21, first 2 shown]
	v_cmpx_ne_u32_e32 2, v1
	s_cbranch_execz .LBB87_202
; %bb.201:
	v_lshl_add_u32 v9, v1, 4, 0
	s_clause 0x1
	scratch_load_b128 v[1:4], v69, off
	scratch_load_b128 v[5:8], v9, off offset:-16
	s_waitcnt vmcnt(1)
	ds_store_2addr_b64 v0, v[1:2], v[3:4] offset1:1
	s_waitcnt vmcnt(0)
	s_clause 0x1
	scratch_store_b128 v69, v[5:8], off
	scratch_store_b128 v9, v[1:4], off offset:-16
.LBB87_202:
	s_or_b32 exec_lo, exec_lo, s0
	v_dual_mov_b32 v1, s8 :: v_dual_mov_b32 v2, s9
	s_mov_b32 s0, exec_lo
	flat_load_b32 v1, v[1:2]
	s_waitcnt vmcnt(0) lgkmcnt(0)
	v_cmpx_ne_u32_e32 1, v1
	s_cbranch_execz .LBB87_204
; %bb.203:
	v_lshl_add_u32 v9, v1, 4, 0
	scratch_load_b128 v[1:4], off, off
	scratch_load_b128 v[5:8], v9, off offset:-16
	s_waitcnt vmcnt(1)
	ds_store_2addr_b64 v0, v[1:2], v[3:4] offset1:1
	s_waitcnt vmcnt(0)
	scratch_store_b128 off, v[5:8], off
	scratch_store_b128 v9, v[1:4], off offset:-16
.LBB87_204:
	s_or_b32 exec_lo, exec_lo, s0
.LBB87_205:
	scratch_load_b128 v[0:3], off, off
	s_clause 0x14
	scratch_load_b128 v[4:7], v69, off
	scratch_load_b128 v[8:11], v67, off
	;; [unrolled: 1-line block ×21, first 2 shown]
	s_waitcnt vmcnt(21)
	global_store_b128 v[17:18], v[0:3], off
	s_clause 0x1
	scratch_load_b128 v[0:3], v81, off
	scratch_load_b128 v[145:148], v80, off
	s_waitcnt vmcnt(22)
	global_store_b128 v[19:20], v[4:7], off
	s_waitcnt vmcnt(21)
	global_store_b128 v[21:22], v[8:11], off
	;; [unrolled: 2-line block ×23, first 2 shown]
	s_endpgm
	.section	.rodata,"a",@progbits
	.p2align	6, 0x0
	.amdhsa_kernel _ZN9rocsolver6v33100L18getri_kernel_smallILi24E19rocblas_complex_numIdEPKPS3_EEvT1_iilPiilS8_bb
		.amdhsa_group_segment_fixed_size 1800
		.amdhsa_private_segment_fixed_size 400
		.amdhsa_kernarg_size 60
		.amdhsa_user_sgpr_count 15
		.amdhsa_user_sgpr_dispatch_ptr 1
		.amdhsa_user_sgpr_queue_ptr 0
		.amdhsa_user_sgpr_kernarg_segment_ptr 1
		.amdhsa_user_sgpr_dispatch_id 0
		.amdhsa_user_sgpr_private_segment_size 0
		.amdhsa_wavefront_size32 1
		.amdhsa_uses_dynamic_stack 0
		.amdhsa_enable_private_segment 1
		.amdhsa_system_sgpr_workgroup_id_x 1
		.amdhsa_system_sgpr_workgroup_id_y 0
		.amdhsa_system_sgpr_workgroup_id_z 0
		.amdhsa_system_sgpr_workgroup_info 0
		.amdhsa_system_vgpr_workitem_id 2
		.amdhsa_next_free_vgpr 149
		.amdhsa_next_free_sgpr 19
		.amdhsa_reserve_vcc 1
		.amdhsa_float_round_mode_32 0
		.amdhsa_float_round_mode_16_64 0
		.amdhsa_float_denorm_mode_32 3
		.amdhsa_float_denorm_mode_16_64 3
		.amdhsa_dx10_clamp 1
		.amdhsa_ieee_mode 1
		.amdhsa_fp16_overflow 0
		.amdhsa_workgroup_processor_mode 1
		.amdhsa_memory_ordered 1
		.amdhsa_forward_progress 0
		.amdhsa_shared_vgpr_count 0
		.amdhsa_exception_fp_ieee_invalid_op 0
		.amdhsa_exception_fp_denorm_src 0
		.amdhsa_exception_fp_ieee_div_zero 0
		.amdhsa_exception_fp_ieee_overflow 0
		.amdhsa_exception_fp_ieee_underflow 0
		.amdhsa_exception_fp_ieee_inexact 0
		.amdhsa_exception_int_div_zero 0
	.end_amdhsa_kernel
	.section	.text._ZN9rocsolver6v33100L18getri_kernel_smallILi24E19rocblas_complex_numIdEPKPS3_EEvT1_iilPiilS8_bb,"axG",@progbits,_ZN9rocsolver6v33100L18getri_kernel_smallILi24E19rocblas_complex_numIdEPKPS3_EEvT1_iilPiilS8_bb,comdat
.Lfunc_end87:
	.size	_ZN9rocsolver6v33100L18getri_kernel_smallILi24E19rocblas_complex_numIdEPKPS3_EEvT1_iilPiilS8_bb, .Lfunc_end87-_ZN9rocsolver6v33100L18getri_kernel_smallILi24E19rocblas_complex_numIdEPKPS3_EEvT1_iilPiilS8_bb
                                        ; -- End function
	.section	.AMDGPU.csdata,"",@progbits
; Kernel info:
; codeLenInByte = 34020
; NumSgprs: 21
; NumVgprs: 149
; ScratchSize: 400
; MemoryBound: 0
; FloatMode: 240
; IeeeMode: 1
; LDSByteSize: 1800 bytes/workgroup (compile time only)
; SGPRBlocks: 2
; VGPRBlocks: 18
; NumSGPRsForWavesPerEU: 21
; NumVGPRsForWavesPerEU: 149
; Occupancy: 9
; WaveLimiterHint : 1
; COMPUTE_PGM_RSRC2:SCRATCH_EN: 1
; COMPUTE_PGM_RSRC2:USER_SGPR: 15
; COMPUTE_PGM_RSRC2:TRAP_HANDLER: 0
; COMPUTE_PGM_RSRC2:TGID_X_EN: 1
; COMPUTE_PGM_RSRC2:TGID_Y_EN: 0
; COMPUTE_PGM_RSRC2:TGID_Z_EN: 0
; COMPUTE_PGM_RSRC2:TIDIG_COMP_CNT: 2
	.section	.text._ZN9rocsolver6v33100L18getri_kernel_smallILi25E19rocblas_complex_numIdEPKPS3_EEvT1_iilPiilS8_bb,"axG",@progbits,_ZN9rocsolver6v33100L18getri_kernel_smallILi25E19rocblas_complex_numIdEPKPS3_EEvT1_iilPiilS8_bb,comdat
	.globl	_ZN9rocsolver6v33100L18getri_kernel_smallILi25E19rocblas_complex_numIdEPKPS3_EEvT1_iilPiilS8_bb ; -- Begin function _ZN9rocsolver6v33100L18getri_kernel_smallILi25E19rocblas_complex_numIdEPKPS3_EEvT1_iilPiilS8_bb
	.p2align	8
	.type	_ZN9rocsolver6v33100L18getri_kernel_smallILi25E19rocblas_complex_numIdEPKPS3_EEvT1_iilPiilS8_bb,@function
_ZN9rocsolver6v33100L18getri_kernel_smallILi25E19rocblas_complex_numIdEPKPS3_EEvT1_iilPiilS8_bb: ; @_ZN9rocsolver6v33100L18getri_kernel_smallILi25E19rocblas_complex_numIdEPKPS3_EEvT1_iilPiilS8_bb
; %bb.0:
	v_and_b32_e32 v76, 0x3ff, v0
	s_mov_b32 s4, exec_lo
	s_delay_alu instid0(VALU_DEP_1)
	v_cmpx_gt_u32_e32 25, v76
	s_cbranch_execz .LBB88_114
; %bb.1:
	s_mov_b32 s10, s15
	s_clause 0x2
	s_load_b32 s15, s[2:3], 0x38
	s_load_b64 s[8:9], s[2:3], 0x0
	s_load_b128 s[4:7], s[2:3], 0x28
	s_waitcnt lgkmcnt(0)
	s_bitcmp1_b32 s15, 8
	s_cselect_b32 s14, -1, 0
	s_ashr_i32 s11, s10, 31
	s_delay_alu instid0(SALU_CYCLE_1) | instskip(NEXT) | instid1(SALU_CYCLE_1)
	s_lshl_b64 s[12:13], s[10:11], 3
	s_add_u32 s8, s8, s12
	s_addc_u32 s9, s9, s13
	s_load_b64 s[12:13], s[8:9], 0x0
	s_bfe_u32 s8, s15, 0x10008
	s_delay_alu instid0(SALU_CYCLE_1)
	s_cmp_eq_u32 s8, 0
                                        ; implicit-def: $sgpr8_sgpr9
	s_cbranch_scc1 .LBB88_3
; %bb.2:
	s_clause 0x1
	s_load_b32 s8, s[2:3], 0x20
	s_load_b64 s[16:17], s[2:3], 0x18
	s_mul_i32 s5, s10, s5
	s_mul_hi_u32 s9, s10, s4
	s_mul_i32 s18, s11, s4
	s_add_i32 s5, s9, s5
	s_mul_i32 s4, s10, s4
	s_add_i32 s5, s5, s18
	s_delay_alu instid0(SALU_CYCLE_1)
	s_lshl_b64 s[4:5], s[4:5], 2
	s_waitcnt lgkmcnt(0)
	s_ashr_i32 s9, s8, 31
	s_add_u32 s16, s16, s4
	s_addc_u32 s17, s17, s5
	s_lshl_b64 s[4:5], s[8:9], 2
	s_delay_alu instid0(SALU_CYCLE_1)
	s_add_u32 s8, s16, s4
	s_addc_u32 s9, s17, s5
.LBB88_3:
	s_load_b64 s[2:3], s[2:3], 0x8
	v_lshlrev_b32_e32 v13, 4, v76
	v_add_nc_u32_e64 v80, 0, 16
	v_add_nc_u32_e64 v79, 0, 32
	s_waitcnt lgkmcnt(0)
	v_add3_u32 v14, s3, s3, v76
	s_ashr_i32 s5, s2, 31
	s_mov_b32 s4, s2
	s_mov_b32 s16, s3
	s_lshl_b64 s[4:5], s[4:5], 4
	v_ashrrev_i32_e32 v15, 31, v14
	s_add_u32 s4, s12, s4
	s_addc_u32 s5, s13, s5
	v_add_co_u32 v26, s2, s4, v13
	s_ashr_i32 s17, s3, 31
	v_add_co_ci_u32_e64 v27, null, s5, 0, s2
	v_lshlrev_b64 v[5:6], 4, v[14:15]
	s_lshl_b64 s[12:13], s[16:17], 4
	global_load_b128 v[1:4], v13, s[4:5]
	v_add_co_u32 v30, vcc_lo, v26, s12
	v_add_co_ci_u32_e32 v31, vcc_lo, s13, v27, vcc_lo
	v_add_co_u32 v28, vcc_lo, s4, v5
	v_add_co_ci_u32_e32 v29, vcc_lo, s5, v6, vcc_lo
	s_clause 0x1
	global_load_b128 v[5:8], v[30:31], off
	global_load_b128 v[9:12], v[28:29], off
	v_add_nc_u32_e32 v14, s3, v14
	s_movk_i32 s2, 0x50
	s_movk_i32 s12, 0x90
	v_add_nc_u32_e64 v87, s2, 0
	s_movk_i32 s2, 0xc0
	v_add_nc_u32_e32 v16, s3, v14
	v_ashrrev_i32_e32 v15, 31, v14
	s_movk_i32 s13, 0xa0
	s_movk_i32 s16, 0xb0
	v_add_nc_u32_e64 v83, s12, 0
	v_add_nc_u32_e32 v18, s3, v16
	v_ashrrev_i32_e32 v17, 31, v16
	v_lshlrev_b64 v[14:15], 4, v[14:15]
	v_add_nc_u32_e64 v81, s13, 0
	s_bitcmp0_b32 s15, 0
	v_add_nc_u32_e32 v20, s3, v18
	v_ashrrev_i32_e32 v19, 31, v18
	v_lshlrev_b64 v[16:17], 4, v[16:17]
	v_add_co_u32 v32, vcc_lo, s4, v14
	s_delay_alu instid0(VALU_DEP_4) | instskip(SKIP_3) | instid1(VALU_DEP_4)
	v_add_nc_u32_e32 v22, s3, v20
	v_ashrrev_i32_e32 v21, 31, v20
	v_lshlrev_b64 v[24:25], 4, v[18:19]
	v_add_co_ci_u32_e32 v33, vcc_lo, s5, v15, vcc_lo
	v_add_nc_u32_e32 v40, s3, v22
	v_ashrrev_i32_e32 v23, 31, v22
	v_add_co_u32 v34, vcc_lo, s4, v16
	v_lshlrev_b64 v[38:39], 4, v[20:21]
	s_delay_alu instid0(VALU_DEP_4)
	v_add_nc_u32_e32 v44, s3, v40
	v_ashrrev_i32_e32 v41, 31, v40
	v_add_co_ci_u32_e32 v35, vcc_lo, s5, v17, vcc_lo
	v_add_co_u32 v36, vcc_lo, s4, v24
	v_lshlrev_b64 v[42:43], 4, v[22:23]
	v_add_nc_u32_e32 v48, s3, v44
	v_add_co_ci_u32_e32 v37, vcc_lo, s5, v25, vcc_lo
	v_add_co_u32 v38, vcc_lo, s4, v38
	v_lshlrev_b64 v[46:47], 4, v[40:41]
	v_add_co_ci_u32_e32 v39, vcc_lo, s5, v39, vcc_lo
	v_add_co_u32 v40, vcc_lo, s4, v42
	v_ashrrev_i32_e32 v49, 31, v48
	v_add_nc_u32_e32 v50, s3, v48
	v_add_co_ci_u32_e32 v41, vcc_lo, s5, v43, vcc_lo
	v_ashrrev_i32_e32 v45, 31, v44
	v_add_co_u32 v42, vcc_lo, s4, v46
	v_add_co_ci_u32_e32 v43, vcc_lo, s5, v47, vcc_lo
	v_lshlrev_b64 v[46:47], 4, v[48:49]
	v_add_nc_u32_e32 v48, s3, v50
	v_lshlrev_b64 v[44:45], 4, v[44:45]
	v_ashrrev_i32_e32 v51, 31, v50
	s_clause 0x3
	global_load_b128 v[14:17], v[32:33], off
	global_load_b128 v[18:21], v[34:35], off
	global_load_b128 v[22:25], v[36:37], off
	global_load_b128 v[88:91], v[38:39], off
	v_add_nc_u32_e32 v52, s3, v48
	v_ashrrev_i32_e32 v49, 31, v48
	v_add_co_u32 v44, vcc_lo, s4, v44
	v_lshlrev_b64 v[50:51], 4, v[50:51]
	s_delay_alu instid0(VALU_DEP_4)
	v_add_nc_u32_e32 v56, s3, v52
	v_add_co_ci_u32_e32 v45, vcc_lo, s5, v45, vcc_lo
	v_add_co_u32 v46, vcc_lo, s4, v46
	v_lshlrev_b64 v[54:55], 4, v[48:49]
	v_add_co_ci_u32_e32 v47, vcc_lo, s5, v47, vcc_lo
	v_add_co_u32 v48, vcc_lo, s4, v50
	v_ashrrev_i32_e32 v57, 31, v56
	v_add_nc_u32_e32 v58, s3, v56
	v_add_co_ci_u32_e32 v49, vcc_lo, s5, v51, vcc_lo
	v_ashrrev_i32_e32 v53, 31, v52
	v_add_co_u32 v50, vcc_lo, s4, v54
	v_add_co_ci_u32_e32 v51, vcc_lo, s5, v55, vcc_lo
	v_lshlrev_b64 v[54:55], 4, v[56:57]
	v_add_nc_u32_e32 v56, s3, v58
	v_lshlrev_b64 v[52:53], 4, v[52:53]
	v_ashrrev_i32_e32 v59, 31, v58
	s_clause 0x3
	global_load_b128 v[92:95], v[40:41], off
	global_load_b128 v[96:99], v[42:43], off
	global_load_b128 v[100:103], v[44:45], off
	global_load_b128 v[104:107], v[46:47], off
	v_add_nc_u32_e32 v60, s3, v56
	v_ashrrev_i32_e32 v57, 31, v56
	v_add_co_u32 v52, vcc_lo, s4, v52
	v_lshlrev_b64 v[58:59], 4, v[58:59]
	s_delay_alu instid0(VALU_DEP_4)
	;; [unrolled: 26-line block ×3, first 2 shown]
	v_add_nc_u32_e32 v72, s3, v68
	v_add_co_ci_u32_e32 v61, vcc_lo, s5, v61, vcc_lo
	v_add_co_u32 v62, vcc_lo, s4, v62
	v_lshlrev_b64 v[70:71], 4, v[64:65]
	v_add_co_ci_u32_e32 v63, vcc_lo, s5, v63, vcc_lo
	v_add_co_u32 v64, vcc_lo, s4, v66
	v_ashrrev_i32_e32 v73, 31, v72
	v_add_nc_u32_e32 v74, s3, v72
	v_ashrrev_i32_e32 v69, 31, v68
	v_add_co_ci_u32_e32 v65, vcc_lo, s5, v67, vcc_lo
	v_add_co_u32 v66, vcc_lo, s4, v70
	v_add_co_ci_u32_e32 v67, vcc_lo, s5, v71, vcc_lo
	v_lshlrev_b64 v[70:71], 4, v[72:73]
	v_add_nc_u32_e32 v72, s3, v74
	v_lshlrev_b64 v[68:69], 4, v[68:69]
	v_ashrrev_i32_e32 v75, 31, v74
	s_clause 0x3
	global_load_b128 v[124:127], v[56:57], off
	global_load_b128 v[128:131], v[58:59], off
	global_load_b128 v[132:135], v[60:61], off
	global_load_b128 v[136:139], v[62:63], off
	v_ashrrev_i32_e32 v73, 31, v72
	s_clause 0x1
	global_load_b128 v[140:143], v[64:65], off
	global_load_b128 v[144:147], v[66:67], off
	v_add_co_u32 v68, vcc_lo, s4, v68
	v_lshlrev_b64 v[74:75], 4, v[74:75]
	v_add_co_ci_u32_e32 v69, vcc_lo, s5, v69, vcc_lo
	v_add_co_u32 v70, vcc_lo, s4, v70
	v_lshlrev_b64 v[77:78], 4, v[72:73]
	v_add_co_ci_u32_e32 v71, vcc_lo, s5, v71, vcc_lo
	v_add_co_u32 v72, vcc_lo, s4, v74
	v_add_co_ci_u32_e32 v73, vcc_lo, s5, v75, vcc_lo
	s_delay_alu instid0(VALU_DEP_4)
	v_add_co_u32 v74, vcc_lo, s4, v77
	v_add_co_ci_u32_e32 v75, vcc_lo, s5, v78, vcc_lo
	global_load_b128 v[148:151], v[68:69], off
	s_movk_i32 s3, 0x60
	s_movk_i32 s4, 0x70
	v_add_nc_u32_e64 v85, s3, 0
	s_movk_i32 s3, 0xe0
	s_movk_i32 s5, 0x80
	v_add_nc_u32_e64 v78, 0, 48
	v_add_nc_u32_e64 v77, 0, 64
	;; [unrolled: 1-line block ×4, first 2 shown]
	s_waitcnt vmcnt(21)
	scratch_store_b128 off, v[1:4], off
	global_load_b128 v[1:4], v[70:71], off
	s_waitcnt vmcnt(21)
	scratch_store_b128 off, v[5:8], off offset:16
	global_load_b128 v[5:8], v[72:73], off
	s_waitcnt vmcnt(21)
	scratch_store_b128 off, v[9:12], off offset:32
	;; [unrolled: 3-line block ×3, first 2 shown]
	s_waitcnt vmcnt(20)
	scratch_store_b128 off, v[18:21], off offset:64
	s_waitcnt vmcnt(19)
	scratch_store_b128 off, v[22:25], off offset:80
	;; [unrolled: 2-line block ×14, first 2 shown]
	v_add_nc_u32_e64 v93, s2, 0
	s_movk_i32 s2, 0xd0
	v_add_nc_u32_e64 v95, s3, 0
	v_add_nc_u32_e64 v98, s2, 0
	s_movk_i32 s2, 0xf0
	s_movk_i32 s3, 0x100
	v_add_nc_u32_e64 v97, s2, 0
	s_movk_i32 s2, 0x110
	v_add_nc_u32_e64 v94, s3, 0
	v_add_nc_u32_e64 v100, s2, 0
	s_movk_i32 s2, 0x130
	s_movk_i32 s3, 0x120
	v_add_nc_u32_e64 v86, s2, 0
	s_movk_i32 s2, 0x150
	v_add_nc_u32_e64 v99, s3, 0
	;; [unrolled: 2-line block ×4, first 2 shown]
	v_add_nc_u32_e64 v92, s2, 0
	s_movk_i32 s2, 0x170
	s_movk_i32 s3, 0x180
	v_add_nc_u32_e64 v96, s16, 0
	v_add_nc_u32_e64 v91, s2, 0
	;; [unrolled: 1-line block ×3, first 2 shown]
	s_mov_b32 s3, -1
	s_waitcnt vmcnt(6)
	scratch_store_b128 off, v[136:139], off offset:288
	s_waitcnt vmcnt(5)
	scratch_store_b128 off, v[140:143], off offset:304
	s_waitcnt vmcnt(4)
	scratch_store_b128 off, v[144:147], off offset:320
	s_waitcnt vmcnt(3)
	scratch_store_b128 off, v[148:151], off offset:336
	s_waitcnt vmcnt(2)
	scratch_store_b128 off, v[1:4], off offset:352
	s_waitcnt vmcnt(1)
	scratch_store_b128 off, v[5:8], off offset:368
	s_waitcnt vmcnt(0)
	scratch_store_b128 off, v[9:12], off offset:384
	s_cbranch_scc1 .LBB88_112
; %bb.4:
	v_cmp_eq_u32_e64 s2, 0, v76
	s_delay_alu instid0(VALU_DEP_1)
	s_and_saveexec_b32 s3, s2
	s_cbranch_execz .LBB88_6
; %bb.5:
	v_mov_b32_e32 v1, 0
	ds_store_b32 v1, v1 offset:800
.LBB88_6:
	s_or_b32 exec_lo, exec_lo, s3
	s_waitcnt lgkmcnt(0)
	s_waitcnt_vscnt null, 0x0
	s_barrier
	buffer_gl0_inv
	scratch_load_b128 v[1:4], v13, off
	s_waitcnt vmcnt(0)
	v_cmp_eq_f64_e32 vcc_lo, 0, v[1:2]
	v_cmp_eq_f64_e64 s3, 0, v[3:4]
	s_delay_alu instid0(VALU_DEP_1) | instskip(NEXT) | instid1(SALU_CYCLE_1)
	s_and_b32 s3, vcc_lo, s3
	s_and_saveexec_b32 s4, s3
	s_cbranch_execz .LBB88_10
; %bb.7:
	v_mov_b32_e32 v1, 0
	s_mov_b32 s5, 0
	ds_load_b32 v2, v1 offset:800
	s_waitcnt lgkmcnt(0)
	v_readfirstlane_b32 s3, v2
	v_add_nc_u32_e32 v2, 1, v76
	s_delay_alu instid0(VALU_DEP_2) | instskip(NEXT) | instid1(VALU_DEP_1)
	s_cmp_eq_u32 s3, 0
	v_cmp_gt_i32_e32 vcc_lo, s3, v2
	s_cselect_b32 s12, -1, 0
	s_delay_alu instid0(SALU_CYCLE_1) | instskip(NEXT) | instid1(SALU_CYCLE_1)
	s_or_b32 s12, s12, vcc_lo
	s_and_b32 exec_lo, exec_lo, s12
	s_cbranch_execz .LBB88_10
; %bb.8:
	v_mov_b32_e32 v3, s3
.LBB88_9:                               ; =>This Inner Loop Header: Depth=1
	ds_cmpstore_rtn_b32 v3, v1, v2, v3 offset:800
	s_waitcnt lgkmcnt(0)
	v_cmp_ne_u32_e32 vcc_lo, 0, v3
	v_cmp_le_i32_e64 s3, v3, v2
	s_delay_alu instid0(VALU_DEP_1) | instskip(NEXT) | instid1(SALU_CYCLE_1)
	s_and_b32 s3, vcc_lo, s3
	s_and_b32 s3, exec_lo, s3
	s_delay_alu instid0(SALU_CYCLE_1) | instskip(NEXT) | instid1(SALU_CYCLE_1)
	s_or_b32 s5, s3, s5
	s_and_not1_b32 exec_lo, exec_lo, s5
	s_cbranch_execnz .LBB88_9
.LBB88_10:
	s_or_b32 exec_lo, exec_lo, s4
	v_mov_b32_e32 v1, 0
	s_barrier
	buffer_gl0_inv
	ds_load_b32 v2, v1 offset:800
	s_and_saveexec_b32 s3, s2
	s_cbranch_execz .LBB88_12
; %bb.11:
	s_lshl_b64 s[4:5], s[10:11], 2
	s_delay_alu instid0(SALU_CYCLE_1)
	s_add_u32 s4, s6, s4
	s_addc_u32 s5, s7, s5
	s_waitcnt lgkmcnt(0)
	global_store_b32 v1, v2, s[4:5]
.LBB88_12:
	s_or_b32 exec_lo, exec_lo, s3
	s_waitcnt lgkmcnt(0)
	v_cmp_ne_u32_e32 vcc_lo, 0, v2
	s_mov_b32 s3, 0
	s_cbranch_vccnz .LBB88_112
; %bb.13:
	v_add_nc_u32_e32 v14, 0, v13
                                        ; implicit-def: $vgpr9_vgpr10
	scratch_load_b128 v[1:4], v14, off
	s_waitcnt vmcnt(0)
	v_mov_b32_e32 v5, v1
	v_cmp_gt_f64_e32 vcc_lo, 0, v[1:2]
	v_xor_b32_e32 v6, 0x80000000, v2
	v_xor_b32_e32 v7, 0x80000000, v4
	s_delay_alu instid0(VALU_DEP_2) | instskip(SKIP_1) | instid1(VALU_DEP_3)
	v_cndmask_b32_e32 v6, v2, v6, vcc_lo
	v_cmp_gt_f64_e32 vcc_lo, 0, v[3:4]
	v_dual_cndmask_b32 v8, v4, v7 :: v_dual_mov_b32 v7, v3
	s_delay_alu instid0(VALU_DEP_1) | instskip(SKIP_1) | instid1(SALU_CYCLE_1)
	v_cmp_ngt_f64_e32 vcc_lo, v[5:6], v[7:8]
                                        ; implicit-def: $vgpr5_vgpr6
	s_and_saveexec_b32 s3, vcc_lo
	s_xor_b32 s3, exec_lo, s3
	s_cbranch_execz .LBB88_15
; %bb.14:
	v_div_scale_f64 v[5:6], null, v[3:4], v[3:4], v[1:2]
	v_div_scale_f64 v[11:12], vcc_lo, v[1:2], v[3:4], v[1:2]
	s_delay_alu instid0(VALU_DEP_2) | instskip(SKIP_2) | instid1(VALU_DEP_1)
	v_rcp_f64_e32 v[7:8], v[5:6]
	s_waitcnt_depctr 0xfff
	v_fma_f64 v[9:10], -v[5:6], v[7:8], 1.0
	v_fma_f64 v[7:8], v[7:8], v[9:10], v[7:8]
	s_delay_alu instid0(VALU_DEP_1) | instskip(NEXT) | instid1(VALU_DEP_1)
	v_fma_f64 v[9:10], -v[5:6], v[7:8], 1.0
	v_fma_f64 v[7:8], v[7:8], v[9:10], v[7:8]
	s_delay_alu instid0(VALU_DEP_1) | instskip(NEXT) | instid1(VALU_DEP_1)
	v_mul_f64 v[9:10], v[11:12], v[7:8]
	v_fma_f64 v[5:6], -v[5:6], v[9:10], v[11:12]
	s_delay_alu instid0(VALU_DEP_1) | instskip(NEXT) | instid1(VALU_DEP_1)
	v_div_fmas_f64 v[5:6], v[5:6], v[7:8], v[9:10]
	v_div_fixup_f64 v[5:6], v[5:6], v[3:4], v[1:2]
	s_delay_alu instid0(VALU_DEP_1) | instskip(NEXT) | instid1(VALU_DEP_1)
	v_fma_f64 v[1:2], v[1:2], v[5:6], v[3:4]
	v_div_scale_f64 v[3:4], null, v[1:2], v[1:2], 1.0
	v_div_scale_f64 v[11:12], vcc_lo, 1.0, v[1:2], 1.0
	s_delay_alu instid0(VALU_DEP_2) | instskip(SKIP_2) | instid1(VALU_DEP_1)
	v_rcp_f64_e32 v[7:8], v[3:4]
	s_waitcnt_depctr 0xfff
	v_fma_f64 v[9:10], -v[3:4], v[7:8], 1.0
	v_fma_f64 v[7:8], v[7:8], v[9:10], v[7:8]
	s_delay_alu instid0(VALU_DEP_1) | instskip(NEXT) | instid1(VALU_DEP_1)
	v_fma_f64 v[9:10], -v[3:4], v[7:8], 1.0
	v_fma_f64 v[7:8], v[7:8], v[9:10], v[7:8]
	s_delay_alu instid0(VALU_DEP_1) | instskip(NEXT) | instid1(VALU_DEP_1)
	v_mul_f64 v[9:10], v[11:12], v[7:8]
	v_fma_f64 v[3:4], -v[3:4], v[9:10], v[11:12]
	s_delay_alu instid0(VALU_DEP_1) | instskip(NEXT) | instid1(VALU_DEP_1)
	v_div_fmas_f64 v[3:4], v[3:4], v[7:8], v[9:10]
	v_div_fixup_f64 v[7:8], v[3:4], v[1:2], 1.0
                                        ; implicit-def: $vgpr1_vgpr2
	s_delay_alu instid0(VALU_DEP_1) | instskip(SKIP_1) | instid1(VALU_DEP_2)
	v_mul_f64 v[5:6], v[5:6], v[7:8]
	v_xor_b32_e32 v8, 0x80000000, v8
	v_xor_b32_e32 v10, 0x80000000, v6
	s_delay_alu instid0(VALU_DEP_3)
	v_mov_b32_e32 v9, v5
.LBB88_15:
	s_and_not1_saveexec_b32 s3, s3
	s_cbranch_execz .LBB88_17
; %bb.16:
	v_div_scale_f64 v[5:6], null, v[1:2], v[1:2], v[3:4]
	v_div_scale_f64 v[11:12], vcc_lo, v[3:4], v[1:2], v[3:4]
	s_delay_alu instid0(VALU_DEP_2) | instskip(SKIP_2) | instid1(VALU_DEP_1)
	v_rcp_f64_e32 v[7:8], v[5:6]
	s_waitcnt_depctr 0xfff
	v_fma_f64 v[9:10], -v[5:6], v[7:8], 1.0
	v_fma_f64 v[7:8], v[7:8], v[9:10], v[7:8]
	s_delay_alu instid0(VALU_DEP_1) | instskip(NEXT) | instid1(VALU_DEP_1)
	v_fma_f64 v[9:10], -v[5:6], v[7:8], 1.0
	v_fma_f64 v[7:8], v[7:8], v[9:10], v[7:8]
	s_delay_alu instid0(VALU_DEP_1) | instskip(NEXT) | instid1(VALU_DEP_1)
	v_mul_f64 v[9:10], v[11:12], v[7:8]
	v_fma_f64 v[5:6], -v[5:6], v[9:10], v[11:12]
	s_delay_alu instid0(VALU_DEP_1) | instskip(NEXT) | instid1(VALU_DEP_1)
	v_div_fmas_f64 v[5:6], v[5:6], v[7:8], v[9:10]
	v_div_fixup_f64 v[7:8], v[5:6], v[1:2], v[3:4]
	s_delay_alu instid0(VALU_DEP_1) | instskip(NEXT) | instid1(VALU_DEP_1)
	v_fma_f64 v[1:2], v[3:4], v[7:8], v[1:2]
	v_div_scale_f64 v[3:4], null, v[1:2], v[1:2], 1.0
	s_delay_alu instid0(VALU_DEP_1) | instskip(SKIP_2) | instid1(VALU_DEP_1)
	v_rcp_f64_e32 v[5:6], v[3:4]
	s_waitcnt_depctr 0xfff
	v_fma_f64 v[9:10], -v[3:4], v[5:6], 1.0
	v_fma_f64 v[5:6], v[5:6], v[9:10], v[5:6]
	s_delay_alu instid0(VALU_DEP_1) | instskip(NEXT) | instid1(VALU_DEP_1)
	v_fma_f64 v[9:10], -v[3:4], v[5:6], 1.0
	v_fma_f64 v[5:6], v[5:6], v[9:10], v[5:6]
	v_div_scale_f64 v[9:10], vcc_lo, 1.0, v[1:2], 1.0
	s_delay_alu instid0(VALU_DEP_1) | instskip(NEXT) | instid1(VALU_DEP_1)
	v_mul_f64 v[11:12], v[9:10], v[5:6]
	v_fma_f64 v[3:4], -v[3:4], v[11:12], v[9:10]
	s_delay_alu instid0(VALU_DEP_1) | instskip(NEXT) | instid1(VALU_DEP_1)
	v_div_fmas_f64 v[3:4], v[3:4], v[5:6], v[11:12]
	v_div_fixup_f64 v[5:6], v[3:4], v[1:2], 1.0
	s_delay_alu instid0(VALU_DEP_1)
	v_mul_f64 v[7:8], v[7:8], -v[5:6]
	v_xor_b32_e32 v10, 0x80000000, v6
	v_mov_b32_e32 v9, v5
.LBB88_17:
	s_or_b32 exec_lo, exec_lo, s3
	scratch_store_b128 v14, v[5:8], off
	scratch_load_b128 v[1:4], v80, off
	v_xor_b32_e32 v12, 0x80000000, v8
	v_mov_b32_e32 v11, v7
	v_add_nc_u32_e32 v5, 0x190, v13
	ds_store_b128 v13, v[9:12]
	s_waitcnt vmcnt(0)
	ds_store_b128 v13, v[1:4] offset:400
	s_waitcnt lgkmcnt(0)
	s_waitcnt_vscnt null, 0x0
	s_barrier
	buffer_gl0_inv
	s_and_saveexec_b32 s3, s2
	s_cbranch_execz .LBB88_19
; %bb.18:
	scratch_load_b128 v[1:4], v14, off
	ds_load_b128 v[6:9], v5
	v_mov_b32_e32 v10, 0
	ds_load_b128 v[15:18], v10 offset:16
	s_waitcnt vmcnt(0) lgkmcnt(1)
	v_mul_f64 v[10:11], v[6:7], v[3:4]
	v_mul_f64 v[3:4], v[8:9], v[3:4]
	s_delay_alu instid0(VALU_DEP_2) | instskip(NEXT) | instid1(VALU_DEP_2)
	v_fma_f64 v[8:9], v[8:9], v[1:2], v[10:11]
	v_fma_f64 v[1:2], v[6:7], v[1:2], -v[3:4]
	s_delay_alu instid0(VALU_DEP_2) | instskip(NEXT) | instid1(VALU_DEP_2)
	v_add_f64 v[3:4], v[8:9], 0
	v_add_f64 v[1:2], v[1:2], 0
	s_waitcnt lgkmcnt(0)
	s_delay_alu instid0(VALU_DEP_2) | instskip(NEXT) | instid1(VALU_DEP_2)
	v_mul_f64 v[6:7], v[3:4], v[17:18]
	v_mul_f64 v[8:9], v[1:2], v[17:18]
	s_delay_alu instid0(VALU_DEP_2) | instskip(NEXT) | instid1(VALU_DEP_2)
	v_fma_f64 v[1:2], v[1:2], v[15:16], -v[6:7]
	v_fma_f64 v[3:4], v[3:4], v[15:16], v[8:9]
	scratch_store_b128 off, v[1:4], off offset:16
.LBB88_19:
	s_or_b32 exec_lo, exec_lo, s3
	s_waitcnt_vscnt null, 0x0
	s_barrier
	buffer_gl0_inv
	scratch_load_b128 v[1:4], v79, off
	s_mov_b32 s3, exec_lo
	s_waitcnt vmcnt(0)
	ds_store_b128 v5, v[1:4]
	s_waitcnt lgkmcnt(0)
	s_barrier
	buffer_gl0_inv
	v_cmpx_gt_u32_e32 2, v76
	s_cbranch_execz .LBB88_23
; %bb.20:
	scratch_load_b128 v[1:4], v14, off
	ds_load_b128 v[6:9], v5
	s_waitcnt vmcnt(0) lgkmcnt(0)
	v_mul_f64 v[10:11], v[8:9], v[3:4]
	v_mul_f64 v[3:4], v[6:7], v[3:4]
	s_delay_alu instid0(VALU_DEP_2) | instskip(NEXT) | instid1(VALU_DEP_2)
	v_fma_f64 v[6:7], v[6:7], v[1:2], -v[10:11]
	v_fma_f64 v[3:4], v[8:9], v[1:2], v[3:4]
	s_delay_alu instid0(VALU_DEP_2) | instskip(NEXT) | instid1(VALU_DEP_2)
	v_add_f64 v[1:2], v[6:7], 0
	v_add_f64 v[3:4], v[3:4], 0
	s_and_saveexec_b32 s4, s2
	s_cbranch_execz .LBB88_22
; %bb.21:
	scratch_load_b128 v[6:9], off, off offset:16
	v_mov_b32_e32 v10, 0
	ds_load_b128 v[15:18], v10 offset:416
	s_waitcnt vmcnt(0) lgkmcnt(0)
	v_mul_f64 v[10:11], v[15:16], v[8:9]
	v_mul_f64 v[8:9], v[17:18], v[8:9]
	s_delay_alu instid0(VALU_DEP_2) | instskip(NEXT) | instid1(VALU_DEP_2)
	v_fma_f64 v[10:11], v[17:18], v[6:7], v[10:11]
	v_fma_f64 v[6:7], v[15:16], v[6:7], -v[8:9]
	s_delay_alu instid0(VALU_DEP_2) | instskip(NEXT) | instid1(VALU_DEP_2)
	v_add_f64 v[3:4], v[3:4], v[10:11]
	v_add_f64 v[1:2], v[1:2], v[6:7]
.LBB88_22:
	s_or_b32 exec_lo, exec_lo, s4
	v_mov_b32_e32 v6, 0
	ds_load_b128 v[6:9], v6 offset:32
	s_waitcnt lgkmcnt(0)
	v_mul_f64 v[10:11], v[3:4], v[8:9]
	v_mul_f64 v[8:9], v[1:2], v[8:9]
	s_delay_alu instid0(VALU_DEP_2) | instskip(NEXT) | instid1(VALU_DEP_2)
	v_fma_f64 v[1:2], v[1:2], v[6:7], -v[10:11]
	v_fma_f64 v[3:4], v[3:4], v[6:7], v[8:9]
	scratch_store_b128 off, v[1:4], off offset:32
.LBB88_23:
	s_or_b32 exec_lo, exec_lo, s3
	s_waitcnt_vscnt null, 0x0
	s_barrier
	buffer_gl0_inv
	scratch_load_b128 v[1:4], v78, off
	v_add_nc_u32_e32 v6, -1, v76
	s_mov_b32 s2, exec_lo
	s_waitcnt vmcnt(0)
	ds_store_b128 v5, v[1:4]
	s_waitcnt lgkmcnt(0)
	s_barrier
	buffer_gl0_inv
	v_cmpx_gt_u32_e32 3, v76
	s_cbranch_execz .LBB88_27
; %bb.24:
	v_dual_mov_b32 v1, 0 :: v_dual_add_nc_u32 v8, 0x190, v13
	v_dual_mov_b32 v2, 0 :: v_dual_add_nc_u32 v7, -1, v76
	v_or_b32_e32 v9, 8, v14
	s_mov_b32 s3, 0
	s_delay_alu instid0(VALU_DEP_2)
	v_dual_mov_b32 v4, v2 :: v_dual_mov_b32 v3, v1
	.p2align	6
.LBB88_25:                              ; =>This Inner Loop Header: Depth=1
	scratch_load_b128 v[15:18], v9, off offset:-8
	ds_load_b128 v[19:22], v8
	v_add_nc_u32_e32 v7, 1, v7
	v_add_nc_u32_e32 v8, 16, v8
	;; [unrolled: 1-line block ×3, first 2 shown]
	s_delay_alu instid0(VALU_DEP_3) | instskip(SKIP_4) | instid1(VALU_DEP_2)
	v_cmp_lt_u32_e32 vcc_lo, 1, v7
	s_or_b32 s3, vcc_lo, s3
	s_waitcnt vmcnt(0) lgkmcnt(0)
	v_mul_f64 v[10:11], v[21:22], v[17:18]
	v_mul_f64 v[17:18], v[19:20], v[17:18]
	v_fma_f64 v[10:11], v[19:20], v[15:16], -v[10:11]
	s_delay_alu instid0(VALU_DEP_2) | instskip(NEXT) | instid1(VALU_DEP_2)
	v_fma_f64 v[15:16], v[21:22], v[15:16], v[17:18]
	v_add_f64 v[3:4], v[3:4], v[10:11]
	s_delay_alu instid0(VALU_DEP_2)
	v_add_f64 v[1:2], v[1:2], v[15:16]
	s_and_not1_b32 exec_lo, exec_lo, s3
	s_cbranch_execnz .LBB88_25
; %bb.26:
	s_or_b32 exec_lo, exec_lo, s3
	v_mov_b32_e32 v7, 0
	ds_load_b128 v[7:10], v7 offset:48
	s_waitcnt lgkmcnt(0)
	v_mul_f64 v[11:12], v[1:2], v[9:10]
	v_mul_f64 v[15:16], v[3:4], v[9:10]
	s_delay_alu instid0(VALU_DEP_2) | instskip(NEXT) | instid1(VALU_DEP_2)
	v_fma_f64 v[9:10], v[3:4], v[7:8], -v[11:12]
	v_fma_f64 v[11:12], v[1:2], v[7:8], v[15:16]
	scratch_store_b128 off, v[9:12], off offset:48
.LBB88_27:
	s_or_b32 exec_lo, exec_lo, s2
	s_waitcnt_vscnt null, 0x0
	s_barrier
	buffer_gl0_inv
	scratch_load_b128 v[1:4], v77, off
	s_mov_b32 s2, exec_lo
	s_waitcnt vmcnt(0)
	ds_store_b128 v5, v[1:4]
	s_waitcnt lgkmcnt(0)
	s_barrier
	buffer_gl0_inv
	v_cmpx_gt_u32_e32 4, v76
	s_cbranch_execz .LBB88_31
; %bb.28:
	v_dual_mov_b32 v1, 0 :: v_dual_add_nc_u32 v8, 0x190, v13
	v_dual_mov_b32 v2, 0 :: v_dual_add_nc_u32 v7, -1, v76
	v_or_b32_e32 v9, 8, v14
	s_mov_b32 s3, 0
	s_delay_alu instid0(VALU_DEP_2)
	v_dual_mov_b32 v4, v2 :: v_dual_mov_b32 v3, v1
	.p2align	6
.LBB88_29:                              ; =>This Inner Loop Header: Depth=1
	scratch_load_b128 v[15:18], v9, off offset:-8
	ds_load_b128 v[19:22], v8
	v_add_nc_u32_e32 v7, 1, v7
	v_add_nc_u32_e32 v8, 16, v8
	;; [unrolled: 1-line block ×3, first 2 shown]
	s_delay_alu instid0(VALU_DEP_3) | instskip(SKIP_4) | instid1(VALU_DEP_2)
	v_cmp_lt_u32_e32 vcc_lo, 2, v7
	s_or_b32 s3, vcc_lo, s3
	s_waitcnt vmcnt(0) lgkmcnt(0)
	v_mul_f64 v[10:11], v[21:22], v[17:18]
	v_mul_f64 v[17:18], v[19:20], v[17:18]
	v_fma_f64 v[10:11], v[19:20], v[15:16], -v[10:11]
	s_delay_alu instid0(VALU_DEP_2) | instskip(NEXT) | instid1(VALU_DEP_2)
	v_fma_f64 v[15:16], v[21:22], v[15:16], v[17:18]
	v_add_f64 v[3:4], v[3:4], v[10:11]
	s_delay_alu instid0(VALU_DEP_2)
	v_add_f64 v[1:2], v[1:2], v[15:16]
	s_and_not1_b32 exec_lo, exec_lo, s3
	s_cbranch_execnz .LBB88_29
; %bb.30:
	s_or_b32 exec_lo, exec_lo, s3
	v_mov_b32_e32 v7, 0
	ds_load_b128 v[7:10], v7 offset:64
	s_waitcnt lgkmcnt(0)
	v_mul_f64 v[11:12], v[1:2], v[9:10]
	v_mul_f64 v[15:16], v[3:4], v[9:10]
	s_delay_alu instid0(VALU_DEP_2) | instskip(NEXT) | instid1(VALU_DEP_2)
	v_fma_f64 v[9:10], v[3:4], v[7:8], -v[11:12]
	v_fma_f64 v[11:12], v[1:2], v[7:8], v[15:16]
	scratch_store_b128 off, v[9:12], off offset:64
.LBB88_31:
	s_or_b32 exec_lo, exec_lo, s2
	s_waitcnt_vscnt null, 0x0
	s_barrier
	buffer_gl0_inv
	scratch_load_b128 v[1:4], v87, off
	s_mov_b32 s2, exec_lo
	s_waitcnt vmcnt(0)
	ds_store_b128 v5, v[1:4]
	s_waitcnt lgkmcnt(0)
	s_barrier
	buffer_gl0_inv
	v_cmpx_gt_u32_e32 5, v76
	s_cbranch_execz .LBB88_35
; %bb.32:
	v_dual_mov_b32 v1, 0 :: v_dual_add_nc_u32 v8, 0x190, v13
	v_dual_mov_b32 v2, 0 :: v_dual_add_nc_u32 v7, -1, v76
	v_or_b32_e32 v9, 8, v14
	s_mov_b32 s3, 0
	s_delay_alu instid0(VALU_DEP_2)
	v_dual_mov_b32 v4, v2 :: v_dual_mov_b32 v3, v1
	.p2align	6
.LBB88_33:                              ; =>This Inner Loop Header: Depth=1
	scratch_load_b128 v[15:18], v9, off offset:-8
	ds_load_b128 v[19:22], v8
	v_add_nc_u32_e32 v7, 1, v7
	v_add_nc_u32_e32 v8, 16, v8
	;; [unrolled: 1-line block ×3, first 2 shown]
	s_delay_alu instid0(VALU_DEP_3) | instskip(SKIP_4) | instid1(VALU_DEP_2)
	v_cmp_lt_u32_e32 vcc_lo, 3, v7
	s_or_b32 s3, vcc_lo, s3
	s_waitcnt vmcnt(0) lgkmcnt(0)
	v_mul_f64 v[10:11], v[21:22], v[17:18]
	v_mul_f64 v[17:18], v[19:20], v[17:18]
	v_fma_f64 v[10:11], v[19:20], v[15:16], -v[10:11]
	s_delay_alu instid0(VALU_DEP_2) | instskip(NEXT) | instid1(VALU_DEP_2)
	v_fma_f64 v[15:16], v[21:22], v[15:16], v[17:18]
	v_add_f64 v[3:4], v[3:4], v[10:11]
	s_delay_alu instid0(VALU_DEP_2)
	v_add_f64 v[1:2], v[1:2], v[15:16]
	s_and_not1_b32 exec_lo, exec_lo, s3
	s_cbranch_execnz .LBB88_33
; %bb.34:
	s_or_b32 exec_lo, exec_lo, s3
	v_mov_b32_e32 v7, 0
	ds_load_b128 v[7:10], v7 offset:80
	s_waitcnt lgkmcnt(0)
	v_mul_f64 v[11:12], v[1:2], v[9:10]
	v_mul_f64 v[15:16], v[3:4], v[9:10]
	s_delay_alu instid0(VALU_DEP_2) | instskip(NEXT) | instid1(VALU_DEP_2)
	v_fma_f64 v[9:10], v[3:4], v[7:8], -v[11:12]
	v_fma_f64 v[11:12], v[1:2], v[7:8], v[15:16]
	scratch_store_b128 off, v[9:12], off offset:80
.LBB88_35:
	s_or_b32 exec_lo, exec_lo, s2
	s_waitcnt_vscnt null, 0x0
	s_barrier
	buffer_gl0_inv
	scratch_load_b128 v[1:4], v85, off
	s_mov_b32 s2, exec_lo
	s_waitcnt vmcnt(0)
	ds_store_b128 v5, v[1:4]
	s_waitcnt lgkmcnt(0)
	s_barrier
	buffer_gl0_inv
	v_cmpx_gt_u32_e32 6, v76
	s_cbranch_execz .LBB88_39
; %bb.36:
	v_dual_mov_b32 v1, 0 :: v_dual_add_nc_u32 v8, 0x190, v13
	v_dual_mov_b32 v2, 0 :: v_dual_add_nc_u32 v7, -1, v76
	v_or_b32_e32 v9, 8, v14
	s_mov_b32 s3, 0
	s_delay_alu instid0(VALU_DEP_2)
	v_dual_mov_b32 v4, v2 :: v_dual_mov_b32 v3, v1
	.p2align	6
.LBB88_37:                              ; =>This Inner Loop Header: Depth=1
	scratch_load_b128 v[15:18], v9, off offset:-8
	ds_load_b128 v[19:22], v8
	v_add_nc_u32_e32 v7, 1, v7
	v_add_nc_u32_e32 v8, 16, v8
	;; [unrolled: 1-line block ×3, first 2 shown]
	s_delay_alu instid0(VALU_DEP_3) | instskip(SKIP_4) | instid1(VALU_DEP_2)
	v_cmp_lt_u32_e32 vcc_lo, 4, v7
	s_or_b32 s3, vcc_lo, s3
	s_waitcnt vmcnt(0) lgkmcnt(0)
	v_mul_f64 v[10:11], v[21:22], v[17:18]
	v_mul_f64 v[17:18], v[19:20], v[17:18]
	v_fma_f64 v[10:11], v[19:20], v[15:16], -v[10:11]
	s_delay_alu instid0(VALU_DEP_2) | instskip(NEXT) | instid1(VALU_DEP_2)
	v_fma_f64 v[15:16], v[21:22], v[15:16], v[17:18]
	v_add_f64 v[3:4], v[3:4], v[10:11]
	s_delay_alu instid0(VALU_DEP_2)
	v_add_f64 v[1:2], v[1:2], v[15:16]
	s_and_not1_b32 exec_lo, exec_lo, s3
	s_cbranch_execnz .LBB88_37
; %bb.38:
	s_or_b32 exec_lo, exec_lo, s3
	v_mov_b32_e32 v7, 0
	ds_load_b128 v[7:10], v7 offset:96
	s_waitcnt lgkmcnt(0)
	v_mul_f64 v[11:12], v[1:2], v[9:10]
	v_mul_f64 v[15:16], v[3:4], v[9:10]
	s_delay_alu instid0(VALU_DEP_2) | instskip(NEXT) | instid1(VALU_DEP_2)
	v_fma_f64 v[9:10], v[3:4], v[7:8], -v[11:12]
	v_fma_f64 v[11:12], v[1:2], v[7:8], v[15:16]
	scratch_store_b128 off, v[9:12], off offset:96
.LBB88_39:
	s_or_b32 exec_lo, exec_lo, s2
	s_waitcnt_vscnt null, 0x0
	s_barrier
	buffer_gl0_inv
	scratch_load_b128 v[1:4], v84, off
	s_mov_b32 s2, exec_lo
	s_waitcnt vmcnt(0)
	ds_store_b128 v5, v[1:4]
	s_waitcnt lgkmcnt(0)
	s_barrier
	buffer_gl0_inv
	v_cmpx_gt_u32_e32 7, v76
	s_cbranch_execz .LBB88_43
; %bb.40:
	v_dual_mov_b32 v1, 0 :: v_dual_add_nc_u32 v8, 0x190, v13
	v_dual_mov_b32 v2, 0 :: v_dual_add_nc_u32 v7, -1, v76
	v_or_b32_e32 v9, 8, v14
	s_mov_b32 s3, 0
	s_delay_alu instid0(VALU_DEP_2)
	v_dual_mov_b32 v4, v2 :: v_dual_mov_b32 v3, v1
	.p2align	6
.LBB88_41:                              ; =>This Inner Loop Header: Depth=1
	scratch_load_b128 v[15:18], v9, off offset:-8
	ds_load_b128 v[19:22], v8
	v_add_nc_u32_e32 v7, 1, v7
	v_add_nc_u32_e32 v8, 16, v8
	;; [unrolled: 1-line block ×3, first 2 shown]
	s_delay_alu instid0(VALU_DEP_3) | instskip(SKIP_4) | instid1(VALU_DEP_2)
	v_cmp_lt_u32_e32 vcc_lo, 5, v7
	s_or_b32 s3, vcc_lo, s3
	s_waitcnt vmcnt(0) lgkmcnt(0)
	v_mul_f64 v[10:11], v[21:22], v[17:18]
	v_mul_f64 v[17:18], v[19:20], v[17:18]
	v_fma_f64 v[10:11], v[19:20], v[15:16], -v[10:11]
	s_delay_alu instid0(VALU_DEP_2) | instskip(NEXT) | instid1(VALU_DEP_2)
	v_fma_f64 v[15:16], v[21:22], v[15:16], v[17:18]
	v_add_f64 v[3:4], v[3:4], v[10:11]
	s_delay_alu instid0(VALU_DEP_2)
	v_add_f64 v[1:2], v[1:2], v[15:16]
	s_and_not1_b32 exec_lo, exec_lo, s3
	s_cbranch_execnz .LBB88_41
; %bb.42:
	s_or_b32 exec_lo, exec_lo, s3
	v_mov_b32_e32 v7, 0
	ds_load_b128 v[7:10], v7 offset:112
	s_waitcnt lgkmcnt(0)
	v_mul_f64 v[11:12], v[1:2], v[9:10]
	v_mul_f64 v[15:16], v[3:4], v[9:10]
	s_delay_alu instid0(VALU_DEP_2) | instskip(NEXT) | instid1(VALU_DEP_2)
	v_fma_f64 v[9:10], v[3:4], v[7:8], -v[11:12]
	v_fma_f64 v[11:12], v[1:2], v[7:8], v[15:16]
	scratch_store_b128 off, v[9:12], off offset:112
.LBB88_43:
	s_or_b32 exec_lo, exec_lo, s2
	s_waitcnt_vscnt null, 0x0
	s_barrier
	buffer_gl0_inv
	scratch_load_b128 v[1:4], v82, off
	s_mov_b32 s2, exec_lo
	s_waitcnt vmcnt(0)
	ds_store_b128 v5, v[1:4]
	s_waitcnt lgkmcnt(0)
	s_barrier
	buffer_gl0_inv
	v_cmpx_gt_u32_e32 8, v76
	s_cbranch_execz .LBB88_47
; %bb.44:
	v_dual_mov_b32 v1, 0 :: v_dual_add_nc_u32 v8, 0x190, v13
	v_dual_mov_b32 v2, 0 :: v_dual_add_nc_u32 v7, -1, v76
	v_or_b32_e32 v9, 8, v14
	s_mov_b32 s3, 0
	s_delay_alu instid0(VALU_DEP_2)
	v_dual_mov_b32 v4, v2 :: v_dual_mov_b32 v3, v1
	.p2align	6
.LBB88_45:                              ; =>This Inner Loop Header: Depth=1
	scratch_load_b128 v[15:18], v9, off offset:-8
	ds_load_b128 v[19:22], v8
	v_add_nc_u32_e32 v7, 1, v7
	v_add_nc_u32_e32 v8, 16, v8
	v_add_nc_u32_e32 v9, 16, v9
	s_delay_alu instid0(VALU_DEP_3) | instskip(SKIP_4) | instid1(VALU_DEP_2)
	v_cmp_lt_u32_e32 vcc_lo, 6, v7
	s_or_b32 s3, vcc_lo, s3
	s_waitcnt vmcnt(0) lgkmcnt(0)
	v_mul_f64 v[10:11], v[21:22], v[17:18]
	v_mul_f64 v[17:18], v[19:20], v[17:18]
	v_fma_f64 v[10:11], v[19:20], v[15:16], -v[10:11]
	s_delay_alu instid0(VALU_DEP_2) | instskip(NEXT) | instid1(VALU_DEP_2)
	v_fma_f64 v[15:16], v[21:22], v[15:16], v[17:18]
	v_add_f64 v[3:4], v[3:4], v[10:11]
	s_delay_alu instid0(VALU_DEP_2)
	v_add_f64 v[1:2], v[1:2], v[15:16]
	s_and_not1_b32 exec_lo, exec_lo, s3
	s_cbranch_execnz .LBB88_45
; %bb.46:
	s_or_b32 exec_lo, exec_lo, s3
	v_mov_b32_e32 v7, 0
	ds_load_b128 v[7:10], v7 offset:128
	s_waitcnt lgkmcnt(0)
	v_mul_f64 v[11:12], v[1:2], v[9:10]
	v_mul_f64 v[15:16], v[3:4], v[9:10]
	s_delay_alu instid0(VALU_DEP_2) | instskip(NEXT) | instid1(VALU_DEP_2)
	v_fma_f64 v[9:10], v[3:4], v[7:8], -v[11:12]
	v_fma_f64 v[11:12], v[1:2], v[7:8], v[15:16]
	scratch_store_b128 off, v[9:12], off offset:128
.LBB88_47:
	s_or_b32 exec_lo, exec_lo, s2
	s_waitcnt_vscnt null, 0x0
	s_barrier
	buffer_gl0_inv
	scratch_load_b128 v[1:4], v83, off
	s_mov_b32 s2, exec_lo
	s_waitcnt vmcnt(0)
	ds_store_b128 v5, v[1:4]
	s_waitcnt lgkmcnt(0)
	s_barrier
	buffer_gl0_inv
	v_cmpx_gt_u32_e32 9, v76
	s_cbranch_execz .LBB88_51
; %bb.48:
	v_dual_mov_b32 v1, 0 :: v_dual_add_nc_u32 v8, 0x190, v13
	v_dual_mov_b32 v2, 0 :: v_dual_add_nc_u32 v7, -1, v76
	v_or_b32_e32 v9, 8, v14
	s_mov_b32 s3, 0
	s_delay_alu instid0(VALU_DEP_2)
	v_dual_mov_b32 v4, v2 :: v_dual_mov_b32 v3, v1
	.p2align	6
.LBB88_49:                              ; =>This Inner Loop Header: Depth=1
	scratch_load_b128 v[15:18], v9, off offset:-8
	ds_load_b128 v[19:22], v8
	v_add_nc_u32_e32 v7, 1, v7
	v_add_nc_u32_e32 v8, 16, v8
	;; [unrolled: 1-line block ×3, first 2 shown]
	s_delay_alu instid0(VALU_DEP_3) | instskip(SKIP_4) | instid1(VALU_DEP_2)
	v_cmp_lt_u32_e32 vcc_lo, 7, v7
	s_or_b32 s3, vcc_lo, s3
	s_waitcnt vmcnt(0) lgkmcnt(0)
	v_mul_f64 v[10:11], v[21:22], v[17:18]
	v_mul_f64 v[17:18], v[19:20], v[17:18]
	v_fma_f64 v[10:11], v[19:20], v[15:16], -v[10:11]
	s_delay_alu instid0(VALU_DEP_2) | instskip(NEXT) | instid1(VALU_DEP_2)
	v_fma_f64 v[15:16], v[21:22], v[15:16], v[17:18]
	v_add_f64 v[3:4], v[3:4], v[10:11]
	s_delay_alu instid0(VALU_DEP_2)
	v_add_f64 v[1:2], v[1:2], v[15:16]
	s_and_not1_b32 exec_lo, exec_lo, s3
	s_cbranch_execnz .LBB88_49
; %bb.50:
	s_or_b32 exec_lo, exec_lo, s3
	v_mov_b32_e32 v7, 0
	ds_load_b128 v[7:10], v7 offset:144
	s_waitcnt lgkmcnt(0)
	v_mul_f64 v[11:12], v[1:2], v[9:10]
	v_mul_f64 v[15:16], v[3:4], v[9:10]
	s_delay_alu instid0(VALU_DEP_2) | instskip(NEXT) | instid1(VALU_DEP_2)
	v_fma_f64 v[9:10], v[3:4], v[7:8], -v[11:12]
	v_fma_f64 v[11:12], v[1:2], v[7:8], v[15:16]
	scratch_store_b128 off, v[9:12], off offset:144
.LBB88_51:
	s_or_b32 exec_lo, exec_lo, s2
	s_waitcnt_vscnt null, 0x0
	s_barrier
	buffer_gl0_inv
	scratch_load_b128 v[1:4], v81, off
	s_mov_b32 s2, exec_lo
	s_waitcnt vmcnt(0)
	ds_store_b128 v5, v[1:4]
	s_waitcnt lgkmcnt(0)
	s_barrier
	buffer_gl0_inv
	v_cmpx_gt_u32_e32 10, v76
	s_cbranch_execz .LBB88_55
; %bb.52:
	v_dual_mov_b32 v1, 0 :: v_dual_add_nc_u32 v8, 0x190, v13
	v_dual_mov_b32 v2, 0 :: v_dual_add_nc_u32 v7, -1, v76
	v_or_b32_e32 v9, 8, v14
	s_mov_b32 s3, 0
	s_delay_alu instid0(VALU_DEP_2)
	v_dual_mov_b32 v4, v2 :: v_dual_mov_b32 v3, v1
	.p2align	6
.LBB88_53:                              ; =>This Inner Loop Header: Depth=1
	scratch_load_b128 v[15:18], v9, off offset:-8
	ds_load_b128 v[19:22], v8
	v_add_nc_u32_e32 v7, 1, v7
	v_add_nc_u32_e32 v8, 16, v8
	;; [unrolled: 1-line block ×3, first 2 shown]
	s_delay_alu instid0(VALU_DEP_3) | instskip(SKIP_4) | instid1(VALU_DEP_2)
	v_cmp_lt_u32_e32 vcc_lo, 8, v7
	s_or_b32 s3, vcc_lo, s3
	s_waitcnt vmcnt(0) lgkmcnt(0)
	v_mul_f64 v[10:11], v[21:22], v[17:18]
	v_mul_f64 v[17:18], v[19:20], v[17:18]
	v_fma_f64 v[10:11], v[19:20], v[15:16], -v[10:11]
	s_delay_alu instid0(VALU_DEP_2) | instskip(NEXT) | instid1(VALU_DEP_2)
	v_fma_f64 v[15:16], v[21:22], v[15:16], v[17:18]
	v_add_f64 v[3:4], v[3:4], v[10:11]
	s_delay_alu instid0(VALU_DEP_2)
	v_add_f64 v[1:2], v[1:2], v[15:16]
	s_and_not1_b32 exec_lo, exec_lo, s3
	s_cbranch_execnz .LBB88_53
; %bb.54:
	s_or_b32 exec_lo, exec_lo, s3
	v_mov_b32_e32 v7, 0
	ds_load_b128 v[7:10], v7 offset:160
	s_waitcnt lgkmcnt(0)
	v_mul_f64 v[11:12], v[1:2], v[9:10]
	v_mul_f64 v[15:16], v[3:4], v[9:10]
	s_delay_alu instid0(VALU_DEP_2) | instskip(NEXT) | instid1(VALU_DEP_2)
	v_fma_f64 v[9:10], v[3:4], v[7:8], -v[11:12]
	v_fma_f64 v[11:12], v[1:2], v[7:8], v[15:16]
	scratch_store_b128 off, v[9:12], off offset:160
.LBB88_55:
	s_or_b32 exec_lo, exec_lo, s2
	s_waitcnt_vscnt null, 0x0
	s_barrier
	buffer_gl0_inv
	scratch_load_b128 v[1:4], v96, off
	s_mov_b32 s2, exec_lo
	s_waitcnt vmcnt(0)
	ds_store_b128 v5, v[1:4]
	s_waitcnt lgkmcnt(0)
	s_barrier
	buffer_gl0_inv
	v_cmpx_gt_u32_e32 11, v76
	s_cbranch_execz .LBB88_59
; %bb.56:
	v_dual_mov_b32 v1, 0 :: v_dual_add_nc_u32 v8, 0x190, v13
	v_dual_mov_b32 v2, 0 :: v_dual_add_nc_u32 v7, -1, v76
	v_or_b32_e32 v9, 8, v14
	s_mov_b32 s3, 0
	s_delay_alu instid0(VALU_DEP_2)
	v_dual_mov_b32 v4, v2 :: v_dual_mov_b32 v3, v1
	.p2align	6
.LBB88_57:                              ; =>This Inner Loop Header: Depth=1
	scratch_load_b128 v[15:18], v9, off offset:-8
	ds_load_b128 v[19:22], v8
	v_add_nc_u32_e32 v7, 1, v7
	v_add_nc_u32_e32 v8, 16, v8
	;; [unrolled: 1-line block ×3, first 2 shown]
	s_delay_alu instid0(VALU_DEP_3) | instskip(SKIP_4) | instid1(VALU_DEP_2)
	v_cmp_lt_u32_e32 vcc_lo, 9, v7
	s_or_b32 s3, vcc_lo, s3
	s_waitcnt vmcnt(0) lgkmcnt(0)
	v_mul_f64 v[10:11], v[21:22], v[17:18]
	v_mul_f64 v[17:18], v[19:20], v[17:18]
	v_fma_f64 v[10:11], v[19:20], v[15:16], -v[10:11]
	s_delay_alu instid0(VALU_DEP_2) | instskip(NEXT) | instid1(VALU_DEP_2)
	v_fma_f64 v[15:16], v[21:22], v[15:16], v[17:18]
	v_add_f64 v[3:4], v[3:4], v[10:11]
	s_delay_alu instid0(VALU_DEP_2)
	v_add_f64 v[1:2], v[1:2], v[15:16]
	s_and_not1_b32 exec_lo, exec_lo, s3
	s_cbranch_execnz .LBB88_57
; %bb.58:
	s_or_b32 exec_lo, exec_lo, s3
	v_mov_b32_e32 v7, 0
	ds_load_b128 v[7:10], v7 offset:176
	s_waitcnt lgkmcnt(0)
	v_mul_f64 v[11:12], v[1:2], v[9:10]
	v_mul_f64 v[15:16], v[3:4], v[9:10]
	s_delay_alu instid0(VALU_DEP_2) | instskip(NEXT) | instid1(VALU_DEP_2)
	v_fma_f64 v[9:10], v[3:4], v[7:8], -v[11:12]
	v_fma_f64 v[11:12], v[1:2], v[7:8], v[15:16]
	scratch_store_b128 off, v[9:12], off offset:176
.LBB88_59:
	s_or_b32 exec_lo, exec_lo, s2
	s_waitcnt_vscnt null, 0x0
	s_barrier
	buffer_gl0_inv
	scratch_load_b128 v[1:4], v93, off
	s_mov_b32 s2, exec_lo
	s_waitcnt vmcnt(0)
	ds_store_b128 v5, v[1:4]
	s_waitcnt lgkmcnt(0)
	s_barrier
	buffer_gl0_inv
	v_cmpx_gt_u32_e32 12, v76
	s_cbranch_execz .LBB88_63
; %bb.60:
	v_dual_mov_b32 v1, 0 :: v_dual_add_nc_u32 v8, 0x190, v13
	v_dual_mov_b32 v2, 0 :: v_dual_add_nc_u32 v7, -1, v76
	v_or_b32_e32 v9, 8, v14
	s_mov_b32 s3, 0
	s_delay_alu instid0(VALU_DEP_2)
	v_dual_mov_b32 v4, v2 :: v_dual_mov_b32 v3, v1
	.p2align	6
.LBB88_61:                              ; =>This Inner Loop Header: Depth=1
	scratch_load_b128 v[15:18], v9, off offset:-8
	ds_load_b128 v[19:22], v8
	v_add_nc_u32_e32 v7, 1, v7
	v_add_nc_u32_e32 v8, 16, v8
	;; [unrolled: 1-line block ×3, first 2 shown]
	s_delay_alu instid0(VALU_DEP_3) | instskip(SKIP_4) | instid1(VALU_DEP_2)
	v_cmp_lt_u32_e32 vcc_lo, 10, v7
	s_or_b32 s3, vcc_lo, s3
	s_waitcnt vmcnt(0) lgkmcnt(0)
	v_mul_f64 v[10:11], v[21:22], v[17:18]
	v_mul_f64 v[17:18], v[19:20], v[17:18]
	v_fma_f64 v[10:11], v[19:20], v[15:16], -v[10:11]
	s_delay_alu instid0(VALU_DEP_2) | instskip(NEXT) | instid1(VALU_DEP_2)
	v_fma_f64 v[15:16], v[21:22], v[15:16], v[17:18]
	v_add_f64 v[3:4], v[3:4], v[10:11]
	s_delay_alu instid0(VALU_DEP_2)
	v_add_f64 v[1:2], v[1:2], v[15:16]
	s_and_not1_b32 exec_lo, exec_lo, s3
	s_cbranch_execnz .LBB88_61
; %bb.62:
	s_or_b32 exec_lo, exec_lo, s3
	v_mov_b32_e32 v7, 0
	ds_load_b128 v[7:10], v7 offset:192
	s_waitcnt lgkmcnt(0)
	v_mul_f64 v[11:12], v[1:2], v[9:10]
	v_mul_f64 v[15:16], v[3:4], v[9:10]
	s_delay_alu instid0(VALU_DEP_2) | instskip(NEXT) | instid1(VALU_DEP_2)
	v_fma_f64 v[9:10], v[3:4], v[7:8], -v[11:12]
	v_fma_f64 v[11:12], v[1:2], v[7:8], v[15:16]
	scratch_store_b128 off, v[9:12], off offset:192
.LBB88_63:
	s_or_b32 exec_lo, exec_lo, s2
	s_waitcnt_vscnt null, 0x0
	s_barrier
	buffer_gl0_inv
	scratch_load_b128 v[1:4], v98, off
	s_mov_b32 s2, exec_lo
	s_waitcnt vmcnt(0)
	ds_store_b128 v5, v[1:4]
	s_waitcnt lgkmcnt(0)
	s_barrier
	buffer_gl0_inv
	v_cmpx_gt_u32_e32 13, v76
	s_cbranch_execz .LBB88_67
; %bb.64:
	v_dual_mov_b32 v1, 0 :: v_dual_add_nc_u32 v8, 0x190, v13
	v_dual_mov_b32 v2, 0 :: v_dual_add_nc_u32 v7, -1, v76
	v_or_b32_e32 v9, 8, v14
	s_mov_b32 s3, 0
	s_delay_alu instid0(VALU_DEP_2)
	v_dual_mov_b32 v4, v2 :: v_dual_mov_b32 v3, v1
	.p2align	6
.LBB88_65:                              ; =>This Inner Loop Header: Depth=1
	scratch_load_b128 v[15:18], v9, off offset:-8
	ds_load_b128 v[19:22], v8
	v_add_nc_u32_e32 v7, 1, v7
	v_add_nc_u32_e32 v8, 16, v8
	;; [unrolled: 1-line block ×3, first 2 shown]
	s_delay_alu instid0(VALU_DEP_3) | instskip(SKIP_4) | instid1(VALU_DEP_2)
	v_cmp_lt_u32_e32 vcc_lo, 11, v7
	s_or_b32 s3, vcc_lo, s3
	s_waitcnt vmcnt(0) lgkmcnt(0)
	v_mul_f64 v[10:11], v[21:22], v[17:18]
	v_mul_f64 v[17:18], v[19:20], v[17:18]
	v_fma_f64 v[10:11], v[19:20], v[15:16], -v[10:11]
	s_delay_alu instid0(VALU_DEP_2) | instskip(NEXT) | instid1(VALU_DEP_2)
	v_fma_f64 v[15:16], v[21:22], v[15:16], v[17:18]
	v_add_f64 v[3:4], v[3:4], v[10:11]
	s_delay_alu instid0(VALU_DEP_2)
	v_add_f64 v[1:2], v[1:2], v[15:16]
	s_and_not1_b32 exec_lo, exec_lo, s3
	s_cbranch_execnz .LBB88_65
; %bb.66:
	s_or_b32 exec_lo, exec_lo, s3
	v_mov_b32_e32 v7, 0
	ds_load_b128 v[7:10], v7 offset:208
	s_waitcnt lgkmcnt(0)
	v_mul_f64 v[11:12], v[1:2], v[9:10]
	v_mul_f64 v[15:16], v[3:4], v[9:10]
	s_delay_alu instid0(VALU_DEP_2) | instskip(NEXT) | instid1(VALU_DEP_2)
	v_fma_f64 v[9:10], v[3:4], v[7:8], -v[11:12]
	v_fma_f64 v[11:12], v[1:2], v[7:8], v[15:16]
	scratch_store_b128 off, v[9:12], off offset:208
.LBB88_67:
	s_or_b32 exec_lo, exec_lo, s2
	s_waitcnt_vscnt null, 0x0
	s_barrier
	buffer_gl0_inv
	scratch_load_b128 v[1:4], v95, off
	s_mov_b32 s2, exec_lo
	s_waitcnt vmcnt(0)
	ds_store_b128 v5, v[1:4]
	s_waitcnt lgkmcnt(0)
	s_barrier
	buffer_gl0_inv
	v_cmpx_gt_u32_e32 14, v76
	s_cbranch_execz .LBB88_71
; %bb.68:
	v_dual_mov_b32 v1, 0 :: v_dual_add_nc_u32 v8, 0x190, v13
	v_dual_mov_b32 v2, 0 :: v_dual_add_nc_u32 v7, -1, v76
	v_or_b32_e32 v9, 8, v14
	s_mov_b32 s3, 0
	s_delay_alu instid0(VALU_DEP_2)
	v_dual_mov_b32 v4, v2 :: v_dual_mov_b32 v3, v1
	.p2align	6
.LBB88_69:                              ; =>This Inner Loop Header: Depth=1
	scratch_load_b128 v[15:18], v9, off offset:-8
	ds_load_b128 v[19:22], v8
	v_add_nc_u32_e32 v7, 1, v7
	v_add_nc_u32_e32 v8, 16, v8
	;; [unrolled: 1-line block ×3, first 2 shown]
	s_delay_alu instid0(VALU_DEP_3) | instskip(SKIP_4) | instid1(VALU_DEP_2)
	v_cmp_lt_u32_e32 vcc_lo, 12, v7
	s_or_b32 s3, vcc_lo, s3
	s_waitcnt vmcnt(0) lgkmcnt(0)
	v_mul_f64 v[10:11], v[21:22], v[17:18]
	v_mul_f64 v[17:18], v[19:20], v[17:18]
	v_fma_f64 v[10:11], v[19:20], v[15:16], -v[10:11]
	s_delay_alu instid0(VALU_DEP_2) | instskip(NEXT) | instid1(VALU_DEP_2)
	v_fma_f64 v[15:16], v[21:22], v[15:16], v[17:18]
	v_add_f64 v[3:4], v[3:4], v[10:11]
	s_delay_alu instid0(VALU_DEP_2)
	v_add_f64 v[1:2], v[1:2], v[15:16]
	s_and_not1_b32 exec_lo, exec_lo, s3
	s_cbranch_execnz .LBB88_69
; %bb.70:
	s_or_b32 exec_lo, exec_lo, s3
	v_mov_b32_e32 v7, 0
	ds_load_b128 v[7:10], v7 offset:224
	s_waitcnt lgkmcnt(0)
	v_mul_f64 v[11:12], v[1:2], v[9:10]
	v_mul_f64 v[15:16], v[3:4], v[9:10]
	s_delay_alu instid0(VALU_DEP_2) | instskip(NEXT) | instid1(VALU_DEP_2)
	v_fma_f64 v[9:10], v[3:4], v[7:8], -v[11:12]
	v_fma_f64 v[11:12], v[1:2], v[7:8], v[15:16]
	scratch_store_b128 off, v[9:12], off offset:224
.LBB88_71:
	s_or_b32 exec_lo, exec_lo, s2
	s_waitcnt_vscnt null, 0x0
	s_barrier
	buffer_gl0_inv
	scratch_load_b128 v[1:4], v97, off
	s_mov_b32 s2, exec_lo
	s_waitcnt vmcnt(0)
	ds_store_b128 v5, v[1:4]
	s_waitcnt lgkmcnt(0)
	s_barrier
	buffer_gl0_inv
	v_cmpx_gt_u32_e32 15, v76
	s_cbranch_execz .LBB88_75
; %bb.72:
	v_dual_mov_b32 v1, 0 :: v_dual_add_nc_u32 v8, 0x190, v13
	v_dual_mov_b32 v2, 0 :: v_dual_add_nc_u32 v7, -1, v76
	v_or_b32_e32 v9, 8, v14
	s_mov_b32 s3, 0
	s_delay_alu instid0(VALU_DEP_2)
	v_dual_mov_b32 v4, v2 :: v_dual_mov_b32 v3, v1
	.p2align	6
.LBB88_73:                              ; =>This Inner Loop Header: Depth=1
	scratch_load_b128 v[15:18], v9, off offset:-8
	ds_load_b128 v[19:22], v8
	v_add_nc_u32_e32 v7, 1, v7
	v_add_nc_u32_e32 v8, 16, v8
	;; [unrolled: 1-line block ×3, first 2 shown]
	s_delay_alu instid0(VALU_DEP_3) | instskip(SKIP_4) | instid1(VALU_DEP_2)
	v_cmp_lt_u32_e32 vcc_lo, 13, v7
	s_or_b32 s3, vcc_lo, s3
	s_waitcnt vmcnt(0) lgkmcnt(0)
	v_mul_f64 v[10:11], v[21:22], v[17:18]
	v_mul_f64 v[17:18], v[19:20], v[17:18]
	v_fma_f64 v[10:11], v[19:20], v[15:16], -v[10:11]
	s_delay_alu instid0(VALU_DEP_2) | instskip(NEXT) | instid1(VALU_DEP_2)
	v_fma_f64 v[15:16], v[21:22], v[15:16], v[17:18]
	v_add_f64 v[3:4], v[3:4], v[10:11]
	s_delay_alu instid0(VALU_DEP_2)
	v_add_f64 v[1:2], v[1:2], v[15:16]
	s_and_not1_b32 exec_lo, exec_lo, s3
	s_cbranch_execnz .LBB88_73
; %bb.74:
	s_or_b32 exec_lo, exec_lo, s3
	v_mov_b32_e32 v7, 0
	ds_load_b128 v[7:10], v7 offset:240
	s_waitcnt lgkmcnt(0)
	v_mul_f64 v[11:12], v[1:2], v[9:10]
	v_mul_f64 v[15:16], v[3:4], v[9:10]
	s_delay_alu instid0(VALU_DEP_2) | instskip(NEXT) | instid1(VALU_DEP_2)
	v_fma_f64 v[9:10], v[3:4], v[7:8], -v[11:12]
	v_fma_f64 v[11:12], v[1:2], v[7:8], v[15:16]
	scratch_store_b128 off, v[9:12], off offset:240
.LBB88_75:
	s_or_b32 exec_lo, exec_lo, s2
	s_waitcnt_vscnt null, 0x0
	s_barrier
	buffer_gl0_inv
	scratch_load_b128 v[1:4], v94, off
	s_mov_b32 s2, exec_lo
	s_waitcnt vmcnt(0)
	ds_store_b128 v5, v[1:4]
	s_waitcnt lgkmcnt(0)
	s_barrier
	buffer_gl0_inv
	v_cmpx_gt_u32_e32 16, v76
	s_cbranch_execz .LBB88_79
; %bb.76:
	v_dual_mov_b32 v1, 0 :: v_dual_add_nc_u32 v8, 0x190, v13
	v_dual_mov_b32 v2, 0 :: v_dual_add_nc_u32 v7, -1, v76
	v_or_b32_e32 v9, 8, v14
	s_mov_b32 s3, 0
	s_delay_alu instid0(VALU_DEP_2)
	v_dual_mov_b32 v4, v2 :: v_dual_mov_b32 v3, v1
	.p2align	6
.LBB88_77:                              ; =>This Inner Loop Header: Depth=1
	scratch_load_b128 v[15:18], v9, off offset:-8
	ds_load_b128 v[19:22], v8
	v_add_nc_u32_e32 v7, 1, v7
	v_add_nc_u32_e32 v8, 16, v8
	;; [unrolled: 1-line block ×3, first 2 shown]
	s_delay_alu instid0(VALU_DEP_3) | instskip(SKIP_4) | instid1(VALU_DEP_2)
	v_cmp_lt_u32_e32 vcc_lo, 14, v7
	s_or_b32 s3, vcc_lo, s3
	s_waitcnt vmcnt(0) lgkmcnt(0)
	v_mul_f64 v[10:11], v[21:22], v[17:18]
	v_mul_f64 v[17:18], v[19:20], v[17:18]
	v_fma_f64 v[10:11], v[19:20], v[15:16], -v[10:11]
	s_delay_alu instid0(VALU_DEP_2) | instskip(NEXT) | instid1(VALU_DEP_2)
	v_fma_f64 v[15:16], v[21:22], v[15:16], v[17:18]
	v_add_f64 v[3:4], v[3:4], v[10:11]
	s_delay_alu instid0(VALU_DEP_2)
	v_add_f64 v[1:2], v[1:2], v[15:16]
	s_and_not1_b32 exec_lo, exec_lo, s3
	s_cbranch_execnz .LBB88_77
; %bb.78:
	s_or_b32 exec_lo, exec_lo, s3
	v_mov_b32_e32 v7, 0
	ds_load_b128 v[7:10], v7 offset:256
	s_waitcnt lgkmcnt(0)
	v_mul_f64 v[11:12], v[1:2], v[9:10]
	v_mul_f64 v[15:16], v[3:4], v[9:10]
	s_delay_alu instid0(VALU_DEP_2) | instskip(NEXT) | instid1(VALU_DEP_2)
	v_fma_f64 v[9:10], v[3:4], v[7:8], -v[11:12]
	v_fma_f64 v[11:12], v[1:2], v[7:8], v[15:16]
	scratch_store_b128 off, v[9:12], off offset:256
.LBB88_79:
	s_or_b32 exec_lo, exec_lo, s2
	s_waitcnt_vscnt null, 0x0
	s_barrier
	buffer_gl0_inv
	scratch_load_b128 v[1:4], v100, off
	s_mov_b32 s2, exec_lo
	s_waitcnt vmcnt(0)
	ds_store_b128 v5, v[1:4]
	s_waitcnt lgkmcnt(0)
	s_barrier
	buffer_gl0_inv
	v_cmpx_gt_u32_e32 17, v76
	s_cbranch_execz .LBB88_83
; %bb.80:
	v_dual_mov_b32 v1, 0 :: v_dual_add_nc_u32 v8, 0x190, v13
	v_dual_mov_b32 v2, 0 :: v_dual_add_nc_u32 v7, -1, v76
	v_or_b32_e32 v9, 8, v14
	s_mov_b32 s3, 0
	s_delay_alu instid0(VALU_DEP_2)
	v_dual_mov_b32 v4, v2 :: v_dual_mov_b32 v3, v1
	.p2align	6
.LBB88_81:                              ; =>This Inner Loop Header: Depth=1
	scratch_load_b128 v[15:18], v9, off offset:-8
	ds_load_b128 v[19:22], v8
	v_add_nc_u32_e32 v7, 1, v7
	v_add_nc_u32_e32 v8, 16, v8
	;; [unrolled: 1-line block ×3, first 2 shown]
	s_delay_alu instid0(VALU_DEP_3) | instskip(SKIP_4) | instid1(VALU_DEP_2)
	v_cmp_lt_u32_e32 vcc_lo, 15, v7
	s_or_b32 s3, vcc_lo, s3
	s_waitcnt vmcnt(0) lgkmcnt(0)
	v_mul_f64 v[10:11], v[21:22], v[17:18]
	v_mul_f64 v[17:18], v[19:20], v[17:18]
	v_fma_f64 v[10:11], v[19:20], v[15:16], -v[10:11]
	s_delay_alu instid0(VALU_DEP_2) | instskip(NEXT) | instid1(VALU_DEP_2)
	v_fma_f64 v[15:16], v[21:22], v[15:16], v[17:18]
	v_add_f64 v[3:4], v[3:4], v[10:11]
	s_delay_alu instid0(VALU_DEP_2)
	v_add_f64 v[1:2], v[1:2], v[15:16]
	s_and_not1_b32 exec_lo, exec_lo, s3
	s_cbranch_execnz .LBB88_81
; %bb.82:
	s_or_b32 exec_lo, exec_lo, s3
	v_mov_b32_e32 v7, 0
	ds_load_b128 v[7:10], v7 offset:272
	s_waitcnt lgkmcnt(0)
	v_mul_f64 v[11:12], v[1:2], v[9:10]
	v_mul_f64 v[15:16], v[3:4], v[9:10]
	s_delay_alu instid0(VALU_DEP_2) | instskip(NEXT) | instid1(VALU_DEP_2)
	v_fma_f64 v[9:10], v[3:4], v[7:8], -v[11:12]
	v_fma_f64 v[11:12], v[1:2], v[7:8], v[15:16]
	scratch_store_b128 off, v[9:12], off offset:272
.LBB88_83:
	s_or_b32 exec_lo, exec_lo, s2
	s_waitcnt_vscnt null, 0x0
	s_barrier
	buffer_gl0_inv
	scratch_load_b128 v[1:4], v99, off
	s_mov_b32 s2, exec_lo
	s_waitcnt vmcnt(0)
	ds_store_b128 v5, v[1:4]
	s_waitcnt lgkmcnt(0)
	s_barrier
	buffer_gl0_inv
	v_cmpx_gt_u32_e32 18, v76
	s_cbranch_execz .LBB88_87
; %bb.84:
	v_dual_mov_b32 v1, 0 :: v_dual_add_nc_u32 v8, 0x190, v13
	v_dual_mov_b32 v2, 0 :: v_dual_add_nc_u32 v7, -1, v76
	v_or_b32_e32 v9, 8, v14
	s_mov_b32 s3, 0
	s_delay_alu instid0(VALU_DEP_2)
	v_dual_mov_b32 v4, v2 :: v_dual_mov_b32 v3, v1
	.p2align	6
.LBB88_85:                              ; =>This Inner Loop Header: Depth=1
	scratch_load_b128 v[15:18], v9, off offset:-8
	ds_load_b128 v[19:22], v8
	v_add_nc_u32_e32 v7, 1, v7
	v_add_nc_u32_e32 v8, 16, v8
	;; [unrolled: 1-line block ×3, first 2 shown]
	s_delay_alu instid0(VALU_DEP_3) | instskip(SKIP_4) | instid1(VALU_DEP_2)
	v_cmp_lt_u32_e32 vcc_lo, 16, v7
	s_or_b32 s3, vcc_lo, s3
	s_waitcnt vmcnt(0) lgkmcnt(0)
	v_mul_f64 v[10:11], v[21:22], v[17:18]
	v_mul_f64 v[17:18], v[19:20], v[17:18]
	v_fma_f64 v[10:11], v[19:20], v[15:16], -v[10:11]
	s_delay_alu instid0(VALU_DEP_2) | instskip(NEXT) | instid1(VALU_DEP_2)
	v_fma_f64 v[15:16], v[21:22], v[15:16], v[17:18]
	v_add_f64 v[3:4], v[3:4], v[10:11]
	s_delay_alu instid0(VALU_DEP_2)
	v_add_f64 v[1:2], v[1:2], v[15:16]
	s_and_not1_b32 exec_lo, exec_lo, s3
	s_cbranch_execnz .LBB88_85
; %bb.86:
	s_or_b32 exec_lo, exec_lo, s3
	v_mov_b32_e32 v7, 0
	ds_load_b128 v[7:10], v7 offset:288
	s_waitcnt lgkmcnt(0)
	v_mul_f64 v[11:12], v[1:2], v[9:10]
	v_mul_f64 v[15:16], v[3:4], v[9:10]
	s_delay_alu instid0(VALU_DEP_2) | instskip(NEXT) | instid1(VALU_DEP_2)
	v_fma_f64 v[9:10], v[3:4], v[7:8], -v[11:12]
	v_fma_f64 v[11:12], v[1:2], v[7:8], v[15:16]
	scratch_store_b128 off, v[9:12], off offset:288
.LBB88_87:
	s_or_b32 exec_lo, exec_lo, s2
	s_waitcnt_vscnt null, 0x0
	s_barrier
	buffer_gl0_inv
	scratch_load_b128 v[1:4], v86, off
	s_mov_b32 s2, exec_lo
	s_waitcnt vmcnt(0)
	ds_store_b128 v5, v[1:4]
	s_waitcnt lgkmcnt(0)
	s_barrier
	buffer_gl0_inv
	v_cmpx_gt_u32_e32 19, v76
	s_cbranch_execz .LBB88_91
; %bb.88:
	v_dual_mov_b32 v1, 0 :: v_dual_add_nc_u32 v8, 0x190, v13
	v_dual_mov_b32 v2, 0 :: v_dual_add_nc_u32 v7, -1, v76
	v_or_b32_e32 v9, 8, v14
	s_mov_b32 s3, 0
	s_delay_alu instid0(VALU_DEP_2)
	v_dual_mov_b32 v4, v2 :: v_dual_mov_b32 v3, v1
	.p2align	6
.LBB88_89:                              ; =>This Inner Loop Header: Depth=1
	scratch_load_b128 v[15:18], v9, off offset:-8
	ds_load_b128 v[19:22], v8
	v_add_nc_u32_e32 v7, 1, v7
	v_add_nc_u32_e32 v8, 16, v8
	;; [unrolled: 1-line block ×3, first 2 shown]
	s_delay_alu instid0(VALU_DEP_3) | instskip(SKIP_4) | instid1(VALU_DEP_2)
	v_cmp_lt_u32_e32 vcc_lo, 17, v7
	s_or_b32 s3, vcc_lo, s3
	s_waitcnt vmcnt(0) lgkmcnt(0)
	v_mul_f64 v[10:11], v[21:22], v[17:18]
	v_mul_f64 v[17:18], v[19:20], v[17:18]
	v_fma_f64 v[10:11], v[19:20], v[15:16], -v[10:11]
	s_delay_alu instid0(VALU_DEP_2) | instskip(NEXT) | instid1(VALU_DEP_2)
	v_fma_f64 v[15:16], v[21:22], v[15:16], v[17:18]
	v_add_f64 v[3:4], v[3:4], v[10:11]
	s_delay_alu instid0(VALU_DEP_2)
	v_add_f64 v[1:2], v[1:2], v[15:16]
	s_and_not1_b32 exec_lo, exec_lo, s3
	s_cbranch_execnz .LBB88_89
; %bb.90:
	s_or_b32 exec_lo, exec_lo, s3
	v_mov_b32_e32 v7, 0
	ds_load_b128 v[7:10], v7 offset:304
	s_waitcnt lgkmcnt(0)
	v_mul_f64 v[11:12], v[1:2], v[9:10]
	v_mul_f64 v[15:16], v[3:4], v[9:10]
	s_delay_alu instid0(VALU_DEP_2) | instskip(NEXT) | instid1(VALU_DEP_2)
	v_fma_f64 v[9:10], v[3:4], v[7:8], -v[11:12]
	v_fma_f64 v[11:12], v[1:2], v[7:8], v[15:16]
	scratch_store_b128 off, v[9:12], off offset:304
.LBB88_91:
	s_or_b32 exec_lo, exec_lo, s2
	s_waitcnt_vscnt null, 0x0
	s_barrier
	buffer_gl0_inv
	scratch_load_b128 v[1:4], v89, off
	s_mov_b32 s2, exec_lo
	s_waitcnt vmcnt(0)
	ds_store_b128 v5, v[1:4]
	s_waitcnt lgkmcnt(0)
	s_barrier
	buffer_gl0_inv
	v_cmpx_gt_u32_e32 20, v76
	s_cbranch_execz .LBB88_95
; %bb.92:
	v_dual_mov_b32 v1, 0 :: v_dual_add_nc_u32 v8, 0x190, v13
	v_dual_mov_b32 v2, 0 :: v_dual_add_nc_u32 v7, -1, v76
	v_or_b32_e32 v9, 8, v14
	s_mov_b32 s3, 0
	s_delay_alu instid0(VALU_DEP_2)
	v_dual_mov_b32 v4, v2 :: v_dual_mov_b32 v3, v1
	.p2align	6
.LBB88_93:                              ; =>This Inner Loop Header: Depth=1
	scratch_load_b128 v[15:18], v9, off offset:-8
	ds_load_b128 v[19:22], v8
	v_add_nc_u32_e32 v7, 1, v7
	v_add_nc_u32_e32 v8, 16, v8
	;; [unrolled: 1-line block ×3, first 2 shown]
	s_delay_alu instid0(VALU_DEP_3) | instskip(SKIP_4) | instid1(VALU_DEP_2)
	v_cmp_lt_u32_e32 vcc_lo, 18, v7
	s_or_b32 s3, vcc_lo, s3
	s_waitcnt vmcnt(0) lgkmcnt(0)
	v_mul_f64 v[10:11], v[21:22], v[17:18]
	v_mul_f64 v[17:18], v[19:20], v[17:18]
	v_fma_f64 v[10:11], v[19:20], v[15:16], -v[10:11]
	s_delay_alu instid0(VALU_DEP_2) | instskip(NEXT) | instid1(VALU_DEP_2)
	v_fma_f64 v[15:16], v[21:22], v[15:16], v[17:18]
	v_add_f64 v[3:4], v[3:4], v[10:11]
	s_delay_alu instid0(VALU_DEP_2)
	v_add_f64 v[1:2], v[1:2], v[15:16]
	s_and_not1_b32 exec_lo, exec_lo, s3
	s_cbranch_execnz .LBB88_93
; %bb.94:
	s_or_b32 exec_lo, exec_lo, s3
	v_mov_b32_e32 v7, 0
	ds_load_b128 v[7:10], v7 offset:320
	s_waitcnt lgkmcnt(0)
	v_mul_f64 v[11:12], v[1:2], v[9:10]
	v_mul_f64 v[15:16], v[3:4], v[9:10]
	s_delay_alu instid0(VALU_DEP_2) | instskip(NEXT) | instid1(VALU_DEP_2)
	v_fma_f64 v[9:10], v[3:4], v[7:8], -v[11:12]
	v_fma_f64 v[11:12], v[1:2], v[7:8], v[15:16]
	scratch_store_b128 off, v[9:12], off offset:320
.LBB88_95:
	s_or_b32 exec_lo, exec_lo, s2
	s_waitcnt_vscnt null, 0x0
	s_barrier
	buffer_gl0_inv
	scratch_load_b128 v[1:4], v88, off
	s_mov_b32 s2, exec_lo
	s_waitcnt vmcnt(0)
	ds_store_b128 v5, v[1:4]
	s_waitcnt lgkmcnt(0)
	s_barrier
	buffer_gl0_inv
	v_cmpx_gt_u32_e32 21, v76
	s_cbranch_execz .LBB88_99
; %bb.96:
	v_dual_mov_b32 v1, 0 :: v_dual_add_nc_u32 v8, 0x190, v13
	v_dual_mov_b32 v2, 0 :: v_dual_add_nc_u32 v7, -1, v76
	v_or_b32_e32 v9, 8, v14
	s_mov_b32 s3, 0
	s_delay_alu instid0(VALU_DEP_2)
	v_dual_mov_b32 v4, v2 :: v_dual_mov_b32 v3, v1
	.p2align	6
.LBB88_97:                              ; =>This Inner Loop Header: Depth=1
	scratch_load_b128 v[15:18], v9, off offset:-8
	ds_load_b128 v[19:22], v8
	v_add_nc_u32_e32 v7, 1, v7
	v_add_nc_u32_e32 v8, 16, v8
	;; [unrolled: 1-line block ×3, first 2 shown]
	s_delay_alu instid0(VALU_DEP_3) | instskip(SKIP_4) | instid1(VALU_DEP_2)
	v_cmp_lt_u32_e32 vcc_lo, 19, v7
	s_or_b32 s3, vcc_lo, s3
	s_waitcnt vmcnt(0) lgkmcnt(0)
	v_mul_f64 v[10:11], v[21:22], v[17:18]
	v_mul_f64 v[17:18], v[19:20], v[17:18]
	v_fma_f64 v[10:11], v[19:20], v[15:16], -v[10:11]
	s_delay_alu instid0(VALU_DEP_2) | instskip(NEXT) | instid1(VALU_DEP_2)
	v_fma_f64 v[15:16], v[21:22], v[15:16], v[17:18]
	v_add_f64 v[3:4], v[3:4], v[10:11]
	s_delay_alu instid0(VALU_DEP_2)
	v_add_f64 v[1:2], v[1:2], v[15:16]
	s_and_not1_b32 exec_lo, exec_lo, s3
	s_cbranch_execnz .LBB88_97
; %bb.98:
	s_or_b32 exec_lo, exec_lo, s3
	v_mov_b32_e32 v7, 0
	ds_load_b128 v[7:10], v7 offset:336
	s_waitcnt lgkmcnt(0)
	v_mul_f64 v[11:12], v[1:2], v[9:10]
	v_mul_f64 v[15:16], v[3:4], v[9:10]
	s_delay_alu instid0(VALU_DEP_2) | instskip(NEXT) | instid1(VALU_DEP_2)
	v_fma_f64 v[9:10], v[3:4], v[7:8], -v[11:12]
	v_fma_f64 v[11:12], v[1:2], v[7:8], v[15:16]
	scratch_store_b128 off, v[9:12], off offset:336
.LBB88_99:
	s_or_b32 exec_lo, exec_lo, s2
	s_waitcnt_vscnt null, 0x0
	s_barrier
	buffer_gl0_inv
	scratch_load_b128 v[1:4], v92, off
	s_mov_b32 s2, exec_lo
	s_waitcnt vmcnt(0)
	ds_store_b128 v5, v[1:4]
	s_waitcnt lgkmcnt(0)
	s_barrier
	buffer_gl0_inv
	v_cmpx_gt_u32_e32 22, v76
	s_cbranch_execz .LBB88_103
; %bb.100:
	v_dual_mov_b32 v1, 0 :: v_dual_add_nc_u32 v8, 0x190, v13
	v_dual_mov_b32 v2, 0 :: v_dual_add_nc_u32 v7, -1, v76
	v_or_b32_e32 v9, 8, v14
	s_mov_b32 s3, 0
	s_delay_alu instid0(VALU_DEP_2)
	v_dual_mov_b32 v4, v2 :: v_dual_mov_b32 v3, v1
	.p2align	6
.LBB88_101:                             ; =>This Inner Loop Header: Depth=1
	scratch_load_b128 v[15:18], v9, off offset:-8
	ds_load_b128 v[19:22], v8
	v_add_nc_u32_e32 v7, 1, v7
	v_add_nc_u32_e32 v8, 16, v8
	;; [unrolled: 1-line block ×3, first 2 shown]
	s_delay_alu instid0(VALU_DEP_3) | instskip(SKIP_4) | instid1(VALU_DEP_2)
	v_cmp_lt_u32_e32 vcc_lo, 20, v7
	s_or_b32 s3, vcc_lo, s3
	s_waitcnt vmcnt(0) lgkmcnt(0)
	v_mul_f64 v[10:11], v[21:22], v[17:18]
	v_mul_f64 v[17:18], v[19:20], v[17:18]
	v_fma_f64 v[10:11], v[19:20], v[15:16], -v[10:11]
	s_delay_alu instid0(VALU_DEP_2) | instskip(NEXT) | instid1(VALU_DEP_2)
	v_fma_f64 v[15:16], v[21:22], v[15:16], v[17:18]
	v_add_f64 v[3:4], v[3:4], v[10:11]
	s_delay_alu instid0(VALU_DEP_2)
	v_add_f64 v[1:2], v[1:2], v[15:16]
	s_and_not1_b32 exec_lo, exec_lo, s3
	s_cbranch_execnz .LBB88_101
; %bb.102:
	s_or_b32 exec_lo, exec_lo, s3
	v_mov_b32_e32 v7, 0
	ds_load_b128 v[7:10], v7 offset:352
	s_waitcnt lgkmcnt(0)
	v_mul_f64 v[11:12], v[1:2], v[9:10]
	v_mul_f64 v[15:16], v[3:4], v[9:10]
	s_delay_alu instid0(VALU_DEP_2) | instskip(NEXT) | instid1(VALU_DEP_2)
	v_fma_f64 v[9:10], v[3:4], v[7:8], -v[11:12]
	v_fma_f64 v[11:12], v[1:2], v[7:8], v[15:16]
	scratch_store_b128 off, v[9:12], off offset:352
.LBB88_103:
	s_or_b32 exec_lo, exec_lo, s2
	s_waitcnt_vscnt null, 0x0
	s_barrier
	buffer_gl0_inv
	scratch_load_b128 v[1:4], v91, off
	s_mov_b32 s2, exec_lo
	s_waitcnt vmcnt(0)
	ds_store_b128 v5, v[1:4]
	s_waitcnt lgkmcnt(0)
	s_barrier
	buffer_gl0_inv
	v_cmpx_gt_u32_e32 23, v76
	s_cbranch_execz .LBB88_107
; %bb.104:
	v_dual_mov_b32 v1, 0 :: v_dual_add_nc_u32 v8, 0x190, v13
	v_dual_mov_b32 v2, 0 :: v_dual_add_nc_u32 v7, -1, v76
	v_or_b32_e32 v9, 8, v14
	s_mov_b32 s3, 0
	s_delay_alu instid0(VALU_DEP_2)
	v_dual_mov_b32 v4, v2 :: v_dual_mov_b32 v3, v1
	.p2align	6
.LBB88_105:                             ; =>This Inner Loop Header: Depth=1
	scratch_load_b128 v[10:13], v9, off offset:-8
	ds_load_b128 v[15:18], v8
	v_add_nc_u32_e32 v7, 1, v7
	v_add_nc_u32_e32 v8, 16, v8
	;; [unrolled: 1-line block ×3, first 2 shown]
	s_delay_alu instid0(VALU_DEP_3) | instskip(SKIP_4) | instid1(VALU_DEP_2)
	v_cmp_lt_u32_e32 vcc_lo, 21, v7
	s_or_b32 s3, vcc_lo, s3
	s_waitcnt vmcnt(0) lgkmcnt(0)
	v_mul_f64 v[19:20], v[17:18], v[12:13]
	v_mul_f64 v[12:13], v[15:16], v[12:13]
	v_fma_f64 v[15:16], v[15:16], v[10:11], -v[19:20]
	s_delay_alu instid0(VALU_DEP_2) | instskip(NEXT) | instid1(VALU_DEP_2)
	v_fma_f64 v[10:11], v[17:18], v[10:11], v[12:13]
	v_add_f64 v[3:4], v[3:4], v[15:16]
	s_delay_alu instid0(VALU_DEP_2)
	v_add_f64 v[1:2], v[1:2], v[10:11]
	s_and_not1_b32 exec_lo, exec_lo, s3
	s_cbranch_execnz .LBB88_105
; %bb.106:
	s_or_b32 exec_lo, exec_lo, s3
	v_mov_b32_e32 v7, 0
	ds_load_b128 v[7:10], v7 offset:368
	s_waitcnt lgkmcnt(0)
	v_mul_f64 v[11:12], v[1:2], v[9:10]
	v_mul_f64 v[15:16], v[3:4], v[9:10]
	s_delay_alu instid0(VALU_DEP_2) | instskip(NEXT) | instid1(VALU_DEP_2)
	v_fma_f64 v[9:10], v[3:4], v[7:8], -v[11:12]
	v_fma_f64 v[11:12], v[1:2], v[7:8], v[15:16]
	scratch_store_b128 off, v[9:12], off offset:368
.LBB88_107:
	s_or_b32 exec_lo, exec_lo, s2
	s_waitcnt_vscnt null, 0x0
	s_barrier
	buffer_gl0_inv
	scratch_load_b128 v[1:4], v90, off
	s_mov_b32 s2, exec_lo
	s_waitcnt vmcnt(0)
	ds_store_b128 v5, v[1:4]
	s_waitcnt lgkmcnt(0)
	s_barrier
	buffer_gl0_inv
	v_cmpx_ne_u32_e32 24, v76
	s_cbranch_execz .LBB88_111
; %bb.108:
	v_mov_b32_e32 v1, 0
	v_mov_b32_e32 v2, 0
	v_or_b32_e32 v7, 8, v14
	s_mov_b32 s3, 0
	s_delay_alu instid0(VALU_DEP_2)
	v_dual_mov_b32 v4, v2 :: v_dual_mov_b32 v3, v1
	.p2align	6
.LBB88_109:                             ; =>This Inner Loop Header: Depth=1
	scratch_load_b128 v[8:11], v7, off offset:-8
	ds_load_b128 v[12:15], v5
	v_add_nc_u32_e32 v6, 1, v6
	v_add_nc_u32_e32 v5, 16, v5
	;; [unrolled: 1-line block ×3, first 2 shown]
	s_delay_alu instid0(VALU_DEP_3) | instskip(SKIP_4) | instid1(VALU_DEP_2)
	v_cmp_lt_u32_e32 vcc_lo, 22, v6
	s_or_b32 s3, vcc_lo, s3
	s_waitcnt vmcnt(0) lgkmcnt(0)
	v_mul_f64 v[16:17], v[14:15], v[10:11]
	v_mul_f64 v[10:11], v[12:13], v[10:11]
	v_fma_f64 v[12:13], v[12:13], v[8:9], -v[16:17]
	s_delay_alu instid0(VALU_DEP_2) | instskip(NEXT) | instid1(VALU_DEP_2)
	v_fma_f64 v[8:9], v[14:15], v[8:9], v[10:11]
	v_add_f64 v[3:4], v[3:4], v[12:13]
	s_delay_alu instid0(VALU_DEP_2)
	v_add_f64 v[1:2], v[1:2], v[8:9]
	s_and_not1_b32 exec_lo, exec_lo, s3
	s_cbranch_execnz .LBB88_109
; %bb.110:
	s_or_b32 exec_lo, exec_lo, s3
	v_mov_b32_e32 v5, 0
	ds_load_b128 v[5:8], v5 offset:384
	s_waitcnt lgkmcnt(0)
	v_mul_f64 v[9:10], v[1:2], v[7:8]
	v_mul_f64 v[7:8], v[3:4], v[7:8]
	s_delay_alu instid0(VALU_DEP_2) | instskip(NEXT) | instid1(VALU_DEP_2)
	v_fma_f64 v[3:4], v[3:4], v[5:6], -v[9:10]
	v_fma_f64 v[5:6], v[1:2], v[5:6], v[7:8]
	scratch_store_b128 off, v[3:6], off offset:384
.LBB88_111:
	s_or_b32 exec_lo, exec_lo, s2
	s_mov_b32 s3, -1
	s_waitcnt_vscnt null, 0x0
	s_barrier
	buffer_gl0_inv
.LBB88_112:
	s_and_b32 vcc_lo, exec_lo, s3
	s_cbranch_vccz .LBB88_114
; %bb.113:
	s_lshl_b64 s[2:3], s[10:11], 2
	v_mov_b32_e32 v1, 0
	s_add_u32 s2, s6, s2
	s_addc_u32 s3, s7, s3
	global_load_b32 v1, v1, s[2:3]
	s_waitcnt vmcnt(0)
	v_cmp_ne_u32_e32 vcc_lo, 0, v1
	s_cbranch_vccz .LBB88_115
.LBB88_114:
	s_endpgm
.LBB88_115:
	v_lshl_add_u32 v18, v76, 4, 0x190
	s_mov_b32 s2, exec_lo
	v_cmpx_eq_u32_e32 24, v76
	s_cbranch_execz .LBB88_117
; %bb.116:
	scratch_load_b128 v[1:4], v91, off
	v_mov_b32_e32 v5, 0
	s_delay_alu instid0(VALU_DEP_1)
	v_mov_b32_e32 v6, v5
	v_mov_b32_e32 v7, v5
	;; [unrolled: 1-line block ×3, first 2 shown]
	scratch_store_b128 off, v[5:8], off offset:368
	s_waitcnt vmcnt(0)
	ds_store_b128 v18, v[1:4]
.LBB88_117:
	s_or_b32 exec_lo, exec_lo, s2
	s_waitcnt lgkmcnt(0)
	s_waitcnt_vscnt null, 0x0
	s_barrier
	buffer_gl0_inv
	s_clause 0x1
	scratch_load_b128 v[2:5], off, off offset:384
	scratch_load_b128 v[6:9], off, off offset:368
	v_mov_b32_e32 v1, 0
	s_mov_b32 s2, exec_lo
	ds_load_b128 v[10:13], v1 offset:784
	s_waitcnt vmcnt(1) lgkmcnt(0)
	v_mul_f64 v[14:15], v[12:13], v[4:5]
	v_mul_f64 v[4:5], v[10:11], v[4:5]
	s_delay_alu instid0(VALU_DEP_2) | instskip(NEXT) | instid1(VALU_DEP_2)
	v_fma_f64 v[10:11], v[10:11], v[2:3], -v[14:15]
	v_fma_f64 v[2:3], v[12:13], v[2:3], v[4:5]
	s_delay_alu instid0(VALU_DEP_2) | instskip(NEXT) | instid1(VALU_DEP_2)
	v_add_f64 v[4:5], v[10:11], 0
	v_add_f64 v[10:11], v[2:3], 0
	s_waitcnt vmcnt(0)
	s_delay_alu instid0(VALU_DEP_2) | instskip(NEXT) | instid1(VALU_DEP_2)
	v_add_f64 v[2:3], v[6:7], -v[4:5]
	v_add_f64 v[4:5], v[8:9], -v[10:11]
	scratch_store_b128 off, v[2:5], off offset:368
	v_cmpx_lt_u32_e32 22, v76
	s_cbranch_execz .LBB88_119
; %bb.118:
	scratch_load_b128 v[5:8], v92, off
	v_mov_b32_e32 v2, v1
	v_mov_b32_e32 v3, v1
	;; [unrolled: 1-line block ×3, first 2 shown]
	scratch_store_b128 off, v[1:4], off offset:352
	s_waitcnt vmcnt(0)
	ds_store_b128 v18, v[5:8]
.LBB88_119:
	s_or_b32 exec_lo, exec_lo, s2
	s_waitcnt lgkmcnt(0)
	s_waitcnt_vscnt null, 0x0
	s_barrier
	buffer_gl0_inv
	s_clause 0x2
	scratch_load_b128 v[2:5], off, off offset:368
	scratch_load_b128 v[6:9], off, off offset:384
	;; [unrolled: 1-line block ×3, first 2 shown]
	ds_load_b128 v[14:17], v1 offset:768
	ds_load_b128 v[19:22], v1 offset:784
	s_mov_b32 s2, exec_lo
	s_waitcnt vmcnt(2) lgkmcnt(1)
	v_mul_f64 v[23:24], v[16:17], v[4:5]
	v_mul_f64 v[4:5], v[14:15], v[4:5]
	s_waitcnt vmcnt(1) lgkmcnt(0)
	v_mul_f64 v[101:102], v[19:20], v[8:9]
	v_mul_f64 v[8:9], v[21:22], v[8:9]
	s_delay_alu instid0(VALU_DEP_4) | instskip(NEXT) | instid1(VALU_DEP_4)
	v_fma_f64 v[14:15], v[14:15], v[2:3], -v[23:24]
	v_fma_f64 v[1:2], v[16:17], v[2:3], v[4:5]
	s_delay_alu instid0(VALU_DEP_4) | instskip(NEXT) | instid1(VALU_DEP_4)
	v_fma_f64 v[3:4], v[21:22], v[6:7], v[101:102]
	v_fma_f64 v[5:6], v[19:20], v[6:7], -v[8:9]
	s_delay_alu instid0(VALU_DEP_4) | instskip(NEXT) | instid1(VALU_DEP_4)
	v_add_f64 v[7:8], v[14:15], 0
	v_add_f64 v[1:2], v[1:2], 0
	s_delay_alu instid0(VALU_DEP_2) | instskip(NEXT) | instid1(VALU_DEP_2)
	v_add_f64 v[5:6], v[7:8], v[5:6]
	v_add_f64 v[3:4], v[1:2], v[3:4]
	s_waitcnt vmcnt(0)
	s_delay_alu instid0(VALU_DEP_2) | instskip(NEXT) | instid1(VALU_DEP_2)
	v_add_f64 v[1:2], v[10:11], -v[5:6]
	v_add_f64 v[3:4], v[12:13], -v[3:4]
	scratch_store_b128 off, v[1:4], off offset:352
	v_cmpx_lt_u32_e32 21, v76
	s_cbranch_execz .LBB88_121
; %bb.120:
	scratch_load_b128 v[1:4], v88, off
	v_mov_b32_e32 v5, 0
	s_delay_alu instid0(VALU_DEP_1)
	v_mov_b32_e32 v6, v5
	v_mov_b32_e32 v7, v5
	;; [unrolled: 1-line block ×3, first 2 shown]
	scratch_store_b128 off, v[5:8], off offset:336
	s_waitcnt vmcnt(0)
	ds_store_b128 v18, v[1:4]
.LBB88_121:
	s_or_b32 exec_lo, exec_lo, s2
	s_waitcnt lgkmcnt(0)
	s_waitcnt_vscnt null, 0x0
	s_barrier
	buffer_gl0_inv
	s_clause 0x3
	scratch_load_b128 v[2:5], off, off offset:352
	scratch_load_b128 v[6:9], off, off offset:368
	;; [unrolled: 1-line block ×4, first 2 shown]
	v_mov_b32_e32 v1, 0
	ds_load_b128 v[19:22], v1 offset:752
	ds_load_b128 v[101:104], v1 offset:768
	s_mov_b32 s2, exec_lo
	s_waitcnt vmcnt(3) lgkmcnt(1)
	v_mul_f64 v[23:24], v[21:22], v[4:5]
	v_mul_f64 v[4:5], v[19:20], v[4:5]
	s_waitcnt vmcnt(2) lgkmcnt(0)
	v_mul_f64 v[105:106], v[101:102], v[8:9]
	v_mul_f64 v[8:9], v[103:104], v[8:9]
	s_delay_alu instid0(VALU_DEP_4) | instskip(NEXT) | instid1(VALU_DEP_4)
	v_fma_f64 v[19:20], v[19:20], v[2:3], -v[23:24]
	v_fma_f64 v[21:22], v[21:22], v[2:3], v[4:5]
	ds_load_b128 v[2:5], v1 offset:784
	v_fma_f64 v[103:104], v[103:104], v[6:7], v[105:106]
	v_fma_f64 v[6:7], v[101:102], v[6:7], -v[8:9]
	s_waitcnt vmcnt(1) lgkmcnt(0)
	v_mul_f64 v[23:24], v[2:3], v[12:13]
	v_mul_f64 v[12:13], v[4:5], v[12:13]
	v_add_f64 v[8:9], v[19:20], 0
	v_add_f64 v[19:20], v[21:22], 0
	s_delay_alu instid0(VALU_DEP_4) | instskip(NEXT) | instid1(VALU_DEP_4)
	v_fma_f64 v[4:5], v[4:5], v[10:11], v[23:24]
	v_fma_f64 v[2:3], v[2:3], v[10:11], -v[12:13]
	s_delay_alu instid0(VALU_DEP_4) | instskip(NEXT) | instid1(VALU_DEP_4)
	v_add_f64 v[6:7], v[8:9], v[6:7]
	v_add_f64 v[8:9], v[19:20], v[103:104]
	s_delay_alu instid0(VALU_DEP_2) | instskip(NEXT) | instid1(VALU_DEP_2)
	v_add_f64 v[2:3], v[6:7], v[2:3]
	v_add_f64 v[4:5], v[8:9], v[4:5]
	s_waitcnt vmcnt(0)
	s_delay_alu instid0(VALU_DEP_2) | instskip(NEXT) | instid1(VALU_DEP_2)
	v_add_f64 v[2:3], v[14:15], -v[2:3]
	v_add_f64 v[4:5], v[16:17], -v[4:5]
	scratch_store_b128 off, v[2:5], off offset:336
	v_cmpx_lt_u32_e32 20, v76
	s_cbranch_execz .LBB88_123
; %bb.122:
	scratch_load_b128 v[5:8], v89, off
	v_mov_b32_e32 v2, v1
	v_mov_b32_e32 v3, v1
	;; [unrolled: 1-line block ×3, first 2 shown]
	scratch_store_b128 off, v[1:4], off offset:320
	s_waitcnt vmcnt(0)
	ds_store_b128 v18, v[5:8]
.LBB88_123:
	s_or_b32 exec_lo, exec_lo, s2
	s_waitcnt lgkmcnt(0)
	s_waitcnt_vscnt null, 0x0
	s_barrier
	buffer_gl0_inv
	s_clause 0x4
	scratch_load_b128 v[2:5], off, off offset:336
	scratch_load_b128 v[6:9], off, off offset:352
	;; [unrolled: 1-line block ×5, first 2 shown]
	ds_load_b128 v[101:104], v1 offset:736
	ds_load_b128 v[105:108], v1 offset:752
	s_mov_b32 s2, exec_lo
	s_waitcnt vmcnt(4) lgkmcnt(1)
	v_mul_f64 v[23:24], v[103:104], v[4:5]
	v_mul_f64 v[4:5], v[101:102], v[4:5]
	s_waitcnt vmcnt(3) lgkmcnt(0)
	v_mul_f64 v[109:110], v[105:106], v[8:9]
	v_mul_f64 v[8:9], v[107:108], v[8:9]
	s_delay_alu instid0(VALU_DEP_4) | instskip(NEXT) | instid1(VALU_DEP_4)
	v_fma_f64 v[23:24], v[101:102], v[2:3], -v[23:24]
	v_fma_f64 v[111:112], v[103:104], v[2:3], v[4:5]
	ds_load_b128 v[2:5], v1 offset:768
	ds_load_b128 v[101:104], v1 offset:784
	v_fma_f64 v[107:108], v[107:108], v[6:7], v[109:110]
	v_fma_f64 v[6:7], v[105:106], v[6:7], -v[8:9]
	s_waitcnt vmcnt(2) lgkmcnt(1)
	v_mul_f64 v[113:114], v[2:3], v[12:13]
	v_mul_f64 v[12:13], v[4:5], v[12:13]
	s_waitcnt vmcnt(1) lgkmcnt(0)
	v_mul_f64 v[105:106], v[101:102], v[16:17]
	v_mul_f64 v[16:17], v[103:104], v[16:17]
	v_add_f64 v[8:9], v[23:24], 0
	v_add_f64 v[23:24], v[111:112], 0
	v_fma_f64 v[4:5], v[4:5], v[10:11], v[113:114]
	v_fma_f64 v[1:2], v[2:3], v[10:11], -v[12:13]
	v_fma_f64 v[10:11], v[103:104], v[14:15], v[105:106]
	v_fma_f64 v[12:13], v[101:102], v[14:15], -v[16:17]
	v_add_f64 v[6:7], v[8:9], v[6:7]
	v_add_f64 v[8:9], v[23:24], v[107:108]
	s_delay_alu instid0(VALU_DEP_2) | instskip(NEXT) | instid1(VALU_DEP_2)
	v_add_f64 v[1:2], v[6:7], v[1:2]
	v_add_f64 v[3:4], v[8:9], v[4:5]
	s_delay_alu instid0(VALU_DEP_2) | instskip(NEXT) | instid1(VALU_DEP_2)
	v_add_f64 v[1:2], v[1:2], v[12:13]
	v_add_f64 v[3:4], v[3:4], v[10:11]
	s_waitcnt vmcnt(0)
	s_delay_alu instid0(VALU_DEP_2) | instskip(NEXT) | instid1(VALU_DEP_2)
	v_add_f64 v[1:2], v[19:20], -v[1:2]
	v_add_f64 v[3:4], v[21:22], -v[3:4]
	scratch_store_b128 off, v[1:4], off offset:320
	v_cmpx_lt_u32_e32 19, v76
	s_cbranch_execz .LBB88_125
; %bb.124:
	scratch_load_b128 v[1:4], v86, off
	v_mov_b32_e32 v5, 0
	s_delay_alu instid0(VALU_DEP_1)
	v_mov_b32_e32 v6, v5
	v_mov_b32_e32 v7, v5
	;; [unrolled: 1-line block ×3, first 2 shown]
	scratch_store_b128 off, v[5:8], off offset:304
	s_waitcnt vmcnt(0)
	ds_store_b128 v18, v[1:4]
.LBB88_125:
	s_or_b32 exec_lo, exec_lo, s2
	s_waitcnt lgkmcnt(0)
	s_waitcnt_vscnt null, 0x0
	s_barrier
	buffer_gl0_inv
	s_clause 0x5
	scratch_load_b128 v[2:5], off, off offset:320
	scratch_load_b128 v[6:9], off, off offset:336
	;; [unrolled: 1-line block ×6, first 2 shown]
	v_mov_b32_e32 v1, 0
	ds_load_b128 v[105:108], v1 offset:720
	ds_load_b128 v[109:112], v1 offset:736
	s_mov_b32 s2, exec_lo
	s_waitcnt vmcnt(5) lgkmcnt(1)
	v_mul_f64 v[23:24], v[107:108], v[4:5]
	v_mul_f64 v[4:5], v[105:106], v[4:5]
	s_waitcnt vmcnt(4) lgkmcnt(0)
	v_mul_f64 v[113:114], v[109:110], v[8:9]
	v_mul_f64 v[8:9], v[111:112], v[8:9]
	s_delay_alu instid0(VALU_DEP_4) | instskip(NEXT) | instid1(VALU_DEP_4)
	v_fma_f64 v[23:24], v[105:106], v[2:3], -v[23:24]
	v_fma_f64 v[115:116], v[107:108], v[2:3], v[4:5]
	ds_load_b128 v[2:5], v1 offset:752
	ds_load_b128 v[105:108], v1 offset:768
	v_fma_f64 v[111:112], v[111:112], v[6:7], v[113:114]
	v_fma_f64 v[6:7], v[109:110], v[6:7], -v[8:9]
	s_waitcnt vmcnt(3) lgkmcnt(1)
	v_mul_f64 v[117:118], v[2:3], v[12:13]
	v_mul_f64 v[12:13], v[4:5], v[12:13]
	s_waitcnt vmcnt(2) lgkmcnt(0)
	v_mul_f64 v[109:110], v[105:106], v[16:17]
	v_mul_f64 v[16:17], v[107:108], v[16:17]
	v_add_f64 v[8:9], v[23:24], 0
	v_add_f64 v[23:24], v[115:116], 0
	v_fma_f64 v[113:114], v[4:5], v[10:11], v[117:118]
	v_fma_f64 v[10:11], v[2:3], v[10:11], -v[12:13]
	ds_load_b128 v[2:5], v1 offset:784
	v_add_f64 v[6:7], v[8:9], v[6:7]
	v_add_f64 v[8:9], v[23:24], v[111:112]
	v_fma_f64 v[23:24], v[107:108], v[14:15], v[109:110]
	v_fma_f64 v[14:15], v[105:106], v[14:15], -v[16:17]
	s_waitcnt vmcnt(1) lgkmcnt(0)
	v_mul_f64 v[12:13], v[2:3], v[21:22]
	v_mul_f64 v[21:22], v[4:5], v[21:22]
	v_add_f64 v[6:7], v[6:7], v[10:11]
	v_add_f64 v[8:9], v[8:9], v[113:114]
	s_delay_alu instid0(VALU_DEP_4) | instskip(NEXT) | instid1(VALU_DEP_4)
	v_fma_f64 v[4:5], v[4:5], v[19:20], v[12:13]
	v_fma_f64 v[2:3], v[2:3], v[19:20], -v[21:22]
	s_delay_alu instid0(VALU_DEP_4) | instskip(NEXT) | instid1(VALU_DEP_4)
	v_add_f64 v[6:7], v[6:7], v[14:15]
	v_add_f64 v[8:9], v[8:9], v[23:24]
	s_delay_alu instid0(VALU_DEP_2) | instskip(NEXT) | instid1(VALU_DEP_2)
	v_add_f64 v[2:3], v[6:7], v[2:3]
	v_add_f64 v[4:5], v[8:9], v[4:5]
	s_waitcnt vmcnt(0)
	s_delay_alu instid0(VALU_DEP_2) | instskip(NEXT) | instid1(VALU_DEP_2)
	v_add_f64 v[2:3], v[101:102], -v[2:3]
	v_add_f64 v[4:5], v[103:104], -v[4:5]
	scratch_store_b128 off, v[2:5], off offset:304
	v_cmpx_lt_u32_e32 18, v76
	s_cbranch_execz .LBB88_127
; %bb.126:
	scratch_load_b128 v[5:8], v99, off
	v_mov_b32_e32 v2, v1
	v_mov_b32_e32 v3, v1
	;; [unrolled: 1-line block ×3, first 2 shown]
	scratch_store_b128 off, v[1:4], off offset:288
	s_waitcnt vmcnt(0)
	ds_store_b128 v18, v[5:8]
.LBB88_127:
	s_or_b32 exec_lo, exec_lo, s2
	s_waitcnt lgkmcnt(0)
	s_waitcnt_vscnt null, 0x0
	s_barrier
	buffer_gl0_inv
	s_clause 0x5
	scratch_load_b128 v[2:5], off, off offset:304
	scratch_load_b128 v[6:9], off, off offset:320
	;; [unrolled: 1-line block ×6, first 2 shown]
	ds_load_b128 v[105:108], v1 offset:704
	ds_load_b128 v[113:116], v1 offset:720
	scratch_load_b128 v[109:112], off, off offset:288
	s_mov_b32 s2, exec_lo
	s_waitcnt vmcnt(6) lgkmcnt(1)
	v_mul_f64 v[23:24], v[107:108], v[4:5]
	v_mul_f64 v[4:5], v[105:106], v[4:5]
	s_waitcnt vmcnt(5) lgkmcnt(0)
	v_mul_f64 v[117:118], v[113:114], v[8:9]
	v_mul_f64 v[8:9], v[115:116], v[8:9]
	s_delay_alu instid0(VALU_DEP_4) | instskip(NEXT) | instid1(VALU_DEP_4)
	v_fma_f64 v[23:24], v[105:106], v[2:3], -v[23:24]
	v_fma_f64 v[119:120], v[107:108], v[2:3], v[4:5]
	ds_load_b128 v[2:5], v1 offset:736
	ds_load_b128 v[105:108], v1 offset:752
	v_fma_f64 v[115:116], v[115:116], v[6:7], v[117:118]
	v_fma_f64 v[6:7], v[113:114], v[6:7], -v[8:9]
	s_waitcnt vmcnt(4) lgkmcnt(1)
	v_mul_f64 v[121:122], v[2:3], v[12:13]
	v_mul_f64 v[12:13], v[4:5], v[12:13]
	s_waitcnt vmcnt(3) lgkmcnt(0)
	v_mul_f64 v[113:114], v[105:106], v[16:17]
	v_mul_f64 v[16:17], v[107:108], v[16:17]
	v_add_f64 v[8:9], v[23:24], 0
	v_add_f64 v[23:24], v[119:120], 0
	v_fma_f64 v[117:118], v[4:5], v[10:11], v[121:122]
	v_fma_f64 v[10:11], v[2:3], v[10:11], -v[12:13]
	v_fma_f64 v[107:108], v[107:108], v[14:15], v[113:114]
	v_fma_f64 v[14:15], v[105:106], v[14:15], -v[16:17]
	v_add_f64 v[12:13], v[8:9], v[6:7]
	v_add_f64 v[23:24], v[23:24], v[115:116]
	ds_load_b128 v[2:5], v1 offset:768
	ds_load_b128 v[6:9], v1 offset:784
	s_waitcnt vmcnt(2) lgkmcnt(1)
	v_mul_f64 v[115:116], v[2:3], v[21:22]
	v_mul_f64 v[21:22], v[4:5], v[21:22]
	s_waitcnt vmcnt(1) lgkmcnt(0)
	v_mul_f64 v[16:17], v[6:7], v[103:104]
	v_add_f64 v[10:11], v[12:13], v[10:11]
	v_add_f64 v[12:13], v[23:24], v[117:118]
	v_mul_f64 v[23:24], v[8:9], v[103:104]
	v_fma_f64 v[4:5], v[4:5], v[19:20], v[115:116]
	v_fma_f64 v[1:2], v[2:3], v[19:20], -v[21:22]
	v_fma_f64 v[8:9], v[8:9], v[101:102], v[16:17]
	v_add_f64 v[10:11], v[10:11], v[14:15]
	v_add_f64 v[12:13], v[12:13], v[107:108]
	v_fma_f64 v[6:7], v[6:7], v[101:102], -v[23:24]
	s_delay_alu instid0(VALU_DEP_3) | instskip(NEXT) | instid1(VALU_DEP_3)
	v_add_f64 v[1:2], v[10:11], v[1:2]
	v_add_f64 v[3:4], v[12:13], v[4:5]
	s_delay_alu instid0(VALU_DEP_2) | instskip(NEXT) | instid1(VALU_DEP_2)
	v_add_f64 v[1:2], v[1:2], v[6:7]
	v_add_f64 v[3:4], v[3:4], v[8:9]
	s_waitcnt vmcnt(0)
	s_delay_alu instid0(VALU_DEP_2) | instskip(NEXT) | instid1(VALU_DEP_2)
	v_add_f64 v[1:2], v[109:110], -v[1:2]
	v_add_f64 v[3:4], v[111:112], -v[3:4]
	scratch_store_b128 off, v[1:4], off offset:288
	v_cmpx_lt_u32_e32 17, v76
	s_cbranch_execz .LBB88_129
; %bb.128:
	scratch_load_b128 v[1:4], v100, off
	v_mov_b32_e32 v5, 0
	s_delay_alu instid0(VALU_DEP_1)
	v_mov_b32_e32 v6, v5
	v_mov_b32_e32 v7, v5
	;; [unrolled: 1-line block ×3, first 2 shown]
	scratch_store_b128 off, v[5:8], off offset:272
	s_waitcnt vmcnt(0)
	ds_store_b128 v18, v[1:4]
.LBB88_129:
	s_or_b32 exec_lo, exec_lo, s2
	s_waitcnt lgkmcnt(0)
	s_waitcnt_vscnt null, 0x0
	s_barrier
	buffer_gl0_inv
	s_clause 0x6
	scratch_load_b128 v[2:5], off, off offset:288
	scratch_load_b128 v[6:9], off, off offset:304
	scratch_load_b128 v[10:13], off, off offset:320
	scratch_load_b128 v[14:17], off, off offset:336
	scratch_load_b128 v[19:22], off, off offset:352
	scratch_load_b128 v[101:104], off, off offset:368
	scratch_load_b128 v[105:108], off, off offset:384
	v_mov_b32_e32 v1, 0
	scratch_load_b128 v[113:116], off, off offset:272
	s_mov_b32 s2, exec_lo
	ds_load_b128 v[109:112], v1 offset:688
	ds_load_b128 v[117:120], v1 offset:704
	s_waitcnt vmcnt(7) lgkmcnt(1)
	v_mul_f64 v[23:24], v[111:112], v[4:5]
	v_mul_f64 v[4:5], v[109:110], v[4:5]
	s_waitcnt vmcnt(6) lgkmcnt(0)
	v_mul_f64 v[121:122], v[117:118], v[8:9]
	v_mul_f64 v[8:9], v[119:120], v[8:9]
	s_delay_alu instid0(VALU_DEP_4) | instskip(NEXT) | instid1(VALU_DEP_4)
	v_fma_f64 v[23:24], v[109:110], v[2:3], -v[23:24]
	v_fma_f64 v[123:124], v[111:112], v[2:3], v[4:5]
	ds_load_b128 v[2:5], v1 offset:720
	ds_load_b128 v[109:112], v1 offset:736
	v_fma_f64 v[119:120], v[119:120], v[6:7], v[121:122]
	v_fma_f64 v[6:7], v[117:118], v[6:7], -v[8:9]
	s_waitcnt vmcnt(5) lgkmcnt(1)
	v_mul_f64 v[125:126], v[2:3], v[12:13]
	v_mul_f64 v[12:13], v[4:5], v[12:13]
	s_waitcnt vmcnt(4) lgkmcnt(0)
	v_mul_f64 v[117:118], v[109:110], v[16:17]
	v_mul_f64 v[16:17], v[111:112], v[16:17]
	v_add_f64 v[8:9], v[23:24], 0
	v_add_f64 v[23:24], v[123:124], 0
	v_fma_f64 v[121:122], v[4:5], v[10:11], v[125:126]
	v_fma_f64 v[10:11], v[2:3], v[10:11], -v[12:13]
	v_fma_f64 v[111:112], v[111:112], v[14:15], v[117:118]
	v_fma_f64 v[14:15], v[109:110], v[14:15], -v[16:17]
	v_add_f64 v[12:13], v[8:9], v[6:7]
	v_add_f64 v[23:24], v[23:24], v[119:120]
	ds_load_b128 v[2:5], v1 offset:752
	ds_load_b128 v[6:9], v1 offset:768
	s_waitcnt vmcnt(3) lgkmcnt(1)
	v_mul_f64 v[119:120], v[2:3], v[21:22]
	v_mul_f64 v[21:22], v[4:5], v[21:22]
	s_waitcnt vmcnt(2) lgkmcnt(0)
	v_mul_f64 v[16:17], v[6:7], v[103:104]
	v_add_f64 v[10:11], v[12:13], v[10:11]
	v_add_f64 v[12:13], v[23:24], v[121:122]
	v_mul_f64 v[23:24], v[8:9], v[103:104]
	v_fma_f64 v[103:104], v[4:5], v[19:20], v[119:120]
	v_fma_f64 v[19:20], v[2:3], v[19:20], -v[21:22]
	ds_load_b128 v[2:5], v1 offset:784
	v_fma_f64 v[8:9], v[8:9], v[101:102], v[16:17]
	v_add_f64 v[10:11], v[10:11], v[14:15]
	v_add_f64 v[12:13], v[12:13], v[111:112]
	v_fma_f64 v[6:7], v[6:7], v[101:102], -v[23:24]
	s_waitcnt vmcnt(1) lgkmcnt(0)
	v_mul_f64 v[14:15], v[2:3], v[107:108]
	v_mul_f64 v[21:22], v[4:5], v[107:108]
	v_add_f64 v[10:11], v[10:11], v[19:20]
	v_add_f64 v[12:13], v[12:13], v[103:104]
	s_delay_alu instid0(VALU_DEP_4) | instskip(NEXT) | instid1(VALU_DEP_4)
	v_fma_f64 v[4:5], v[4:5], v[105:106], v[14:15]
	v_fma_f64 v[2:3], v[2:3], v[105:106], -v[21:22]
	s_delay_alu instid0(VALU_DEP_4) | instskip(NEXT) | instid1(VALU_DEP_4)
	v_add_f64 v[6:7], v[10:11], v[6:7]
	v_add_f64 v[8:9], v[12:13], v[8:9]
	s_delay_alu instid0(VALU_DEP_2) | instskip(NEXT) | instid1(VALU_DEP_2)
	v_add_f64 v[2:3], v[6:7], v[2:3]
	v_add_f64 v[4:5], v[8:9], v[4:5]
	s_waitcnt vmcnt(0)
	s_delay_alu instid0(VALU_DEP_2) | instskip(NEXT) | instid1(VALU_DEP_2)
	v_add_f64 v[2:3], v[113:114], -v[2:3]
	v_add_f64 v[4:5], v[115:116], -v[4:5]
	scratch_store_b128 off, v[2:5], off offset:272
	v_cmpx_lt_u32_e32 16, v76
	s_cbranch_execz .LBB88_131
; %bb.130:
	scratch_load_b128 v[5:8], v94, off
	v_mov_b32_e32 v2, v1
	v_mov_b32_e32 v3, v1
	;; [unrolled: 1-line block ×3, first 2 shown]
	scratch_store_b128 off, v[1:4], off offset:256
	s_waitcnt vmcnt(0)
	ds_store_b128 v18, v[5:8]
.LBB88_131:
	s_or_b32 exec_lo, exec_lo, s2
	s_waitcnt lgkmcnt(0)
	s_waitcnt_vscnt null, 0x0
	s_barrier
	buffer_gl0_inv
	s_clause 0x7
	scratch_load_b128 v[2:5], off, off offset:272
	scratch_load_b128 v[6:9], off, off offset:288
	;; [unrolled: 1-line block ×8, first 2 shown]
	ds_load_b128 v[113:116], v1 offset:672
	ds_load_b128 v[117:120], v1 offset:688
	scratch_load_b128 v[121:124], off, off offset:256
	s_mov_b32 s2, exec_lo
	s_waitcnt vmcnt(8) lgkmcnt(1)
	v_mul_f64 v[23:24], v[115:116], v[4:5]
	v_mul_f64 v[4:5], v[113:114], v[4:5]
	s_waitcnt vmcnt(7) lgkmcnt(0)
	v_mul_f64 v[125:126], v[117:118], v[8:9]
	v_mul_f64 v[8:9], v[119:120], v[8:9]
	s_delay_alu instid0(VALU_DEP_4) | instskip(NEXT) | instid1(VALU_DEP_4)
	v_fma_f64 v[23:24], v[113:114], v[2:3], -v[23:24]
	v_fma_f64 v[127:128], v[115:116], v[2:3], v[4:5]
	ds_load_b128 v[2:5], v1 offset:704
	ds_load_b128 v[113:116], v1 offset:720
	v_fma_f64 v[119:120], v[119:120], v[6:7], v[125:126]
	v_fma_f64 v[6:7], v[117:118], v[6:7], -v[8:9]
	s_waitcnt vmcnt(6) lgkmcnt(1)
	v_mul_f64 v[129:130], v[2:3], v[12:13]
	v_mul_f64 v[12:13], v[4:5], v[12:13]
	s_waitcnt vmcnt(5) lgkmcnt(0)
	v_mul_f64 v[117:118], v[113:114], v[16:17]
	v_mul_f64 v[16:17], v[115:116], v[16:17]
	v_add_f64 v[8:9], v[23:24], 0
	v_add_f64 v[23:24], v[127:128], 0
	v_fma_f64 v[125:126], v[4:5], v[10:11], v[129:130]
	v_fma_f64 v[10:11], v[2:3], v[10:11], -v[12:13]
	v_fma_f64 v[115:116], v[115:116], v[14:15], v[117:118]
	v_fma_f64 v[14:15], v[113:114], v[14:15], -v[16:17]
	v_add_f64 v[12:13], v[8:9], v[6:7]
	v_add_f64 v[23:24], v[23:24], v[119:120]
	ds_load_b128 v[2:5], v1 offset:736
	ds_load_b128 v[6:9], v1 offset:752
	s_waitcnt vmcnt(4) lgkmcnt(1)
	v_mul_f64 v[119:120], v[2:3], v[21:22]
	v_mul_f64 v[21:22], v[4:5], v[21:22]
	s_waitcnt vmcnt(3) lgkmcnt(0)
	v_mul_f64 v[16:17], v[6:7], v[103:104]
	v_add_f64 v[10:11], v[12:13], v[10:11]
	v_add_f64 v[12:13], v[23:24], v[125:126]
	v_mul_f64 v[23:24], v[8:9], v[103:104]
	v_fma_f64 v[103:104], v[4:5], v[19:20], v[119:120]
	v_fma_f64 v[19:20], v[2:3], v[19:20], -v[21:22]
	v_fma_f64 v[8:9], v[8:9], v[101:102], v[16:17]
	v_add_f64 v[14:15], v[10:11], v[14:15]
	v_add_f64 v[21:22], v[12:13], v[115:116]
	ds_load_b128 v[2:5], v1 offset:768
	ds_load_b128 v[10:13], v1 offset:784
	v_fma_f64 v[6:7], v[6:7], v[101:102], -v[23:24]
	s_waitcnt vmcnt(2) lgkmcnt(1)
	v_mul_f64 v[113:114], v[2:3], v[107:108]
	v_mul_f64 v[107:108], v[4:5], v[107:108]
	v_add_f64 v[14:15], v[14:15], v[19:20]
	v_add_f64 v[16:17], v[21:22], v[103:104]
	s_waitcnt vmcnt(1) lgkmcnt(0)
	v_mul_f64 v[19:20], v[10:11], v[111:112]
	v_mul_f64 v[21:22], v[12:13], v[111:112]
	v_fma_f64 v[4:5], v[4:5], v[105:106], v[113:114]
	v_fma_f64 v[1:2], v[2:3], v[105:106], -v[107:108]
	v_add_f64 v[6:7], v[14:15], v[6:7]
	v_add_f64 v[8:9], v[16:17], v[8:9]
	v_fma_f64 v[12:13], v[12:13], v[109:110], v[19:20]
	v_fma_f64 v[10:11], v[10:11], v[109:110], -v[21:22]
	s_delay_alu instid0(VALU_DEP_4) | instskip(NEXT) | instid1(VALU_DEP_4)
	v_add_f64 v[1:2], v[6:7], v[1:2]
	v_add_f64 v[3:4], v[8:9], v[4:5]
	s_delay_alu instid0(VALU_DEP_2) | instskip(NEXT) | instid1(VALU_DEP_2)
	v_add_f64 v[1:2], v[1:2], v[10:11]
	v_add_f64 v[3:4], v[3:4], v[12:13]
	s_waitcnt vmcnt(0)
	s_delay_alu instid0(VALU_DEP_2) | instskip(NEXT) | instid1(VALU_DEP_2)
	v_add_f64 v[1:2], v[121:122], -v[1:2]
	v_add_f64 v[3:4], v[123:124], -v[3:4]
	scratch_store_b128 off, v[1:4], off offset:256
	v_cmpx_lt_u32_e32 15, v76
	s_cbranch_execz .LBB88_133
; %bb.132:
	scratch_load_b128 v[1:4], v97, off
	v_mov_b32_e32 v5, 0
	s_delay_alu instid0(VALU_DEP_1)
	v_mov_b32_e32 v6, v5
	v_mov_b32_e32 v7, v5
	;; [unrolled: 1-line block ×3, first 2 shown]
	scratch_store_b128 off, v[5:8], off offset:240
	s_waitcnt vmcnt(0)
	ds_store_b128 v18, v[1:4]
.LBB88_133:
	s_or_b32 exec_lo, exec_lo, s2
	s_waitcnt lgkmcnt(0)
	s_waitcnt_vscnt null, 0x0
	s_barrier
	buffer_gl0_inv
	s_clause 0x7
	scratch_load_b128 v[2:5], off, off offset:256
	scratch_load_b128 v[6:9], off, off offset:272
	scratch_load_b128 v[10:13], off, off offset:288
	scratch_load_b128 v[14:17], off, off offset:304
	scratch_load_b128 v[19:22], off, off offset:320
	scratch_load_b128 v[101:104], off, off offset:336
	scratch_load_b128 v[105:108], off, off offset:352
	scratch_load_b128 v[109:112], off, off offset:368
	v_mov_b32_e32 v1, 0
	s_mov_b32 s2, exec_lo
	ds_load_b128 v[113:116], v1 offset:656
	s_clause 0x1
	scratch_load_b128 v[117:120], off, off offset:384
	scratch_load_b128 v[121:124], off, off offset:240
	ds_load_b128 v[125:128], v1 offset:672
	s_waitcnt vmcnt(9) lgkmcnt(1)
	v_mul_f64 v[23:24], v[115:116], v[4:5]
	v_mul_f64 v[4:5], v[113:114], v[4:5]
	s_waitcnt vmcnt(8) lgkmcnt(0)
	v_mul_f64 v[129:130], v[125:126], v[8:9]
	v_mul_f64 v[8:9], v[127:128], v[8:9]
	s_delay_alu instid0(VALU_DEP_4) | instskip(NEXT) | instid1(VALU_DEP_4)
	v_fma_f64 v[23:24], v[113:114], v[2:3], -v[23:24]
	v_fma_f64 v[131:132], v[115:116], v[2:3], v[4:5]
	ds_load_b128 v[2:5], v1 offset:688
	ds_load_b128 v[113:116], v1 offset:704
	v_fma_f64 v[127:128], v[127:128], v[6:7], v[129:130]
	v_fma_f64 v[6:7], v[125:126], v[6:7], -v[8:9]
	s_waitcnt vmcnt(7) lgkmcnt(1)
	v_mul_f64 v[133:134], v[2:3], v[12:13]
	v_mul_f64 v[12:13], v[4:5], v[12:13]
	s_waitcnt vmcnt(6) lgkmcnt(0)
	v_mul_f64 v[125:126], v[113:114], v[16:17]
	v_mul_f64 v[16:17], v[115:116], v[16:17]
	v_add_f64 v[8:9], v[23:24], 0
	v_add_f64 v[23:24], v[131:132], 0
	v_fma_f64 v[129:130], v[4:5], v[10:11], v[133:134]
	v_fma_f64 v[10:11], v[2:3], v[10:11], -v[12:13]
	v_fma_f64 v[115:116], v[115:116], v[14:15], v[125:126]
	v_fma_f64 v[14:15], v[113:114], v[14:15], -v[16:17]
	v_add_f64 v[12:13], v[8:9], v[6:7]
	v_add_f64 v[23:24], v[23:24], v[127:128]
	ds_load_b128 v[2:5], v1 offset:720
	ds_load_b128 v[6:9], v1 offset:736
	s_waitcnt vmcnt(5) lgkmcnt(1)
	v_mul_f64 v[127:128], v[2:3], v[21:22]
	v_mul_f64 v[21:22], v[4:5], v[21:22]
	s_waitcnt vmcnt(4) lgkmcnt(0)
	v_mul_f64 v[16:17], v[6:7], v[103:104]
	v_add_f64 v[10:11], v[12:13], v[10:11]
	v_add_f64 v[12:13], v[23:24], v[129:130]
	v_mul_f64 v[23:24], v[8:9], v[103:104]
	v_fma_f64 v[103:104], v[4:5], v[19:20], v[127:128]
	v_fma_f64 v[19:20], v[2:3], v[19:20], -v[21:22]
	v_fma_f64 v[8:9], v[8:9], v[101:102], v[16:17]
	v_add_f64 v[14:15], v[10:11], v[14:15]
	v_add_f64 v[21:22], v[12:13], v[115:116]
	ds_load_b128 v[2:5], v1 offset:752
	ds_load_b128 v[10:13], v1 offset:768
	v_fma_f64 v[6:7], v[6:7], v[101:102], -v[23:24]
	s_waitcnt vmcnt(3) lgkmcnt(1)
	v_mul_f64 v[113:114], v[2:3], v[107:108]
	v_mul_f64 v[107:108], v[4:5], v[107:108]
	v_add_f64 v[14:15], v[14:15], v[19:20]
	v_add_f64 v[16:17], v[21:22], v[103:104]
	s_waitcnt vmcnt(2) lgkmcnt(0)
	v_mul_f64 v[19:20], v[10:11], v[111:112]
	v_mul_f64 v[21:22], v[12:13], v[111:112]
	v_fma_f64 v[23:24], v[4:5], v[105:106], v[113:114]
	v_fma_f64 v[101:102], v[2:3], v[105:106], -v[107:108]
	ds_load_b128 v[2:5], v1 offset:784
	v_add_f64 v[6:7], v[14:15], v[6:7]
	v_add_f64 v[8:9], v[16:17], v[8:9]
	v_fma_f64 v[12:13], v[12:13], v[109:110], v[19:20]
	v_fma_f64 v[10:11], v[10:11], v[109:110], -v[21:22]
	s_waitcnt vmcnt(1) lgkmcnt(0)
	v_mul_f64 v[14:15], v[2:3], v[119:120]
	v_mul_f64 v[16:17], v[4:5], v[119:120]
	v_add_f64 v[6:7], v[6:7], v[101:102]
	v_add_f64 v[8:9], v[8:9], v[23:24]
	s_delay_alu instid0(VALU_DEP_4) | instskip(NEXT) | instid1(VALU_DEP_4)
	v_fma_f64 v[4:5], v[4:5], v[117:118], v[14:15]
	v_fma_f64 v[2:3], v[2:3], v[117:118], -v[16:17]
	s_delay_alu instid0(VALU_DEP_4) | instskip(NEXT) | instid1(VALU_DEP_4)
	v_add_f64 v[6:7], v[6:7], v[10:11]
	v_add_f64 v[8:9], v[8:9], v[12:13]
	s_delay_alu instid0(VALU_DEP_2) | instskip(NEXT) | instid1(VALU_DEP_2)
	v_add_f64 v[2:3], v[6:7], v[2:3]
	v_add_f64 v[4:5], v[8:9], v[4:5]
	s_waitcnt vmcnt(0)
	s_delay_alu instid0(VALU_DEP_2) | instskip(NEXT) | instid1(VALU_DEP_2)
	v_add_f64 v[2:3], v[121:122], -v[2:3]
	v_add_f64 v[4:5], v[123:124], -v[4:5]
	scratch_store_b128 off, v[2:5], off offset:240
	v_cmpx_lt_u32_e32 14, v76
	s_cbranch_execz .LBB88_135
; %bb.134:
	scratch_load_b128 v[5:8], v95, off
	v_mov_b32_e32 v2, v1
	v_mov_b32_e32 v3, v1
	;; [unrolled: 1-line block ×3, first 2 shown]
	scratch_store_b128 off, v[1:4], off offset:224
	s_waitcnt vmcnt(0)
	ds_store_b128 v18, v[5:8]
.LBB88_135:
	s_or_b32 exec_lo, exec_lo, s2
	s_waitcnt lgkmcnt(0)
	s_waitcnt_vscnt null, 0x0
	s_barrier
	buffer_gl0_inv
	s_clause 0x8
	scratch_load_b128 v[2:5], off, off offset:240
	scratch_load_b128 v[6:9], off, off offset:256
	;; [unrolled: 1-line block ×9, first 2 shown]
	ds_load_b128 v[117:120], v1 offset:640
	ds_load_b128 v[121:124], v1 offset:656
	s_clause 0x1
	scratch_load_b128 v[125:128], off, off offset:224
	scratch_load_b128 v[129:132], off, off offset:384
	s_mov_b32 s2, exec_lo
	s_waitcnt vmcnt(10) lgkmcnt(1)
	v_mul_f64 v[23:24], v[119:120], v[4:5]
	v_mul_f64 v[4:5], v[117:118], v[4:5]
	s_waitcnt vmcnt(9) lgkmcnt(0)
	v_mul_f64 v[133:134], v[121:122], v[8:9]
	v_mul_f64 v[8:9], v[123:124], v[8:9]
	s_delay_alu instid0(VALU_DEP_4) | instskip(NEXT) | instid1(VALU_DEP_4)
	v_fma_f64 v[23:24], v[117:118], v[2:3], -v[23:24]
	v_fma_f64 v[135:136], v[119:120], v[2:3], v[4:5]
	ds_load_b128 v[2:5], v1 offset:672
	ds_load_b128 v[117:120], v1 offset:688
	v_fma_f64 v[123:124], v[123:124], v[6:7], v[133:134]
	v_fma_f64 v[6:7], v[121:122], v[6:7], -v[8:9]
	s_waitcnt vmcnt(8) lgkmcnt(1)
	v_mul_f64 v[137:138], v[2:3], v[12:13]
	v_mul_f64 v[12:13], v[4:5], v[12:13]
	s_waitcnt vmcnt(7) lgkmcnt(0)
	v_mul_f64 v[121:122], v[117:118], v[16:17]
	v_mul_f64 v[16:17], v[119:120], v[16:17]
	v_add_f64 v[8:9], v[23:24], 0
	v_add_f64 v[23:24], v[135:136], 0
	v_fma_f64 v[133:134], v[4:5], v[10:11], v[137:138]
	v_fma_f64 v[10:11], v[2:3], v[10:11], -v[12:13]
	v_fma_f64 v[119:120], v[119:120], v[14:15], v[121:122]
	v_fma_f64 v[14:15], v[117:118], v[14:15], -v[16:17]
	v_add_f64 v[12:13], v[8:9], v[6:7]
	v_add_f64 v[23:24], v[23:24], v[123:124]
	ds_load_b128 v[2:5], v1 offset:704
	ds_load_b128 v[6:9], v1 offset:720
	s_waitcnt vmcnt(6) lgkmcnt(1)
	v_mul_f64 v[123:124], v[2:3], v[21:22]
	v_mul_f64 v[21:22], v[4:5], v[21:22]
	s_waitcnt vmcnt(5) lgkmcnt(0)
	v_mul_f64 v[16:17], v[6:7], v[103:104]
	v_add_f64 v[10:11], v[12:13], v[10:11]
	v_add_f64 v[12:13], v[23:24], v[133:134]
	v_mul_f64 v[23:24], v[8:9], v[103:104]
	v_fma_f64 v[103:104], v[4:5], v[19:20], v[123:124]
	v_fma_f64 v[19:20], v[2:3], v[19:20], -v[21:22]
	v_fma_f64 v[8:9], v[8:9], v[101:102], v[16:17]
	v_add_f64 v[14:15], v[10:11], v[14:15]
	v_add_f64 v[21:22], v[12:13], v[119:120]
	ds_load_b128 v[2:5], v1 offset:736
	ds_load_b128 v[10:13], v1 offset:752
	v_fma_f64 v[6:7], v[6:7], v[101:102], -v[23:24]
	s_waitcnt vmcnt(4) lgkmcnt(1)
	v_mul_f64 v[117:118], v[2:3], v[107:108]
	v_mul_f64 v[107:108], v[4:5], v[107:108]
	v_add_f64 v[14:15], v[14:15], v[19:20]
	v_add_f64 v[16:17], v[21:22], v[103:104]
	s_waitcnt vmcnt(3) lgkmcnt(0)
	v_mul_f64 v[19:20], v[10:11], v[111:112]
	v_mul_f64 v[21:22], v[12:13], v[111:112]
	v_fma_f64 v[23:24], v[4:5], v[105:106], v[117:118]
	v_fma_f64 v[101:102], v[2:3], v[105:106], -v[107:108]
	v_add_f64 v[14:15], v[14:15], v[6:7]
	v_add_f64 v[16:17], v[16:17], v[8:9]
	ds_load_b128 v[2:5], v1 offset:768
	ds_load_b128 v[6:9], v1 offset:784
	v_fma_f64 v[12:13], v[12:13], v[109:110], v[19:20]
	v_fma_f64 v[10:11], v[10:11], v[109:110], -v[21:22]
	s_waitcnt vmcnt(2) lgkmcnt(1)
	v_mul_f64 v[103:104], v[2:3], v[115:116]
	v_mul_f64 v[105:106], v[4:5], v[115:116]
	s_waitcnt vmcnt(0) lgkmcnt(0)
	v_mul_f64 v[19:20], v[6:7], v[131:132]
	v_mul_f64 v[21:22], v[8:9], v[131:132]
	v_add_f64 v[14:15], v[14:15], v[101:102]
	v_add_f64 v[16:17], v[16:17], v[23:24]
	v_fma_f64 v[4:5], v[4:5], v[113:114], v[103:104]
	v_fma_f64 v[1:2], v[2:3], v[113:114], -v[105:106]
	v_fma_f64 v[8:9], v[8:9], v[129:130], v[19:20]
	v_fma_f64 v[6:7], v[6:7], v[129:130], -v[21:22]
	v_add_f64 v[10:11], v[14:15], v[10:11]
	v_add_f64 v[12:13], v[16:17], v[12:13]
	s_delay_alu instid0(VALU_DEP_2) | instskip(NEXT) | instid1(VALU_DEP_2)
	v_add_f64 v[1:2], v[10:11], v[1:2]
	v_add_f64 v[3:4], v[12:13], v[4:5]
	s_delay_alu instid0(VALU_DEP_2) | instskip(NEXT) | instid1(VALU_DEP_2)
	;; [unrolled: 3-line block ×3, first 2 shown]
	v_add_f64 v[1:2], v[125:126], -v[1:2]
	v_add_f64 v[3:4], v[127:128], -v[3:4]
	scratch_store_b128 off, v[1:4], off offset:224
	v_cmpx_lt_u32_e32 13, v76
	s_cbranch_execz .LBB88_137
; %bb.136:
	scratch_load_b128 v[1:4], v98, off
	v_mov_b32_e32 v5, 0
	s_delay_alu instid0(VALU_DEP_1)
	v_mov_b32_e32 v6, v5
	v_mov_b32_e32 v7, v5
	;; [unrolled: 1-line block ×3, first 2 shown]
	scratch_store_b128 off, v[5:8], off offset:208
	s_waitcnt vmcnt(0)
	ds_store_b128 v18, v[1:4]
.LBB88_137:
	s_or_b32 exec_lo, exec_lo, s2
	s_waitcnt lgkmcnt(0)
	s_waitcnt_vscnt null, 0x0
	s_barrier
	buffer_gl0_inv
	s_clause 0x7
	scratch_load_b128 v[2:5], off, off offset:224
	scratch_load_b128 v[6:9], off, off offset:240
	;; [unrolled: 1-line block ×8, first 2 shown]
	v_mov_b32_e32 v1, 0
	s_mov_b32 s2, exec_lo
	ds_load_b128 v[113:116], v1 offset:624
	s_clause 0x1
	scratch_load_b128 v[117:120], off, off offset:352
	scratch_load_b128 v[121:124], off, off offset:208
	ds_load_b128 v[125:128], v1 offset:640
	scratch_load_b128 v[129:132], off, off offset:368
	ds_load_b128 v[133:136], v1 offset:672
	s_waitcnt vmcnt(10) lgkmcnt(2)
	v_mul_f64 v[23:24], v[115:116], v[4:5]
	v_mul_f64 v[4:5], v[113:114], v[4:5]
	s_delay_alu instid0(VALU_DEP_2) | instskip(NEXT) | instid1(VALU_DEP_2)
	v_fma_f64 v[23:24], v[113:114], v[2:3], -v[23:24]
	v_fma_f64 v[139:140], v[115:116], v[2:3], v[4:5]
	scratch_load_b128 v[113:116], off, off offset:384
	ds_load_b128 v[2:5], v1 offset:656
	s_waitcnt vmcnt(10) lgkmcnt(2)
	v_mul_f64 v[137:138], v[125:126], v[8:9]
	v_mul_f64 v[8:9], v[127:128], v[8:9]
	s_waitcnt vmcnt(9) lgkmcnt(0)
	v_mul_f64 v[141:142], v[2:3], v[12:13]
	v_mul_f64 v[12:13], v[4:5], v[12:13]
	s_delay_alu instid0(VALU_DEP_4) | instskip(NEXT) | instid1(VALU_DEP_4)
	v_fma_f64 v[127:128], v[127:128], v[6:7], v[137:138]
	v_fma_f64 v[6:7], v[125:126], v[6:7], -v[8:9]
	v_add_f64 v[8:9], v[23:24], 0
	v_add_f64 v[23:24], v[139:140], 0
	s_waitcnt vmcnt(8)
	v_mul_f64 v[125:126], v[133:134], v[16:17]
	v_mul_f64 v[16:17], v[135:136], v[16:17]
	v_fma_f64 v[137:138], v[4:5], v[10:11], v[141:142]
	v_fma_f64 v[10:11], v[2:3], v[10:11], -v[12:13]
	v_add_f64 v[12:13], v[8:9], v[6:7]
	v_add_f64 v[23:24], v[23:24], v[127:128]
	ds_load_b128 v[2:5], v1 offset:688
	ds_load_b128 v[6:9], v1 offset:704
	v_fma_f64 v[125:126], v[135:136], v[14:15], v[125:126]
	v_fma_f64 v[14:15], v[133:134], v[14:15], -v[16:17]
	s_waitcnt vmcnt(7) lgkmcnt(1)
	v_mul_f64 v[127:128], v[2:3], v[21:22]
	v_mul_f64 v[21:22], v[4:5], v[21:22]
	s_waitcnt vmcnt(6) lgkmcnt(0)
	v_mul_f64 v[16:17], v[6:7], v[103:104]
	v_add_f64 v[10:11], v[12:13], v[10:11]
	v_add_f64 v[12:13], v[23:24], v[137:138]
	v_mul_f64 v[23:24], v[8:9], v[103:104]
	v_fma_f64 v[103:104], v[4:5], v[19:20], v[127:128]
	v_fma_f64 v[19:20], v[2:3], v[19:20], -v[21:22]
	v_fma_f64 v[8:9], v[8:9], v[101:102], v[16:17]
	v_add_f64 v[14:15], v[10:11], v[14:15]
	v_add_f64 v[21:22], v[12:13], v[125:126]
	ds_load_b128 v[2:5], v1 offset:720
	ds_load_b128 v[10:13], v1 offset:736
	v_fma_f64 v[6:7], v[6:7], v[101:102], -v[23:24]
	s_waitcnt vmcnt(5) lgkmcnt(1)
	v_mul_f64 v[125:126], v[2:3], v[107:108]
	v_mul_f64 v[107:108], v[4:5], v[107:108]
	v_add_f64 v[14:15], v[14:15], v[19:20]
	v_add_f64 v[16:17], v[21:22], v[103:104]
	s_waitcnt vmcnt(4) lgkmcnt(0)
	v_mul_f64 v[19:20], v[10:11], v[111:112]
	v_mul_f64 v[21:22], v[12:13], v[111:112]
	v_fma_f64 v[23:24], v[4:5], v[105:106], v[125:126]
	v_fma_f64 v[101:102], v[2:3], v[105:106], -v[107:108]
	v_add_f64 v[14:15], v[14:15], v[6:7]
	v_add_f64 v[16:17], v[16:17], v[8:9]
	ds_load_b128 v[2:5], v1 offset:752
	ds_load_b128 v[6:9], v1 offset:768
	v_fma_f64 v[12:13], v[12:13], v[109:110], v[19:20]
	v_fma_f64 v[10:11], v[10:11], v[109:110], -v[21:22]
	s_waitcnt vmcnt(3) lgkmcnt(1)
	v_mul_f64 v[103:104], v[2:3], v[119:120]
	v_mul_f64 v[105:106], v[4:5], v[119:120]
	s_waitcnt vmcnt(1) lgkmcnt(0)
	v_mul_f64 v[19:20], v[6:7], v[131:132]
	v_mul_f64 v[21:22], v[8:9], v[131:132]
	v_add_f64 v[14:15], v[14:15], v[101:102]
	v_add_f64 v[16:17], v[16:17], v[23:24]
	v_fma_f64 v[23:24], v[4:5], v[117:118], v[103:104]
	v_fma_f64 v[101:102], v[2:3], v[117:118], -v[105:106]
	ds_load_b128 v[2:5], v1 offset:784
	v_fma_f64 v[8:9], v[8:9], v[129:130], v[19:20]
	v_fma_f64 v[6:7], v[6:7], v[129:130], -v[21:22]
	v_add_f64 v[10:11], v[14:15], v[10:11]
	v_add_f64 v[12:13], v[16:17], v[12:13]
	s_waitcnt vmcnt(0) lgkmcnt(0)
	v_mul_f64 v[14:15], v[2:3], v[115:116]
	v_mul_f64 v[16:17], v[4:5], v[115:116]
	s_delay_alu instid0(VALU_DEP_4) | instskip(NEXT) | instid1(VALU_DEP_4)
	v_add_f64 v[10:11], v[10:11], v[101:102]
	v_add_f64 v[12:13], v[12:13], v[23:24]
	s_delay_alu instid0(VALU_DEP_4) | instskip(NEXT) | instid1(VALU_DEP_4)
	v_fma_f64 v[4:5], v[4:5], v[113:114], v[14:15]
	v_fma_f64 v[2:3], v[2:3], v[113:114], -v[16:17]
	s_delay_alu instid0(VALU_DEP_4) | instskip(NEXT) | instid1(VALU_DEP_4)
	v_add_f64 v[6:7], v[10:11], v[6:7]
	v_add_f64 v[8:9], v[12:13], v[8:9]
	s_delay_alu instid0(VALU_DEP_2) | instskip(NEXT) | instid1(VALU_DEP_2)
	v_add_f64 v[2:3], v[6:7], v[2:3]
	v_add_f64 v[4:5], v[8:9], v[4:5]
	s_delay_alu instid0(VALU_DEP_2) | instskip(NEXT) | instid1(VALU_DEP_2)
	v_add_f64 v[2:3], v[121:122], -v[2:3]
	v_add_f64 v[4:5], v[123:124], -v[4:5]
	scratch_store_b128 off, v[2:5], off offset:208
	v_cmpx_lt_u32_e32 12, v76
	s_cbranch_execz .LBB88_139
; %bb.138:
	scratch_load_b128 v[5:8], v93, off
	v_mov_b32_e32 v2, v1
	v_mov_b32_e32 v3, v1
	;; [unrolled: 1-line block ×3, first 2 shown]
	scratch_store_b128 off, v[1:4], off offset:192
	s_waitcnt vmcnt(0)
	ds_store_b128 v18, v[5:8]
.LBB88_139:
	s_or_b32 exec_lo, exec_lo, s2
	s_waitcnt lgkmcnt(0)
	s_waitcnt_vscnt null, 0x0
	s_barrier
	buffer_gl0_inv
	s_clause 0x8
	scratch_load_b128 v[2:5], off, off offset:208
	scratch_load_b128 v[6:9], off, off offset:224
	;; [unrolled: 1-line block ×9, first 2 shown]
	ds_load_b128 v[117:120], v1 offset:608
	ds_load_b128 v[121:124], v1 offset:624
	s_clause 0x1
	scratch_load_b128 v[125:128], off, off offset:192
	scratch_load_b128 v[129:132], off, off offset:352
	s_mov_b32 s2, exec_lo
	ds_load_b128 v[133:136], v1 offset:656
	s_waitcnt vmcnt(10) lgkmcnt(2)
	v_mul_f64 v[23:24], v[119:120], v[4:5]
	v_mul_f64 v[4:5], v[117:118], v[4:5]
	s_waitcnt vmcnt(9) lgkmcnt(1)
	v_mul_f64 v[137:138], v[121:122], v[8:9]
	v_mul_f64 v[8:9], v[123:124], v[8:9]
	s_delay_alu instid0(VALU_DEP_4) | instskip(NEXT) | instid1(VALU_DEP_4)
	v_fma_f64 v[23:24], v[117:118], v[2:3], -v[23:24]
	v_fma_f64 v[139:140], v[119:120], v[2:3], v[4:5]
	ds_load_b128 v[2:5], v1 offset:640
	scratch_load_b128 v[117:120], off, off offset:368
	v_fma_f64 v[123:124], v[123:124], v[6:7], v[137:138]
	v_fma_f64 v[121:122], v[121:122], v[6:7], -v[8:9]
	scratch_load_b128 v[6:9], off, off offset:384
	s_waitcnt vmcnt(10) lgkmcnt(0)
	v_mul_f64 v[141:142], v[2:3], v[12:13]
	v_mul_f64 v[12:13], v[4:5], v[12:13]
	v_add_f64 v[23:24], v[23:24], 0
	v_add_f64 v[137:138], v[139:140], 0
	s_waitcnt vmcnt(9)
	v_mul_f64 v[139:140], v[133:134], v[16:17]
	v_mul_f64 v[16:17], v[135:136], v[16:17]
	v_fma_f64 v[141:142], v[4:5], v[10:11], v[141:142]
	v_fma_f64 v[143:144], v[2:3], v[10:11], -v[12:13]
	ds_load_b128 v[2:5], v1 offset:672
	ds_load_b128 v[10:13], v1 offset:688
	v_add_f64 v[23:24], v[23:24], v[121:122]
	v_add_f64 v[121:122], v[137:138], v[123:124]
	v_fma_f64 v[135:136], v[135:136], v[14:15], v[139:140]
	v_fma_f64 v[14:15], v[133:134], v[14:15], -v[16:17]
	s_waitcnt vmcnt(8) lgkmcnt(1)
	v_mul_f64 v[123:124], v[2:3], v[21:22]
	v_mul_f64 v[21:22], v[4:5], v[21:22]
	v_add_f64 v[16:17], v[23:24], v[143:144]
	v_add_f64 v[23:24], v[121:122], v[141:142]
	s_waitcnt vmcnt(7) lgkmcnt(0)
	v_mul_f64 v[121:122], v[10:11], v[103:104]
	v_mul_f64 v[103:104], v[12:13], v[103:104]
	v_fma_f64 v[123:124], v[4:5], v[19:20], v[123:124]
	v_fma_f64 v[19:20], v[2:3], v[19:20], -v[21:22]
	v_add_f64 v[21:22], v[16:17], v[14:15]
	v_add_f64 v[23:24], v[23:24], v[135:136]
	ds_load_b128 v[2:5], v1 offset:704
	ds_load_b128 v[14:17], v1 offset:720
	v_fma_f64 v[12:13], v[12:13], v[101:102], v[121:122]
	v_fma_f64 v[10:11], v[10:11], v[101:102], -v[103:104]
	s_waitcnt vmcnt(6) lgkmcnt(1)
	v_mul_f64 v[133:134], v[2:3], v[107:108]
	v_mul_f64 v[107:108], v[4:5], v[107:108]
	s_waitcnt vmcnt(5) lgkmcnt(0)
	v_mul_f64 v[101:102], v[16:17], v[111:112]
	v_add_f64 v[19:20], v[21:22], v[19:20]
	v_add_f64 v[21:22], v[23:24], v[123:124]
	v_mul_f64 v[23:24], v[14:15], v[111:112]
	v_fma_f64 v[103:104], v[4:5], v[105:106], v[133:134]
	v_fma_f64 v[105:106], v[2:3], v[105:106], -v[107:108]
	v_fma_f64 v[14:15], v[14:15], v[109:110], -v[101:102]
	v_add_f64 v[19:20], v[19:20], v[10:11]
	v_add_f64 v[21:22], v[21:22], v[12:13]
	ds_load_b128 v[2:5], v1 offset:736
	ds_load_b128 v[10:13], v1 offset:752
	v_fma_f64 v[16:17], v[16:17], v[109:110], v[23:24]
	s_waitcnt vmcnt(4) lgkmcnt(1)
	v_mul_f64 v[107:108], v[2:3], v[115:116]
	v_mul_f64 v[111:112], v[4:5], v[115:116]
	s_waitcnt vmcnt(2) lgkmcnt(0)
	v_mul_f64 v[23:24], v[10:11], v[131:132]
	v_mul_f64 v[101:102], v[12:13], v[131:132]
	v_add_f64 v[19:20], v[19:20], v[105:106]
	v_add_f64 v[21:22], v[21:22], v[103:104]
	v_fma_f64 v[103:104], v[4:5], v[113:114], v[107:108]
	v_fma_f64 v[105:106], v[2:3], v[113:114], -v[111:112]
	v_fma_f64 v[12:13], v[12:13], v[129:130], v[23:24]
	v_fma_f64 v[10:11], v[10:11], v[129:130], -v[101:102]
	v_add_f64 v[19:20], v[19:20], v[14:15]
	v_add_f64 v[21:22], v[21:22], v[16:17]
	ds_load_b128 v[2:5], v1 offset:768
	ds_load_b128 v[14:17], v1 offset:784
	s_waitcnt vmcnt(1) lgkmcnt(1)
	v_mul_f64 v[107:108], v[2:3], v[119:120]
	v_mul_f64 v[109:110], v[4:5], v[119:120]
	s_waitcnt vmcnt(0) lgkmcnt(0)
	v_mul_f64 v[23:24], v[14:15], v[8:9]
	v_mul_f64 v[8:9], v[16:17], v[8:9]
	v_add_f64 v[19:20], v[19:20], v[105:106]
	v_add_f64 v[21:22], v[21:22], v[103:104]
	v_fma_f64 v[4:5], v[4:5], v[117:118], v[107:108]
	v_fma_f64 v[1:2], v[2:3], v[117:118], -v[109:110]
	v_fma_f64 v[16:17], v[16:17], v[6:7], v[23:24]
	v_fma_f64 v[6:7], v[14:15], v[6:7], -v[8:9]
	v_add_f64 v[10:11], v[19:20], v[10:11]
	v_add_f64 v[12:13], v[21:22], v[12:13]
	s_delay_alu instid0(VALU_DEP_2) | instskip(NEXT) | instid1(VALU_DEP_2)
	v_add_f64 v[1:2], v[10:11], v[1:2]
	v_add_f64 v[3:4], v[12:13], v[4:5]
	s_delay_alu instid0(VALU_DEP_2) | instskip(NEXT) | instid1(VALU_DEP_2)
	;; [unrolled: 3-line block ×3, first 2 shown]
	v_add_f64 v[1:2], v[125:126], -v[1:2]
	v_add_f64 v[3:4], v[127:128], -v[3:4]
	scratch_store_b128 off, v[1:4], off offset:192
	v_cmpx_lt_u32_e32 11, v76
	s_cbranch_execz .LBB88_141
; %bb.140:
	scratch_load_b128 v[1:4], v96, off
	v_mov_b32_e32 v5, 0
	s_delay_alu instid0(VALU_DEP_1)
	v_mov_b32_e32 v6, v5
	v_mov_b32_e32 v7, v5
	;; [unrolled: 1-line block ×3, first 2 shown]
	scratch_store_b128 off, v[5:8], off offset:176
	s_waitcnt vmcnt(0)
	ds_store_b128 v18, v[1:4]
.LBB88_141:
	s_or_b32 exec_lo, exec_lo, s2
	s_waitcnt lgkmcnt(0)
	s_waitcnt_vscnt null, 0x0
	s_barrier
	buffer_gl0_inv
	s_clause 0x7
	scratch_load_b128 v[2:5], off, off offset:192
	scratch_load_b128 v[6:9], off, off offset:208
	;; [unrolled: 1-line block ×8, first 2 shown]
	v_mov_b32_e32 v1, 0
	s_clause 0x1
	scratch_load_b128 v[117:120], off, off offset:320
	scratch_load_b128 v[125:128], off, off offset:336
	s_mov_b32 s2, exec_lo
	ds_load_b128 v[113:116], v1 offset:592
	ds_load_b128 v[121:124], v1 offset:608
	s_waitcnt vmcnt(9) lgkmcnt(1)
	v_mul_f64 v[23:24], v[115:116], v[4:5]
	v_mul_f64 v[4:5], v[113:114], v[4:5]
	s_waitcnt vmcnt(8) lgkmcnt(0)
	v_mul_f64 v[129:130], v[121:122], v[8:9]
	v_mul_f64 v[8:9], v[123:124], v[8:9]
	s_delay_alu instid0(VALU_DEP_4) | instskip(NEXT) | instid1(VALU_DEP_4)
	v_fma_f64 v[23:24], v[113:114], v[2:3], -v[23:24]
	v_fma_f64 v[131:132], v[115:116], v[2:3], v[4:5]
	ds_load_b128 v[2:5], v1 offset:624
	scratch_load_b128 v[113:116], off, off offset:352
	v_fma_f64 v[129:130], v[123:124], v[6:7], v[129:130]
	v_fma_f64 v[135:136], v[121:122], v[6:7], -v[8:9]
	ds_load_b128 v[6:9], v1 offset:640
	scratch_load_b128 v[121:124], off, off offset:368
	s_waitcnt vmcnt(9) lgkmcnt(1)
	v_mul_f64 v[133:134], v[2:3], v[12:13]
	v_mul_f64 v[12:13], v[4:5], v[12:13]
	s_waitcnt vmcnt(8) lgkmcnt(0)
	v_mul_f64 v[137:138], v[6:7], v[16:17]
	v_mul_f64 v[16:17], v[8:9], v[16:17]
	v_add_f64 v[23:24], v[23:24], 0
	v_add_f64 v[131:132], v[131:132], 0
	v_fma_f64 v[133:134], v[4:5], v[10:11], v[133:134]
	v_fma_f64 v[139:140], v[2:3], v[10:11], -v[12:13]
	scratch_load_b128 v[10:13], off, off offset:384
	ds_load_b128 v[2:5], v1 offset:656
	v_add_f64 v[23:24], v[23:24], v[135:136]
	v_add_f64 v[129:130], v[131:132], v[129:130]
	v_fma_f64 v[135:136], v[8:9], v[14:15], v[137:138]
	v_fma_f64 v[14:15], v[6:7], v[14:15], -v[16:17]
	ds_load_b128 v[6:9], v1 offset:672
	s_waitcnt vmcnt(8) lgkmcnt(1)
	v_mul_f64 v[131:132], v[2:3], v[21:22]
	v_mul_f64 v[21:22], v[4:5], v[21:22]
	v_add_f64 v[16:17], v[23:24], v[139:140]
	v_add_f64 v[23:24], v[129:130], v[133:134]
	s_waitcnt vmcnt(7) lgkmcnt(0)
	v_mul_f64 v[129:130], v[6:7], v[103:104]
	v_mul_f64 v[103:104], v[8:9], v[103:104]
	v_fma_f64 v[131:132], v[4:5], v[19:20], v[131:132]
	v_fma_f64 v[19:20], v[2:3], v[19:20], -v[21:22]
	ds_load_b128 v[2:5], v1 offset:688
	s_waitcnt vmcnt(6) lgkmcnt(0)
	v_mul_f64 v[21:22], v[2:3], v[107:108]
	v_add_f64 v[14:15], v[16:17], v[14:15]
	v_add_f64 v[16:17], v[23:24], v[135:136]
	v_mul_f64 v[23:24], v[4:5], v[107:108]
	v_fma_f64 v[107:108], v[8:9], v[101:102], v[129:130]
	v_fma_f64 v[101:102], v[6:7], v[101:102], -v[103:104]
	ds_load_b128 v[6:9], v1 offset:704
	v_fma_f64 v[21:22], v[4:5], v[105:106], v[21:22]
	v_add_f64 v[19:20], v[14:15], v[19:20]
	v_add_f64 v[103:104], v[16:17], v[131:132]
	scratch_load_b128 v[14:17], off, off offset:176
	v_fma_f64 v[23:24], v[2:3], v[105:106], -v[23:24]
	ds_load_b128 v[2:5], v1 offset:720
	s_waitcnt vmcnt(6) lgkmcnt(1)
	v_mul_f64 v[129:130], v[6:7], v[111:112]
	v_mul_f64 v[111:112], v[8:9], v[111:112]
	s_waitcnt vmcnt(5) lgkmcnt(0)
	v_mul_f64 v[105:106], v[4:5], v[119:120]
	v_add_f64 v[19:20], v[19:20], v[101:102]
	v_add_f64 v[101:102], v[103:104], v[107:108]
	v_mul_f64 v[103:104], v[2:3], v[119:120]
	v_fma_f64 v[107:108], v[8:9], v[109:110], v[129:130]
	v_fma_f64 v[109:110], v[6:7], v[109:110], -v[111:112]
	ds_load_b128 v[6:9], v1 offset:736
	v_fma_f64 v[105:106], v[2:3], v[117:118], -v[105:106]
	v_add_f64 v[19:20], v[19:20], v[23:24]
	v_add_f64 v[21:22], v[101:102], v[21:22]
	v_fma_f64 v[103:104], v[4:5], v[117:118], v[103:104]
	ds_load_b128 v[2:5], v1 offset:752
	s_waitcnt vmcnt(4) lgkmcnt(1)
	v_mul_f64 v[23:24], v[6:7], v[127:128]
	v_mul_f64 v[101:102], v[8:9], v[127:128]
	v_add_f64 v[19:20], v[19:20], v[109:110]
	v_add_f64 v[21:22], v[21:22], v[107:108]
	s_delay_alu instid0(VALU_DEP_4) | instskip(NEXT) | instid1(VALU_DEP_4)
	v_fma_f64 v[23:24], v[8:9], v[125:126], v[23:24]
	v_fma_f64 v[101:102], v[6:7], v[125:126], -v[101:102]
	ds_load_b128 v[6:9], v1 offset:768
	s_waitcnt vmcnt(3) lgkmcnt(1)
	v_mul_f64 v[107:108], v[2:3], v[115:116]
	v_mul_f64 v[109:110], v[4:5], v[115:116]
	v_add_f64 v[19:20], v[19:20], v[105:106]
	v_add_f64 v[21:22], v[21:22], v[103:104]
	s_delay_alu instid0(VALU_DEP_4) | instskip(NEXT) | instid1(VALU_DEP_4)
	v_fma_f64 v[107:108], v[4:5], v[113:114], v[107:108]
	v_fma_f64 v[109:110], v[2:3], v[113:114], -v[109:110]
	ds_load_b128 v[2:5], v1 offset:784
	s_waitcnt vmcnt(2) lgkmcnt(1)
	v_mul_f64 v[103:104], v[6:7], v[123:124]
	v_mul_f64 v[105:106], v[8:9], v[123:124]
	v_add_f64 v[19:20], v[19:20], v[101:102]
	v_add_f64 v[21:22], v[21:22], v[23:24]
	s_waitcnt vmcnt(1) lgkmcnt(0)
	v_mul_f64 v[23:24], v[2:3], v[12:13]
	v_mul_f64 v[12:13], v[4:5], v[12:13]
	v_fma_f64 v[8:9], v[8:9], v[121:122], v[103:104]
	v_fma_f64 v[6:7], v[6:7], v[121:122], -v[105:106]
	v_add_f64 v[19:20], v[19:20], v[109:110]
	v_add_f64 v[21:22], v[21:22], v[107:108]
	v_fma_f64 v[4:5], v[4:5], v[10:11], v[23:24]
	v_fma_f64 v[2:3], v[2:3], v[10:11], -v[12:13]
	s_delay_alu instid0(VALU_DEP_4) | instskip(NEXT) | instid1(VALU_DEP_4)
	v_add_f64 v[6:7], v[19:20], v[6:7]
	v_add_f64 v[8:9], v[21:22], v[8:9]
	s_delay_alu instid0(VALU_DEP_2) | instskip(NEXT) | instid1(VALU_DEP_2)
	v_add_f64 v[2:3], v[6:7], v[2:3]
	v_add_f64 v[4:5], v[8:9], v[4:5]
	s_waitcnt vmcnt(0)
	s_delay_alu instid0(VALU_DEP_2) | instskip(NEXT) | instid1(VALU_DEP_2)
	v_add_f64 v[2:3], v[14:15], -v[2:3]
	v_add_f64 v[4:5], v[16:17], -v[4:5]
	scratch_store_b128 off, v[2:5], off offset:176
	v_cmpx_lt_u32_e32 10, v76
	s_cbranch_execz .LBB88_143
; %bb.142:
	scratch_load_b128 v[5:8], v81, off
	v_mov_b32_e32 v2, v1
	v_mov_b32_e32 v3, v1
	v_mov_b32_e32 v4, v1
	scratch_store_b128 off, v[1:4], off offset:160
	s_waitcnt vmcnt(0)
	ds_store_b128 v18, v[5:8]
.LBB88_143:
	s_or_b32 exec_lo, exec_lo, s2
	s_waitcnt lgkmcnt(0)
	s_waitcnt_vscnt null, 0x0
	s_barrier
	buffer_gl0_inv
	s_clause 0x7
	scratch_load_b128 v[2:5], off, off offset:176
	scratch_load_b128 v[6:9], off, off offset:192
	;; [unrolled: 1-line block ×8, first 2 shown]
	ds_load_b128 v[113:116], v1 offset:576
	ds_load_b128 v[121:124], v1 offset:592
	s_clause 0x1
	scratch_load_b128 v[117:120], off, off offset:304
	scratch_load_b128 v[125:128], off, off offset:320
	s_mov_b32 s2, exec_lo
	s_waitcnt vmcnt(9) lgkmcnt(1)
	v_mul_f64 v[23:24], v[115:116], v[4:5]
	v_mul_f64 v[4:5], v[113:114], v[4:5]
	s_waitcnt vmcnt(8) lgkmcnt(0)
	v_mul_f64 v[129:130], v[121:122], v[8:9]
	v_mul_f64 v[8:9], v[123:124], v[8:9]
	s_delay_alu instid0(VALU_DEP_4) | instskip(NEXT) | instid1(VALU_DEP_4)
	v_fma_f64 v[23:24], v[113:114], v[2:3], -v[23:24]
	v_fma_f64 v[131:132], v[115:116], v[2:3], v[4:5]
	scratch_load_b128 v[113:116], off, off offset:336
	ds_load_b128 v[2:5], v1 offset:608
	v_fma_f64 v[129:130], v[123:124], v[6:7], v[129:130]
	v_fma_f64 v[135:136], v[121:122], v[6:7], -v[8:9]
	ds_load_b128 v[6:9], v1 offset:624
	scratch_load_b128 v[121:124], off, off offset:352
	s_waitcnt vmcnt(9) lgkmcnt(1)
	v_mul_f64 v[133:134], v[2:3], v[12:13]
	v_mul_f64 v[12:13], v[4:5], v[12:13]
	s_waitcnt vmcnt(8) lgkmcnt(0)
	v_mul_f64 v[137:138], v[6:7], v[16:17]
	v_mul_f64 v[16:17], v[8:9], v[16:17]
	v_add_f64 v[23:24], v[23:24], 0
	v_add_f64 v[131:132], v[131:132], 0
	v_fma_f64 v[133:134], v[4:5], v[10:11], v[133:134]
	v_fma_f64 v[139:140], v[2:3], v[10:11], -v[12:13]
	scratch_load_b128 v[10:13], off, off offset:368
	ds_load_b128 v[2:5], v1 offset:640
	v_add_f64 v[23:24], v[23:24], v[135:136]
	v_add_f64 v[129:130], v[131:132], v[129:130]
	v_fma_f64 v[135:136], v[8:9], v[14:15], v[137:138]
	v_fma_f64 v[137:138], v[6:7], v[14:15], -v[16:17]
	ds_load_b128 v[6:9], v1 offset:656
	scratch_load_b128 v[14:17], off, off offset:384
	s_waitcnt vmcnt(9) lgkmcnt(1)
	v_mul_f64 v[131:132], v[2:3], v[21:22]
	v_mul_f64 v[21:22], v[4:5], v[21:22]
	v_add_f64 v[23:24], v[23:24], v[139:140]
	v_add_f64 v[129:130], v[129:130], v[133:134]
	s_waitcnt vmcnt(8) lgkmcnt(0)
	v_mul_f64 v[133:134], v[6:7], v[103:104]
	v_mul_f64 v[103:104], v[8:9], v[103:104]
	v_fma_f64 v[131:132], v[4:5], v[19:20], v[131:132]
	v_fma_f64 v[19:20], v[2:3], v[19:20], -v[21:22]
	ds_load_b128 v[2:5], v1 offset:672
	v_add_f64 v[21:22], v[23:24], v[137:138]
	v_add_f64 v[23:24], v[129:130], v[135:136]
	v_fma_f64 v[133:134], v[8:9], v[101:102], v[133:134]
	v_fma_f64 v[101:102], v[6:7], v[101:102], -v[103:104]
	ds_load_b128 v[6:9], v1 offset:688
	s_waitcnt vmcnt(7) lgkmcnt(1)
	v_mul_f64 v[129:130], v[2:3], v[107:108]
	v_mul_f64 v[107:108], v[4:5], v[107:108]
	s_waitcnt vmcnt(6) lgkmcnt(0)
	v_mul_f64 v[103:104], v[8:9], v[111:112]
	v_add_f64 v[19:20], v[21:22], v[19:20]
	v_add_f64 v[21:22], v[23:24], v[131:132]
	v_mul_f64 v[23:24], v[6:7], v[111:112]
	v_fma_f64 v[111:112], v[4:5], v[105:106], v[129:130]
	v_fma_f64 v[105:106], v[2:3], v[105:106], -v[107:108]
	ds_load_b128 v[2:5], v1 offset:704
	v_fma_f64 v[103:104], v[6:7], v[109:110], -v[103:104]
	v_add_f64 v[101:102], v[19:20], v[101:102]
	v_add_f64 v[107:108], v[21:22], v[133:134]
	scratch_load_b128 v[19:22], off, off offset:160
	v_fma_f64 v[23:24], v[8:9], v[109:110], v[23:24]
	ds_load_b128 v[6:9], v1 offset:720
	s_waitcnt vmcnt(6) lgkmcnt(1)
	v_mul_f64 v[129:130], v[2:3], v[119:120]
	v_mul_f64 v[119:120], v[4:5], v[119:120]
	s_waitcnt vmcnt(5) lgkmcnt(0)
	v_mul_f64 v[109:110], v[8:9], v[127:128]
	v_add_f64 v[101:102], v[101:102], v[105:106]
	v_add_f64 v[105:106], v[107:108], v[111:112]
	v_mul_f64 v[107:108], v[6:7], v[127:128]
	v_fma_f64 v[111:112], v[4:5], v[117:118], v[129:130]
	v_fma_f64 v[117:118], v[2:3], v[117:118], -v[119:120]
	ds_load_b128 v[2:5], v1 offset:736
	v_fma_f64 v[109:110], v[6:7], v[125:126], -v[109:110]
	v_add_f64 v[101:102], v[101:102], v[103:104]
	v_add_f64 v[23:24], v[105:106], v[23:24]
	v_fma_f64 v[107:108], v[8:9], v[125:126], v[107:108]
	ds_load_b128 v[6:9], v1 offset:752
	s_waitcnt vmcnt(4) lgkmcnt(1)
	v_mul_f64 v[103:104], v[2:3], v[115:116]
	v_mul_f64 v[105:106], v[4:5], v[115:116]
	s_waitcnt vmcnt(3) lgkmcnt(0)
	v_mul_f64 v[115:116], v[8:9], v[123:124]
	v_add_f64 v[101:102], v[101:102], v[117:118]
	v_add_f64 v[23:24], v[23:24], v[111:112]
	v_mul_f64 v[111:112], v[6:7], v[123:124]
	v_fma_f64 v[103:104], v[4:5], v[113:114], v[103:104]
	v_fma_f64 v[105:106], v[2:3], v[113:114], -v[105:106]
	ds_load_b128 v[2:5], v1 offset:768
	v_add_f64 v[101:102], v[101:102], v[109:110]
	v_add_f64 v[23:24], v[23:24], v[107:108]
	v_fma_f64 v[109:110], v[8:9], v[121:122], v[111:112]
	v_fma_f64 v[111:112], v[6:7], v[121:122], -v[115:116]
	ds_load_b128 v[6:9], v1 offset:784
	s_waitcnt vmcnt(2) lgkmcnt(1)
	v_mul_f64 v[107:108], v[2:3], v[12:13]
	v_mul_f64 v[12:13], v[4:5], v[12:13]
	v_add_f64 v[101:102], v[101:102], v[105:106]
	v_add_f64 v[23:24], v[23:24], v[103:104]
	s_waitcnt vmcnt(1) lgkmcnt(0)
	v_mul_f64 v[103:104], v[6:7], v[16:17]
	v_mul_f64 v[16:17], v[8:9], v[16:17]
	v_fma_f64 v[4:5], v[4:5], v[10:11], v[107:108]
	v_fma_f64 v[1:2], v[2:3], v[10:11], -v[12:13]
	v_add_f64 v[10:11], v[101:102], v[111:112]
	v_add_f64 v[12:13], v[23:24], v[109:110]
	v_fma_f64 v[8:9], v[8:9], v[14:15], v[103:104]
	v_fma_f64 v[6:7], v[6:7], v[14:15], -v[16:17]
	s_delay_alu instid0(VALU_DEP_4) | instskip(NEXT) | instid1(VALU_DEP_4)
	v_add_f64 v[1:2], v[10:11], v[1:2]
	v_add_f64 v[3:4], v[12:13], v[4:5]
	s_delay_alu instid0(VALU_DEP_2) | instskip(NEXT) | instid1(VALU_DEP_2)
	v_add_f64 v[1:2], v[1:2], v[6:7]
	v_add_f64 v[3:4], v[3:4], v[8:9]
	s_waitcnt vmcnt(0)
	s_delay_alu instid0(VALU_DEP_2) | instskip(NEXT) | instid1(VALU_DEP_2)
	v_add_f64 v[1:2], v[19:20], -v[1:2]
	v_add_f64 v[3:4], v[21:22], -v[3:4]
	scratch_store_b128 off, v[1:4], off offset:160
	v_cmpx_lt_u32_e32 9, v76
	s_cbranch_execz .LBB88_145
; %bb.144:
	scratch_load_b128 v[1:4], v83, off
	v_mov_b32_e32 v5, 0
	s_delay_alu instid0(VALU_DEP_1)
	v_mov_b32_e32 v6, v5
	v_mov_b32_e32 v7, v5
	;; [unrolled: 1-line block ×3, first 2 shown]
	scratch_store_b128 off, v[5:8], off offset:144
	s_waitcnt vmcnt(0)
	ds_store_b128 v18, v[1:4]
.LBB88_145:
	s_or_b32 exec_lo, exec_lo, s2
	s_waitcnt lgkmcnt(0)
	s_waitcnt_vscnt null, 0x0
	s_barrier
	buffer_gl0_inv
	s_clause 0x7
	scratch_load_b128 v[2:5], off, off offset:160
	scratch_load_b128 v[6:9], off, off offset:176
	scratch_load_b128 v[10:13], off, off offset:192
	scratch_load_b128 v[14:17], off, off offset:208
	scratch_load_b128 v[19:22], off, off offset:224
	scratch_load_b128 v[101:104], off, off offset:240
	scratch_load_b128 v[105:108], off, off offset:256
	scratch_load_b128 v[109:112], off, off offset:272
	v_mov_b32_e32 v1, 0
	s_clause 0x1
	scratch_load_b128 v[117:120], off, off offset:288
	scratch_load_b128 v[125:128], off, off offset:304
	s_mov_b32 s2, exec_lo
	ds_load_b128 v[113:116], v1 offset:560
	ds_load_b128 v[121:124], v1 offset:576
	s_waitcnt vmcnt(9) lgkmcnt(1)
	v_mul_f64 v[23:24], v[115:116], v[4:5]
	v_mul_f64 v[4:5], v[113:114], v[4:5]
	s_waitcnt vmcnt(8) lgkmcnt(0)
	v_mul_f64 v[129:130], v[121:122], v[8:9]
	v_mul_f64 v[8:9], v[123:124], v[8:9]
	s_delay_alu instid0(VALU_DEP_4) | instskip(NEXT) | instid1(VALU_DEP_4)
	v_fma_f64 v[23:24], v[113:114], v[2:3], -v[23:24]
	v_fma_f64 v[131:132], v[115:116], v[2:3], v[4:5]
	ds_load_b128 v[2:5], v1 offset:592
	scratch_load_b128 v[113:116], off, off offset:320
	v_fma_f64 v[129:130], v[123:124], v[6:7], v[129:130]
	v_fma_f64 v[135:136], v[121:122], v[6:7], -v[8:9]
	ds_load_b128 v[6:9], v1 offset:608
	scratch_load_b128 v[121:124], off, off offset:336
	s_waitcnt vmcnt(9) lgkmcnt(1)
	v_mul_f64 v[133:134], v[2:3], v[12:13]
	v_mul_f64 v[12:13], v[4:5], v[12:13]
	s_waitcnt vmcnt(8) lgkmcnt(0)
	v_mul_f64 v[137:138], v[6:7], v[16:17]
	v_mul_f64 v[16:17], v[8:9], v[16:17]
	v_add_f64 v[23:24], v[23:24], 0
	v_add_f64 v[131:132], v[131:132], 0
	v_fma_f64 v[133:134], v[4:5], v[10:11], v[133:134]
	v_fma_f64 v[139:140], v[2:3], v[10:11], -v[12:13]
	scratch_load_b128 v[10:13], off, off offset:352
	ds_load_b128 v[2:5], v1 offset:624
	v_add_f64 v[23:24], v[23:24], v[135:136]
	v_add_f64 v[129:130], v[131:132], v[129:130]
	v_fma_f64 v[135:136], v[8:9], v[14:15], v[137:138]
	v_fma_f64 v[137:138], v[6:7], v[14:15], -v[16:17]
	ds_load_b128 v[6:9], v1 offset:640
	scratch_load_b128 v[14:17], off, off offset:368
	s_waitcnt vmcnt(9) lgkmcnt(1)
	v_mul_f64 v[131:132], v[2:3], v[21:22]
	v_mul_f64 v[21:22], v[4:5], v[21:22]
	v_add_f64 v[23:24], v[23:24], v[139:140]
	v_add_f64 v[129:130], v[129:130], v[133:134]
	s_waitcnt vmcnt(8) lgkmcnt(0)
	v_mul_f64 v[133:134], v[6:7], v[103:104]
	v_mul_f64 v[103:104], v[8:9], v[103:104]
	v_fma_f64 v[131:132], v[4:5], v[19:20], v[131:132]
	v_fma_f64 v[139:140], v[2:3], v[19:20], -v[21:22]
	scratch_load_b128 v[19:22], off, off offset:384
	ds_load_b128 v[2:5], v1 offset:656
	v_add_f64 v[23:24], v[23:24], v[137:138]
	v_add_f64 v[129:130], v[129:130], v[135:136]
	v_fma_f64 v[133:134], v[8:9], v[101:102], v[133:134]
	v_fma_f64 v[101:102], v[6:7], v[101:102], -v[103:104]
	ds_load_b128 v[6:9], v1 offset:672
	s_waitcnt vmcnt(8) lgkmcnt(1)
	v_mul_f64 v[135:136], v[2:3], v[107:108]
	v_mul_f64 v[107:108], v[4:5], v[107:108]
	v_add_f64 v[23:24], v[23:24], v[139:140]
	v_add_f64 v[103:104], v[129:130], v[131:132]
	s_waitcnt vmcnt(7) lgkmcnt(0)
	v_mul_f64 v[129:130], v[6:7], v[111:112]
	v_mul_f64 v[111:112], v[8:9], v[111:112]
	v_fma_f64 v[131:132], v[4:5], v[105:106], v[135:136]
	v_fma_f64 v[105:106], v[2:3], v[105:106], -v[107:108]
	ds_load_b128 v[2:5], v1 offset:688
	v_add_f64 v[23:24], v[23:24], v[101:102]
	v_add_f64 v[101:102], v[103:104], v[133:134]
	v_fma_f64 v[129:130], v[8:9], v[109:110], v[129:130]
	v_fma_f64 v[109:110], v[6:7], v[109:110], -v[111:112]
	ds_load_b128 v[6:9], v1 offset:704
	s_waitcnt vmcnt(5) lgkmcnt(0)
	v_mul_f64 v[111:112], v[6:7], v[127:128]
	v_mul_f64 v[127:128], v[8:9], v[127:128]
	v_add_f64 v[23:24], v[23:24], v[105:106]
	v_add_f64 v[105:106], v[101:102], v[131:132]
	scratch_load_b128 v[101:104], off, off offset:144
	v_mul_f64 v[107:108], v[2:3], v[119:120]
	v_mul_f64 v[119:120], v[4:5], v[119:120]
	v_fma_f64 v[111:112], v[8:9], v[125:126], v[111:112]
	v_add_f64 v[23:24], v[23:24], v[109:110]
	v_add_f64 v[105:106], v[105:106], v[129:130]
	v_fma_f64 v[107:108], v[4:5], v[117:118], v[107:108]
	v_fma_f64 v[117:118], v[2:3], v[117:118], -v[119:120]
	ds_load_b128 v[2:5], v1 offset:720
	v_fma_f64 v[119:120], v[6:7], v[125:126], -v[127:128]
	ds_load_b128 v[6:9], v1 offset:736
	s_waitcnt vmcnt(5) lgkmcnt(1)
	v_mul_f64 v[109:110], v[2:3], v[115:116]
	v_mul_f64 v[115:116], v[4:5], v[115:116]
	v_add_f64 v[105:106], v[105:106], v[107:108]
	v_add_f64 v[23:24], v[23:24], v[117:118]
	s_waitcnt vmcnt(4) lgkmcnt(0)
	v_mul_f64 v[107:108], v[6:7], v[123:124]
	v_mul_f64 v[117:118], v[8:9], v[123:124]
	v_fma_f64 v[109:110], v[4:5], v[113:114], v[109:110]
	v_fma_f64 v[113:114], v[2:3], v[113:114], -v[115:116]
	ds_load_b128 v[2:5], v1 offset:752
	v_add_f64 v[105:106], v[105:106], v[111:112]
	v_add_f64 v[23:24], v[23:24], v[119:120]
	v_fma_f64 v[107:108], v[8:9], v[121:122], v[107:108]
	v_fma_f64 v[115:116], v[6:7], v[121:122], -v[117:118]
	ds_load_b128 v[6:9], v1 offset:768
	s_waitcnt vmcnt(3) lgkmcnt(1)
	v_mul_f64 v[111:112], v[2:3], v[12:13]
	v_mul_f64 v[12:13], v[4:5], v[12:13]
	v_add_f64 v[105:106], v[105:106], v[109:110]
	v_add_f64 v[23:24], v[23:24], v[113:114]
	s_waitcnt vmcnt(2) lgkmcnt(0)
	v_mul_f64 v[109:110], v[6:7], v[16:17]
	v_mul_f64 v[16:17], v[8:9], v[16:17]
	v_fma_f64 v[111:112], v[4:5], v[10:11], v[111:112]
	v_fma_f64 v[10:11], v[2:3], v[10:11], -v[12:13]
	ds_load_b128 v[2:5], v1 offset:784
	v_add_f64 v[12:13], v[23:24], v[115:116]
	v_add_f64 v[23:24], v[105:106], v[107:108]
	s_waitcnt vmcnt(1) lgkmcnt(0)
	v_mul_f64 v[105:106], v[2:3], v[21:22]
	v_mul_f64 v[21:22], v[4:5], v[21:22]
	v_fma_f64 v[8:9], v[8:9], v[14:15], v[109:110]
	v_fma_f64 v[6:7], v[6:7], v[14:15], -v[16:17]
	v_add_f64 v[10:11], v[12:13], v[10:11]
	v_add_f64 v[12:13], v[23:24], v[111:112]
	v_fma_f64 v[4:5], v[4:5], v[19:20], v[105:106]
	v_fma_f64 v[2:3], v[2:3], v[19:20], -v[21:22]
	s_delay_alu instid0(VALU_DEP_4) | instskip(NEXT) | instid1(VALU_DEP_4)
	v_add_f64 v[6:7], v[10:11], v[6:7]
	v_add_f64 v[8:9], v[12:13], v[8:9]
	s_delay_alu instid0(VALU_DEP_2) | instskip(NEXT) | instid1(VALU_DEP_2)
	v_add_f64 v[2:3], v[6:7], v[2:3]
	v_add_f64 v[4:5], v[8:9], v[4:5]
	s_waitcnt vmcnt(0)
	s_delay_alu instid0(VALU_DEP_2) | instskip(NEXT) | instid1(VALU_DEP_2)
	v_add_f64 v[2:3], v[101:102], -v[2:3]
	v_add_f64 v[4:5], v[103:104], -v[4:5]
	scratch_store_b128 off, v[2:5], off offset:144
	v_cmpx_lt_u32_e32 8, v76
	s_cbranch_execz .LBB88_147
; %bb.146:
	scratch_load_b128 v[5:8], v82, off
	v_mov_b32_e32 v2, v1
	v_mov_b32_e32 v3, v1
	;; [unrolled: 1-line block ×3, first 2 shown]
	scratch_store_b128 off, v[1:4], off offset:128
	s_waitcnt vmcnt(0)
	ds_store_b128 v18, v[5:8]
.LBB88_147:
	s_or_b32 exec_lo, exec_lo, s2
	s_waitcnt lgkmcnt(0)
	s_waitcnt_vscnt null, 0x0
	s_barrier
	buffer_gl0_inv
	s_clause 0x7
	scratch_load_b128 v[2:5], off, off offset:144
	scratch_load_b128 v[6:9], off, off offset:160
	;; [unrolled: 1-line block ×8, first 2 shown]
	ds_load_b128 v[113:116], v1 offset:544
	ds_load_b128 v[121:124], v1 offset:560
	s_clause 0x1
	scratch_load_b128 v[117:120], off, off offset:272
	scratch_load_b128 v[125:128], off, off offset:288
	s_mov_b32 s2, exec_lo
	s_waitcnt vmcnt(9) lgkmcnt(1)
	v_mul_f64 v[23:24], v[115:116], v[4:5]
	v_mul_f64 v[4:5], v[113:114], v[4:5]
	s_waitcnt vmcnt(8) lgkmcnt(0)
	v_mul_f64 v[129:130], v[121:122], v[8:9]
	v_mul_f64 v[8:9], v[123:124], v[8:9]
	s_delay_alu instid0(VALU_DEP_4) | instskip(NEXT) | instid1(VALU_DEP_4)
	v_fma_f64 v[23:24], v[113:114], v[2:3], -v[23:24]
	v_fma_f64 v[131:132], v[115:116], v[2:3], v[4:5]
	scratch_load_b128 v[113:116], off, off offset:304
	ds_load_b128 v[2:5], v1 offset:576
	v_fma_f64 v[129:130], v[123:124], v[6:7], v[129:130]
	v_fma_f64 v[135:136], v[121:122], v[6:7], -v[8:9]
	ds_load_b128 v[6:9], v1 offset:592
	scratch_load_b128 v[121:124], off, off offset:320
	s_waitcnt vmcnt(9) lgkmcnt(1)
	v_mul_f64 v[133:134], v[2:3], v[12:13]
	v_mul_f64 v[12:13], v[4:5], v[12:13]
	s_waitcnt vmcnt(8) lgkmcnt(0)
	v_mul_f64 v[137:138], v[6:7], v[16:17]
	v_mul_f64 v[16:17], v[8:9], v[16:17]
	v_add_f64 v[23:24], v[23:24], 0
	v_add_f64 v[131:132], v[131:132], 0
	v_fma_f64 v[133:134], v[4:5], v[10:11], v[133:134]
	v_fma_f64 v[139:140], v[2:3], v[10:11], -v[12:13]
	scratch_load_b128 v[10:13], off, off offset:336
	ds_load_b128 v[2:5], v1 offset:608
	v_add_f64 v[23:24], v[23:24], v[135:136]
	v_add_f64 v[129:130], v[131:132], v[129:130]
	v_fma_f64 v[135:136], v[8:9], v[14:15], v[137:138]
	v_fma_f64 v[137:138], v[6:7], v[14:15], -v[16:17]
	ds_load_b128 v[6:9], v1 offset:624
	scratch_load_b128 v[14:17], off, off offset:352
	s_waitcnt vmcnt(9) lgkmcnt(1)
	v_mul_f64 v[131:132], v[2:3], v[21:22]
	v_mul_f64 v[21:22], v[4:5], v[21:22]
	v_add_f64 v[23:24], v[23:24], v[139:140]
	v_add_f64 v[129:130], v[129:130], v[133:134]
	s_waitcnt vmcnt(8) lgkmcnt(0)
	v_mul_f64 v[133:134], v[6:7], v[103:104]
	v_mul_f64 v[103:104], v[8:9], v[103:104]
	v_fma_f64 v[131:132], v[4:5], v[19:20], v[131:132]
	v_fma_f64 v[139:140], v[2:3], v[19:20], -v[21:22]
	scratch_load_b128 v[19:22], off, off offset:368
	ds_load_b128 v[2:5], v1 offset:640
	v_add_f64 v[23:24], v[23:24], v[137:138]
	v_add_f64 v[129:130], v[129:130], v[135:136]
	v_fma_f64 v[133:134], v[8:9], v[101:102], v[133:134]
	v_fma_f64 v[137:138], v[6:7], v[101:102], -v[103:104]
	ds_load_b128 v[6:9], v1 offset:656
	s_waitcnt vmcnt(8) lgkmcnt(1)
	v_mul_f64 v[135:136], v[2:3], v[107:108]
	v_mul_f64 v[107:108], v[4:5], v[107:108]
	scratch_load_b128 v[101:104], off, off offset:384
	v_add_f64 v[23:24], v[23:24], v[139:140]
	v_add_f64 v[129:130], v[129:130], v[131:132]
	s_waitcnt vmcnt(8) lgkmcnt(0)
	v_mul_f64 v[131:132], v[6:7], v[111:112]
	v_mul_f64 v[111:112], v[8:9], v[111:112]
	v_fma_f64 v[135:136], v[4:5], v[105:106], v[135:136]
	v_fma_f64 v[105:106], v[2:3], v[105:106], -v[107:108]
	ds_load_b128 v[2:5], v1 offset:672
	v_add_f64 v[23:24], v[23:24], v[137:138]
	v_add_f64 v[107:108], v[129:130], v[133:134]
	v_fma_f64 v[131:132], v[8:9], v[109:110], v[131:132]
	v_fma_f64 v[109:110], v[6:7], v[109:110], -v[111:112]
	ds_load_b128 v[6:9], v1 offset:688
	s_waitcnt vmcnt(6) lgkmcnt(0)
	v_mul_f64 v[111:112], v[6:7], v[127:128]
	v_mul_f64 v[127:128], v[8:9], v[127:128]
	v_add_f64 v[23:24], v[23:24], v[105:106]
	v_add_f64 v[105:106], v[107:108], v[135:136]
	s_delay_alu instid0(VALU_DEP_4) | instskip(NEXT) | instid1(VALU_DEP_4)
	v_fma_f64 v[111:112], v[8:9], v[125:126], v[111:112]
	v_fma_f64 v[125:126], v[6:7], v[125:126], -v[127:128]
	ds_load_b128 v[6:9], v1 offset:720
	v_add_f64 v[23:24], v[23:24], v[109:110]
	v_add_f64 v[109:110], v[105:106], v[131:132]
	scratch_load_b128 v[105:108], off, off offset:128
	v_mul_f64 v[129:130], v[2:3], v[119:120]
	v_mul_f64 v[119:120], v[4:5], v[119:120]
	s_delay_alu instid0(VALU_DEP_2) | instskip(NEXT) | instid1(VALU_DEP_2)
	v_fma_f64 v[129:130], v[4:5], v[117:118], v[129:130]
	v_fma_f64 v[117:118], v[2:3], v[117:118], -v[119:120]
	ds_load_b128 v[2:5], v1 offset:704
	s_waitcnt vmcnt(6) lgkmcnt(0)
	v_mul_f64 v[119:120], v[2:3], v[115:116]
	v_mul_f64 v[115:116], v[4:5], v[115:116]
	v_add_f64 v[109:110], v[109:110], v[129:130]
	v_add_f64 v[23:24], v[23:24], v[117:118]
	s_waitcnt vmcnt(5)
	v_mul_f64 v[117:118], v[6:7], v[123:124]
	v_mul_f64 v[123:124], v[8:9], v[123:124]
	v_fma_f64 v[119:120], v[4:5], v[113:114], v[119:120]
	v_fma_f64 v[113:114], v[2:3], v[113:114], -v[115:116]
	ds_load_b128 v[2:5], v1 offset:736
	v_add_f64 v[109:110], v[109:110], v[111:112]
	v_add_f64 v[23:24], v[23:24], v[125:126]
	v_fma_f64 v[115:116], v[8:9], v[121:122], v[117:118]
	v_fma_f64 v[117:118], v[6:7], v[121:122], -v[123:124]
	ds_load_b128 v[6:9], v1 offset:752
	s_waitcnt vmcnt(4) lgkmcnt(1)
	v_mul_f64 v[111:112], v[2:3], v[12:13]
	v_mul_f64 v[12:13], v[4:5], v[12:13]
	v_add_f64 v[109:110], v[109:110], v[119:120]
	v_add_f64 v[23:24], v[23:24], v[113:114]
	s_waitcnt vmcnt(3) lgkmcnt(0)
	v_mul_f64 v[113:114], v[6:7], v[16:17]
	v_mul_f64 v[16:17], v[8:9], v[16:17]
	v_fma_f64 v[111:112], v[4:5], v[10:11], v[111:112]
	v_fma_f64 v[10:11], v[2:3], v[10:11], -v[12:13]
	ds_load_b128 v[2:5], v1 offset:768
	v_add_f64 v[12:13], v[23:24], v[117:118]
	v_add_f64 v[23:24], v[109:110], v[115:116]
	v_fma_f64 v[113:114], v[8:9], v[14:15], v[113:114]
	v_fma_f64 v[14:15], v[6:7], v[14:15], -v[16:17]
	ds_load_b128 v[6:9], v1 offset:784
	s_waitcnt vmcnt(2) lgkmcnt(1)
	v_mul_f64 v[109:110], v[2:3], v[21:22]
	v_mul_f64 v[21:22], v[4:5], v[21:22]
	s_waitcnt vmcnt(1) lgkmcnt(0)
	v_mul_f64 v[16:17], v[6:7], v[103:104]
	v_add_f64 v[10:11], v[12:13], v[10:11]
	v_add_f64 v[12:13], v[23:24], v[111:112]
	v_mul_f64 v[23:24], v[8:9], v[103:104]
	v_fma_f64 v[4:5], v[4:5], v[19:20], v[109:110]
	v_fma_f64 v[1:2], v[2:3], v[19:20], -v[21:22]
	v_fma_f64 v[8:9], v[8:9], v[101:102], v[16:17]
	v_add_f64 v[10:11], v[10:11], v[14:15]
	v_add_f64 v[12:13], v[12:13], v[113:114]
	v_fma_f64 v[6:7], v[6:7], v[101:102], -v[23:24]
	s_delay_alu instid0(VALU_DEP_3) | instskip(NEXT) | instid1(VALU_DEP_3)
	v_add_f64 v[1:2], v[10:11], v[1:2]
	v_add_f64 v[3:4], v[12:13], v[4:5]
	s_delay_alu instid0(VALU_DEP_2) | instskip(NEXT) | instid1(VALU_DEP_2)
	v_add_f64 v[1:2], v[1:2], v[6:7]
	v_add_f64 v[3:4], v[3:4], v[8:9]
	s_waitcnt vmcnt(0)
	s_delay_alu instid0(VALU_DEP_2) | instskip(NEXT) | instid1(VALU_DEP_2)
	v_add_f64 v[1:2], v[105:106], -v[1:2]
	v_add_f64 v[3:4], v[107:108], -v[3:4]
	scratch_store_b128 off, v[1:4], off offset:128
	v_cmpx_lt_u32_e32 7, v76
	s_cbranch_execz .LBB88_149
; %bb.148:
	scratch_load_b128 v[1:4], v84, off
	v_mov_b32_e32 v5, 0
	s_delay_alu instid0(VALU_DEP_1)
	v_mov_b32_e32 v6, v5
	v_mov_b32_e32 v7, v5
	;; [unrolled: 1-line block ×3, first 2 shown]
	scratch_store_b128 off, v[5:8], off offset:112
	s_waitcnt vmcnt(0)
	ds_store_b128 v18, v[1:4]
.LBB88_149:
	s_or_b32 exec_lo, exec_lo, s2
	s_waitcnt lgkmcnt(0)
	s_waitcnt_vscnt null, 0x0
	s_barrier
	buffer_gl0_inv
	s_clause 0x7
	scratch_load_b128 v[2:5], off, off offset:128
	scratch_load_b128 v[6:9], off, off offset:144
	;; [unrolled: 1-line block ×8, first 2 shown]
	v_mov_b32_e32 v1, 0
	s_clause 0x1
	scratch_load_b128 v[117:120], off, off offset:256
	scratch_load_b128 v[125:128], off, off offset:272
	s_mov_b32 s2, exec_lo
	ds_load_b128 v[113:116], v1 offset:528
	ds_load_b128 v[121:124], v1 offset:544
	s_waitcnt vmcnt(9) lgkmcnt(1)
	v_mul_f64 v[23:24], v[115:116], v[4:5]
	v_mul_f64 v[4:5], v[113:114], v[4:5]
	s_waitcnt vmcnt(8) lgkmcnt(0)
	v_mul_f64 v[129:130], v[121:122], v[8:9]
	v_mul_f64 v[8:9], v[123:124], v[8:9]
	s_delay_alu instid0(VALU_DEP_4) | instskip(NEXT) | instid1(VALU_DEP_4)
	v_fma_f64 v[23:24], v[113:114], v[2:3], -v[23:24]
	v_fma_f64 v[131:132], v[115:116], v[2:3], v[4:5]
	ds_load_b128 v[2:5], v1 offset:560
	v_fma_f64 v[129:130], v[123:124], v[6:7], v[129:130]
	v_fma_f64 v[135:136], v[121:122], v[6:7], -v[8:9]
	ds_load_b128 v[6:9], v1 offset:576
	s_clause 0x1
	scratch_load_b128 v[113:116], off, off offset:288
	scratch_load_b128 v[121:124], off, off offset:304
	s_waitcnt vmcnt(9) lgkmcnt(1)
	v_mul_f64 v[133:134], v[2:3], v[12:13]
	v_mul_f64 v[12:13], v[4:5], v[12:13]
	s_waitcnt vmcnt(8) lgkmcnt(0)
	v_mul_f64 v[137:138], v[6:7], v[16:17]
	v_mul_f64 v[16:17], v[8:9], v[16:17]
	v_add_f64 v[23:24], v[23:24], 0
	v_add_f64 v[131:132], v[131:132], 0
	v_fma_f64 v[133:134], v[4:5], v[10:11], v[133:134]
	v_fma_f64 v[139:140], v[2:3], v[10:11], -v[12:13]
	scratch_load_b128 v[10:13], off, off offset:320
	ds_load_b128 v[2:5], v1 offset:592
	v_add_f64 v[23:24], v[23:24], v[135:136]
	v_add_f64 v[129:130], v[131:132], v[129:130]
	v_fma_f64 v[135:136], v[8:9], v[14:15], v[137:138]
	v_fma_f64 v[137:138], v[6:7], v[14:15], -v[16:17]
	ds_load_b128 v[6:9], v1 offset:608
	scratch_load_b128 v[14:17], off, off offset:336
	s_waitcnt vmcnt(9) lgkmcnt(1)
	v_mul_f64 v[131:132], v[2:3], v[21:22]
	v_mul_f64 v[21:22], v[4:5], v[21:22]
	v_add_f64 v[23:24], v[23:24], v[139:140]
	v_add_f64 v[129:130], v[129:130], v[133:134]
	s_waitcnt vmcnt(8) lgkmcnt(0)
	v_mul_f64 v[133:134], v[6:7], v[103:104]
	v_mul_f64 v[103:104], v[8:9], v[103:104]
	v_fma_f64 v[131:132], v[4:5], v[19:20], v[131:132]
	v_fma_f64 v[139:140], v[2:3], v[19:20], -v[21:22]
	scratch_load_b128 v[19:22], off, off offset:352
	ds_load_b128 v[2:5], v1 offset:624
	v_add_f64 v[23:24], v[23:24], v[137:138]
	v_add_f64 v[129:130], v[129:130], v[135:136]
	v_fma_f64 v[133:134], v[8:9], v[101:102], v[133:134]
	v_fma_f64 v[137:138], v[6:7], v[101:102], -v[103:104]
	ds_load_b128 v[6:9], v1 offset:640
	s_waitcnt vmcnt(8) lgkmcnt(1)
	v_mul_f64 v[135:136], v[2:3], v[107:108]
	v_mul_f64 v[107:108], v[4:5], v[107:108]
	scratch_load_b128 v[101:104], off, off offset:368
	v_add_f64 v[23:24], v[23:24], v[139:140]
	v_add_f64 v[129:130], v[129:130], v[131:132]
	s_waitcnt vmcnt(8) lgkmcnt(0)
	v_mul_f64 v[131:132], v[6:7], v[111:112]
	v_mul_f64 v[111:112], v[8:9], v[111:112]
	v_fma_f64 v[135:136], v[4:5], v[105:106], v[135:136]
	v_fma_f64 v[139:140], v[2:3], v[105:106], -v[107:108]
	scratch_load_b128 v[105:108], off, off offset:384
	ds_load_b128 v[2:5], v1 offset:656
	v_add_f64 v[23:24], v[23:24], v[137:138]
	v_add_f64 v[129:130], v[129:130], v[133:134]
	v_fma_f64 v[131:132], v[8:9], v[109:110], v[131:132]
	v_fma_f64 v[109:110], v[6:7], v[109:110], -v[111:112]
	ds_load_b128 v[6:9], v1 offset:672
	s_waitcnt vmcnt(8) lgkmcnt(1)
	v_mul_f64 v[133:134], v[2:3], v[119:120]
	v_mul_f64 v[119:120], v[4:5], v[119:120]
	v_add_f64 v[23:24], v[23:24], v[139:140]
	v_add_f64 v[111:112], v[129:130], v[135:136]
	s_delay_alu instid0(VALU_DEP_4) | instskip(NEXT) | instid1(VALU_DEP_4)
	v_fma_f64 v[133:134], v[4:5], v[117:118], v[133:134]
	v_fma_f64 v[117:118], v[2:3], v[117:118], -v[119:120]
	ds_load_b128 v[2:5], v1 offset:688
	v_add_f64 v[23:24], v[23:24], v[109:110]
	v_add_f64 v[109:110], v[111:112], v[131:132]
	s_delay_alu instid0(VALU_DEP_2) | instskip(NEXT) | instid1(VALU_DEP_2)
	v_add_f64 v[23:24], v[23:24], v[117:118]
	v_add_f64 v[117:118], v[109:110], v[133:134]
	scratch_load_b128 v[109:112], off, off offset:112
	s_waitcnt vmcnt(8) lgkmcnt(1)
	v_mul_f64 v[129:130], v[6:7], v[127:128]
	v_mul_f64 v[127:128], v[8:9], v[127:128]
	s_delay_alu instid0(VALU_DEP_2) | instskip(NEXT) | instid1(VALU_DEP_2)
	v_fma_f64 v[129:130], v[8:9], v[125:126], v[129:130]
	v_fma_f64 v[125:126], v[6:7], v[125:126], -v[127:128]
	ds_load_b128 v[6:9], v1 offset:704
	s_waitcnt vmcnt(7) lgkmcnt(1)
	v_mul_f64 v[119:120], v[2:3], v[115:116]
	v_mul_f64 v[115:116], v[4:5], v[115:116]
	s_waitcnt vmcnt(6) lgkmcnt(0)
	v_mul_f64 v[127:128], v[6:7], v[123:124]
	v_mul_f64 v[123:124], v[8:9], v[123:124]
	v_add_f64 v[23:24], v[23:24], v[125:126]
	v_fma_f64 v[119:120], v[4:5], v[113:114], v[119:120]
	v_fma_f64 v[113:114], v[2:3], v[113:114], -v[115:116]
	v_add_f64 v[115:116], v[117:118], v[129:130]
	ds_load_b128 v[2:5], v1 offset:720
	v_fma_f64 v[125:126], v[8:9], v[121:122], v[127:128]
	v_fma_f64 v[121:122], v[6:7], v[121:122], -v[123:124]
	ds_load_b128 v[6:9], v1 offset:736
	s_waitcnt vmcnt(5) lgkmcnt(1)
	v_mul_f64 v[117:118], v[2:3], v[12:13]
	v_mul_f64 v[12:13], v[4:5], v[12:13]
	v_add_f64 v[23:24], v[23:24], v[113:114]
	v_add_f64 v[113:114], v[115:116], v[119:120]
	s_waitcnt vmcnt(4) lgkmcnt(0)
	v_mul_f64 v[115:116], v[6:7], v[16:17]
	v_mul_f64 v[16:17], v[8:9], v[16:17]
	v_fma_f64 v[117:118], v[4:5], v[10:11], v[117:118]
	v_fma_f64 v[10:11], v[2:3], v[10:11], -v[12:13]
	ds_load_b128 v[2:5], v1 offset:752
	v_add_f64 v[12:13], v[23:24], v[121:122]
	v_add_f64 v[23:24], v[113:114], v[125:126]
	v_fma_f64 v[115:116], v[8:9], v[14:15], v[115:116]
	v_fma_f64 v[14:15], v[6:7], v[14:15], -v[16:17]
	ds_load_b128 v[6:9], v1 offset:768
	s_waitcnt vmcnt(3) lgkmcnt(1)
	v_mul_f64 v[113:114], v[2:3], v[21:22]
	v_mul_f64 v[21:22], v[4:5], v[21:22]
	s_waitcnt vmcnt(2) lgkmcnt(0)
	v_mul_f64 v[16:17], v[6:7], v[103:104]
	v_add_f64 v[10:11], v[12:13], v[10:11]
	v_add_f64 v[12:13], v[23:24], v[117:118]
	v_mul_f64 v[23:24], v[8:9], v[103:104]
	v_fma_f64 v[103:104], v[4:5], v[19:20], v[113:114]
	v_fma_f64 v[19:20], v[2:3], v[19:20], -v[21:22]
	ds_load_b128 v[2:5], v1 offset:784
	v_fma_f64 v[8:9], v[8:9], v[101:102], v[16:17]
	s_waitcnt vmcnt(1) lgkmcnt(0)
	v_mul_f64 v[21:22], v[4:5], v[107:108]
	v_add_f64 v[10:11], v[10:11], v[14:15]
	v_add_f64 v[12:13], v[12:13], v[115:116]
	v_mul_f64 v[14:15], v[2:3], v[107:108]
	v_fma_f64 v[6:7], v[6:7], v[101:102], -v[23:24]
	v_fma_f64 v[2:3], v[2:3], v[105:106], -v[21:22]
	v_add_f64 v[10:11], v[10:11], v[19:20]
	v_add_f64 v[12:13], v[12:13], v[103:104]
	v_fma_f64 v[4:5], v[4:5], v[105:106], v[14:15]
	s_delay_alu instid0(VALU_DEP_3) | instskip(NEXT) | instid1(VALU_DEP_3)
	v_add_f64 v[6:7], v[10:11], v[6:7]
	v_add_f64 v[8:9], v[12:13], v[8:9]
	s_delay_alu instid0(VALU_DEP_2) | instskip(NEXT) | instid1(VALU_DEP_2)
	v_add_f64 v[2:3], v[6:7], v[2:3]
	v_add_f64 v[4:5], v[8:9], v[4:5]
	s_waitcnt vmcnt(0)
	s_delay_alu instid0(VALU_DEP_2) | instskip(NEXT) | instid1(VALU_DEP_2)
	v_add_f64 v[2:3], v[109:110], -v[2:3]
	v_add_f64 v[4:5], v[111:112], -v[4:5]
	scratch_store_b128 off, v[2:5], off offset:112
	v_cmpx_lt_u32_e32 6, v76
	s_cbranch_execz .LBB88_151
; %bb.150:
	scratch_load_b128 v[5:8], v85, off
	v_mov_b32_e32 v2, v1
	v_mov_b32_e32 v3, v1
	;; [unrolled: 1-line block ×3, first 2 shown]
	scratch_store_b128 off, v[1:4], off offset:96
	s_waitcnt vmcnt(0)
	ds_store_b128 v18, v[5:8]
.LBB88_151:
	s_or_b32 exec_lo, exec_lo, s2
	s_waitcnt lgkmcnt(0)
	s_waitcnt_vscnt null, 0x0
	s_barrier
	buffer_gl0_inv
	s_clause 0x7
	scratch_load_b128 v[2:5], off, off offset:112
	scratch_load_b128 v[6:9], off, off offset:128
	;; [unrolled: 1-line block ×8, first 2 shown]
	ds_load_b128 v[113:116], v1 offset:512
	ds_load_b128 v[121:124], v1 offset:528
	s_clause 0x1
	scratch_load_b128 v[117:120], off, off offset:240
	scratch_load_b128 v[125:128], off, off offset:256
	s_mov_b32 s2, exec_lo
	s_waitcnt vmcnt(9) lgkmcnt(1)
	v_mul_f64 v[23:24], v[115:116], v[4:5]
	v_mul_f64 v[4:5], v[113:114], v[4:5]
	s_waitcnt vmcnt(8) lgkmcnt(0)
	v_mul_f64 v[129:130], v[121:122], v[8:9]
	v_mul_f64 v[8:9], v[123:124], v[8:9]
	s_delay_alu instid0(VALU_DEP_4) | instskip(NEXT) | instid1(VALU_DEP_4)
	v_fma_f64 v[23:24], v[113:114], v[2:3], -v[23:24]
	v_fma_f64 v[131:132], v[115:116], v[2:3], v[4:5]
	ds_load_b128 v[2:5], v1 offset:544
	scratch_load_b128 v[113:116], off, off offset:272
	v_fma_f64 v[129:130], v[123:124], v[6:7], v[129:130]
	v_fma_f64 v[135:136], v[121:122], v[6:7], -v[8:9]
	ds_load_b128 v[6:9], v1 offset:560
	scratch_load_b128 v[121:124], off, off offset:288
	s_waitcnt vmcnt(9) lgkmcnt(1)
	v_mul_f64 v[133:134], v[2:3], v[12:13]
	v_mul_f64 v[12:13], v[4:5], v[12:13]
	s_waitcnt vmcnt(8) lgkmcnt(0)
	v_mul_f64 v[137:138], v[6:7], v[16:17]
	v_mul_f64 v[16:17], v[8:9], v[16:17]
	v_add_f64 v[23:24], v[23:24], 0
	v_add_f64 v[131:132], v[131:132], 0
	v_fma_f64 v[133:134], v[4:5], v[10:11], v[133:134]
	v_fma_f64 v[139:140], v[2:3], v[10:11], -v[12:13]
	ds_load_b128 v[2:5], v1 offset:576
	scratch_load_b128 v[10:13], off, off offset:304
	v_add_f64 v[23:24], v[23:24], v[135:136]
	v_add_f64 v[129:130], v[131:132], v[129:130]
	v_fma_f64 v[135:136], v[8:9], v[14:15], v[137:138]
	v_fma_f64 v[137:138], v[6:7], v[14:15], -v[16:17]
	ds_load_b128 v[6:9], v1 offset:592
	scratch_load_b128 v[14:17], off, off offset:320
	s_waitcnt vmcnt(9) lgkmcnt(1)
	v_mul_f64 v[131:132], v[2:3], v[21:22]
	v_mul_f64 v[21:22], v[4:5], v[21:22]
	v_add_f64 v[23:24], v[23:24], v[139:140]
	v_add_f64 v[129:130], v[129:130], v[133:134]
	s_waitcnt vmcnt(8) lgkmcnt(0)
	v_mul_f64 v[133:134], v[6:7], v[103:104]
	v_mul_f64 v[103:104], v[8:9], v[103:104]
	v_fma_f64 v[131:132], v[4:5], v[19:20], v[131:132]
	v_fma_f64 v[139:140], v[2:3], v[19:20], -v[21:22]
	scratch_load_b128 v[19:22], off, off offset:336
	ds_load_b128 v[2:5], v1 offset:608
	v_add_f64 v[23:24], v[23:24], v[137:138]
	v_add_f64 v[129:130], v[129:130], v[135:136]
	v_fma_f64 v[133:134], v[8:9], v[101:102], v[133:134]
	v_fma_f64 v[137:138], v[6:7], v[101:102], -v[103:104]
	ds_load_b128 v[6:9], v1 offset:624
	s_waitcnt vmcnt(8) lgkmcnt(1)
	v_mul_f64 v[135:136], v[2:3], v[107:108]
	v_mul_f64 v[107:108], v[4:5], v[107:108]
	scratch_load_b128 v[101:104], off, off offset:352
	v_add_f64 v[23:24], v[23:24], v[139:140]
	v_add_f64 v[129:130], v[129:130], v[131:132]
	s_waitcnt vmcnt(8) lgkmcnt(0)
	v_mul_f64 v[131:132], v[6:7], v[111:112]
	v_mul_f64 v[111:112], v[8:9], v[111:112]
	v_fma_f64 v[135:136], v[4:5], v[105:106], v[135:136]
	v_fma_f64 v[139:140], v[2:3], v[105:106], -v[107:108]
	scratch_load_b128 v[105:108], off, off offset:368
	ds_load_b128 v[2:5], v1 offset:640
	v_add_f64 v[23:24], v[23:24], v[137:138]
	v_add_f64 v[129:130], v[129:130], v[133:134]
	v_fma_f64 v[131:132], v[8:9], v[109:110], v[131:132]
	v_fma_f64 v[137:138], v[6:7], v[109:110], -v[111:112]
	ds_load_b128 v[6:9], v1 offset:656
	s_waitcnt vmcnt(8) lgkmcnt(1)
	v_mul_f64 v[133:134], v[2:3], v[119:120]
	v_mul_f64 v[119:120], v[4:5], v[119:120]
	scratch_load_b128 v[109:112], off, off offset:384
	v_add_f64 v[23:24], v[23:24], v[139:140]
	v_add_f64 v[129:130], v[129:130], v[135:136]
	s_waitcnt vmcnt(8) lgkmcnt(0)
	v_mul_f64 v[135:136], v[6:7], v[127:128]
	v_mul_f64 v[127:128], v[8:9], v[127:128]
	v_fma_f64 v[133:134], v[4:5], v[117:118], v[133:134]
	v_fma_f64 v[117:118], v[2:3], v[117:118], -v[119:120]
	ds_load_b128 v[2:5], v1 offset:672
	v_add_f64 v[23:24], v[23:24], v[137:138]
	v_add_f64 v[119:120], v[129:130], v[131:132]
	v_fma_f64 v[131:132], v[8:9], v[125:126], v[135:136]
	v_fma_f64 v[125:126], v[6:7], v[125:126], -v[127:128]
	ds_load_b128 v[6:9], v1 offset:688
	s_waitcnt vmcnt(7) lgkmcnt(1)
	v_mul_f64 v[129:130], v[2:3], v[115:116]
	v_mul_f64 v[115:116], v[4:5], v[115:116]
	v_add_f64 v[23:24], v[23:24], v[117:118]
	v_add_f64 v[117:118], v[119:120], v[133:134]
	s_delay_alu instid0(VALU_DEP_4) | instskip(NEXT) | instid1(VALU_DEP_4)
	v_fma_f64 v[127:128], v[4:5], v[113:114], v[129:130]
	v_fma_f64 v[129:130], v[2:3], v[113:114], -v[115:116]
	scratch_load_b128 v[113:116], off, off offset:96
	s_waitcnt vmcnt(7) lgkmcnt(0)
	v_mul_f64 v[119:120], v[6:7], v[123:124]
	v_mul_f64 v[123:124], v[8:9], v[123:124]
	ds_load_b128 v[2:5], v1 offset:704
	v_add_f64 v[23:24], v[23:24], v[125:126]
	v_add_f64 v[117:118], v[117:118], v[131:132]
	v_fma_f64 v[119:120], v[8:9], v[121:122], v[119:120]
	v_fma_f64 v[121:122], v[6:7], v[121:122], -v[123:124]
	ds_load_b128 v[6:9], v1 offset:720
	s_waitcnt vmcnt(6) lgkmcnt(1)
	v_mul_f64 v[125:126], v[2:3], v[12:13]
	v_mul_f64 v[12:13], v[4:5], v[12:13]
	v_add_f64 v[23:24], v[23:24], v[129:130]
	v_add_f64 v[117:118], v[117:118], v[127:128]
	s_waitcnt vmcnt(5) lgkmcnt(0)
	v_mul_f64 v[123:124], v[6:7], v[16:17]
	v_mul_f64 v[16:17], v[8:9], v[16:17]
	v_fma_f64 v[125:126], v[4:5], v[10:11], v[125:126]
	v_fma_f64 v[10:11], v[2:3], v[10:11], -v[12:13]
	ds_load_b128 v[2:5], v1 offset:736
	v_add_f64 v[12:13], v[23:24], v[121:122]
	v_add_f64 v[23:24], v[117:118], v[119:120]
	v_fma_f64 v[119:120], v[8:9], v[14:15], v[123:124]
	v_fma_f64 v[14:15], v[6:7], v[14:15], -v[16:17]
	ds_load_b128 v[6:9], v1 offset:752
	s_waitcnt vmcnt(4) lgkmcnt(1)
	v_mul_f64 v[117:118], v[2:3], v[21:22]
	v_mul_f64 v[21:22], v[4:5], v[21:22]
	s_waitcnt vmcnt(3) lgkmcnt(0)
	v_mul_f64 v[16:17], v[6:7], v[103:104]
	v_add_f64 v[10:11], v[12:13], v[10:11]
	v_add_f64 v[12:13], v[23:24], v[125:126]
	v_mul_f64 v[23:24], v[8:9], v[103:104]
	v_fma_f64 v[103:104], v[4:5], v[19:20], v[117:118]
	v_fma_f64 v[19:20], v[2:3], v[19:20], -v[21:22]
	ds_load_b128 v[2:5], v1 offset:768
	v_fma_f64 v[16:17], v[8:9], v[101:102], v[16:17]
	v_add_f64 v[10:11], v[10:11], v[14:15]
	v_add_f64 v[12:13], v[12:13], v[119:120]
	v_fma_f64 v[23:24], v[6:7], v[101:102], -v[23:24]
	ds_load_b128 v[6:9], v1 offset:784
	s_waitcnt vmcnt(2) lgkmcnt(1)
	v_mul_f64 v[14:15], v[2:3], v[107:108]
	v_mul_f64 v[21:22], v[4:5], v[107:108]
	s_waitcnt vmcnt(1) lgkmcnt(0)
	v_mul_f64 v[101:102], v[8:9], v[111:112]
	v_add_f64 v[10:11], v[10:11], v[19:20]
	v_add_f64 v[12:13], v[12:13], v[103:104]
	v_mul_f64 v[19:20], v[6:7], v[111:112]
	v_fma_f64 v[4:5], v[4:5], v[105:106], v[14:15]
	v_fma_f64 v[1:2], v[2:3], v[105:106], -v[21:22]
	v_fma_f64 v[6:7], v[6:7], v[109:110], -v[101:102]
	v_add_f64 v[10:11], v[10:11], v[23:24]
	v_add_f64 v[12:13], v[12:13], v[16:17]
	v_fma_f64 v[8:9], v[8:9], v[109:110], v[19:20]
	s_delay_alu instid0(VALU_DEP_3) | instskip(NEXT) | instid1(VALU_DEP_3)
	v_add_f64 v[1:2], v[10:11], v[1:2]
	v_add_f64 v[3:4], v[12:13], v[4:5]
	s_delay_alu instid0(VALU_DEP_2) | instskip(NEXT) | instid1(VALU_DEP_2)
	v_add_f64 v[1:2], v[1:2], v[6:7]
	v_add_f64 v[3:4], v[3:4], v[8:9]
	s_waitcnt vmcnt(0)
	s_delay_alu instid0(VALU_DEP_2) | instskip(NEXT) | instid1(VALU_DEP_2)
	v_add_f64 v[1:2], v[113:114], -v[1:2]
	v_add_f64 v[3:4], v[115:116], -v[3:4]
	scratch_store_b128 off, v[1:4], off offset:96
	v_cmpx_lt_u32_e32 5, v76
	s_cbranch_execz .LBB88_153
; %bb.152:
	scratch_load_b128 v[1:4], v87, off
	v_mov_b32_e32 v5, 0
	s_delay_alu instid0(VALU_DEP_1)
	v_mov_b32_e32 v6, v5
	v_mov_b32_e32 v7, v5
	;; [unrolled: 1-line block ×3, first 2 shown]
	scratch_store_b128 off, v[5:8], off offset:80
	s_waitcnt vmcnt(0)
	ds_store_b128 v18, v[1:4]
.LBB88_153:
	s_or_b32 exec_lo, exec_lo, s2
	s_waitcnt lgkmcnt(0)
	s_waitcnt_vscnt null, 0x0
	s_barrier
	buffer_gl0_inv
	s_clause 0x7
	scratch_load_b128 v[2:5], off, off offset:96
	scratch_load_b128 v[6:9], off, off offset:112
	;; [unrolled: 1-line block ×8, first 2 shown]
	v_mov_b32_e32 v1, 0
	s_clause 0x1
	scratch_load_b128 v[117:120], off, off offset:224
	scratch_load_b128 v[125:128], off, off offset:240
	s_mov_b32 s2, exec_lo
	ds_load_b128 v[113:116], v1 offset:496
	ds_load_b128 v[121:124], v1 offset:512
	s_waitcnt vmcnt(9) lgkmcnt(1)
	v_mul_f64 v[23:24], v[115:116], v[4:5]
	v_mul_f64 v[4:5], v[113:114], v[4:5]
	s_waitcnt vmcnt(8) lgkmcnt(0)
	v_mul_f64 v[129:130], v[121:122], v[8:9]
	v_mul_f64 v[8:9], v[123:124], v[8:9]
	s_delay_alu instid0(VALU_DEP_4) | instskip(NEXT) | instid1(VALU_DEP_4)
	v_fma_f64 v[23:24], v[113:114], v[2:3], -v[23:24]
	v_fma_f64 v[131:132], v[115:116], v[2:3], v[4:5]
	ds_load_b128 v[2:5], v1 offset:528
	scratch_load_b128 v[113:116], off, off offset:256
	v_fma_f64 v[129:130], v[123:124], v[6:7], v[129:130]
	v_fma_f64 v[135:136], v[121:122], v[6:7], -v[8:9]
	scratch_load_b128 v[121:124], off, off offset:272
	ds_load_b128 v[6:9], v1 offset:544
	s_waitcnt vmcnt(9) lgkmcnt(1)
	v_mul_f64 v[133:134], v[2:3], v[12:13]
	v_mul_f64 v[12:13], v[4:5], v[12:13]
	s_waitcnt vmcnt(8) lgkmcnt(0)
	v_mul_f64 v[137:138], v[6:7], v[16:17]
	v_mul_f64 v[16:17], v[8:9], v[16:17]
	v_add_f64 v[23:24], v[23:24], 0
	v_add_f64 v[131:132], v[131:132], 0
	v_fma_f64 v[133:134], v[4:5], v[10:11], v[133:134]
	v_fma_f64 v[139:140], v[2:3], v[10:11], -v[12:13]
	ds_load_b128 v[2:5], v1 offset:560
	scratch_load_b128 v[10:13], off, off offset:288
	v_add_f64 v[23:24], v[23:24], v[135:136]
	v_add_f64 v[129:130], v[131:132], v[129:130]
	v_fma_f64 v[135:136], v[8:9], v[14:15], v[137:138]
	v_fma_f64 v[137:138], v[6:7], v[14:15], -v[16:17]
	ds_load_b128 v[6:9], v1 offset:576
	scratch_load_b128 v[14:17], off, off offset:304
	s_waitcnt vmcnt(9) lgkmcnt(1)
	v_mul_f64 v[131:132], v[2:3], v[21:22]
	v_mul_f64 v[21:22], v[4:5], v[21:22]
	v_add_f64 v[23:24], v[23:24], v[139:140]
	v_add_f64 v[129:130], v[129:130], v[133:134]
	s_waitcnt vmcnt(8) lgkmcnt(0)
	v_mul_f64 v[133:134], v[6:7], v[103:104]
	v_mul_f64 v[103:104], v[8:9], v[103:104]
	v_fma_f64 v[131:132], v[4:5], v[19:20], v[131:132]
	v_fma_f64 v[139:140], v[2:3], v[19:20], -v[21:22]
	scratch_load_b128 v[19:22], off, off offset:320
	ds_load_b128 v[2:5], v1 offset:592
	v_add_f64 v[23:24], v[23:24], v[137:138]
	v_add_f64 v[129:130], v[129:130], v[135:136]
	v_fma_f64 v[133:134], v[8:9], v[101:102], v[133:134]
	v_fma_f64 v[137:138], v[6:7], v[101:102], -v[103:104]
	ds_load_b128 v[6:9], v1 offset:608
	s_waitcnt vmcnt(8) lgkmcnt(1)
	v_mul_f64 v[135:136], v[2:3], v[107:108]
	v_mul_f64 v[107:108], v[4:5], v[107:108]
	scratch_load_b128 v[101:104], off, off offset:336
	v_add_f64 v[23:24], v[23:24], v[139:140]
	v_add_f64 v[129:130], v[129:130], v[131:132]
	s_waitcnt vmcnt(8) lgkmcnt(0)
	v_mul_f64 v[131:132], v[6:7], v[111:112]
	v_mul_f64 v[111:112], v[8:9], v[111:112]
	v_fma_f64 v[135:136], v[4:5], v[105:106], v[135:136]
	v_fma_f64 v[139:140], v[2:3], v[105:106], -v[107:108]
	scratch_load_b128 v[105:108], off, off offset:352
	ds_load_b128 v[2:5], v1 offset:624
	v_add_f64 v[23:24], v[23:24], v[137:138]
	v_add_f64 v[129:130], v[129:130], v[133:134]
	v_fma_f64 v[131:132], v[8:9], v[109:110], v[131:132]
	v_fma_f64 v[137:138], v[6:7], v[109:110], -v[111:112]
	ds_load_b128 v[6:9], v1 offset:640
	s_waitcnt vmcnt(8) lgkmcnt(1)
	v_mul_f64 v[133:134], v[2:3], v[119:120]
	v_mul_f64 v[119:120], v[4:5], v[119:120]
	scratch_load_b128 v[109:112], off, off offset:368
	v_add_f64 v[23:24], v[23:24], v[139:140]
	v_add_f64 v[129:130], v[129:130], v[135:136]
	s_waitcnt vmcnt(8) lgkmcnt(0)
	v_mul_f64 v[135:136], v[6:7], v[127:128]
	v_mul_f64 v[127:128], v[8:9], v[127:128]
	v_fma_f64 v[133:134], v[4:5], v[117:118], v[133:134]
	v_fma_f64 v[139:140], v[2:3], v[117:118], -v[119:120]
	scratch_load_b128 v[117:120], off, off offset:384
	ds_load_b128 v[2:5], v1 offset:656
	v_add_f64 v[23:24], v[23:24], v[137:138]
	v_add_f64 v[129:130], v[129:130], v[131:132]
	v_fma_f64 v[135:136], v[8:9], v[125:126], v[135:136]
	v_fma_f64 v[125:126], v[6:7], v[125:126], -v[127:128]
	ds_load_b128 v[6:9], v1 offset:672
	s_waitcnt vmcnt(8) lgkmcnt(1)
	v_mul_f64 v[131:132], v[2:3], v[115:116]
	v_mul_f64 v[115:116], v[4:5], v[115:116]
	v_add_f64 v[23:24], v[23:24], v[139:140]
	v_add_f64 v[127:128], v[129:130], v[133:134]
	s_waitcnt vmcnt(7) lgkmcnt(0)
	v_mul_f64 v[129:130], v[6:7], v[123:124]
	v_mul_f64 v[123:124], v[8:9], v[123:124]
	v_fma_f64 v[131:132], v[4:5], v[113:114], v[131:132]
	v_fma_f64 v[113:114], v[2:3], v[113:114], -v[115:116]
	ds_load_b128 v[2:5], v1 offset:688
	v_add_f64 v[23:24], v[23:24], v[125:126]
	v_add_f64 v[115:116], v[127:128], v[135:136]
	v_fma_f64 v[127:128], v[8:9], v[121:122], v[129:130]
	v_fma_f64 v[121:122], v[6:7], v[121:122], -v[123:124]
	ds_load_b128 v[6:9], v1 offset:704
	s_waitcnt vmcnt(5) lgkmcnt(0)
	v_mul_f64 v[129:130], v[6:7], v[16:17]
	v_mul_f64 v[16:17], v[8:9], v[16:17]
	v_add_f64 v[23:24], v[23:24], v[113:114]
	v_add_f64 v[123:124], v[115:116], v[131:132]
	scratch_load_b128 v[113:116], off, off offset:80
	v_mul_f64 v[125:126], v[2:3], v[12:13]
	v_mul_f64 v[12:13], v[4:5], v[12:13]
	s_delay_alu instid0(VALU_DEP_2) | instskip(NEXT) | instid1(VALU_DEP_2)
	v_fma_f64 v[125:126], v[4:5], v[10:11], v[125:126]
	v_fma_f64 v[10:11], v[2:3], v[10:11], -v[12:13]
	v_add_f64 v[12:13], v[23:24], v[121:122]
	v_add_f64 v[23:24], v[123:124], v[127:128]
	ds_load_b128 v[2:5], v1 offset:720
	v_fma_f64 v[123:124], v[8:9], v[14:15], v[129:130]
	v_fma_f64 v[14:15], v[6:7], v[14:15], -v[16:17]
	ds_load_b128 v[6:9], v1 offset:736
	s_waitcnt vmcnt(5) lgkmcnt(1)
	v_mul_f64 v[121:122], v[2:3], v[21:22]
	v_mul_f64 v[21:22], v[4:5], v[21:22]
	s_waitcnt vmcnt(4) lgkmcnt(0)
	v_mul_f64 v[16:17], v[6:7], v[103:104]
	v_add_f64 v[10:11], v[12:13], v[10:11]
	v_add_f64 v[12:13], v[23:24], v[125:126]
	v_mul_f64 v[23:24], v[8:9], v[103:104]
	v_fma_f64 v[103:104], v[4:5], v[19:20], v[121:122]
	v_fma_f64 v[19:20], v[2:3], v[19:20], -v[21:22]
	ds_load_b128 v[2:5], v1 offset:752
	v_fma_f64 v[16:17], v[8:9], v[101:102], v[16:17]
	v_add_f64 v[10:11], v[10:11], v[14:15]
	v_add_f64 v[12:13], v[12:13], v[123:124]
	v_fma_f64 v[23:24], v[6:7], v[101:102], -v[23:24]
	ds_load_b128 v[6:9], v1 offset:768
	s_waitcnt vmcnt(3) lgkmcnt(1)
	v_mul_f64 v[14:15], v[2:3], v[107:108]
	v_mul_f64 v[21:22], v[4:5], v[107:108]
	s_waitcnt vmcnt(2) lgkmcnt(0)
	v_mul_f64 v[101:102], v[8:9], v[111:112]
	v_add_f64 v[10:11], v[10:11], v[19:20]
	v_add_f64 v[12:13], v[12:13], v[103:104]
	v_mul_f64 v[19:20], v[6:7], v[111:112]
	v_fma_f64 v[14:15], v[4:5], v[105:106], v[14:15]
	v_fma_f64 v[21:22], v[2:3], v[105:106], -v[21:22]
	ds_load_b128 v[2:5], v1 offset:784
	v_fma_f64 v[6:7], v[6:7], v[109:110], -v[101:102]
	v_add_f64 v[10:11], v[10:11], v[23:24]
	v_add_f64 v[12:13], v[12:13], v[16:17]
	s_waitcnt vmcnt(1) lgkmcnt(0)
	v_mul_f64 v[16:17], v[2:3], v[119:120]
	v_mul_f64 v[23:24], v[4:5], v[119:120]
	v_fma_f64 v[8:9], v[8:9], v[109:110], v[19:20]
	v_add_f64 v[10:11], v[10:11], v[21:22]
	v_add_f64 v[12:13], v[12:13], v[14:15]
	v_fma_f64 v[4:5], v[4:5], v[117:118], v[16:17]
	v_fma_f64 v[2:3], v[2:3], v[117:118], -v[23:24]
	s_delay_alu instid0(VALU_DEP_4) | instskip(NEXT) | instid1(VALU_DEP_4)
	v_add_f64 v[6:7], v[10:11], v[6:7]
	v_add_f64 v[8:9], v[12:13], v[8:9]
	s_delay_alu instid0(VALU_DEP_2) | instskip(NEXT) | instid1(VALU_DEP_2)
	v_add_f64 v[2:3], v[6:7], v[2:3]
	v_add_f64 v[4:5], v[8:9], v[4:5]
	s_waitcnt vmcnt(0)
	s_delay_alu instid0(VALU_DEP_2) | instskip(NEXT) | instid1(VALU_DEP_2)
	v_add_f64 v[2:3], v[113:114], -v[2:3]
	v_add_f64 v[4:5], v[115:116], -v[4:5]
	scratch_store_b128 off, v[2:5], off offset:80
	v_cmpx_lt_u32_e32 4, v76
	s_cbranch_execz .LBB88_155
; %bb.154:
	scratch_load_b128 v[5:8], v77, off
	v_mov_b32_e32 v2, v1
	v_mov_b32_e32 v3, v1
	;; [unrolled: 1-line block ×3, first 2 shown]
	scratch_store_b128 off, v[1:4], off offset:64
	s_waitcnt vmcnt(0)
	ds_store_b128 v18, v[5:8]
.LBB88_155:
	s_or_b32 exec_lo, exec_lo, s2
	s_waitcnt lgkmcnt(0)
	s_waitcnt_vscnt null, 0x0
	s_barrier
	buffer_gl0_inv
	s_clause 0x7
	scratch_load_b128 v[2:5], off, off offset:80
	scratch_load_b128 v[6:9], off, off offset:96
	scratch_load_b128 v[10:13], off, off offset:112
	scratch_load_b128 v[14:17], off, off offset:128
	scratch_load_b128 v[19:22], off, off offset:144
	scratch_load_b128 v[101:104], off, off offset:160
	scratch_load_b128 v[105:108], off, off offset:176
	scratch_load_b128 v[109:112], off, off offset:192
	ds_load_b128 v[113:116], v1 offset:480
	ds_load_b128 v[121:124], v1 offset:496
	s_clause 0x1
	scratch_load_b128 v[117:120], off, off offset:208
	scratch_load_b128 v[125:128], off, off offset:224
	s_mov_b32 s2, exec_lo
	s_waitcnt vmcnt(9) lgkmcnt(1)
	v_mul_f64 v[23:24], v[115:116], v[4:5]
	v_mul_f64 v[4:5], v[113:114], v[4:5]
	s_waitcnt vmcnt(8) lgkmcnt(0)
	v_mul_f64 v[129:130], v[121:122], v[8:9]
	v_mul_f64 v[8:9], v[123:124], v[8:9]
	s_delay_alu instid0(VALU_DEP_4) | instskip(NEXT) | instid1(VALU_DEP_4)
	v_fma_f64 v[23:24], v[113:114], v[2:3], -v[23:24]
	v_fma_f64 v[131:132], v[115:116], v[2:3], v[4:5]
	ds_load_b128 v[2:5], v1 offset:512
	scratch_load_b128 v[113:116], off, off offset:240
	v_fma_f64 v[129:130], v[123:124], v[6:7], v[129:130]
	v_fma_f64 v[135:136], v[121:122], v[6:7], -v[8:9]
	scratch_load_b128 v[121:124], off, off offset:256
	ds_load_b128 v[6:9], v1 offset:528
	s_waitcnt vmcnt(9) lgkmcnt(1)
	v_mul_f64 v[133:134], v[2:3], v[12:13]
	v_mul_f64 v[12:13], v[4:5], v[12:13]
	s_waitcnt vmcnt(8) lgkmcnt(0)
	v_mul_f64 v[137:138], v[6:7], v[16:17]
	v_mul_f64 v[16:17], v[8:9], v[16:17]
	v_add_f64 v[23:24], v[23:24], 0
	v_add_f64 v[131:132], v[131:132], 0
	v_fma_f64 v[133:134], v[4:5], v[10:11], v[133:134]
	v_fma_f64 v[139:140], v[2:3], v[10:11], -v[12:13]
	ds_load_b128 v[2:5], v1 offset:544
	scratch_load_b128 v[10:13], off, off offset:272
	v_add_f64 v[23:24], v[23:24], v[135:136]
	v_add_f64 v[129:130], v[131:132], v[129:130]
	v_fma_f64 v[135:136], v[8:9], v[14:15], v[137:138]
	v_fma_f64 v[137:138], v[6:7], v[14:15], -v[16:17]
	ds_load_b128 v[6:9], v1 offset:560
	scratch_load_b128 v[14:17], off, off offset:288
	s_waitcnt vmcnt(9) lgkmcnt(1)
	v_mul_f64 v[131:132], v[2:3], v[21:22]
	v_mul_f64 v[21:22], v[4:5], v[21:22]
	v_add_f64 v[23:24], v[23:24], v[139:140]
	v_add_f64 v[129:130], v[129:130], v[133:134]
	s_waitcnt vmcnt(8) lgkmcnt(0)
	v_mul_f64 v[133:134], v[6:7], v[103:104]
	v_mul_f64 v[103:104], v[8:9], v[103:104]
	v_fma_f64 v[131:132], v[4:5], v[19:20], v[131:132]
	v_fma_f64 v[139:140], v[2:3], v[19:20], -v[21:22]
	ds_load_b128 v[2:5], v1 offset:576
	scratch_load_b128 v[19:22], off, off offset:304
	v_add_f64 v[23:24], v[23:24], v[137:138]
	v_add_f64 v[129:130], v[129:130], v[135:136]
	v_fma_f64 v[133:134], v[8:9], v[101:102], v[133:134]
	v_fma_f64 v[137:138], v[6:7], v[101:102], -v[103:104]
	ds_load_b128 v[6:9], v1 offset:592
	s_waitcnt vmcnt(8) lgkmcnt(1)
	v_mul_f64 v[135:136], v[2:3], v[107:108]
	v_mul_f64 v[107:108], v[4:5], v[107:108]
	scratch_load_b128 v[101:104], off, off offset:320
	v_add_f64 v[23:24], v[23:24], v[139:140]
	v_add_f64 v[129:130], v[129:130], v[131:132]
	s_waitcnt vmcnt(8) lgkmcnt(0)
	v_mul_f64 v[131:132], v[6:7], v[111:112]
	v_mul_f64 v[111:112], v[8:9], v[111:112]
	v_fma_f64 v[135:136], v[4:5], v[105:106], v[135:136]
	v_fma_f64 v[139:140], v[2:3], v[105:106], -v[107:108]
	scratch_load_b128 v[105:108], off, off offset:336
	ds_load_b128 v[2:5], v1 offset:608
	v_add_f64 v[23:24], v[23:24], v[137:138]
	v_add_f64 v[129:130], v[129:130], v[133:134]
	v_fma_f64 v[131:132], v[8:9], v[109:110], v[131:132]
	v_fma_f64 v[137:138], v[6:7], v[109:110], -v[111:112]
	ds_load_b128 v[6:9], v1 offset:624
	s_waitcnt vmcnt(8) lgkmcnt(1)
	v_mul_f64 v[133:134], v[2:3], v[119:120]
	v_mul_f64 v[119:120], v[4:5], v[119:120]
	scratch_load_b128 v[109:112], off, off offset:352
	v_add_f64 v[23:24], v[23:24], v[139:140]
	v_add_f64 v[129:130], v[129:130], v[135:136]
	s_waitcnt vmcnt(8) lgkmcnt(0)
	v_mul_f64 v[135:136], v[6:7], v[127:128]
	v_mul_f64 v[127:128], v[8:9], v[127:128]
	v_fma_f64 v[133:134], v[4:5], v[117:118], v[133:134]
	v_fma_f64 v[139:140], v[2:3], v[117:118], -v[119:120]
	scratch_load_b128 v[117:120], off, off offset:368
	ds_load_b128 v[2:5], v1 offset:640
	v_add_f64 v[23:24], v[23:24], v[137:138]
	v_add_f64 v[129:130], v[129:130], v[131:132]
	v_fma_f64 v[135:136], v[8:9], v[125:126], v[135:136]
	v_fma_f64 v[137:138], v[6:7], v[125:126], -v[127:128]
	ds_load_b128 v[6:9], v1 offset:656
	scratch_load_b128 v[125:128], off, off offset:384
	s_waitcnt vmcnt(9) lgkmcnt(1)
	v_mul_f64 v[131:132], v[2:3], v[115:116]
	v_mul_f64 v[115:116], v[4:5], v[115:116]
	v_add_f64 v[23:24], v[23:24], v[139:140]
	v_add_f64 v[129:130], v[129:130], v[133:134]
	s_waitcnt vmcnt(8) lgkmcnt(0)
	v_mul_f64 v[133:134], v[6:7], v[123:124]
	v_mul_f64 v[123:124], v[8:9], v[123:124]
	v_fma_f64 v[131:132], v[4:5], v[113:114], v[131:132]
	v_fma_f64 v[113:114], v[2:3], v[113:114], -v[115:116]
	ds_load_b128 v[2:5], v1 offset:672
	v_add_f64 v[23:24], v[23:24], v[137:138]
	v_add_f64 v[115:116], v[129:130], v[135:136]
	v_fma_f64 v[133:134], v[8:9], v[121:122], v[133:134]
	v_fma_f64 v[121:122], v[6:7], v[121:122], -v[123:124]
	ds_load_b128 v[6:9], v1 offset:688
	s_waitcnt vmcnt(7) lgkmcnt(1)
	v_mul_f64 v[129:130], v[2:3], v[12:13]
	v_mul_f64 v[12:13], v[4:5], v[12:13]
	v_add_f64 v[23:24], v[23:24], v[113:114]
	v_add_f64 v[113:114], v[115:116], v[131:132]
	s_delay_alu instid0(VALU_DEP_4) | instskip(NEXT) | instid1(VALU_DEP_4)
	v_fma_f64 v[123:124], v[4:5], v[10:11], v[129:130]
	v_fma_f64 v[129:130], v[2:3], v[10:11], -v[12:13]
	scratch_load_b128 v[10:13], off, off offset:64
	s_waitcnt vmcnt(7) lgkmcnt(0)
	v_mul_f64 v[115:116], v[6:7], v[16:17]
	v_mul_f64 v[16:17], v[8:9], v[16:17]
	ds_load_b128 v[2:5], v1 offset:704
	v_add_f64 v[23:24], v[23:24], v[121:122]
	v_add_f64 v[113:114], v[113:114], v[133:134]
	v_fma_f64 v[115:116], v[8:9], v[14:15], v[115:116]
	v_fma_f64 v[14:15], v[6:7], v[14:15], -v[16:17]
	ds_load_b128 v[6:9], v1 offset:720
	s_waitcnt vmcnt(6) lgkmcnt(1)
	v_mul_f64 v[121:122], v[2:3], v[21:22]
	v_mul_f64 v[21:22], v[4:5], v[21:22]
	v_add_f64 v[16:17], v[23:24], v[129:130]
	v_add_f64 v[23:24], v[113:114], v[123:124]
	s_waitcnt vmcnt(5) lgkmcnt(0)
	v_mul_f64 v[113:114], v[6:7], v[103:104]
	v_mul_f64 v[103:104], v[8:9], v[103:104]
	v_fma_f64 v[121:122], v[4:5], v[19:20], v[121:122]
	v_fma_f64 v[19:20], v[2:3], v[19:20], -v[21:22]
	ds_load_b128 v[2:5], v1 offset:736
	s_waitcnt vmcnt(4) lgkmcnt(0)
	v_mul_f64 v[21:22], v[2:3], v[107:108]
	v_add_f64 v[14:15], v[16:17], v[14:15]
	v_add_f64 v[16:17], v[23:24], v[115:116]
	v_mul_f64 v[23:24], v[4:5], v[107:108]
	v_fma_f64 v[107:108], v[8:9], v[101:102], v[113:114]
	v_fma_f64 v[101:102], v[6:7], v[101:102], -v[103:104]
	ds_load_b128 v[6:9], v1 offset:752
	v_fma_f64 v[21:22], v[4:5], v[105:106], v[21:22]
	v_add_f64 v[14:15], v[14:15], v[19:20]
	v_add_f64 v[16:17], v[16:17], v[121:122]
	v_fma_f64 v[23:24], v[2:3], v[105:106], -v[23:24]
	ds_load_b128 v[2:5], v1 offset:768
	s_waitcnt vmcnt(3) lgkmcnt(1)
	v_mul_f64 v[19:20], v[6:7], v[111:112]
	v_mul_f64 v[103:104], v[8:9], v[111:112]
	s_waitcnt vmcnt(2) lgkmcnt(0)
	v_mul_f64 v[105:106], v[4:5], v[119:120]
	v_add_f64 v[14:15], v[14:15], v[101:102]
	v_add_f64 v[16:17], v[16:17], v[107:108]
	v_mul_f64 v[101:102], v[2:3], v[119:120]
	v_fma_f64 v[19:20], v[8:9], v[109:110], v[19:20]
	v_fma_f64 v[103:104], v[6:7], v[109:110], -v[103:104]
	ds_load_b128 v[6:9], v1 offset:784
	v_fma_f64 v[1:2], v[2:3], v[117:118], -v[105:106]
	v_add_f64 v[14:15], v[14:15], v[23:24]
	v_add_f64 v[16:17], v[16:17], v[21:22]
	s_waitcnt vmcnt(1) lgkmcnt(0)
	v_mul_f64 v[21:22], v[6:7], v[127:128]
	v_mul_f64 v[23:24], v[8:9], v[127:128]
	v_fma_f64 v[4:5], v[4:5], v[117:118], v[101:102]
	v_add_f64 v[14:15], v[14:15], v[103:104]
	v_add_f64 v[16:17], v[16:17], v[19:20]
	v_fma_f64 v[8:9], v[8:9], v[125:126], v[21:22]
	v_fma_f64 v[6:7], v[6:7], v[125:126], -v[23:24]
	s_delay_alu instid0(VALU_DEP_4) | instskip(NEXT) | instid1(VALU_DEP_4)
	v_add_f64 v[1:2], v[14:15], v[1:2]
	v_add_f64 v[3:4], v[16:17], v[4:5]
	s_delay_alu instid0(VALU_DEP_2) | instskip(NEXT) | instid1(VALU_DEP_2)
	v_add_f64 v[1:2], v[1:2], v[6:7]
	v_add_f64 v[3:4], v[3:4], v[8:9]
	s_waitcnt vmcnt(0)
	s_delay_alu instid0(VALU_DEP_2) | instskip(NEXT) | instid1(VALU_DEP_2)
	v_add_f64 v[1:2], v[10:11], -v[1:2]
	v_add_f64 v[3:4], v[12:13], -v[3:4]
	scratch_store_b128 off, v[1:4], off offset:64
	v_cmpx_lt_u32_e32 3, v76
	s_cbranch_execz .LBB88_157
; %bb.156:
	scratch_load_b128 v[1:4], v78, off
	v_mov_b32_e32 v5, 0
	s_delay_alu instid0(VALU_DEP_1)
	v_mov_b32_e32 v6, v5
	v_mov_b32_e32 v7, v5
	;; [unrolled: 1-line block ×3, first 2 shown]
	scratch_store_b128 off, v[5:8], off offset:48
	s_waitcnt vmcnt(0)
	ds_store_b128 v18, v[1:4]
.LBB88_157:
	s_or_b32 exec_lo, exec_lo, s2
	s_waitcnt lgkmcnt(0)
	s_waitcnt_vscnt null, 0x0
	s_barrier
	buffer_gl0_inv
	s_clause 0x7
	scratch_load_b128 v[2:5], off, off offset:64
	scratch_load_b128 v[6:9], off, off offset:80
	;; [unrolled: 1-line block ×8, first 2 shown]
	v_mov_b32_e32 v1, 0
	s_clause 0x1
	scratch_load_b128 v[117:120], off, off offset:192
	scratch_load_b128 v[125:128], off, off offset:208
	s_mov_b32 s2, exec_lo
	ds_load_b128 v[113:116], v1 offset:464
	ds_load_b128 v[121:124], v1 offset:480
	s_waitcnt vmcnt(9) lgkmcnt(1)
	v_mul_f64 v[23:24], v[115:116], v[4:5]
	v_mul_f64 v[4:5], v[113:114], v[4:5]
	s_waitcnt vmcnt(8) lgkmcnt(0)
	v_mul_f64 v[129:130], v[121:122], v[8:9]
	v_mul_f64 v[8:9], v[123:124], v[8:9]
	s_delay_alu instid0(VALU_DEP_4) | instskip(NEXT) | instid1(VALU_DEP_4)
	v_fma_f64 v[23:24], v[113:114], v[2:3], -v[23:24]
	v_fma_f64 v[131:132], v[115:116], v[2:3], v[4:5]
	ds_load_b128 v[2:5], v1 offset:496
	scratch_load_b128 v[113:116], off, off offset:224
	v_fma_f64 v[129:130], v[123:124], v[6:7], v[129:130]
	v_fma_f64 v[135:136], v[121:122], v[6:7], -v[8:9]
	scratch_load_b128 v[121:124], off, off offset:240
	ds_load_b128 v[6:9], v1 offset:512
	s_waitcnt vmcnt(9) lgkmcnt(1)
	v_mul_f64 v[133:134], v[2:3], v[12:13]
	v_mul_f64 v[12:13], v[4:5], v[12:13]
	s_waitcnt vmcnt(8) lgkmcnt(0)
	v_mul_f64 v[137:138], v[6:7], v[16:17]
	v_mul_f64 v[16:17], v[8:9], v[16:17]
	v_add_f64 v[23:24], v[23:24], 0
	v_add_f64 v[131:132], v[131:132], 0
	v_fma_f64 v[133:134], v[4:5], v[10:11], v[133:134]
	v_fma_f64 v[139:140], v[2:3], v[10:11], -v[12:13]
	ds_load_b128 v[2:5], v1 offset:528
	scratch_load_b128 v[10:13], off, off offset:256
	v_add_f64 v[23:24], v[23:24], v[135:136]
	v_add_f64 v[129:130], v[131:132], v[129:130]
	v_fma_f64 v[135:136], v[8:9], v[14:15], v[137:138]
	v_fma_f64 v[137:138], v[6:7], v[14:15], -v[16:17]
	scratch_load_b128 v[14:17], off, off offset:272
	ds_load_b128 v[6:9], v1 offset:544
	s_waitcnt vmcnt(9) lgkmcnt(1)
	v_mul_f64 v[131:132], v[2:3], v[21:22]
	v_mul_f64 v[21:22], v[4:5], v[21:22]
	v_add_f64 v[23:24], v[23:24], v[139:140]
	v_add_f64 v[129:130], v[129:130], v[133:134]
	s_waitcnt vmcnt(8) lgkmcnt(0)
	v_mul_f64 v[133:134], v[6:7], v[103:104]
	v_mul_f64 v[103:104], v[8:9], v[103:104]
	v_fma_f64 v[131:132], v[4:5], v[19:20], v[131:132]
	v_fma_f64 v[139:140], v[2:3], v[19:20], -v[21:22]
	ds_load_b128 v[2:5], v1 offset:560
	scratch_load_b128 v[19:22], off, off offset:288
	v_add_f64 v[23:24], v[23:24], v[137:138]
	v_add_f64 v[129:130], v[129:130], v[135:136]
	v_fma_f64 v[133:134], v[8:9], v[101:102], v[133:134]
	v_fma_f64 v[137:138], v[6:7], v[101:102], -v[103:104]
	ds_load_b128 v[6:9], v1 offset:576
	s_waitcnt vmcnt(8) lgkmcnt(1)
	v_mul_f64 v[135:136], v[2:3], v[107:108]
	v_mul_f64 v[107:108], v[4:5], v[107:108]
	scratch_load_b128 v[101:104], off, off offset:304
	v_add_f64 v[23:24], v[23:24], v[139:140]
	v_add_f64 v[129:130], v[129:130], v[131:132]
	s_waitcnt vmcnt(8) lgkmcnt(0)
	v_mul_f64 v[131:132], v[6:7], v[111:112]
	v_mul_f64 v[111:112], v[8:9], v[111:112]
	v_fma_f64 v[135:136], v[4:5], v[105:106], v[135:136]
	v_fma_f64 v[139:140], v[2:3], v[105:106], -v[107:108]
	scratch_load_b128 v[105:108], off, off offset:320
	ds_load_b128 v[2:5], v1 offset:592
	v_add_f64 v[23:24], v[23:24], v[137:138]
	v_add_f64 v[129:130], v[129:130], v[133:134]
	v_fma_f64 v[131:132], v[8:9], v[109:110], v[131:132]
	v_fma_f64 v[137:138], v[6:7], v[109:110], -v[111:112]
	ds_load_b128 v[6:9], v1 offset:608
	s_waitcnt vmcnt(8) lgkmcnt(1)
	v_mul_f64 v[133:134], v[2:3], v[119:120]
	v_mul_f64 v[119:120], v[4:5], v[119:120]
	scratch_load_b128 v[109:112], off, off offset:336
	v_add_f64 v[23:24], v[23:24], v[139:140]
	v_add_f64 v[129:130], v[129:130], v[135:136]
	s_waitcnt vmcnt(8) lgkmcnt(0)
	v_mul_f64 v[135:136], v[6:7], v[127:128]
	v_mul_f64 v[127:128], v[8:9], v[127:128]
	v_fma_f64 v[133:134], v[4:5], v[117:118], v[133:134]
	v_fma_f64 v[139:140], v[2:3], v[117:118], -v[119:120]
	scratch_load_b128 v[117:120], off, off offset:352
	ds_load_b128 v[2:5], v1 offset:624
	v_add_f64 v[23:24], v[23:24], v[137:138]
	v_add_f64 v[129:130], v[129:130], v[131:132]
	v_fma_f64 v[135:136], v[8:9], v[125:126], v[135:136]
	v_fma_f64 v[137:138], v[6:7], v[125:126], -v[127:128]
	ds_load_b128 v[6:9], v1 offset:640
	scratch_load_b128 v[125:128], off, off offset:368
	s_waitcnt vmcnt(9) lgkmcnt(1)
	v_mul_f64 v[131:132], v[2:3], v[115:116]
	v_mul_f64 v[115:116], v[4:5], v[115:116]
	v_add_f64 v[23:24], v[23:24], v[139:140]
	v_add_f64 v[129:130], v[129:130], v[133:134]
	s_waitcnt vmcnt(8) lgkmcnt(0)
	v_mul_f64 v[133:134], v[6:7], v[123:124]
	v_mul_f64 v[123:124], v[8:9], v[123:124]
	v_fma_f64 v[131:132], v[4:5], v[113:114], v[131:132]
	v_fma_f64 v[139:140], v[2:3], v[113:114], -v[115:116]
	scratch_load_b128 v[113:116], off, off offset:384
	ds_load_b128 v[2:5], v1 offset:656
	v_add_f64 v[23:24], v[23:24], v[137:138]
	v_add_f64 v[129:130], v[129:130], v[135:136]
	v_fma_f64 v[133:134], v[8:9], v[121:122], v[133:134]
	v_fma_f64 v[121:122], v[6:7], v[121:122], -v[123:124]
	ds_load_b128 v[6:9], v1 offset:672
	s_waitcnt vmcnt(8) lgkmcnt(1)
	v_mul_f64 v[135:136], v[2:3], v[12:13]
	v_mul_f64 v[12:13], v[4:5], v[12:13]
	v_add_f64 v[23:24], v[23:24], v[139:140]
	v_add_f64 v[123:124], v[129:130], v[131:132]
	s_waitcnt vmcnt(7) lgkmcnt(0)
	v_mul_f64 v[129:130], v[6:7], v[16:17]
	v_mul_f64 v[16:17], v[8:9], v[16:17]
	v_fma_f64 v[131:132], v[4:5], v[10:11], v[135:136]
	v_fma_f64 v[10:11], v[2:3], v[10:11], -v[12:13]
	ds_load_b128 v[2:5], v1 offset:688
	v_add_f64 v[12:13], v[23:24], v[121:122]
	v_add_f64 v[23:24], v[123:124], v[133:134]
	v_fma_f64 v[123:124], v[8:9], v[14:15], v[129:130]
	v_fma_f64 v[14:15], v[6:7], v[14:15], -v[16:17]
	ds_load_b128 v[6:9], v1 offset:704
	s_waitcnt vmcnt(5) lgkmcnt(0)
	v_mul_f64 v[129:130], v[6:7], v[103:104]
	v_mul_f64 v[103:104], v[8:9], v[103:104]
	v_add_f64 v[16:17], v[12:13], v[10:11]
	v_add_f64 v[23:24], v[23:24], v[131:132]
	scratch_load_b128 v[10:13], off, off offset:48
	v_mul_f64 v[121:122], v[2:3], v[21:22]
	v_mul_f64 v[21:22], v[4:5], v[21:22]
	v_add_f64 v[14:15], v[16:17], v[14:15]
	v_add_f64 v[16:17], v[23:24], v[123:124]
	s_delay_alu instid0(VALU_DEP_4) | instskip(NEXT) | instid1(VALU_DEP_4)
	v_fma_f64 v[121:122], v[4:5], v[19:20], v[121:122]
	v_fma_f64 v[19:20], v[2:3], v[19:20], -v[21:22]
	ds_load_b128 v[2:5], v1 offset:720
	s_waitcnt vmcnt(5) lgkmcnt(0)
	v_mul_f64 v[21:22], v[2:3], v[107:108]
	v_mul_f64 v[23:24], v[4:5], v[107:108]
	v_fma_f64 v[107:108], v[8:9], v[101:102], v[129:130]
	v_fma_f64 v[101:102], v[6:7], v[101:102], -v[103:104]
	ds_load_b128 v[6:9], v1 offset:736
	v_add_f64 v[16:17], v[16:17], v[121:122]
	v_add_f64 v[14:15], v[14:15], v[19:20]
	v_fma_f64 v[21:22], v[4:5], v[105:106], v[21:22]
	v_fma_f64 v[23:24], v[2:3], v[105:106], -v[23:24]
	ds_load_b128 v[2:5], v1 offset:752
	s_waitcnt vmcnt(4) lgkmcnt(1)
	v_mul_f64 v[19:20], v[6:7], v[111:112]
	v_mul_f64 v[103:104], v[8:9], v[111:112]
	v_add_f64 v[16:17], v[16:17], v[107:108]
	v_add_f64 v[14:15], v[14:15], v[101:102]
	s_waitcnt vmcnt(3) lgkmcnt(0)
	v_mul_f64 v[101:102], v[2:3], v[119:120]
	v_mul_f64 v[105:106], v[4:5], v[119:120]
	v_fma_f64 v[19:20], v[8:9], v[109:110], v[19:20]
	v_fma_f64 v[103:104], v[6:7], v[109:110], -v[103:104]
	ds_load_b128 v[6:9], v1 offset:768
	v_add_f64 v[16:17], v[16:17], v[21:22]
	v_add_f64 v[14:15], v[14:15], v[23:24]
	v_fma_f64 v[101:102], v[4:5], v[117:118], v[101:102]
	v_fma_f64 v[105:106], v[2:3], v[117:118], -v[105:106]
	ds_load_b128 v[2:5], v1 offset:784
	s_waitcnt vmcnt(2) lgkmcnt(1)
	v_mul_f64 v[21:22], v[6:7], v[127:128]
	v_mul_f64 v[23:24], v[8:9], v[127:128]
	v_add_f64 v[16:17], v[16:17], v[19:20]
	v_add_f64 v[14:15], v[14:15], v[103:104]
	s_waitcnt vmcnt(1) lgkmcnt(0)
	v_mul_f64 v[19:20], v[2:3], v[115:116]
	v_mul_f64 v[103:104], v[4:5], v[115:116]
	v_fma_f64 v[8:9], v[8:9], v[125:126], v[21:22]
	v_fma_f64 v[6:7], v[6:7], v[125:126], -v[23:24]
	v_add_f64 v[16:17], v[16:17], v[101:102]
	v_add_f64 v[14:15], v[14:15], v[105:106]
	v_fma_f64 v[4:5], v[4:5], v[113:114], v[19:20]
	v_fma_f64 v[2:3], v[2:3], v[113:114], -v[103:104]
	s_delay_alu instid0(VALU_DEP_4) | instskip(NEXT) | instid1(VALU_DEP_4)
	v_add_f64 v[8:9], v[16:17], v[8:9]
	v_add_f64 v[6:7], v[14:15], v[6:7]
	s_delay_alu instid0(VALU_DEP_2) | instskip(NEXT) | instid1(VALU_DEP_2)
	v_add_f64 v[4:5], v[8:9], v[4:5]
	v_add_f64 v[2:3], v[6:7], v[2:3]
	s_waitcnt vmcnt(0)
	s_delay_alu instid0(VALU_DEP_2) | instskip(NEXT) | instid1(VALU_DEP_2)
	v_add_f64 v[4:5], v[12:13], -v[4:5]
	v_add_f64 v[2:3], v[10:11], -v[2:3]
	scratch_store_b128 off, v[2:5], off offset:48
	v_cmpx_lt_u32_e32 2, v76
	s_cbranch_execz .LBB88_159
; %bb.158:
	scratch_load_b128 v[5:8], v79, off
	v_mov_b32_e32 v2, v1
	v_mov_b32_e32 v3, v1
	;; [unrolled: 1-line block ×3, first 2 shown]
	scratch_store_b128 off, v[1:4], off offset:32
	s_waitcnt vmcnt(0)
	ds_store_b128 v18, v[5:8]
.LBB88_159:
	s_or_b32 exec_lo, exec_lo, s2
	s_waitcnt lgkmcnt(0)
	s_waitcnt_vscnt null, 0x0
	s_barrier
	buffer_gl0_inv
	s_clause 0x7
	scratch_load_b128 v[2:5], off, off offset:48
	scratch_load_b128 v[6:9], off, off offset:64
	;; [unrolled: 1-line block ×8, first 2 shown]
	ds_load_b128 v[113:116], v1 offset:448
	ds_load_b128 v[121:124], v1 offset:464
	s_clause 0x1
	scratch_load_b128 v[117:120], off, off offset:176
	scratch_load_b128 v[125:128], off, off offset:192
	s_mov_b32 s2, exec_lo
	s_waitcnt vmcnt(9) lgkmcnt(1)
	v_mul_f64 v[23:24], v[115:116], v[4:5]
	v_mul_f64 v[4:5], v[113:114], v[4:5]
	s_waitcnt vmcnt(8) lgkmcnt(0)
	v_mul_f64 v[129:130], v[121:122], v[8:9]
	v_mul_f64 v[8:9], v[123:124], v[8:9]
	s_delay_alu instid0(VALU_DEP_4) | instskip(NEXT) | instid1(VALU_DEP_4)
	v_fma_f64 v[23:24], v[113:114], v[2:3], -v[23:24]
	v_fma_f64 v[131:132], v[115:116], v[2:3], v[4:5]
	ds_load_b128 v[2:5], v1 offset:480
	scratch_load_b128 v[113:116], off, off offset:208
	v_fma_f64 v[129:130], v[123:124], v[6:7], v[129:130]
	v_fma_f64 v[135:136], v[121:122], v[6:7], -v[8:9]
	scratch_load_b128 v[121:124], off, off offset:224
	ds_load_b128 v[6:9], v1 offset:496
	s_waitcnt vmcnt(9) lgkmcnt(1)
	v_mul_f64 v[133:134], v[2:3], v[12:13]
	v_mul_f64 v[12:13], v[4:5], v[12:13]
	s_waitcnt vmcnt(8) lgkmcnt(0)
	v_mul_f64 v[137:138], v[6:7], v[16:17]
	v_mul_f64 v[16:17], v[8:9], v[16:17]
	v_add_f64 v[23:24], v[23:24], 0
	v_add_f64 v[131:132], v[131:132], 0
	v_fma_f64 v[133:134], v[4:5], v[10:11], v[133:134]
	v_fma_f64 v[139:140], v[2:3], v[10:11], -v[12:13]
	ds_load_b128 v[2:5], v1 offset:512
	scratch_load_b128 v[10:13], off, off offset:240
	v_add_f64 v[23:24], v[23:24], v[135:136]
	v_add_f64 v[129:130], v[131:132], v[129:130]
	v_fma_f64 v[135:136], v[8:9], v[14:15], v[137:138]
	v_fma_f64 v[137:138], v[6:7], v[14:15], -v[16:17]
	scratch_load_b128 v[14:17], off, off offset:256
	ds_load_b128 v[6:9], v1 offset:528
	s_waitcnt vmcnt(9) lgkmcnt(1)
	v_mul_f64 v[131:132], v[2:3], v[21:22]
	v_mul_f64 v[21:22], v[4:5], v[21:22]
	v_add_f64 v[23:24], v[23:24], v[139:140]
	v_add_f64 v[129:130], v[129:130], v[133:134]
	s_waitcnt vmcnt(8) lgkmcnt(0)
	v_mul_f64 v[133:134], v[6:7], v[103:104]
	v_mul_f64 v[103:104], v[8:9], v[103:104]
	v_fma_f64 v[131:132], v[4:5], v[19:20], v[131:132]
	v_fma_f64 v[139:140], v[2:3], v[19:20], -v[21:22]
	ds_load_b128 v[2:5], v1 offset:544
	scratch_load_b128 v[19:22], off, off offset:272
	v_add_f64 v[23:24], v[23:24], v[137:138]
	v_add_f64 v[129:130], v[129:130], v[135:136]
	v_fma_f64 v[133:134], v[8:9], v[101:102], v[133:134]
	v_fma_f64 v[137:138], v[6:7], v[101:102], -v[103:104]
	scratch_load_b128 v[101:104], off, off offset:288
	ds_load_b128 v[6:9], v1 offset:560
	s_waitcnt vmcnt(9) lgkmcnt(1)
	v_mul_f64 v[135:136], v[2:3], v[107:108]
	v_mul_f64 v[107:108], v[4:5], v[107:108]
	v_add_f64 v[23:24], v[23:24], v[139:140]
	v_add_f64 v[129:130], v[129:130], v[131:132]
	s_waitcnt vmcnt(8) lgkmcnt(0)
	v_mul_f64 v[131:132], v[6:7], v[111:112]
	v_mul_f64 v[111:112], v[8:9], v[111:112]
	v_fma_f64 v[135:136], v[4:5], v[105:106], v[135:136]
	v_fma_f64 v[139:140], v[2:3], v[105:106], -v[107:108]
	ds_load_b128 v[2:5], v1 offset:576
	scratch_load_b128 v[105:108], off, off offset:304
	v_add_f64 v[23:24], v[23:24], v[137:138]
	v_add_f64 v[129:130], v[129:130], v[133:134]
	v_fma_f64 v[131:132], v[8:9], v[109:110], v[131:132]
	v_fma_f64 v[137:138], v[6:7], v[109:110], -v[111:112]
	ds_load_b128 v[6:9], v1 offset:592
	s_waitcnt vmcnt(8) lgkmcnt(1)
	v_mul_f64 v[133:134], v[2:3], v[119:120]
	v_mul_f64 v[119:120], v[4:5], v[119:120]
	scratch_load_b128 v[109:112], off, off offset:320
	v_add_f64 v[23:24], v[23:24], v[139:140]
	v_add_f64 v[129:130], v[129:130], v[135:136]
	s_waitcnt vmcnt(8) lgkmcnt(0)
	v_mul_f64 v[135:136], v[6:7], v[127:128]
	v_mul_f64 v[127:128], v[8:9], v[127:128]
	v_fma_f64 v[133:134], v[4:5], v[117:118], v[133:134]
	v_fma_f64 v[139:140], v[2:3], v[117:118], -v[119:120]
	scratch_load_b128 v[117:120], off, off offset:336
	ds_load_b128 v[2:5], v1 offset:608
	v_add_f64 v[23:24], v[23:24], v[137:138]
	v_add_f64 v[129:130], v[129:130], v[131:132]
	v_fma_f64 v[135:136], v[8:9], v[125:126], v[135:136]
	v_fma_f64 v[137:138], v[6:7], v[125:126], -v[127:128]
	ds_load_b128 v[6:9], v1 offset:624
	scratch_load_b128 v[125:128], off, off offset:352
	s_waitcnt vmcnt(9) lgkmcnt(1)
	v_mul_f64 v[131:132], v[2:3], v[115:116]
	v_mul_f64 v[115:116], v[4:5], v[115:116]
	v_add_f64 v[23:24], v[23:24], v[139:140]
	v_add_f64 v[129:130], v[129:130], v[133:134]
	s_waitcnt vmcnt(8) lgkmcnt(0)
	v_mul_f64 v[133:134], v[6:7], v[123:124]
	v_mul_f64 v[123:124], v[8:9], v[123:124]
	v_fma_f64 v[131:132], v[4:5], v[113:114], v[131:132]
	v_fma_f64 v[139:140], v[2:3], v[113:114], -v[115:116]
	scratch_load_b128 v[113:116], off, off offset:368
	ds_load_b128 v[2:5], v1 offset:640
	v_add_f64 v[23:24], v[23:24], v[137:138]
	v_add_f64 v[129:130], v[129:130], v[135:136]
	v_fma_f64 v[133:134], v[8:9], v[121:122], v[133:134]
	v_fma_f64 v[137:138], v[6:7], v[121:122], -v[123:124]
	ds_load_b128 v[6:9], v1 offset:656
	s_waitcnt vmcnt(8) lgkmcnt(1)
	v_mul_f64 v[135:136], v[2:3], v[12:13]
	v_mul_f64 v[12:13], v[4:5], v[12:13]
	scratch_load_b128 v[121:124], off, off offset:384
	v_add_f64 v[23:24], v[23:24], v[139:140]
	v_add_f64 v[129:130], v[129:130], v[131:132]
	s_waitcnt vmcnt(8) lgkmcnt(0)
	v_mul_f64 v[131:132], v[6:7], v[16:17]
	v_mul_f64 v[16:17], v[8:9], v[16:17]
	v_fma_f64 v[135:136], v[4:5], v[10:11], v[135:136]
	v_fma_f64 v[10:11], v[2:3], v[10:11], -v[12:13]
	ds_load_b128 v[2:5], v1 offset:672
	v_add_f64 v[12:13], v[23:24], v[137:138]
	v_add_f64 v[23:24], v[129:130], v[133:134]
	v_fma_f64 v[131:132], v[8:9], v[14:15], v[131:132]
	v_fma_f64 v[14:15], v[6:7], v[14:15], -v[16:17]
	ds_load_b128 v[6:9], v1 offset:688
	s_waitcnt vmcnt(7) lgkmcnt(1)
	v_mul_f64 v[129:130], v[2:3], v[21:22]
	v_mul_f64 v[21:22], v[4:5], v[21:22]
	s_waitcnt vmcnt(6) lgkmcnt(0)
	v_mul_f64 v[16:17], v[6:7], v[103:104]
	v_add_f64 v[10:11], v[12:13], v[10:11]
	v_add_f64 v[12:13], v[23:24], v[135:136]
	v_mul_f64 v[23:24], v[8:9], v[103:104]
	v_fma_f64 v[103:104], v[4:5], v[19:20], v[129:130]
	v_fma_f64 v[19:20], v[2:3], v[19:20], -v[21:22]
	ds_load_b128 v[2:5], v1 offset:704
	v_fma_f64 v[16:17], v[8:9], v[101:102], v[16:17]
	v_add_f64 v[14:15], v[10:11], v[14:15]
	v_add_f64 v[21:22], v[12:13], v[131:132]
	scratch_load_b128 v[10:13], off, off offset:32
	v_fma_f64 v[23:24], v[6:7], v[101:102], -v[23:24]
	ds_load_b128 v[6:9], v1 offset:720
	s_waitcnt vmcnt(6) lgkmcnt(1)
	v_mul_f64 v[129:130], v[2:3], v[107:108]
	v_mul_f64 v[107:108], v[4:5], v[107:108]
	s_waitcnt vmcnt(5) lgkmcnt(0)
	v_mul_f64 v[101:102], v[8:9], v[111:112]
	v_add_f64 v[14:15], v[14:15], v[19:20]
	v_add_f64 v[19:20], v[21:22], v[103:104]
	v_mul_f64 v[21:22], v[6:7], v[111:112]
	v_fma_f64 v[103:104], v[4:5], v[105:106], v[129:130]
	v_fma_f64 v[105:106], v[2:3], v[105:106], -v[107:108]
	ds_load_b128 v[2:5], v1 offset:736
	v_fma_f64 v[101:102], v[6:7], v[109:110], -v[101:102]
	v_add_f64 v[14:15], v[14:15], v[23:24]
	v_add_f64 v[16:17], v[19:20], v[16:17]
	v_fma_f64 v[21:22], v[8:9], v[109:110], v[21:22]
	ds_load_b128 v[6:9], v1 offset:752
	s_waitcnt vmcnt(4) lgkmcnt(1)
	v_mul_f64 v[19:20], v[2:3], v[119:120]
	v_mul_f64 v[23:24], v[4:5], v[119:120]
	v_add_f64 v[14:15], v[14:15], v[105:106]
	v_add_f64 v[16:17], v[16:17], v[103:104]
	s_waitcnt vmcnt(3) lgkmcnt(0)
	v_mul_f64 v[103:104], v[6:7], v[127:128]
	v_mul_f64 v[105:106], v[8:9], v[127:128]
	v_fma_f64 v[19:20], v[4:5], v[117:118], v[19:20]
	v_fma_f64 v[23:24], v[2:3], v[117:118], -v[23:24]
	ds_load_b128 v[2:5], v1 offset:768
	v_add_f64 v[14:15], v[14:15], v[101:102]
	v_add_f64 v[16:17], v[16:17], v[21:22]
	v_fma_f64 v[103:104], v[8:9], v[125:126], v[103:104]
	v_fma_f64 v[105:106], v[6:7], v[125:126], -v[105:106]
	ds_load_b128 v[6:9], v1 offset:784
	s_waitcnt vmcnt(2) lgkmcnt(1)
	v_mul_f64 v[21:22], v[2:3], v[115:116]
	v_mul_f64 v[101:102], v[4:5], v[115:116]
	v_add_f64 v[14:15], v[14:15], v[23:24]
	v_add_f64 v[16:17], v[16:17], v[19:20]
	s_waitcnt vmcnt(1) lgkmcnt(0)
	v_mul_f64 v[19:20], v[6:7], v[123:124]
	v_mul_f64 v[23:24], v[8:9], v[123:124]
	v_fma_f64 v[4:5], v[4:5], v[113:114], v[21:22]
	v_fma_f64 v[1:2], v[2:3], v[113:114], -v[101:102]
	v_add_f64 v[14:15], v[14:15], v[105:106]
	v_add_f64 v[16:17], v[16:17], v[103:104]
	v_fma_f64 v[8:9], v[8:9], v[121:122], v[19:20]
	v_fma_f64 v[6:7], v[6:7], v[121:122], -v[23:24]
	s_delay_alu instid0(VALU_DEP_4) | instskip(NEXT) | instid1(VALU_DEP_4)
	v_add_f64 v[1:2], v[14:15], v[1:2]
	v_add_f64 v[3:4], v[16:17], v[4:5]
	s_delay_alu instid0(VALU_DEP_2) | instskip(NEXT) | instid1(VALU_DEP_2)
	v_add_f64 v[1:2], v[1:2], v[6:7]
	v_add_f64 v[3:4], v[3:4], v[8:9]
	s_waitcnt vmcnt(0)
	s_delay_alu instid0(VALU_DEP_2) | instskip(NEXT) | instid1(VALU_DEP_2)
	v_add_f64 v[1:2], v[10:11], -v[1:2]
	v_add_f64 v[3:4], v[12:13], -v[3:4]
	scratch_store_b128 off, v[1:4], off offset:32
	v_cmpx_lt_u32_e32 1, v76
	s_cbranch_execz .LBB88_161
; %bb.160:
	scratch_load_b128 v[1:4], v80, off
	v_mov_b32_e32 v5, 0
	s_delay_alu instid0(VALU_DEP_1)
	v_mov_b32_e32 v6, v5
	v_mov_b32_e32 v7, v5
	;; [unrolled: 1-line block ×3, first 2 shown]
	scratch_store_b128 off, v[5:8], off offset:16
	s_waitcnt vmcnt(0)
	ds_store_b128 v18, v[1:4]
.LBB88_161:
	s_or_b32 exec_lo, exec_lo, s2
	s_waitcnt lgkmcnt(0)
	s_waitcnt_vscnt null, 0x0
	s_barrier
	buffer_gl0_inv
	s_clause 0x7
	scratch_load_b128 v[2:5], off, off offset:32
	scratch_load_b128 v[6:9], off, off offset:48
	;; [unrolled: 1-line block ×8, first 2 shown]
	v_mov_b32_e32 v1, 0
	s_clause 0x1
	scratch_load_b128 v[117:120], off, off offset:160
	scratch_load_b128 v[125:128], off, off offset:176
	s_mov_b32 s2, exec_lo
	ds_load_b128 v[113:116], v1 offset:432
	ds_load_b128 v[121:124], v1 offset:448
	s_waitcnt vmcnt(9) lgkmcnt(1)
	v_mul_f64 v[23:24], v[115:116], v[4:5]
	v_mul_f64 v[4:5], v[113:114], v[4:5]
	s_waitcnt vmcnt(8) lgkmcnt(0)
	v_mul_f64 v[129:130], v[121:122], v[8:9]
	v_mul_f64 v[8:9], v[123:124], v[8:9]
	s_delay_alu instid0(VALU_DEP_4) | instskip(NEXT) | instid1(VALU_DEP_4)
	v_fma_f64 v[23:24], v[113:114], v[2:3], -v[23:24]
	v_fma_f64 v[131:132], v[115:116], v[2:3], v[4:5]
	ds_load_b128 v[2:5], v1 offset:464
	scratch_load_b128 v[113:116], off, off offset:192
	v_fma_f64 v[129:130], v[123:124], v[6:7], v[129:130]
	v_fma_f64 v[135:136], v[121:122], v[6:7], -v[8:9]
	scratch_load_b128 v[121:124], off, off offset:208
	ds_load_b128 v[6:9], v1 offset:480
	s_waitcnt vmcnt(9) lgkmcnt(1)
	v_mul_f64 v[133:134], v[2:3], v[12:13]
	v_mul_f64 v[12:13], v[4:5], v[12:13]
	s_waitcnt vmcnt(8) lgkmcnt(0)
	v_mul_f64 v[137:138], v[6:7], v[16:17]
	v_mul_f64 v[16:17], v[8:9], v[16:17]
	v_add_f64 v[23:24], v[23:24], 0
	v_add_f64 v[131:132], v[131:132], 0
	v_fma_f64 v[133:134], v[4:5], v[10:11], v[133:134]
	v_fma_f64 v[139:140], v[2:3], v[10:11], -v[12:13]
	ds_load_b128 v[2:5], v1 offset:496
	scratch_load_b128 v[10:13], off, off offset:224
	v_add_f64 v[23:24], v[23:24], v[135:136]
	v_add_f64 v[129:130], v[131:132], v[129:130]
	v_fma_f64 v[135:136], v[8:9], v[14:15], v[137:138]
	v_fma_f64 v[137:138], v[6:7], v[14:15], -v[16:17]
	scratch_load_b128 v[14:17], off, off offset:240
	ds_load_b128 v[6:9], v1 offset:512
	s_waitcnt vmcnt(9) lgkmcnt(1)
	v_mul_f64 v[131:132], v[2:3], v[21:22]
	v_mul_f64 v[21:22], v[4:5], v[21:22]
	v_add_f64 v[23:24], v[23:24], v[139:140]
	v_add_f64 v[129:130], v[129:130], v[133:134]
	s_waitcnt vmcnt(8) lgkmcnt(0)
	v_mul_f64 v[133:134], v[6:7], v[103:104]
	v_mul_f64 v[103:104], v[8:9], v[103:104]
	v_fma_f64 v[131:132], v[4:5], v[19:20], v[131:132]
	v_fma_f64 v[139:140], v[2:3], v[19:20], -v[21:22]
	ds_load_b128 v[2:5], v1 offset:528
	scratch_load_b128 v[19:22], off, off offset:256
	v_add_f64 v[23:24], v[23:24], v[137:138]
	v_add_f64 v[129:130], v[129:130], v[135:136]
	v_fma_f64 v[133:134], v[8:9], v[101:102], v[133:134]
	v_fma_f64 v[137:138], v[6:7], v[101:102], -v[103:104]
	scratch_load_b128 v[101:104], off, off offset:272
	ds_load_b128 v[6:9], v1 offset:544
	s_waitcnt vmcnt(9) lgkmcnt(1)
	v_mul_f64 v[135:136], v[2:3], v[107:108]
	v_mul_f64 v[107:108], v[4:5], v[107:108]
	v_add_f64 v[23:24], v[23:24], v[139:140]
	v_add_f64 v[129:130], v[129:130], v[131:132]
	s_waitcnt vmcnt(8) lgkmcnt(0)
	v_mul_f64 v[131:132], v[6:7], v[111:112]
	v_mul_f64 v[111:112], v[8:9], v[111:112]
	v_fma_f64 v[135:136], v[4:5], v[105:106], v[135:136]
	v_fma_f64 v[139:140], v[2:3], v[105:106], -v[107:108]
	ds_load_b128 v[2:5], v1 offset:560
	scratch_load_b128 v[105:108], off, off offset:288
	v_add_f64 v[23:24], v[23:24], v[137:138]
	v_add_f64 v[129:130], v[129:130], v[133:134]
	v_fma_f64 v[131:132], v[8:9], v[109:110], v[131:132]
	v_fma_f64 v[137:138], v[6:7], v[109:110], -v[111:112]
	ds_load_b128 v[6:9], v1 offset:576
	s_waitcnt vmcnt(8) lgkmcnt(1)
	v_mul_f64 v[133:134], v[2:3], v[119:120]
	v_mul_f64 v[119:120], v[4:5], v[119:120]
	scratch_load_b128 v[109:112], off, off offset:304
	v_add_f64 v[23:24], v[23:24], v[139:140]
	v_add_f64 v[129:130], v[129:130], v[135:136]
	s_waitcnt vmcnt(8) lgkmcnt(0)
	v_mul_f64 v[135:136], v[6:7], v[127:128]
	v_mul_f64 v[127:128], v[8:9], v[127:128]
	v_fma_f64 v[133:134], v[4:5], v[117:118], v[133:134]
	v_fma_f64 v[139:140], v[2:3], v[117:118], -v[119:120]
	ds_load_b128 v[2:5], v1 offset:592
	scratch_load_b128 v[117:120], off, off offset:320
	v_add_f64 v[23:24], v[23:24], v[137:138]
	v_add_f64 v[129:130], v[129:130], v[131:132]
	v_fma_f64 v[135:136], v[8:9], v[125:126], v[135:136]
	v_fma_f64 v[137:138], v[6:7], v[125:126], -v[127:128]
	ds_load_b128 v[6:9], v1 offset:608
	scratch_load_b128 v[125:128], off, off offset:336
	s_waitcnt vmcnt(9) lgkmcnt(1)
	v_mul_f64 v[131:132], v[2:3], v[115:116]
	v_mul_f64 v[115:116], v[4:5], v[115:116]
	v_add_f64 v[23:24], v[23:24], v[139:140]
	v_add_f64 v[129:130], v[129:130], v[133:134]
	s_waitcnt vmcnt(8) lgkmcnt(0)
	v_mul_f64 v[133:134], v[6:7], v[123:124]
	v_mul_f64 v[123:124], v[8:9], v[123:124]
	v_fma_f64 v[131:132], v[4:5], v[113:114], v[131:132]
	v_fma_f64 v[139:140], v[2:3], v[113:114], -v[115:116]
	scratch_load_b128 v[113:116], off, off offset:352
	ds_load_b128 v[2:5], v1 offset:624
	v_add_f64 v[23:24], v[23:24], v[137:138]
	v_add_f64 v[129:130], v[129:130], v[135:136]
	v_fma_f64 v[133:134], v[8:9], v[121:122], v[133:134]
	v_fma_f64 v[137:138], v[6:7], v[121:122], -v[123:124]
	ds_load_b128 v[6:9], v1 offset:640
	s_waitcnt vmcnt(8) lgkmcnt(1)
	v_mul_f64 v[135:136], v[2:3], v[12:13]
	v_mul_f64 v[12:13], v[4:5], v[12:13]
	scratch_load_b128 v[121:124], off, off offset:368
	v_add_f64 v[23:24], v[23:24], v[139:140]
	v_add_f64 v[129:130], v[129:130], v[131:132]
	s_waitcnt vmcnt(8) lgkmcnt(0)
	v_mul_f64 v[131:132], v[6:7], v[16:17]
	v_mul_f64 v[16:17], v[8:9], v[16:17]
	v_fma_f64 v[135:136], v[4:5], v[10:11], v[135:136]
	v_fma_f64 v[139:140], v[2:3], v[10:11], -v[12:13]
	scratch_load_b128 v[10:13], off, off offset:384
	ds_load_b128 v[2:5], v1 offset:656
	v_add_f64 v[23:24], v[23:24], v[137:138]
	v_add_f64 v[129:130], v[129:130], v[133:134]
	v_fma_f64 v[131:132], v[8:9], v[14:15], v[131:132]
	v_fma_f64 v[14:15], v[6:7], v[14:15], -v[16:17]
	ds_load_b128 v[6:9], v1 offset:672
	s_waitcnt vmcnt(8) lgkmcnt(1)
	v_mul_f64 v[133:134], v[2:3], v[21:22]
	v_mul_f64 v[21:22], v[4:5], v[21:22]
	v_add_f64 v[16:17], v[23:24], v[139:140]
	v_add_f64 v[23:24], v[129:130], v[135:136]
	s_waitcnt vmcnt(7) lgkmcnt(0)
	v_mul_f64 v[129:130], v[6:7], v[103:104]
	v_mul_f64 v[103:104], v[8:9], v[103:104]
	v_fma_f64 v[133:134], v[4:5], v[19:20], v[133:134]
	v_fma_f64 v[19:20], v[2:3], v[19:20], -v[21:22]
	ds_load_b128 v[2:5], v1 offset:688
	s_waitcnt vmcnt(6) lgkmcnt(0)
	v_mul_f64 v[21:22], v[2:3], v[107:108]
	v_add_f64 v[14:15], v[16:17], v[14:15]
	v_add_f64 v[16:17], v[23:24], v[131:132]
	v_mul_f64 v[23:24], v[4:5], v[107:108]
	v_fma_f64 v[107:108], v[8:9], v[101:102], v[129:130]
	v_fma_f64 v[101:102], v[6:7], v[101:102], -v[103:104]
	ds_load_b128 v[6:9], v1 offset:704
	v_fma_f64 v[21:22], v[4:5], v[105:106], v[21:22]
	v_add_f64 v[19:20], v[14:15], v[19:20]
	v_add_f64 v[103:104], v[16:17], v[133:134]
	scratch_load_b128 v[14:17], off, off offset:16
	v_fma_f64 v[23:24], v[2:3], v[105:106], -v[23:24]
	ds_load_b128 v[2:5], v1 offset:720
	s_waitcnt vmcnt(6) lgkmcnt(1)
	v_mul_f64 v[129:130], v[6:7], v[111:112]
	v_mul_f64 v[111:112], v[8:9], v[111:112]
	s_waitcnt vmcnt(5) lgkmcnt(0)
	v_mul_f64 v[105:106], v[4:5], v[119:120]
	v_add_f64 v[19:20], v[19:20], v[101:102]
	v_add_f64 v[101:102], v[103:104], v[107:108]
	v_mul_f64 v[103:104], v[2:3], v[119:120]
	v_fma_f64 v[107:108], v[8:9], v[109:110], v[129:130]
	v_fma_f64 v[109:110], v[6:7], v[109:110], -v[111:112]
	ds_load_b128 v[6:9], v1 offset:736
	v_fma_f64 v[105:106], v[2:3], v[117:118], -v[105:106]
	v_add_f64 v[19:20], v[19:20], v[23:24]
	v_add_f64 v[21:22], v[101:102], v[21:22]
	v_fma_f64 v[103:104], v[4:5], v[117:118], v[103:104]
	ds_load_b128 v[2:5], v1 offset:752
	s_waitcnt vmcnt(4) lgkmcnt(1)
	v_mul_f64 v[23:24], v[6:7], v[127:128]
	v_mul_f64 v[101:102], v[8:9], v[127:128]
	v_add_f64 v[19:20], v[19:20], v[109:110]
	v_add_f64 v[21:22], v[21:22], v[107:108]
	s_waitcnt vmcnt(3) lgkmcnt(0)
	v_mul_f64 v[107:108], v[2:3], v[115:116]
	v_mul_f64 v[109:110], v[4:5], v[115:116]
	v_fma_f64 v[23:24], v[8:9], v[125:126], v[23:24]
	v_fma_f64 v[101:102], v[6:7], v[125:126], -v[101:102]
	ds_load_b128 v[6:9], v1 offset:768
	v_add_f64 v[19:20], v[19:20], v[105:106]
	v_add_f64 v[21:22], v[21:22], v[103:104]
	v_fma_f64 v[107:108], v[4:5], v[113:114], v[107:108]
	v_fma_f64 v[109:110], v[2:3], v[113:114], -v[109:110]
	ds_load_b128 v[2:5], v1 offset:784
	s_waitcnt vmcnt(2) lgkmcnt(1)
	v_mul_f64 v[103:104], v[6:7], v[123:124]
	v_mul_f64 v[105:106], v[8:9], v[123:124]
	v_add_f64 v[19:20], v[19:20], v[101:102]
	v_add_f64 v[21:22], v[21:22], v[23:24]
	s_waitcnt vmcnt(1) lgkmcnt(0)
	v_mul_f64 v[23:24], v[2:3], v[12:13]
	v_mul_f64 v[12:13], v[4:5], v[12:13]
	v_fma_f64 v[8:9], v[8:9], v[121:122], v[103:104]
	v_fma_f64 v[6:7], v[6:7], v[121:122], -v[105:106]
	v_add_f64 v[19:20], v[19:20], v[109:110]
	v_add_f64 v[21:22], v[21:22], v[107:108]
	v_fma_f64 v[4:5], v[4:5], v[10:11], v[23:24]
	v_fma_f64 v[2:3], v[2:3], v[10:11], -v[12:13]
	s_delay_alu instid0(VALU_DEP_4) | instskip(NEXT) | instid1(VALU_DEP_4)
	v_add_f64 v[6:7], v[19:20], v[6:7]
	v_add_f64 v[8:9], v[21:22], v[8:9]
	s_delay_alu instid0(VALU_DEP_2) | instskip(NEXT) | instid1(VALU_DEP_2)
	v_add_f64 v[2:3], v[6:7], v[2:3]
	v_add_f64 v[4:5], v[8:9], v[4:5]
	s_waitcnt vmcnt(0)
	s_delay_alu instid0(VALU_DEP_2) | instskip(NEXT) | instid1(VALU_DEP_2)
	v_add_f64 v[2:3], v[14:15], -v[2:3]
	v_add_f64 v[4:5], v[16:17], -v[4:5]
	scratch_store_b128 off, v[2:5], off offset:16
	v_cmpx_ne_u32_e32 0, v76
	s_cbranch_execz .LBB88_163
; %bb.162:
	scratch_load_b128 v[5:8], off, off
	v_mov_b32_e32 v2, v1
	v_mov_b32_e32 v3, v1
	;; [unrolled: 1-line block ×3, first 2 shown]
	scratch_store_b128 off, v[1:4], off
	s_waitcnt vmcnt(0)
	ds_store_b128 v18, v[5:8]
.LBB88_163:
	s_or_b32 exec_lo, exec_lo, s2
	s_waitcnt lgkmcnt(0)
	s_waitcnt_vscnt null, 0x0
	s_barrier
	buffer_gl0_inv
	s_clause 0x7
	scratch_load_b128 v[2:5], off, off offset:16
	scratch_load_b128 v[6:9], off, off offset:32
	;; [unrolled: 1-line block ×8, first 2 shown]
	ds_load_b128 v[109:112], v1 offset:416
	ds_load_b128 v[117:120], v1 offset:432
	s_clause 0x1
	scratch_load_b128 v[113:116], off, off offset:144
	scratch_load_b128 v[121:124], off, off offset:160
	s_and_b32 vcc_lo, exec_lo, s14
	s_waitcnt vmcnt(9) lgkmcnt(1)
	v_mul_f64 v[125:126], v[111:112], v[4:5]
	v_mul_f64 v[4:5], v[109:110], v[4:5]
	s_waitcnt vmcnt(8) lgkmcnt(0)
	v_mul_f64 v[127:128], v[117:118], v[8:9]
	v_mul_f64 v[8:9], v[119:120], v[8:9]
	s_delay_alu instid0(VALU_DEP_4) | instskip(NEXT) | instid1(VALU_DEP_4)
	v_fma_f64 v[125:126], v[109:110], v[2:3], -v[125:126]
	v_fma_f64 v[129:130], v[111:112], v[2:3], v[4:5]
	ds_load_b128 v[2:5], v1 offset:448
	scratch_load_b128 v[109:112], off, off offset:176
	v_fma_f64 v[127:128], v[119:120], v[6:7], v[127:128]
	v_fma_f64 v[133:134], v[117:118], v[6:7], -v[8:9]
	scratch_load_b128 v[117:120], off, off offset:192
	ds_load_b128 v[6:9], v1 offset:464
	s_waitcnt vmcnt(9) lgkmcnt(1)
	v_mul_f64 v[131:132], v[2:3], v[12:13]
	v_mul_f64 v[12:13], v[4:5], v[12:13]
	s_waitcnt vmcnt(8) lgkmcnt(0)
	v_mul_f64 v[135:136], v[6:7], v[16:17]
	v_mul_f64 v[16:17], v[8:9], v[16:17]
	v_add_f64 v[125:126], v[125:126], 0
	v_add_f64 v[129:130], v[129:130], 0
	v_fma_f64 v[131:132], v[4:5], v[10:11], v[131:132]
	v_fma_f64 v[137:138], v[2:3], v[10:11], -v[12:13]
	ds_load_b128 v[2:5], v1 offset:480
	scratch_load_b128 v[10:13], off, off offset:208
	v_add_f64 v[125:126], v[125:126], v[133:134]
	v_add_f64 v[127:128], v[129:130], v[127:128]
	v_fma_f64 v[133:134], v[8:9], v[14:15], v[135:136]
	v_fma_f64 v[135:136], v[6:7], v[14:15], -v[16:17]
	scratch_load_b128 v[14:17], off, off offset:224
	ds_load_b128 v[6:9], v1 offset:496
	s_waitcnt vmcnt(9) lgkmcnt(1)
	v_mul_f64 v[129:130], v[2:3], v[20:21]
	v_mul_f64 v[20:21], v[4:5], v[20:21]
	v_add_f64 v[125:126], v[125:126], v[137:138]
	v_add_f64 v[127:128], v[127:128], v[131:132]
	s_waitcnt vmcnt(8) lgkmcnt(0)
	v_mul_f64 v[131:132], v[6:7], v[24:25]
	v_mul_f64 v[24:25], v[8:9], v[24:25]
	v_fma_f64 v[129:130], v[4:5], v[18:19], v[129:130]
	v_fma_f64 v[137:138], v[2:3], v[18:19], -v[20:21]
	ds_load_b128 v[2:5], v1 offset:512
	scratch_load_b128 v[18:21], off, off offset:240
	v_add_f64 v[125:126], v[125:126], v[135:136]
	v_add_f64 v[127:128], v[127:128], v[133:134]
	v_fma_f64 v[131:132], v[8:9], v[22:23], v[131:132]
	v_fma_f64 v[135:136], v[6:7], v[22:23], -v[24:25]
	scratch_load_b128 v[22:25], off, off offset:256
	ds_load_b128 v[6:9], v1 offset:528
	s_waitcnt vmcnt(9) lgkmcnt(1)
	v_mul_f64 v[133:134], v[2:3], v[103:104]
	v_mul_f64 v[103:104], v[4:5], v[103:104]
	v_add_f64 v[125:126], v[125:126], v[137:138]
	v_add_f64 v[127:128], v[127:128], v[129:130]
	s_waitcnt vmcnt(8) lgkmcnt(0)
	v_mul_f64 v[129:130], v[6:7], v[107:108]
	v_mul_f64 v[107:108], v[8:9], v[107:108]
	v_fma_f64 v[133:134], v[4:5], v[101:102], v[133:134]
	v_fma_f64 v[137:138], v[2:3], v[101:102], -v[103:104]
	ds_load_b128 v[2:5], v1 offset:544
	scratch_load_b128 v[101:104], off, off offset:272
	v_add_f64 v[125:126], v[125:126], v[135:136]
	v_add_f64 v[127:128], v[127:128], v[131:132]
	v_fma_f64 v[129:130], v[8:9], v[105:106], v[129:130]
	v_fma_f64 v[135:136], v[6:7], v[105:106], -v[107:108]
	ds_load_b128 v[6:9], v1 offset:560
	s_waitcnt vmcnt(8) lgkmcnt(1)
	v_mul_f64 v[131:132], v[2:3], v[115:116]
	v_mul_f64 v[115:116], v[4:5], v[115:116]
	scratch_load_b128 v[105:108], off, off offset:288
	v_add_f64 v[125:126], v[125:126], v[137:138]
	v_add_f64 v[127:128], v[127:128], v[133:134]
	s_waitcnt vmcnt(8) lgkmcnt(0)
	v_mul_f64 v[133:134], v[6:7], v[123:124]
	v_mul_f64 v[123:124], v[8:9], v[123:124]
	v_fma_f64 v[131:132], v[4:5], v[113:114], v[131:132]
	v_fma_f64 v[137:138], v[2:3], v[113:114], -v[115:116]
	ds_load_b128 v[2:5], v1 offset:576
	scratch_load_b128 v[113:116], off, off offset:304
	v_add_f64 v[125:126], v[125:126], v[135:136]
	v_add_f64 v[127:128], v[127:128], v[129:130]
	v_fma_f64 v[133:134], v[8:9], v[121:122], v[133:134]
	v_fma_f64 v[135:136], v[6:7], v[121:122], -v[123:124]
	ds_load_b128 v[6:9], v1 offset:592
	scratch_load_b128 v[121:124], off, off offset:320
	s_waitcnt vmcnt(9) lgkmcnt(1)
	v_mul_f64 v[129:130], v[2:3], v[111:112]
	v_mul_f64 v[111:112], v[4:5], v[111:112]
	v_add_f64 v[125:126], v[125:126], v[137:138]
	v_add_f64 v[127:128], v[127:128], v[131:132]
	s_waitcnt vmcnt(8) lgkmcnt(0)
	v_mul_f64 v[131:132], v[6:7], v[119:120]
	v_mul_f64 v[119:120], v[8:9], v[119:120]
	v_fma_f64 v[129:130], v[4:5], v[109:110], v[129:130]
	v_fma_f64 v[137:138], v[2:3], v[109:110], -v[111:112]
	scratch_load_b128 v[109:112], off, off offset:336
	ds_load_b128 v[2:5], v1 offset:608
	v_add_f64 v[125:126], v[125:126], v[135:136]
	v_add_f64 v[127:128], v[127:128], v[133:134]
	v_fma_f64 v[131:132], v[8:9], v[117:118], v[131:132]
	v_fma_f64 v[135:136], v[6:7], v[117:118], -v[119:120]
	ds_load_b128 v[6:9], v1 offset:624
	s_waitcnt vmcnt(8) lgkmcnt(1)
	v_mul_f64 v[133:134], v[2:3], v[12:13]
	v_mul_f64 v[12:13], v[4:5], v[12:13]
	scratch_load_b128 v[117:120], off, off offset:352
	v_add_f64 v[125:126], v[125:126], v[137:138]
	v_add_f64 v[127:128], v[127:128], v[129:130]
	s_waitcnt vmcnt(8) lgkmcnt(0)
	v_mul_f64 v[129:130], v[6:7], v[16:17]
	v_mul_f64 v[16:17], v[8:9], v[16:17]
	v_fma_f64 v[133:134], v[4:5], v[10:11], v[133:134]
	v_fma_f64 v[137:138], v[2:3], v[10:11], -v[12:13]
	scratch_load_b128 v[10:13], off, off offset:368
	ds_load_b128 v[2:5], v1 offset:640
	v_add_f64 v[125:126], v[125:126], v[135:136]
	v_add_f64 v[127:128], v[127:128], v[131:132]
	v_fma_f64 v[129:130], v[8:9], v[14:15], v[129:130]
	v_fma_f64 v[135:136], v[6:7], v[14:15], -v[16:17]
	ds_load_b128 v[6:9], v1 offset:656
	s_waitcnt vmcnt(8) lgkmcnt(1)
	v_mul_f64 v[131:132], v[2:3], v[20:21]
	v_mul_f64 v[20:21], v[4:5], v[20:21]
	scratch_load_b128 v[14:17], off, off offset:384
	v_add_f64 v[125:126], v[125:126], v[137:138]
	v_add_f64 v[127:128], v[127:128], v[133:134]
	s_waitcnt vmcnt(8) lgkmcnt(0)
	v_mul_f64 v[133:134], v[6:7], v[24:25]
	v_mul_f64 v[24:25], v[8:9], v[24:25]
	v_fma_f64 v[131:132], v[4:5], v[18:19], v[131:132]
	v_fma_f64 v[18:19], v[2:3], v[18:19], -v[20:21]
	ds_load_b128 v[2:5], v1 offset:672
	v_add_f64 v[20:21], v[125:126], v[135:136]
	v_add_f64 v[125:126], v[127:128], v[129:130]
	v_fma_f64 v[129:130], v[8:9], v[22:23], v[133:134]
	v_fma_f64 v[22:23], v[6:7], v[22:23], -v[24:25]
	ds_load_b128 v[6:9], v1 offset:688
	s_waitcnt vmcnt(7) lgkmcnt(1)
	v_mul_f64 v[127:128], v[2:3], v[103:104]
	v_mul_f64 v[103:104], v[4:5], v[103:104]
	v_add_f64 v[18:19], v[20:21], v[18:19]
	v_add_f64 v[20:21], v[125:126], v[131:132]
	s_delay_alu instid0(VALU_DEP_4) | instskip(NEXT) | instid1(VALU_DEP_4)
	v_fma_f64 v[125:126], v[4:5], v[101:102], v[127:128]
	v_fma_f64 v[101:102], v[2:3], v[101:102], -v[103:104]
	ds_load_b128 v[2:5], v1 offset:704
	v_add_f64 v[22:23], v[18:19], v[22:23]
	v_add_f64 v[103:104], v[20:21], v[129:130]
	scratch_load_b128 v[18:21], off, off
	s_waitcnt vmcnt(7) lgkmcnt(1)
	v_mul_f64 v[24:25], v[6:7], v[107:108]
	v_mul_f64 v[107:108], v[8:9], v[107:108]
	v_add_f64 v[22:23], v[22:23], v[101:102]
	v_add_f64 v[101:102], v[103:104], v[125:126]
	s_delay_alu instid0(VALU_DEP_4) | instskip(NEXT) | instid1(VALU_DEP_4)
	v_fma_f64 v[24:25], v[8:9], v[105:106], v[24:25]
	v_fma_f64 v[105:106], v[6:7], v[105:106], -v[107:108]
	ds_load_b128 v[6:9], v1 offset:720
	s_waitcnt vmcnt(6) lgkmcnt(1)
	v_mul_f64 v[127:128], v[2:3], v[115:116]
	v_mul_f64 v[115:116], v[4:5], v[115:116]
	s_waitcnt vmcnt(5) lgkmcnt(0)
	v_mul_f64 v[103:104], v[6:7], v[123:124]
	v_mul_f64 v[107:108], v[8:9], v[123:124]
	v_add_f64 v[24:25], v[101:102], v[24:25]
	v_add_f64 v[22:23], v[22:23], v[105:106]
	v_fma_f64 v[123:124], v[4:5], v[113:114], v[127:128]
	v_fma_f64 v[113:114], v[2:3], v[113:114], -v[115:116]
	ds_load_b128 v[2:5], v1 offset:736
	v_fma_f64 v[103:104], v[8:9], v[121:122], v[103:104]
	v_fma_f64 v[107:108], v[6:7], v[121:122], -v[107:108]
	ds_load_b128 v[6:9], v1 offset:752
	s_waitcnt vmcnt(4) lgkmcnt(1)
	v_mul_f64 v[101:102], v[2:3], v[111:112]
	v_mul_f64 v[105:106], v[4:5], v[111:112]
	v_add_f64 v[24:25], v[24:25], v[123:124]
	v_add_f64 v[22:23], v[22:23], v[113:114]
	s_waitcnt vmcnt(3) lgkmcnt(0)
	v_mul_f64 v[111:112], v[6:7], v[119:120]
	v_mul_f64 v[113:114], v[8:9], v[119:120]
	v_fma_f64 v[101:102], v[4:5], v[109:110], v[101:102]
	v_fma_f64 v[105:106], v[2:3], v[109:110], -v[105:106]
	ds_load_b128 v[2:5], v1 offset:768
	v_add_f64 v[24:25], v[24:25], v[103:104]
	v_add_f64 v[22:23], v[22:23], v[107:108]
	v_fma_f64 v[107:108], v[8:9], v[117:118], v[111:112]
	v_fma_f64 v[109:110], v[6:7], v[117:118], -v[113:114]
	ds_load_b128 v[6:9], v1 offset:784
	s_waitcnt vmcnt(2) lgkmcnt(1)
	v_mul_f64 v[103:104], v[2:3], v[12:13]
	v_mul_f64 v[12:13], v[4:5], v[12:13]
	v_add_f64 v[24:25], v[24:25], v[101:102]
	v_add_f64 v[22:23], v[22:23], v[105:106]
	s_waitcnt vmcnt(1) lgkmcnt(0)
	v_mul_f64 v[101:102], v[6:7], v[16:17]
	v_mul_f64 v[16:17], v[8:9], v[16:17]
	v_fma_f64 v[4:5], v[4:5], v[10:11], v[103:104]
	v_fma_f64 v[1:2], v[2:3], v[10:11], -v[12:13]
	v_add_f64 v[12:13], v[24:25], v[107:108]
	v_add_f64 v[10:11], v[22:23], v[109:110]
	v_fma_f64 v[8:9], v[8:9], v[14:15], v[101:102]
	v_fma_f64 v[6:7], v[6:7], v[14:15], -v[16:17]
	s_delay_alu instid0(VALU_DEP_4) | instskip(NEXT) | instid1(VALU_DEP_4)
	v_add_f64 v[3:4], v[12:13], v[4:5]
	v_add_f64 v[1:2], v[10:11], v[1:2]
	s_delay_alu instid0(VALU_DEP_2) | instskip(NEXT) | instid1(VALU_DEP_2)
	v_add_f64 v[3:4], v[3:4], v[8:9]
	v_add_f64 v[1:2], v[1:2], v[6:7]
	s_waitcnt vmcnt(0)
	s_delay_alu instid0(VALU_DEP_2) | instskip(NEXT) | instid1(VALU_DEP_2)
	v_add_f64 v[3:4], v[20:21], -v[3:4]
	v_add_f64 v[1:2], v[18:19], -v[1:2]
	scratch_store_b128 off, v[1:4], off
	s_cbranch_vccz .LBB88_213
; %bb.164:
	v_dual_mov_b32 v1, s8 :: v_dual_mov_b32 v2, s9
	s_load_b64 s[0:1], s[0:1], 0x4
	flat_load_b32 v1, v[1:2] offset:92
	v_bfe_u32 v2, v0, 10, 10
	v_bfe_u32 v0, v0, 20, 10
	s_waitcnt lgkmcnt(0)
	s_lshr_b32 s0, s0, 16
	s_delay_alu instid0(VALU_DEP_2) | instskip(SKIP_1) | instid1(SALU_CYCLE_1)
	v_mul_u32_u24_e32 v2, s1, v2
	s_mul_i32 s0, s0, s1
	v_mul_u32_u24_e32 v3, s0, v76
	s_mov_b32 s0, exec_lo
	s_delay_alu instid0(VALU_DEP_1) | instskip(NEXT) | instid1(VALU_DEP_1)
	v_add3_u32 v0, v3, v2, v0
	v_lshl_add_u32 v0, v0, 4, 0x328
	s_waitcnt vmcnt(0)
	v_cmpx_ne_u32_e32 24, v1
	s_cbranch_execz .LBB88_166
; %bb.165:
	v_lshl_add_u32 v9, v1, 4, 0
	s_clause 0x1
	scratch_load_b128 v[1:4], v91, off
	scratch_load_b128 v[5:8], v9, off offset:-16
	s_waitcnt vmcnt(1)
	ds_store_2addr_b64 v0, v[1:2], v[3:4] offset1:1
	s_waitcnt vmcnt(0)
	s_clause 0x1
	scratch_store_b128 v91, v[5:8], off
	scratch_store_b128 v9, v[1:4], off offset:-16
.LBB88_166:
	s_or_b32 exec_lo, exec_lo, s0
	v_dual_mov_b32 v1, s8 :: v_dual_mov_b32 v2, s9
	s_mov_b32 s0, exec_lo
	flat_load_b32 v1, v[1:2] offset:88
	s_waitcnt vmcnt(0) lgkmcnt(0)
	v_cmpx_ne_u32_e32 23, v1
	s_cbranch_execz .LBB88_168
; %bb.167:
	v_lshl_add_u32 v9, v1, 4, 0
	s_clause 0x1
	scratch_load_b128 v[1:4], v92, off
	scratch_load_b128 v[5:8], v9, off offset:-16
	s_waitcnt vmcnt(1)
	ds_store_2addr_b64 v0, v[1:2], v[3:4] offset1:1
	s_waitcnt vmcnt(0)
	s_clause 0x1
	scratch_store_b128 v92, v[5:8], off
	scratch_store_b128 v9, v[1:4], off offset:-16
.LBB88_168:
	s_or_b32 exec_lo, exec_lo, s0
	v_dual_mov_b32 v1, s8 :: v_dual_mov_b32 v2, s9
	s_mov_b32 s0, exec_lo
	flat_load_b32 v1, v[1:2] offset:84
	s_waitcnt vmcnt(0) lgkmcnt(0)
	;; [unrolled: 19-line block ×22, first 2 shown]
	v_cmpx_ne_u32_e32 2, v1
	s_cbranch_execz .LBB88_210
; %bb.209:
	v_lshl_add_u32 v9, v1, 4, 0
	s_clause 0x1
	scratch_load_b128 v[1:4], v80, off
	scratch_load_b128 v[5:8], v9, off offset:-16
	s_waitcnt vmcnt(1)
	ds_store_2addr_b64 v0, v[1:2], v[3:4] offset1:1
	s_waitcnt vmcnt(0)
	s_clause 0x1
	scratch_store_b128 v80, v[5:8], off
	scratch_store_b128 v9, v[1:4], off offset:-16
.LBB88_210:
	s_or_b32 exec_lo, exec_lo, s0
	v_dual_mov_b32 v1, s8 :: v_dual_mov_b32 v2, s9
	s_mov_b32 s0, exec_lo
	flat_load_b32 v1, v[1:2]
	s_waitcnt vmcnt(0) lgkmcnt(0)
	v_cmpx_ne_u32_e32 1, v1
	s_cbranch_execz .LBB88_212
; %bb.211:
	v_lshl_add_u32 v9, v1, 4, 0
	scratch_load_b128 v[1:4], off, off
	scratch_load_b128 v[5:8], v9, off offset:-16
	s_waitcnt vmcnt(1)
	ds_store_2addr_b64 v0, v[1:2], v[3:4] offset1:1
	s_waitcnt vmcnt(0)
	scratch_store_b128 off, v[5:8], off
	scratch_store_b128 v9, v[1:4], off offset:-16
.LBB88_212:
	s_or_b32 exec_lo, exec_lo, s0
.LBB88_213:
	scratch_load_b128 v[0:3], off, off
	s_clause 0x13
	scratch_load_b128 v[4:7], v80, off
	scratch_load_b128 v[8:11], v79, off
	scratch_load_b128 v[12:15], v78, off
	scratch_load_b128 v[16:19], v77, off
	scratch_load_b128 v[20:23], v87, off
	scratch_load_b128 v[76:79], v85, off
	scratch_load_b128 v[101:104], v84, off
	scratch_load_b128 v[105:108], v82, off
	scratch_load_b128 v[82:85], v83, off
	scratch_load_b128 v[109:112], v81, off
	scratch_load_b128 v[113:116], v96, off
	scratch_load_b128 v[117:120], v93, off
	scratch_load_b128 v[121:124], v98, off
	scratch_load_b128 v[125:128], v95, off
	scratch_load_b128 v[95:98], v97, off
	scratch_load_b128 v[129:132], v94, off
	scratch_load_b128 v[133:136], v100, off
	scratch_load_b128 v[137:140], v99, off
	scratch_load_b128 v[141:144], v86, off
	scratch_load_b128 v[145:148], v89, off
	s_waitcnt vmcnt(20)
	global_store_b128 v[26:27], v[0:3], off
	s_clause 0x1
	scratch_load_b128 v[0:3], v88, off
	scratch_load_b128 v[24:27], v92, off
	s_waitcnt vmcnt(21)
	global_store_b128 v[30:31], v[4:7], off
	s_clause 0x1
	scratch_load_b128 v[4:7], v91, off
	scratch_load_b128 v[86:89], v90, off
	s_waitcnt vmcnt(22)
	global_store_b128 v[28:29], v[8:11], off
	s_waitcnt vmcnt(21)
	global_store_b128 v[32:33], v[12:15], off
	;; [unrolled: 2-line block ×23, first 2 shown]
	s_endpgm
	.section	.rodata,"a",@progbits
	.p2align	6, 0x0
	.amdhsa_kernel _ZN9rocsolver6v33100L18getri_kernel_smallILi25E19rocblas_complex_numIdEPKPS3_EEvT1_iilPiilS8_bb
		.amdhsa_group_segment_fixed_size 1832
		.amdhsa_private_segment_fixed_size 416
		.amdhsa_kernarg_size 60
		.amdhsa_user_sgpr_count 15
		.amdhsa_user_sgpr_dispatch_ptr 1
		.amdhsa_user_sgpr_queue_ptr 0
		.amdhsa_user_sgpr_kernarg_segment_ptr 1
		.amdhsa_user_sgpr_dispatch_id 0
		.amdhsa_user_sgpr_private_segment_size 0
		.amdhsa_wavefront_size32 1
		.amdhsa_uses_dynamic_stack 0
		.amdhsa_enable_private_segment 1
		.amdhsa_system_sgpr_workgroup_id_x 1
		.amdhsa_system_sgpr_workgroup_id_y 0
		.amdhsa_system_sgpr_workgroup_id_z 0
		.amdhsa_system_sgpr_workgroup_info 0
		.amdhsa_system_vgpr_workitem_id 2
		.amdhsa_next_free_vgpr 152
		.amdhsa_next_free_sgpr 19
		.amdhsa_reserve_vcc 1
		.amdhsa_float_round_mode_32 0
		.amdhsa_float_round_mode_16_64 0
		.amdhsa_float_denorm_mode_32 3
		.amdhsa_float_denorm_mode_16_64 3
		.amdhsa_dx10_clamp 1
		.amdhsa_ieee_mode 1
		.amdhsa_fp16_overflow 0
		.amdhsa_workgroup_processor_mode 1
		.amdhsa_memory_ordered 1
		.amdhsa_forward_progress 0
		.amdhsa_shared_vgpr_count 0
		.amdhsa_exception_fp_ieee_invalid_op 0
		.amdhsa_exception_fp_denorm_src 0
		.amdhsa_exception_fp_ieee_div_zero 0
		.amdhsa_exception_fp_ieee_overflow 0
		.amdhsa_exception_fp_ieee_underflow 0
		.amdhsa_exception_fp_ieee_inexact 0
		.amdhsa_exception_int_div_zero 0
	.end_amdhsa_kernel
	.section	.text._ZN9rocsolver6v33100L18getri_kernel_smallILi25E19rocblas_complex_numIdEPKPS3_EEvT1_iilPiilS8_bb,"axG",@progbits,_ZN9rocsolver6v33100L18getri_kernel_smallILi25E19rocblas_complex_numIdEPKPS3_EEvT1_iilPiilS8_bb,comdat
.Lfunc_end88:
	.size	_ZN9rocsolver6v33100L18getri_kernel_smallILi25E19rocblas_complex_numIdEPKPS3_EEvT1_iilPiilS8_bb, .Lfunc_end88-_ZN9rocsolver6v33100L18getri_kernel_smallILi25E19rocblas_complex_numIdEPKPS3_EEvT1_iilPiilS8_bb
                                        ; -- End function
	.section	.AMDGPU.csdata,"",@progbits
; Kernel info:
; codeLenInByte = 36220
; NumSgprs: 21
; NumVgprs: 152
; ScratchSize: 416
; MemoryBound: 0
; FloatMode: 240
; IeeeMode: 1
; LDSByteSize: 1832 bytes/workgroup (compile time only)
; SGPRBlocks: 2
; VGPRBlocks: 18
; NumSGPRsForWavesPerEU: 21
; NumVGPRsForWavesPerEU: 152
; Occupancy: 9
; WaveLimiterHint : 1
; COMPUTE_PGM_RSRC2:SCRATCH_EN: 1
; COMPUTE_PGM_RSRC2:USER_SGPR: 15
; COMPUTE_PGM_RSRC2:TRAP_HANDLER: 0
; COMPUTE_PGM_RSRC2:TGID_X_EN: 1
; COMPUTE_PGM_RSRC2:TGID_Y_EN: 0
; COMPUTE_PGM_RSRC2:TGID_Z_EN: 0
; COMPUTE_PGM_RSRC2:TIDIG_COMP_CNT: 2
	.section	.text._ZN9rocsolver6v33100L18getri_kernel_smallILi26E19rocblas_complex_numIdEPKPS3_EEvT1_iilPiilS8_bb,"axG",@progbits,_ZN9rocsolver6v33100L18getri_kernel_smallILi26E19rocblas_complex_numIdEPKPS3_EEvT1_iilPiilS8_bb,comdat
	.globl	_ZN9rocsolver6v33100L18getri_kernel_smallILi26E19rocblas_complex_numIdEPKPS3_EEvT1_iilPiilS8_bb ; -- Begin function _ZN9rocsolver6v33100L18getri_kernel_smallILi26E19rocblas_complex_numIdEPKPS3_EEvT1_iilPiilS8_bb
	.p2align	8
	.type	_ZN9rocsolver6v33100L18getri_kernel_smallILi26E19rocblas_complex_numIdEPKPS3_EEvT1_iilPiilS8_bb,@function
_ZN9rocsolver6v33100L18getri_kernel_smallILi26E19rocblas_complex_numIdEPKPS3_EEvT1_iilPiilS8_bb: ; @_ZN9rocsolver6v33100L18getri_kernel_smallILi26E19rocblas_complex_numIdEPKPS3_EEvT1_iilPiilS8_bb
; %bb.0:
	v_and_b32_e32 v85, 0x3ff, v0
	s_mov_b32 s4, exec_lo
	s_delay_alu instid0(VALU_DEP_1)
	v_cmpx_gt_u32_e32 26, v85
	s_cbranch_execz .LBB89_118
; %bb.1:
	s_mov_b32 s10, s15
	s_clause 0x2
	s_load_b32 s15, s[2:3], 0x38
	s_load_b64 s[8:9], s[2:3], 0x0
	s_load_b128 s[4:7], s[2:3], 0x28
	s_waitcnt lgkmcnt(0)
	s_bitcmp1_b32 s15, 8
	s_cselect_b32 s14, -1, 0
	s_ashr_i32 s11, s10, 31
	s_delay_alu instid0(SALU_CYCLE_1) | instskip(NEXT) | instid1(SALU_CYCLE_1)
	s_lshl_b64 s[12:13], s[10:11], 3
	s_add_u32 s8, s8, s12
	s_addc_u32 s9, s9, s13
	s_load_b64 s[12:13], s[8:9], 0x0
	s_bfe_u32 s8, s15, 0x10008
	s_delay_alu instid0(SALU_CYCLE_1)
	s_cmp_eq_u32 s8, 0
                                        ; implicit-def: $sgpr8_sgpr9
	s_cbranch_scc1 .LBB89_3
; %bb.2:
	s_clause 0x1
	s_load_b32 s8, s[2:3], 0x20
	s_load_b64 s[16:17], s[2:3], 0x18
	s_mul_i32 s5, s10, s5
	s_mul_hi_u32 s9, s10, s4
	s_mul_i32 s18, s11, s4
	s_add_i32 s5, s9, s5
	s_mul_i32 s4, s10, s4
	s_add_i32 s5, s5, s18
	s_delay_alu instid0(SALU_CYCLE_1)
	s_lshl_b64 s[4:5], s[4:5], 2
	s_waitcnt lgkmcnt(0)
	s_ashr_i32 s9, s8, 31
	s_add_u32 s16, s16, s4
	s_addc_u32 s17, s17, s5
	s_lshl_b64 s[4:5], s[8:9], 2
	s_delay_alu instid0(SALU_CYCLE_1)
	s_add_u32 s8, s16, s4
	s_addc_u32 s9, s17, s5
.LBB89_3:
	s_load_b64 s[2:3], s[2:3], 0x8
	v_lshlrev_b32_e32 v13, 4, v85
	s_movk_i32 s18, 0xd0
	s_movk_i32 s19, 0xe0
	;; [unrolled: 1-line block ×4, first 2 shown]
	v_add_nc_u32_e64 v90, 0, 16
	v_add_nc_u32_e64 v87, 0, 32
	;; [unrolled: 1-line block ×4, first 2 shown]
	s_waitcnt lgkmcnt(0)
	v_add3_u32 v5, s3, s3, v85
	s_ashr_i32 s5, s2, 31
	s_mov_b32 s4, s2
	s_mov_b32 s16, s3
	s_lshl_b64 s[4:5], s[4:5], 4
	v_add_nc_u32_e32 v7, s3, v5
	v_ashrrev_i32_e32 v6, 31, v5
	s_add_u32 s4, s12, s4
	s_addc_u32 s5, s13, s5
	v_add_co_u32 v33, s2, s4, v13
	v_add_nc_u32_e32 v22, s3, v7
	v_ashrrev_i32_e32 v8, 31, v7
	s_ashr_i32 s17, s3, 31
	v_add_co_ci_u32_e64 v34, null, s5, 0, s2
	v_lshlrev_b64 v[9:10], 4, v[5:6]
	s_lshl_b64 s[12:13], s[16:17], 4
	v_ashrrev_i32_e32 v23, 31, v22
	v_add_co_u32 v35, vcc_lo, v33, s12
	v_lshlrev_b64 v[11:12], 4, v[7:8]
	v_add_co_ci_u32_e32 v36, vcc_lo, s13, v34, vcc_lo
	v_add_co_u32 v37, vcc_lo, s4, v9
	v_lshlrev_b64 v[18:19], 4, v[22:23]
	v_add_co_ci_u32_e32 v38, vcc_lo, s5, v10, vcc_lo
	v_add_co_u32 v39, vcc_lo, s4, v11
	v_add_co_ci_u32_e32 v40, vcc_lo, s5, v12, vcc_lo
	s_delay_alu instid0(VALU_DEP_4)
	v_add_co_u32 v41, vcc_lo, s4, v18
	v_add_co_ci_u32_e32 v42, vcc_lo, s5, v19, vcc_lo
	s_clause 0x4
	global_load_b128 v[1:4], v13, s[4:5]
	global_load_b128 v[5:8], v[35:36], off
	global_load_b128 v[9:12], v[37:38], off
	;; [unrolled: 1-line block ×4, first 2 shown]
	v_add_nc_u32_e32 v22, s3, v22
	s_movk_i32 s2, 0x50
	s_movk_i32 s12, 0x90
	v_add_nc_u32_e64 v104, s2, 0
	s_movk_i32 s2, 0x110
	v_add_nc_u32_e32 v24, s3, v22
	v_ashrrev_i32_e32 v23, 31, v22
	s_movk_i32 s13, 0xa0
	s_movk_i32 s16, 0xb0
	;; [unrolled: 1-line block ×3, first 2 shown]
	v_add_nc_u32_e32 v26, s3, v24
	v_ashrrev_i32_e32 v25, 31, v24
	v_lshlrev_b64 v[22:23], 4, v[22:23]
	v_add_nc_u32_e64 v100, s12, 0
	v_add_nc_u32_e64 v98, s13, 0
	v_add_nc_u32_e32 v28, s3, v26
	v_ashrrev_i32_e32 v27, 31, v26
	v_lshlrev_b64 v[24:25], 4, v[24:25]
	v_add_co_u32 v43, vcc_lo, s4, v22
	s_delay_alu instid0(VALU_DEP_4) | instskip(SKIP_3) | instid1(VALU_DEP_4)
	v_add_nc_u32_e32 v30, s3, v28
	v_ashrrev_i32_e32 v29, 31, v28
	v_add_co_ci_u32_e32 v44, vcc_lo, s5, v23, vcc_lo
	v_lshlrev_b64 v[22:23], 4, v[26:27]
	v_add_nc_u32_e32 v51, s3, v30
	v_ashrrev_i32_e32 v31, 31, v30
	v_add_co_u32 v45, vcc_lo, s4, v24
	v_lshlrev_b64 v[49:50], 4, v[28:29]
	s_delay_alu instid0(VALU_DEP_4)
	v_add_nc_u32_e32 v53, s3, v51
	v_add_co_ci_u32_e32 v46, vcc_lo, s5, v25, vcc_lo
	v_add_co_u32 v47, vcc_lo, s4, v22
	v_lshlrev_b64 v[30:31], 4, v[30:31]
	v_ashrrev_i32_e32 v52, 31, v51
	v_add_nc_u32_e32 v55, s3, v53
	v_add_co_ci_u32_e32 v48, vcc_lo, s5, v23, vcc_lo
	v_add_co_u32 v49, vcc_lo, s4, v49
	v_add_co_ci_u32_e32 v50, vcc_lo, s5, v50, vcc_lo
	v_lshlrev_b64 v[57:58], 4, v[51:52]
	v_add_co_u32 v51, vcc_lo, s4, v30
	v_add_nc_u32_e32 v30, s3, v55
	v_ashrrev_i32_e32 v54, 31, v53
	v_ashrrev_i32_e32 v56, 31, v55
	v_add_co_ci_u32_e32 v52, vcc_lo, s5, v31, vcc_lo
	s_delay_alu instid0(VALU_DEP_4) | instskip(NEXT) | instid1(VALU_DEP_4)
	v_add_nc_u32_e32 v61, s3, v30
	v_lshlrev_b64 v[59:60], 4, v[53:54]
	v_add_co_u32 v53, vcc_lo, s4, v57
	v_ashrrev_i32_e32 v31, 31, v30
	s_delay_alu instid0(VALU_DEP_4)
	v_add_nc_u32_e32 v63, s3, v61
	v_add_co_ci_u32_e32 v54, vcc_lo, s5, v58, vcc_lo
	v_lshlrev_b64 v[57:58], 4, v[55:56]
	v_add_co_u32 v55, vcc_lo, s4, v59
	v_lshlrev_b64 v[30:31], 4, v[30:31]
	v_add_nc_u32_e32 v65, s3, v63
	v_add_co_ci_u32_e32 v56, vcc_lo, s5, v60, vcc_lo
	v_add_co_u32 v57, vcc_lo, s4, v57
	v_add_co_ci_u32_e32 v58, vcc_lo, s5, v58, vcc_lo
	v_add_co_u32 v59, vcc_lo, s4, v30
	v_add_nc_u32_e32 v30, s3, v65
	v_ashrrev_i32_e32 v62, 31, v61
	v_ashrrev_i32_e32 v64, 31, v63
	;; [unrolled: 1-line block ×3, first 2 shown]
	v_add_co_ci_u32_e32 v60, vcc_lo, s5, v31, vcc_lo
	v_add_nc_u32_e32 v67, s3, v30
	v_lshlrev_b64 v[61:62], 4, v[61:62]
	v_lshlrev_b64 v[63:64], 4, v[63:64]
	v_ashrrev_i32_e32 v31, 31, v30
	v_lshlrev_b64 v[65:66], 4, v[65:66]
	v_add_nc_u32_e32 v69, s3, v67
	v_ashrrev_i32_e32 v68, 31, v67
	v_add_co_u32 v61, vcc_lo, s4, v61
	v_add_co_ci_u32_e32 v62, vcc_lo, s5, v62, vcc_lo
	s_delay_alu instid0(VALU_DEP_4) | instskip(SKIP_3) | instid1(VALU_DEP_4)
	v_add_nc_u32_e32 v71, s3, v69
	v_add_co_u32 v63, vcc_lo, s4, v63
	v_lshlrev_b64 v[30:31], 4, v[30:31]
	v_add_co_ci_u32_e32 v64, vcc_lo, s5, v64, vcc_lo
	v_add_nc_u32_e32 v73, s3, v71
	v_add_co_u32 v65, vcc_lo, s4, v65
	v_ashrrev_i32_e32 v70, 31, v69
	v_add_co_ci_u32_e32 v66, vcc_lo, s5, v66, vcc_lo
	s_delay_alu instid0(VALU_DEP_4) | instskip(SKIP_3) | instid1(VALU_DEP_4)
	v_add_nc_u32_e32 v77, s3, v73
	v_lshlrev_b64 v[74:75], 4, v[67:68]
	v_add_co_u32 v67, vcc_lo, s4, v30
	v_add_co_ci_u32_e32 v68, vcc_lo, s5, v31, vcc_lo
	v_add_nc_u32_e32 v79, s3, v77
	v_lshlrev_b64 v[30:31], 4, v[69:70]
	v_ashrrev_i32_e32 v72, 31, v71
	v_add_co_u32 v69, vcc_lo, s4, v74
	s_delay_alu instid0(VALU_DEP_4) | instskip(SKIP_3) | instid1(VALU_DEP_4)
	v_add_nc_u32_e32 v83, s3, v79
	v_ashrrev_i32_e32 v74, 31, v73
	v_add_co_ci_u32_e32 v70, vcc_lo, s5, v75, vcc_lo
	v_lshlrev_b64 v[75:76], 4, v[71:72]
	v_add_nc_u32_e32 v80, s3, v83
	v_add_co_u32 v71, vcc_lo, s4, v30
	v_add_co_ci_u32_e32 v72, vcc_lo, s5, v31, vcc_lo
	s_delay_alu instid0(VALU_DEP_3) | instskip(SKIP_3) | instid1(VALU_DEP_4)
	v_ashrrev_i32_e32 v81, 31, v80
	v_lshlrev_b64 v[30:31], 4, v[73:74]
	v_ashrrev_i32_e32 v78, 31, v77
	v_add_co_u32 v75, vcc_lo, s4, v75
	v_lshlrev_b64 v[73:74], 4, v[80:81]
	v_add_co_ci_u32_e32 v76, vcc_lo, s5, v76, vcc_lo
	v_ashrrev_i32_e32 v80, 31, v79
	v_lshlrev_b64 v[81:82], 4, v[77:78]
	v_ashrrev_i32_e32 v84, 31, v83
	v_add_co_u32 v73, vcc_lo, s4, v73
	v_add_co_ci_u32_e32 v74, vcc_lo, s5, v74, vcc_lo
	v_add_co_u32 v77, vcc_lo, s4, v30
	v_add_co_ci_u32_e32 v78, vcc_lo, s5, v31, vcc_lo
	v_lshlrev_b64 v[30:31], 4, v[79:80]
	v_add_co_u32 v79, vcc_lo, s4, v81
	v_add_co_ci_u32_e32 v80, vcc_lo, s5, v82, vcc_lo
	s_clause 0x1
	global_load_b128 v[22:25], v[43:44], off
	global_load_b128 v[26:29], v[45:46], off
	v_add_co_u32 v81, vcc_lo, s4, v30
	s_clause 0xb
	global_load_b128 v[91:94], v[47:48], off
	global_load_b128 v[105:108], v[49:50], off
	;; [unrolled: 1-line block ×12, first 2 shown]
	v_add_co_ci_u32_e32 v82, vcc_lo, s5, v31, vcc_lo
	v_lshlrev_b64 v[30:31], 4, v[83:84]
	s_clause 0x1
	global_load_b128 v[149:152], v[71:72], off
	global_load_b128 v[153:156], v[73:74], off
	s_movk_i32 s3, 0x60
	v_add_nc_u32_e64 v99, s16, 0
	v_add_nc_u32_e64 v102, s3, 0
	v_add_co_u32 v83, vcc_lo, s4, v30
	v_add_co_ci_u32_e32 v84, vcc_lo, s5, v31, vcc_lo
	s_movk_i32 s3, 0x120
	s_movk_i32 s4, 0x70
	v_add_nc_u32_e64 v88, s3, 0
	s_movk_i32 s3, 0x140
	s_movk_i32 s5, 0x80
	v_add_nc_u32_e64 v103, s4, 0
	v_add_nc_u32_e64 v101, s5, 0
	s_bitcmp0_b32 s15, 0
	s_waitcnt vmcnt(20)
	scratch_store_b128 off, v[1:4], off
	s_waitcnt vmcnt(19)
	scratch_store_b128 off, v[5:8], off offset:16
	s_clause 0x1
	global_load_b128 v[1:4], v[75:76], off
	global_load_b128 v[5:8], v[77:78], off
	s_waitcnt vmcnt(20)
	scratch_store_b128 off, v[9:12], off offset:32
	s_waitcnt vmcnt(19)
	scratch_store_b128 off, v[14:17], off offset:48
	s_clause 0x1
	global_load_b128 v[9:12], v[79:80], off
	global_load_b128 v[14:17], v[81:82], off
	s_waitcnt vmcnt(20)
	scratch_store_b128 off, v[18:21], off offset:64
	global_load_b128 v[18:21], v[83:84], off
	s_waitcnt vmcnt(20)
	scratch_store_b128 off, v[22:25], off offset:80
	s_waitcnt vmcnt(19)
	scratch_store_b128 off, v[26:29], off offset:96
	;; [unrolled: 2-line block ×15, first 2 shown]
	v_add_nc_u32_e64 v106, s2, 0
	s_movk_i32 s2, 0x130
	v_add_nc_u32_e64 v91, s3, 0
	v_add_nc_u32_e64 v94, s2, 0
	s_movk_i32 s2, 0x150
	s_movk_i32 s3, 0x160
	v_add_nc_u32_e64 v93, s2, 0
	s_movk_i32 s2, 0x170
	v_add_nc_u32_e64 v92, s3, 0
	v_add_nc_u32_e64 v95, s2, 0
	s_movk_i32 s2, 0x180
	s_movk_i32 s3, 0x190
	v_add_nc_u32_e64 v110, s17, 0
	v_add_nc_u32_e64 v109, s18, 0
	;; [unrolled: 1-line block ×7, first 2 shown]
	s_mov_b32 s3, -1
	s_waitcnt vmcnt(4)
	scratch_store_b128 off, v[1:4], off offset:320
	s_waitcnt vmcnt(3)
	scratch_store_b128 off, v[5:8], off offset:336
	;; [unrolled: 2-line block ×4, first 2 shown]
	s_waitcnt vmcnt(0)
	s_clause 0x1
	scratch_store_b128 off, v[18:21], off offset:384
	scratch_store_b128 off, v[153:156], off offset:400
	s_cbranch_scc1 .LBB89_116
; %bb.4:
	v_cmp_eq_u32_e64 s2, 0, v85
	s_delay_alu instid0(VALU_DEP_1)
	s_and_saveexec_b32 s3, s2
	s_cbranch_execz .LBB89_6
; %bb.5:
	v_mov_b32_e32 v1, 0
	ds_store_b32 v1, v1 offset:832
.LBB89_6:
	s_or_b32 exec_lo, exec_lo, s3
	s_waitcnt lgkmcnt(0)
	s_waitcnt_vscnt null, 0x0
	s_barrier
	buffer_gl0_inv
	scratch_load_b128 v[1:4], v13, off
	s_waitcnt vmcnt(0)
	v_cmp_eq_f64_e32 vcc_lo, 0, v[1:2]
	v_cmp_eq_f64_e64 s3, 0, v[3:4]
	s_delay_alu instid0(VALU_DEP_1) | instskip(NEXT) | instid1(SALU_CYCLE_1)
	s_and_b32 s3, vcc_lo, s3
	s_and_saveexec_b32 s4, s3
	s_cbranch_execz .LBB89_10
; %bb.7:
	v_mov_b32_e32 v1, 0
	s_mov_b32 s5, 0
	ds_load_b32 v2, v1 offset:832
	s_waitcnt lgkmcnt(0)
	v_readfirstlane_b32 s3, v2
	v_add_nc_u32_e32 v2, 1, v85
	s_delay_alu instid0(VALU_DEP_2) | instskip(NEXT) | instid1(VALU_DEP_1)
	s_cmp_eq_u32 s3, 0
	v_cmp_gt_i32_e32 vcc_lo, s3, v2
	s_cselect_b32 s12, -1, 0
	s_delay_alu instid0(SALU_CYCLE_1) | instskip(NEXT) | instid1(SALU_CYCLE_1)
	s_or_b32 s12, s12, vcc_lo
	s_and_b32 exec_lo, exec_lo, s12
	s_cbranch_execz .LBB89_10
; %bb.8:
	v_mov_b32_e32 v3, s3
.LBB89_9:                               ; =>This Inner Loop Header: Depth=1
	ds_cmpstore_rtn_b32 v3, v1, v2, v3 offset:832
	s_waitcnt lgkmcnt(0)
	v_cmp_ne_u32_e32 vcc_lo, 0, v3
	v_cmp_le_i32_e64 s3, v3, v2
	s_delay_alu instid0(VALU_DEP_1) | instskip(NEXT) | instid1(SALU_CYCLE_1)
	s_and_b32 s3, vcc_lo, s3
	s_and_b32 s3, exec_lo, s3
	s_delay_alu instid0(SALU_CYCLE_1) | instskip(NEXT) | instid1(SALU_CYCLE_1)
	s_or_b32 s5, s3, s5
	s_and_not1_b32 exec_lo, exec_lo, s5
	s_cbranch_execnz .LBB89_9
.LBB89_10:
	s_or_b32 exec_lo, exec_lo, s4
	v_mov_b32_e32 v1, 0
	s_barrier
	buffer_gl0_inv
	ds_load_b32 v2, v1 offset:832
	s_and_saveexec_b32 s3, s2
	s_cbranch_execz .LBB89_12
; %bb.11:
	s_lshl_b64 s[4:5], s[10:11], 2
	s_delay_alu instid0(SALU_CYCLE_1)
	s_add_u32 s4, s6, s4
	s_addc_u32 s5, s7, s5
	s_waitcnt lgkmcnt(0)
	global_store_b32 v1, v2, s[4:5]
.LBB89_12:
	s_or_b32 exec_lo, exec_lo, s3
	s_waitcnt lgkmcnt(0)
	v_cmp_ne_u32_e32 vcc_lo, 0, v2
	s_mov_b32 s3, 0
	s_cbranch_vccnz .LBB89_116
; %bb.13:
	v_add_nc_u32_e32 v14, 0, v13
                                        ; implicit-def: $vgpr9_vgpr10
	scratch_load_b128 v[1:4], v14, off
	s_waitcnt vmcnt(0)
	v_mov_b32_e32 v5, v1
	v_cmp_gt_f64_e32 vcc_lo, 0, v[1:2]
	v_xor_b32_e32 v6, 0x80000000, v2
	v_xor_b32_e32 v7, 0x80000000, v4
	s_delay_alu instid0(VALU_DEP_2) | instskip(SKIP_1) | instid1(VALU_DEP_3)
	v_cndmask_b32_e32 v6, v2, v6, vcc_lo
	v_cmp_gt_f64_e32 vcc_lo, 0, v[3:4]
	v_dual_cndmask_b32 v8, v4, v7 :: v_dual_mov_b32 v7, v3
	s_delay_alu instid0(VALU_DEP_1) | instskip(SKIP_1) | instid1(SALU_CYCLE_1)
	v_cmp_ngt_f64_e32 vcc_lo, v[5:6], v[7:8]
                                        ; implicit-def: $vgpr5_vgpr6
	s_and_saveexec_b32 s3, vcc_lo
	s_xor_b32 s3, exec_lo, s3
	s_cbranch_execz .LBB89_15
; %bb.14:
	v_div_scale_f64 v[5:6], null, v[3:4], v[3:4], v[1:2]
	v_div_scale_f64 v[11:12], vcc_lo, v[1:2], v[3:4], v[1:2]
	s_delay_alu instid0(VALU_DEP_2) | instskip(SKIP_2) | instid1(VALU_DEP_1)
	v_rcp_f64_e32 v[7:8], v[5:6]
	s_waitcnt_depctr 0xfff
	v_fma_f64 v[9:10], -v[5:6], v[7:8], 1.0
	v_fma_f64 v[7:8], v[7:8], v[9:10], v[7:8]
	s_delay_alu instid0(VALU_DEP_1) | instskip(NEXT) | instid1(VALU_DEP_1)
	v_fma_f64 v[9:10], -v[5:6], v[7:8], 1.0
	v_fma_f64 v[7:8], v[7:8], v[9:10], v[7:8]
	s_delay_alu instid0(VALU_DEP_1) | instskip(NEXT) | instid1(VALU_DEP_1)
	v_mul_f64 v[9:10], v[11:12], v[7:8]
	v_fma_f64 v[5:6], -v[5:6], v[9:10], v[11:12]
	s_delay_alu instid0(VALU_DEP_1) | instskip(NEXT) | instid1(VALU_DEP_1)
	v_div_fmas_f64 v[5:6], v[5:6], v[7:8], v[9:10]
	v_div_fixup_f64 v[5:6], v[5:6], v[3:4], v[1:2]
	s_delay_alu instid0(VALU_DEP_1) | instskip(NEXT) | instid1(VALU_DEP_1)
	v_fma_f64 v[1:2], v[1:2], v[5:6], v[3:4]
	v_div_scale_f64 v[3:4], null, v[1:2], v[1:2], 1.0
	v_div_scale_f64 v[11:12], vcc_lo, 1.0, v[1:2], 1.0
	s_delay_alu instid0(VALU_DEP_2) | instskip(SKIP_2) | instid1(VALU_DEP_1)
	v_rcp_f64_e32 v[7:8], v[3:4]
	s_waitcnt_depctr 0xfff
	v_fma_f64 v[9:10], -v[3:4], v[7:8], 1.0
	v_fma_f64 v[7:8], v[7:8], v[9:10], v[7:8]
	s_delay_alu instid0(VALU_DEP_1) | instskip(NEXT) | instid1(VALU_DEP_1)
	v_fma_f64 v[9:10], -v[3:4], v[7:8], 1.0
	v_fma_f64 v[7:8], v[7:8], v[9:10], v[7:8]
	s_delay_alu instid0(VALU_DEP_1) | instskip(NEXT) | instid1(VALU_DEP_1)
	v_mul_f64 v[9:10], v[11:12], v[7:8]
	v_fma_f64 v[3:4], -v[3:4], v[9:10], v[11:12]
	s_delay_alu instid0(VALU_DEP_1) | instskip(NEXT) | instid1(VALU_DEP_1)
	v_div_fmas_f64 v[3:4], v[3:4], v[7:8], v[9:10]
	v_div_fixup_f64 v[7:8], v[3:4], v[1:2], 1.0
                                        ; implicit-def: $vgpr1_vgpr2
	s_delay_alu instid0(VALU_DEP_1) | instskip(SKIP_1) | instid1(VALU_DEP_2)
	v_mul_f64 v[5:6], v[5:6], v[7:8]
	v_xor_b32_e32 v8, 0x80000000, v8
	v_xor_b32_e32 v10, 0x80000000, v6
	s_delay_alu instid0(VALU_DEP_3)
	v_mov_b32_e32 v9, v5
.LBB89_15:
	s_and_not1_saveexec_b32 s3, s3
	s_cbranch_execz .LBB89_17
; %bb.16:
	v_div_scale_f64 v[5:6], null, v[1:2], v[1:2], v[3:4]
	v_div_scale_f64 v[11:12], vcc_lo, v[3:4], v[1:2], v[3:4]
	s_delay_alu instid0(VALU_DEP_2) | instskip(SKIP_2) | instid1(VALU_DEP_1)
	v_rcp_f64_e32 v[7:8], v[5:6]
	s_waitcnt_depctr 0xfff
	v_fma_f64 v[9:10], -v[5:6], v[7:8], 1.0
	v_fma_f64 v[7:8], v[7:8], v[9:10], v[7:8]
	s_delay_alu instid0(VALU_DEP_1) | instskip(NEXT) | instid1(VALU_DEP_1)
	v_fma_f64 v[9:10], -v[5:6], v[7:8], 1.0
	v_fma_f64 v[7:8], v[7:8], v[9:10], v[7:8]
	s_delay_alu instid0(VALU_DEP_1) | instskip(NEXT) | instid1(VALU_DEP_1)
	v_mul_f64 v[9:10], v[11:12], v[7:8]
	v_fma_f64 v[5:6], -v[5:6], v[9:10], v[11:12]
	s_delay_alu instid0(VALU_DEP_1) | instskip(NEXT) | instid1(VALU_DEP_1)
	v_div_fmas_f64 v[5:6], v[5:6], v[7:8], v[9:10]
	v_div_fixup_f64 v[7:8], v[5:6], v[1:2], v[3:4]
	s_delay_alu instid0(VALU_DEP_1) | instskip(NEXT) | instid1(VALU_DEP_1)
	v_fma_f64 v[1:2], v[3:4], v[7:8], v[1:2]
	v_div_scale_f64 v[3:4], null, v[1:2], v[1:2], 1.0
	s_delay_alu instid0(VALU_DEP_1) | instskip(SKIP_2) | instid1(VALU_DEP_1)
	v_rcp_f64_e32 v[5:6], v[3:4]
	s_waitcnt_depctr 0xfff
	v_fma_f64 v[9:10], -v[3:4], v[5:6], 1.0
	v_fma_f64 v[5:6], v[5:6], v[9:10], v[5:6]
	s_delay_alu instid0(VALU_DEP_1) | instskip(NEXT) | instid1(VALU_DEP_1)
	v_fma_f64 v[9:10], -v[3:4], v[5:6], 1.0
	v_fma_f64 v[5:6], v[5:6], v[9:10], v[5:6]
	v_div_scale_f64 v[9:10], vcc_lo, 1.0, v[1:2], 1.0
	s_delay_alu instid0(VALU_DEP_1) | instskip(NEXT) | instid1(VALU_DEP_1)
	v_mul_f64 v[11:12], v[9:10], v[5:6]
	v_fma_f64 v[3:4], -v[3:4], v[11:12], v[9:10]
	s_delay_alu instid0(VALU_DEP_1) | instskip(NEXT) | instid1(VALU_DEP_1)
	v_div_fmas_f64 v[3:4], v[3:4], v[5:6], v[11:12]
	v_div_fixup_f64 v[5:6], v[3:4], v[1:2], 1.0
	s_delay_alu instid0(VALU_DEP_1)
	v_mul_f64 v[7:8], v[7:8], -v[5:6]
	v_xor_b32_e32 v10, 0x80000000, v6
	v_mov_b32_e32 v9, v5
.LBB89_17:
	s_or_b32 exec_lo, exec_lo, s3
	scratch_store_b128 v14, v[5:8], off
	scratch_load_b128 v[1:4], v90, off
	v_xor_b32_e32 v12, 0x80000000, v8
	v_mov_b32_e32 v11, v7
	v_add_nc_u32_e32 v5, 0x1a0, v13
	ds_store_b128 v13, v[9:12]
	s_waitcnt vmcnt(0)
	ds_store_b128 v13, v[1:4] offset:416
	s_waitcnt lgkmcnt(0)
	s_waitcnt_vscnt null, 0x0
	s_barrier
	buffer_gl0_inv
	s_and_saveexec_b32 s3, s2
	s_cbranch_execz .LBB89_19
; %bb.18:
	scratch_load_b128 v[1:4], v14, off
	ds_load_b128 v[6:9], v5
	v_mov_b32_e32 v10, 0
	ds_load_b128 v[15:18], v10 offset:16
	s_waitcnt vmcnt(0) lgkmcnt(1)
	v_mul_f64 v[10:11], v[6:7], v[3:4]
	v_mul_f64 v[3:4], v[8:9], v[3:4]
	s_delay_alu instid0(VALU_DEP_2) | instskip(NEXT) | instid1(VALU_DEP_2)
	v_fma_f64 v[8:9], v[8:9], v[1:2], v[10:11]
	v_fma_f64 v[1:2], v[6:7], v[1:2], -v[3:4]
	s_delay_alu instid0(VALU_DEP_2) | instskip(NEXT) | instid1(VALU_DEP_2)
	v_add_f64 v[3:4], v[8:9], 0
	v_add_f64 v[1:2], v[1:2], 0
	s_waitcnt lgkmcnt(0)
	s_delay_alu instid0(VALU_DEP_2) | instskip(NEXT) | instid1(VALU_DEP_2)
	v_mul_f64 v[6:7], v[3:4], v[17:18]
	v_mul_f64 v[8:9], v[1:2], v[17:18]
	s_delay_alu instid0(VALU_DEP_2) | instskip(NEXT) | instid1(VALU_DEP_2)
	v_fma_f64 v[1:2], v[1:2], v[15:16], -v[6:7]
	v_fma_f64 v[3:4], v[3:4], v[15:16], v[8:9]
	scratch_store_b128 off, v[1:4], off offset:16
.LBB89_19:
	s_or_b32 exec_lo, exec_lo, s3
	s_waitcnt_vscnt null, 0x0
	s_barrier
	buffer_gl0_inv
	scratch_load_b128 v[1:4], v87, off
	s_mov_b32 s3, exec_lo
	s_waitcnt vmcnt(0)
	ds_store_b128 v5, v[1:4]
	s_waitcnt lgkmcnt(0)
	s_barrier
	buffer_gl0_inv
	v_cmpx_gt_u32_e32 2, v85
	s_cbranch_execz .LBB89_23
; %bb.20:
	scratch_load_b128 v[1:4], v14, off
	ds_load_b128 v[6:9], v5
	s_waitcnt vmcnt(0) lgkmcnt(0)
	v_mul_f64 v[10:11], v[8:9], v[3:4]
	v_mul_f64 v[3:4], v[6:7], v[3:4]
	s_delay_alu instid0(VALU_DEP_2) | instskip(NEXT) | instid1(VALU_DEP_2)
	v_fma_f64 v[6:7], v[6:7], v[1:2], -v[10:11]
	v_fma_f64 v[3:4], v[8:9], v[1:2], v[3:4]
	s_delay_alu instid0(VALU_DEP_2) | instskip(NEXT) | instid1(VALU_DEP_2)
	v_add_f64 v[1:2], v[6:7], 0
	v_add_f64 v[3:4], v[3:4], 0
	s_and_saveexec_b32 s4, s2
	s_cbranch_execz .LBB89_22
; %bb.21:
	scratch_load_b128 v[6:9], off, off offset:16
	v_mov_b32_e32 v10, 0
	ds_load_b128 v[15:18], v10 offset:432
	s_waitcnt vmcnt(0) lgkmcnt(0)
	v_mul_f64 v[10:11], v[15:16], v[8:9]
	v_mul_f64 v[8:9], v[17:18], v[8:9]
	s_delay_alu instid0(VALU_DEP_2) | instskip(NEXT) | instid1(VALU_DEP_2)
	v_fma_f64 v[10:11], v[17:18], v[6:7], v[10:11]
	v_fma_f64 v[6:7], v[15:16], v[6:7], -v[8:9]
	s_delay_alu instid0(VALU_DEP_2) | instskip(NEXT) | instid1(VALU_DEP_2)
	v_add_f64 v[3:4], v[3:4], v[10:11]
	v_add_f64 v[1:2], v[1:2], v[6:7]
.LBB89_22:
	s_or_b32 exec_lo, exec_lo, s4
	v_mov_b32_e32 v6, 0
	ds_load_b128 v[6:9], v6 offset:32
	s_waitcnt lgkmcnt(0)
	v_mul_f64 v[10:11], v[3:4], v[8:9]
	v_mul_f64 v[8:9], v[1:2], v[8:9]
	s_delay_alu instid0(VALU_DEP_2) | instskip(NEXT) | instid1(VALU_DEP_2)
	v_fma_f64 v[1:2], v[1:2], v[6:7], -v[10:11]
	v_fma_f64 v[3:4], v[3:4], v[6:7], v[8:9]
	scratch_store_b128 off, v[1:4], off offset:32
.LBB89_23:
	s_or_b32 exec_lo, exec_lo, s3
	s_waitcnt_vscnt null, 0x0
	s_barrier
	buffer_gl0_inv
	scratch_load_b128 v[1:4], v89, off
	v_add_nc_u32_e32 v6, -1, v85
	s_mov_b32 s2, exec_lo
	s_waitcnt vmcnt(0)
	ds_store_b128 v5, v[1:4]
	s_waitcnt lgkmcnt(0)
	s_barrier
	buffer_gl0_inv
	v_cmpx_gt_u32_e32 3, v85
	s_cbranch_execz .LBB89_27
; %bb.24:
	v_dual_mov_b32 v1, 0 :: v_dual_add_nc_u32 v8, 0x1a0, v13
	v_dual_mov_b32 v2, 0 :: v_dual_add_nc_u32 v7, -1, v85
	v_or_b32_e32 v9, 8, v14
	s_mov_b32 s3, 0
	s_delay_alu instid0(VALU_DEP_2)
	v_dual_mov_b32 v4, v2 :: v_dual_mov_b32 v3, v1
	.p2align	6
.LBB89_25:                              ; =>This Inner Loop Header: Depth=1
	scratch_load_b128 v[15:18], v9, off offset:-8
	ds_load_b128 v[19:22], v8
	v_add_nc_u32_e32 v7, 1, v7
	v_add_nc_u32_e32 v8, 16, v8
	;; [unrolled: 1-line block ×3, first 2 shown]
	s_delay_alu instid0(VALU_DEP_3) | instskip(SKIP_4) | instid1(VALU_DEP_2)
	v_cmp_lt_u32_e32 vcc_lo, 1, v7
	s_or_b32 s3, vcc_lo, s3
	s_waitcnt vmcnt(0) lgkmcnt(0)
	v_mul_f64 v[10:11], v[21:22], v[17:18]
	v_mul_f64 v[17:18], v[19:20], v[17:18]
	v_fma_f64 v[10:11], v[19:20], v[15:16], -v[10:11]
	s_delay_alu instid0(VALU_DEP_2) | instskip(NEXT) | instid1(VALU_DEP_2)
	v_fma_f64 v[15:16], v[21:22], v[15:16], v[17:18]
	v_add_f64 v[3:4], v[3:4], v[10:11]
	s_delay_alu instid0(VALU_DEP_2)
	v_add_f64 v[1:2], v[1:2], v[15:16]
	s_and_not1_b32 exec_lo, exec_lo, s3
	s_cbranch_execnz .LBB89_25
; %bb.26:
	s_or_b32 exec_lo, exec_lo, s3
	v_mov_b32_e32 v7, 0
	ds_load_b128 v[7:10], v7 offset:48
	s_waitcnt lgkmcnt(0)
	v_mul_f64 v[11:12], v[1:2], v[9:10]
	v_mul_f64 v[15:16], v[3:4], v[9:10]
	s_delay_alu instid0(VALU_DEP_2) | instskip(NEXT) | instid1(VALU_DEP_2)
	v_fma_f64 v[9:10], v[3:4], v[7:8], -v[11:12]
	v_fma_f64 v[11:12], v[1:2], v[7:8], v[15:16]
	scratch_store_b128 off, v[9:12], off offset:48
.LBB89_27:
	s_or_b32 exec_lo, exec_lo, s2
	s_waitcnt_vscnt null, 0x0
	s_barrier
	buffer_gl0_inv
	scratch_load_b128 v[1:4], v86, off
	s_mov_b32 s2, exec_lo
	s_waitcnt vmcnt(0)
	ds_store_b128 v5, v[1:4]
	s_waitcnt lgkmcnt(0)
	s_barrier
	buffer_gl0_inv
	v_cmpx_gt_u32_e32 4, v85
	s_cbranch_execz .LBB89_31
; %bb.28:
	v_dual_mov_b32 v1, 0 :: v_dual_add_nc_u32 v8, 0x1a0, v13
	v_dual_mov_b32 v2, 0 :: v_dual_add_nc_u32 v7, -1, v85
	v_or_b32_e32 v9, 8, v14
	s_mov_b32 s3, 0
	s_delay_alu instid0(VALU_DEP_2)
	v_dual_mov_b32 v4, v2 :: v_dual_mov_b32 v3, v1
	.p2align	6
.LBB89_29:                              ; =>This Inner Loop Header: Depth=1
	scratch_load_b128 v[15:18], v9, off offset:-8
	ds_load_b128 v[19:22], v8
	v_add_nc_u32_e32 v7, 1, v7
	v_add_nc_u32_e32 v8, 16, v8
	;; [unrolled: 1-line block ×3, first 2 shown]
	s_delay_alu instid0(VALU_DEP_3) | instskip(SKIP_4) | instid1(VALU_DEP_2)
	v_cmp_lt_u32_e32 vcc_lo, 2, v7
	s_or_b32 s3, vcc_lo, s3
	s_waitcnt vmcnt(0) lgkmcnt(0)
	v_mul_f64 v[10:11], v[21:22], v[17:18]
	v_mul_f64 v[17:18], v[19:20], v[17:18]
	v_fma_f64 v[10:11], v[19:20], v[15:16], -v[10:11]
	s_delay_alu instid0(VALU_DEP_2) | instskip(NEXT) | instid1(VALU_DEP_2)
	v_fma_f64 v[15:16], v[21:22], v[15:16], v[17:18]
	v_add_f64 v[3:4], v[3:4], v[10:11]
	s_delay_alu instid0(VALU_DEP_2)
	v_add_f64 v[1:2], v[1:2], v[15:16]
	s_and_not1_b32 exec_lo, exec_lo, s3
	s_cbranch_execnz .LBB89_29
; %bb.30:
	s_or_b32 exec_lo, exec_lo, s3
	v_mov_b32_e32 v7, 0
	ds_load_b128 v[7:10], v7 offset:64
	s_waitcnt lgkmcnt(0)
	v_mul_f64 v[11:12], v[1:2], v[9:10]
	v_mul_f64 v[15:16], v[3:4], v[9:10]
	s_delay_alu instid0(VALU_DEP_2) | instskip(NEXT) | instid1(VALU_DEP_2)
	v_fma_f64 v[9:10], v[3:4], v[7:8], -v[11:12]
	v_fma_f64 v[11:12], v[1:2], v[7:8], v[15:16]
	scratch_store_b128 off, v[9:12], off offset:64
.LBB89_31:
	s_or_b32 exec_lo, exec_lo, s2
	s_waitcnt_vscnt null, 0x0
	s_barrier
	buffer_gl0_inv
	scratch_load_b128 v[1:4], v104, off
	s_mov_b32 s2, exec_lo
	s_waitcnt vmcnt(0)
	ds_store_b128 v5, v[1:4]
	s_waitcnt lgkmcnt(0)
	s_barrier
	buffer_gl0_inv
	v_cmpx_gt_u32_e32 5, v85
	s_cbranch_execz .LBB89_35
; %bb.32:
	v_dual_mov_b32 v1, 0 :: v_dual_add_nc_u32 v8, 0x1a0, v13
	v_dual_mov_b32 v2, 0 :: v_dual_add_nc_u32 v7, -1, v85
	v_or_b32_e32 v9, 8, v14
	s_mov_b32 s3, 0
	s_delay_alu instid0(VALU_DEP_2)
	v_dual_mov_b32 v4, v2 :: v_dual_mov_b32 v3, v1
	.p2align	6
.LBB89_33:                              ; =>This Inner Loop Header: Depth=1
	scratch_load_b128 v[15:18], v9, off offset:-8
	ds_load_b128 v[19:22], v8
	v_add_nc_u32_e32 v7, 1, v7
	v_add_nc_u32_e32 v8, 16, v8
	;; [unrolled: 1-line block ×3, first 2 shown]
	s_delay_alu instid0(VALU_DEP_3) | instskip(SKIP_4) | instid1(VALU_DEP_2)
	v_cmp_lt_u32_e32 vcc_lo, 3, v7
	s_or_b32 s3, vcc_lo, s3
	s_waitcnt vmcnt(0) lgkmcnt(0)
	v_mul_f64 v[10:11], v[21:22], v[17:18]
	v_mul_f64 v[17:18], v[19:20], v[17:18]
	v_fma_f64 v[10:11], v[19:20], v[15:16], -v[10:11]
	s_delay_alu instid0(VALU_DEP_2) | instskip(NEXT) | instid1(VALU_DEP_2)
	v_fma_f64 v[15:16], v[21:22], v[15:16], v[17:18]
	v_add_f64 v[3:4], v[3:4], v[10:11]
	s_delay_alu instid0(VALU_DEP_2)
	v_add_f64 v[1:2], v[1:2], v[15:16]
	s_and_not1_b32 exec_lo, exec_lo, s3
	s_cbranch_execnz .LBB89_33
; %bb.34:
	s_or_b32 exec_lo, exec_lo, s3
	v_mov_b32_e32 v7, 0
	ds_load_b128 v[7:10], v7 offset:80
	s_waitcnt lgkmcnt(0)
	v_mul_f64 v[11:12], v[1:2], v[9:10]
	v_mul_f64 v[15:16], v[3:4], v[9:10]
	s_delay_alu instid0(VALU_DEP_2) | instskip(NEXT) | instid1(VALU_DEP_2)
	v_fma_f64 v[9:10], v[3:4], v[7:8], -v[11:12]
	v_fma_f64 v[11:12], v[1:2], v[7:8], v[15:16]
	scratch_store_b128 off, v[9:12], off offset:80
.LBB89_35:
	s_or_b32 exec_lo, exec_lo, s2
	s_waitcnt_vscnt null, 0x0
	s_barrier
	buffer_gl0_inv
	scratch_load_b128 v[1:4], v102, off
	s_mov_b32 s2, exec_lo
	s_waitcnt vmcnt(0)
	ds_store_b128 v5, v[1:4]
	s_waitcnt lgkmcnt(0)
	s_barrier
	buffer_gl0_inv
	v_cmpx_gt_u32_e32 6, v85
	s_cbranch_execz .LBB89_39
; %bb.36:
	v_dual_mov_b32 v1, 0 :: v_dual_add_nc_u32 v8, 0x1a0, v13
	v_dual_mov_b32 v2, 0 :: v_dual_add_nc_u32 v7, -1, v85
	v_or_b32_e32 v9, 8, v14
	s_mov_b32 s3, 0
	s_delay_alu instid0(VALU_DEP_2)
	v_dual_mov_b32 v4, v2 :: v_dual_mov_b32 v3, v1
	.p2align	6
.LBB89_37:                              ; =>This Inner Loop Header: Depth=1
	scratch_load_b128 v[15:18], v9, off offset:-8
	ds_load_b128 v[19:22], v8
	v_add_nc_u32_e32 v7, 1, v7
	v_add_nc_u32_e32 v8, 16, v8
	;; [unrolled: 1-line block ×3, first 2 shown]
	s_delay_alu instid0(VALU_DEP_3) | instskip(SKIP_4) | instid1(VALU_DEP_2)
	v_cmp_lt_u32_e32 vcc_lo, 4, v7
	s_or_b32 s3, vcc_lo, s3
	s_waitcnt vmcnt(0) lgkmcnt(0)
	v_mul_f64 v[10:11], v[21:22], v[17:18]
	v_mul_f64 v[17:18], v[19:20], v[17:18]
	v_fma_f64 v[10:11], v[19:20], v[15:16], -v[10:11]
	s_delay_alu instid0(VALU_DEP_2) | instskip(NEXT) | instid1(VALU_DEP_2)
	v_fma_f64 v[15:16], v[21:22], v[15:16], v[17:18]
	v_add_f64 v[3:4], v[3:4], v[10:11]
	s_delay_alu instid0(VALU_DEP_2)
	v_add_f64 v[1:2], v[1:2], v[15:16]
	s_and_not1_b32 exec_lo, exec_lo, s3
	s_cbranch_execnz .LBB89_37
; %bb.38:
	s_or_b32 exec_lo, exec_lo, s3
	v_mov_b32_e32 v7, 0
	ds_load_b128 v[7:10], v7 offset:96
	s_waitcnt lgkmcnt(0)
	v_mul_f64 v[11:12], v[1:2], v[9:10]
	v_mul_f64 v[15:16], v[3:4], v[9:10]
	s_delay_alu instid0(VALU_DEP_2) | instskip(NEXT) | instid1(VALU_DEP_2)
	v_fma_f64 v[9:10], v[3:4], v[7:8], -v[11:12]
	v_fma_f64 v[11:12], v[1:2], v[7:8], v[15:16]
	scratch_store_b128 off, v[9:12], off offset:96
.LBB89_39:
	s_or_b32 exec_lo, exec_lo, s2
	s_waitcnt_vscnt null, 0x0
	s_barrier
	buffer_gl0_inv
	scratch_load_b128 v[1:4], v103, off
	s_mov_b32 s2, exec_lo
	s_waitcnt vmcnt(0)
	ds_store_b128 v5, v[1:4]
	s_waitcnt lgkmcnt(0)
	s_barrier
	buffer_gl0_inv
	v_cmpx_gt_u32_e32 7, v85
	s_cbranch_execz .LBB89_43
; %bb.40:
	v_dual_mov_b32 v1, 0 :: v_dual_add_nc_u32 v8, 0x1a0, v13
	v_dual_mov_b32 v2, 0 :: v_dual_add_nc_u32 v7, -1, v85
	v_or_b32_e32 v9, 8, v14
	s_mov_b32 s3, 0
	s_delay_alu instid0(VALU_DEP_2)
	v_dual_mov_b32 v4, v2 :: v_dual_mov_b32 v3, v1
	.p2align	6
.LBB89_41:                              ; =>This Inner Loop Header: Depth=1
	scratch_load_b128 v[15:18], v9, off offset:-8
	ds_load_b128 v[19:22], v8
	v_add_nc_u32_e32 v7, 1, v7
	v_add_nc_u32_e32 v8, 16, v8
	;; [unrolled: 1-line block ×3, first 2 shown]
	s_delay_alu instid0(VALU_DEP_3) | instskip(SKIP_4) | instid1(VALU_DEP_2)
	v_cmp_lt_u32_e32 vcc_lo, 5, v7
	s_or_b32 s3, vcc_lo, s3
	s_waitcnt vmcnt(0) lgkmcnt(0)
	v_mul_f64 v[10:11], v[21:22], v[17:18]
	v_mul_f64 v[17:18], v[19:20], v[17:18]
	v_fma_f64 v[10:11], v[19:20], v[15:16], -v[10:11]
	s_delay_alu instid0(VALU_DEP_2) | instskip(NEXT) | instid1(VALU_DEP_2)
	v_fma_f64 v[15:16], v[21:22], v[15:16], v[17:18]
	v_add_f64 v[3:4], v[3:4], v[10:11]
	s_delay_alu instid0(VALU_DEP_2)
	v_add_f64 v[1:2], v[1:2], v[15:16]
	s_and_not1_b32 exec_lo, exec_lo, s3
	s_cbranch_execnz .LBB89_41
; %bb.42:
	s_or_b32 exec_lo, exec_lo, s3
	v_mov_b32_e32 v7, 0
	ds_load_b128 v[7:10], v7 offset:112
	s_waitcnt lgkmcnt(0)
	v_mul_f64 v[11:12], v[1:2], v[9:10]
	v_mul_f64 v[15:16], v[3:4], v[9:10]
	s_delay_alu instid0(VALU_DEP_2) | instskip(NEXT) | instid1(VALU_DEP_2)
	v_fma_f64 v[9:10], v[3:4], v[7:8], -v[11:12]
	v_fma_f64 v[11:12], v[1:2], v[7:8], v[15:16]
	scratch_store_b128 off, v[9:12], off offset:112
.LBB89_43:
	s_or_b32 exec_lo, exec_lo, s2
	s_waitcnt_vscnt null, 0x0
	s_barrier
	buffer_gl0_inv
	scratch_load_b128 v[1:4], v101, off
	s_mov_b32 s2, exec_lo
	s_waitcnt vmcnt(0)
	ds_store_b128 v5, v[1:4]
	s_waitcnt lgkmcnt(0)
	s_barrier
	buffer_gl0_inv
	v_cmpx_gt_u32_e32 8, v85
	s_cbranch_execz .LBB89_47
; %bb.44:
	v_dual_mov_b32 v1, 0 :: v_dual_add_nc_u32 v8, 0x1a0, v13
	v_dual_mov_b32 v2, 0 :: v_dual_add_nc_u32 v7, -1, v85
	v_or_b32_e32 v9, 8, v14
	s_mov_b32 s3, 0
	s_delay_alu instid0(VALU_DEP_2)
	v_dual_mov_b32 v4, v2 :: v_dual_mov_b32 v3, v1
	.p2align	6
.LBB89_45:                              ; =>This Inner Loop Header: Depth=1
	scratch_load_b128 v[15:18], v9, off offset:-8
	ds_load_b128 v[19:22], v8
	v_add_nc_u32_e32 v7, 1, v7
	v_add_nc_u32_e32 v8, 16, v8
	;; [unrolled: 1-line block ×3, first 2 shown]
	s_delay_alu instid0(VALU_DEP_3) | instskip(SKIP_4) | instid1(VALU_DEP_2)
	v_cmp_lt_u32_e32 vcc_lo, 6, v7
	s_or_b32 s3, vcc_lo, s3
	s_waitcnt vmcnt(0) lgkmcnt(0)
	v_mul_f64 v[10:11], v[21:22], v[17:18]
	v_mul_f64 v[17:18], v[19:20], v[17:18]
	v_fma_f64 v[10:11], v[19:20], v[15:16], -v[10:11]
	s_delay_alu instid0(VALU_DEP_2) | instskip(NEXT) | instid1(VALU_DEP_2)
	v_fma_f64 v[15:16], v[21:22], v[15:16], v[17:18]
	v_add_f64 v[3:4], v[3:4], v[10:11]
	s_delay_alu instid0(VALU_DEP_2)
	v_add_f64 v[1:2], v[1:2], v[15:16]
	s_and_not1_b32 exec_lo, exec_lo, s3
	s_cbranch_execnz .LBB89_45
; %bb.46:
	s_or_b32 exec_lo, exec_lo, s3
	v_mov_b32_e32 v7, 0
	ds_load_b128 v[7:10], v7 offset:128
	s_waitcnt lgkmcnt(0)
	v_mul_f64 v[11:12], v[1:2], v[9:10]
	v_mul_f64 v[15:16], v[3:4], v[9:10]
	s_delay_alu instid0(VALU_DEP_2) | instskip(NEXT) | instid1(VALU_DEP_2)
	v_fma_f64 v[9:10], v[3:4], v[7:8], -v[11:12]
	v_fma_f64 v[11:12], v[1:2], v[7:8], v[15:16]
	scratch_store_b128 off, v[9:12], off offset:128
.LBB89_47:
	s_or_b32 exec_lo, exec_lo, s2
	s_waitcnt_vscnt null, 0x0
	s_barrier
	buffer_gl0_inv
	scratch_load_b128 v[1:4], v100, off
	s_mov_b32 s2, exec_lo
	s_waitcnt vmcnt(0)
	ds_store_b128 v5, v[1:4]
	s_waitcnt lgkmcnt(0)
	s_barrier
	buffer_gl0_inv
	v_cmpx_gt_u32_e32 9, v85
	s_cbranch_execz .LBB89_51
; %bb.48:
	v_dual_mov_b32 v1, 0 :: v_dual_add_nc_u32 v8, 0x1a0, v13
	v_dual_mov_b32 v2, 0 :: v_dual_add_nc_u32 v7, -1, v85
	v_or_b32_e32 v9, 8, v14
	s_mov_b32 s3, 0
	s_delay_alu instid0(VALU_DEP_2)
	v_dual_mov_b32 v4, v2 :: v_dual_mov_b32 v3, v1
	.p2align	6
.LBB89_49:                              ; =>This Inner Loop Header: Depth=1
	scratch_load_b128 v[15:18], v9, off offset:-8
	ds_load_b128 v[19:22], v8
	v_add_nc_u32_e32 v7, 1, v7
	v_add_nc_u32_e32 v8, 16, v8
	;; [unrolled: 1-line block ×3, first 2 shown]
	s_delay_alu instid0(VALU_DEP_3) | instskip(SKIP_4) | instid1(VALU_DEP_2)
	v_cmp_lt_u32_e32 vcc_lo, 7, v7
	s_or_b32 s3, vcc_lo, s3
	s_waitcnt vmcnt(0) lgkmcnt(0)
	v_mul_f64 v[10:11], v[21:22], v[17:18]
	v_mul_f64 v[17:18], v[19:20], v[17:18]
	v_fma_f64 v[10:11], v[19:20], v[15:16], -v[10:11]
	s_delay_alu instid0(VALU_DEP_2) | instskip(NEXT) | instid1(VALU_DEP_2)
	v_fma_f64 v[15:16], v[21:22], v[15:16], v[17:18]
	v_add_f64 v[3:4], v[3:4], v[10:11]
	s_delay_alu instid0(VALU_DEP_2)
	v_add_f64 v[1:2], v[1:2], v[15:16]
	s_and_not1_b32 exec_lo, exec_lo, s3
	s_cbranch_execnz .LBB89_49
; %bb.50:
	s_or_b32 exec_lo, exec_lo, s3
	v_mov_b32_e32 v7, 0
	ds_load_b128 v[7:10], v7 offset:144
	s_waitcnt lgkmcnt(0)
	v_mul_f64 v[11:12], v[1:2], v[9:10]
	v_mul_f64 v[15:16], v[3:4], v[9:10]
	s_delay_alu instid0(VALU_DEP_2) | instskip(NEXT) | instid1(VALU_DEP_2)
	v_fma_f64 v[9:10], v[3:4], v[7:8], -v[11:12]
	v_fma_f64 v[11:12], v[1:2], v[7:8], v[15:16]
	scratch_store_b128 off, v[9:12], off offset:144
.LBB89_51:
	s_or_b32 exec_lo, exec_lo, s2
	s_waitcnt_vscnt null, 0x0
	s_barrier
	buffer_gl0_inv
	scratch_load_b128 v[1:4], v98, off
	s_mov_b32 s2, exec_lo
	s_waitcnt vmcnt(0)
	ds_store_b128 v5, v[1:4]
	s_waitcnt lgkmcnt(0)
	s_barrier
	buffer_gl0_inv
	v_cmpx_gt_u32_e32 10, v85
	s_cbranch_execz .LBB89_55
; %bb.52:
	v_dual_mov_b32 v1, 0 :: v_dual_add_nc_u32 v8, 0x1a0, v13
	v_dual_mov_b32 v2, 0 :: v_dual_add_nc_u32 v7, -1, v85
	v_or_b32_e32 v9, 8, v14
	s_mov_b32 s3, 0
	s_delay_alu instid0(VALU_DEP_2)
	v_dual_mov_b32 v4, v2 :: v_dual_mov_b32 v3, v1
	.p2align	6
.LBB89_53:                              ; =>This Inner Loop Header: Depth=1
	scratch_load_b128 v[15:18], v9, off offset:-8
	ds_load_b128 v[19:22], v8
	v_add_nc_u32_e32 v7, 1, v7
	v_add_nc_u32_e32 v8, 16, v8
	;; [unrolled: 1-line block ×3, first 2 shown]
	s_delay_alu instid0(VALU_DEP_3) | instskip(SKIP_4) | instid1(VALU_DEP_2)
	v_cmp_lt_u32_e32 vcc_lo, 8, v7
	s_or_b32 s3, vcc_lo, s3
	s_waitcnt vmcnt(0) lgkmcnt(0)
	v_mul_f64 v[10:11], v[21:22], v[17:18]
	v_mul_f64 v[17:18], v[19:20], v[17:18]
	v_fma_f64 v[10:11], v[19:20], v[15:16], -v[10:11]
	s_delay_alu instid0(VALU_DEP_2) | instskip(NEXT) | instid1(VALU_DEP_2)
	v_fma_f64 v[15:16], v[21:22], v[15:16], v[17:18]
	v_add_f64 v[3:4], v[3:4], v[10:11]
	s_delay_alu instid0(VALU_DEP_2)
	v_add_f64 v[1:2], v[1:2], v[15:16]
	s_and_not1_b32 exec_lo, exec_lo, s3
	s_cbranch_execnz .LBB89_53
; %bb.54:
	s_or_b32 exec_lo, exec_lo, s3
	v_mov_b32_e32 v7, 0
	ds_load_b128 v[7:10], v7 offset:160
	s_waitcnt lgkmcnt(0)
	v_mul_f64 v[11:12], v[1:2], v[9:10]
	v_mul_f64 v[15:16], v[3:4], v[9:10]
	s_delay_alu instid0(VALU_DEP_2) | instskip(NEXT) | instid1(VALU_DEP_2)
	v_fma_f64 v[9:10], v[3:4], v[7:8], -v[11:12]
	v_fma_f64 v[11:12], v[1:2], v[7:8], v[15:16]
	scratch_store_b128 off, v[9:12], off offset:160
.LBB89_55:
	s_or_b32 exec_lo, exec_lo, s2
	s_waitcnt_vscnt null, 0x0
	s_barrier
	buffer_gl0_inv
	scratch_load_b128 v[1:4], v99, off
	s_mov_b32 s2, exec_lo
	s_waitcnt vmcnt(0)
	ds_store_b128 v5, v[1:4]
	s_waitcnt lgkmcnt(0)
	s_barrier
	buffer_gl0_inv
	v_cmpx_gt_u32_e32 11, v85
	s_cbranch_execz .LBB89_59
; %bb.56:
	v_dual_mov_b32 v1, 0 :: v_dual_add_nc_u32 v8, 0x1a0, v13
	v_dual_mov_b32 v2, 0 :: v_dual_add_nc_u32 v7, -1, v85
	v_or_b32_e32 v9, 8, v14
	s_mov_b32 s3, 0
	s_delay_alu instid0(VALU_DEP_2)
	v_dual_mov_b32 v4, v2 :: v_dual_mov_b32 v3, v1
	.p2align	6
.LBB89_57:                              ; =>This Inner Loop Header: Depth=1
	scratch_load_b128 v[15:18], v9, off offset:-8
	ds_load_b128 v[19:22], v8
	v_add_nc_u32_e32 v7, 1, v7
	v_add_nc_u32_e32 v8, 16, v8
	;; [unrolled: 1-line block ×3, first 2 shown]
	s_delay_alu instid0(VALU_DEP_3) | instskip(SKIP_4) | instid1(VALU_DEP_2)
	v_cmp_lt_u32_e32 vcc_lo, 9, v7
	s_or_b32 s3, vcc_lo, s3
	s_waitcnt vmcnt(0) lgkmcnt(0)
	v_mul_f64 v[10:11], v[21:22], v[17:18]
	v_mul_f64 v[17:18], v[19:20], v[17:18]
	v_fma_f64 v[10:11], v[19:20], v[15:16], -v[10:11]
	s_delay_alu instid0(VALU_DEP_2) | instskip(NEXT) | instid1(VALU_DEP_2)
	v_fma_f64 v[15:16], v[21:22], v[15:16], v[17:18]
	v_add_f64 v[3:4], v[3:4], v[10:11]
	s_delay_alu instid0(VALU_DEP_2)
	v_add_f64 v[1:2], v[1:2], v[15:16]
	s_and_not1_b32 exec_lo, exec_lo, s3
	s_cbranch_execnz .LBB89_57
; %bb.58:
	s_or_b32 exec_lo, exec_lo, s3
	v_mov_b32_e32 v7, 0
	ds_load_b128 v[7:10], v7 offset:176
	s_waitcnt lgkmcnt(0)
	v_mul_f64 v[11:12], v[1:2], v[9:10]
	v_mul_f64 v[15:16], v[3:4], v[9:10]
	s_delay_alu instid0(VALU_DEP_2) | instskip(NEXT) | instid1(VALU_DEP_2)
	v_fma_f64 v[9:10], v[3:4], v[7:8], -v[11:12]
	v_fma_f64 v[11:12], v[1:2], v[7:8], v[15:16]
	scratch_store_b128 off, v[9:12], off offset:176
.LBB89_59:
	s_or_b32 exec_lo, exec_lo, s2
	s_waitcnt_vscnt null, 0x0
	s_barrier
	buffer_gl0_inv
	scratch_load_b128 v[1:4], v110, off
	s_mov_b32 s2, exec_lo
	s_waitcnt vmcnt(0)
	ds_store_b128 v5, v[1:4]
	s_waitcnt lgkmcnt(0)
	s_barrier
	buffer_gl0_inv
	v_cmpx_gt_u32_e32 12, v85
	s_cbranch_execz .LBB89_63
; %bb.60:
	v_dual_mov_b32 v1, 0 :: v_dual_add_nc_u32 v8, 0x1a0, v13
	v_dual_mov_b32 v2, 0 :: v_dual_add_nc_u32 v7, -1, v85
	v_or_b32_e32 v9, 8, v14
	s_mov_b32 s3, 0
	s_delay_alu instid0(VALU_DEP_2)
	v_dual_mov_b32 v4, v2 :: v_dual_mov_b32 v3, v1
	.p2align	6
.LBB89_61:                              ; =>This Inner Loop Header: Depth=1
	scratch_load_b128 v[15:18], v9, off offset:-8
	ds_load_b128 v[19:22], v8
	v_add_nc_u32_e32 v7, 1, v7
	v_add_nc_u32_e32 v8, 16, v8
	v_add_nc_u32_e32 v9, 16, v9
	s_delay_alu instid0(VALU_DEP_3) | instskip(SKIP_4) | instid1(VALU_DEP_2)
	v_cmp_lt_u32_e32 vcc_lo, 10, v7
	s_or_b32 s3, vcc_lo, s3
	s_waitcnt vmcnt(0) lgkmcnt(0)
	v_mul_f64 v[10:11], v[21:22], v[17:18]
	v_mul_f64 v[17:18], v[19:20], v[17:18]
	v_fma_f64 v[10:11], v[19:20], v[15:16], -v[10:11]
	s_delay_alu instid0(VALU_DEP_2) | instskip(NEXT) | instid1(VALU_DEP_2)
	v_fma_f64 v[15:16], v[21:22], v[15:16], v[17:18]
	v_add_f64 v[3:4], v[3:4], v[10:11]
	s_delay_alu instid0(VALU_DEP_2)
	v_add_f64 v[1:2], v[1:2], v[15:16]
	s_and_not1_b32 exec_lo, exec_lo, s3
	s_cbranch_execnz .LBB89_61
; %bb.62:
	s_or_b32 exec_lo, exec_lo, s3
	v_mov_b32_e32 v7, 0
	ds_load_b128 v[7:10], v7 offset:192
	s_waitcnt lgkmcnt(0)
	v_mul_f64 v[11:12], v[1:2], v[9:10]
	v_mul_f64 v[15:16], v[3:4], v[9:10]
	s_delay_alu instid0(VALU_DEP_2) | instskip(NEXT) | instid1(VALU_DEP_2)
	v_fma_f64 v[9:10], v[3:4], v[7:8], -v[11:12]
	v_fma_f64 v[11:12], v[1:2], v[7:8], v[15:16]
	scratch_store_b128 off, v[9:12], off offset:192
.LBB89_63:
	s_or_b32 exec_lo, exec_lo, s2
	s_waitcnt_vscnt null, 0x0
	s_barrier
	buffer_gl0_inv
	scratch_load_b128 v[1:4], v109, off
	s_mov_b32 s2, exec_lo
	s_waitcnt vmcnt(0)
	ds_store_b128 v5, v[1:4]
	s_waitcnt lgkmcnt(0)
	s_barrier
	buffer_gl0_inv
	v_cmpx_gt_u32_e32 13, v85
	s_cbranch_execz .LBB89_67
; %bb.64:
	v_dual_mov_b32 v1, 0 :: v_dual_add_nc_u32 v8, 0x1a0, v13
	v_dual_mov_b32 v2, 0 :: v_dual_add_nc_u32 v7, -1, v85
	v_or_b32_e32 v9, 8, v14
	s_mov_b32 s3, 0
	s_delay_alu instid0(VALU_DEP_2)
	v_dual_mov_b32 v4, v2 :: v_dual_mov_b32 v3, v1
	.p2align	6
.LBB89_65:                              ; =>This Inner Loop Header: Depth=1
	scratch_load_b128 v[15:18], v9, off offset:-8
	ds_load_b128 v[19:22], v8
	v_add_nc_u32_e32 v7, 1, v7
	v_add_nc_u32_e32 v8, 16, v8
	;; [unrolled: 1-line block ×3, first 2 shown]
	s_delay_alu instid0(VALU_DEP_3) | instskip(SKIP_4) | instid1(VALU_DEP_2)
	v_cmp_lt_u32_e32 vcc_lo, 11, v7
	s_or_b32 s3, vcc_lo, s3
	s_waitcnt vmcnt(0) lgkmcnt(0)
	v_mul_f64 v[10:11], v[21:22], v[17:18]
	v_mul_f64 v[17:18], v[19:20], v[17:18]
	v_fma_f64 v[10:11], v[19:20], v[15:16], -v[10:11]
	s_delay_alu instid0(VALU_DEP_2) | instskip(NEXT) | instid1(VALU_DEP_2)
	v_fma_f64 v[15:16], v[21:22], v[15:16], v[17:18]
	v_add_f64 v[3:4], v[3:4], v[10:11]
	s_delay_alu instid0(VALU_DEP_2)
	v_add_f64 v[1:2], v[1:2], v[15:16]
	s_and_not1_b32 exec_lo, exec_lo, s3
	s_cbranch_execnz .LBB89_65
; %bb.66:
	s_or_b32 exec_lo, exec_lo, s3
	v_mov_b32_e32 v7, 0
	ds_load_b128 v[7:10], v7 offset:208
	s_waitcnt lgkmcnt(0)
	v_mul_f64 v[11:12], v[1:2], v[9:10]
	v_mul_f64 v[15:16], v[3:4], v[9:10]
	s_delay_alu instid0(VALU_DEP_2) | instskip(NEXT) | instid1(VALU_DEP_2)
	v_fma_f64 v[9:10], v[3:4], v[7:8], -v[11:12]
	v_fma_f64 v[11:12], v[1:2], v[7:8], v[15:16]
	scratch_store_b128 off, v[9:12], off offset:208
.LBB89_67:
	s_or_b32 exec_lo, exec_lo, s2
	s_waitcnt_vscnt null, 0x0
	s_barrier
	buffer_gl0_inv
	scratch_load_b128 v[1:4], v108, off
	s_mov_b32 s2, exec_lo
	s_waitcnt vmcnt(0)
	ds_store_b128 v5, v[1:4]
	s_waitcnt lgkmcnt(0)
	s_barrier
	buffer_gl0_inv
	v_cmpx_gt_u32_e32 14, v85
	s_cbranch_execz .LBB89_71
; %bb.68:
	v_dual_mov_b32 v1, 0 :: v_dual_add_nc_u32 v8, 0x1a0, v13
	v_dual_mov_b32 v2, 0 :: v_dual_add_nc_u32 v7, -1, v85
	v_or_b32_e32 v9, 8, v14
	s_mov_b32 s3, 0
	s_delay_alu instid0(VALU_DEP_2)
	v_dual_mov_b32 v4, v2 :: v_dual_mov_b32 v3, v1
	.p2align	6
.LBB89_69:                              ; =>This Inner Loop Header: Depth=1
	scratch_load_b128 v[15:18], v9, off offset:-8
	ds_load_b128 v[19:22], v8
	v_add_nc_u32_e32 v7, 1, v7
	v_add_nc_u32_e32 v8, 16, v8
	;; [unrolled: 1-line block ×3, first 2 shown]
	s_delay_alu instid0(VALU_DEP_3) | instskip(SKIP_4) | instid1(VALU_DEP_2)
	v_cmp_lt_u32_e32 vcc_lo, 12, v7
	s_or_b32 s3, vcc_lo, s3
	s_waitcnt vmcnt(0) lgkmcnt(0)
	v_mul_f64 v[10:11], v[21:22], v[17:18]
	v_mul_f64 v[17:18], v[19:20], v[17:18]
	v_fma_f64 v[10:11], v[19:20], v[15:16], -v[10:11]
	s_delay_alu instid0(VALU_DEP_2) | instskip(NEXT) | instid1(VALU_DEP_2)
	v_fma_f64 v[15:16], v[21:22], v[15:16], v[17:18]
	v_add_f64 v[3:4], v[3:4], v[10:11]
	s_delay_alu instid0(VALU_DEP_2)
	v_add_f64 v[1:2], v[1:2], v[15:16]
	s_and_not1_b32 exec_lo, exec_lo, s3
	s_cbranch_execnz .LBB89_69
; %bb.70:
	s_or_b32 exec_lo, exec_lo, s3
	v_mov_b32_e32 v7, 0
	ds_load_b128 v[7:10], v7 offset:224
	s_waitcnt lgkmcnt(0)
	v_mul_f64 v[11:12], v[1:2], v[9:10]
	v_mul_f64 v[15:16], v[3:4], v[9:10]
	s_delay_alu instid0(VALU_DEP_2) | instskip(NEXT) | instid1(VALU_DEP_2)
	v_fma_f64 v[9:10], v[3:4], v[7:8], -v[11:12]
	v_fma_f64 v[11:12], v[1:2], v[7:8], v[15:16]
	scratch_store_b128 off, v[9:12], off offset:224
.LBB89_71:
	s_or_b32 exec_lo, exec_lo, s2
	s_waitcnt_vscnt null, 0x0
	s_barrier
	buffer_gl0_inv
	scratch_load_b128 v[1:4], v107, off
	s_mov_b32 s2, exec_lo
	s_waitcnt vmcnt(0)
	ds_store_b128 v5, v[1:4]
	s_waitcnt lgkmcnt(0)
	s_barrier
	buffer_gl0_inv
	v_cmpx_gt_u32_e32 15, v85
	s_cbranch_execz .LBB89_75
; %bb.72:
	v_dual_mov_b32 v1, 0 :: v_dual_add_nc_u32 v8, 0x1a0, v13
	v_dual_mov_b32 v2, 0 :: v_dual_add_nc_u32 v7, -1, v85
	v_or_b32_e32 v9, 8, v14
	s_mov_b32 s3, 0
	s_delay_alu instid0(VALU_DEP_2)
	v_dual_mov_b32 v4, v2 :: v_dual_mov_b32 v3, v1
	.p2align	6
.LBB89_73:                              ; =>This Inner Loop Header: Depth=1
	scratch_load_b128 v[15:18], v9, off offset:-8
	ds_load_b128 v[19:22], v8
	v_add_nc_u32_e32 v7, 1, v7
	v_add_nc_u32_e32 v8, 16, v8
	;; [unrolled: 1-line block ×3, first 2 shown]
	s_delay_alu instid0(VALU_DEP_3) | instskip(SKIP_4) | instid1(VALU_DEP_2)
	v_cmp_lt_u32_e32 vcc_lo, 13, v7
	s_or_b32 s3, vcc_lo, s3
	s_waitcnt vmcnt(0) lgkmcnt(0)
	v_mul_f64 v[10:11], v[21:22], v[17:18]
	v_mul_f64 v[17:18], v[19:20], v[17:18]
	v_fma_f64 v[10:11], v[19:20], v[15:16], -v[10:11]
	s_delay_alu instid0(VALU_DEP_2) | instskip(NEXT) | instid1(VALU_DEP_2)
	v_fma_f64 v[15:16], v[21:22], v[15:16], v[17:18]
	v_add_f64 v[3:4], v[3:4], v[10:11]
	s_delay_alu instid0(VALU_DEP_2)
	v_add_f64 v[1:2], v[1:2], v[15:16]
	s_and_not1_b32 exec_lo, exec_lo, s3
	s_cbranch_execnz .LBB89_73
; %bb.74:
	s_or_b32 exec_lo, exec_lo, s3
	v_mov_b32_e32 v7, 0
	ds_load_b128 v[7:10], v7 offset:240
	s_waitcnt lgkmcnt(0)
	v_mul_f64 v[11:12], v[1:2], v[9:10]
	v_mul_f64 v[15:16], v[3:4], v[9:10]
	s_delay_alu instid0(VALU_DEP_2) | instskip(NEXT) | instid1(VALU_DEP_2)
	v_fma_f64 v[9:10], v[3:4], v[7:8], -v[11:12]
	v_fma_f64 v[11:12], v[1:2], v[7:8], v[15:16]
	scratch_store_b128 off, v[9:12], off offset:240
.LBB89_75:
	s_or_b32 exec_lo, exec_lo, s2
	s_waitcnt_vscnt null, 0x0
	s_barrier
	buffer_gl0_inv
	scratch_load_b128 v[1:4], v105, off
	s_mov_b32 s2, exec_lo
	s_waitcnt vmcnt(0)
	ds_store_b128 v5, v[1:4]
	s_waitcnt lgkmcnt(0)
	s_barrier
	buffer_gl0_inv
	v_cmpx_gt_u32_e32 16, v85
	s_cbranch_execz .LBB89_79
; %bb.76:
	v_dual_mov_b32 v1, 0 :: v_dual_add_nc_u32 v8, 0x1a0, v13
	v_dual_mov_b32 v2, 0 :: v_dual_add_nc_u32 v7, -1, v85
	v_or_b32_e32 v9, 8, v14
	s_mov_b32 s3, 0
	s_delay_alu instid0(VALU_DEP_2)
	v_dual_mov_b32 v4, v2 :: v_dual_mov_b32 v3, v1
	.p2align	6
.LBB89_77:                              ; =>This Inner Loop Header: Depth=1
	scratch_load_b128 v[15:18], v9, off offset:-8
	ds_load_b128 v[19:22], v8
	v_add_nc_u32_e32 v7, 1, v7
	v_add_nc_u32_e32 v8, 16, v8
	;; [unrolled: 1-line block ×3, first 2 shown]
	s_delay_alu instid0(VALU_DEP_3) | instskip(SKIP_4) | instid1(VALU_DEP_2)
	v_cmp_lt_u32_e32 vcc_lo, 14, v7
	s_or_b32 s3, vcc_lo, s3
	s_waitcnt vmcnt(0) lgkmcnt(0)
	v_mul_f64 v[10:11], v[21:22], v[17:18]
	v_mul_f64 v[17:18], v[19:20], v[17:18]
	v_fma_f64 v[10:11], v[19:20], v[15:16], -v[10:11]
	s_delay_alu instid0(VALU_DEP_2) | instskip(NEXT) | instid1(VALU_DEP_2)
	v_fma_f64 v[15:16], v[21:22], v[15:16], v[17:18]
	v_add_f64 v[3:4], v[3:4], v[10:11]
	s_delay_alu instid0(VALU_DEP_2)
	v_add_f64 v[1:2], v[1:2], v[15:16]
	s_and_not1_b32 exec_lo, exec_lo, s3
	s_cbranch_execnz .LBB89_77
; %bb.78:
	s_or_b32 exec_lo, exec_lo, s3
	v_mov_b32_e32 v7, 0
	ds_load_b128 v[7:10], v7 offset:256
	s_waitcnt lgkmcnt(0)
	v_mul_f64 v[11:12], v[1:2], v[9:10]
	v_mul_f64 v[15:16], v[3:4], v[9:10]
	s_delay_alu instid0(VALU_DEP_2) | instskip(NEXT) | instid1(VALU_DEP_2)
	v_fma_f64 v[9:10], v[3:4], v[7:8], -v[11:12]
	v_fma_f64 v[11:12], v[1:2], v[7:8], v[15:16]
	scratch_store_b128 off, v[9:12], off offset:256
.LBB89_79:
	s_or_b32 exec_lo, exec_lo, s2
	s_waitcnt_vscnt null, 0x0
	s_barrier
	buffer_gl0_inv
	scratch_load_b128 v[1:4], v106, off
	s_mov_b32 s2, exec_lo
	s_waitcnt vmcnt(0)
	ds_store_b128 v5, v[1:4]
	s_waitcnt lgkmcnt(0)
	s_barrier
	buffer_gl0_inv
	v_cmpx_gt_u32_e32 17, v85
	s_cbranch_execz .LBB89_83
; %bb.80:
	v_dual_mov_b32 v1, 0 :: v_dual_add_nc_u32 v8, 0x1a0, v13
	v_dual_mov_b32 v2, 0 :: v_dual_add_nc_u32 v7, -1, v85
	v_or_b32_e32 v9, 8, v14
	s_mov_b32 s3, 0
	s_delay_alu instid0(VALU_DEP_2)
	v_dual_mov_b32 v4, v2 :: v_dual_mov_b32 v3, v1
	.p2align	6
.LBB89_81:                              ; =>This Inner Loop Header: Depth=1
	scratch_load_b128 v[15:18], v9, off offset:-8
	ds_load_b128 v[19:22], v8
	v_add_nc_u32_e32 v7, 1, v7
	v_add_nc_u32_e32 v8, 16, v8
	;; [unrolled: 1-line block ×3, first 2 shown]
	s_delay_alu instid0(VALU_DEP_3) | instskip(SKIP_4) | instid1(VALU_DEP_2)
	v_cmp_lt_u32_e32 vcc_lo, 15, v7
	s_or_b32 s3, vcc_lo, s3
	s_waitcnt vmcnt(0) lgkmcnt(0)
	v_mul_f64 v[10:11], v[21:22], v[17:18]
	v_mul_f64 v[17:18], v[19:20], v[17:18]
	v_fma_f64 v[10:11], v[19:20], v[15:16], -v[10:11]
	s_delay_alu instid0(VALU_DEP_2) | instskip(NEXT) | instid1(VALU_DEP_2)
	v_fma_f64 v[15:16], v[21:22], v[15:16], v[17:18]
	v_add_f64 v[3:4], v[3:4], v[10:11]
	s_delay_alu instid0(VALU_DEP_2)
	v_add_f64 v[1:2], v[1:2], v[15:16]
	s_and_not1_b32 exec_lo, exec_lo, s3
	s_cbranch_execnz .LBB89_81
; %bb.82:
	s_or_b32 exec_lo, exec_lo, s3
	v_mov_b32_e32 v7, 0
	ds_load_b128 v[7:10], v7 offset:272
	s_waitcnt lgkmcnt(0)
	v_mul_f64 v[11:12], v[1:2], v[9:10]
	v_mul_f64 v[15:16], v[3:4], v[9:10]
	s_delay_alu instid0(VALU_DEP_2) | instskip(NEXT) | instid1(VALU_DEP_2)
	v_fma_f64 v[9:10], v[3:4], v[7:8], -v[11:12]
	v_fma_f64 v[11:12], v[1:2], v[7:8], v[15:16]
	scratch_store_b128 off, v[9:12], off offset:272
.LBB89_83:
	s_or_b32 exec_lo, exec_lo, s2
	s_waitcnt_vscnt null, 0x0
	s_barrier
	buffer_gl0_inv
	scratch_load_b128 v[1:4], v88, off
	s_mov_b32 s2, exec_lo
	s_waitcnt vmcnt(0)
	ds_store_b128 v5, v[1:4]
	s_waitcnt lgkmcnt(0)
	s_barrier
	buffer_gl0_inv
	v_cmpx_gt_u32_e32 18, v85
	s_cbranch_execz .LBB89_87
; %bb.84:
	v_dual_mov_b32 v1, 0 :: v_dual_add_nc_u32 v8, 0x1a0, v13
	v_dual_mov_b32 v2, 0 :: v_dual_add_nc_u32 v7, -1, v85
	v_or_b32_e32 v9, 8, v14
	s_mov_b32 s3, 0
	s_delay_alu instid0(VALU_DEP_2)
	v_dual_mov_b32 v4, v2 :: v_dual_mov_b32 v3, v1
	.p2align	6
.LBB89_85:                              ; =>This Inner Loop Header: Depth=1
	scratch_load_b128 v[15:18], v9, off offset:-8
	ds_load_b128 v[19:22], v8
	v_add_nc_u32_e32 v7, 1, v7
	v_add_nc_u32_e32 v8, 16, v8
	;; [unrolled: 1-line block ×3, first 2 shown]
	s_delay_alu instid0(VALU_DEP_3) | instskip(SKIP_4) | instid1(VALU_DEP_2)
	v_cmp_lt_u32_e32 vcc_lo, 16, v7
	s_or_b32 s3, vcc_lo, s3
	s_waitcnt vmcnt(0) lgkmcnt(0)
	v_mul_f64 v[10:11], v[21:22], v[17:18]
	v_mul_f64 v[17:18], v[19:20], v[17:18]
	v_fma_f64 v[10:11], v[19:20], v[15:16], -v[10:11]
	s_delay_alu instid0(VALU_DEP_2) | instskip(NEXT) | instid1(VALU_DEP_2)
	v_fma_f64 v[15:16], v[21:22], v[15:16], v[17:18]
	v_add_f64 v[3:4], v[3:4], v[10:11]
	s_delay_alu instid0(VALU_DEP_2)
	v_add_f64 v[1:2], v[1:2], v[15:16]
	s_and_not1_b32 exec_lo, exec_lo, s3
	s_cbranch_execnz .LBB89_85
; %bb.86:
	s_or_b32 exec_lo, exec_lo, s3
	v_mov_b32_e32 v7, 0
	ds_load_b128 v[7:10], v7 offset:288
	s_waitcnt lgkmcnt(0)
	v_mul_f64 v[11:12], v[1:2], v[9:10]
	v_mul_f64 v[15:16], v[3:4], v[9:10]
	s_delay_alu instid0(VALU_DEP_2) | instskip(NEXT) | instid1(VALU_DEP_2)
	v_fma_f64 v[9:10], v[3:4], v[7:8], -v[11:12]
	v_fma_f64 v[11:12], v[1:2], v[7:8], v[15:16]
	scratch_store_b128 off, v[9:12], off offset:288
.LBB89_87:
	s_or_b32 exec_lo, exec_lo, s2
	s_waitcnt_vscnt null, 0x0
	s_barrier
	buffer_gl0_inv
	scratch_load_b128 v[1:4], v94, off
	s_mov_b32 s2, exec_lo
	s_waitcnt vmcnt(0)
	ds_store_b128 v5, v[1:4]
	s_waitcnt lgkmcnt(0)
	s_barrier
	buffer_gl0_inv
	v_cmpx_gt_u32_e32 19, v85
	s_cbranch_execz .LBB89_91
; %bb.88:
	v_dual_mov_b32 v1, 0 :: v_dual_add_nc_u32 v8, 0x1a0, v13
	v_dual_mov_b32 v2, 0 :: v_dual_add_nc_u32 v7, -1, v85
	v_or_b32_e32 v9, 8, v14
	s_mov_b32 s3, 0
	s_delay_alu instid0(VALU_DEP_2)
	v_dual_mov_b32 v4, v2 :: v_dual_mov_b32 v3, v1
	.p2align	6
.LBB89_89:                              ; =>This Inner Loop Header: Depth=1
	scratch_load_b128 v[15:18], v9, off offset:-8
	ds_load_b128 v[19:22], v8
	v_add_nc_u32_e32 v7, 1, v7
	v_add_nc_u32_e32 v8, 16, v8
	v_add_nc_u32_e32 v9, 16, v9
	s_delay_alu instid0(VALU_DEP_3) | instskip(SKIP_4) | instid1(VALU_DEP_2)
	v_cmp_lt_u32_e32 vcc_lo, 17, v7
	s_or_b32 s3, vcc_lo, s3
	s_waitcnt vmcnt(0) lgkmcnt(0)
	v_mul_f64 v[10:11], v[21:22], v[17:18]
	v_mul_f64 v[17:18], v[19:20], v[17:18]
	v_fma_f64 v[10:11], v[19:20], v[15:16], -v[10:11]
	s_delay_alu instid0(VALU_DEP_2) | instskip(NEXT) | instid1(VALU_DEP_2)
	v_fma_f64 v[15:16], v[21:22], v[15:16], v[17:18]
	v_add_f64 v[3:4], v[3:4], v[10:11]
	s_delay_alu instid0(VALU_DEP_2)
	v_add_f64 v[1:2], v[1:2], v[15:16]
	s_and_not1_b32 exec_lo, exec_lo, s3
	s_cbranch_execnz .LBB89_89
; %bb.90:
	s_or_b32 exec_lo, exec_lo, s3
	v_mov_b32_e32 v7, 0
	ds_load_b128 v[7:10], v7 offset:304
	s_waitcnt lgkmcnt(0)
	v_mul_f64 v[11:12], v[1:2], v[9:10]
	v_mul_f64 v[15:16], v[3:4], v[9:10]
	s_delay_alu instid0(VALU_DEP_2) | instskip(NEXT) | instid1(VALU_DEP_2)
	v_fma_f64 v[9:10], v[3:4], v[7:8], -v[11:12]
	v_fma_f64 v[11:12], v[1:2], v[7:8], v[15:16]
	scratch_store_b128 off, v[9:12], off offset:304
.LBB89_91:
	s_or_b32 exec_lo, exec_lo, s2
	s_waitcnt_vscnt null, 0x0
	s_barrier
	buffer_gl0_inv
	scratch_load_b128 v[1:4], v91, off
	s_mov_b32 s2, exec_lo
	s_waitcnt vmcnt(0)
	ds_store_b128 v5, v[1:4]
	s_waitcnt lgkmcnt(0)
	s_barrier
	buffer_gl0_inv
	v_cmpx_gt_u32_e32 20, v85
	s_cbranch_execz .LBB89_95
; %bb.92:
	v_dual_mov_b32 v1, 0 :: v_dual_add_nc_u32 v8, 0x1a0, v13
	v_dual_mov_b32 v2, 0 :: v_dual_add_nc_u32 v7, -1, v85
	v_or_b32_e32 v9, 8, v14
	s_mov_b32 s3, 0
	s_delay_alu instid0(VALU_DEP_2)
	v_dual_mov_b32 v4, v2 :: v_dual_mov_b32 v3, v1
	.p2align	6
.LBB89_93:                              ; =>This Inner Loop Header: Depth=1
	scratch_load_b128 v[15:18], v9, off offset:-8
	ds_load_b128 v[19:22], v8
	v_add_nc_u32_e32 v7, 1, v7
	v_add_nc_u32_e32 v8, 16, v8
	;; [unrolled: 1-line block ×3, first 2 shown]
	s_delay_alu instid0(VALU_DEP_3) | instskip(SKIP_4) | instid1(VALU_DEP_2)
	v_cmp_lt_u32_e32 vcc_lo, 18, v7
	s_or_b32 s3, vcc_lo, s3
	s_waitcnt vmcnt(0) lgkmcnt(0)
	v_mul_f64 v[10:11], v[21:22], v[17:18]
	v_mul_f64 v[17:18], v[19:20], v[17:18]
	v_fma_f64 v[10:11], v[19:20], v[15:16], -v[10:11]
	s_delay_alu instid0(VALU_DEP_2) | instskip(NEXT) | instid1(VALU_DEP_2)
	v_fma_f64 v[15:16], v[21:22], v[15:16], v[17:18]
	v_add_f64 v[3:4], v[3:4], v[10:11]
	s_delay_alu instid0(VALU_DEP_2)
	v_add_f64 v[1:2], v[1:2], v[15:16]
	s_and_not1_b32 exec_lo, exec_lo, s3
	s_cbranch_execnz .LBB89_93
; %bb.94:
	s_or_b32 exec_lo, exec_lo, s3
	v_mov_b32_e32 v7, 0
	ds_load_b128 v[7:10], v7 offset:320
	s_waitcnt lgkmcnt(0)
	v_mul_f64 v[11:12], v[1:2], v[9:10]
	v_mul_f64 v[15:16], v[3:4], v[9:10]
	s_delay_alu instid0(VALU_DEP_2) | instskip(NEXT) | instid1(VALU_DEP_2)
	v_fma_f64 v[9:10], v[3:4], v[7:8], -v[11:12]
	v_fma_f64 v[11:12], v[1:2], v[7:8], v[15:16]
	scratch_store_b128 off, v[9:12], off offset:320
.LBB89_95:
	s_or_b32 exec_lo, exec_lo, s2
	s_waitcnt_vscnt null, 0x0
	s_barrier
	buffer_gl0_inv
	scratch_load_b128 v[1:4], v93, off
	s_mov_b32 s2, exec_lo
	s_waitcnt vmcnt(0)
	ds_store_b128 v5, v[1:4]
	s_waitcnt lgkmcnt(0)
	s_barrier
	buffer_gl0_inv
	v_cmpx_gt_u32_e32 21, v85
	s_cbranch_execz .LBB89_99
; %bb.96:
	v_dual_mov_b32 v1, 0 :: v_dual_add_nc_u32 v8, 0x1a0, v13
	v_dual_mov_b32 v2, 0 :: v_dual_add_nc_u32 v7, -1, v85
	v_or_b32_e32 v9, 8, v14
	s_mov_b32 s3, 0
	s_delay_alu instid0(VALU_DEP_2)
	v_dual_mov_b32 v4, v2 :: v_dual_mov_b32 v3, v1
	.p2align	6
.LBB89_97:                              ; =>This Inner Loop Header: Depth=1
	scratch_load_b128 v[15:18], v9, off offset:-8
	ds_load_b128 v[19:22], v8
	v_add_nc_u32_e32 v7, 1, v7
	v_add_nc_u32_e32 v8, 16, v8
	;; [unrolled: 1-line block ×3, first 2 shown]
	s_delay_alu instid0(VALU_DEP_3) | instskip(SKIP_4) | instid1(VALU_DEP_2)
	v_cmp_lt_u32_e32 vcc_lo, 19, v7
	s_or_b32 s3, vcc_lo, s3
	s_waitcnt vmcnt(0) lgkmcnt(0)
	v_mul_f64 v[10:11], v[21:22], v[17:18]
	v_mul_f64 v[17:18], v[19:20], v[17:18]
	v_fma_f64 v[10:11], v[19:20], v[15:16], -v[10:11]
	s_delay_alu instid0(VALU_DEP_2) | instskip(NEXT) | instid1(VALU_DEP_2)
	v_fma_f64 v[15:16], v[21:22], v[15:16], v[17:18]
	v_add_f64 v[3:4], v[3:4], v[10:11]
	s_delay_alu instid0(VALU_DEP_2)
	v_add_f64 v[1:2], v[1:2], v[15:16]
	s_and_not1_b32 exec_lo, exec_lo, s3
	s_cbranch_execnz .LBB89_97
; %bb.98:
	s_or_b32 exec_lo, exec_lo, s3
	v_mov_b32_e32 v7, 0
	ds_load_b128 v[7:10], v7 offset:336
	s_waitcnt lgkmcnt(0)
	v_mul_f64 v[11:12], v[1:2], v[9:10]
	v_mul_f64 v[15:16], v[3:4], v[9:10]
	s_delay_alu instid0(VALU_DEP_2) | instskip(NEXT) | instid1(VALU_DEP_2)
	v_fma_f64 v[9:10], v[3:4], v[7:8], -v[11:12]
	v_fma_f64 v[11:12], v[1:2], v[7:8], v[15:16]
	scratch_store_b128 off, v[9:12], off offset:336
.LBB89_99:
	s_or_b32 exec_lo, exec_lo, s2
	s_waitcnt_vscnt null, 0x0
	s_barrier
	buffer_gl0_inv
	scratch_load_b128 v[1:4], v92, off
	s_mov_b32 s2, exec_lo
	s_waitcnt vmcnt(0)
	ds_store_b128 v5, v[1:4]
	s_waitcnt lgkmcnt(0)
	s_barrier
	buffer_gl0_inv
	v_cmpx_gt_u32_e32 22, v85
	s_cbranch_execz .LBB89_103
; %bb.100:
	v_dual_mov_b32 v1, 0 :: v_dual_add_nc_u32 v8, 0x1a0, v13
	v_dual_mov_b32 v2, 0 :: v_dual_add_nc_u32 v7, -1, v85
	v_or_b32_e32 v9, 8, v14
	s_mov_b32 s3, 0
	s_delay_alu instid0(VALU_DEP_2)
	v_dual_mov_b32 v4, v2 :: v_dual_mov_b32 v3, v1
	.p2align	6
.LBB89_101:                             ; =>This Inner Loop Header: Depth=1
	scratch_load_b128 v[15:18], v9, off offset:-8
	ds_load_b128 v[19:22], v8
	v_add_nc_u32_e32 v7, 1, v7
	v_add_nc_u32_e32 v8, 16, v8
	;; [unrolled: 1-line block ×3, first 2 shown]
	s_delay_alu instid0(VALU_DEP_3) | instskip(SKIP_4) | instid1(VALU_DEP_2)
	v_cmp_lt_u32_e32 vcc_lo, 20, v7
	s_or_b32 s3, vcc_lo, s3
	s_waitcnt vmcnt(0) lgkmcnt(0)
	v_mul_f64 v[10:11], v[21:22], v[17:18]
	v_mul_f64 v[17:18], v[19:20], v[17:18]
	v_fma_f64 v[10:11], v[19:20], v[15:16], -v[10:11]
	s_delay_alu instid0(VALU_DEP_2) | instskip(NEXT) | instid1(VALU_DEP_2)
	v_fma_f64 v[15:16], v[21:22], v[15:16], v[17:18]
	v_add_f64 v[3:4], v[3:4], v[10:11]
	s_delay_alu instid0(VALU_DEP_2)
	v_add_f64 v[1:2], v[1:2], v[15:16]
	s_and_not1_b32 exec_lo, exec_lo, s3
	s_cbranch_execnz .LBB89_101
; %bb.102:
	s_or_b32 exec_lo, exec_lo, s3
	v_mov_b32_e32 v7, 0
	ds_load_b128 v[7:10], v7 offset:352
	s_waitcnt lgkmcnt(0)
	v_mul_f64 v[11:12], v[1:2], v[9:10]
	v_mul_f64 v[15:16], v[3:4], v[9:10]
	s_delay_alu instid0(VALU_DEP_2) | instskip(NEXT) | instid1(VALU_DEP_2)
	v_fma_f64 v[9:10], v[3:4], v[7:8], -v[11:12]
	v_fma_f64 v[11:12], v[1:2], v[7:8], v[15:16]
	scratch_store_b128 off, v[9:12], off offset:352
.LBB89_103:
	s_or_b32 exec_lo, exec_lo, s2
	s_waitcnt_vscnt null, 0x0
	s_barrier
	buffer_gl0_inv
	scratch_load_b128 v[1:4], v95, off
	s_mov_b32 s2, exec_lo
	s_waitcnt vmcnt(0)
	ds_store_b128 v5, v[1:4]
	s_waitcnt lgkmcnt(0)
	s_barrier
	buffer_gl0_inv
	v_cmpx_gt_u32_e32 23, v85
	s_cbranch_execz .LBB89_107
; %bb.104:
	v_dual_mov_b32 v1, 0 :: v_dual_add_nc_u32 v8, 0x1a0, v13
	v_dual_mov_b32 v2, 0 :: v_dual_add_nc_u32 v7, -1, v85
	v_or_b32_e32 v9, 8, v14
	s_mov_b32 s3, 0
	s_delay_alu instid0(VALU_DEP_2)
	v_dual_mov_b32 v4, v2 :: v_dual_mov_b32 v3, v1
	.p2align	6
.LBB89_105:                             ; =>This Inner Loop Header: Depth=1
	scratch_load_b128 v[15:18], v9, off offset:-8
	ds_load_b128 v[19:22], v8
	v_add_nc_u32_e32 v7, 1, v7
	v_add_nc_u32_e32 v8, 16, v8
	;; [unrolled: 1-line block ×3, first 2 shown]
	s_delay_alu instid0(VALU_DEP_3) | instskip(SKIP_4) | instid1(VALU_DEP_2)
	v_cmp_lt_u32_e32 vcc_lo, 21, v7
	s_or_b32 s3, vcc_lo, s3
	s_waitcnt vmcnt(0) lgkmcnt(0)
	v_mul_f64 v[10:11], v[21:22], v[17:18]
	v_mul_f64 v[17:18], v[19:20], v[17:18]
	v_fma_f64 v[10:11], v[19:20], v[15:16], -v[10:11]
	s_delay_alu instid0(VALU_DEP_2) | instskip(NEXT) | instid1(VALU_DEP_2)
	v_fma_f64 v[15:16], v[21:22], v[15:16], v[17:18]
	v_add_f64 v[3:4], v[3:4], v[10:11]
	s_delay_alu instid0(VALU_DEP_2)
	v_add_f64 v[1:2], v[1:2], v[15:16]
	s_and_not1_b32 exec_lo, exec_lo, s3
	s_cbranch_execnz .LBB89_105
; %bb.106:
	s_or_b32 exec_lo, exec_lo, s3
	v_mov_b32_e32 v7, 0
	ds_load_b128 v[7:10], v7 offset:368
	s_waitcnt lgkmcnt(0)
	v_mul_f64 v[11:12], v[1:2], v[9:10]
	v_mul_f64 v[15:16], v[3:4], v[9:10]
	s_delay_alu instid0(VALU_DEP_2) | instskip(NEXT) | instid1(VALU_DEP_2)
	v_fma_f64 v[9:10], v[3:4], v[7:8], -v[11:12]
	v_fma_f64 v[11:12], v[1:2], v[7:8], v[15:16]
	scratch_store_b128 off, v[9:12], off offset:368
.LBB89_107:
	s_or_b32 exec_lo, exec_lo, s2
	s_waitcnt_vscnt null, 0x0
	s_barrier
	buffer_gl0_inv
	scratch_load_b128 v[1:4], v97, off
	s_mov_b32 s2, exec_lo
	s_waitcnt vmcnt(0)
	ds_store_b128 v5, v[1:4]
	s_waitcnt lgkmcnt(0)
	s_barrier
	buffer_gl0_inv
	v_cmpx_gt_u32_e32 24, v85
	s_cbranch_execz .LBB89_111
; %bb.108:
	v_dual_mov_b32 v1, 0 :: v_dual_add_nc_u32 v8, 0x1a0, v13
	v_dual_mov_b32 v2, 0 :: v_dual_add_nc_u32 v7, -1, v85
	v_or_b32_e32 v9, 8, v14
	s_mov_b32 s3, 0
	s_delay_alu instid0(VALU_DEP_2)
	v_dual_mov_b32 v4, v2 :: v_dual_mov_b32 v3, v1
	.p2align	6
.LBB89_109:                             ; =>This Inner Loop Header: Depth=1
	scratch_load_b128 v[10:13], v9, off offset:-8
	ds_load_b128 v[15:18], v8
	v_add_nc_u32_e32 v7, 1, v7
	v_add_nc_u32_e32 v8, 16, v8
	;; [unrolled: 1-line block ×3, first 2 shown]
	s_delay_alu instid0(VALU_DEP_3) | instskip(SKIP_4) | instid1(VALU_DEP_2)
	v_cmp_lt_u32_e32 vcc_lo, 22, v7
	s_or_b32 s3, vcc_lo, s3
	s_waitcnt vmcnt(0) lgkmcnt(0)
	v_mul_f64 v[19:20], v[17:18], v[12:13]
	v_mul_f64 v[12:13], v[15:16], v[12:13]
	v_fma_f64 v[15:16], v[15:16], v[10:11], -v[19:20]
	s_delay_alu instid0(VALU_DEP_2) | instskip(NEXT) | instid1(VALU_DEP_2)
	v_fma_f64 v[10:11], v[17:18], v[10:11], v[12:13]
	v_add_f64 v[3:4], v[3:4], v[15:16]
	s_delay_alu instid0(VALU_DEP_2)
	v_add_f64 v[1:2], v[1:2], v[10:11]
	s_and_not1_b32 exec_lo, exec_lo, s3
	s_cbranch_execnz .LBB89_109
; %bb.110:
	s_or_b32 exec_lo, exec_lo, s3
	v_mov_b32_e32 v7, 0
	ds_load_b128 v[7:10], v7 offset:384
	s_waitcnt lgkmcnt(0)
	v_mul_f64 v[11:12], v[1:2], v[9:10]
	v_mul_f64 v[15:16], v[3:4], v[9:10]
	s_delay_alu instid0(VALU_DEP_2) | instskip(NEXT) | instid1(VALU_DEP_2)
	v_fma_f64 v[9:10], v[3:4], v[7:8], -v[11:12]
	v_fma_f64 v[11:12], v[1:2], v[7:8], v[15:16]
	scratch_store_b128 off, v[9:12], off offset:384
.LBB89_111:
	s_or_b32 exec_lo, exec_lo, s2
	s_waitcnt_vscnt null, 0x0
	s_barrier
	buffer_gl0_inv
	scratch_load_b128 v[1:4], v96, off
	s_mov_b32 s2, exec_lo
	s_waitcnt vmcnt(0)
	ds_store_b128 v5, v[1:4]
	s_waitcnt lgkmcnt(0)
	s_barrier
	buffer_gl0_inv
	v_cmpx_ne_u32_e32 25, v85
	s_cbranch_execz .LBB89_115
; %bb.112:
	v_mov_b32_e32 v1, 0
	v_mov_b32_e32 v2, 0
	v_or_b32_e32 v7, 8, v14
	s_mov_b32 s3, 0
	s_delay_alu instid0(VALU_DEP_2)
	v_dual_mov_b32 v4, v2 :: v_dual_mov_b32 v3, v1
	.p2align	6
.LBB89_113:                             ; =>This Inner Loop Header: Depth=1
	scratch_load_b128 v[8:11], v7, off offset:-8
	ds_load_b128 v[12:15], v5
	v_add_nc_u32_e32 v6, 1, v6
	v_add_nc_u32_e32 v5, 16, v5
	;; [unrolled: 1-line block ×3, first 2 shown]
	s_delay_alu instid0(VALU_DEP_3) | instskip(SKIP_4) | instid1(VALU_DEP_2)
	v_cmp_lt_u32_e32 vcc_lo, 23, v6
	s_or_b32 s3, vcc_lo, s3
	s_waitcnt vmcnt(0) lgkmcnt(0)
	v_mul_f64 v[16:17], v[14:15], v[10:11]
	v_mul_f64 v[10:11], v[12:13], v[10:11]
	v_fma_f64 v[12:13], v[12:13], v[8:9], -v[16:17]
	s_delay_alu instid0(VALU_DEP_2) | instskip(NEXT) | instid1(VALU_DEP_2)
	v_fma_f64 v[8:9], v[14:15], v[8:9], v[10:11]
	v_add_f64 v[3:4], v[3:4], v[12:13]
	s_delay_alu instid0(VALU_DEP_2)
	v_add_f64 v[1:2], v[1:2], v[8:9]
	s_and_not1_b32 exec_lo, exec_lo, s3
	s_cbranch_execnz .LBB89_113
; %bb.114:
	s_or_b32 exec_lo, exec_lo, s3
	v_mov_b32_e32 v5, 0
	ds_load_b128 v[5:8], v5 offset:400
	s_waitcnt lgkmcnt(0)
	v_mul_f64 v[9:10], v[1:2], v[7:8]
	v_mul_f64 v[7:8], v[3:4], v[7:8]
	s_delay_alu instid0(VALU_DEP_2) | instskip(NEXT) | instid1(VALU_DEP_2)
	v_fma_f64 v[3:4], v[3:4], v[5:6], -v[9:10]
	v_fma_f64 v[5:6], v[1:2], v[5:6], v[7:8]
	scratch_store_b128 off, v[3:6], off offset:400
.LBB89_115:
	s_or_b32 exec_lo, exec_lo, s2
	s_mov_b32 s3, -1
	s_waitcnt_vscnt null, 0x0
	s_barrier
	buffer_gl0_inv
.LBB89_116:
	s_and_b32 vcc_lo, exec_lo, s3
	s_cbranch_vccz .LBB89_118
; %bb.117:
	s_lshl_b64 s[2:3], s[10:11], 2
	v_mov_b32_e32 v1, 0
	s_add_u32 s2, s6, s2
	s_addc_u32 s3, s7, s3
	global_load_b32 v1, v1, s[2:3]
	s_waitcnt vmcnt(0)
	v_cmp_ne_u32_e32 vcc_lo, 0, v1
	s_cbranch_vccz .LBB89_119
.LBB89_118:
	s_endpgm
.LBB89_119:
	v_lshl_add_u32 v26, v85, 4, 0x1a0
	s_mov_b32 s2, exec_lo
	v_cmpx_eq_u32_e32 25, v85
	s_cbranch_execz .LBB89_121
; %bb.120:
	scratch_load_b128 v[1:4], v97, off
	v_mov_b32_e32 v5, 0
	s_delay_alu instid0(VALU_DEP_1)
	v_mov_b32_e32 v6, v5
	v_mov_b32_e32 v7, v5
	;; [unrolled: 1-line block ×3, first 2 shown]
	scratch_store_b128 off, v[5:8], off offset:384
	s_waitcnt vmcnt(0)
	ds_store_b128 v26, v[1:4]
.LBB89_121:
	s_or_b32 exec_lo, exec_lo, s2
	s_waitcnt lgkmcnt(0)
	s_waitcnt_vscnt null, 0x0
	s_barrier
	buffer_gl0_inv
	s_clause 0x1
	scratch_load_b128 v[2:5], off, off offset:400
	scratch_load_b128 v[6:9], off, off offset:384
	v_mov_b32_e32 v1, 0
	s_mov_b32 s2, exec_lo
	ds_load_b128 v[10:13], v1 offset:816
	s_waitcnt vmcnt(1) lgkmcnt(0)
	v_mul_f64 v[14:15], v[12:13], v[4:5]
	v_mul_f64 v[4:5], v[10:11], v[4:5]
	s_delay_alu instid0(VALU_DEP_2) | instskip(NEXT) | instid1(VALU_DEP_2)
	v_fma_f64 v[10:11], v[10:11], v[2:3], -v[14:15]
	v_fma_f64 v[2:3], v[12:13], v[2:3], v[4:5]
	s_delay_alu instid0(VALU_DEP_2) | instskip(NEXT) | instid1(VALU_DEP_2)
	v_add_f64 v[4:5], v[10:11], 0
	v_add_f64 v[10:11], v[2:3], 0
	s_waitcnt vmcnt(0)
	s_delay_alu instid0(VALU_DEP_2) | instskip(NEXT) | instid1(VALU_DEP_2)
	v_add_f64 v[2:3], v[6:7], -v[4:5]
	v_add_f64 v[4:5], v[8:9], -v[10:11]
	scratch_store_b128 off, v[2:5], off offset:384
	v_cmpx_lt_u32_e32 23, v85
	s_cbranch_execz .LBB89_123
; %bb.122:
	scratch_load_b128 v[5:8], v95, off
	v_mov_b32_e32 v2, v1
	v_mov_b32_e32 v3, v1
	;; [unrolled: 1-line block ×3, first 2 shown]
	scratch_store_b128 off, v[1:4], off offset:368
	s_waitcnt vmcnt(0)
	ds_store_b128 v26, v[5:8]
.LBB89_123:
	s_or_b32 exec_lo, exec_lo, s2
	s_waitcnt lgkmcnt(0)
	s_waitcnt_vscnt null, 0x0
	s_barrier
	buffer_gl0_inv
	s_clause 0x2
	scratch_load_b128 v[2:5], off, off offset:384
	scratch_load_b128 v[6:9], off, off offset:400
	;; [unrolled: 1-line block ×3, first 2 shown]
	ds_load_b128 v[14:17], v1 offset:800
	ds_load_b128 v[18:21], v1 offset:816
	s_mov_b32 s2, exec_lo
	s_waitcnt vmcnt(2) lgkmcnt(1)
	v_mul_f64 v[22:23], v[16:17], v[4:5]
	v_mul_f64 v[4:5], v[14:15], v[4:5]
	s_waitcnt vmcnt(1) lgkmcnt(0)
	v_mul_f64 v[24:25], v[18:19], v[8:9]
	v_mul_f64 v[8:9], v[20:21], v[8:9]
	s_delay_alu instid0(VALU_DEP_4) | instskip(NEXT) | instid1(VALU_DEP_4)
	v_fma_f64 v[14:15], v[14:15], v[2:3], -v[22:23]
	v_fma_f64 v[1:2], v[16:17], v[2:3], v[4:5]
	s_delay_alu instid0(VALU_DEP_4) | instskip(NEXT) | instid1(VALU_DEP_4)
	v_fma_f64 v[3:4], v[20:21], v[6:7], v[24:25]
	v_fma_f64 v[5:6], v[18:19], v[6:7], -v[8:9]
	s_delay_alu instid0(VALU_DEP_4) | instskip(NEXT) | instid1(VALU_DEP_4)
	v_add_f64 v[7:8], v[14:15], 0
	v_add_f64 v[1:2], v[1:2], 0
	s_delay_alu instid0(VALU_DEP_2) | instskip(NEXT) | instid1(VALU_DEP_2)
	v_add_f64 v[5:6], v[7:8], v[5:6]
	v_add_f64 v[3:4], v[1:2], v[3:4]
	s_waitcnt vmcnt(0)
	s_delay_alu instid0(VALU_DEP_2) | instskip(NEXT) | instid1(VALU_DEP_2)
	v_add_f64 v[1:2], v[10:11], -v[5:6]
	v_add_f64 v[3:4], v[12:13], -v[3:4]
	scratch_store_b128 off, v[1:4], off offset:368
	v_cmpx_lt_u32_e32 22, v85
	s_cbranch_execz .LBB89_125
; %bb.124:
	scratch_load_b128 v[1:4], v92, off
	v_mov_b32_e32 v5, 0
	s_delay_alu instid0(VALU_DEP_1)
	v_mov_b32_e32 v6, v5
	v_mov_b32_e32 v7, v5
	;; [unrolled: 1-line block ×3, first 2 shown]
	scratch_store_b128 off, v[5:8], off offset:352
	s_waitcnt vmcnt(0)
	ds_store_b128 v26, v[1:4]
.LBB89_125:
	s_or_b32 exec_lo, exec_lo, s2
	s_waitcnt lgkmcnt(0)
	s_waitcnt_vscnt null, 0x0
	s_barrier
	buffer_gl0_inv
	s_clause 0x3
	scratch_load_b128 v[2:5], off, off offset:368
	scratch_load_b128 v[6:9], off, off offset:384
	;; [unrolled: 1-line block ×4, first 2 shown]
	v_mov_b32_e32 v1, 0
	ds_load_b128 v[18:21], v1 offset:784
	ds_load_b128 v[22:25], v1 offset:800
	s_mov_b32 s2, exec_lo
	s_waitcnt vmcnt(3) lgkmcnt(1)
	v_mul_f64 v[27:28], v[20:21], v[4:5]
	v_mul_f64 v[4:5], v[18:19], v[4:5]
	s_waitcnt vmcnt(2) lgkmcnt(0)
	v_mul_f64 v[29:30], v[22:23], v[8:9]
	v_mul_f64 v[8:9], v[24:25], v[8:9]
	s_delay_alu instid0(VALU_DEP_4) | instskip(NEXT) | instid1(VALU_DEP_4)
	v_fma_f64 v[18:19], v[18:19], v[2:3], -v[27:28]
	v_fma_f64 v[20:21], v[20:21], v[2:3], v[4:5]
	ds_load_b128 v[2:5], v1 offset:816
	v_fma_f64 v[24:25], v[24:25], v[6:7], v[29:30]
	v_fma_f64 v[6:7], v[22:23], v[6:7], -v[8:9]
	s_waitcnt vmcnt(1) lgkmcnt(0)
	v_mul_f64 v[27:28], v[2:3], v[12:13]
	v_mul_f64 v[12:13], v[4:5], v[12:13]
	v_add_f64 v[8:9], v[18:19], 0
	v_add_f64 v[18:19], v[20:21], 0
	s_delay_alu instid0(VALU_DEP_4) | instskip(NEXT) | instid1(VALU_DEP_4)
	v_fma_f64 v[4:5], v[4:5], v[10:11], v[27:28]
	v_fma_f64 v[2:3], v[2:3], v[10:11], -v[12:13]
	s_delay_alu instid0(VALU_DEP_4) | instskip(NEXT) | instid1(VALU_DEP_4)
	v_add_f64 v[6:7], v[8:9], v[6:7]
	v_add_f64 v[8:9], v[18:19], v[24:25]
	s_delay_alu instid0(VALU_DEP_2) | instskip(NEXT) | instid1(VALU_DEP_2)
	v_add_f64 v[2:3], v[6:7], v[2:3]
	v_add_f64 v[4:5], v[8:9], v[4:5]
	s_waitcnt vmcnt(0)
	s_delay_alu instid0(VALU_DEP_2) | instskip(NEXT) | instid1(VALU_DEP_2)
	v_add_f64 v[2:3], v[14:15], -v[2:3]
	v_add_f64 v[4:5], v[16:17], -v[4:5]
	scratch_store_b128 off, v[2:5], off offset:352
	v_cmpx_lt_u32_e32 21, v85
	s_cbranch_execz .LBB89_127
; %bb.126:
	scratch_load_b128 v[5:8], v93, off
	v_mov_b32_e32 v2, v1
	v_mov_b32_e32 v3, v1
	;; [unrolled: 1-line block ×3, first 2 shown]
	scratch_store_b128 off, v[1:4], off offset:336
	s_waitcnt vmcnt(0)
	ds_store_b128 v26, v[5:8]
.LBB89_127:
	s_or_b32 exec_lo, exec_lo, s2
	s_waitcnt lgkmcnt(0)
	s_waitcnt_vscnt null, 0x0
	s_barrier
	buffer_gl0_inv
	s_clause 0x4
	scratch_load_b128 v[2:5], off, off offset:352
	scratch_load_b128 v[6:9], off, off offset:368
	;; [unrolled: 1-line block ×5, first 2 shown]
	ds_load_b128 v[22:25], v1 offset:768
	ds_load_b128 v[27:30], v1 offset:784
	s_mov_b32 s2, exec_lo
	s_waitcnt vmcnt(4) lgkmcnt(1)
	v_mul_f64 v[31:32], v[24:25], v[4:5]
	v_mul_f64 v[4:5], v[22:23], v[4:5]
	s_waitcnt vmcnt(3) lgkmcnt(0)
	v_mul_f64 v[111:112], v[27:28], v[8:9]
	v_mul_f64 v[8:9], v[29:30], v[8:9]
	s_delay_alu instid0(VALU_DEP_4) | instskip(NEXT) | instid1(VALU_DEP_4)
	v_fma_f64 v[31:32], v[22:23], v[2:3], -v[31:32]
	v_fma_f64 v[113:114], v[24:25], v[2:3], v[4:5]
	ds_load_b128 v[2:5], v1 offset:800
	ds_load_b128 v[22:25], v1 offset:816
	v_fma_f64 v[29:30], v[29:30], v[6:7], v[111:112]
	v_fma_f64 v[6:7], v[27:28], v[6:7], -v[8:9]
	s_waitcnt vmcnt(2) lgkmcnt(1)
	v_mul_f64 v[115:116], v[2:3], v[12:13]
	v_mul_f64 v[12:13], v[4:5], v[12:13]
	v_add_f64 v[8:9], v[31:32], 0
	v_add_f64 v[27:28], v[113:114], 0
	s_waitcnt vmcnt(1) lgkmcnt(0)
	v_mul_f64 v[31:32], v[22:23], v[16:17]
	v_mul_f64 v[16:17], v[24:25], v[16:17]
	v_fma_f64 v[4:5], v[4:5], v[10:11], v[115:116]
	v_fma_f64 v[1:2], v[2:3], v[10:11], -v[12:13]
	v_add_f64 v[6:7], v[8:9], v[6:7]
	v_add_f64 v[8:9], v[27:28], v[29:30]
	v_fma_f64 v[10:11], v[24:25], v[14:15], v[31:32]
	v_fma_f64 v[12:13], v[22:23], v[14:15], -v[16:17]
	s_delay_alu instid0(VALU_DEP_4) | instskip(NEXT) | instid1(VALU_DEP_4)
	v_add_f64 v[1:2], v[6:7], v[1:2]
	v_add_f64 v[3:4], v[8:9], v[4:5]
	s_delay_alu instid0(VALU_DEP_2) | instskip(NEXT) | instid1(VALU_DEP_2)
	v_add_f64 v[1:2], v[1:2], v[12:13]
	v_add_f64 v[3:4], v[3:4], v[10:11]
	s_waitcnt vmcnt(0)
	s_delay_alu instid0(VALU_DEP_2) | instskip(NEXT) | instid1(VALU_DEP_2)
	v_add_f64 v[1:2], v[18:19], -v[1:2]
	v_add_f64 v[3:4], v[20:21], -v[3:4]
	scratch_store_b128 off, v[1:4], off offset:336
	v_cmpx_lt_u32_e32 20, v85
	s_cbranch_execz .LBB89_129
; %bb.128:
	scratch_load_b128 v[1:4], v91, off
	v_mov_b32_e32 v5, 0
	s_delay_alu instid0(VALU_DEP_1)
	v_mov_b32_e32 v6, v5
	v_mov_b32_e32 v7, v5
	;; [unrolled: 1-line block ×3, first 2 shown]
	scratch_store_b128 off, v[5:8], off offset:320
	s_waitcnt vmcnt(0)
	ds_store_b128 v26, v[1:4]
.LBB89_129:
	s_or_b32 exec_lo, exec_lo, s2
	s_waitcnt lgkmcnt(0)
	s_waitcnt_vscnt null, 0x0
	s_barrier
	buffer_gl0_inv
	s_clause 0x5
	scratch_load_b128 v[2:5], off, off offset:336
	scratch_load_b128 v[6:9], off, off offset:352
	;; [unrolled: 1-line block ×6, first 2 shown]
	v_mov_b32_e32 v1, 0
	ds_load_b128 v[27:30], v1 offset:752
	ds_load_b128 v[111:114], v1 offset:768
	s_mov_b32 s2, exec_lo
	s_waitcnt vmcnt(5) lgkmcnt(1)
	v_mul_f64 v[31:32], v[29:30], v[4:5]
	v_mul_f64 v[4:5], v[27:28], v[4:5]
	s_waitcnt vmcnt(4) lgkmcnt(0)
	v_mul_f64 v[115:116], v[111:112], v[8:9]
	v_mul_f64 v[8:9], v[113:114], v[8:9]
	s_delay_alu instid0(VALU_DEP_4) | instskip(NEXT) | instid1(VALU_DEP_4)
	v_fma_f64 v[31:32], v[27:28], v[2:3], -v[31:32]
	v_fma_f64 v[117:118], v[29:30], v[2:3], v[4:5]
	ds_load_b128 v[2:5], v1 offset:784
	ds_load_b128 v[27:30], v1 offset:800
	v_fma_f64 v[113:114], v[113:114], v[6:7], v[115:116]
	v_fma_f64 v[6:7], v[111:112], v[6:7], -v[8:9]
	s_waitcnt vmcnt(3) lgkmcnt(1)
	v_mul_f64 v[119:120], v[2:3], v[12:13]
	v_mul_f64 v[12:13], v[4:5], v[12:13]
	s_waitcnt vmcnt(2) lgkmcnt(0)
	v_mul_f64 v[111:112], v[27:28], v[16:17]
	v_mul_f64 v[16:17], v[29:30], v[16:17]
	v_add_f64 v[8:9], v[31:32], 0
	v_add_f64 v[31:32], v[117:118], 0
	v_fma_f64 v[115:116], v[4:5], v[10:11], v[119:120]
	v_fma_f64 v[10:11], v[2:3], v[10:11], -v[12:13]
	ds_load_b128 v[2:5], v1 offset:816
	v_fma_f64 v[29:30], v[29:30], v[14:15], v[111:112]
	v_fma_f64 v[14:15], v[27:28], v[14:15], -v[16:17]
	v_add_f64 v[6:7], v[8:9], v[6:7]
	v_add_f64 v[8:9], v[31:32], v[113:114]
	s_waitcnt vmcnt(1) lgkmcnt(0)
	v_mul_f64 v[12:13], v[2:3], v[20:21]
	v_mul_f64 v[20:21], v[4:5], v[20:21]
	s_delay_alu instid0(VALU_DEP_4) | instskip(NEXT) | instid1(VALU_DEP_4)
	v_add_f64 v[6:7], v[6:7], v[10:11]
	v_add_f64 v[8:9], v[8:9], v[115:116]
	s_delay_alu instid0(VALU_DEP_4) | instskip(NEXT) | instid1(VALU_DEP_4)
	v_fma_f64 v[4:5], v[4:5], v[18:19], v[12:13]
	v_fma_f64 v[2:3], v[2:3], v[18:19], -v[20:21]
	s_delay_alu instid0(VALU_DEP_4) | instskip(NEXT) | instid1(VALU_DEP_4)
	v_add_f64 v[6:7], v[6:7], v[14:15]
	v_add_f64 v[8:9], v[8:9], v[29:30]
	s_delay_alu instid0(VALU_DEP_2) | instskip(NEXT) | instid1(VALU_DEP_2)
	v_add_f64 v[2:3], v[6:7], v[2:3]
	v_add_f64 v[4:5], v[8:9], v[4:5]
	s_waitcnt vmcnt(0)
	s_delay_alu instid0(VALU_DEP_2) | instskip(NEXT) | instid1(VALU_DEP_2)
	v_add_f64 v[2:3], v[22:23], -v[2:3]
	v_add_f64 v[4:5], v[24:25], -v[4:5]
	scratch_store_b128 off, v[2:5], off offset:320
	v_cmpx_lt_u32_e32 19, v85
	s_cbranch_execz .LBB89_131
; %bb.130:
	scratch_load_b128 v[5:8], v94, off
	v_mov_b32_e32 v2, v1
	v_mov_b32_e32 v3, v1
	;; [unrolled: 1-line block ×3, first 2 shown]
	scratch_store_b128 off, v[1:4], off offset:304
	s_waitcnt vmcnt(0)
	ds_store_b128 v26, v[5:8]
.LBB89_131:
	s_or_b32 exec_lo, exec_lo, s2
	s_waitcnt lgkmcnt(0)
	s_waitcnt_vscnt null, 0x0
	s_barrier
	buffer_gl0_inv
	s_clause 0x5
	scratch_load_b128 v[2:5], off, off offset:320
	scratch_load_b128 v[6:9], off, off offset:336
	;; [unrolled: 1-line block ×6, first 2 shown]
	ds_load_b128 v[27:30], v1 offset:736
	ds_load_b128 v[115:118], v1 offset:752
	scratch_load_b128 v[111:114], off, off offset:304
	s_mov_b32 s2, exec_lo
	s_waitcnt vmcnt(6) lgkmcnt(1)
	v_mul_f64 v[31:32], v[29:30], v[4:5]
	v_mul_f64 v[4:5], v[27:28], v[4:5]
	s_waitcnt vmcnt(5) lgkmcnt(0)
	v_mul_f64 v[119:120], v[115:116], v[8:9]
	v_mul_f64 v[8:9], v[117:118], v[8:9]
	s_delay_alu instid0(VALU_DEP_4) | instskip(NEXT) | instid1(VALU_DEP_4)
	v_fma_f64 v[31:32], v[27:28], v[2:3], -v[31:32]
	v_fma_f64 v[121:122], v[29:30], v[2:3], v[4:5]
	ds_load_b128 v[2:5], v1 offset:768
	ds_load_b128 v[27:30], v1 offset:784
	v_fma_f64 v[117:118], v[117:118], v[6:7], v[119:120]
	v_fma_f64 v[6:7], v[115:116], v[6:7], -v[8:9]
	s_waitcnt vmcnt(4) lgkmcnt(1)
	v_mul_f64 v[123:124], v[2:3], v[12:13]
	v_mul_f64 v[12:13], v[4:5], v[12:13]
	s_waitcnt vmcnt(3) lgkmcnt(0)
	v_mul_f64 v[115:116], v[27:28], v[16:17]
	v_mul_f64 v[16:17], v[29:30], v[16:17]
	v_add_f64 v[8:9], v[31:32], 0
	v_add_f64 v[31:32], v[121:122], 0
	v_fma_f64 v[119:120], v[4:5], v[10:11], v[123:124]
	v_fma_f64 v[10:11], v[2:3], v[10:11], -v[12:13]
	v_fma_f64 v[29:30], v[29:30], v[14:15], v[115:116]
	v_fma_f64 v[14:15], v[27:28], v[14:15], -v[16:17]
	v_add_f64 v[12:13], v[8:9], v[6:7]
	v_add_f64 v[31:32], v[31:32], v[117:118]
	ds_load_b128 v[2:5], v1 offset:800
	ds_load_b128 v[6:9], v1 offset:816
	s_waitcnt vmcnt(2) lgkmcnt(1)
	v_mul_f64 v[117:118], v[2:3], v[20:21]
	v_mul_f64 v[20:21], v[4:5], v[20:21]
	s_waitcnt vmcnt(1) lgkmcnt(0)
	v_mul_f64 v[16:17], v[6:7], v[24:25]
	v_mul_f64 v[24:25], v[8:9], v[24:25]
	v_add_f64 v[10:11], v[12:13], v[10:11]
	v_add_f64 v[12:13], v[31:32], v[119:120]
	v_fma_f64 v[4:5], v[4:5], v[18:19], v[117:118]
	v_fma_f64 v[1:2], v[2:3], v[18:19], -v[20:21]
	v_fma_f64 v[8:9], v[8:9], v[22:23], v[16:17]
	v_fma_f64 v[6:7], v[6:7], v[22:23], -v[24:25]
	v_add_f64 v[10:11], v[10:11], v[14:15]
	v_add_f64 v[12:13], v[12:13], v[29:30]
	s_delay_alu instid0(VALU_DEP_2) | instskip(NEXT) | instid1(VALU_DEP_2)
	v_add_f64 v[1:2], v[10:11], v[1:2]
	v_add_f64 v[3:4], v[12:13], v[4:5]
	s_delay_alu instid0(VALU_DEP_2) | instskip(NEXT) | instid1(VALU_DEP_2)
	v_add_f64 v[1:2], v[1:2], v[6:7]
	v_add_f64 v[3:4], v[3:4], v[8:9]
	s_waitcnt vmcnt(0)
	s_delay_alu instid0(VALU_DEP_2) | instskip(NEXT) | instid1(VALU_DEP_2)
	v_add_f64 v[1:2], v[111:112], -v[1:2]
	v_add_f64 v[3:4], v[113:114], -v[3:4]
	scratch_store_b128 off, v[1:4], off offset:304
	v_cmpx_lt_u32_e32 18, v85
	s_cbranch_execz .LBB89_133
; %bb.132:
	scratch_load_b128 v[1:4], v88, off
	v_mov_b32_e32 v5, 0
	s_delay_alu instid0(VALU_DEP_1)
	v_mov_b32_e32 v6, v5
	v_mov_b32_e32 v7, v5
	;; [unrolled: 1-line block ×3, first 2 shown]
	scratch_store_b128 off, v[5:8], off offset:288
	s_waitcnt vmcnt(0)
	ds_store_b128 v26, v[1:4]
.LBB89_133:
	s_or_b32 exec_lo, exec_lo, s2
	s_waitcnt lgkmcnt(0)
	s_waitcnt_vscnt null, 0x0
	s_barrier
	buffer_gl0_inv
	s_clause 0x6
	scratch_load_b128 v[2:5], off, off offset:304
	scratch_load_b128 v[6:9], off, off offset:320
	;; [unrolled: 1-line block ×7, first 2 shown]
	v_mov_b32_e32 v1, 0
	scratch_load_b128 v[115:118], off, off offset:288
	s_mov_b32 s2, exec_lo
	ds_load_b128 v[111:114], v1 offset:720
	ds_load_b128 v[119:122], v1 offset:736
	s_waitcnt vmcnt(7) lgkmcnt(1)
	v_mul_f64 v[31:32], v[113:114], v[4:5]
	v_mul_f64 v[4:5], v[111:112], v[4:5]
	s_waitcnt vmcnt(6) lgkmcnt(0)
	v_mul_f64 v[123:124], v[119:120], v[8:9]
	v_mul_f64 v[8:9], v[121:122], v[8:9]
	s_delay_alu instid0(VALU_DEP_4) | instskip(NEXT) | instid1(VALU_DEP_4)
	v_fma_f64 v[31:32], v[111:112], v[2:3], -v[31:32]
	v_fma_f64 v[125:126], v[113:114], v[2:3], v[4:5]
	ds_load_b128 v[2:5], v1 offset:752
	ds_load_b128 v[111:114], v1 offset:768
	v_fma_f64 v[121:122], v[121:122], v[6:7], v[123:124]
	v_fma_f64 v[6:7], v[119:120], v[6:7], -v[8:9]
	s_waitcnt vmcnt(5) lgkmcnt(1)
	v_mul_f64 v[127:128], v[2:3], v[12:13]
	v_mul_f64 v[12:13], v[4:5], v[12:13]
	s_waitcnt vmcnt(4) lgkmcnt(0)
	v_mul_f64 v[119:120], v[111:112], v[16:17]
	v_mul_f64 v[16:17], v[113:114], v[16:17]
	v_add_f64 v[8:9], v[31:32], 0
	v_add_f64 v[31:32], v[125:126], 0
	v_fma_f64 v[123:124], v[4:5], v[10:11], v[127:128]
	v_fma_f64 v[10:11], v[2:3], v[10:11], -v[12:13]
	v_fma_f64 v[113:114], v[113:114], v[14:15], v[119:120]
	v_fma_f64 v[14:15], v[111:112], v[14:15], -v[16:17]
	v_add_f64 v[12:13], v[8:9], v[6:7]
	v_add_f64 v[31:32], v[31:32], v[121:122]
	ds_load_b128 v[2:5], v1 offset:784
	ds_load_b128 v[6:9], v1 offset:800
	s_waitcnt vmcnt(3) lgkmcnt(1)
	v_mul_f64 v[121:122], v[2:3], v[20:21]
	v_mul_f64 v[20:21], v[4:5], v[20:21]
	s_waitcnt vmcnt(2) lgkmcnt(0)
	v_mul_f64 v[16:17], v[6:7], v[24:25]
	v_mul_f64 v[24:25], v[8:9], v[24:25]
	v_add_f64 v[10:11], v[12:13], v[10:11]
	v_add_f64 v[12:13], v[31:32], v[123:124]
	v_fma_f64 v[31:32], v[4:5], v[18:19], v[121:122]
	v_fma_f64 v[18:19], v[2:3], v[18:19], -v[20:21]
	ds_load_b128 v[2:5], v1 offset:816
	v_fma_f64 v[8:9], v[8:9], v[22:23], v[16:17]
	v_fma_f64 v[6:7], v[6:7], v[22:23], -v[24:25]
	v_add_f64 v[10:11], v[10:11], v[14:15]
	v_add_f64 v[12:13], v[12:13], v[113:114]
	s_waitcnt vmcnt(1) lgkmcnt(0)
	v_mul_f64 v[14:15], v[2:3], v[29:30]
	v_mul_f64 v[20:21], v[4:5], v[29:30]
	s_delay_alu instid0(VALU_DEP_4) | instskip(NEXT) | instid1(VALU_DEP_4)
	v_add_f64 v[10:11], v[10:11], v[18:19]
	v_add_f64 v[12:13], v[12:13], v[31:32]
	s_delay_alu instid0(VALU_DEP_4) | instskip(NEXT) | instid1(VALU_DEP_4)
	v_fma_f64 v[4:5], v[4:5], v[27:28], v[14:15]
	v_fma_f64 v[2:3], v[2:3], v[27:28], -v[20:21]
	s_delay_alu instid0(VALU_DEP_4) | instskip(NEXT) | instid1(VALU_DEP_4)
	v_add_f64 v[6:7], v[10:11], v[6:7]
	v_add_f64 v[8:9], v[12:13], v[8:9]
	s_delay_alu instid0(VALU_DEP_2) | instskip(NEXT) | instid1(VALU_DEP_2)
	v_add_f64 v[2:3], v[6:7], v[2:3]
	v_add_f64 v[4:5], v[8:9], v[4:5]
	s_waitcnt vmcnt(0)
	s_delay_alu instid0(VALU_DEP_2) | instskip(NEXT) | instid1(VALU_DEP_2)
	v_add_f64 v[2:3], v[115:116], -v[2:3]
	v_add_f64 v[4:5], v[117:118], -v[4:5]
	scratch_store_b128 off, v[2:5], off offset:288
	v_cmpx_lt_u32_e32 17, v85
	s_cbranch_execz .LBB89_135
; %bb.134:
	scratch_load_b128 v[5:8], v106, off
	v_mov_b32_e32 v2, v1
	v_mov_b32_e32 v3, v1
	;; [unrolled: 1-line block ×3, first 2 shown]
	scratch_store_b128 off, v[1:4], off offset:272
	s_waitcnt vmcnt(0)
	ds_store_b128 v26, v[5:8]
.LBB89_135:
	s_or_b32 exec_lo, exec_lo, s2
	s_waitcnt lgkmcnt(0)
	s_waitcnt_vscnt null, 0x0
	s_barrier
	buffer_gl0_inv
	s_clause 0x7
	scratch_load_b128 v[2:5], off, off offset:288
	scratch_load_b128 v[6:9], off, off offset:304
	;; [unrolled: 1-line block ×8, first 2 shown]
	ds_load_b128 v[115:118], v1 offset:704
	ds_load_b128 v[119:122], v1 offset:720
	scratch_load_b128 v[123:126], off, off offset:272
	s_mov_b32 s2, exec_lo
	s_waitcnt vmcnt(8) lgkmcnt(1)
	v_mul_f64 v[31:32], v[117:118], v[4:5]
	v_mul_f64 v[4:5], v[115:116], v[4:5]
	s_waitcnt vmcnt(7) lgkmcnt(0)
	v_mul_f64 v[127:128], v[119:120], v[8:9]
	v_mul_f64 v[8:9], v[121:122], v[8:9]
	s_delay_alu instid0(VALU_DEP_4) | instskip(NEXT) | instid1(VALU_DEP_4)
	v_fma_f64 v[31:32], v[115:116], v[2:3], -v[31:32]
	v_fma_f64 v[129:130], v[117:118], v[2:3], v[4:5]
	ds_load_b128 v[2:5], v1 offset:736
	ds_load_b128 v[115:118], v1 offset:752
	v_fma_f64 v[121:122], v[121:122], v[6:7], v[127:128]
	v_fma_f64 v[6:7], v[119:120], v[6:7], -v[8:9]
	s_waitcnt vmcnt(6) lgkmcnt(1)
	v_mul_f64 v[131:132], v[2:3], v[12:13]
	v_mul_f64 v[12:13], v[4:5], v[12:13]
	s_waitcnt vmcnt(5) lgkmcnt(0)
	v_mul_f64 v[119:120], v[115:116], v[16:17]
	v_mul_f64 v[16:17], v[117:118], v[16:17]
	v_add_f64 v[8:9], v[31:32], 0
	v_add_f64 v[31:32], v[129:130], 0
	v_fma_f64 v[127:128], v[4:5], v[10:11], v[131:132]
	v_fma_f64 v[10:11], v[2:3], v[10:11], -v[12:13]
	v_fma_f64 v[117:118], v[117:118], v[14:15], v[119:120]
	v_fma_f64 v[14:15], v[115:116], v[14:15], -v[16:17]
	v_add_f64 v[12:13], v[8:9], v[6:7]
	v_add_f64 v[31:32], v[31:32], v[121:122]
	ds_load_b128 v[2:5], v1 offset:768
	ds_load_b128 v[6:9], v1 offset:784
	s_waitcnt vmcnt(4) lgkmcnt(1)
	v_mul_f64 v[121:122], v[2:3], v[20:21]
	v_mul_f64 v[20:21], v[4:5], v[20:21]
	s_waitcnt vmcnt(3) lgkmcnt(0)
	v_mul_f64 v[16:17], v[6:7], v[24:25]
	v_mul_f64 v[24:25], v[8:9], v[24:25]
	v_add_f64 v[10:11], v[12:13], v[10:11]
	v_add_f64 v[12:13], v[31:32], v[127:128]
	v_fma_f64 v[31:32], v[4:5], v[18:19], v[121:122]
	v_fma_f64 v[18:19], v[2:3], v[18:19], -v[20:21]
	v_fma_f64 v[8:9], v[8:9], v[22:23], v[16:17]
	v_fma_f64 v[6:7], v[6:7], v[22:23], -v[24:25]
	v_add_f64 v[14:15], v[10:11], v[14:15]
	v_add_f64 v[20:21], v[12:13], v[117:118]
	ds_load_b128 v[2:5], v1 offset:800
	ds_load_b128 v[10:13], v1 offset:816
	s_waitcnt vmcnt(2) lgkmcnt(1)
	v_mul_f64 v[115:116], v[2:3], v[29:30]
	v_mul_f64 v[29:30], v[4:5], v[29:30]
	v_add_f64 v[14:15], v[14:15], v[18:19]
	v_add_f64 v[16:17], v[20:21], v[31:32]
	s_waitcnt vmcnt(1) lgkmcnt(0)
	v_mul_f64 v[18:19], v[10:11], v[113:114]
	v_mul_f64 v[20:21], v[12:13], v[113:114]
	v_fma_f64 v[4:5], v[4:5], v[27:28], v[115:116]
	v_fma_f64 v[1:2], v[2:3], v[27:28], -v[29:30]
	v_add_f64 v[6:7], v[14:15], v[6:7]
	v_add_f64 v[8:9], v[16:17], v[8:9]
	v_fma_f64 v[12:13], v[12:13], v[111:112], v[18:19]
	v_fma_f64 v[10:11], v[10:11], v[111:112], -v[20:21]
	s_delay_alu instid0(VALU_DEP_4) | instskip(NEXT) | instid1(VALU_DEP_4)
	v_add_f64 v[1:2], v[6:7], v[1:2]
	v_add_f64 v[3:4], v[8:9], v[4:5]
	s_delay_alu instid0(VALU_DEP_2) | instskip(NEXT) | instid1(VALU_DEP_2)
	v_add_f64 v[1:2], v[1:2], v[10:11]
	v_add_f64 v[3:4], v[3:4], v[12:13]
	s_waitcnt vmcnt(0)
	s_delay_alu instid0(VALU_DEP_2) | instskip(NEXT) | instid1(VALU_DEP_2)
	v_add_f64 v[1:2], v[123:124], -v[1:2]
	v_add_f64 v[3:4], v[125:126], -v[3:4]
	scratch_store_b128 off, v[1:4], off offset:272
	v_cmpx_lt_u32_e32 16, v85
	s_cbranch_execz .LBB89_137
; %bb.136:
	scratch_load_b128 v[1:4], v105, off
	v_mov_b32_e32 v5, 0
	s_delay_alu instid0(VALU_DEP_1)
	v_mov_b32_e32 v6, v5
	v_mov_b32_e32 v7, v5
	;; [unrolled: 1-line block ×3, first 2 shown]
	scratch_store_b128 off, v[5:8], off offset:256
	s_waitcnt vmcnt(0)
	ds_store_b128 v26, v[1:4]
.LBB89_137:
	s_or_b32 exec_lo, exec_lo, s2
	s_waitcnt lgkmcnt(0)
	s_waitcnt_vscnt null, 0x0
	s_barrier
	buffer_gl0_inv
	s_clause 0x7
	scratch_load_b128 v[2:5], off, off offset:272
	scratch_load_b128 v[6:9], off, off offset:288
	;; [unrolled: 1-line block ×8, first 2 shown]
	v_mov_b32_e32 v1, 0
	s_mov_b32 s2, exec_lo
	ds_load_b128 v[115:118], v1 offset:688
	s_clause 0x1
	scratch_load_b128 v[119:122], off, off offset:400
	scratch_load_b128 v[123:126], off, off offset:256
	ds_load_b128 v[127:130], v1 offset:704
	s_waitcnt vmcnt(9) lgkmcnt(1)
	v_mul_f64 v[31:32], v[117:118], v[4:5]
	v_mul_f64 v[4:5], v[115:116], v[4:5]
	s_waitcnt vmcnt(8) lgkmcnt(0)
	v_mul_f64 v[131:132], v[127:128], v[8:9]
	v_mul_f64 v[8:9], v[129:130], v[8:9]
	s_delay_alu instid0(VALU_DEP_4) | instskip(NEXT) | instid1(VALU_DEP_4)
	v_fma_f64 v[31:32], v[115:116], v[2:3], -v[31:32]
	v_fma_f64 v[133:134], v[117:118], v[2:3], v[4:5]
	ds_load_b128 v[2:5], v1 offset:720
	ds_load_b128 v[115:118], v1 offset:736
	v_fma_f64 v[129:130], v[129:130], v[6:7], v[131:132]
	v_fma_f64 v[6:7], v[127:128], v[6:7], -v[8:9]
	s_waitcnt vmcnt(7) lgkmcnt(1)
	v_mul_f64 v[135:136], v[2:3], v[12:13]
	v_mul_f64 v[12:13], v[4:5], v[12:13]
	s_waitcnt vmcnt(6) lgkmcnt(0)
	v_mul_f64 v[127:128], v[115:116], v[16:17]
	v_mul_f64 v[16:17], v[117:118], v[16:17]
	v_add_f64 v[8:9], v[31:32], 0
	v_add_f64 v[31:32], v[133:134], 0
	v_fma_f64 v[131:132], v[4:5], v[10:11], v[135:136]
	v_fma_f64 v[10:11], v[2:3], v[10:11], -v[12:13]
	v_fma_f64 v[117:118], v[117:118], v[14:15], v[127:128]
	v_fma_f64 v[14:15], v[115:116], v[14:15], -v[16:17]
	v_add_f64 v[12:13], v[8:9], v[6:7]
	v_add_f64 v[31:32], v[31:32], v[129:130]
	ds_load_b128 v[2:5], v1 offset:752
	ds_load_b128 v[6:9], v1 offset:768
	s_waitcnt vmcnt(5) lgkmcnt(1)
	v_mul_f64 v[129:130], v[2:3], v[20:21]
	v_mul_f64 v[20:21], v[4:5], v[20:21]
	s_waitcnt vmcnt(4) lgkmcnt(0)
	v_mul_f64 v[16:17], v[6:7], v[24:25]
	v_mul_f64 v[24:25], v[8:9], v[24:25]
	v_add_f64 v[10:11], v[12:13], v[10:11]
	v_add_f64 v[12:13], v[31:32], v[131:132]
	v_fma_f64 v[31:32], v[4:5], v[18:19], v[129:130]
	v_fma_f64 v[18:19], v[2:3], v[18:19], -v[20:21]
	v_fma_f64 v[8:9], v[8:9], v[22:23], v[16:17]
	v_fma_f64 v[6:7], v[6:7], v[22:23], -v[24:25]
	v_add_f64 v[14:15], v[10:11], v[14:15]
	v_add_f64 v[20:21], v[12:13], v[117:118]
	ds_load_b128 v[2:5], v1 offset:784
	ds_load_b128 v[10:13], v1 offset:800
	s_waitcnt vmcnt(3) lgkmcnt(1)
	v_mul_f64 v[115:116], v[2:3], v[29:30]
	v_mul_f64 v[29:30], v[4:5], v[29:30]
	v_add_f64 v[14:15], v[14:15], v[18:19]
	v_add_f64 v[16:17], v[20:21], v[31:32]
	s_waitcnt vmcnt(2) lgkmcnt(0)
	v_mul_f64 v[18:19], v[10:11], v[113:114]
	v_mul_f64 v[20:21], v[12:13], v[113:114]
	v_fma_f64 v[22:23], v[4:5], v[27:28], v[115:116]
	v_fma_f64 v[24:25], v[2:3], v[27:28], -v[29:30]
	ds_load_b128 v[2:5], v1 offset:816
	v_add_f64 v[6:7], v[14:15], v[6:7]
	v_add_f64 v[8:9], v[16:17], v[8:9]
	v_fma_f64 v[12:13], v[12:13], v[111:112], v[18:19]
	v_fma_f64 v[10:11], v[10:11], v[111:112], -v[20:21]
	s_waitcnt vmcnt(1) lgkmcnt(0)
	v_mul_f64 v[14:15], v[2:3], v[121:122]
	v_mul_f64 v[16:17], v[4:5], v[121:122]
	v_add_f64 v[6:7], v[6:7], v[24:25]
	v_add_f64 v[8:9], v[8:9], v[22:23]
	s_delay_alu instid0(VALU_DEP_4) | instskip(NEXT) | instid1(VALU_DEP_4)
	v_fma_f64 v[4:5], v[4:5], v[119:120], v[14:15]
	v_fma_f64 v[2:3], v[2:3], v[119:120], -v[16:17]
	s_delay_alu instid0(VALU_DEP_4) | instskip(NEXT) | instid1(VALU_DEP_4)
	v_add_f64 v[6:7], v[6:7], v[10:11]
	v_add_f64 v[8:9], v[8:9], v[12:13]
	s_delay_alu instid0(VALU_DEP_2) | instskip(NEXT) | instid1(VALU_DEP_2)
	v_add_f64 v[2:3], v[6:7], v[2:3]
	v_add_f64 v[4:5], v[8:9], v[4:5]
	s_waitcnt vmcnt(0)
	s_delay_alu instid0(VALU_DEP_2) | instskip(NEXT) | instid1(VALU_DEP_2)
	v_add_f64 v[2:3], v[123:124], -v[2:3]
	v_add_f64 v[4:5], v[125:126], -v[4:5]
	scratch_store_b128 off, v[2:5], off offset:256
	v_cmpx_lt_u32_e32 15, v85
	s_cbranch_execz .LBB89_139
; %bb.138:
	scratch_load_b128 v[5:8], v107, off
	v_mov_b32_e32 v2, v1
	v_mov_b32_e32 v3, v1
	;; [unrolled: 1-line block ×3, first 2 shown]
	scratch_store_b128 off, v[1:4], off offset:240
	s_waitcnt vmcnt(0)
	ds_store_b128 v26, v[5:8]
.LBB89_139:
	s_or_b32 exec_lo, exec_lo, s2
	s_waitcnt lgkmcnt(0)
	s_waitcnt_vscnt null, 0x0
	s_barrier
	buffer_gl0_inv
	s_clause 0x8
	scratch_load_b128 v[2:5], off, off offset:256
	scratch_load_b128 v[6:9], off, off offset:272
	;; [unrolled: 1-line block ×9, first 2 shown]
	ds_load_b128 v[119:122], v1 offset:672
	ds_load_b128 v[123:126], v1 offset:688
	s_clause 0x1
	scratch_load_b128 v[127:130], off, off offset:240
	scratch_load_b128 v[131:134], off, off offset:400
	s_mov_b32 s2, exec_lo
	s_waitcnt vmcnt(10) lgkmcnt(1)
	v_mul_f64 v[31:32], v[121:122], v[4:5]
	v_mul_f64 v[4:5], v[119:120], v[4:5]
	s_waitcnt vmcnt(9) lgkmcnt(0)
	v_mul_f64 v[135:136], v[123:124], v[8:9]
	v_mul_f64 v[8:9], v[125:126], v[8:9]
	s_delay_alu instid0(VALU_DEP_4) | instskip(NEXT) | instid1(VALU_DEP_4)
	v_fma_f64 v[31:32], v[119:120], v[2:3], -v[31:32]
	v_fma_f64 v[137:138], v[121:122], v[2:3], v[4:5]
	ds_load_b128 v[2:5], v1 offset:704
	ds_load_b128 v[119:122], v1 offset:720
	v_fma_f64 v[125:126], v[125:126], v[6:7], v[135:136]
	v_fma_f64 v[6:7], v[123:124], v[6:7], -v[8:9]
	s_waitcnt vmcnt(8) lgkmcnt(1)
	v_mul_f64 v[139:140], v[2:3], v[12:13]
	v_mul_f64 v[12:13], v[4:5], v[12:13]
	s_waitcnt vmcnt(7) lgkmcnt(0)
	v_mul_f64 v[123:124], v[119:120], v[16:17]
	v_mul_f64 v[16:17], v[121:122], v[16:17]
	v_add_f64 v[8:9], v[31:32], 0
	v_add_f64 v[31:32], v[137:138], 0
	v_fma_f64 v[135:136], v[4:5], v[10:11], v[139:140]
	v_fma_f64 v[10:11], v[2:3], v[10:11], -v[12:13]
	v_fma_f64 v[121:122], v[121:122], v[14:15], v[123:124]
	v_fma_f64 v[14:15], v[119:120], v[14:15], -v[16:17]
	v_add_f64 v[12:13], v[8:9], v[6:7]
	v_add_f64 v[31:32], v[31:32], v[125:126]
	ds_load_b128 v[2:5], v1 offset:736
	ds_load_b128 v[6:9], v1 offset:752
	s_waitcnt vmcnt(6) lgkmcnt(1)
	v_mul_f64 v[125:126], v[2:3], v[20:21]
	v_mul_f64 v[20:21], v[4:5], v[20:21]
	s_waitcnt vmcnt(5) lgkmcnt(0)
	v_mul_f64 v[16:17], v[6:7], v[24:25]
	v_mul_f64 v[24:25], v[8:9], v[24:25]
	v_add_f64 v[10:11], v[12:13], v[10:11]
	v_add_f64 v[12:13], v[31:32], v[135:136]
	v_fma_f64 v[31:32], v[4:5], v[18:19], v[125:126]
	v_fma_f64 v[18:19], v[2:3], v[18:19], -v[20:21]
	v_fma_f64 v[8:9], v[8:9], v[22:23], v[16:17]
	v_fma_f64 v[6:7], v[6:7], v[22:23], -v[24:25]
	v_add_f64 v[14:15], v[10:11], v[14:15]
	v_add_f64 v[20:21], v[12:13], v[121:122]
	ds_load_b128 v[2:5], v1 offset:768
	ds_load_b128 v[10:13], v1 offset:784
	s_waitcnt vmcnt(4) lgkmcnt(1)
	v_mul_f64 v[119:120], v[2:3], v[29:30]
	v_mul_f64 v[29:30], v[4:5], v[29:30]
	v_add_f64 v[14:15], v[14:15], v[18:19]
	v_add_f64 v[16:17], v[20:21], v[31:32]
	s_waitcnt vmcnt(3) lgkmcnt(0)
	v_mul_f64 v[18:19], v[10:11], v[113:114]
	v_mul_f64 v[20:21], v[12:13], v[113:114]
	v_fma_f64 v[22:23], v[4:5], v[27:28], v[119:120]
	v_fma_f64 v[24:25], v[2:3], v[27:28], -v[29:30]
	v_add_f64 v[14:15], v[14:15], v[6:7]
	v_add_f64 v[16:17], v[16:17], v[8:9]
	ds_load_b128 v[2:5], v1 offset:800
	ds_load_b128 v[6:9], v1 offset:816
	v_fma_f64 v[12:13], v[12:13], v[111:112], v[18:19]
	v_fma_f64 v[10:11], v[10:11], v[111:112], -v[20:21]
	s_waitcnt vmcnt(2) lgkmcnt(1)
	v_mul_f64 v[27:28], v[2:3], v[117:118]
	v_mul_f64 v[29:30], v[4:5], v[117:118]
	s_waitcnt vmcnt(0) lgkmcnt(0)
	v_mul_f64 v[18:19], v[6:7], v[133:134]
	v_mul_f64 v[20:21], v[8:9], v[133:134]
	v_add_f64 v[14:15], v[14:15], v[24:25]
	v_add_f64 v[16:17], v[16:17], v[22:23]
	v_fma_f64 v[4:5], v[4:5], v[115:116], v[27:28]
	v_fma_f64 v[1:2], v[2:3], v[115:116], -v[29:30]
	v_fma_f64 v[8:9], v[8:9], v[131:132], v[18:19]
	v_fma_f64 v[6:7], v[6:7], v[131:132], -v[20:21]
	v_add_f64 v[10:11], v[14:15], v[10:11]
	v_add_f64 v[12:13], v[16:17], v[12:13]
	s_delay_alu instid0(VALU_DEP_2) | instskip(NEXT) | instid1(VALU_DEP_2)
	v_add_f64 v[1:2], v[10:11], v[1:2]
	v_add_f64 v[3:4], v[12:13], v[4:5]
	s_delay_alu instid0(VALU_DEP_2) | instskip(NEXT) | instid1(VALU_DEP_2)
	;; [unrolled: 3-line block ×3, first 2 shown]
	v_add_f64 v[1:2], v[127:128], -v[1:2]
	v_add_f64 v[3:4], v[129:130], -v[3:4]
	scratch_store_b128 off, v[1:4], off offset:240
	v_cmpx_lt_u32_e32 14, v85
	s_cbranch_execz .LBB89_141
; %bb.140:
	scratch_load_b128 v[1:4], v108, off
	v_mov_b32_e32 v5, 0
	s_delay_alu instid0(VALU_DEP_1)
	v_mov_b32_e32 v6, v5
	v_mov_b32_e32 v7, v5
	;; [unrolled: 1-line block ×3, first 2 shown]
	scratch_store_b128 off, v[5:8], off offset:224
	s_waitcnt vmcnt(0)
	ds_store_b128 v26, v[1:4]
.LBB89_141:
	s_or_b32 exec_lo, exec_lo, s2
	s_waitcnt lgkmcnt(0)
	s_waitcnt_vscnt null, 0x0
	s_barrier
	buffer_gl0_inv
	s_clause 0x7
	scratch_load_b128 v[2:5], off, off offset:240
	scratch_load_b128 v[6:9], off, off offset:256
	;; [unrolled: 1-line block ×8, first 2 shown]
	v_mov_b32_e32 v1, 0
	s_clause 0x1
	scratch_load_b128 v[119:122], off, off offset:368
	scratch_load_b128 v[127:130], off, off offset:384
	s_mov_b32 s2, exec_lo
	ds_load_b128 v[115:118], v1 offset:656
	ds_load_b128 v[123:126], v1 offset:672
	s_waitcnt vmcnt(9) lgkmcnt(1)
	v_mul_f64 v[31:32], v[117:118], v[4:5]
	v_mul_f64 v[4:5], v[115:116], v[4:5]
	s_waitcnt vmcnt(8) lgkmcnt(0)
	v_mul_f64 v[131:132], v[123:124], v[8:9]
	v_mul_f64 v[8:9], v[125:126], v[8:9]
	s_delay_alu instid0(VALU_DEP_4) | instskip(NEXT) | instid1(VALU_DEP_4)
	v_fma_f64 v[31:32], v[115:116], v[2:3], -v[31:32]
	v_fma_f64 v[133:134], v[117:118], v[2:3], v[4:5]
	ds_load_b128 v[2:5], v1 offset:688
	scratch_load_b128 v[115:118], off, off offset:400
	v_fma_f64 v[125:126], v[125:126], v[6:7], v[131:132]
	v_fma_f64 v[123:124], v[123:124], v[6:7], -v[8:9]
	ds_load_b128 v[6:9], v1 offset:704
	s_waitcnt vmcnt(8) lgkmcnt(1)
	v_mul_f64 v[135:136], v[2:3], v[12:13]
	v_mul_f64 v[12:13], v[4:5], v[12:13]
	v_add_f64 v[31:32], v[31:32], 0
	v_add_f64 v[131:132], v[133:134], 0
	s_waitcnt vmcnt(7) lgkmcnt(0)
	v_mul_f64 v[133:134], v[6:7], v[16:17]
	v_mul_f64 v[16:17], v[8:9], v[16:17]
	v_fma_f64 v[135:136], v[4:5], v[10:11], v[135:136]
	v_fma_f64 v[10:11], v[2:3], v[10:11], -v[12:13]
	ds_load_b128 v[2:5], v1 offset:720
	v_add_f64 v[12:13], v[31:32], v[123:124]
	v_add_f64 v[31:32], v[131:132], v[125:126]
	v_fma_f64 v[125:126], v[8:9], v[14:15], v[133:134]
	v_fma_f64 v[14:15], v[6:7], v[14:15], -v[16:17]
	ds_load_b128 v[6:9], v1 offset:736
	s_waitcnt vmcnt(6) lgkmcnt(1)
	v_mul_f64 v[123:124], v[2:3], v[20:21]
	v_mul_f64 v[20:21], v[4:5], v[20:21]
	s_waitcnt vmcnt(5) lgkmcnt(0)
	v_mul_f64 v[131:132], v[6:7], v[24:25]
	v_mul_f64 v[24:25], v[8:9], v[24:25]
	v_add_f64 v[16:17], v[12:13], v[10:11]
	v_add_f64 v[31:32], v[31:32], v[135:136]
	scratch_load_b128 v[10:13], off, off offset:224
	v_fma_f64 v[123:124], v[4:5], v[18:19], v[123:124]
	v_fma_f64 v[18:19], v[2:3], v[18:19], -v[20:21]
	ds_load_b128 v[2:5], v1 offset:752
	v_add_f64 v[14:15], v[16:17], v[14:15]
	v_add_f64 v[16:17], v[31:32], v[125:126]
	v_fma_f64 v[31:32], v[8:9], v[22:23], v[131:132]
	v_fma_f64 v[22:23], v[6:7], v[22:23], -v[24:25]
	ds_load_b128 v[6:9], v1 offset:768
	s_waitcnt vmcnt(5) lgkmcnt(1)
	v_mul_f64 v[20:21], v[2:3], v[29:30]
	v_mul_f64 v[29:30], v[4:5], v[29:30]
	s_waitcnt vmcnt(4) lgkmcnt(0)
	v_mul_f64 v[24:25], v[8:9], v[113:114]
	v_add_f64 v[14:15], v[14:15], v[18:19]
	v_add_f64 v[16:17], v[16:17], v[123:124]
	v_mul_f64 v[18:19], v[6:7], v[113:114]
	v_fma_f64 v[20:21], v[4:5], v[27:28], v[20:21]
	v_fma_f64 v[27:28], v[2:3], v[27:28], -v[29:30]
	ds_load_b128 v[2:5], v1 offset:784
	v_fma_f64 v[24:25], v[6:7], v[111:112], -v[24:25]
	v_add_f64 v[14:15], v[14:15], v[22:23]
	v_add_f64 v[16:17], v[16:17], v[31:32]
	v_fma_f64 v[18:19], v[8:9], v[111:112], v[18:19]
	ds_load_b128 v[6:9], v1 offset:800
	s_waitcnt vmcnt(3) lgkmcnt(1)
	v_mul_f64 v[22:23], v[2:3], v[121:122]
	v_mul_f64 v[29:30], v[4:5], v[121:122]
	v_add_f64 v[14:15], v[14:15], v[27:28]
	v_add_f64 v[16:17], v[16:17], v[20:21]
	s_waitcnt vmcnt(2) lgkmcnt(0)
	v_mul_f64 v[20:21], v[6:7], v[129:130]
	v_mul_f64 v[27:28], v[8:9], v[129:130]
	v_fma_f64 v[22:23], v[4:5], v[119:120], v[22:23]
	v_fma_f64 v[29:30], v[2:3], v[119:120], -v[29:30]
	ds_load_b128 v[2:5], v1 offset:816
	v_add_f64 v[14:15], v[14:15], v[24:25]
	v_add_f64 v[16:17], v[16:17], v[18:19]
	v_fma_f64 v[8:9], v[8:9], v[127:128], v[20:21]
	v_fma_f64 v[6:7], v[6:7], v[127:128], -v[27:28]
	s_waitcnt vmcnt(1) lgkmcnt(0)
	v_mul_f64 v[18:19], v[2:3], v[117:118]
	v_mul_f64 v[24:25], v[4:5], v[117:118]
	v_add_f64 v[14:15], v[14:15], v[29:30]
	v_add_f64 v[16:17], v[16:17], v[22:23]
	s_delay_alu instid0(VALU_DEP_4) | instskip(NEXT) | instid1(VALU_DEP_4)
	v_fma_f64 v[4:5], v[4:5], v[115:116], v[18:19]
	v_fma_f64 v[2:3], v[2:3], v[115:116], -v[24:25]
	s_delay_alu instid0(VALU_DEP_4) | instskip(NEXT) | instid1(VALU_DEP_4)
	v_add_f64 v[6:7], v[14:15], v[6:7]
	v_add_f64 v[8:9], v[16:17], v[8:9]
	s_delay_alu instid0(VALU_DEP_2) | instskip(NEXT) | instid1(VALU_DEP_2)
	v_add_f64 v[2:3], v[6:7], v[2:3]
	v_add_f64 v[4:5], v[8:9], v[4:5]
	s_waitcnt vmcnt(0)
	s_delay_alu instid0(VALU_DEP_2) | instskip(NEXT) | instid1(VALU_DEP_2)
	v_add_f64 v[2:3], v[10:11], -v[2:3]
	v_add_f64 v[4:5], v[12:13], -v[4:5]
	scratch_store_b128 off, v[2:5], off offset:224
	v_cmpx_lt_u32_e32 13, v85
	s_cbranch_execz .LBB89_143
; %bb.142:
	scratch_load_b128 v[5:8], v109, off
	v_mov_b32_e32 v2, v1
	v_mov_b32_e32 v3, v1
	;; [unrolled: 1-line block ×3, first 2 shown]
	scratch_store_b128 off, v[1:4], off offset:208
	s_waitcnt vmcnt(0)
	ds_store_b128 v26, v[5:8]
.LBB89_143:
	s_or_b32 exec_lo, exec_lo, s2
	s_waitcnt lgkmcnt(0)
	s_waitcnt_vscnt null, 0x0
	s_barrier
	buffer_gl0_inv
	s_clause 0x7
	scratch_load_b128 v[2:5], off, off offset:224
	scratch_load_b128 v[6:9], off, off offset:240
	;; [unrolled: 1-line block ×8, first 2 shown]
	ds_load_b128 v[115:118], v1 offset:640
	ds_load_b128 v[123:126], v1 offset:656
	s_clause 0x1
	scratch_load_b128 v[119:122], off, off offset:352
	scratch_load_b128 v[127:130], off, off offset:368
	s_mov_b32 s2, exec_lo
	s_waitcnt vmcnt(9) lgkmcnt(1)
	v_mul_f64 v[31:32], v[117:118], v[4:5]
	v_mul_f64 v[4:5], v[115:116], v[4:5]
	s_waitcnt vmcnt(8) lgkmcnt(0)
	v_mul_f64 v[131:132], v[123:124], v[8:9]
	v_mul_f64 v[8:9], v[125:126], v[8:9]
	s_delay_alu instid0(VALU_DEP_4) | instskip(NEXT) | instid1(VALU_DEP_4)
	v_fma_f64 v[31:32], v[115:116], v[2:3], -v[31:32]
	v_fma_f64 v[133:134], v[117:118], v[2:3], v[4:5]
	scratch_load_b128 v[115:118], off, off offset:384
	ds_load_b128 v[2:5], v1 offset:672
	v_fma_f64 v[131:132], v[125:126], v[6:7], v[131:132]
	v_fma_f64 v[137:138], v[123:124], v[6:7], -v[8:9]
	ds_load_b128 v[6:9], v1 offset:688
	scratch_load_b128 v[123:126], off, off offset:400
	s_waitcnt vmcnt(9) lgkmcnt(1)
	v_mul_f64 v[135:136], v[2:3], v[12:13]
	v_mul_f64 v[12:13], v[4:5], v[12:13]
	s_waitcnt vmcnt(8) lgkmcnt(0)
	v_mul_f64 v[139:140], v[6:7], v[16:17]
	v_mul_f64 v[16:17], v[8:9], v[16:17]
	v_add_f64 v[31:32], v[31:32], 0
	v_add_f64 v[133:134], v[133:134], 0
	v_fma_f64 v[135:136], v[4:5], v[10:11], v[135:136]
	v_fma_f64 v[10:11], v[2:3], v[10:11], -v[12:13]
	ds_load_b128 v[2:5], v1 offset:704
	v_add_f64 v[12:13], v[31:32], v[137:138]
	v_add_f64 v[31:32], v[133:134], v[131:132]
	v_fma_f64 v[133:134], v[8:9], v[14:15], v[139:140]
	v_fma_f64 v[14:15], v[6:7], v[14:15], -v[16:17]
	ds_load_b128 v[6:9], v1 offset:720
	s_waitcnt vmcnt(7) lgkmcnt(1)
	v_mul_f64 v[131:132], v[2:3], v[20:21]
	v_mul_f64 v[20:21], v[4:5], v[20:21]
	s_waitcnt vmcnt(6) lgkmcnt(0)
	v_mul_f64 v[16:17], v[6:7], v[24:25]
	v_mul_f64 v[24:25], v[8:9], v[24:25]
	v_add_f64 v[10:11], v[12:13], v[10:11]
	v_add_f64 v[12:13], v[31:32], v[135:136]
	v_fma_f64 v[31:32], v[4:5], v[18:19], v[131:132]
	v_fma_f64 v[18:19], v[2:3], v[18:19], -v[20:21]
	ds_load_b128 v[2:5], v1 offset:736
	v_fma_f64 v[16:17], v[8:9], v[22:23], v[16:17]
	v_fma_f64 v[22:23], v[6:7], v[22:23], -v[24:25]
	ds_load_b128 v[6:9], v1 offset:752
	s_waitcnt vmcnt(5) lgkmcnt(1)
	v_mul_f64 v[131:132], v[2:3], v[29:30]
	v_mul_f64 v[29:30], v[4:5], v[29:30]
	v_add_f64 v[14:15], v[10:11], v[14:15]
	v_add_f64 v[20:21], v[12:13], v[133:134]
	scratch_load_b128 v[10:13], off, off offset:208
	s_waitcnt vmcnt(5) lgkmcnt(0)
	v_mul_f64 v[24:25], v[8:9], v[113:114]
	v_add_f64 v[14:15], v[14:15], v[18:19]
	v_add_f64 v[18:19], v[20:21], v[31:32]
	v_mul_f64 v[20:21], v[6:7], v[113:114]
	v_fma_f64 v[31:32], v[4:5], v[27:28], v[131:132]
	v_fma_f64 v[27:28], v[2:3], v[27:28], -v[29:30]
	ds_load_b128 v[2:5], v1 offset:768
	v_fma_f64 v[24:25], v[6:7], v[111:112], -v[24:25]
	v_add_f64 v[14:15], v[14:15], v[22:23]
	v_add_f64 v[16:17], v[18:19], v[16:17]
	v_fma_f64 v[20:21], v[8:9], v[111:112], v[20:21]
	ds_load_b128 v[6:9], v1 offset:784
	s_waitcnt vmcnt(4) lgkmcnt(1)
	v_mul_f64 v[18:19], v[2:3], v[121:122]
	v_mul_f64 v[22:23], v[4:5], v[121:122]
	s_waitcnt vmcnt(3) lgkmcnt(0)
	v_mul_f64 v[29:30], v[8:9], v[129:130]
	v_add_f64 v[14:15], v[14:15], v[27:28]
	v_add_f64 v[16:17], v[16:17], v[31:32]
	v_mul_f64 v[27:28], v[6:7], v[129:130]
	v_fma_f64 v[18:19], v[4:5], v[119:120], v[18:19]
	v_fma_f64 v[22:23], v[2:3], v[119:120], -v[22:23]
	ds_load_b128 v[2:5], v1 offset:800
	v_fma_f64 v[29:30], v[6:7], v[127:128], -v[29:30]
	v_add_f64 v[14:15], v[14:15], v[24:25]
	v_add_f64 v[16:17], v[16:17], v[20:21]
	v_fma_f64 v[27:28], v[8:9], v[127:128], v[27:28]
	ds_load_b128 v[6:9], v1 offset:816
	s_waitcnt vmcnt(2) lgkmcnt(1)
	v_mul_f64 v[20:21], v[2:3], v[117:118]
	v_mul_f64 v[24:25], v[4:5], v[117:118]
	v_add_f64 v[14:15], v[14:15], v[22:23]
	v_add_f64 v[16:17], v[16:17], v[18:19]
	s_waitcnt vmcnt(1) lgkmcnt(0)
	v_mul_f64 v[18:19], v[6:7], v[125:126]
	v_mul_f64 v[22:23], v[8:9], v[125:126]
	v_fma_f64 v[4:5], v[4:5], v[115:116], v[20:21]
	v_fma_f64 v[1:2], v[2:3], v[115:116], -v[24:25]
	v_add_f64 v[14:15], v[14:15], v[29:30]
	v_add_f64 v[16:17], v[16:17], v[27:28]
	v_fma_f64 v[8:9], v[8:9], v[123:124], v[18:19]
	v_fma_f64 v[6:7], v[6:7], v[123:124], -v[22:23]
	s_delay_alu instid0(VALU_DEP_4) | instskip(NEXT) | instid1(VALU_DEP_4)
	v_add_f64 v[1:2], v[14:15], v[1:2]
	v_add_f64 v[3:4], v[16:17], v[4:5]
	s_delay_alu instid0(VALU_DEP_2) | instskip(NEXT) | instid1(VALU_DEP_2)
	v_add_f64 v[1:2], v[1:2], v[6:7]
	v_add_f64 v[3:4], v[3:4], v[8:9]
	s_waitcnt vmcnt(0)
	s_delay_alu instid0(VALU_DEP_2) | instskip(NEXT) | instid1(VALU_DEP_2)
	v_add_f64 v[1:2], v[10:11], -v[1:2]
	v_add_f64 v[3:4], v[12:13], -v[3:4]
	scratch_store_b128 off, v[1:4], off offset:208
	v_cmpx_lt_u32_e32 12, v85
	s_cbranch_execz .LBB89_145
; %bb.144:
	scratch_load_b128 v[1:4], v110, off
	v_mov_b32_e32 v5, 0
	s_delay_alu instid0(VALU_DEP_1)
	v_mov_b32_e32 v6, v5
	v_mov_b32_e32 v7, v5
	;; [unrolled: 1-line block ×3, first 2 shown]
	scratch_store_b128 off, v[5:8], off offset:192
	s_waitcnt vmcnt(0)
	ds_store_b128 v26, v[1:4]
.LBB89_145:
	s_or_b32 exec_lo, exec_lo, s2
	s_waitcnt lgkmcnt(0)
	s_waitcnt_vscnt null, 0x0
	s_barrier
	buffer_gl0_inv
	s_clause 0x7
	scratch_load_b128 v[2:5], off, off offset:208
	scratch_load_b128 v[6:9], off, off offset:224
	;; [unrolled: 1-line block ×8, first 2 shown]
	v_mov_b32_e32 v1, 0
	s_clause 0x1
	scratch_load_b128 v[119:122], off, off offset:336
	scratch_load_b128 v[127:130], off, off offset:352
	s_mov_b32 s2, exec_lo
	ds_load_b128 v[115:118], v1 offset:624
	ds_load_b128 v[123:126], v1 offset:640
	s_waitcnt vmcnt(9) lgkmcnt(1)
	v_mul_f64 v[31:32], v[117:118], v[4:5]
	v_mul_f64 v[4:5], v[115:116], v[4:5]
	s_waitcnt vmcnt(8) lgkmcnt(0)
	v_mul_f64 v[131:132], v[123:124], v[8:9]
	v_mul_f64 v[8:9], v[125:126], v[8:9]
	s_delay_alu instid0(VALU_DEP_4) | instskip(NEXT) | instid1(VALU_DEP_4)
	v_fma_f64 v[31:32], v[115:116], v[2:3], -v[31:32]
	v_fma_f64 v[133:134], v[117:118], v[2:3], v[4:5]
	ds_load_b128 v[2:5], v1 offset:656
	scratch_load_b128 v[115:118], off, off offset:368
	v_fma_f64 v[131:132], v[125:126], v[6:7], v[131:132]
	v_fma_f64 v[137:138], v[123:124], v[6:7], -v[8:9]
	ds_load_b128 v[6:9], v1 offset:672
	scratch_load_b128 v[123:126], off, off offset:384
	s_waitcnt vmcnt(9) lgkmcnt(1)
	v_mul_f64 v[135:136], v[2:3], v[12:13]
	v_mul_f64 v[12:13], v[4:5], v[12:13]
	s_waitcnt vmcnt(8) lgkmcnt(0)
	v_mul_f64 v[139:140], v[6:7], v[16:17]
	v_mul_f64 v[16:17], v[8:9], v[16:17]
	v_add_f64 v[31:32], v[31:32], 0
	v_add_f64 v[133:134], v[133:134], 0
	v_fma_f64 v[135:136], v[4:5], v[10:11], v[135:136]
	v_fma_f64 v[141:142], v[2:3], v[10:11], -v[12:13]
	scratch_load_b128 v[10:13], off, off offset:400
	ds_load_b128 v[2:5], v1 offset:688
	v_add_f64 v[31:32], v[31:32], v[137:138]
	v_add_f64 v[131:132], v[133:134], v[131:132]
	v_fma_f64 v[137:138], v[8:9], v[14:15], v[139:140]
	v_fma_f64 v[14:15], v[6:7], v[14:15], -v[16:17]
	ds_load_b128 v[6:9], v1 offset:704
	s_waitcnt vmcnt(8) lgkmcnt(1)
	v_mul_f64 v[133:134], v[2:3], v[20:21]
	v_mul_f64 v[20:21], v[4:5], v[20:21]
	v_add_f64 v[16:17], v[31:32], v[141:142]
	v_add_f64 v[31:32], v[131:132], v[135:136]
	s_waitcnt vmcnt(7) lgkmcnt(0)
	v_mul_f64 v[131:132], v[6:7], v[24:25]
	v_mul_f64 v[24:25], v[8:9], v[24:25]
	v_fma_f64 v[133:134], v[4:5], v[18:19], v[133:134]
	v_fma_f64 v[18:19], v[2:3], v[18:19], -v[20:21]
	ds_load_b128 v[2:5], v1 offset:720
	v_add_f64 v[14:15], v[16:17], v[14:15]
	v_add_f64 v[16:17], v[31:32], v[137:138]
	v_fma_f64 v[31:32], v[8:9], v[22:23], v[131:132]
	v_fma_f64 v[22:23], v[6:7], v[22:23], -v[24:25]
	ds_load_b128 v[6:9], v1 offset:736
	s_waitcnt vmcnt(6) lgkmcnt(1)
	v_mul_f64 v[20:21], v[2:3], v[29:30]
	v_mul_f64 v[29:30], v[4:5], v[29:30]
	s_waitcnt vmcnt(5) lgkmcnt(0)
	v_mul_f64 v[131:132], v[6:7], v[113:114]
	v_mul_f64 v[113:114], v[8:9], v[113:114]
	v_add_f64 v[18:19], v[14:15], v[18:19]
	v_add_f64 v[24:25], v[16:17], v[133:134]
	scratch_load_b128 v[14:17], off, off offset:192
	v_fma_f64 v[20:21], v[4:5], v[27:28], v[20:21]
	v_fma_f64 v[27:28], v[2:3], v[27:28], -v[29:30]
	ds_load_b128 v[2:5], v1 offset:752
	v_add_f64 v[18:19], v[18:19], v[22:23]
	v_add_f64 v[22:23], v[24:25], v[31:32]
	v_fma_f64 v[31:32], v[8:9], v[111:112], v[131:132]
	v_fma_f64 v[111:112], v[6:7], v[111:112], -v[113:114]
	ds_load_b128 v[6:9], v1 offset:768
	s_waitcnt vmcnt(5) lgkmcnt(1)
	v_mul_f64 v[24:25], v[2:3], v[121:122]
	v_mul_f64 v[29:30], v[4:5], v[121:122]
	v_add_f64 v[18:19], v[18:19], v[27:28]
	v_add_f64 v[20:21], v[22:23], v[20:21]
	s_waitcnt vmcnt(4) lgkmcnt(0)
	v_mul_f64 v[22:23], v[6:7], v[129:130]
	v_mul_f64 v[27:28], v[8:9], v[129:130]
	v_fma_f64 v[24:25], v[4:5], v[119:120], v[24:25]
	v_fma_f64 v[29:30], v[2:3], v[119:120], -v[29:30]
	ds_load_b128 v[2:5], v1 offset:784
	v_add_f64 v[18:19], v[18:19], v[111:112]
	v_add_f64 v[20:21], v[20:21], v[31:32]
	v_fma_f64 v[22:23], v[8:9], v[127:128], v[22:23]
	v_fma_f64 v[27:28], v[6:7], v[127:128], -v[27:28]
	ds_load_b128 v[6:9], v1 offset:800
	s_waitcnt vmcnt(3) lgkmcnt(1)
	v_mul_f64 v[31:32], v[2:3], v[117:118]
	v_mul_f64 v[111:112], v[4:5], v[117:118]
	v_add_f64 v[18:19], v[18:19], v[29:30]
	v_add_f64 v[20:21], v[20:21], v[24:25]
	s_waitcnt vmcnt(2) lgkmcnt(0)
	v_mul_f64 v[24:25], v[6:7], v[125:126]
	v_mul_f64 v[29:30], v[8:9], v[125:126]
	v_fma_f64 v[31:32], v[4:5], v[115:116], v[31:32]
	v_fma_f64 v[111:112], v[2:3], v[115:116], -v[111:112]
	ds_load_b128 v[2:5], v1 offset:816
	v_add_f64 v[18:19], v[18:19], v[27:28]
	v_add_f64 v[20:21], v[20:21], v[22:23]
	v_fma_f64 v[8:9], v[8:9], v[123:124], v[24:25]
	s_waitcnt vmcnt(1) lgkmcnt(0)
	v_mul_f64 v[22:23], v[2:3], v[12:13]
	v_mul_f64 v[12:13], v[4:5], v[12:13]
	v_fma_f64 v[6:7], v[6:7], v[123:124], -v[29:30]
	v_add_f64 v[18:19], v[18:19], v[111:112]
	v_add_f64 v[20:21], v[20:21], v[31:32]
	v_fma_f64 v[4:5], v[4:5], v[10:11], v[22:23]
	v_fma_f64 v[2:3], v[2:3], v[10:11], -v[12:13]
	s_delay_alu instid0(VALU_DEP_4) | instskip(NEXT) | instid1(VALU_DEP_4)
	v_add_f64 v[6:7], v[18:19], v[6:7]
	v_add_f64 v[8:9], v[20:21], v[8:9]
	s_delay_alu instid0(VALU_DEP_2) | instskip(NEXT) | instid1(VALU_DEP_2)
	v_add_f64 v[2:3], v[6:7], v[2:3]
	v_add_f64 v[4:5], v[8:9], v[4:5]
	s_waitcnt vmcnt(0)
	s_delay_alu instid0(VALU_DEP_2) | instskip(NEXT) | instid1(VALU_DEP_2)
	v_add_f64 v[2:3], v[14:15], -v[2:3]
	v_add_f64 v[4:5], v[16:17], -v[4:5]
	scratch_store_b128 off, v[2:5], off offset:192
	v_cmpx_lt_u32_e32 11, v85
	s_cbranch_execz .LBB89_147
; %bb.146:
	scratch_load_b128 v[5:8], v99, off
	v_mov_b32_e32 v2, v1
	v_mov_b32_e32 v3, v1
	;; [unrolled: 1-line block ×3, first 2 shown]
	scratch_store_b128 off, v[1:4], off offset:176
	s_waitcnt vmcnt(0)
	ds_store_b128 v26, v[5:8]
.LBB89_147:
	s_or_b32 exec_lo, exec_lo, s2
	s_waitcnt lgkmcnt(0)
	s_waitcnt_vscnt null, 0x0
	s_barrier
	buffer_gl0_inv
	s_clause 0x7
	scratch_load_b128 v[2:5], off, off offset:192
	scratch_load_b128 v[6:9], off, off offset:208
	;; [unrolled: 1-line block ×8, first 2 shown]
	ds_load_b128 v[115:118], v1 offset:608
	ds_load_b128 v[123:126], v1 offset:624
	s_clause 0x1
	scratch_load_b128 v[119:122], off, off offset:320
	scratch_load_b128 v[127:130], off, off offset:336
	s_mov_b32 s2, exec_lo
	s_waitcnt vmcnt(9) lgkmcnt(1)
	v_mul_f64 v[31:32], v[117:118], v[4:5]
	v_mul_f64 v[4:5], v[115:116], v[4:5]
	s_waitcnt vmcnt(8) lgkmcnt(0)
	v_mul_f64 v[131:132], v[123:124], v[8:9]
	v_mul_f64 v[8:9], v[125:126], v[8:9]
	s_delay_alu instid0(VALU_DEP_4) | instskip(NEXT) | instid1(VALU_DEP_4)
	v_fma_f64 v[31:32], v[115:116], v[2:3], -v[31:32]
	v_fma_f64 v[133:134], v[117:118], v[2:3], v[4:5]
	scratch_load_b128 v[115:118], off, off offset:352
	ds_load_b128 v[2:5], v1 offset:640
	v_fma_f64 v[131:132], v[125:126], v[6:7], v[131:132]
	v_fma_f64 v[137:138], v[123:124], v[6:7], -v[8:9]
	ds_load_b128 v[6:9], v1 offset:656
	scratch_load_b128 v[123:126], off, off offset:368
	s_waitcnt vmcnt(9) lgkmcnt(1)
	v_mul_f64 v[135:136], v[2:3], v[12:13]
	v_mul_f64 v[12:13], v[4:5], v[12:13]
	s_waitcnt vmcnt(8) lgkmcnt(0)
	v_mul_f64 v[139:140], v[6:7], v[16:17]
	v_mul_f64 v[16:17], v[8:9], v[16:17]
	v_add_f64 v[31:32], v[31:32], 0
	v_add_f64 v[133:134], v[133:134], 0
	v_fma_f64 v[135:136], v[4:5], v[10:11], v[135:136]
	v_fma_f64 v[141:142], v[2:3], v[10:11], -v[12:13]
	scratch_load_b128 v[10:13], off, off offset:384
	ds_load_b128 v[2:5], v1 offset:672
	v_add_f64 v[31:32], v[31:32], v[137:138]
	v_add_f64 v[131:132], v[133:134], v[131:132]
	v_fma_f64 v[137:138], v[8:9], v[14:15], v[139:140]
	v_fma_f64 v[139:140], v[6:7], v[14:15], -v[16:17]
	ds_load_b128 v[6:9], v1 offset:688
	scratch_load_b128 v[14:17], off, off offset:400
	s_waitcnt vmcnt(9) lgkmcnt(1)
	v_mul_f64 v[133:134], v[2:3], v[20:21]
	v_mul_f64 v[20:21], v[4:5], v[20:21]
	v_add_f64 v[31:32], v[31:32], v[141:142]
	v_add_f64 v[131:132], v[131:132], v[135:136]
	s_waitcnt vmcnt(8) lgkmcnt(0)
	v_mul_f64 v[135:136], v[6:7], v[24:25]
	v_mul_f64 v[24:25], v[8:9], v[24:25]
	v_fma_f64 v[133:134], v[4:5], v[18:19], v[133:134]
	v_fma_f64 v[18:19], v[2:3], v[18:19], -v[20:21]
	ds_load_b128 v[2:5], v1 offset:704
	v_add_f64 v[20:21], v[31:32], v[139:140]
	v_add_f64 v[31:32], v[131:132], v[137:138]
	v_fma_f64 v[135:136], v[8:9], v[22:23], v[135:136]
	v_fma_f64 v[22:23], v[6:7], v[22:23], -v[24:25]
	ds_load_b128 v[6:9], v1 offset:720
	s_waitcnt vmcnt(7) lgkmcnt(1)
	v_mul_f64 v[131:132], v[2:3], v[29:30]
	v_mul_f64 v[29:30], v[4:5], v[29:30]
	s_waitcnt vmcnt(6) lgkmcnt(0)
	v_mul_f64 v[24:25], v[6:7], v[113:114]
	v_add_f64 v[18:19], v[20:21], v[18:19]
	v_add_f64 v[20:21], v[31:32], v[133:134]
	v_mul_f64 v[31:32], v[8:9], v[113:114]
	v_fma_f64 v[113:114], v[4:5], v[27:28], v[131:132]
	v_fma_f64 v[27:28], v[2:3], v[27:28], -v[29:30]
	ds_load_b128 v[2:5], v1 offset:736
	v_fma_f64 v[24:25], v[8:9], v[111:112], v[24:25]
	v_add_f64 v[22:23], v[18:19], v[22:23]
	v_add_f64 v[29:30], v[20:21], v[135:136]
	scratch_load_b128 v[18:21], off, off offset:176
	v_fma_f64 v[31:32], v[6:7], v[111:112], -v[31:32]
	ds_load_b128 v[6:9], v1 offset:752
	s_waitcnt vmcnt(6) lgkmcnt(1)
	v_mul_f64 v[131:132], v[2:3], v[121:122]
	v_mul_f64 v[121:122], v[4:5], v[121:122]
	s_waitcnt vmcnt(5) lgkmcnt(0)
	v_mul_f64 v[111:112], v[8:9], v[129:130]
	v_add_f64 v[22:23], v[22:23], v[27:28]
	v_add_f64 v[27:28], v[29:30], v[113:114]
	v_mul_f64 v[29:30], v[6:7], v[129:130]
	v_fma_f64 v[113:114], v[4:5], v[119:120], v[131:132]
	v_fma_f64 v[119:120], v[2:3], v[119:120], -v[121:122]
	ds_load_b128 v[2:5], v1 offset:768
	v_fma_f64 v[111:112], v[6:7], v[127:128], -v[111:112]
	v_add_f64 v[22:23], v[22:23], v[31:32]
	v_add_f64 v[24:25], v[27:28], v[24:25]
	v_fma_f64 v[29:30], v[8:9], v[127:128], v[29:30]
	ds_load_b128 v[6:9], v1 offset:784
	s_waitcnt vmcnt(4) lgkmcnt(1)
	v_mul_f64 v[27:28], v[2:3], v[117:118]
	v_mul_f64 v[31:32], v[4:5], v[117:118]
	s_waitcnt vmcnt(3) lgkmcnt(0)
	v_mul_f64 v[117:118], v[8:9], v[125:126]
	v_add_f64 v[22:23], v[22:23], v[119:120]
	v_add_f64 v[24:25], v[24:25], v[113:114]
	v_mul_f64 v[113:114], v[6:7], v[125:126]
	v_fma_f64 v[27:28], v[4:5], v[115:116], v[27:28]
	v_fma_f64 v[31:32], v[2:3], v[115:116], -v[31:32]
	ds_load_b128 v[2:5], v1 offset:800
	v_add_f64 v[22:23], v[22:23], v[111:112]
	v_add_f64 v[24:25], v[24:25], v[29:30]
	v_fma_f64 v[111:112], v[8:9], v[123:124], v[113:114]
	v_fma_f64 v[113:114], v[6:7], v[123:124], -v[117:118]
	ds_load_b128 v[6:9], v1 offset:816
	s_waitcnt vmcnt(2) lgkmcnt(1)
	v_mul_f64 v[29:30], v[2:3], v[12:13]
	v_mul_f64 v[12:13], v[4:5], v[12:13]
	v_add_f64 v[22:23], v[22:23], v[31:32]
	v_add_f64 v[24:25], v[24:25], v[27:28]
	s_waitcnt vmcnt(1) lgkmcnt(0)
	v_mul_f64 v[27:28], v[6:7], v[16:17]
	v_mul_f64 v[16:17], v[8:9], v[16:17]
	v_fma_f64 v[4:5], v[4:5], v[10:11], v[29:30]
	v_fma_f64 v[1:2], v[2:3], v[10:11], -v[12:13]
	v_add_f64 v[10:11], v[22:23], v[113:114]
	v_add_f64 v[12:13], v[24:25], v[111:112]
	v_fma_f64 v[8:9], v[8:9], v[14:15], v[27:28]
	v_fma_f64 v[6:7], v[6:7], v[14:15], -v[16:17]
	s_delay_alu instid0(VALU_DEP_4) | instskip(NEXT) | instid1(VALU_DEP_4)
	v_add_f64 v[1:2], v[10:11], v[1:2]
	v_add_f64 v[3:4], v[12:13], v[4:5]
	s_delay_alu instid0(VALU_DEP_2) | instskip(NEXT) | instid1(VALU_DEP_2)
	v_add_f64 v[1:2], v[1:2], v[6:7]
	v_add_f64 v[3:4], v[3:4], v[8:9]
	s_waitcnt vmcnt(0)
	s_delay_alu instid0(VALU_DEP_2) | instskip(NEXT) | instid1(VALU_DEP_2)
	v_add_f64 v[1:2], v[18:19], -v[1:2]
	v_add_f64 v[3:4], v[20:21], -v[3:4]
	scratch_store_b128 off, v[1:4], off offset:176
	v_cmpx_lt_u32_e32 10, v85
	s_cbranch_execz .LBB89_149
; %bb.148:
	scratch_load_b128 v[1:4], v98, off
	v_mov_b32_e32 v5, 0
	s_delay_alu instid0(VALU_DEP_1)
	v_mov_b32_e32 v6, v5
	v_mov_b32_e32 v7, v5
	;; [unrolled: 1-line block ×3, first 2 shown]
	scratch_store_b128 off, v[5:8], off offset:160
	s_waitcnt vmcnt(0)
	ds_store_b128 v26, v[1:4]
.LBB89_149:
	s_or_b32 exec_lo, exec_lo, s2
	s_waitcnt lgkmcnt(0)
	s_waitcnt_vscnt null, 0x0
	s_barrier
	buffer_gl0_inv
	s_clause 0x7
	scratch_load_b128 v[2:5], off, off offset:176
	scratch_load_b128 v[6:9], off, off offset:192
	;; [unrolled: 1-line block ×8, first 2 shown]
	v_mov_b32_e32 v1, 0
	s_clause 0x1
	scratch_load_b128 v[119:122], off, off offset:304
	scratch_load_b128 v[127:130], off, off offset:320
	s_mov_b32 s2, exec_lo
	ds_load_b128 v[115:118], v1 offset:592
	ds_load_b128 v[123:126], v1 offset:608
	s_waitcnt vmcnt(9) lgkmcnt(1)
	v_mul_f64 v[31:32], v[117:118], v[4:5]
	v_mul_f64 v[4:5], v[115:116], v[4:5]
	s_waitcnt vmcnt(8) lgkmcnt(0)
	v_mul_f64 v[131:132], v[123:124], v[8:9]
	v_mul_f64 v[8:9], v[125:126], v[8:9]
	s_delay_alu instid0(VALU_DEP_4) | instskip(NEXT) | instid1(VALU_DEP_4)
	v_fma_f64 v[31:32], v[115:116], v[2:3], -v[31:32]
	v_fma_f64 v[133:134], v[117:118], v[2:3], v[4:5]
	ds_load_b128 v[2:5], v1 offset:624
	scratch_load_b128 v[115:118], off, off offset:336
	v_fma_f64 v[131:132], v[125:126], v[6:7], v[131:132]
	v_fma_f64 v[137:138], v[123:124], v[6:7], -v[8:9]
	ds_load_b128 v[6:9], v1 offset:640
	scratch_load_b128 v[123:126], off, off offset:352
	s_waitcnt vmcnt(9) lgkmcnt(1)
	v_mul_f64 v[135:136], v[2:3], v[12:13]
	v_mul_f64 v[12:13], v[4:5], v[12:13]
	s_waitcnt vmcnt(8) lgkmcnt(0)
	v_mul_f64 v[139:140], v[6:7], v[16:17]
	v_mul_f64 v[16:17], v[8:9], v[16:17]
	v_add_f64 v[31:32], v[31:32], 0
	v_add_f64 v[133:134], v[133:134], 0
	v_fma_f64 v[135:136], v[4:5], v[10:11], v[135:136]
	v_fma_f64 v[141:142], v[2:3], v[10:11], -v[12:13]
	scratch_load_b128 v[10:13], off, off offset:368
	ds_load_b128 v[2:5], v1 offset:656
	v_add_f64 v[31:32], v[31:32], v[137:138]
	v_add_f64 v[131:132], v[133:134], v[131:132]
	v_fma_f64 v[137:138], v[8:9], v[14:15], v[139:140]
	v_fma_f64 v[139:140], v[6:7], v[14:15], -v[16:17]
	ds_load_b128 v[6:9], v1 offset:672
	scratch_load_b128 v[14:17], off, off offset:384
	s_waitcnt vmcnt(9) lgkmcnt(1)
	v_mul_f64 v[133:134], v[2:3], v[20:21]
	v_mul_f64 v[20:21], v[4:5], v[20:21]
	v_add_f64 v[31:32], v[31:32], v[141:142]
	v_add_f64 v[131:132], v[131:132], v[135:136]
	s_waitcnt vmcnt(8) lgkmcnt(0)
	v_mul_f64 v[135:136], v[6:7], v[24:25]
	v_mul_f64 v[24:25], v[8:9], v[24:25]
	v_fma_f64 v[133:134], v[4:5], v[18:19], v[133:134]
	v_fma_f64 v[141:142], v[2:3], v[18:19], -v[20:21]
	scratch_load_b128 v[18:21], off, off offset:400
	ds_load_b128 v[2:5], v1 offset:688
	v_add_f64 v[31:32], v[31:32], v[139:140]
	v_add_f64 v[131:132], v[131:132], v[137:138]
	v_fma_f64 v[135:136], v[8:9], v[22:23], v[135:136]
	v_fma_f64 v[22:23], v[6:7], v[22:23], -v[24:25]
	ds_load_b128 v[6:9], v1 offset:704
	s_waitcnt vmcnt(8) lgkmcnt(1)
	v_mul_f64 v[137:138], v[2:3], v[29:30]
	v_mul_f64 v[29:30], v[4:5], v[29:30]
	v_add_f64 v[24:25], v[31:32], v[141:142]
	v_add_f64 v[31:32], v[131:132], v[133:134]
	s_waitcnt vmcnt(7) lgkmcnt(0)
	v_mul_f64 v[131:132], v[6:7], v[113:114]
	v_mul_f64 v[113:114], v[8:9], v[113:114]
	v_fma_f64 v[133:134], v[4:5], v[27:28], v[137:138]
	v_fma_f64 v[27:28], v[2:3], v[27:28], -v[29:30]
	ds_load_b128 v[2:5], v1 offset:720
	s_waitcnt vmcnt(6) lgkmcnt(0)
	v_mul_f64 v[29:30], v[2:3], v[121:122]
	v_add_f64 v[22:23], v[24:25], v[22:23]
	v_add_f64 v[24:25], v[31:32], v[135:136]
	v_mul_f64 v[31:32], v[4:5], v[121:122]
	v_fma_f64 v[121:122], v[8:9], v[111:112], v[131:132]
	v_fma_f64 v[111:112], v[6:7], v[111:112], -v[113:114]
	ds_load_b128 v[6:9], v1 offset:736
	v_fma_f64 v[29:30], v[4:5], v[119:120], v[29:30]
	v_add_f64 v[27:28], v[22:23], v[27:28]
	v_add_f64 v[113:114], v[24:25], v[133:134]
	scratch_load_b128 v[22:25], off, off offset:160
	v_fma_f64 v[31:32], v[2:3], v[119:120], -v[31:32]
	ds_load_b128 v[2:5], v1 offset:752
	s_waitcnt vmcnt(6) lgkmcnt(1)
	v_mul_f64 v[131:132], v[6:7], v[129:130]
	v_mul_f64 v[129:130], v[8:9], v[129:130]
	v_add_f64 v[27:28], v[27:28], v[111:112]
	v_add_f64 v[111:112], v[113:114], v[121:122]
	s_delay_alu instid0(VALU_DEP_4) | instskip(NEXT) | instid1(VALU_DEP_4)
	v_fma_f64 v[119:120], v[8:9], v[127:128], v[131:132]
	v_fma_f64 v[121:122], v[6:7], v[127:128], -v[129:130]
	ds_load_b128 v[6:9], v1 offset:768
	s_waitcnt vmcnt(5) lgkmcnt(1)
	v_mul_f64 v[113:114], v[2:3], v[117:118]
	v_mul_f64 v[117:118], v[4:5], v[117:118]
	v_add_f64 v[27:28], v[27:28], v[31:32]
	v_add_f64 v[29:30], v[111:112], v[29:30]
	s_delay_alu instid0(VALU_DEP_4) | instskip(NEXT) | instid1(VALU_DEP_4)
	v_fma_f64 v[113:114], v[4:5], v[115:116], v[113:114]
	v_fma_f64 v[115:116], v[2:3], v[115:116], -v[117:118]
	ds_load_b128 v[2:5], v1 offset:784
	s_waitcnt vmcnt(4) lgkmcnt(1)
	v_mul_f64 v[31:32], v[6:7], v[125:126]
	v_mul_f64 v[111:112], v[8:9], v[125:126]
	v_add_f64 v[27:28], v[27:28], v[121:122]
	v_add_f64 v[29:30], v[29:30], v[119:120]
	s_waitcnt vmcnt(3) lgkmcnt(0)
	v_mul_f64 v[117:118], v[2:3], v[12:13]
	v_mul_f64 v[12:13], v[4:5], v[12:13]
	v_fma_f64 v[31:32], v[8:9], v[123:124], v[31:32]
	v_fma_f64 v[111:112], v[6:7], v[123:124], -v[111:112]
	ds_load_b128 v[6:9], v1 offset:800
	v_add_f64 v[27:28], v[27:28], v[115:116]
	v_add_f64 v[29:30], v[29:30], v[113:114]
	v_fma_f64 v[115:116], v[4:5], v[10:11], v[117:118]
	v_fma_f64 v[10:11], v[2:3], v[10:11], -v[12:13]
	ds_load_b128 v[2:5], v1 offset:816
	s_waitcnt vmcnt(2) lgkmcnt(1)
	v_mul_f64 v[113:114], v[6:7], v[16:17]
	v_mul_f64 v[16:17], v[8:9], v[16:17]
	v_add_f64 v[12:13], v[27:28], v[111:112]
	v_add_f64 v[27:28], v[29:30], v[31:32]
	s_waitcnt vmcnt(1) lgkmcnt(0)
	v_mul_f64 v[29:30], v[2:3], v[20:21]
	v_mul_f64 v[20:21], v[4:5], v[20:21]
	v_fma_f64 v[8:9], v[8:9], v[14:15], v[113:114]
	v_fma_f64 v[6:7], v[6:7], v[14:15], -v[16:17]
	v_add_f64 v[10:11], v[12:13], v[10:11]
	v_add_f64 v[12:13], v[27:28], v[115:116]
	v_fma_f64 v[4:5], v[4:5], v[18:19], v[29:30]
	v_fma_f64 v[2:3], v[2:3], v[18:19], -v[20:21]
	s_delay_alu instid0(VALU_DEP_4) | instskip(NEXT) | instid1(VALU_DEP_4)
	v_add_f64 v[6:7], v[10:11], v[6:7]
	v_add_f64 v[8:9], v[12:13], v[8:9]
	s_delay_alu instid0(VALU_DEP_2) | instskip(NEXT) | instid1(VALU_DEP_2)
	v_add_f64 v[2:3], v[6:7], v[2:3]
	v_add_f64 v[4:5], v[8:9], v[4:5]
	s_waitcnt vmcnt(0)
	s_delay_alu instid0(VALU_DEP_2) | instskip(NEXT) | instid1(VALU_DEP_2)
	v_add_f64 v[2:3], v[22:23], -v[2:3]
	v_add_f64 v[4:5], v[24:25], -v[4:5]
	scratch_store_b128 off, v[2:5], off offset:160
	v_cmpx_lt_u32_e32 9, v85
	s_cbranch_execz .LBB89_151
; %bb.150:
	scratch_load_b128 v[5:8], v100, off
	v_mov_b32_e32 v2, v1
	v_mov_b32_e32 v3, v1
	;; [unrolled: 1-line block ×3, first 2 shown]
	scratch_store_b128 off, v[1:4], off offset:144
	s_waitcnt vmcnt(0)
	ds_store_b128 v26, v[5:8]
.LBB89_151:
	s_or_b32 exec_lo, exec_lo, s2
	s_waitcnt lgkmcnt(0)
	s_waitcnt_vscnt null, 0x0
	s_barrier
	buffer_gl0_inv
	s_clause 0x7
	scratch_load_b128 v[2:5], off, off offset:160
	scratch_load_b128 v[6:9], off, off offset:176
	;; [unrolled: 1-line block ×8, first 2 shown]
	ds_load_b128 v[115:118], v1 offset:576
	ds_load_b128 v[123:126], v1 offset:592
	s_clause 0x1
	scratch_load_b128 v[119:122], off, off offset:288
	scratch_load_b128 v[127:130], off, off offset:304
	s_mov_b32 s2, exec_lo
	s_waitcnt vmcnt(9) lgkmcnt(1)
	v_mul_f64 v[31:32], v[117:118], v[4:5]
	v_mul_f64 v[4:5], v[115:116], v[4:5]
	s_waitcnt vmcnt(8) lgkmcnt(0)
	v_mul_f64 v[131:132], v[123:124], v[8:9]
	v_mul_f64 v[8:9], v[125:126], v[8:9]
	s_delay_alu instid0(VALU_DEP_4) | instskip(NEXT) | instid1(VALU_DEP_4)
	v_fma_f64 v[31:32], v[115:116], v[2:3], -v[31:32]
	v_fma_f64 v[133:134], v[117:118], v[2:3], v[4:5]
	ds_load_b128 v[2:5], v1 offset:608
	scratch_load_b128 v[115:118], off, off offset:320
	v_fma_f64 v[131:132], v[125:126], v[6:7], v[131:132]
	v_fma_f64 v[137:138], v[123:124], v[6:7], -v[8:9]
	ds_load_b128 v[6:9], v1 offset:624
	scratch_load_b128 v[123:126], off, off offset:336
	s_waitcnt vmcnt(9) lgkmcnt(1)
	v_mul_f64 v[135:136], v[2:3], v[12:13]
	v_mul_f64 v[12:13], v[4:5], v[12:13]
	s_waitcnt vmcnt(8) lgkmcnt(0)
	v_mul_f64 v[139:140], v[6:7], v[16:17]
	v_mul_f64 v[16:17], v[8:9], v[16:17]
	v_add_f64 v[31:32], v[31:32], 0
	v_add_f64 v[133:134], v[133:134], 0
	v_fma_f64 v[135:136], v[4:5], v[10:11], v[135:136]
	v_fma_f64 v[141:142], v[2:3], v[10:11], -v[12:13]
	scratch_load_b128 v[10:13], off, off offset:352
	ds_load_b128 v[2:5], v1 offset:640
	v_add_f64 v[31:32], v[31:32], v[137:138]
	v_add_f64 v[131:132], v[133:134], v[131:132]
	v_fma_f64 v[137:138], v[8:9], v[14:15], v[139:140]
	v_fma_f64 v[139:140], v[6:7], v[14:15], -v[16:17]
	ds_load_b128 v[6:9], v1 offset:656
	scratch_load_b128 v[14:17], off, off offset:368
	s_waitcnt vmcnt(9) lgkmcnt(1)
	v_mul_f64 v[133:134], v[2:3], v[20:21]
	v_mul_f64 v[20:21], v[4:5], v[20:21]
	v_add_f64 v[31:32], v[31:32], v[141:142]
	v_add_f64 v[131:132], v[131:132], v[135:136]
	s_waitcnt vmcnt(8) lgkmcnt(0)
	v_mul_f64 v[135:136], v[6:7], v[24:25]
	v_mul_f64 v[24:25], v[8:9], v[24:25]
	v_fma_f64 v[133:134], v[4:5], v[18:19], v[133:134]
	v_fma_f64 v[141:142], v[2:3], v[18:19], -v[20:21]
	scratch_load_b128 v[18:21], off, off offset:384
	ds_load_b128 v[2:5], v1 offset:672
	v_add_f64 v[31:32], v[31:32], v[139:140]
	v_add_f64 v[131:132], v[131:132], v[137:138]
	v_fma_f64 v[135:136], v[8:9], v[22:23], v[135:136]
	v_fma_f64 v[139:140], v[6:7], v[22:23], -v[24:25]
	ds_load_b128 v[6:9], v1 offset:688
	s_waitcnt vmcnt(8) lgkmcnt(1)
	v_mul_f64 v[137:138], v[2:3], v[29:30]
	v_mul_f64 v[29:30], v[4:5], v[29:30]
	scratch_load_b128 v[22:25], off, off offset:400
	v_add_f64 v[31:32], v[31:32], v[141:142]
	v_add_f64 v[131:132], v[131:132], v[133:134]
	s_waitcnt vmcnt(8) lgkmcnt(0)
	v_mul_f64 v[133:134], v[6:7], v[113:114]
	v_mul_f64 v[113:114], v[8:9], v[113:114]
	v_fma_f64 v[137:138], v[4:5], v[27:28], v[137:138]
	v_fma_f64 v[27:28], v[2:3], v[27:28], -v[29:30]
	ds_load_b128 v[2:5], v1 offset:704
	v_add_f64 v[29:30], v[31:32], v[139:140]
	v_add_f64 v[31:32], v[131:132], v[135:136]
	v_fma_f64 v[133:134], v[8:9], v[111:112], v[133:134]
	v_fma_f64 v[111:112], v[6:7], v[111:112], -v[113:114]
	ds_load_b128 v[6:9], v1 offset:720
	s_waitcnt vmcnt(7) lgkmcnt(1)
	v_mul_f64 v[131:132], v[2:3], v[121:122]
	v_mul_f64 v[121:122], v[4:5], v[121:122]
	s_waitcnt vmcnt(6) lgkmcnt(0)
	v_mul_f64 v[113:114], v[8:9], v[129:130]
	v_add_f64 v[27:28], v[29:30], v[27:28]
	v_add_f64 v[29:30], v[31:32], v[137:138]
	v_mul_f64 v[31:32], v[6:7], v[129:130]
	v_fma_f64 v[129:130], v[4:5], v[119:120], v[131:132]
	v_fma_f64 v[119:120], v[2:3], v[119:120], -v[121:122]
	ds_load_b128 v[2:5], v1 offset:736
	v_fma_f64 v[113:114], v[6:7], v[127:128], -v[113:114]
	v_add_f64 v[111:112], v[27:28], v[111:112]
	v_add_f64 v[121:122], v[29:30], v[133:134]
	scratch_load_b128 v[27:30], off, off offset:144
	v_fma_f64 v[31:32], v[8:9], v[127:128], v[31:32]
	ds_load_b128 v[6:9], v1 offset:752
	s_waitcnt vmcnt(6) lgkmcnt(1)
	v_mul_f64 v[131:132], v[2:3], v[117:118]
	v_mul_f64 v[117:118], v[4:5], v[117:118]
	v_add_f64 v[111:112], v[111:112], v[119:120]
	v_add_f64 v[119:120], v[121:122], v[129:130]
	s_waitcnt vmcnt(5) lgkmcnt(0)
	v_mul_f64 v[121:122], v[6:7], v[125:126]
	v_mul_f64 v[125:126], v[8:9], v[125:126]
	v_fma_f64 v[127:128], v[4:5], v[115:116], v[131:132]
	v_fma_f64 v[115:116], v[2:3], v[115:116], -v[117:118]
	ds_load_b128 v[2:5], v1 offset:768
	v_add_f64 v[111:112], v[111:112], v[113:114]
	v_add_f64 v[31:32], v[119:120], v[31:32]
	v_fma_f64 v[117:118], v[8:9], v[123:124], v[121:122]
	v_fma_f64 v[119:120], v[6:7], v[123:124], -v[125:126]
	ds_load_b128 v[6:9], v1 offset:784
	s_waitcnt vmcnt(4) lgkmcnt(1)
	v_mul_f64 v[113:114], v[2:3], v[12:13]
	v_mul_f64 v[12:13], v[4:5], v[12:13]
	v_add_f64 v[111:112], v[111:112], v[115:116]
	v_add_f64 v[31:32], v[31:32], v[127:128]
	s_waitcnt vmcnt(3) lgkmcnt(0)
	v_mul_f64 v[115:116], v[6:7], v[16:17]
	v_mul_f64 v[16:17], v[8:9], v[16:17]
	v_fma_f64 v[113:114], v[4:5], v[10:11], v[113:114]
	v_fma_f64 v[10:11], v[2:3], v[10:11], -v[12:13]
	ds_load_b128 v[2:5], v1 offset:800
	v_add_f64 v[12:13], v[111:112], v[119:120]
	v_add_f64 v[31:32], v[31:32], v[117:118]
	v_fma_f64 v[115:116], v[8:9], v[14:15], v[115:116]
	v_fma_f64 v[14:15], v[6:7], v[14:15], -v[16:17]
	ds_load_b128 v[6:9], v1 offset:816
	s_waitcnt vmcnt(2) lgkmcnt(1)
	v_mul_f64 v[111:112], v[2:3], v[20:21]
	v_mul_f64 v[20:21], v[4:5], v[20:21]
	s_waitcnt vmcnt(1) lgkmcnt(0)
	v_mul_f64 v[16:17], v[6:7], v[24:25]
	v_mul_f64 v[24:25], v[8:9], v[24:25]
	v_add_f64 v[10:11], v[12:13], v[10:11]
	v_add_f64 v[12:13], v[31:32], v[113:114]
	v_fma_f64 v[4:5], v[4:5], v[18:19], v[111:112]
	v_fma_f64 v[1:2], v[2:3], v[18:19], -v[20:21]
	v_fma_f64 v[8:9], v[8:9], v[22:23], v[16:17]
	v_fma_f64 v[6:7], v[6:7], v[22:23], -v[24:25]
	v_add_f64 v[10:11], v[10:11], v[14:15]
	v_add_f64 v[12:13], v[12:13], v[115:116]
	s_delay_alu instid0(VALU_DEP_2) | instskip(NEXT) | instid1(VALU_DEP_2)
	v_add_f64 v[1:2], v[10:11], v[1:2]
	v_add_f64 v[3:4], v[12:13], v[4:5]
	s_delay_alu instid0(VALU_DEP_2) | instskip(NEXT) | instid1(VALU_DEP_2)
	v_add_f64 v[1:2], v[1:2], v[6:7]
	v_add_f64 v[3:4], v[3:4], v[8:9]
	s_waitcnt vmcnt(0)
	s_delay_alu instid0(VALU_DEP_2) | instskip(NEXT) | instid1(VALU_DEP_2)
	v_add_f64 v[1:2], v[27:28], -v[1:2]
	v_add_f64 v[3:4], v[29:30], -v[3:4]
	scratch_store_b128 off, v[1:4], off offset:144
	v_cmpx_lt_u32_e32 8, v85
	s_cbranch_execz .LBB89_153
; %bb.152:
	scratch_load_b128 v[1:4], v101, off
	v_mov_b32_e32 v5, 0
	s_delay_alu instid0(VALU_DEP_1)
	v_mov_b32_e32 v6, v5
	v_mov_b32_e32 v7, v5
	;; [unrolled: 1-line block ×3, first 2 shown]
	scratch_store_b128 off, v[5:8], off offset:128
	s_waitcnt vmcnt(0)
	ds_store_b128 v26, v[1:4]
.LBB89_153:
	s_or_b32 exec_lo, exec_lo, s2
	s_waitcnt lgkmcnt(0)
	s_waitcnt_vscnt null, 0x0
	s_barrier
	buffer_gl0_inv
	s_clause 0x7
	scratch_load_b128 v[2:5], off, off offset:144
	scratch_load_b128 v[6:9], off, off offset:160
	;; [unrolled: 1-line block ×8, first 2 shown]
	v_mov_b32_e32 v1, 0
	s_clause 0x1
	scratch_load_b128 v[119:122], off, off offset:272
	scratch_load_b128 v[127:130], off, off offset:288
	s_mov_b32 s2, exec_lo
	ds_load_b128 v[115:118], v1 offset:560
	ds_load_b128 v[123:126], v1 offset:576
	s_waitcnt vmcnt(9) lgkmcnt(1)
	v_mul_f64 v[31:32], v[117:118], v[4:5]
	v_mul_f64 v[4:5], v[115:116], v[4:5]
	s_waitcnt vmcnt(8) lgkmcnt(0)
	v_mul_f64 v[131:132], v[123:124], v[8:9]
	v_mul_f64 v[8:9], v[125:126], v[8:9]
	s_delay_alu instid0(VALU_DEP_4) | instskip(NEXT) | instid1(VALU_DEP_4)
	v_fma_f64 v[31:32], v[115:116], v[2:3], -v[31:32]
	v_fma_f64 v[133:134], v[117:118], v[2:3], v[4:5]
	ds_load_b128 v[2:5], v1 offset:592
	v_fma_f64 v[131:132], v[125:126], v[6:7], v[131:132]
	v_fma_f64 v[137:138], v[123:124], v[6:7], -v[8:9]
	ds_load_b128 v[6:9], v1 offset:608
	s_clause 0x1
	scratch_load_b128 v[115:118], off, off offset:304
	scratch_load_b128 v[123:126], off, off offset:320
	s_waitcnt vmcnt(9) lgkmcnt(1)
	v_mul_f64 v[135:136], v[2:3], v[12:13]
	v_mul_f64 v[12:13], v[4:5], v[12:13]
	s_waitcnt vmcnt(8) lgkmcnt(0)
	v_mul_f64 v[139:140], v[6:7], v[16:17]
	v_mul_f64 v[16:17], v[8:9], v[16:17]
	v_add_f64 v[31:32], v[31:32], 0
	v_add_f64 v[133:134], v[133:134], 0
	v_fma_f64 v[135:136], v[4:5], v[10:11], v[135:136]
	v_fma_f64 v[141:142], v[2:3], v[10:11], -v[12:13]
	scratch_load_b128 v[10:13], off, off offset:336
	ds_load_b128 v[2:5], v1 offset:624
	v_add_f64 v[31:32], v[31:32], v[137:138]
	v_add_f64 v[131:132], v[133:134], v[131:132]
	v_fma_f64 v[137:138], v[8:9], v[14:15], v[139:140]
	v_fma_f64 v[139:140], v[6:7], v[14:15], -v[16:17]
	ds_load_b128 v[6:9], v1 offset:640
	scratch_load_b128 v[14:17], off, off offset:352
	s_waitcnt vmcnt(9) lgkmcnt(1)
	v_mul_f64 v[133:134], v[2:3], v[20:21]
	v_mul_f64 v[20:21], v[4:5], v[20:21]
	v_add_f64 v[31:32], v[31:32], v[141:142]
	v_add_f64 v[131:132], v[131:132], v[135:136]
	s_waitcnt vmcnt(8) lgkmcnt(0)
	v_mul_f64 v[135:136], v[6:7], v[24:25]
	v_mul_f64 v[24:25], v[8:9], v[24:25]
	v_fma_f64 v[133:134], v[4:5], v[18:19], v[133:134]
	v_fma_f64 v[141:142], v[2:3], v[18:19], -v[20:21]
	scratch_load_b128 v[18:21], off, off offset:368
	ds_load_b128 v[2:5], v1 offset:656
	v_add_f64 v[31:32], v[31:32], v[139:140]
	v_add_f64 v[131:132], v[131:132], v[137:138]
	v_fma_f64 v[135:136], v[8:9], v[22:23], v[135:136]
	v_fma_f64 v[139:140], v[6:7], v[22:23], -v[24:25]
	ds_load_b128 v[6:9], v1 offset:672
	s_waitcnt vmcnt(8) lgkmcnt(1)
	v_mul_f64 v[137:138], v[2:3], v[29:30]
	v_mul_f64 v[29:30], v[4:5], v[29:30]
	scratch_load_b128 v[22:25], off, off offset:384
	v_add_f64 v[31:32], v[31:32], v[141:142]
	v_add_f64 v[131:132], v[131:132], v[133:134]
	s_waitcnt vmcnt(8) lgkmcnt(0)
	v_mul_f64 v[133:134], v[6:7], v[113:114]
	v_mul_f64 v[113:114], v[8:9], v[113:114]
	v_fma_f64 v[137:138], v[4:5], v[27:28], v[137:138]
	v_fma_f64 v[141:142], v[2:3], v[27:28], -v[29:30]
	scratch_load_b128 v[27:30], off, off offset:400
	ds_load_b128 v[2:5], v1 offset:688
	v_add_f64 v[31:32], v[31:32], v[139:140]
	v_add_f64 v[131:132], v[131:132], v[135:136]
	v_fma_f64 v[133:134], v[8:9], v[111:112], v[133:134]
	v_fma_f64 v[111:112], v[6:7], v[111:112], -v[113:114]
	ds_load_b128 v[6:9], v1 offset:704
	s_waitcnt vmcnt(8) lgkmcnt(1)
	v_mul_f64 v[135:136], v[2:3], v[121:122]
	v_mul_f64 v[121:122], v[4:5], v[121:122]
	v_add_f64 v[31:32], v[31:32], v[141:142]
	v_add_f64 v[113:114], v[131:132], v[137:138]
	s_delay_alu instid0(VALU_DEP_4) | instskip(NEXT) | instid1(VALU_DEP_4)
	v_fma_f64 v[135:136], v[4:5], v[119:120], v[135:136]
	v_fma_f64 v[119:120], v[2:3], v[119:120], -v[121:122]
	ds_load_b128 v[2:5], v1 offset:720
	v_add_f64 v[31:32], v[31:32], v[111:112]
	v_add_f64 v[111:112], v[113:114], v[133:134]
	s_delay_alu instid0(VALU_DEP_2) | instskip(NEXT) | instid1(VALU_DEP_2)
	v_add_f64 v[31:32], v[31:32], v[119:120]
	v_add_f64 v[119:120], v[111:112], v[135:136]
	scratch_load_b128 v[111:114], off, off offset:128
	s_waitcnt vmcnt(8) lgkmcnt(1)
	v_mul_f64 v[131:132], v[6:7], v[129:130]
	v_mul_f64 v[129:130], v[8:9], v[129:130]
	s_delay_alu instid0(VALU_DEP_2) | instskip(NEXT) | instid1(VALU_DEP_2)
	v_fma_f64 v[131:132], v[8:9], v[127:128], v[131:132]
	v_fma_f64 v[127:128], v[6:7], v[127:128], -v[129:130]
	ds_load_b128 v[6:9], v1 offset:736
	s_waitcnt vmcnt(7) lgkmcnt(1)
	v_mul_f64 v[121:122], v[2:3], v[117:118]
	v_mul_f64 v[117:118], v[4:5], v[117:118]
	s_waitcnt vmcnt(6) lgkmcnt(0)
	v_mul_f64 v[129:130], v[6:7], v[125:126]
	v_mul_f64 v[125:126], v[8:9], v[125:126]
	v_add_f64 v[31:32], v[31:32], v[127:128]
	v_fma_f64 v[121:122], v[4:5], v[115:116], v[121:122]
	v_fma_f64 v[115:116], v[2:3], v[115:116], -v[117:118]
	v_add_f64 v[117:118], v[119:120], v[131:132]
	ds_load_b128 v[2:5], v1 offset:752
	v_fma_f64 v[127:128], v[8:9], v[123:124], v[129:130]
	v_fma_f64 v[123:124], v[6:7], v[123:124], -v[125:126]
	ds_load_b128 v[6:9], v1 offset:768
	s_waitcnt vmcnt(5) lgkmcnt(1)
	v_mul_f64 v[119:120], v[2:3], v[12:13]
	v_mul_f64 v[12:13], v[4:5], v[12:13]
	v_add_f64 v[31:32], v[31:32], v[115:116]
	v_add_f64 v[115:116], v[117:118], v[121:122]
	s_waitcnt vmcnt(4) lgkmcnt(0)
	v_mul_f64 v[117:118], v[6:7], v[16:17]
	v_mul_f64 v[16:17], v[8:9], v[16:17]
	v_fma_f64 v[119:120], v[4:5], v[10:11], v[119:120]
	v_fma_f64 v[10:11], v[2:3], v[10:11], -v[12:13]
	ds_load_b128 v[2:5], v1 offset:784
	v_add_f64 v[12:13], v[31:32], v[123:124]
	v_add_f64 v[31:32], v[115:116], v[127:128]
	v_fma_f64 v[117:118], v[8:9], v[14:15], v[117:118]
	v_fma_f64 v[14:15], v[6:7], v[14:15], -v[16:17]
	ds_load_b128 v[6:9], v1 offset:800
	s_waitcnt vmcnt(3) lgkmcnt(1)
	v_mul_f64 v[115:116], v[2:3], v[20:21]
	v_mul_f64 v[20:21], v[4:5], v[20:21]
	s_waitcnt vmcnt(2) lgkmcnt(0)
	v_mul_f64 v[16:17], v[6:7], v[24:25]
	v_mul_f64 v[24:25], v[8:9], v[24:25]
	v_add_f64 v[10:11], v[12:13], v[10:11]
	v_add_f64 v[12:13], v[31:32], v[119:120]
	v_fma_f64 v[31:32], v[4:5], v[18:19], v[115:116]
	v_fma_f64 v[18:19], v[2:3], v[18:19], -v[20:21]
	ds_load_b128 v[2:5], v1 offset:816
	v_fma_f64 v[8:9], v[8:9], v[22:23], v[16:17]
	v_fma_f64 v[6:7], v[6:7], v[22:23], -v[24:25]
	s_waitcnt vmcnt(1) lgkmcnt(0)
	v_mul_f64 v[20:21], v[4:5], v[29:30]
	v_add_f64 v[10:11], v[10:11], v[14:15]
	v_add_f64 v[12:13], v[12:13], v[117:118]
	v_mul_f64 v[14:15], v[2:3], v[29:30]
	s_delay_alu instid0(VALU_DEP_4) | instskip(NEXT) | instid1(VALU_DEP_4)
	v_fma_f64 v[2:3], v[2:3], v[27:28], -v[20:21]
	v_add_f64 v[10:11], v[10:11], v[18:19]
	s_delay_alu instid0(VALU_DEP_4) | instskip(NEXT) | instid1(VALU_DEP_4)
	v_add_f64 v[12:13], v[12:13], v[31:32]
	v_fma_f64 v[4:5], v[4:5], v[27:28], v[14:15]
	s_delay_alu instid0(VALU_DEP_3) | instskip(NEXT) | instid1(VALU_DEP_3)
	v_add_f64 v[6:7], v[10:11], v[6:7]
	v_add_f64 v[8:9], v[12:13], v[8:9]
	s_delay_alu instid0(VALU_DEP_2) | instskip(NEXT) | instid1(VALU_DEP_2)
	v_add_f64 v[2:3], v[6:7], v[2:3]
	v_add_f64 v[4:5], v[8:9], v[4:5]
	s_waitcnt vmcnt(0)
	s_delay_alu instid0(VALU_DEP_2) | instskip(NEXT) | instid1(VALU_DEP_2)
	v_add_f64 v[2:3], v[111:112], -v[2:3]
	v_add_f64 v[4:5], v[113:114], -v[4:5]
	scratch_store_b128 off, v[2:5], off offset:128
	v_cmpx_lt_u32_e32 7, v85
	s_cbranch_execz .LBB89_155
; %bb.154:
	scratch_load_b128 v[5:8], v103, off
	v_mov_b32_e32 v2, v1
	v_mov_b32_e32 v3, v1
	;; [unrolled: 1-line block ×3, first 2 shown]
	scratch_store_b128 off, v[1:4], off offset:112
	s_waitcnt vmcnt(0)
	ds_store_b128 v26, v[5:8]
.LBB89_155:
	s_or_b32 exec_lo, exec_lo, s2
	s_waitcnt lgkmcnt(0)
	s_waitcnt_vscnt null, 0x0
	s_barrier
	buffer_gl0_inv
	s_clause 0x7
	scratch_load_b128 v[2:5], off, off offset:128
	scratch_load_b128 v[6:9], off, off offset:144
	;; [unrolled: 1-line block ×8, first 2 shown]
	ds_load_b128 v[115:118], v1 offset:544
	ds_load_b128 v[123:126], v1 offset:560
	s_clause 0x1
	scratch_load_b128 v[119:122], off, off offset:256
	scratch_load_b128 v[127:130], off, off offset:272
	s_mov_b32 s2, exec_lo
	s_waitcnt vmcnt(9) lgkmcnt(1)
	v_mul_f64 v[31:32], v[117:118], v[4:5]
	v_mul_f64 v[4:5], v[115:116], v[4:5]
	s_waitcnt vmcnt(8) lgkmcnt(0)
	v_mul_f64 v[131:132], v[123:124], v[8:9]
	v_mul_f64 v[8:9], v[125:126], v[8:9]
	s_delay_alu instid0(VALU_DEP_4) | instskip(NEXT) | instid1(VALU_DEP_4)
	v_fma_f64 v[31:32], v[115:116], v[2:3], -v[31:32]
	v_fma_f64 v[133:134], v[117:118], v[2:3], v[4:5]
	ds_load_b128 v[2:5], v1 offset:576
	scratch_load_b128 v[115:118], off, off offset:288
	v_fma_f64 v[131:132], v[125:126], v[6:7], v[131:132]
	v_fma_f64 v[137:138], v[123:124], v[6:7], -v[8:9]
	ds_load_b128 v[6:9], v1 offset:592
	scratch_load_b128 v[123:126], off, off offset:304
	s_waitcnt vmcnt(9) lgkmcnt(1)
	v_mul_f64 v[135:136], v[2:3], v[12:13]
	v_mul_f64 v[12:13], v[4:5], v[12:13]
	s_waitcnt vmcnt(8) lgkmcnt(0)
	v_mul_f64 v[139:140], v[6:7], v[16:17]
	v_mul_f64 v[16:17], v[8:9], v[16:17]
	v_add_f64 v[31:32], v[31:32], 0
	v_add_f64 v[133:134], v[133:134], 0
	v_fma_f64 v[135:136], v[4:5], v[10:11], v[135:136]
	v_fma_f64 v[141:142], v[2:3], v[10:11], -v[12:13]
	ds_load_b128 v[2:5], v1 offset:608
	scratch_load_b128 v[10:13], off, off offset:320
	v_add_f64 v[31:32], v[31:32], v[137:138]
	v_add_f64 v[131:132], v[133:134], v[131:132]
	v_fma_f64 v[137:138], v[8:9], v[14:15], v[139:140]
	v_fma_f64 v[139:140], v[6:7], v[14:15], -v[16:17]
	ds_load_b128 v[6:9], v1 offset:624
	scratch_load_b128 v[14:17], off, off offset:336
	s_waitcnt vmcnt(9) lgkmcnt(1)
	v_mul_f64 v[133:134], v[2:3], v[20:21]
	v_mul_f64 v[20:21], v[4:5], v[20:21]
	v_add_f64 v[31:32], v[31:32], v[141:142]
	v_add_f64 v[131:132], v[131:132], v[135:136]
	s_waitcnt vmcnt(8) lgkmcnt(0)
	v_mul_f64 v[135:136], v[6:7], v[24:25]
	v_mul_f64 v[24:25], v[8:9], v[24:25]
	v_fma_f64 v[133:134], v[4:5], v[18:19], v[133:134]
	v_fma_f64 v[141:142], v[2:3], v[18:19], -v[20:21]
	scratch_load_b128 v[18:21], off, off offset:352
	ds_load_b128 v[2:5], v1 offset:640
	v_add_f64 v[31:32], v[31:32], v[139:140]
	v_add_f64 v[131:132], v[131:132], v[137:138]
	v_fma_f64 v[135:136], v[8:9], v[22:23], v[135:136]
	v_fma_f64 v[139:140], v[6:7], v[22:23], -v[24:25]
	ds_load_b128 v[6:9], v1 offset:656
	s_waitcnt vmcnt(8) lgkmcnt(1)
	v_mul_f64 v[137:138], v[2:3], v[29:30]
	v_mul_f64 v[29:30], v[4:5], v[29:30]
	scratch_load_b128 v[22:25], off, off offset:368
	v_add_f64 v[31:32], v[31:32], v[141:142]
	v_add_f64 v[131:132], v[131:132], v[133:134]
	s_waitcnt vmcnt(8) lgkmcnt(0)
	v_mul_f64 v[133:134], v[6:7], v[113:114]
	v_mul_f64 v[113:114], v[8:9], v[113:114]
	v_fma_f64 v[137:138], v[4:5], v[27:28], v[137:138]
	v_fma_f64 v[141:142], v[2:3], v[27:28], -v[29:30]
	scratch_load_b128 v[27:30], off, off offset:384
	ds_load_b128 v[2:5], v1 offset:672
	v_add_f64 v[31:32], v[31:32], v[139:140]
	v_add_f64 v[131:132], v[131:132], v[135:136]
	v_fma_f64 v[133:134], v[8:9], v[111:112], v[133:134]
	v_fma_f64 v[139:140], v[6:7], v[111:112], -v[113:114]
	ds_load_b128 v[6:9], v1 offset:688
	s_waitcnt vmcnt(8) lgkmcnt(1)
	v_mul_f64 v[135:136], v[2:3], v[121:122]
	v_mul_f64 v[121:122], v[4:5], v[121:122]
	scratch_load_b128 v[111:114], off, off offset:400
	v_add_f64 v[31:32], v[31:32], v[141:142]
	v_add_f64 v[131:132], v[131:132], v[137:138]
	s_waitcnt vmcnt(8) lgkmcnt(0)
	v_mul_f64 v[137:138], v[6:7], v[129:130]
	v_mul_f64 v[129:130], v[8:9], v[129:130]
	v_fma_f64 v[135:136], v[4:5], v[119:120], v[135:136]
	v_fma_f64 v[119:120], v[2:3], v[119:120], -v[121:122]
	ds_load_b128 v[2:5], v1 offset:704
	v_add_f64 v[31:32], v[31:32], v[139:140]
	v_add_f64 v[121:122], v[131:132], v[133:134]
	v_fma_f64 v[133:134], v[8:9], v[127:128], v[137:138]
	v_fma_f64 v[127:128], v[6:7], v[127:128], -v[129:130]
	ds_load_b128 v[6:9], v1 offset:720
	s_waitcnt vmcnt(7) lgkmcnt(1)
	v_mul_f64 v[131:132], v[2:3], v[117:118]
	v_mul_f64 v[117:118], v[4:5], v[117:118]
	v_add_f64 v[31:32], v[31:32], v[119:120]
	v_add_f64 v[119:120], v[121:122], v[135:136]
	s_delay_alu instid0(VALU_DEP_4) | instskip(NEXT) | instid1(VALU_DEP_4)
	v_fma_f64 v[129:130], v[4:5], v[115:116], v[131:132]
	v_fma_f64 v[131:132], v[2:3], v[115:116], -v[117:118]
	scratch_load_b128 v[115:118], off, off offset:112
	s_waitcnt vmcnt(7) lgkmcnt(0)
	v_mul_f64 v[121:122], v[6:7], v[125:126]
	v_mul_f64 v[125:126], v[8:9], v[125:126]
	ds_load_b128 v[2:5], v1 offset:736
	v_add_f64 v[31:32], v[31:32], v[127:128]
	v_add_f64 v[119:120], v[119:120], v[133:134]
	v_fma_f64 v[121:122], v[8:9], v[123:124], v[121:122]
	v_fma_f64 v[123:124], v[6:7], v[123:124], -v[125:126]
	ds_load_b128 v[6:9], v1 offset:752
	s_waitcnt vmcnt(6) lgkmcnt(1)
	v_mul_f64 v[127:128], v[2:3], v[12:13]
	v_mul_f64 v[12:13], v[4:5], v[12:13]
	v_add_f64 v[31:32], v[31:32], v[131:132]
	v_add_f64 v[119:120], v[119:120], v[129:130]
	s_waitcnt vmcnt(5) lgkmcnt(0)
	v_mul_f64 v[125:126], v[6:7], v[16:17]
	v_mul_f64 v[16:17], v[8:9], v[16:17]
	v_fma_f64 v[127:128], v[4:5], v[10:11], v[127:128]
	v_fma_f64 v[10:11], v[2:3], v[10:11], -v[12:13]
	ds_load_b128 v[2:5], v1 offset:768
	v_add_f64 v[12:13], v[31:32], v[123:124]
	v_add_f64 v[31:32], v[119:120], v[121:122]
	v_fma_f64 v[121:122], v[8:9], v[14:15], v[125:126]
	v_fma_f64 v[14:15], v[6:7], v[14:15], -v[16:17]
	ds_load_b128 v[6:9], v1 offset:784
	s_waitcnt vmcnt(4) lgkmcnt(1)
	v_mul_f64 v[119:120], v[2:3], v[20:21]
	v_mul_f64 v[20:21], v[4:5], v[20:21]
	s_waitcnt vmcnt(3) lgkmcnt(0)
	v_mul_f64 v[16:17], v[6:7], v[24:25]
	v_mul_f64 v[24:25], v[8:9], v[24:25]
	v_add_f64 v[10:11], v[12:13], v[10:11]
	v_add_f64 v[12:13], v[31:32], v[127:128]
	v_fma_f64 v[31:32], v[4:5], v[18:19], v[119:120]
	v_fma_f64 v[18:19], v[2:3], v[18:19], -v[20:21]
	ds_load_b128 v[2:5], v1 offset:800
	v_fma_f64 v[16:17], v[8:9], v[22:23], v[16:17]
	v_fma_f64 v[22:23], v[6:7], v[22:23], -v[24:25]
	ds_load_b128 v[6:9], v1 offset:816
	s_waitcnt vmcnt(2) lgkmcnt(1)
	v_mul_f64 v[20:21], v[4:5], v[29:30]
	v_add_f64 v[10:11], v[10:11], v[14:15]
	v_add_f64 v[12:13], v[12:13], v[121:122]
	v_mul_f64 v[14:15], v[2:3], v[29:30]
	s_waitcnt vmcnt(1) lgkmcnt(0)
	v_mul_f64 v[24:25], v[8:9], v[113:114]
	v_fma_f64 v[1:2], v[2:3], v[27:28], -v[20:21]
	v_add_f64 v[10:11], v[10:11], v[18:19]
	v_add_f64 v[12:13], v[12:13], v[31:32]
	v_mul_f64 v[18:19], v[6:7], v[113:114]
	v_fma_f64 v[4:5], v[4:5], v[27:28], v[14:15]
	v_fma_f64 v[6:7], v[6:7], v[111:112], -v[24:25]
	v_add_f64 v[10:11], v[10:11], v[22:23]
	v_add_f64 v[12:13], v[12:13], v[16:17]
	v_fma_f64 v[8:9], v[8:9], v[111:112], v[18:19]
	s_delay_alu instid0(VALU_DEP_3) | instskip(NEXT) | instid1(VALU_DEP_3)
	v_add_f64 v[1:2], v[10:11], v[1:2]
	v_add_f64 v[3:4], v[12:13], v[4:5]
	s_delay_alu instid0(VALU_DEP_2) | instskip(NEXT) | instid1(VALU_DEP_2)
	v_add_f64 v[1:2], v[1:2], v[6:7]
	v_add_f64 v[3:4], v[3:4], v[8:9]
	s_waitcnt vmcnt(0)
	s_delay_alu instid0(VALU_DEP_2) | instskip(NEXT) | instid1(VALU_DEP_2)
	v_add_f64 v[1:2], v[115:116], -v[1:2]
	v_add_f64 v[3:4], v[117:118], -v[3:4]
	scratch_store_b128 off, v[1:4], off offset:112
	v_cmpx_lt_u32_e32 6, v85
	s_cbranch_execz .LBB89_157
; %bb.156:
	scratch_load_b128 v[1:4], v102, off
	v_mov_b32_e32 v5, 0
	s_delay_alu instid0(VALU_DEP_1)
	v_mov_b32_e32 v6, v5
	v_mov_b32_e32 v7, v5
	;; [unrolled: 1-line block ×3, first 2 shown]
	scratch_store_b128 off, v[5:8], off offset:96
	s_waitcnt vmcnt(0)
	ds_store_b128 v26, v[1:4]
.LBB89_157:
	s_or_b32 exec_lo, exec_lo, s2
	s_waitcnt lgkmcnt(0)
	s_waitcnt_vscnt null, 0x0
	s_barrier
	buffer_gl0_inv
	s_clause 0x7
	scratch_load_b128 v[2:5], off, off offset:112
	scratch_load_b128 v[6:9], off, off offset:128
	;; [unrolled: 1-line block ×8, first 2 shown]
	v_mov_b32_e32 v1, 0
	s_clause 0x1
	scratch_load_b128 v[119:122], off, off offset:240
	scratch_load_b128 v[127:130], off, off offset:256
	s_mov_b32 s2, exec_lo
	ds_load_b128 v[115:118], v1 offset:528
	ds_load_b128 v[123:126], v1 offset:544
	s_waitcnt vmcnt(9) lgkmcnt(1)
	v_mul_f64 v[31:32], v[117:118], v[4:5]
	v_mul_f64 v[4:5], v[115:116], v[4:5]
	s_waitcnt vmcnt(8) lgkmcnt(0)
	v_mul_f64 v[131:132], v[123:124], v[8:9]
	v_mul_f64 v[8:9], v[125:126], v[8:9]
	s_delay_alu instid0(VALU_DEP_4) | instskip(NEXT) | instid1(VALU_DEP_4)
	v_fma_f64 v[31:32], v[115:116], v[2:3], -v[31:32]
	v_fma_f64 v[133:134], v[117:118], v[2:3], v[4:5]
	ds_load_b128 v[2:5], v1 offset:560
	scratch_load_b128 v[115:118], off, off offset:272
	v_fma_f64 v[131:132], v[125:126], v[6:7], v[131:132]
	v_fma_f64 v[137:138], v[123:124], v[6:7], -v[8:9]
	scratch_load_b128 v[123:126], off, off offset:288
	ds_load_b128 v[6:9], v1 offset:576
	s_waitcnt vmcnt(9) lgkmcnt(1)
	v_mul_f64 v[135:136], v[2:3], v[12:13]
	v_mul_f64 v[12:13], v[4:5], v[12:13]
	s_waitcnt vmcnt(8) lgkmcnt(0)
	v_mul_f64 v[139:140], v[6:7], v[16:17]
	v_mul_f64 v[16:17], v[8:9], v[16:17]
	v_add_f64 v[31:32], v[31:32], 0
	v_add_f64 v[133:134], v[133:134], 0
	v_fma_f64 v[135:136], v[4:5], v[10:11], v[135:136]
	v_fma_f64 v[141:142], v[2:3], v[10:11], -v[12:13]
	ds_load_b128 v[2:5], v1 offset:592
	scratch_load_b128 v[10:13], off, off offset:304
	v_add_f64 v[31:32], v[31:32], v[137:138]
	v_add_f64 v[131:132], v[133:134], v[131:132]
	v_fma_f64 v[137:138], v[8:9], v[14:15], v[139:140]
	v_fma_f64 v[139:140], v[6:7], v[14:15], -v[16:17]
	ds_load_b128 v[6:9], v1 offset:608
	scratch_load_b128 v[14:17], off, off offset:320
	s_waitcnt vmcnt(9) lgkmcnt(1)
	v_mul_f64 v[133:134], v[2:3], v[20:21]
	v_mul_f64 v[20:21], v[4:5], v[20:21]
	v_add_f64 v[31:32], v[31:32], v[141:142]
	v_add_f64 v[131:132], v[131:132], v[135:136]
	s_waitcnt vmcnt(8) lgkmcnt(0)
	v_mul_f64 v[135:136], v[6:7], v[24:25]
	v_mul_f64 v[24:25], v[8:9], v[24:25]
	v_fma_f64 v[133:134], v[4:5], v[18:19], v[133:134]
	v_fma_f64 v[141:142], v[2:3], v[18:19], -v[20:21]
	scratch_load_b128 v[18:21], off, off offset:336
	ds_load_b128 v[2:5], v1 offset:624
	v_add_f64 v[31:32], v[31:32], v[139:140]
	v_add_f64 v[131:132], v[131:132], v[137:138]
	v_fma_f64 v[135:136], v[8:9], v[22:23], v[135:136]
	v_fma_f64 v[139:140], v[6:7], v[22:23], -v[24:25]
	ds_load_b128 v[6:9], v1 offset:640
	s_waitcnt vmcnt(8) lgkmcnt(1)
	v_mul_f64 v[137:138], v[2:3], v[29:30]
	v_mul_f64 v[29:30], v[4:5], v[29:30]
	scratch_load_b128 v[22:25], off, off offset:352
	v_add_f64 v[31:32], v[31:32], v[141:142]
	v_add_f64 v[131:132], v[131:132], v[133:134]
	s_waitcnt vmcnt(8) lgkmcnt(0)
	v_mul_f64 v[133:134], v[6:7], v[113:114]
	v_mul_f64 v[113:114], v[8:9], v[113:114]
	v_fma_f64 v[137:138], v[4:5], v[27:28], v[137:138]
	v_fma_f64 v[141:142], v[2:3], v[27:28], -v[29:30]
	scratch_load_b128 v[27:30], off, off offset:368
	ds_load_b128 v[2:5], v1 offset:656
	v_add_f64 v[31:32], v[31:32], v[139:140]
	v_add_f64 v[131:132], v[131:132], v[135:136]
	v_fma_f64 v[133:134], v[8:9], v[111:112], v[133:134]
	v_fma_f64 v[139:140], v[6:7], v[111:112], -v[113:114]
	ds_load_b128 v[6:9], v1 offset:672
	s_waitcnt vmcnt(8) lgkmcnt(1)
	v_mul_f64 v[135:136], v[2:3], v[121:122]
	v_mul_f64 v[121:122], v[4:5], v[121:122]
	scratch_load_b128 v[111:114], off, off offset:384
	v_add_f64 v[31:32], v[31:32], v[141:142]
	v_add_f64 v[131:132], v[131:132], v[137:138]
	s_waitcnt vmcnt(8) lgkmcnt(0)
	v_mul_f64 v[137:138], v[6:7], v[129:130]
	v_mul_f64 v[129:130], v[8:9], v[129:130]
	v_fma_f64 v[135:136], v[4:5], v[119:120], v[135:136]
	v_fma_f64 v[141:142], v[2:3], v[119:120], -v[121:122]
	scratch_load_b128 v[119:122], off, off offset:400
	ds_load_b128 v[2:5], v1 offset:688
	v_add_f64 v[31:32], v[31:32], v[139:140]
	v_add_f64 v[131:132], v[131:132], v[133:134]
	v_fma_f64 v[137:138], v[8:9], v[127:128], v[137:138]
	v_fma_f64 v[127:128], v[6:7], v[127:128], -v[129:130]
	ds_load_b128 v[6:9], v1 offset:704
	s_waitcnt vmcnt(8) lgkmcnt(1)
	v_mul_f64 v[133:134], v[2:3], v[117:118]
	v_mul_f64 v[117:118], v[4:5], v[117:118]
	v_add_f64 v[31:32], v[31:32], v[141:142]
	v_add_f64 v[129:130], v[131:132], v[135:136]
	s_waitcnt vmcnt(7) lgkmcnt(0)
	v_mul_f64 v[131:132], v[6:7], v[125:126]
	v_mul_f64 v[125:126], v[8:9], v[125:126]
	v_fma_f64 v[133:134], v[4:5], v[115:116], v[133:134]
	v_fma_f64 v[115:116], v[2:3], v[115:116], -v[117:118]
	ds_load_b128 v[2:5], v1 offset:720
	v_add_f64 v[31:32], v[31:32], v[127:128]
	v_add_f64 v[117:118], v[129:130], v[137:138]
	v_fma_f64 v[129:130], v[8:9], v[123:124], v[131:132]
	v_fma_f64 v[123:124], v[6:7], v[123:124], -v[125:126]
	ds_load_b128 v[6:9], v1 offset:736
	s_waitcnt vmcnt(5) lgkmcnt(0)
	v_mul_f64 v[131:132], v[6:7], v[16:17]
	v_mul_f64 v[16:17], v[8:9], v[16:17]
	v_add_f64 v[31:32], v[31:32], v[115:116]
	v_add_f64 v[125:126], v[117:118], v[133:134]
	scratch_load_b128 v[115:118], off, off offset:96
	v_mul_f64 v[127:128], v[2:3], v[12:13]
	v_mul_f64 v[12:13], v[4:5], v[12:13]
	s_delay_alu instid0(VALU_DEP_2) | instskip(NEXT) | instid1(VALU_DEP_2)
	v_fma_f64 v[127:128], v[4:5], v[10:11], v[127:128]
	v_fma_f64 v[10:11], v[2:3], v[10:11], -v[12:13]
	v_add_f64 v[12:13], v[31:32], v[123:124]
	v_add_f64 v[31:32], v[125:126], v[129:130]
	ds_load_b128 v[2:5], v1 offset:752
	v_fma_f64 v[125:126], v[8:9], v[14:15], v[131:132]
	v_fma_f64 v[14:15], v[6:7], v[14:15], -v[16:17]
	ds_load_b128 v[6:9], v1 offset:768
	s_waitcnt vmcnt(5) lgkmcnt(1)
	v_mul_f64 v[123:124], v[2:3], v[20:21]
	v_mul_f64 v[20:21], v[4:5], v[20:21]
	s_waitcnt vmcnt(4) lgkmcnt(0)
	v_mul_f64 v[16:17], v[6:7], v[24:25]
	v_mul_f64 v[24:25], v[8:9], v[24:25]
	v_add_f64 v[10:11], v[12:13], v[10:11]
	v_add_f64 v[12:13], v[31:32], v[127:128]
	v_fma_f64 v[31:32], v[4:5], v[18:19], v[123:124]
	v_fma_f64 v[18:19], v[2:3], v[18:19], -v[20:21]
	ds_load_b128 v[2:5], v1 offset:784
	v_fma_f64 v[16:17], v[8:9], v[22:23], v[16:17]
	v_fma_f64 v[22:23], v[6:7], v[22:23], -v[24:25]
	ds_load_b128 v[6:9], v1 offset:800
	v_add_f64 v[10:11], v[10:11], v[14:15]
	v_add_f64 v[12:13], v[12:13], v[125:126]
	s_waitcnt vmcnt(3) lgkmcnt(1)
	v_mul_f64 v[14:15], v[2:3], v[29:30]
	v_mul_f64 v[20:21], v[4:5], v[29:30]
	s_waitcnt vmcnt(2) lgkmcnt(0)
	v_mul_f64 v[24:25], v[8:9], v[113:114]
	v_add_f64 v[10:11], v[10:11], v[18:19]
	v_add_f64 v[12:13], v[12:13], v[31:32]
	v_mul_f64 v[18:19], v[6:7], v[113:114]
	v_fma_f64 v[14:15], v[4:5], v[27:28], v[14:15]
	v_fma_f64 v[20:21], v[2:3], v[27:28], -v[20:21]
	ds_load_b128 v[2:5], v1 offset:816
	v_fma_f64 v[6:7], v[6:7], v[111:112], -v[24:25]
	v_add_f64 v[10:11], v[10:11], v[22:23]
	v_add_f64 v[12:13], v[12:13], v[16:17]
	s_waitcnt vmcnt(1) lgkmcnt(0)
	v_mul_f64 v[16:17], v[2:3], v[121:122]
	v_mul_f64 v[22:23], v[4:5], v[121:122]
	v_fma_f64 v[8:9], v[8:9], v[111:112], v[18:19]
	v_add_f64 v[10:11], v[10:11], v[20:21]
	v_add_f64 v[12:13], v[12:13], v[14:15]
	v_fma_f64 v[4:5], v[4:5], v[119:120], v[16:17]
	v_fma_f64 v[2:3], v[2:3], v[119:120], -v[22:23]
	s_delay_alu instid0(VALU_DEP_4) | instskip(NEXT) | instid1(VALU_DEP_4)
	v_add_f64 v[6:7], v[10:11], v[6:7]
	v_add_f64 v[8:9], v[12:13], v[8:9]
	s_delay_alu instid0(VALU_DEP_2) | instskip(NEXT) | instid1(VALU_DEP_2)
	v_add_f64 v[2:3], v[6:7], v[2:3]
	v_add_f64 v[4:5], v[8:9], v[4:5]
	s_waitcnt vmcnt(0)
	s_delay_alu instid0(VALU_DEP_2) | instskip(NEXT) | instid1(VALU_DEP_2)
	v_add_f64 v[2:3], v[115:116], -v[2:3]
	v_add_f64 v[4:5], v[117:118], -v[4:5]
	scratch_store_b128 off, v[2:5], off offset:96
	v_cmpx_lt_u32_e32 5, v85
	s_cbranch_execz .LBB89_159
; %bb.158:
	scratch_load_b128 v[5:8], v104, off
	v_mov_b32_e32 v2, v1
	v_mov_b32_e32 v3, v1
	;; [unrolled: 1-line block ×3, first 2 shown]
	scratch_store_b128 off, v[1:4], off offset:80
	s_waitcnt vmcnt(0)
	ds_store_b128 v26, v[5:8]
.LBB89_159:
	s_or_b32 exec_lo, exec_lo, s2
	s_waitcnt lgkmcnt(0)
	s_waitcnt_vscnt null, 0x0
	s_barrier
	buffer_gl0_inv
	s_clause 0x7
	scratch_load_b128 v[2:5], off, off offset:96
	scratch_load_b128 v[6:9], off, off offset:112
	;; [unrolled: 1-line block ×8, first 2 shown]
	ds_load_b128 v[115:118], v1 offset:512
	ds_load_b128 v[123:126], v1 offset:528
	s_clause 0x1
	scratch_load_b128 v[119:122], off, off offset:224
	scratch_load_b128 v[127:130], off, off offset:240
	s_mov_b32 s2, exec_lo
	s_waitcnt vmcnt(9) lgkmcnt(1)
	v_mul_f64 v[31:32], v[117:118], v[4:5]
	v_mul_f64 v[4:5], v[115:116], v[4:5]
	s_waitcnt vmcnt(8) lgkmcnt(0)
	v_mul_f64 v[131:132], v[123:124], v[8:9]
	v_mul_f64 v[8:9], v[125:126], v[8:9]
	s_delay_alu instid0(VALU_DEP_4) | instskip(NEXT) | instid1(VALU_DEP_4)
	v_fma_f64 v[31:32], v[115:116], v[2:3], -v[31:32]
	v_fma_f64 v[133:134], v[117:118], v[2:3], v[4:5]
	ds_load_b128 v[2:5], v1 offset:544
	scratch_load_b128 v[115:118], off, off offset:256
	v_fma_f64 v[131:132], v[125:126], v[6:7], v[131:132]
	v_fma_f64 v[137:138], v[123:124], v[6:7], -v[8:9]
	scratch_load_b128 v[123:126], off, off offset:272
	ds_load_b128 v[6:9], v1 offset:560
	s_waitcnt vmcnt(9) lgkmcnt(1)
	v_mul_f64 v[135:136], v[2:3], v[12:13]
	v_mul_f64 v[12:13], v[4:5], v[12:13]
	s_waitcnt vmcnt(8) lgkmcnt(0)
	v_mul_f64 v[139:140], v[6:7], v[16:17]
	v_mul_f64 v[16:17], v[8:9], v[16:17]
	v_add_f64 v[31:32], v[31:32], 0
	v_add_f64 v[133:134], v[133:134], 0
	v_fma_f64 v[135:136], v[4:5], v[10:11], v[135:136]
	v_fma_f64 v[141:142], v[2:3], v[10:11], -v[12:13]
	ds_load_b128 v[2:5], v1 offset:576
	scratch_load_b128 v[10:13], off, off offset:288
	v_add_f64 v[31:32], v[31:32], v[137:138]
	v_add_f64 v[131:132], v[133:134], v[131:132]
	v_fma_f64 v[137:138], v[8:9], v[14:15], v[139:140]
	v_fma_f64 v[139:140], v[6:7], v[14:15], -v[16:17]
	ds_load_b128 v[6:9], v1 offset:592
	scratch_load_b128 v[14:17], off, off offset:304
	s_waitcnt vmcnt(9) lgkmcnt(1)
	v_mul_f64 v[133:134], v[2:3], v[20:21]
	v_mul_f64 v[20:21], v[4:5], v[20:21]
	v_add_f64 v[31:32], v[31:32], v[141:142]
	v_add_f64 v[131:132], v[131:132], v[135:136]
	s_waitcnt vmcnt(8) lgkmcnt(0)
	v_mul_f64 v[135:136], v[6:7], v[24:25]
	v_mul_f64 v[24:25], v[8:9], v[24:25]
	v_fma_f64 v[133:134], v[4:5], v[18:19], v[133:134]
	v_fma_f64 v[141:142], v[2:3], v[18:19], -v[20:21]
	ds_load_b128 v[2:5], v1 offset:608
	scratch_load_b128 v[18:21], off, off offset:320
	v_add_f64 v[31:32], v[31:32], v[139:140]
	v_add_f64 v[131:132], v[131:132], v[137:138]
	v_fma_f64 v[135:136], v[8:9], v[22:23], v[135:136]
	v_fma_f64 v[139:140], v[6:7], v[22:23], -v[24:25]
	ds_load_b128 v[6:9], v1 offset:624
	s_waitcnt vmcnt(8) lgkmcnt(1)
	v_mul_f64 v[137:138], v[2:3], v[29:30]
	v_mul_f64 v[29:30], v[4:5], v[29:30]
	scratch_load_b128 v[22:25], off, off offset:336
	v_add_f64 v[31:32], v[31:32], v[141:142]
	v_add_f64 v[131:132], v[131:132], v[133:134]
	s_waitcnt vmcnt(8) lgkmcnt(0)
	v_mul_f64 v[133:134], v[6:7], v[113:114]
	v_mul_f64 v[113:114], v[8:9], v[113:114]
	v_fma_f64 v[137:138], v[4:5], v[27:28], v[137:138]
	v_fma_f64 v[141:142], v[2:3], v[27:28], -v[29:30]
	scratch_load_b128 v[27:30], off, off offset:352
	ds_load_b128 v[2:5], v1 offset:640
	v_add_f64 v[31:32], v[31:32], v[139:140]
	v_add_f64 v[131:132], v[131:132], v[135:136]
	v_fma_f64 v[133:134], v[8:9], v[111:112], v[133:134]
	v_fma_f64 v[139:140], v[6:7], v[111:112], -v[113:114]
	ds_load_b128 v[6:9], v1 offset:656
	s_waitcnt vmcnt(8) lgkmcnt(1)
	v_mul_f64 v[135:136], v[2:3], v[121:122]
	v_mul_f64 v[121:122], v[4:5], v[121:122]
	scratch_load_b128 v[111:114], off, off offset:368
	v_add_f64 v[31:32], v[31:32], v[141:142]
	v_add_f64 v[131:132], v[131:132], v[137:138]
	s_waitcnt vmcnt(8) lgkmcnt(0)
	v_mul_f64 v[137:138], v[6:7], v[129:130]
	v_mul_f64 v[129:130], v[8:9], v[129:130]
	v_fma_f64 v[135:136], v[4:5], v[119:120], v[135:136]
	v_fma_f64 v[141:142], v[2:3], v[119:120], -v[121:122]
	scratch_load_b128 v[119:122], off, off offset:384
	ds_load_b128 v[2:5], v1 offset:672
	v_add_f64 v[31:32], v[31:32], v[139:140]
	v_add_f64 v[131:132], v[131:132], v[133:134]
	v_fma_f64 v[137:138], v[8:9], v[127:128], v[137:138]
	v_fma_f64 v[139:140], v[6:7], v[127:128], -v[129:130]
	ds_load_b128 v[6:9], v1 offset:688
	scratch_load_b128 v[127:130], off, off offset:400
	s_waitcnt vmcnt(9) lgkmcnt(1)
	v_mul_f64 v[133:134], v[2:3], v[117:118]
	v_mul_f64 v[117:118], v[4:5], v[117:118]
	v_add_f64 v[31:32], v[31:32], v[141:142]
	v_add_f64 v[131:132], v[131:132], v[135:136]
	s_waitcnt vmcnt(8) lgkmcnt(0)
	v_mul_f64 v[135:136], v[6:7], v[125:126]
	v_mul_f64 v[125:126], v[8:9], v[125:126]
	v_fma_f64 v[133:134], v[4:5], v[115:116], v[133:134]
	v_fma_f64 v[115:116], v[2:3], v[115:116], -v[117:118]
	ds_load_b128 v[2:5], v1 offset:704
	v_add_f64 v[31:32], v[31:32], v[139:140]
	v_add_f64 v[117:118], v[131:132], v[137:138]
	v_fma_f64 v[135:136], v[8:9], v[123:124], v[135:136]
	v_fma_f64 v[123:124], v[6:7], v[123:124], -v[125:126]
	ds_load_b128 v[6:9], v1 offset:720
	s_waitcnt vmcnt(7) lgkmcnt(1)
	v_mul_f64 v[131:132], v[2:3], v[12:13]
	v_mul_f64 v[12:13], v[4:5], v[12:13]
	v_add_f64 v[31:32], v[31:32], v[115:116]
	v_add_f64 v[115:116], v[117:118], v[133:134]
	s_delay_alu instid0(VALU_DEP_4) | instskip(NEXT) | instid1(VALU_DEP_4)
	v_fma_f64 v[125:126], v[4:5], v[10:11], v[131:132]
	v_fma_f64 v[131:132], v[2:3], v[10:11], -v[12:13]
	scratch_load_b128 v[10:13], off, off offset:80
	s_waitcnt vmcnt(7) lgkmcnt(0)
	v_mul_f64 v[117:118], v[6:7], v[16:17]
	v_mul_f64 v[16:17], v[8:9], v[16:17]
	ds_load_b128 v[2:5], v1 offset:736
	v_add_f64 v[31:32], v[31:32], v[123:124]
	v_add_f64 v[115:116], v[115:116], v[135:136]
	v_fma_f64 v[117:118], v[8:9], v[14:15], v[117:118]
	v_fma_f64 v[14:15], v[6:7], v[14:15], -v[16:17]
	ds_load_b128 v[6:9], v1 offset:752
	s_waitcnt vmcnt(6) lgkmcnt(1)
	v_mul_f64 v[123:124], v[2:3], v[20:21]
	v_mul_f64 v[20:21], v[4:5], v[20:21]
	v_add_f64 v[16:17], v[31:32], v[131:132]
	v_add_f64 v[31:32], v[115:116], v[125:126]
	s_waitcnt vmcnt(5) lgkmcnt(0)
	v_mul_f64 v[115:116], v[6:7], v[24:25]
	v_mul_f64 v[24:25], v[8:9], v[24:25]
	v_fma_f64 v[123:124], v[4:5], v[18:19], v[123:124]
	v_fma_f64 v[18:19], v[2:3], v[18:19], -v[20:21]
	ds_load_b128 v[2:5], v1 offset:768
	v_add_f64 v[14:15], v[16:17], v[14:15]
	v_add_f64 v[16:17], v[31:32], v[117:118]
	v_fma_f64 v[31:32], v[8:9], v[22:23], v[115:116]
	v_fma_f64 v[22:23], v[6:7], v[22:23], -v[24:25]
	ds_load_b128 v[6:9], v1 offset:784
	s_waitcnt vmcnt(4) lgkmcnt(1)
	v_mul_f64 v[20:21], v[2:3], v[29:30]
	v_mul_f64 v[29:30], v[4:5], v[29:30]
	s_waitcnt vmcnt(3) lgkmcnt(0)
	v_mul_f64 v[24:25], v[8:9], v[113:114]
	v_add_f64 v[14:15], v[14:15], v[18:19]
	v_add_f64 v[16:17], v[16:17], v[123:124]
	v_mul_f64 v[18:19], v[6:7], v[113:114]
	v_fma_f64 v[20:21], v[4:5], v[27:28], v[20:21]
	v_fma_f64 v[27:28], v[2:3], v[27:28], -v[29:30]
	ds_load_b128 v[2:5], v1 offset:800
	v_fma_f64 v[24:25], v[6:7], v[111:112], -v[24:25]
	v_add_f64 v[14:15], v[14:15], v[22:23]
	v_add_f64 v[16:17], v[16:17], v[31:32]
	v_fma_f64 v[18:19], v[8:9], v[111:112], v[18:19]
	ds_load_b128 v[6:9], v1 offset:816
	s_waitcnt vmcnt(2) lgkmcnt(1)
	v_mul_f64 v[22:23], v[2:3], v[121:122]
	v_mul_f64 v[29:30], v[4:5], v[121:122]
	v_add_f64 v[14:15], v[14:15], v[27:28]
	v_add_f64 v[16:17], v[16:17], v[20:21]
	s_waitcnt vmcnt(1) lgkmcnt(0)
	v_mul_f64 v[20:21], v[6:7], v[129:130]
	v_mul_f64 v[27:28], v[8:9], v[129:130]
	v_fma_f64 v[4:5], v[4:5], v[119:120], v[22:23]
	v_fma_f64 v[1:2], v[2:3], v[119:120], -v[29:30]
	v_add_f64 v[14:15], v[14:15], v[24:25]
	v_add_f64 v[16:17], v[16:17], v[18:19]
	v_fma_f64 v[8:9], v[8:9], v[127:128], v[20:21]
	v_fma_f64 v[6:7], v[6:7], v[127:128], -v[27:28]
	s_delay_alu instid0(VALU_DEP_4) | instskip(NEXT) | instid1(VALU_DEP_4)
	v_add_f64 v[1:2], v[14:15], v[1:2]
	v_add_f64 v[3:4], v[16:17], v[4:5]
	s_delay_alu instid0(VALU_DEP_2) | instskip(NEXT) | instid1(VALU_DEP_2)
	v_add_f64 v[1:2], v[1:2], v[6:7]
	v_add_f64 v[3:4], v[3:4], v[8:9]
	s_waitcnt vmcnt(0)
	s_delay_alu instid0(VALU_DEP_2) | instskip(NEXT) | instid1(VALU_DEP_2)
	v_add_f64 v[1:2], v[10:11], -v[1:2]
	v_add_f64 v[3:4], v[12:13], -v[3:4]
	scratch_store_b128 off, v[1:4], off offset:80
	v_cmpx_lt_u32_e32 4, v85
	s_cbranch_execz .LBB89_161
; %bb.160:
	scratch_load_b128 v[1:4], v86, off
	v_mov_b32_e32 v5, 0
	s_delay_alu instid0(VALU_DEP_1)
	v_mov_b32_e32 v6, v5
	v_mov_b32_e32 v7, v5
	;; [unrolled: 1-line block ×3, first 2 shown]
	scratch_store_b128 off, v[5:8], off offset:64
	s_waitcnt vmcnt(0)
	ds_store_b128 v26, v[1:4]
.LBB89_161:
	s_or_b32 exec_lo, exec_lo, s2
	s_waitcnt lgkmcnt(0)
	s_waitcnt_vscnt null, 0x0
	s_barrier
	buffer_gl0_inv
	s_clause 0x7
	scratch_load_b128 v[2:5], off, off offset:80
	scratch_load_b128 v[6:9], off, off offset:96
	;; [unrolled: 1-line block ×8, first 2 shown]
	v_mov_b32_e32 v1, 0
	s_clause 0x1
	scratch_load_b128 v[119:122], off, off offset:208
	scratch_load_b128 v[127:130], off, off offset:224
	s_mov_b32 s2, exec_lo
	ds_load_b128 v[115:118], v1 offset:496
	ds_load_b128 v[123:126], v1 offset:512
	s_waitcnt vmcnt(9) lgkmcnt(1)
	v_mul_f64 v[31:32], v[117:118], v[4:5]
	v_mul_f64 v[4:5], v[115:116], v[4:5]
	s_waitcnt vmcnt(8) lgkmcnt(0)
	v_mul_f64 v[131:132], v[123:124], v[8:9]
	v_mul_f64 v[8:9], v[125:126], v[8:9]
	s_delay_alu instid0(VALU_DEP_4) | instskip(NEXT) | instid1(VALU_DEP_4)
	v_fma_f64 v[31:32], v[115:116], v[2:3], -v[31:32]
	v_fma_f64 v[133:134], v[117:118], v[2:3], v[4:5]
	ds_load_b128 v[2:5], v1 offset:528
	scratch_load_b128 v[115:118], off, off offset:240
	v_fma_f64 v[131:132], v[125:126], v[6:7], v[131:132]
	v_fma_f64 v[137:138], v[123:124], v[6:7], -v[8:9]
	scratch_load_b128 v[123:126], off, off offset:256
	ds_load_b128 v[6:9], v1 offset:544
	s_waitcnt vmcnt(9) lgkmcnt(1)
	v_mul_f64 v[135:136], v[2:3], v[12:13]
	v_mul_f64 v[12:13], v[4:5], v[12:13]
	s_waitcnt vmcnt(8) lgkmcnt(0)
	v_mul_f64 v[139:140], v[6:7], v[16:17]
	v_mul_f64 v[16:17], v[8:9], v[16:17]
	v_add_f64 v[31:32], v[31:32], 0
	v_add_f64 v[133:134], v[133:134], 0
	v_fma_f64 v[135:136], v[4:5], v[10:11], v[135:136]
	v_fma_f64 v[141:142], v[2:3], v[10:11], -v[12:13]
	ds_load_b128 v[2:5], v1 offset:560
	scratch_load_b128 v[10:13], off, off offset:272
	v_add_f64 v[31:32], v[31:32], v[137:138]
	v_add_f64 v[131:132], v[133:134], v[131:132]
	v_fma_f64 v[137:138], v[8:9], v[14:15], v[139:140]
	v_fma_f64 v[139:140], v[6:7], v[14:15], -v[16:17]
	scratch_load_b128 v[14:17], off, off offset:288
	ds_load_b128 v[6:9], v1 offset:576
	s_waitcnt vmcnt(9) lgkmcnt(1)
	v_mul_f64 v[133:134], v[2:3], v[20:21]
	v_mul_f64 v[20:21], v[4:5], v[20:21]
	v_add_f64 v[31:32], v[31:32], v[141:142]
	v_add_f64 v[131:132], v[131:132], v[135:136]
	s_waitcnt vmcnt(8) lgkmcnt(0)
	v_mul_f64 v[135:136], v[6:7], v[24:25]
	v_mul_f64 v[24:25], v[8:9], v[24:25]
	v_fma_f64 v[133:134], v[4:5], v[18:19], v[133:134]
	v_fma_f64 v[141:142], v[2:3], v[18:19], -v[20:21]
	ds_load_b128 v[2:5], v1 offset:592
	scratch_load_b128 v[18:21], off, off offset:304
	v_add_f64 v[31:32], v[31:32], v[139:140]
	v_add_f64 v[131:132], v[131:132], v[137:138]
	v_fma_f64 v[135:136], v[8:9], v[22:23], v[135:136]
	v_fma_f64 v[139:140], v[6:7], v[22:23], -v[24:25]
	ds_load_b128 v[6:9], v1 offset:608
	s_waitcnt vmcnt(8) lgkmcnt(1)
	v_mul_f64 v[137:138], v[2:3], v[29:30]
	v_mul_f64 v[29:30], v[4:5], v[29:30]
	scratch_load_b128 v[22:25], off, off offset:320
	v_add_f64 v[31:32], v[31:32], v[141:142]
	v_add_f64 v[131:132], v[131:132], v[133:134]
	s_waitcnt vmcnt(8) lgkmcnt(0)
	v_mul_f64 v[133:134], v[6:7], v[113:114]
	v_mul_f64 v[113:114], v[8:9], v[113:114]
	v_fma_f64 v[137:138], v[4:5], v[27:28], v[137:138]
	v_fma_f64 v[141:142], v[2:3], v[27:28], -v[29:30]
	scratch_load_b128 v[27:30], off, off offset:336
	ds_load_b128 v[2:5], v1 offset:624
	v_add_f64 v[31:32], v[31:32], v[139:140]
	v_add_f64 v[131:132], v[131:132], v[135:136]
	v_fma_f64 v[133:134], v[8:9], v[111:112], v[133:134]
	v_fma_f64 v[139:140], v[6:7], v[111:112], -v[113:114]
	ds_load_b128 v[6:9], v1 offset:640
	s_waitcnt vmcnt(8) lgkmcnt(1)
	v_mul_f64 v[135:136], v[2:3], v[121:122]
	v_mul_f64 v[121:122], v[4:5], v[121:122]
	scratch_load_b128 v[111:114], off, off offset:352
	v_add_f64 v[31:32], v[31:32], v[141:142]
	v_add_f64 v[131:132], v[131:132], v[137:138]
	s_waitcnt vmcnt(8) lgkmcnt(0)
	v_mul_f64 v[137:138], v[6:7], v[129:130]
	v_mul_f64 v[129:130], v[8:9], v[129:130]
	v_fma_f64 v[135:136], v[4:5], v[119:120], v[135:136]
	v_fma_f64 v[141:142], v[2:3], v[119:120], -v[121:122]
	scratch_load_b128 v[119:122], off, off offset:368
	ds_load_b128 v[2:5], v1 offset:656
	v_add_f64 v[31:32], v[31:32], v[139:140]
	v_add_f64 v[131:132], v[131:132], v[133:134]
	v_fma_f64 v[137:138], v[8:9], v[127:128], v[137:138]
	v_fma_f64 v[139:140], v[6:7], v[127:128], -v[129:130]
	ds_load_b128 v[6:9], v1 offset:672
	scratch_load_b128 v[127:130], off, off offset:384
	s_waitcnt vmcnt(9) lgkmcnt(1)
	v_mul_f64 v[133:134], v[2:3], v[117:118]
	v_mul_f64 v[117:118], v[4:5], v[117:118]
	v_add_f64 v[31:32], v[31:32], v[141:142]
	v_add_f64 v[131:132], v[131:132], v[135:136]
	s_waitcnt vmcnt(8) lgkmcnt(0)
	v_mul_f64 v[135:136], v[6:7], v[125:126]
	v_mul_f64 v[125:126], v[8:9], v[125:126]
	v_fma_f64 v[133:134], v[4:5], v[115:116], v[133:134]
	v_fma_f64 v[141:142], v[2:3], v[115:116], -v[117:118]
	scratch_load_b128 v[115:118], off, off offset:400
	ds_load_b128 v[2:5], v1 offset:688
	v_add_f64 v[31:32], v[31:32], v[139:140]
	v_add_f64 v[131:132], v[131:132], v[137:138]
	v_fma_f64 v[135:136], v[8:9], v[123:124], v[135:136]
	v_fma_f64 v[123:124], v[6:7], v[123:124], -v[125:126]
	ds_load_b128 v[6:9], v1 offset:704
	s_waitcnt vmcnt(8) lgkmcnt(1)
	v_mul_f64 v[137:138], v[2:3], v[12:13]
	v_mul_f64 v[12:13], v[4:5], v[12:13]
	v_add_f64 v[31:32], v[31:32], v[141:142]
	v_add_f64 v[125:126], v[131:132], v[133:134]
	s_waitcnt vmcnt(7) lgkmcnt(0)
	v_mul_f64 v[131:132], v[6:7], v[16:17]
	v_mul_f64 v[16:17], v[8:9], v[16:17]
	v_fma_f64 v[133:134], v[4:5], v[10:11], v[137:138]
	v_fma_f64 v[10:11], v[2:3], v[10:11], -v[12:13]
	ds_load_b128 v[2:5], v1 offset:720
	v_add_f64 v[12:13], v[31:32], v[123:124]
	v_add_f64 v[31:32], v[125:126], v[135:136]
	v_fma_f64 v[125:126], v[8:9], v[14:15], v[131:132]
	v_fma_f64 v[14:15], v[6:7], v[14:15], -v[16:17]
	ds_load_b128 v[6:9], v1 offset:736
	s_waitcnt vmcnt(5) lgkmcnt(0)
	v_mul_f64 v[131:132], v[6:7], v[24:25]
	v_mul_f64 v[24:25], v[8:9], v[24:25]
	v_add_f64 v[16:17], v[12:13], v[10:11]
	v_add_f64 v[31:32], v[31:32], v[133:134]
	scratch_load_b128 v[10:13], off, off offset:64
	v_mul_f64 v[123:124], v[2:3], v[20:21]
	v_mul_f64 v[20:21], v[4:5], v[20:21]
	v_add_f64 v[14:15], v[16:17], v[14:15]
	v_add_f64 v[16:17], v[31:32], v[125:126]
	v_fma_f64 v[31:32], v[8:9], v[22:23], v[131:132]
	v_fma_f64 v[123:124], v[4:5], v[18:19], v[123:124]
	v_fma_f64 v[18:19], v[2:3], v[18:19], -v[20:21]
	ds_load_b128 v[2:5], v1 offset:752
	v_fma_f64 v[22:23], v[6:7], v[22:23], -v[24:25]
	ds_load_b128 v[6:9], v1 offset:768
	s_waitcnt vmcnt(5) lgkmcnt(1)
	v_mul_f64 v[20:21], v[2:3], v[29:30]
	v_mul_f64 v[29:30], v[4:5], v[29:30]
	s_waitcnt vmcnt(4) lgkmcnt(0)
	v_mul_f64 v[24:25], v[8:9], v[113:114]
	v_add_f64 v[16:17], v[16:17], v[123:124]
	v_add_f64 v[14:15], v[14:15], v[18:19]
	v_mul_f64 v[18:19], v[6:7], v[113:114]
	v_fma_f64 v[20:21], v[4:5], v[27:28], v[20:21]
	v_fma_f64 v[27:28], v[2:3], v[27:28], -v[29:30]
	ds_load_b128 v[2:5], v1 offset:784
	v_fma_f64 v[24:25], v[6:7], v[111:112], -v[24:25]
	v_add_f64 v[16:17], v[16:17], v[31:32]
	v_add_f64 v[14:15], v[14:15], v[22:23]
	v_fma_f64 v[18:19], v[8:9], v[111:112], v[18:19]
	ds_load_b128 v[6:9], v1 offset:800
	s_waitcnt vmcnt(3) lgkmcnt(1)
	v_mul_f64 v[22:23], v[2:3], v[121:122]
	v_mul_f64 v[29:30], v[4:5], v[121:122]
	v_add_f64 v[16:17], v[16:17], v[20:21]
	v_add_f64 v[14:15], v[14:15], v[27:28]
	s_waitcnt vmcnt(2) lgkmcnt(0)
	v_mul_f64 v[20:21], v[6:7], v[129:130]
	v_mul_f64 v[27:28], v[8:9], v[129:130]
	v_fma_f64 v[22:23], v[4:5], v[119:120], v[22:23]
	v_fma_f64 v[29:30], v[2:3], v[119:120], -v[29:30]
	ds_load_b128 v[2:5], v1 offset:816
	v_add_f64 v[16:17], v[16:17], v[18:19]
	v_add_f64 v[14:15], v[14:15], v[24:25]
	s_waitcnt vmcnt(1) lgkmcnt(0)
	v_mul_f64 v[18:19], v[2:3], v[117:118]
	v_mul_f64 v[24:25], v[4:5], v[117:118]
	v_fma_f64 v[8:9], v[8:9], v[127:128], v[20:21]
	v_fma_f64 v[6:7], v[6:7], v[127:128], -v[27:28]
	v_add_f64 v[16:17], v[16:17], v[22:23]
	v_add_f64 v[14:15], v[14:15], v[29:30]
	v_fma_f64 v[4:5], v[4:5], v[115:116], v[18:19]
	v_fma_f64 v[2:3], v[2:3], v[115:116], -v[24:25]
	s_delay_alu instid0(VALU_DEP_4) | instskip(NEXT) | instid1(VALU_DEP_4)
	v_add_f64 v[8:9], v[16:17], v[8:9]
	v_add_f64 v[6:7], v[14:15], v[6:7]
	s_delay_alu instid0(VALU_DEP_2) | instskip(NEXT) | instid1(VALU_DEP_2)
	v_add_f64 v[4:5], v[8:9], v[4:5]
	v_add_f64 v[2:3], v[6:7], v[2:3]
	s_waitcnt vmcnt(0)
	s_delay_alu instid0(VALU_DEP_2) | instskip(NEXT) | instid1(VALU_DEP_2)
	v_add_f64 v[4:5], v[12:13], -v[4:5]
	v_add_f64 v[2:3], v[10:11], -v[2:3]
	scratch_store_b128 off, v[2:5], off offset:64
	v_cmpx_lt_u32_e32 3, v85
	s_cbranch_execz .LBB89_163
; %bb.162:
	scratch_load_b128 v[5:8], v89, off
	v_mov_b32_e32 v2, v1
	v_mov_b32_e32 v3, v1
	;; [unrolled: 1-line block ×3, first 2 shown]
	scratch_store_b128 off, v[1:4], off offset:48
	s_waitcnt vmcnt(0)
	ds_store_b128 v26, v[5:8]
.LBB89_163:
	s_or_b32 exec_lo, exec_lo, s2
	s_waitcnt lgkmcnt(0)
	s_waitcnt_vscnt null, 0x0
	s_barrier
	buffer_gl0_inv
	s_clause 0x7
	scratch_load_b128 v[2:5], off, off offset:64
	scratch_load_b128 v[6:9], off, off offset:80
	;; [unrolled: 1-line block ×8, first 2 shown]
	ds_load_b128 v[115:118], v1 offset:480
	ds_load_b128 v[123:126], v1 offset:496
	s_clause 0x1
	scratch_load_b128 v[119:122], off, off offset:192
	scratch_load_b128 v[127:130], off, off offset:208
	s_mov_b32 s2, exec_lo
	s_waitcnt vmcnt(9) lgkmcnt(1)
	v_mul_f64 v[31:32], v[117:118], v[4:5]
	v_mul_f64 v[4:5], v[115:116], v[4:5]
	s_waitcnt vmcnt(8) lgkmcnt(0)
	v_mul_f64 v[131:132], v[123:124], v[8:9]
	v_mul_f64 v[8:9], v[125:126], v[8:9]
	s_delay_alu instid0(VALU_DEP_4) | instskip(NEXT) | instid1(VALU_DEP_4)
	v_fma_f64 v[31:32], v[115:116], v[2:3], -v[31:32]
	v_fma_f64 v[133:134], v[117:118], v[2:3], v[4:5]
	ds_load_b128 v[2:5], v1 offset:512
	scratch_load_b128 v[115:118], off, off offset:224
	v_fma_f64 v[131:132], v[125:126], v[6:7], v[131:132]
	v_fma_f64 v[137:138], v[123:124], v[6:7], -v[8:9]
	scratch_load_b128 v[123:126], off, off offset:240
	ds_load_b128 v[6:9], v1 offset:528
	s_waitcnt vmcnt(9) lgkmcnt(1)
	v_mul_f64 v[135:136], v[2:3], v[12:13]
	v_mul_f64 v[12:13], v[4:5], v[12:13]
	s_waitcnt vmcnt(8) lgkmcnt(0)
	v_mul_f64 v[139:140], v[6:7], v[16:17]
	v_mul_f64 v[16:17], v[8:9], v[16:17]
	v_add_f64 v[31:32], v[31:32], 0
	v_add_f64 v[133:134], v[133:134], 0
	v_fma_f64 v[135:136], v[4:5], v[10:11], v[135:136]
	v_fma_f64 v[141:142], v[2:3], v[10:11], -v[12:13]
	ds_load_b128 v[2:5], v1 offset:544
	scratch_load_b128 v[10:13], off, off offset:256
	v_add_f64 v[31:32], v[31:32], v[137:138]
	v_add_f64 v[131:132], v[133:134], v[131:132]
	v_fma_f64 v[137:138], v[8:9], v[14:15], v[139:140]
	v_fma_f64 v[139:140], v[6:7], v[14:15], -v[16:17]
	scratch_load_b128 v[14:17], off, off offset:272
	ds_load_b128 v[6:9], v1 offset:560
	s_waitcnt vmcnt(9) lgkmcnt(1)
	v_mul_f64 v[133:134], v[2:3], v[20:21]
	v_mul_f64 v[20:21], v[4:5], v[20:21]
	v_add_f64 v[31:32], v[31:32], v[141:142]
	v_add_f64 v[131:132], v[131:132], v[135:136]
	s_waitcnt vmcnt(8) lgkmcnt(0)
	v_mul_f64 v[135:136], v[6:7], v[24:25]
	v_mul_f64 v[24:25], v[8:9], v[24:25]
	v_fma_f64 v[133:134], v[4:5], v[18:19], v[133:134]
	v_fma_f64 v[141:142], v[2:3], v[18:19], -v[20:21]
	ds_load_b128 v[2:5], v1 offset:576
	scratch_load_b128 v[18:21], off, off offset:288
	v_add_f64 v[31:32], v[31:32], v[139:140]
	v_add_f64 v[131:132], v[131:132], v[137:138]
	v_fma_f64 v[135:136], v[8:9], v[22:23], v[135:136]
	v_fma_f64 v[139:140], v[6:7], v[22:23], -v[24:25]
	ds_load_b128 v[6:9], v1 offset:592
	s_waitcnt vmcnt(8) lgkmcnt(1)
	v_mul_f64 v[137:138], v[2:3], v[29:30]
	v_mul_f64 v[29:30], v[4:5], v[29:30]
	scratch_load_b128 v[22:25], off, off offset:304
	v_add_f64 v[31:32], v[31:32], v[141:142]
	v_add_f64 v[131:132], v[131:132], v[133:134]
	s_waitcnt vmcnt(8) lgkmcnt(0)
	v_mul_f64 v[133:134], v[6:7], v[113:114]
	v_mul_f64 v[113:114], v[8:9], v[113:114]
	v_fma_f64 v[137:138], v[4:5], v[27:28], v[137:138]
	v_fma_f64 v[141:142], v[2:3], v[27:28], -v[29:30]
	ds_load_b128 v[2:5], v1 offset:608
	scratch_load_b128 v[27:30], off, off offset:320
	v_add_f64 v[31:32], v[31:32], v[139:140]
	v_add_f64 v[131:132], v[131:132], v[135:136]
	v_fma_f64 v[133:134], v[8:9], v[111:112], v[133:134]
	v_fma_f64 v[139:140], v[6:7], v[111:112], -v[113:114]
	ds_load_b128 v[6:9], v1 offset:624
	s_waitcnt vmcnt(8) lgkmcnt(1)
	v_mul_f64 v[135:136], v[2:3], v[121:122]
	v_mul_f64 v[121:122], v[4:5], v[121:122]
	scratch_load_b128 v[111:114], off, off offset:336
	v_add_f64 v[31:32], v[31:32], v[141:142]
	v_add_f64 v[131:132], v[131:132], v[137:138]
	s_waitcnt vmcnt(8) lgkmcnt(0)
	v_mul_f64 v[137:138], v[6:7], v[129:130]
	v_mul_f64 v[129:130], v[8:9], v[129:130]
	v_fma_f64 v[135:136], v[4:5], v[119:120], v[135:136]
	v_fma_f64 v[141:142], v[2:3], v[119:120], -v[121:122]
	scratch_load_b128 v[119:122], off, off offset:352
	ds_load_b128 v[2:5], v1 offset:640
	v_add_f64 v[31:32], v[31:32], v[139:140]
	v_add_f64 v[131:132], v[131:132], v[133:134]
	v_fma_f64 v[137:138], v[8:9], v[127:128], v[137:138]
	v_fma_f64 v[139:140], v[6:7], v[127:128], -v[129:130]
	ds_load_b128 v[6:9], v1 offset:656
	scratch_load_b128 v[127:130], off, off offset:368
	s_waitcnt vmcnt(9) lgkmcnt(1)
	v_mul_f64 v[133:134], v[2:3], v[117:118]
	v_mul_f64 v[117:118], v[4:5], v[117:118]
	v_add_f64 v[31:32], v[31:32], v[141:142]
	v_add_f64 v[131:132], v[131:132], v[135:136]
	s_waitcnt vmcnt(8) lgkmcnt(0)
	v_mul_f64 v[135:136], v[6:7], v[125:126]
	v_mul_f64 v[125:126], v[8:9], v[125:126]
	v_fma_f64 v[133:134], v[4:5], v[115:116], v[133:134]
	v_fma_f64 v[141:142], v[2:3], v[115:116], -v[117:118]
	scratch_load_b128 v[115:118], off, off offset:384
	ds_load_b128 v[2:5], v1 offset:672
	v_add_f64 v[31:32], v[31:32], v[139:140]
	v_add_f64 v[131:132], v[131:132], v[137:138]
	v_fma_f64 v[135:136], v[8:9], v[123:124], v[135:136]
	v_fma_f64 v[139:140], v[6:7], v[123:124], -v[125:126]
	ds_load_b128 v[6:9], v1 offset:688
	s_waitcnt vmcnt(8) lgkmcnt(1)
	v_mul_f64 v[137:138], v[2:3], v[12:13]
	v_mul_f64 v[12:13], v[4:5], v[12:13]
	scratch_load_b128 v[123:126], off, off offset:400
	v_add_f64 v[31:32], v[31:32], v[141:142]
	v_add_f64 v[131:132], v[131:132], v[133:134]
	s_waitcnt vmcnt(8) lgkmcnt(0)
	v_mul_f64 v[133:134], v[6:7], v[16:17]
	v_mul_f64 v[16:17], v[8:9], v[16:17]
	v_fma_f64 v[137:138], v[4:5], v[10:11], v[137:138]
	v_fma_f64 v[10:11], v[2:3], v[10:11], -v[12:13]
	ds_load_b128 v[2:5], v1 offset:704
	v_add_f64 v[12:13], v[31:32], v[139:140]
	v_add_f64 v[31:32], v[131:132], v[135:136]
	v_fma_f64 v[133:134], v[8:9], v[14:15], v[133:134]
	v_fma_f64 v[14:15], v[6:7], v[14:15], -v[16:17]
	ds_load_b128 v[6:9], v1 offset:720
	s_waitcnt vmcnt(7) lgkmcnt(1)
	v_mul_f64 v[131:132], v[2:3], v[20:21]
	v_mul_f64 v[20:21], v[4:5], v[20:21]
	v_add_f64 v[10:11], v[12:13], v[10:11]
	v_add_f64 v[12:13], v[31:32], v[137:138]
	s_delay_alu instid0(VALU_DEP_4) | instskip(NEXT) | instid1(VALU_DEP_4)
	v_fma_f64 v[31:32], v[4:5], v[18:19], v[131:132]
	v_fma_f64 v[18:19], v[2:3], v[18:19], -v[20:21]
	ds_load_b128 v[2:5], v1 offset:736
	v_add_f64 v[14:15], v[10:11], v[14:15]
	v_add_f64 v[20:21], v[12:13], v[133:134]
	scratch_load_b128 v[10:13], off, off offset:48
	s_waitcnt vmcnt(7) lgkmcnt(1)
	v_mul_f64 v[16:17], v[6:7], v[24:25]
	v_mul_f64 v[24:25], v[8:9], v[24:25]
	v_add_f64 v[14:15], v[14:15], v[18:19]
	v_add_f64 v[18:19], v[20:21], v[31:32]
	s_delay_alu instid0(VALU_DEP_4) | instskip(NEXT) | instid1(VALU_DEP_4)
	v_fma_f64 v[16:17], v[8:9], v[22:23], v[16:17]
	v_fma_f64 v[22:23], v[6:7], v[22:23], -v[24:25]
	ds_load_b128 v[6:9], v1 offset:752
	s_waitcnt vmcnt(6) lgkmcnt(1)
	v_mul_f64 v[131:132], v[2:3], v[29:30]
	v_mul_f64 v[29:30], v[4:5], v[29:30]
	s_waitcnt vmcnt(5) lgkmcnt(0)
	v_mul_f64 v[20:21], v[6:7], v[113:114]
	v_mul_f64 v[24:25], v[8:9], v[113:114]
	v_add_f64 v[16:17], v[18:19], v[16:17]
	v_add_f64 v[14:15], v[14:15], v[22:23]
	v_fma_f64 v[31:32], v[4:5], v[27:28], v[131:132]
	v_fma_f64 v[27:28], v[2:3], v[27:28], -v[29:30]
	ds_load_b128 v[2:5], v1 offset:768
	v_fma_f64 v[20:21], v[8:9], v[111:112], v[20:21]
	v_fma_f64 v[24:25], v[6:7], v[111:112], -v[24:25]
	ds_load_b128 v[6:9], v1 offset:784
	s_waitcnt vmcnt(4) lgkmcnt(1)
	v_mul_f64 v[18:19], v[2:3], v[121:122]
	v_mul_f64 v[22:23], v[4:5], v[121:122]
	v_add_f64 v[16:17], v[16:17], v[31:32]
	v_add_f64 v[14:15], v[14:15], v[27:28]
	s_waitcnt vmcnt(3) lgkmcnt(0)
	v_mul_f64 v[27:28], v[6:7], v[129:130]
	v_mul_f64 v[29:30], v[8:9], v[129:130]
	v_fma_f64 v[18:19], v[4:5], v[119:120], v[18:19]
	v_fma_f64 v[22:23], v[2:3], v[119:120], -v[22:23]
	ds_load_b128 v[2:5], v1 offset:800
	v_add_f64 v[16:17], v[16:17], v[20:21]
	v_add_f64 v[14:15], v[14:15], v[24:25]
	v_fma_f64 v[27:28], v[8:9], v[127:128], v[27:28]
	v_fma_f64 v[29:30], v[6:7], v[127:128], -v[29:30]
	ds_load_b128 v[6:9], v1 offset:816
	s_waitcnt vmcnt(2) lgkmcnt(1)
	v_mul_f64 v[20:21], v[2:3], v[117:118]
	v_mul_f64 v[24:25], v[4:5], v[117:118]
	v_add_f64 v[16:17], v[16:17], v[18:19]
	v_add_f64 v[14:15], v[14:15], v[22:23]
	s_waitcnt vmcnt(1) lgkmcnt(0)
	v_mul_f64 v[18:19], v[6:7], v[125:126]
	v_mul_f64 v[22:23], v[8:9], v[125:126]
	v_fma_f64 v[4:5], v[4:5], v[115:116], v[20:21]
	v_fma_f64 v[1:2], v[2:3], v[115:116], -v[24:25]
	v_add_f64 v[16:17], v[16:17], v[27:28]
	v_add_f64 v[14:15], v[14:15], v[29:30]
	v_fma_f64 v[8:9], v[8:9], v[123:124], v[18:19]
	v_fma_f64 v[6:7], v[6:7], v[123:124], -v[22:23]
	s_delay_alu instid0(VALU_DEP_4) | instskip(NEXT) | instid1(VALU_DEP_4)
	v_add_f64 v[3:4], v[16:17], v[4:5]
	v_add_f64 v[1:2], v[14:15], v[1:2]
	s_delay_alu instid0(VALU_DEP_2) | instskip(NEXT) | instid1(VALU_DEP_2)
	v_add_f64 v[3:4], v[3:4], v[8:9]
	v_add_f64 v[1:2], v[1:2], v[6:7]
	s_waitcnt vmcnt(0)
	s_delay_alu instid0(VALU_DEP_2) | instskip(NEXT) | instid1(VALU_DEP_2)
	v_add_f64 v[3:4], v[12:13], -v[3:4]
	v_add_f64 v[1:2], v[10:11], -v[1:2]
	scratch_store_b128 off, v[1:4], off offset:48
	v_cmpx_lt_u32_e32 2, v85
	s_cbranch_execz .LBB89_165
; %bb.164:
	scratch_load_b128 v[1:4], v87, off
	v_mov_b32_e32 v5, 0
	s_delay_alu instid0(VALU_DEP_1)
	v_mov_b32_e32 v6, v5
	v_mov_b32_e32 v7, v5
	;; [unrolled: 1-line block ×3, first 2 shown]
	scratch_store_b128 off, v[5:8], off offset:32
	s_waitcnt vmcnt(0)
	ds_store_b128 v26, v[1:4]
.LBB89_165:
	s_or_b32 exec_lo, exec_lo, s2
	s_waitcnt lgkmcnt(0)
	s_waitcnt_vscnt null, 0x0
	s_barrier
	buffer_gl0_inv
	s_clause 0x7
	scratch_load_b128 v[2:5], off, off offset:48
	scratch_load_b128 v[6:9], off, off offset:64
	;; [unrolled: 1-line block ×8, first 2 shown]
	v_mov_b32_e32 v1, 0
	s_clause 0x1
	scratch_load_b128 v[119:122], off, off offset:176
	scratch_load_b128 v[127:130], off, off offset:192
	s_mov_b32 s2, exec_lo
	ds_load_b128 v[115:118], v1 offset:464
	ds_load_b128 v[123:126], v1 offset:480
	s_waitcnt vmcnt(9) lgkmcnt(1)
	v_mul_f64 v[31:32], v[117:118], v[4:5]
	v_mul_f64 v[4:5], v[115:116], v[4:5]
	s_waitcnt vmcnt(8) lgkmcnt(0)
	v_mul_f64 v[131:132], v[123:124], v[8:9]
	v_mul_f64 v[8:9], v[125:126], v[8:9]
	s_delay_alu instid0(VALU_DEP_4) | instskip(NEXT) | instid1(VALU_DEP_4)
	v_fma_f64 v[31:32], v[115:116], v[2:3], -v[31:32]
	v_fma_f64 v[133:134], v[117:118], v[2:3], v[4:5]
	ds_load_b128 v[2:5], v1 offset:496
	scratch_load_b128 v[115:118], off, off offset:208
	v_fma_f64 v[131:132], v[125:126], v[6:7], v[131:132]
	v_fma_f64 v[137:138], v[123:124], v[6:7], -v[8:9]
	scratch_load_b128 v[123:126], off, off offset:224
	ds_load_b128 v[6:9], v1 offset:512
	s_waitcnt vmcnt(9) lgkmcnt(1)
	v_mul_f64 v[135:136], v[2:3], v[12:13]
	v_mul_f64 v[12:13], v[4:5], v[12:13]
	s_waitcnt vmcnt(8) lgkmcnt(0)
	v_mul_f64 v[139:140], v[6:7], v[16:17]
	v_mul_f64 v[16:17], v[8:9], v[16:17]
	v_add_f64 v[31:32], v[31:32], 0
	v_add_f64 v[133:134], v[133:134], 0
	v_fma_f64 v[135:136], v[4:5], v[10:11], v[135:136]
	v_fma_f64 v[141:142], v[2:3], v[10:11], -v[12:13]
	ds_load_b128 v[2:5], v1 offset:528
	scratch_load_b128 v[10:13], off, off offset:240
	v_add_f64 v[31:32], v[31:32], v[137:138]
	v_add_f64 v[131:132], v[133:134], v[131:132]
	v_fma_f64 v[137:138], v[8:9], v[14:15], v[139:140]
	v_fma_f64 v[139:140], v[6:7], v[14:15], -v[16:17]
	scratch_load_b128 v[14:17], off, off offset:256
	ds_load_b128 v[6:9], v1 offset:544
	s_waitcnt vmcnt(9) lgkmcnt(1)
	v_mul_f64 v[133:134], v[2:3], v[20:21]
	v_mul_f64 v[20:21], v[4:5], v[20:21]
	v_add_f64 v[31:32], v[31:32], v[141:142]
	v_add_f64 v[131:132], v[131:132], v[135:136]
	s_waitcnt vmcnt(8) lgkmcnt(0)
	v_mul_f64 v[135:136], v[6:7], v[24:25]
	v_mul_f64 v[24:25], v[8:9], v[24:25]
	v_fma_f64 v[133:134], v[4:5], v[18:19], v[133:134]
	v_fma_f64 v[141:142], v[2:3], v[18:19], -v[20:21]
	ds_load_b128 v[2:5], v1 offset:560
	scratch_load_b128 v[18:21], off, off offset:272
	v_add_f64 v[31:32], v[31:32], v[139:140]
	v_add_f64 v[131:132], v[131:132], v[137:138]
	v_fma_f64 v[135:136], v[8:9], v[22:23], v[135:136]
	v_fma_f64 v[139:140], v[6:7], v[22:23], -v[24:25]
	scratch_load_b128 v[22:25], off, off offset:288
	ds_load_b128 v[6:9], v1 offset:576
	s_waitcnt vmcnt(9) lgkmcnt(1)
	v_mul_f64 v[137:138], v[2:3], v[29:30]
	v_mul_f64 v[29:30], v[4:5], v[29:30]
	v_add_f64 v[31:32], v[31:32], v[141:142]
	v_add_f64 v[131:132], v[131:132], v[133:134]
	s_waitcnt vmcnt(8) lgkmcnt(0)
	v_mul_f64 v[133:134], v[6:7], v[113:114]
	v_mul_f64 v[113:114], v[8:9], v[113:114]
	v_fma_f64 v[137:138], v[4:5], v[27:28], v[137:138]
	v_fma_f64 v[141:142], v[2:3], v[27:28], -v[29:30]
	ds_load_b128 v[2:5], v1 offset:592
	scratch_load_b128 v[27:30], off, off offset:304
	v_add_f64 v[31:32], v[31:32], v[139:140]
	v_add_f64 v[131:132], v[131:132], v[135:136]
	v_fma_f64 v[133:134], v[8:9], v[111:112], v[133:134]
	v_fma_f64 v[139:140], v[6:7], v[111:112], -v[113:114]
	ds_load_b128 v[6:9], v1 offset:608
	s_waitcnt vmcnt(8) lgkmcnt(1)
	v_mul_f64 v[135:136], v[2:3], v[121:122]
	v_mul_f64 v[121:122], v[4:5], v[121:122]
	scratch_load_b128 v[111:114], off, off offset:320
	v_add_f64 v[31:32], v[31:32], v[141:142]
	v_add_f64 v[131:132], v[131:132], v[137:138]
	s_waitcnt vmcnt(8) lgkmcnt(0)
	v_mul_f64 v[137:138], v[6:7], v[129:130]
	v_mul_f64 v[129:130], v[8:9], v[129:130]
	v_fma_f64 v[135:136], v[4:5], v[119:120], v[135:136]
	v_fma_f64 v[141:142], v[2:3], v[119:120], -v[121:122]
	scratch_load_b128 v[119:122], off, off offset:336
	ds_load_b128 v[2:5], v1 offset:624
	v_add_f64 v[31:32], v[31:32], v[139:140]
	v_add_f64 v[131:132], v[131:132], v[133:134]
	v_fma_f64 v[137:138], v[8:9], v[127:128], v[137:138]
	v_fma_f64 v[139:140], v[6:7], v[127:128], -v[129:130]
	ds_load_b128 v[6:9], v1 offset:640
	scratch_load_b128 v[127:130], off, off offset:352
	s_waitcnt vmcnt(9) lgkmcnt(1)
	v_mul_f64 v[133:134], v[2:3], v[117:118]
	v_mul_f64 v[117:118], v[4:5], v[117:118]
	v_add_f64 v[31:32], v[31:32], v[141:142]
	v_add_f64 v[131:132], v[131:132], v[135:136]
	s_waitcnt vmcnt(8) lgkmcnt(0)
	v_mul_f64 v[135:136], v[6:7], v[125:126]
	v_mul_f64 v[125:126], v[8:9], v[125:126]
	v_fma_f64 v[133:134], v[4:5], v[115:116], v[133:134]
	v_fma_f64 v[141:142], v[2:3], v[115:116], -v[117:118]
	scratch_load_b128 v[115:118], off, off offset:368
	ds_load_b128 v[2:5], v1 offset:656
	v_add_f64 v[31:32], v[31:32], v[139:140]
	v_add_f64 v[131:132], v[131:132], v[137:138]
	v_fma_f64 v[135:136], v[8:9], v[123:124], v[135:136]
	v_fma_f64 v[139:140], v[6:7], v[123:124], -v[125:126]
	ds_load_b128 v[6:9], v1 offset:672
	s_waitcnt vmcnt(8) lgkmcnt(1)
	v_mul_f64 v[137:138], v[2:3], v[12:13]
	v_mul_f64 v[12:13], v[4:5], v[12:13]
	scratch_load_b128 v[123:126], off, off offset:384
	v_add_f64 v[31:32], v[31:32], v[141:142]
	v_add_f64 v[131:132], v[131:132], v[133:134]
	s_waitcnt vmcnt(8) lgkmcnt(0)
	v_mul_f64 v[133:134], v[6:7], v[16:17]
	v_mul_f64 v[16:17], v[8:9], v[16:17]
	v_fma_f64 v[137:138], v[4:5], v[10:11], v[137:138]
	v_fma_f64 v[141:142], v[2:3], v[10:11], -v[12:13]
	scratch_load_b128 v[10:13], off, off offset:400
	ds_load_b128 v[2:5], v1 offset:688
	v_add_f64 v[31:32], v[31:32], v[139:140]
	v_add_f64 v[131:132], v[131:132], v[135:136]
	v_fma_f64 v[133:134], v[8:9], v[14:15], v[133:134]
	v_fma_f64 v[14:15], v[6:7], v[14:15], -v[16:17]
	ds_load_b128 v[6:9], v1 offset:704
	s_waitcnt vmcnt(8) lgkmcnt(1)
	v_mul_f64 v[135:136], v[2:3], v[20:21]
	v_mul_f64 v[20:21], v[4:5], v[20:21]
	v_add_f64 v[16:17], v[31:32], v[141:142]
	v_add_f64 v[31:32], v[131:132], v[137:138]
	s_waitcnt vmcnt(7) lgkmcnt(0)
	v_mul_f64 v[131:132], v[6:7], v[24:25]
	v_mul_f64 v[24:25], v[8:9], v[24:25]
	v_fma_f64 v[135:136], v[4:5], v[18:19], v[135:136]
	v_fma_f64 v[18:19], v[2:3], v[18:19], -v[20:21]
	ds_load_b128 v[2:5], v1 offset:720
	v_add_f64 v[14:15], v[16:17], v[14:15]
	v_add_f64 v[16:17], v[31:32], v[133:134]
	v_fma_f64 v[31:32], v[8:9], v[22:23], v[131:132]
	v_fma_f64 v[22:23], v[6:7], v[22:23], -v[24:25]
	ds_load_b128 v[6:9], v1 offset:736
	s_waitcnt vmcnt(5) lgkmcnt(0)
	v_mul_f64 v[131:132], v[6:7], v[113:114]
	v_mul_f64 v[113:114], v[8:9], v[113:114]
	v_add_f64 v[18:19], v[14:15], v[18:19]
	v_add_f64 v[24:25], v[16:17], v[135:136]
	scratch_load_b128 v[14:17], off, off offset:32
	v_mul_f64 v[20:21], v[2:3], v[29:30]
	v_mul_f64 v[29:30], v[4:5], v[29:30]
	v_add_f64 v[18:19], v[18:19], v[22:23]
	v_add_f64 v[22:23], v[24:25], v[31:32]
	v_fma_f64 v[31:32], v[8:9], v[111:112], v[131:132]
	v_fma_f64 v[20:21], v[4:5], v[27:28], v[20:21]
	v_fma_f64 v[27:28], v[2:3], v[27:28], -v[29:30]
	ds_load_b128 v[2:5], v1 offset:752
	v_fma_f64 v[111:112], v[6:7], v[111:112], -v[113:114]
	ds_load_b128 v[6:9], v1 offset:768
	s_waitcnt vmcnt(5) lgkmcnt(1)
	v_mul_f64 v[24:25], v[2:3], v[121:122]
	v_mul_f64 v[29:30], v[4:5], v[121:122]
	v_add_f64 v[20:21], v[22:23], v[20:21]
	v_add_f64 v[18:19], v[18:19], v[27:28]
	s_waitcnt vmcnt(4) lgkmcnt(0)
	v_mul_f64 v[22:23], v[6:7], v[129:130]
	v_mul_f64 v[27:28], v[8:9], v[129:130]
	v_fma_f64 v[24:25], v[4:5], v[119:120], v[24:25]
	v_fma_f64 v[29:30], v[2:3], v[119:120], -v[29:30]
	ds_load_b128 v[2:5], v1 offset:784
	v_add_f64 v[20:21], v[20:21], v[31:32]
	v_add_f64 v[18:19], v[18:19], v[111:112]
	v_fma_f64 v[22:23], v[8:9], v[127:128], v[22:23]
	v_fma_f64 v[27:28], v[6:7], v[127:128], -v[27:28]
	ds_load_b128 v[6:9], v1 offset:800
	s_waitcnt vmcnt(3) lgkmcnt(1)
	v_mul_f64 v[31:32], v[2:3], v[117:118]
	v_mul_f64 v[111:112], v[4:5], v[117:118]
	v_add_f64 v[20:21], v[20:21], v[24:25]
	v_add_f64 v[18:19], v[18:19], v[29:30]
	s_waitcnt vmcnt(2) lgkmcnt(0)
	v_mul_f64 v[24:25], v[6:7], v[125:126]
	v_mul_f64 v[29:30], v[8:9], v[125:126]
	v_fma_f64 v[31:32], v[4:5], v[115:116], v[31:32]
	v_fma_f64 v[111:112], v[2:3], v[115:116], -v[111:112]
	ds_load_b128 v[2:5], v1 offset:816
	v_add_f64 v[20:21], v[20:21], v[22:23]
	v_add_f64 v[18:19], v[18:19], v[27:28]
	s_waitcnt vmcnt(1) lgkmcnt(0)
	v_mul_f64 v[22:23], v[2:3], v[12:13]
	v_mul_f64 v[12:13], v[4:5], v[12:13]
	v_fma_f64 v[8:9], v[8:9], v[123:124], v[24:25]
	v_fma_f64 v[6:7], v[6:7], v[123:124], -v[29:30]
	v_add_f64 v[20:21], v[20:21], v[31:32]
	v_add_f64 v[18:19], v[18:19], v[111:112]
	v_fma_f64 v[4:5], v[4:5], v[10:11], v[22:23]
	v_fma_f64 v[2:3], v[2:3], v[10:11], -v[12:13]
	s_delay_alu instid0(VALU_DEP_4) | instskip(NEXT) | instid1(VALU_DEP_4)
	v_add_f64 v[8:9], v[20:21], v[8:9]
	v_add_f64 v[6:7], v[18:19], v[6:7]
	s_delay_alu instid0(VALU_DEP_2) | instskip(NEXT) | instid1(VALU_DEP_2)
	v_add_f64 v[4:5], v[8:9], v[4:5]
	v_add_f64 v[2:3], v[6:7], v[2:3]
	s_waitcnt vmcnt(0)
	s_delay_alu instid0(VALU_DEP_2) | instskip(NEXT) | instid1(VALU_DEP_2)
	v_add_f64 v[4:5], v[16:17], -v[4:5]
	v_add_f64 v[2:3], v[14:15], -v[2:3]
	scratch_store_b128 off, v[2:5], off offset:32
	v_cmpx_lt_u32_e32 1, v85
	s_cbranch_execz .LBB89_167
; %bb.166:
	scratch_load_b128 v[5:8], v90, off
	v_mov_b32_e32 v2, v1
	v_mov_b32_e32 v3, v1
	;; [unrolled: 1-line block ×3, first 2 shown]
	scratch_store_b128 off, v[1:4], off offset:16
	s_waitcnt vmcnt(0)
	ds_store_b128 v26, v[5:8]
.LBB89_167:
	s_or_b32 exec_lo, exec_lo, s2
	s_waitcnt lgkmcnt(0)
	s_waitcnt_vscnt null, 0x0
	s_barrier
	buffer_gl0_inv
	s_clause 0x7
	scratch_load_b128 v[2:5], off, off offset:32
	scratch_load_b128 v[6:9], off, off offset:48
	;; [unrolled: 1-line block ×8, first 2 shown]
	ds_load_b128 v[115:118], v1 offset:448
	ds_load_b128 v[123:126], v1 offset:464
	s_clause 0x1
	scratch_load_b128 v[119:122], off, off offset:160
	scratch_load_b128 v[127:130], off, off offset:176
	s_mov_b32 s2, exec_lo
	s_waitcnt vmcnt(9) lgkmcnt(1)
	v_mul_f64 v[31:32], v[117:118], v[4:5]
	v_mul_f64 v[4:5], v[115:116], v[4:5]
	s_waitcnt vmcnt(8) lgkmcnt(0)
	v_mul_f64 v[131:132], v[123:124], v[8:9]
	v_mul_f64 v[8:9], v[125:126], v[8:9]
	s_delay_alu instid0(VALU_DEP_4) | instskip(NEXT) | instid1(VALU_DEP_4)
	v_fma_f64 v[31:32], v[115:116], v[2:3], -v[31:32]
	v_fma_f64 v[133:134], v[117:118], v[2:3], v[4:5]
	ds_load_b128 v[2:5], v1 offset:480
	scratch_load_b128 v[115:118], off, off offset:192
	v_fma_f64 v[131:132], v[125:126], v[6:7], v[131:132]
	v_fma_f64 v[137:138], v[123:124], v[6:7], -v[8:9]
	scratch_load_b128 v[123:126], off, off offset:208
	ds_load_b128 v[6:9], v1 offset:496
	s_waitcnt vmcnt(9) lgkmcnt(1)
	v_mul_f64 v[135:136], v[2:3], v[12:13]
	v_mul_f64 v[12:13], v[4:5], v[12:13]
	s_waitcnt vmcnt(8) lgkmcnt(0)
	v_mul_f64 v[139:140], v[6:7], v[16:17]
	v_mul_f64 v[16:17], v[8:9], v[16:17]
	v_add_f64 v[31:32], v[31:32], 0
	v_add_f64 v[133:134], v[133:134], 0
	v_fma_f64 v[135:136], v[4:5], v[10:11], v[135:136]
	v_fma_f64 v[141:142], v[2:3], v[10:11], -v[12:13]
	ds_load_b128 v[2:5], v1 offset:512
	scratch_load_b128 v[10:13], off, off offset:224
	v_add_f64 v[31:32], v[31:32], v[137:138]
	v_add_f64 v[131:132], v[133:134], v[131:132]
	v_fma_f64 v[137:138], v[8:9], v[14:15], v[139:140]
	v_fma_f64 v[139:140], v[6:7], v[14:15], -v[16:17]
	scratch_load_b128 v[14:17], off, off offset:240
	ds_load_b128 v[6:9], v1 offset:528
	s_waitcnt vmcnt(9) lgkmcnt(1)
	v_mul_f64 v[133:134], v[2:3], v[20:21]
	v_mul_f64 v[20:21], v[4:5], v[20:21]
	v_add_f64 v[31:32], v[31:32], v[141:142]
	v_add_f64 v[131:132], v[131:132], v[135:136]
	s_waitcnt vmcnt(8) lgkmcnt(0)
	v_mul_f64 v[135:136], v[6:7], v[24:25]
	v_mul_f64 v[24:25], v[8:9], v[24:25]
	v_fma_f64 v[133:134], v[4:5], v[18:19], v[133:134]
	v_fma_f64 v[141:142], v[2:3], v[18:19], -v[20:21]
	ds_load_b128 v[2:5], v1 offset:544
	scratch_load_b128 v[18:21], off, off offset:256
	v_add_f64 v[31:32], v[31:32], v[139:140]
	v_add_f64 v[131:132], v[131:132], v[137:138]
	v_fma_f64 v[135:136], v[8:9], v[22:23], v[135:136]
	v_fma_f64 v[139:140], v[6:7], v[22:23], -v[24:25]
	scratch_load_b128 v[22:25], off, off offset:272
	ds_load_b128 v[6:9], v1 offset:560
	s_waitcnt vmcnt(9) lgkmcnt(1)
	v_mul_f64 v[137:138], v[2:3], v[29:30]
	v_mul_f64 v[29:30], v[4:5], v[29:30]
	v_add_f64 v[31:32], v[31:32], v[141:142]
	v_add_f64 v[131:132], v[131:132], v[133:134]
	s_waitcnt vmcnt(8) lgkmcnt(0)
	v_mul_f64 v[133:134], v[6:7], v[113:114]
	v_mul_f64 v[113:114], v[8:9], v[113:114]
	;; [unrolled: 18-line block ×3, first 2 shown]
	v_fma_f64 v[135:136], v[4:5], v[119:120], v[135:136]
	v_fma_f64 v[141:142], v[2:3], v[119:120], -v[121:122]
	ds_load_b128 v[2:5], v1 offset:608
	scratch_load_b128 v[119:122], off, off offset:320
	v_add_f64 v[31:32], v[31:32], v[139:140]
	v_add_f64 v[131:132], v[131:132], v[133:134]
	v_fma_f64 v[137:138], v[8:9], v[127:128], v[137:138]
	v_fma_f64 v[139:140], v[6:7], v[127:128], -v[129:130]
	ds_load_b128 v[6:9], v1 offset:624
	scratch_load_b128 v[127:130], off, off offset:336
	s_waitcnt vmcnt(9) lgkmcnt(1)
	v_mul_f64 v[133:134], v[2:3], v[117:118]
	v_mul_f64 v[117:118], v[4:5], v[117:118]
	v_add_f64 v[31:32], v[31:32], v[141:142]
	v_add_f64 v[131:132], v[131:132], v[135:136]
	s_waitcnt vmcnt(8) lgkmcnt(0)
	v_mul_f64 v[135:136], v[6:7], v[125:126]
	v_mul_f64 v[125:126], v[8:9], v[125:126]
	v_fma_f64 v[133:134], v[4:5], v[115:116], v[133:134]
	v_fma_f64 v[141:142], v[2:3], v[115:116], -v[117:118]
	scratch_load_b128 v[115:118], off, off offset:352
	ds_load_b128 v[2:5], v1 offset:640
	v_add_f64 v[31:32], v[31:32], v[139:140]
	v_add_f64 v[131:132], v[131:132], v[137:138]
	v_fma_f64 v[135:136], v[8:9], v[123:124], v[135:136]
	v_fma_f64 v[139:140], v[6:7], v[123:124], -v[125:126]
	ds_load_b128 v[6:9], v1 offset:656
	s_waitcnt vmcnt(8) lgkmcnt(1)
	v_mul_f64 v[137:138], v[2:3], v[12:13]
	v_mul_f64 v[12:13], v[4:5], v[12:13]
	scratch_load_b128 v[123:126], off, off offset:368
	v_add_f64 v[31:32], v[31:32], v[141:142]
	v_add_f64 v[131:132], v[131:132], v[133:134]
	s_waitcnt vmcnt(8) lgkmcnt(0)
	v_mul_f64 v[133:134], v[6:7], v[16:17]
	v_mul_f64 v[16:17], v[8:9], v[16:17]
	v_fma_f64 v[137:138], v[4:5], v[10:11], v[137:138]
	v_fma_f64 v[141:142], v[2:3], v[10:11], -v[12:13]
	scratch_load_b128 v[10:13], off, off offset:384
	ds_load_b128 v[2:5], v1 offset:672
	v_add_f64 v[31:32], v[31:32], v[139:140]
	v_add_f64 v[131:132], v[131:132], v[135:136]
	v_fma_f64 v[133:134], v[8:9], v[14:15], v[133:134]
	v_fma_f64 v[139:140], v[6:7], v[14:15], -v[16:17]
	ds_load_b128 v[6:9], v1 offset:688
	s_waitcnt vmcnt(8) lgkmcnt(1)
	v_mul_f64 v[135:136], v[2:3], v[20:21]
	v_mul_f64 v[20:21], v[4:5], v[20:21]
	scratch_load_b128 v[14:17], off, off offset:400
	v_add_f64 v[31:32], v[31:32], v[141:142]
	v_add_f64 v[131:132], v[131:132], v[137:138]
	s_waitcnt vmcnt(8) lgkmcnt(0)
	v_mul_f64 v[137:138], v[6:7], v[24:25]
	v_mul_f64 v[24:25], v[8:9], v[24:25]
	v_fma_f64 v[135:136], v[4:5], v[18:19], v[135:136]
	v_fma_f64 v[18:19], v[2:3], v[18:19], -v[20:21]
	ds_load_b128 v[2:5], v1 offset:704
	v_add_f64 v[20:21], v[31:32], v[139:140]
	v_add_f64 v[31:32], v[131:132], v[133:134]
	v_fma_f64 v[133:134], v[8:9], v[22:23], v[137:138]
	v_fma_f64 v[22:23], v[6:7], v[22:23], -v[24:25]
	ds_load_b128 v[6:9], v1 offset:720
	s_waitcnt vmcnt(7) lgkmcnt(1)
	v_mul_f64 v[131:132], v[2:3], v[29:30]
	v_mul_f64 v[29:30], v[4:5], v[29:30]
	s_waitcnt vmcnt(6) lgkmcnt(0)
	v_mul_f64 v[24:25], v[6:7], v[113:114]
	v_add_f64 v[18:19], v[20:21], v[18:19]
	v_add_f64 v[20:21], v[31:32], v[135:136]
	v_mul_f64 v[31:32], v[8:9], v[113:114]
	v_fma_f64 v[113:114], v[4:5], v[27:28], v[131:132]
	v_fma_f64 v[27:28], v[2:3], v[27:28], -v[29:30]
	ds_load_b128 v[2:5], v1 offset:736
	v_fma_f64 v[24:25], v[8:9], v[111:112], v[24:25]
	v_add_f64 v[22:23], v[18:19], v[22:23]
	v_add_f64 v[29:30], v[20:21], v[133:134]
	scratch_load_b128 v[18:21], off, off offset:16
	v_fma_f64 v[31:32], v[6:7], v[111:112], -v[31:32]
	ds_load_b128 v[6:9], v1 offset:752
	s_waitcnt vmcnt(6) lgkmcnt(1)
	v_mul_f64 v[131:132], v[2:3], v[121:122]
	v_mul_f64 v[121:122], v[4:5], v[121:122]
	s_waitcnt vmcnt(5) lgkmcnt(0)
	v_mul_f64 v[111:112], v[8:9], v[129:130]
	v_add_f64 v[22:23], v[22:23], v[27:28]
	v_add_f64 v[27:28], v[29:30], v[113:114]
	v_mul_f64 v[29:30], v[6:7], v[129:130]
	v_fma_f64 v[113:114], v[4:5], v[119:120], v[131:132]
	v_fma_f64 v[119:120], v[2:3], v[119:120], -v[121:122]
	ds_load_b128 v[2:5], v1 offset:768
	v_fma_f64 v[111:112], v[6:7], v[127:128], -v[111:112]
	v_add_f64 v[22:23], v[22:23], v[31:32]
	v_add_f64 v[24:25], v[27:28], v[24:25]
	v_fma_f64 v[29:30], v[8:9], v[127:128], v[29:30]
	ds_load_b128 v[6:9], v1 offset:784
	s_waitcnt vmcnt(4) lgkmcnt(1)
	v_mul_f64 v[27:28], v[2:3], v[117:118]
	v_mul_f64 v[31:32], v[4:5], v[117:118]
	s_waitcnt vmcnt(3) lgkmcnt(0)
	v_mul_f64 v[117:118], v[8:9], v[125:126]
	v_add_f64 v[22:23], v[22:23], v[119:120]
	v_add_f64 v[24:25], v[24:25], v[113:114]
	v_mul_f64 v[113:114], v[6:7], v[125:126]
	v_fma_f64 v[27:28], v[4:5], v[115:116], v[27:28]
	v_fma_f64 v[31:32], v[2:3], v[115:116], -v[31:32]
	ds_load_b128 v[2:5], v1 offset:800
	v_add_f64 v[22:23], v[22:23], v[111:112]
	v_add_f64 v[24:25], v[24:25], v[29:30]
	v_fma_f64 v[111:112], v[8:9], v[123:124], v[113:114]
	v_fma_f64 v[113:114], v[6:7], v[123:124], -v[117:118]
	ds_load_b128 v[6:9], v1 offset:816
	s_waitcnt vmcnt(2) lgkmcnt(1)
	v_mul_f64 v[29:30], v[2:3], v[12:13]
	v_mul_f64 v[12:13], v[4:5], v[12:13]
	v_add_f64 v[22:23], v[22:23], v[31:32]
	v_add_f64 v[24:25], v[24:25], v[27:28]
	s_waitcnt vmcnt(1) lgkmcnt(0)
	v_mul_f64 v[27:28], v[6:7], v[16:17]
	v_mul_f64 v[16:17], v[8:9], v[16:17]
	v_fma_f64 v[4:5], v[4:5], v[10:11], v[29:30]
	v_fma_f64 v[1:2], v[2:3], v[10:11], -v[12:13]
	v_add_f64 v[10:11], v[22:23], v[113:114]
	v_add_f64 v[12:13], v[24:25], v[111:112]
	v_fma_f64 v[8:9], v[8:9], v[14:15], v[27:28]
	v_fma_f64 v[6:7], v[6:7], v[14:15], -v[16:17]
	s_delay_alu instid0(VALU_DEP_4) | instskip(NEXT) | instid1(VALU_DEP_4)
	v_add_f64 v[1:2], v[10:11], v[1:2]
	v_add_f64 v[3:4], v[12:13], v[4:5]
	s_delay_alu instid0(VALU_DEP_2) | instskip(NEXT) | instid1(VALU_DEP_2)
	v_add_f64 v[1:2], v[1:2], v[6:7]
	v_add_f64 v[3:4], v[3:4], v[8:9]
	s_waitcnt vmcnt(0)
	s_delay_alu instid0(VALU_DEP_2) | instskip(NEXT) | instid1(VALU_DEP_2)
	v_add_f64 v[1:2], v[18:19], -v[1:2]
	v_add_f64 v[3:4], v[20:21], -v[3:4]
	scratch_store_b128 off, v[1:4], off offset:16
	v_cmpx_ne_u32_e32 0, v85
	s_cbranch_execz .LBB89_169
; %bb.168:
	scratch_load_b128 v[1:4], off, off
	v_mov_b32_e32 v5, 0
	s_delay_alu instid0(VALU_DEP_1)
	v_mov_b32_e32 v6, v5
	v_mov_b32_e32 v7, v5
	;; [unrolled: 1-line block ×3, first 2 shown]
	scratch_store_b128 off, v[5:8], off
	s_waitcnt vmcnt(0)
	ds_store_b128 v26, v[1:4]
.LBB89_169:
	s_or_b32 exec_lo, exec_lo, s2
	s_waitcnt lgkmcnt(0)
	s_waitcnt_vscnt null, 0x0
	s_barrier
	buffer_gl0_inv
	s_clause 0x7
	scratch_load_b128 v[1:4], off, off offset:16
	scratch_load_b128 v[5:8], off, off offset:32
	;; [unrolled: 1-line block ×8, first 2 shown]
	v_mov_b32_e32 v111, 0
	s_clause 0x1
	scratch_load_b128 v[116:119], off, off offset:144
	scratch_load_b128 v[124:127], off, off offset:160
	s_and_b32 vcc_lo, exec_lo, s14
	ds_load_b128 v[112:115], v111 offset:432
	ds_load_b128 v[120:123], v111 offset:448
	s_waitcnt vmcnt(9) lgkmcnt(1)
	v_mul_f64 v[128:129], v[114:115], v[3:4]
	v_mul_f64 v[3:4], v[112:113], v[3:4]
	s_waitcnt vmcnt(8) lgkmcnt(0)
	v_mul_f64 v[130:131], v[120:121], v[7:8]
	v_mul_f64 v[7:8], v[122:123], v[7:8]
	s_delay_alu instid0(VALU_DEP_4) | instskip(NEXT) | instid1(VALU_DEP_4)
	v_fma_f64 v[128:129], v[112:113], v[1:2], -v[128:129]
	v_fma_f64 v[132:133], v[114:115], v[1:2], v[3:4]
	ds_load_b128 v[1:4], v111 offset:464
	scratch_load_b128 v[112:115], off, off offset:176
	v_fma_f64 v[130:131], v[122:123], v[5:6], v[130:131]
	v_fma_f64 v[136:137], v[120:121], v[5:6], -v[7:8]
	scratch_load_b128 v[120:123], off, off offset:192
	ds_load_b128 v[5:8], v111 offset:480
	s_waitcnt vmcnt(9) lgkmcnt(1)
	v_mul_f64 v[134:135], v[1:2], v[11:12]
	v_mul_f64 v[11:12], v[3:4], v[11:12]
	s_waitcnt vmcnt(8) lgkmcnt(0)
	v_mul_f64 v[138:139], v[5:6], v[15:16]
	v_mul_f64 v[15:16], v[7:8], v[15:16]
	v_add_f64 v[128:129], v[128:129], 0
	v_add_f64 v[132:133], v[132:133], 0
	v_fma_f64 v[134:135], v[3:4], v[9:10], v[134:135]
	v_fma_f64 v[140:141], v[1:2], v[9:10], -v[11:12]
	ds_load_b128 v[1:4], v111 offset:496
	scratch_load_b128 v[9:12], off, off offset:208
	v_add_f64 v[128:129], v[128:129], v[136:137]
	v_add_f64 v[130:131], v[132:133], v[130:131]
	v_fma_f64 v[136:137], v[7:8], v[13:14], v[138:139]
	v_fma_f64 v[138:139], v[5:6], v[13:14], -v[15:16]
	scratch_load_b128 v[13:16], off, off offset:224
	ds_load_b128 v[5:8], v111 offset:512
	s_waitcnt vmcnt(9) lgkmcnt(1)
	v_mul_f64 v[132:133], v[1:2], v[19:20]
	v_mul_f64 v[19:20], v[3:4], v[19:20]
	v_add_f64 v[128:129], v[128:129], v[140:141]
	v_add_f64 v[130:131], v[130:131], v[134:135]
	s_waitcnt vmcnt(8) lgkmcnt(0)
	v_mul_f64 v[134:135], v[5:6], v[23:24]
	v_mul_f64 v[23:24], v[7:8], v[23:24]
	v_fma_f64 v[132:133], v[3:4], v[17:18], v[132:133]
	v_fma_f64 v[140:141], v[1:2], v[17:18], -v[19:20]
	ds_load_b128 v[1:4], v111 offset:528
	scratch_load_b128 v[17:20], off, off offset:240
	v_add_f64 v[128:129], v[128:129], v[138:139]
	v_add_f64 v[130:131], v[130:131], v[136:137]
	v_fma_f64 v[134:135], v[7:8], v[21:22], v[134:135]
	v_fma_f64 v[138:139], v[5:6], v[21:22], -v[23:24]
	scratch_load_b128 v[21:24], off, off offset:256
	ds_load_b128 v[5:8], v111 offset:544
	s_waitcnt vmcnt(9) lgkmcnt(1)
	v_mul_f64 v[136:137], v[1:2], v[27:28]
	v_mul_f64 v[27:28], v[3:4], v[27:28]
	v_add_f64 v[128:129], v[128:129], v[140:141]
	v_add_f64 v[130:131], v[130:131], v[132:133]
	s_waitcnt vmcnt(8) lgkmcnt(0)
	v_mul_f64 v[132:133], v[5:6], v[31:32]
	v_mul_f64 v[31:32], v[7:8], v[31:32]
	;; [unrolled: 18-line block ×3, first 2 shown]
	v_fma_f64 v[134:135], v[3:4], v[116:117], v[134:135]
	v_fma_f64 v[140:141], v[1:2], v[116:117], -v[118:119]
	ds_load_b128 v[1:4], v111 offset:592
	scratch_load_b128 v[116:119], off, off offset:304
	v_add_f64 v[128:129], v[128:129], v[138:139]
	v_add_f64 v[130:131], v[130:131], v[132:133]
	v_fma_f64 v[136:137], v[7:8], v[124:125], v[136:137]
	v_fma_f64 v[138:139], v[5:6], v[124:125], -v[126:127]
	ds_load_b128 v[5:8], v111 offset:608
	scratch_load_b128 v[124:127], off, off offset:320
	s_waitcnt vmcnt(9) lgkmcnt(1)
	v_mul_f64 v[132:133], v[1:2], v[114:115]
	v_mul_f64 v[114:115], v[3:4], v[114:115]
	v_add_f64 v[128:129], v[128:129], v[140:141]
	v_add_f64 v[130:131], v[130:131], v[134:135]
	s_waitcnt vmcnt(8) lgkmcnt(0)
	v_mul_f64 v[134:135], v[5:6], v[122:123]
	v_mul_f64 v[122:123], v[7:8], v[122:123]
	v_fma_f64 v[132:133], v[3:4], v[112:113], v[132:133]
	v_fma_f64 v[140:141], v[1:2], v[112:113], -v[114:115]
	scratch_load_b128 v[112:115], off, off offset:336
	ds_load_b128 v[1:4], v111 offset:624
	v_add_f64 v[128:129], v[128:129], v[138:139]
	v_add_f64 v[130:131], v[130:131], v[136:137]
	v_fma_f64 v[134:135], v[7:8], v[120:121], v[134:135]
	v_fma_f64 v[138:139], v[5:6], v[120:121], -v[122:123]
	ds_load_b128 v[5:8], v111 offset:640
	s_waitcnt vmcnt(8) lgkmcnt(1)
	v_mul_f64 v[136:137], v[1:2], v[11:12]
	v_mul_f64 v[11:12], v[3:4], v[11:12]
	scratch_load_b128 v[120:123], off, off offset:352
	v_add_f64 v[128:129], v[128:129], v[140:141]
	v_add_f64 v[130:131], v[130:131], v[132:133]
	s_waitcnt vmcnt(8) lgkmcnt(0)
	v_mul_f64 v[132:133], v[5:6], v[15:16]
	v_mul_f64 v[15:16], v[7:8], v[15:16]
	v_fma_f64 v[136:137], v[3:4], v[9:10], v[136:137]
	v_fma_f64 v[140:141], v[1:2], v[9:10], -v[11:12]
	scratch_load_b128 v[9:12], off, off offset:368
	ds_load_b128 v[1:4], v111 offset:656
	v_add_f64 v[128:129], v[128:129], v[138:139]
	v_add_f64 v[130:131], v[130:131], v[134:135]
	v_fma_f64 v[132:133], v[7:8], v[13:14], v[132:133]
	v_fma_f64 v[138:139], v[5:6], v[13:14], -v[15:16]
	ds_load_b128 v[5:8], v111 offset:672
	s_waitcnt vmcnt(8) lgkmcnt(1)
	v_mul_f64 v[134:135], v[1:2], v[19:20]
	v_mul_f64 v[19:20], v[3:4], v[19:20]
	scratch_load_b128 v[13:16], off, off offset:384
	v_add_f64 v[128:129], v[128:129], v[140:141]
	v_add_f64 v[130:131], v[130:131], v[136:137]
	s_waitcnt vmcnt(8) lgkmcnt(0)
	v_mul_f64 v[136:137], v[5:6], v[23:24]
	v_mul_f64 v[23:24], v[7:8], v[23:24]
	v_fma_f64 v[134:135], v[3:4], v[17:18], v[134:135]
	v_fma_f64 v[140:141], v[1:2], v[17:18], -v[19:20]
	scratch_load_b128 v[17:20], off, off offset:400
	ds_load_b128 v[1:4], v111 offset:688
	v_add_f64 v[128:129], v[128:129], v[138:139]
	v_add_f64 v[130:131], v[130:131], v[132:133]
	v_fma_f64 v[136:137], v[7:8], v[21:22], v[136:137]
	v_fma_f64 v[21:22], v[5:6], v[21:22], -v[23:24]
	ds_load_b128 v[5:8], v111 offset:704
	s_waitcnt vmcnt(8) lgkmcnt(1)
	v_mul_f64 v[132:133], v[1:2], v[27:28]
	v_mul_f64 v[27:28], v[3:4], v[27:28]
	v_add_f64 v[23:24], v[128:129], v[140:141]
	v_add_f64 v[128:129], v[130:131], v[134:135]
	s_waitcnt vmcnt(7) lgkmcnt(0)
	v_mul_f64 v[130:131], v[5:6], v[31:32]
	v_mul_f64 v[31:32], v[7:8], v[31:32]
	v_fma_f64 v[132:133], v[3:4], v[25:26], v[132:133]
	v_fma_f64 v[25:26], v[1:2], v[25:26], -v[27:28]
	ds_load_b128 v[1:4], v111 offset:720
	v_add_f64 v[21:22], v[23:24], v[21:22]
	v_add_f64 v[23:24], v[128:129], v[136:137]
	v_fma_f64 v[128:129], v[7:8], v[29:30], v[130:131]
	v_fma_f64 v[29:30], v[5:6], v[29:30], -v[31:32]
	ds_load_b128 v[5:8], v111 offset:736
	s_waitcnt vmcnt(5) lgkmcnt(0)
	v_mul_f64 v[130:131], v[5:6], v[126:127]
	v_mul_f64 v[126:127], v[7:8], v[126:127]
	v_add_f64 v[25:26], v[21:22], v[25:26]
	v_add_f64 v[31:32], v[23:24], v[132:133]
	scratch_load_b128 v[21:24], off, off
	v_mul_f64 v[27:28], v[1:2], v[118:119]
	v_mul_f64 v[118:119], v[3:4], v[118:119]
	v_add_f64 v[25:26], v[25:26], v[29:30]
	v_add_f64 v[29:30], v[31:32], v[128:129]
	s_delay_alu instid0(VALU_DEP_4) | instskip(NEXT) | instid1(VALU_DEP_4)
	v_fma_f64 v[27:28], v[3:4], v[116:117], v[27:28]
	v_fma_f64 v[116:117], v[1:2], v[116:117], -v[118:119]
	ds_load_b128 v[1:4], v111 offset:752
	v_fma_f64 v[118:119], v[7:8], v[124:125], v[130:131]
	v_fma_f64 v[124:125], v[5:6], v[124:125], -v[126:127]
	ds_load_b128 v[5:8], v111 offset:768
	s_waitcnt vmcnt(5) lgkmcnt(1)
	v_mul_f64 v[31:32], v[1:2], v[114:115]
	v_mul_f64 v[114:115], v[3:4], v[114:115]
	v_add_f64 v[27:28], v[29:30], v[27:28]
	v_add_f64 v[25:26], v[25:26], v[116:117]
	s_waitcnt vmcnt(4) lgkmcnt(0)
	v_mul_f64 v[29:30], v[5:6], v[122:123]
	v_mul_f64 v[116:117], v[7:8], v[122:123]
	v_fma_f64 v[31:32], v[3:4], v[112:113], v[31:32]
	v_fma_f64 v[112:113], v[1:2], v[112:113], -v[114:115]
	ds_load_b128 v[1:4], v111 offset:784
	v_add_f64 v[27:28], v[27:28], v[118:119]
	v_add_f64 v[25:26], v[25:26], v[124:125]
	v_fma_f64 v[29:30], v[7:8], v[120:121], v[29:30]
	v_fma_f64 v[116:117], v[5:6], v[120:121], -v[116:117]
	ds_load_b128 v[5:8], v111 offset:800
	s_waitcnt vmcnt(3) lgkmcnt(1)
	v_mul_f64 v[114:115], v[1:2], v[11:12]
	v_mul_f64 v[11:12], v[3:4], v[11:12]
	v_add_f64 v[27:28], v[27:28], v[31:32]
	v_add_f64 v[25:26], v[25:26], v[112:113]
	s_waitcnt vmcnt(2) lgkmcnt(0)
	v_mul_f64 v[31:32], v[5:6], v[15:16]
	v_mul_f64 v[15:16], v[7:8], v[15:16]
	v_fma_f64 v[112:113], v[3:4], v[9:10], v[114:115]
	v_fma_f64 v[9:10], v[1:2], v[9:10], -v[11:12]
	ds_load_b128 v[1:4], v111 offset:816
	v_add_f64 v[11:12], v[25:26], v[116:117]
	v_add_f64 v[25:26], v[27:28], v[29:30]
	s_waitcnt vmcnt(1) lgkmcnt(0)
	v_mul_f64 v[27:28], v[1:2], v[19:20]
	v_mul_f64 v[19:20], v[3:4], v[19:20]
	v_fma_f64 v[7:8], v[7:8], v[13:14], v[31:32]
	v_fma_f64 v[5:6], v[5:6], v[13:14], -v[15:16]
	v_add_f64 v[9:10], v[11:12], v[9:10]
	v_add_f64 v[11:12], v[25:26], v[112:113]
	v_fma_f64 v[3:4], v[3:4], v[17:18], v[27:28]
	v_fma_f64 v[1:2], v[1:2], v[17:18], -v[19:20]
	s_delay_alu instid0(VALU_DEP_4) | instskip(NEXT) | instid1(VALU_DEP_4)
	v_add_f64 v[5:6], v[9:10], v[5:6]
	v_add_f64 v[7:8], v[11:12], v[7:8]
	s_delay_alu instid0(VALU_DEP_2) | instskip(NEXT) | instid1(VALU_DEP_2)
	v_add_f64 v[1:2], v[5:6], v[1:2]
	v_add_f64 v[3:4], v[7:8], v[3:4]
	s_waitcnt vmcnt(0)
	s_delay_alu instid0(VALU_DEP_2) | instskip(NEXT) | instid1(VALU_DEP_2)
	v_add_f64 v[1:2], v[21:22], -v[1:2]
	v_add_f64 v[3:4], v[23:24], -v[3:4]
	scratch_store_b128 off, v[1:4], off
	s_cbranch_vccz .LBB89_221
; %bb.170:
	v_dual_mov_b32 v1, s8 :: v_dual_mov_b32 v2, s9
	s_load_b64 s[0:1], s[0:1], 0x4
	flat_load_b32 v1, v[1:2] offset:96
	v_bfe_u32 v2, v0, 10, 10
	v_bfe_u32 v0, v0, 20, 10
	s_waitcnt lgkmcnt(0)
	s_lshr_b32 s0, s0, 16
	s_delay_alu instid0(VALU_DEP_2) | instskip(SKIP_1) | instid1(SALU_CYCLE_1)
	v_mul_u32_u24_e32 v2, s1, v2
	s_mul_i32 s0, s0, s1
	v_mul_u32_u24_e32 v3, s0, v85
	s_mov_b32 s0, exec_lo
	s_delay_alu instid0(VALU_DEP_1) | instskip(NEXT) | instid1(VALU_DEP_1)
	v_add3_u32 v0, v3, v2, v0
	v_lshl_add_u32 v0, v0, 4, 0x348
	s_waitcnt vmcnt(0)
	v_cmpx_ne_u32_e32 25, v1
	s_cbranch_execz .LBB89_172
; %bb.171:
	v_lshl_add_u32 v9, v1, 4, 0
	s_clause 0x1
	scratch_load_b128 v[1:4], v97, off
	scratch_load_b128 v[5:8], v9, off offset:-16
	s_waitcnt vmcnt(1)
	ds_store_2addr_b64 v0, v[1:2], v[3:4] offset1:1
	s_waitcnt vmcnt(0)
	s_clause 0x1
	scratch_store_b128 v97, v[5:8], off
	scratch_store_b128 v9, v[1:4], off offset:-16
.LBB89_172:
	s_or_b32 exec_lo, exec_lo, s0
	v_dual_mov_b32 v1, s8 :: v_dual_mov_b32 v2, s9
	s_mov_b32 s0, exec_lo
	flat_load_b32 v1, v[1:2] offset:92
	s_waitcnt vmcnt(0) lgkmcnt(0)
	v_cmpx_ne_u32_e32 24, v1
	s_cbranch_execz .LBB89_174
; %bb.173:
	v_lshl_add_u32 v9, v1, 4, 0
	s_clause 0x1
	scratch_load_b128 v[1:4], v95, off
	scratch_load_b128 v[5:8], v9, off offset:-16
	s_waitcnt vmcnt(1)
	ds_store_2addr_b64 v0, v[1:2], v[3:4] offset1:1
	s_waitcnt vmcnt(0)
	s_clause 0x1
	scratch_store_b128 v95, v[5:8], off
	scratch_store_b128 v9, v[1:4], off offset:-16
.LBB89_174:
	s_or_b32 exec_lo, exec_lo, s0
	v_dual_mov_b32 v1, s8 :: v_dual_mov_b32 v2, s9
	s_mov_b32 s0, exec_lo
	flat_load_b32 v1, v[1:2] offset:88
	s_waitcnt vmcnt(0) lgkmcnt(0)
	;; [unrolled: 19-line block ×23, first 2 shown]
	v_cmpx_ne_u32_e32 2, v1
	s_cbranch_execz .LBB89_218
; %bb.217:
	v_lshl_add_u32 v9, v1, 4, 0
	s_clause 0x1
	scratch_load_b128 v[1:4], v90, off
	scratch_load_b128 v[5:8], v9, off offset:-16
	s_waitcnt vmcnt(1)
	ds_store_2addr_b64 v0, v[1:2], v[3:4] offset1:1
	s_waitcnt vmcnt(0)
	s_clause 0x1
	scratch_store_b128 v90, v[5:8], off
	scratch_store_b128 v9, v[1:4], off offset:-16
.LBB89_218:
	s_or_b32 exec_lo, exec_lo, s0
	v_dual_mov_b32 v1, s8 :: v_dual_mov_b32 v2, s9
	s_mov_b32 s0, exec_lo
	flat_load_b32 v1, v[1:2]
	s_waitcnt vmcnt(0) lgkmcnt(0)
	v_cmpx_ne_u32_e32 1, v1
	s_cbranch_execz .LBB89_220
; %bb.219:
	v_lshl_add_u32 v9, v1, 4, 0
	scratch_load_b128 v[1:4], off, off
	scratch_load_b128 v[5:8], v9, off offset:-16
	s_waitcnt vmcnt(1)
	ds_store_2addr_b64 v0, v[1:2], v[3:4] offset1:1
	s_waitcnt vmcnt(0)
	scratch_store_b128 off, v[5:8], off
	scratch_store_b128 v9, v[1:4], off offset:-16
.LBB89_220:
	s_or_b32 exec_lo, exec_lo, s0
.LBB89_221:
	scratch_load_b128 v[0:3], off, off
	s_clause 0x12
	scratch_load_b128 v[4:7], v90, off
	scratch_load_b128 v[8:11], v87, off
	;; [unrolled: 1-line block ×19, first 2 shown]
	s_waitcnt vmcnt(19)
	global_store_b128 v[33:34], v[0:3], off
	s_clause 0x1
	scratch_load_b128 v[0:3], v91, off
	scratch_load_b128 v[147:150], v93, off
	s_waitcnt vmcnt(20)
	global_store_b128 v[35:36], v[4:7], off
	s_clause 0x1
	scratch_load_b128 v[4:7], v92, off
	scratch_load_b128 v[32:35], v95, off
	;; [unrolled: 5-line block ×3, first 2 shown]
	s_waitcnt vmcnt(22)
	global_store_b128 v[39:40], v[12:15], off
	s_waitcnt vmcnt(21)
	global_store_b128 v[41:42], v[16:19], off
	;; [unrolled: 2-line block ×23, first 2 shown]
	s_endpgm
	.section	.rodata,"a",@progbits
	.p2align	6, 0x0
	.amdhsa_kernel _ZN9rocsolver6v33100L18getri_kernel_smallILi26E19rocblas_complex_numIdEPKPS3_EEvT1_iilPiilS8_bb
		.amdhsa_group_segment_fixed_size 1864
		.amdhsa_private_segment_fixed_size 432
		.amdhsa_kernarg_size 60
		.amdhsa_user_sgpr_count 15
		.amdhsa_user_sgpr_dispatch_ptr 1
		.amdhsa_user_sgpr_queue_ptr 0
		.amdhsa_user_sgpr_kernarg_segment_ptr 1
		.amdhsa_user_sgpr_dispatch_id 0
		.amdhsa_user_sgpr_private_segment_size 0
		.amdhsa_wavefront_size32 1
		.amdhsa_uses_dynamic_stack 0
		.amdhsa_enable_private_segment 1
		.amdhsa_system_sgpr_workgroup_id_x 1
		.amdhsa_system_sgpr_workgroup_id_y 0
		.amdhsa_system_sgpr_workgroup_id_z 0
		.amdhsa_system_sgpr_workgroup_info 0
		.amdhsa_system_vgpr_workitem_id 2
		.amdhsa_next_free_vgpr 157
		.amdhsa_next_free_sgpr 22
		.amdhsa_reserve_vcc 1
		.amdhsa_float_round_mode_32 0
		.amdhsa_float_round_mode_16_64 0
		.amdhsa_float_denorm_mode_32 3
		.amdhsa_float_denorm_mode_16_64 3
		.amdhsa_dx10_clamp 1
		.amdhsa_ieee_mode 1
		.amdhsa_fp16_overflow 0
		.amdhsa_workgroup_processor_mode 1
		.amdhsa_memory_ordered 1
		.amdhsa_forward_progress 0
		.amdhsa_shared_vgpr_count 0
		.amdhsa_exception_fp_ieee_invalid_op 0
		.amdhsa_exception_fp_denorm_src 0
		.amdhsa_exception_fp_ieee_div_zero 0
		.amdhsa_exception_fp_ieee_overflow 0
		.amdhsa_exception_fp_ieee_underflow 0
		.amdhsa_exception_fp_ieee_inexact 0
		.amdhsa_exception_int_div_zero 0
	.end_amdhsa_kernel
	.section	.text._ZN9rocsolver6v33100L18getri_kernel_smallILi26E19rocblas_complex_numIdEPKPS3_EEvT1_iilPiilS8_bb,"axG",@progbits,_ZN9rocsolver6v33100L18getri_kernel_smallILi26E19rocblas_complex_numIdEPKPS3_EEvT1_iilPiilS8_bb,comdat
.Lfunc_end89:
	.size	_ZN9rocsolver6v33100L18getri_kernel_smallILi26E19rocblas_complex_numIdEPKPS3_EEvT1_iilPiilS8_bb, .Lfunc_end89-_ZN9rocsolver6v33100L18getri_kernel_smallILi26E19rocblas_complex_numIdEPKPS3_EEvT1_iilPiilS8_bb
                                        ; -- End function
	.section	.AMDGPU.csdata,"",@progbits
; Kernel info:
; codeLenInByte = 38552
; NumSgprs: 24
; NumVgprs: 157
; ScratchSize: 432
; MemoryBound: 0
; FloatMode: 240
; IeeeMode: 1
; LDSByteSize: 1864 bytes/workgroup (compile time only)
; SGPRBlocks: 2
; VGPRBlocks: 19
; NumSGPRsForWavesPerEU: 24
; NumVGPRsForWavesPerEU: 157
; Occupancy: 9
; WaveLimiterHint : 1
; COMPUTE_PGM_RSRC2:SCRATCH_EN: 1
; COMPUTE_PGM_RSRC2:USER_SGPR: 15
; COMPUTE_PGM_RSRC2:TRAP_HANDLER: 0
; COMPUTE_PGM_RSRC2:TGID_X_EN: 1
; COMPUTE_PGM_RSRC2:TGID_Y_EN: 0
; COMPUTE_PGM_RSRC2:TGID_Z_EN: 0
; COMPUTE_PGM_RSRC2:TIDIG_COMP_CNT: 2
	.section	.text._ZN9rocsolver6v33100L18getri_kernel_smallILi27E19rocblas_complex_numIdEPKPS3_EEvT1_iilPiilS8_bb,"axG",@progbits,_ZN9rocsolver6v33100L18getri_kernel_smallILi27E19rocblas_complex_numIdEPKPS3_EEvT1_iilPiilS8_bb,comdat
	.globl	_ZN9rocsolver6v33100L18getri_kernel_smallILi27E19rocblas_complex_numIdEPKPS3_EEvT1_iilPiilS8_bb ; -- Begin function _ZN9rocsolver6v33100L18getri_kernel_smallILi27E19rocblas_complex_numIdEPKPS3_EEvT1_iilPiilS8_bb
	.p2align	8
	.type	_ZN9rocsolver6v33100L18getri_kernel_smallILi27E19rocblas_complex_numIdEPKPS3_EEvT1_iilPiilS8_bb,@function
_ZN9rocsolver6v33100L18getri_kernel_smallILi27E19rocblas_complex_numIdEPKPS3_EEvT1_iilPiilS8_bb: ; @_ZN9rocsolver6v33100L18getri_kernel_smallILi27E19rocblas_complex_numIdEPKPS3_EEvT1_iilPiilS8_bb
; %bb.0:
	v_and_b32_e32 v92, 0x3ff, v0
	s_mov_b32 s4, exec_lo
	s_delay_alu instid0(VALU_DEP_1)
	v_cmpx_gt_u32_e32 27, v92
	s_cbranch_execz .LBB90_122
; %bb.1:
	s_mov_b32 s10, s15
	s_clause 0x2
	s_load_b32 s15, s[2:3], 0x38
	s_load_b64 s[8:9], s[2:3], 0x0
	s_load_b128 s[4:7], s[2:3], 0x28
	s_waitcnt lgkmcnt(0)
	s_bitcmp1_b32 s15, 8
	s_cselect_b32 s14, -1, 0
	s_ashr_i32 s11, s10, 31
	s_delay_alu instid0(SALU_CYCLE_1) | instskip(NEXT) | instid1(SALU_CYCLE_1)
	s_lshl_b64 s[12:13], s[10:11], 3
	s_add_u32 s8, s8, s12
	s_addc_u32 s9, s9, s13
	s_load_b64 s[12:13], s[8:9], 0x0
	s_bfe_u32 s8, s15, 0x10008
	s_delay_alu instid0(SALU_CYCLE_1)
	s_cmp_eq_u32 s8, 0
                                        ; implicit-def: $sgpr8_sgpr9
	s_cbranch_scc1 .LBB90_3
; %bb.2:
	s_clause 0x1
	s_load_b32 s8, s[2:3], 0x20
	s_load_b64 s[16:17], s[2:3], 0x18
	s_mul_i32 s5, s10, s5
	s_mul_hi_u32 s9, s10, s4
	s_mul_i32 s18, s11, s4
	s_add_i32 s5, s9, s5
	s_mul_i32 s4, s10, s4
	s_add_i32 s5, s5, s18
	s_delay_alu instid0(SALU_CYCLE_1)
	s_lshl_b64 s[4:5], s[4:5], 2
	s_waitcnt lgkmcnt(0)
	s_ashr_i32 s9, s8, 31
	s_add_u32 s16, s16, s4
	s_addc_u32 s17, s17, s5
	s_lshl_b64 s[4:5], s[8:9], 2
	s_delay_alu instid0(SALU_CYCLE_1)
	s_add_u32 s8, s16, s4
	s_addc_u32 s9, s17, s5
.LBB90_3:
	s_load_b64 s[4:5], s[2:3], 0x8
	v_lshlrev_b32_e32 v13, 4, v92
	s_movk_i32 s18, 0xd0
	s_movk_i32 s19, 0xe0
	;; [unrolled: 1-line block ×7, first 2 shown]
	v_add_nc_u32_e64 v96, 0, 16
	v_add_nc_u32_e64 v95, 0, 32
	;; [unrolled: 1-line block ×6, first 2 shown]
	s_waitcnt lgkmcnt(0)
	v_add3_u32 v5, s5, s5, v92
	s_ashr_i32 s3, s4, 31
	s_mov_b32 s2, s4
	s_mov_b32 s16, s5
	s_lshl_b64 s[2:3], s[2:3], 4
	v_add_nc_u32_e32 v7, s5, v5
	v_ashrrev_i32_e32 v6, 31, v5
	s_add_u32 s2, s12, s2
	s_addc_u32 s3, s13, s3
	v_add_co_u32 v38, s4, s2, v13
	v_add_nc_u32_e32 v9, s5, v7
	v_ashrrev_i32_e32 v8, 31, v7
	s_ashr_i32 s17, s5, 31
	v_add_co_ci_u32_e64 v39, null, s3, 0, s4
	s_delay_alu instid0(VALU_DEP_3)
	v_add_nc_u32_e32 v16, s5, v9
	v_lshlrev_b64 v[5:6], 4, v[5:6]
	s_lshl_b64 s[12:13], s[16:17], 4
	v_ashrrev_i32_e32 v10, 31, v9
	v_add_co_u32 v40, vcc_lo, v38, s12
	v_lshlrev_b64 v[14:15], 4, v[7:8]
	v_ashrrev_i32_e32 v17, 31, v16
	v_add_co_ci_u32_e32 v41, vcc_lo, s13, v39, vcc_lo
	v_add_co_u32 v42, vcc_lo, s2, v5
	v_lshlrev_b64 v[18:19], 4, v[9:10]
	v_add_nc_u32_e32 v20, s5, v16
	v_add_co_ci_u32_e32 v43, vcc_lo, s3, v6, vcc_lo
	v_add_co_u32 v44, vcc_lo, s2, v14
	v_lshlrev_b64 v[24:25], 4, v[16:17]
	v_add_co_ci_u32_e32 v45, vcc_lo, s3, v15, vcc_lo
	v_add_nc_u32_e32 v22, s5, v20
	v_add_co_u32 v46, vcc_lo, s2, v18
	v_add_co_ci_u32_e32 v47, vcc_lo, s3, v19, vcc_lo
	v_ashrrev_i32_e32 v21, 31, v20
	v_add_co_u32 v48, vcc_lo, s2, v24
	v_add_co_ci_u32_e32 v49, vcc_lo, s3, v25, vcc_lo
	v_add_nc_u32_e32 v25, s5, v22
	s_delay_alu instid0(VALU_DEP_4)
	v_lshlrev_b64 v[26:27], 4, v[20:21]
	v_ashrrev_i32_e32 v23, 31, v22
	s_clause 0x2
	global_load_b128 v[1:4], v13, s[2:3]
	global_load_b128 v[5:8], v[40:41], off
	global_load_b128 v[9:12], v[42:43], off
	v_add_nc_u32_e32 v30, s5, v25
	s_clause 0x1
	global_load_b128 v[14:17], v[44:45], off
	global_load_b128 v[18:21], v[46:47], off
	v_add_co_u32 v50, vcc_lo, s2, v26
	v_ashrrev_i32_e32 v26, 31, v25
	v_add_nc_u32_e32 v32, s5, v30
	v_lshlrev_b64 v[23:24], 4, v[22:23]
	v_ashrrev_i32_e32 v31, 31, v30
	v_add_co_ci_u32_e32 v51, vcc_lo, s3, v27, vcc_lo
	v_lshlrev_b64 v[34:35], 4, v[25:26]
	v_add_nc_u32_e32 v36, s5, v32
	v_add_co_u32 v52, vcc_lo, s2, v23
	v_lshlrev_b64 v[30:31], 4, v[30:31]
	v_ashrrev_i32_e32 v33, 31, v32
	v_add_co_ci_u32_e32 v53, vcc_lo, s3, v24, vcc_lo
	v_add_co_u32 v54, vcc_lo, s2, v34
	v_ashrrev_i32_e32 v37, 31, v36
	v_add_nc_u32_e32 v34, s5, v36
	v_add_co_ci_u32_e32 v55, vcc_lo, s3, v35, vcc_lo
	v_lshlrev_b64 v[32:33], 4, v[32:33]
	v_add_co_u32 v56, vcc_lo, s2, v30
	v_add_co_ci_u32_e32 v57, vcc_lo, s3, v31, vcc_lo
	v_lshlrev_b64 v[30:31], 4, v[36:37]
	v_ashrrev_i32_e32 v35, 31, v34
	v_add_nc_u32_e32 v36, s5, v34
	v_add_co_u32 v58, vcc_lo, s2, v32
	v_add_co_ci_u32_e32 v59, vcc_lo, s3, v33, vcc_lo
	s_delay_alu instid0(VALU_DEP_4) | instskip(NEXT) | instid1(VALU_DEP_4)
	v_lshlrev_b64 v[32:33], 4, v[34:35]
	v_ashrrev_i32_e32 v37, 31, v36
	v_add_nc_u32_e32 v34, s5, v36
	v_add_co_u32 v60, vcc_lo, s2, v30
	v_add_co_ci_u32_e32 v61, vcc_lo, s3, v31, vcc_lo
	s_delay_alu instid0(VALU_DEP_4) | instskip(NEXT) | instid1(VALU_DEP_4)
	;; [unrolled: 6-line block ×10, first 2 shown]
	v_lshlrev_b64 v[30:31], 4, v[36:37]
	v_add_nc_u32_e32 v36, s5, v34
	v_ashrrev_i32_e32 v35, 31, v34
	v_add_co_u32 v78, vcc_lo, s2, v32
	v_add_co_ci_u32_e32 v79, vcc_lo, s3, v33, vcc_lo
	s_delay_alu instid0(VALU_DEP_4) | instskip(SKIP_3) | instid1(VALU_DEP_4)
	v_add_nc_u32_e32 v86, s5, v36
	v_ashrrev_i32_e32 v37, 31, v36
	v_lshlrev_b64 v[32:33], 4, v[34:35]
	v_add_co_u32 v80, vcc_lo, s2, v30
	v_add_nc_u32_e32 v88, s5, v86
	v_ashrrev_i32_e32 v87, 31, v86
	v_lshlrev_b64 v[84:85], 4, v[36:37]
	v_add_co_ci_u32_e32 v81, vcc_lo, s3, v31, vcc_lo
	s_delay_alu instid0(VALU_DEP_4) | instskip(SKIP_3) | instid1(VALU_DEP_4)
	v_add_nc_u32_e32 v90, s5, v88
	v_ashrrev_i32_e32 v89, 31, v88
	v_add_co_u32 v82, vcc_lo, s2, v32
	v_lshlrev_b64 v[86:87], 4, v[86:87]
	v_ashrrev_i32_e32 v91, 31, v90
	v_add_co_ci_u32_e32 v83, vcc_lo, s3, v33, vcc_lo
	v_add_co_u32 v84, vcc_lo, s2, v84
	v_lshlrev_b64 v[88:89], 4, v[88:89]
	v_add_co_ci_u32_e32 v85, vcc_lo, s3, v85, vcc_lo
	s_clause 0x10
	global_load_b128 v[22:25], v[48:49], off
	global_load_b128 v[26:29], v[50:51], off
	global_load_b128 v[30:33], v[52:53], off
	global_load_b128 v[34:37], v[54:55], off
	global_load_b128 v[107:110], v[56:57], off
	global_load_b128 v[111:114], v[58:59], off
	global_load_b128 v[115:118], v[60:61], off
	global_load_b128 v[119:122], v[62:63], off
	global_load_b128 v[123:126], v[64:65], off
	global_load_b128 v[127:130], v[66:67], off
	global_load_b128 v[131:134], v[68:69], off
	global_load_b128 v[135:138], v[70:71], off
	global_load_b128 v[139:142], v[72:73], off
	global_load_b128 v[143:146], v[74:75], off
	global_load_b128 v[147:150], v[76:77], off
	global_load_b128 v[151:154], v[78:79], off
	global_load_b128 v[155:158], v[80:81], off
	v_add_co_u32 v86, vcc_lo, s2, v86
	v_lshlrev_b64 v[90:91], 4, v[90:91]
	v_add_co_ci_u32_e32 v87, vcc_lo, s3, v87, vcc_lo
	v_add_co_u32 v88, vcc_lo, s2, v88
	v_add_co_ci_u32_e32 v89, vcc_lo, s3, v89, vcc_lo
	s_delay_alu instid0(VALU_DEP_4)
	v_add_co_u32 v90, vcc_lo, s2, v90
	v_add_co_ci_u32_e32 v91, vcc_lo, s3, v91, vcc_lo
	s_clause 0x4
	global_load_b128 v[159:162], v[82:83], off
	global_load_b128 v[163:166], v[84:85], off
	global_load_b128 v[167:170], v[86:87], off
	global_load_b128 v[171:174], v[88:89], off
	global_load_b128 v[175:178], v[90:91], off
	s_movk_i32 s2, 0x50
	s_movk_i32 s3, 0x60
	v_add_nc_u32_e64 v106, s2, 0
	s_movk_i32 s2, 0x140
	v_add_nc_u32_e64 v105, s3, 0
	s_movk_i32 s3, 0x160
	s_movk_i32 s4, 0x70
	s_movk_i32 s5, 0x80
	s_movk_i32 s12, 0x90
	s_movk_i32 s13, 0xa0
	s_movk_i32 s16, 0xb0
	s_movk_i32 s17, 0xc0
	v_add_nc_u32_e64 v104, s4, 0
	v_add_nc_u32_e64 v102, s5, 0
	;; [unrolled: 1-line block ×6, first 2 shown]
	s_bitcmp0_b32 s15, 0
	s_waitcnt vmcnt(26)
	scratch_store_b128 off, v[1:4], off
	s_waitcnt vmcnt(25)
	scratch_store_b128 off, v[5:8], off offset:16
	s_waitcnt vmcnt(24)
	scratch_store_b128 off, v[9:12], off offset:32
	;; [unrolled: 2-line block ×21, first 2 shown]
	v_add_nc_u32_e64 v107, s2, 0
	s_movk_i32 s2, 0x150
	v_add_nc_u32_e64 v111, s3, 0
	v_add_nc_u32_e64 v116, s2, 0
	s_movk_i32 s2, 0x170
	s_movk_i32 s3, 0x180
	v_add_nc_u32_e64 v115, s2, 0
	v_add_nc_u32_e64 v110, s3, 0
	s_movk_i32 s2, 0x190
	s_movk_i32 s3, 0x1a0
	v_add_nc_u32_e64 v117, s20, 0
	v_add_nc_u32_e64 v113, s21, 0
	;; [unrolled: 1-line block ×7, first 2 shown]
	s_mov_b32 s3, -1
	s_waitcnt vmcnt(4)
	scratch_store_b128 off, v[159:162], off offset:352
	s_waitcnt vmcnt(3)
	scratch_store_b128 off, v[163:166], off offset:368
	;; [unrolled: 2-line block ×5, first 2 shown]
	s_cbranch_scc1 .LBB90_120
; %bb.4:
	v_cmp_eq_u32_e64 s2, 0, v92
	s_delay_alu instid0(VALU_DEP_1)
	s_and_saveexec_b32 s3, s2
	s_cbranch_execz .LBB90_6
; %bb.5:
	v_mov_b32_e32 v1, 0
	ds_store_b32 v1, v1 offset:864
.LBB90_6:
	s_or_b32 exec_lo, exec_lo, s3
	s_waitcnt lgkmcnt(0)
	s_waitcnt_vscnt null, 0x0
	s_barrier
	buffer_gl0_inv
	scratch_load_b128 v[1:4], v13, off
	s_waitcnt vmcnt(0)
	v_cmp_eq_f64_e32 vcc_lo, 0, v[1:2]
	v_cmp_eq_f64_e64 s3, 0, v[3:4]
	s_delay_alu instid0(VALU_DEP_1) | instskip(NEXT) | instid1(SALU_CYCLE_1)
	s_and_b32 s3, vcc_lo, s3
	s_and_saveexec_b32 s4, s3
	s_cbranch_execz .LBB90_10
; %bb.7:
	v_mov_b32_e32 v1, 0
	s_mov_b32 s5, 0
	ds_load_b32 v2, v1 offset:864
	s_waitcnt lgkmcnt(0)
	v_readfirstlane_b32 s3, v2
	v_add_nc_u32_e32 v2, 1, v92
	s_delay_alu instid0(VALU_DEP_2) | instskip(NEXT) | instid1(VALU_DEP_1)
	s_cmp_eq_u32 s3, 0
	v_cmp_gt_i32_e32 vcc_lo, s3, v2
	s_cselect_b32 s12, -1, 0
	s_delay_alu instid0(SALU_CYCLE_1) | instskip(NEXT) | instid1(SALU_CYCLE_1)
	s_or_b32 s12, s12, vcc_lo
	s_and_b32 exec_lo, exec_lo, s12
	s_cbranch_execz .LBB90_10
; %bb.8:
	v_mov_b32_e32 v3, s3
.LBB90_9:                               ; =>This Inner Loop Header: Depth=1
	ds_cmpstore_rtn_b32 v3, v1, v2, v3 offset:864
	s_waitcnt lgkmcnt(0)
	v_cmp_ne_u32_e32 vcc_lo, 0, v3
	v_cmp_le_i32_e64 s3, v3, v2
	s_delay_alu instid0(VALU_DEP_1) | instskip(NEXT) | instid1(SALU_CYCLE_1)
	s_and_b32 s3, vcc_lo, s3
	s_and_b32 s3, exec_lo, s3
	s_delay_alu instid0(SALU_CYCLE_1) | instskip(NEXT) | instid1(SALU_CYCLE_1)
	s_or_b32 s5, s3, s5
	s_and_not1_b32 exec_lo, exec_lo, s5
	s_cbranch_execnz .LBB90_9
.LBB90_10:
	s_or_b32 exec_lo, exec_lo, s4
	v_mov_b32_e32 v1, 0
	s_barrier
	buffer_gl0_inv
	ds_load_b32 v2, v1 offset:864
	s_and_saveexec_b32 s3, s2
	s_cbranch_execz .LBB90_12
; %bb.11:
	s_lshl_b64 s[4:5], s[10:11], 2
	s_delay_alu instid0(SALU_CYCLE_1)
	s_add_u32 s4, s6, s4
	s_addc_u32 s5, s7, s5
	s_waitcnt lgkmcnt(0)
	global_store_b32 v1, v2, s[4:5]
.LBB90_12:
	s_or_b32 exec_lo, exec_lo, s3
	s_waitcnt lgkmcnt(0)
	v_cmp_ne_u32_e32 vcc_lo, 0, v2
	s_mov_b32 s3, 0
	s_cbranch_vccnz .LBB90_120
; %bb.13:
	v_add_nc_u32_e32 v14, 0, v13
                                        ; implicit-def: $vgpr9_vgpr10
	scratch_load_b128 v[1:4], v14, off
	s_waitcnt vmcnt(0)
	v_mov_b32_e32 v5, v1
	v_cmp_gt_f64_e32 vcc_lo, 0, v[1:2]
	v_xor_b32_e32 v6, 0x80000000, v2
	v_xor_b32_e32 v7, 0x80000000, v4
	s_delay_alu instid0(VALU_DEP_2) | instskip(SKIP_1) | instid1(VALU_DEP_3)
	v_cndmask_b32_e32 v6, v2, v6, vcc_lo
	v_cmp_gt_f64_e32 vcc_lo, 0, v[3:4]
	v_dual_cndmask_b32 v8, v4, v7 :: v_dual_mov_b32 v7, v3
	s_delay_alu instid0(VALU_DEP_1) | instskip(SKIP_1) | instid1(SALU_CYCLE_1)
	v_cmp_ngt_f64_e32 vcc_lo, v[5:6], v[7:8]
                                        ; implicit-def: $vgpr5_vgpr6
	s_and_saveexec_b32 s3, vcc_lo
	s_xor_b32 s3, exec_lo, s3
	s_cbranch_execz .LBB90_15
; %bb.14:
	v_div_scale_f64 v[5:6], null, v[3:4], v[3:4], v[1:2]
	v_div_scale_f64 v[11:12], vcc_lo, v[1:2], v[3:4], v[1:2]
	s_delay_alu instid0(VALU_DEP_2) | instskip(SKIP_2) | instid1(VALU_DEP_1)
	v_rcp_f64_e32 v[7:8], v[5:6]
	s_waitcnt_depctr 0xfff
	v_fma_f64 v[9:10], -v[5:6], v[7:8], 1.0
	v_fma_f64 v[7:8], v[7:8], v[9:10], v[7:8]
	s_delay_alu instid0(VALU_DEP_1) | instskip(NEXT) | instid1(VALU_DEP_1)
	v_fma_f64 v[9:10], -v[5:6], v[7:8], 1.0
	v_fma_f64 v[7:8], v[7:8], v[9:10], v[7:8]
	s_delay_alu instid0(VALU_DEP_1) | instskip(NEXT) | instid1(VALU_DEP_1)
	v_mul_f64 v[9:10], v[11:12], v[7:8]
	v_fma_f64 v[5:6], -v[5:6], v[9:10], v[11:12]
	s_delay_alu instid0(VALU_DEP_1) | instskip(NEXT) | instid1(VALU_DEP_1)
	v_div_fmas_f64 v[5:6], v[5:6], v[7:8], v[9:10]
	v_div_fixup_f64 v[5:6], v[5:6], v[3:4], v[1:2]
	s_delay_alu instid0(VALU_DEP_1) | instskip(NEXT) | instid1(VALU_DEP_1)
	v_fma_f64 v[1:2], v[1:2], v[5:6], v[3:4]
	v_div_scale_f64 v[3:4], null, v[1:2], v[1:2], 1.0
	v_div_scale_f64 v[11:12], vcc_lo, 1.0, v[1:2], 1.0
	s_delay_alu instid0(VALU_DEP_2) | instskip(SKIP_2) | instid1(VALU_DEP_1)
	v_rcp_f64_e32 v[7:8], v[3:4]
	s_waitcnt_depctr 0xfff
	v_fma_f64 v[9:10], -v[3:4], v[7:8], 1.0
	v_fma_f64 v[7:8], v[7:8], v[9:10], v[7:8]
	s_delay_alu instid0(VALU_DEP_1) | instskip(NEXT) | instid1(VALU_DEP_1)
	v_fma_f64 v[9:10], -v[3:4], v[7:8], 1.0
	v_fma_f64 v[7:8], v[7:8], v[9:10], v[7:8]
	s_delay_alu instid0(VALU_DEP_1) | instskip(NEXT) | instid1(VALU_DEP_1)
	v_mul_f64 v[9:10], v[11:12], v[7:8]
	v_fma_f64 v[3:4], -v[3:4], v[9:10], v[11:12]
	s_delay_alu instid0(VALU_DEP_1) | instskip(NEXT) | instid1(VALU_DEP_1)
	v_div_fmas_f64 v[3:4], v[3:4], v[7:8], v[9:10]
	v_div_fixup_f64 v[7:8], v[3:4], v[1:2], 1.0
                                        ; implicit-def: $vgpr1_vgpr2
	s_delay_alu instid0(VALU_DEP_1) | instskip(SKIP_1) | instid1(VALU_DEP_2)
	v_mul_f64 v[5:6], v[5:6], v[7:8]
	v_xor_b32_e32 v8, 0x80000000, v8
	v_xor_b32_e32 v10, 0x80000000, v6
	s_delay_alu instid0(VALU_DEP_3)
	v_mov_b32_e32 v9, v5
.LBB90_15:
	s_and_not1_saveexec_b32 s3, s3
	s_cbranch_execz .LBB90_17
; %bb.16:
	v_div_scale_f64 v[5:6], null, v[1:2], v[1:2], v[3:4]
	v_div_scale_f64 v[11:12], vcc_lo, v[3:4], v[1:2], v[3:4]
	s_delay_alu instid0(VALU_DEP_2) | instskip(SKIP_2) | instid1(VALU_DEP_1)
	v_rcp_f64_e32 v[7:8], v[5:6]
	s_waitcnt_depctr 0xfff
	v_fma_f64 v[9:10], -v[5:6], v[7:8], 1.0
	v_fma_f64 v[7:8], v[7:8], v[9:10], v[7:8]
	s_delay_alu instid0(VALU_DEP_1) | instskip(NEXT) | instid1(VALU_DEP_1)
	v_fma_f64 v[9:10], -v[5:6], v[7:8], 1.0
	v_fma_f64 v[7:8], v[7:8], v[9:10], v[7:8]
	s_delay_alu instid0(VALU_DEP_1) | instskip(NEXT) | instid1(VALU_DEP_1)
	v_mul_f64 v[9:10], v[11:12], v[7:8]
	v_fma_f64 v[5:6], -v[5:6], v[9:10], v[11:12]
	s_delay_alu instid0(VALU_DEP_1) | instskip(NEXT) | instid1(VALU_DEP_1)
	v_div_fmas_f64 v[5:6], v[5:6], v[7:8], v[9:10]
	v_div_fixup_f64 v[7:8], v[5:6], v[1:2], v[3:4]
	s_delay_alu instid0(VALU_DEP_1) | instskip(NEXT) | instid1(VALU_DEP_1)
	v_fma_f64 v[1:2], v[3:4], v[7:8], v[1:2]
	v_div_scale_f64 v[3:4], null, v[1:2], v[1:2], 1.0
	s_delay_alu instid0(VALU_DEP_1) | instskip(SKIP_2) | instid1(VALU_DEP_1)
	v_rcp_f64_e32 v[5:6], v[3:4]
	s_waitcnt_depctr 0xfff
	v_fma_f64 v[9:10], -v[3:4], v[5:6], 1.0
	v_fma_f64 v[5:6], v[5:6], v[9:10], v[5:6]
	s_delay_alu instid0(VALU_DEP_1) | instskip(NEXT) | instid1(VALU_DEP_1)
	v_fma_f64 v[9:10], -v[3:4], v[5:6], 1.0
	v_fma_f64 v[5:6], v[5:6], v[9:10], v[5:6]
	v_div_scale_f64 v[9:10], vcc_lo, 1.0, v[1:2], 1.0
	s_delay_alu instid0(VALU_DEP_1) | instskip(NEXT) | instid1(VALU_DEP_1)
	v_mul_f64 v[11:12], v[9:10], v[5:6]
	v_fma_f64 v[3:4], -v[3:4], v[11:12], v[9:10]
	s_delay_alu instid0(VALU_DEP_1) | instskip(NEXT) | instid1(VALU_DEP_1)
	v_div_fmas_f64 v[3:4], v[3:4], v[5:6], v[11:12]
	v_div_fixup_f64 v[5:6], v[3:4], v[1:2], 1.0
	s_delay_alu instid0(VALU_DEP_1)
	v_mul_f64 v[7:8], v[7:8], -v[5:6]
	v_xor_b32_e32 v10, 0x80000000, v6
	v_mov_b32_e32 v9, v5
.LBB90_17:
	s_or_b32 exec_lo, exec_lo, s3
	scratch_store_b128 v14, v[5:8], off
	scratch_load_b128 v[1:4], v96, off
	v_xor_b32_e32 v12, 0x80000000, v8
	v_mov_b32_e32 v11, v7
	v_add_nc_u32_e32 v5, 0x1b0, v13
	ds_store_b128 v13, v[9:12]
	s_waitcnt vmcnt(0)
	ds_store_b128 v13, v[1:4] offset:432
	s_waitcnt lgkmcnt(0)
	s_waitcnt_vscnt null, 0x0
	s_barrier
	buffer_gl0_inv
	s_and_saveexec_b32 s3, s2
	s_cbranch_execz .LBB90_19
; %bb.18:
	scratch_load_b128 v[1:4], v14, off
	ds_load_b128 v[6:9], v5
	v_mov_b32_e32 v10, 0
	ds_load_b128 v[15:18], v10 offset:16
	s_waitcnt vmcnt(0) lgkmcnt(1)
	v_mul_f64 v[10:11], v[6:7], v[3:4]
	v_mul_f64 v[3:4], v[8:9], v[3:4]
	s_delay_alu instid0(VALU_DEP_2) | instskip(NEXT) | instid1(VALU_DEP_2)
	v_fma_f64 v[8:9], v[8:9], v[1:2], v[10:11]
	v_fma_f64 v[1:2], v[6:7], v[1:2], -v[3:4]
	s_delay_alu instid0(VALU_DEP_2) | instskip(NEXT) | instid1(VALU_DEP_2)
	v_add_f64 v[3:4], v[8:9], 0
	v_add_f64 v[1:2], v[1:2], 0
	s_waitcnt lgkmcnt(0)
	s_delay_alu instid0(VALU_DEP_2) | instskip(NEXT) | instid1(VALU_DEP_2)
	v_mul_f64 v[6:7], v[3:4], v[17:18]
	v_mul_f64 v[8:9], v[1:2], v[17:18]
	s_delay_alu instid0(VALU_DEP_2) | instskip(NEXT) | instid1(VALU_DEP_2)
	v_fma_f64 v[1:2], v[1:2], v[15:16], -v[6:7]
	v_fma_f64 v[3:4], v[3:4], v[15:16], v[8:9]
	scratch_store_b128 off, v[1:4], off offset:16
.LBB90_19:
	s_or_b32 exec_lo, exec_lo, s3
	s_waitcnt_vscnt null, 0x0
	s_barrier
	buffer_gl0_inv
	scratch_load_b128 v[1:4], v95, off
	s_mov_b32 s3, exec_lo
	s_waitcnt vmcnt(0)
	ds_store_b128 v5, v[1:4]
	s_waitcnt lgkmcnt(0)
	s_barrier
	buffer_gl0_inv
	v_cmpx_gt_u32_e32 2, v92
	s_cbranch_execz .LBB90_23
; %bb.20:
	scratch_load_b128 v[1:4], v14, off
	ds_load_b128 v[6:9], v5
	s_waitcnt vmcnt(0) lgkmcnt(0)
	v_mul_f64 v[10:11], v[8:9], v[3:4]
	v_mul_f64 v[3:4], v[6:7], v[3:4]
	s_delay_alu instid0(VALU_DEP_2) | instskip(NEXT) | instid1(VALU_DEP_2)
	v_fma_f64 v[6:7], v[6:7], v[1:2], -v[10:11]
	v_fma_f64 v[3:4], v[8:9], v[1:2], v[3:4]
	s_delay_alu instid0(VALU_DEP_2) | instskip(NEXT) | instid1(VALU_DEP_2)
	v_add_f64 v[1:2], v[6:7], 0
	v_add_f64 v[3:4], v[3:4], 0
	s_and_saveexec_b32 s4, s2
	s_cbranch_execz .LBB90_22
; %bb.21:
	scratch_load_b128 v[6:9], off, off offset:16
	v_mov_b32_e32 v10, 0
	ds_load_b128 v[15:18], v10 offset:448
	s_waitcnt vmcnt(0) lgkmcnt(0)
	v_mul_f64 v[10:11], v[15:16], v[8:9]
	v_mul_f64 v[8:9], v[17:18], v[8:9]
	s_delay_alu instid0(VALU_DEP_2) | instskip(NEXT) | instid1(VALU_DEP_2)
	v_fma_f64 v[10:11], v[17:18], v[6:7], v[10:11]
	v_fma_f64 v[6:7], v[15:16], v[6:7], -v[8:9]
	s_delay_alu instid0(VALU_DEP_2) | instskip(NEXT) | instid1(VALU_DEP_2)
	v_add_f64 v[3:4], v[3:4], v[10:11]
	v_add_f64 v[1:2], v[1:2], v[6:7]
.LBB90_22:
	s_or_b32 exec_lo, exec_lo, s4
	v_mov_b32_e32 v6, 0
	ds_load_b128 v[6:9], v6 offset:32
	s_waitcnt lgkmcnt(0)
	v_mul_f64 v[10:11], v[3:4], v[8:9]
	v_mul_f64 v[8:9], v[1:2], v[8:9]
	s_delay_alu instid0(VALU_DEP_2) | instskip(NEXT) | instid1(VALU_DEP_2)
	v_fma_f64 v[1:2], v[1:2], v[6:7], -v[10:11]
	v_fma_f64 v[3:4], v[3:4], v[6:7], v[8:9]
	scratch_store_b128 off, v[1:4], off offset:32
.LBB90_23:
	s_or_b32 exec_lo, exec_lo, s3
	s_waitcnt_vscnt null, 0x0
	s_barrier
	buffer_gl0_inv
	scratch_load_b128 v[1:4], v94, off
	v_add_nc_u32_e32 v6, -1, v92
	s_mov_b32 s2, exec_lo
	s_waitcnt vmcnt(0)
	ds_store_b128 v5, v[1:4]
	s_waitcnt lgkmcnt(0)
	s_barrier
	buffer_gl0_inv
	v_cmpx_gt_u32_e32 3, v92
	s_cbranch_execz .LBB90_27
; %bb.24:
	v_dual_mov_b32 v1, 0 :: v_dual_add_nc_u32 v8, 0x1b0, v13
	v_dual_mov_b32 v2, 0 :: v_dual_add_nc_u32 v7, -1, v92
	v_or_b32_e32 v9, 8, v14
	s_mov_b32 s3, 0
	s_delay_alu instid0(VALU_DEP_2)
	v_dual_mov_b32 v4, v2 :: v_dual_mov_b32 v3, v1
	.p2align	6
.LBB90_25:                              ; =>This Inner Loop Header: Depth=1
	scratch_load_b128 v[15:18], v9, off offset:-8
	ds_load_b128 v[19:22], v8
	v_add_nc_u32_e32 v7, 1, v7
	v_add_nc_u32_e32 v8, 16, v8
	v_add_nc_u32_e32 v9, 16, v9
	s_delay_alu instid0(VALU_DEP_3) | instskip(SKIP_4) | instid1(VALU_DEP_2)
	v_cmp_lt_u32_e32 vcc_lo, 1, v7
	s_or_b32 s3, vcc_lo, s3
	s_waitcnt vmcnt(0) lgkmcnt(0)
	v_mul_f64 v[10:11], v[21:22], v[17:18]
	v_mul_f64 v[17:18], v[19:20], v[17:18]
	v_fma_f64 v[10:11], v[19:20], v[15:16], -v[10:11]
	s_delay_alu instid0(VALU_DEP_2) | instskip(NEXT) | instid1(VALU_DEP_2)
	v_fma_f64 v[15:16], v[21:22], v[15:16], v[17:18]
	v_add_f64 v[3:4], v[3:4], v[10:11]
	s_delay_alu instid0(VALU_DEP_2)
	v_add_f64 v[1:2], v[1:2], v[15:16]
	s_and_not1_b32 exec_lo, exec_lo, s3
	s_cbranch_execnz .LBB90_25
; %bb.26:
	s_or_b32 exec_lo, exec_lo, s3
	v_mov_b32_e32 v7, 0
	ds_load_b128 v[7:10], v7 offset:48
	s_waitcnt lgkmcnt(0)
	v_mul_f64 v[11:12], v[1:2], v[9:10]
	v_mul_f64 v[15:16], v[3:4], v[9:10]
	s_delay_alu instid0(VALU_DEP_2) | instskip(NEXT) | instid1(VALU_DEP_2)
	v_fma_f64 v[9:10], v[3:4], v[7:8], -v[11:12]
	v_fma_f64 v[11:12], v[1:2], v[7:8], v[15:16]
	scratch_store_b128 off, v[9:12], off offset:48
.LBB90_27:
	s_or_b32 exec_lo, exec_lo, s2
	s_waitcnt_vscnt null, 0x0
	s_barrier
	buffer_gl0_inv
	scratch_load_b128 v[1:4], v93, off
	s_mov_b32 s2, exec_lo
	s_waitcnt vmcnt(0)
	ds_store_b128 v5, v[1:4]
	s_waitcnt lgkmcnt(0)
	s_barrier
	buffer_gl0_inv
	v_cmpx_gt_u32_e32 4, v92
	s_cbranch_execz .LBB90_31
; %bb.28:
	v_dual_mov_b32 v1, 0 :: v_dual_add_nc_u32 v8, 0x1b0, v13
	v_dual_mov_b32 v2, 0 :: v_dual_add_nc_u32 v7, -1, v92
	v_or_b32_e32 v9, 8, v14
	s_mov_b32 s3, 0
	s_delay_alu instid0(VALU_DEP_2)
	v_dual_mov_b32 v4, v2 :: v_dual_mov_b32 v3, v1
	.p2align	6
.LBB90_29:                              ; =>This Inner Loop Header: Depth=1
	scratch_load_b128 v[15:18], v9, off offset:-8
	ds_load_b128 v[19:22], v8
	v_add_nc_u32_e32 v7, 1, v7
	v_add_nc_u32_e32 v8, 16, v8
	;; [unrolled: 1-line block ×3, first 2 shown]
	s_delay_alu instid0(VALU_DEP_3) | instskip(SKIP_4) | instid1(VALU_DEP_2)
	v_cmp_lt_u32_e32 vcc_lo, 2, v7
	s_or_b32 s3, vcc_lo, s3
	s_waitcnt vmcnt(0) lgkmcnt(0)
	v_mul_f64 v[10:11], v[21:22], v[17:18]
	v_mul_f64 v[17:18], v[19:20], v[17:18]
	v_fma_f64 v[10:11], v[19:20], v[15:16], -v[10:11]
	s_delay_alu instid0(VALU_DEP_2) | instskip(NEXT) | instid1(VALU_DEP_2)
	v_fma_f64 v[15:16], v[21:22], v[15:16], v[17:18]
	v_add_f64 v[3:4], v[3:4], v[10:11]
	s_delay_alu instid0(VALU_DEP_2)
	v_add_f64 v[1:2], v[1:2], v[15:16]
	s_and_not1_b32 exec_lo, exec_lo, s3
	s_cbranch_execnz .LBB90_29
; %bb.30:
	s_or_b32 exec_lo, exec_lo, s3
	v_mov_b32_e32 v7, 0
	ds_load_b128 v[7:10], v7 offset:64
	s_waitcnt lgkmcnt(0)
	v_mul_f64 v[11:12], v[1:2], v[9:10]
	v_mul_f64 v[15:16], v[3:4], v[9:10]
	s_delay_alu instid0(VALU_DEP_2) | instskip(NEXT) | instid1(VALU_DEP_2)
	v_fma_f64 v[9:10], v[3:4], v[7:8], -v[11:12]
	v_fma_f64 v[11:12], v[1:2], v[7:8], v[15:16]
	scratch_store_b128 off, v[9:12], off offset:64
.LBB90_31:
	s_or_b32 exec_lo, exec_lo, s2
	s_waitcnt_vscnt null, 0x0
	s_barrier
	buffer_gl0_inv
	scratch_load_b128 v[1:4], v106, off
	s_mov_b32 s2, exec_lo
	s_waitcnt vmcnt(0)
	ds_store_b128 v5, v[1:4]
	s_waitcnt lgkmcnt(0)
	s_barrier
	buffer_gl0_inv
	v_cmpx_gt_u32_e32 5, v92
	s_cbranch_execz .LBB90_35
; %bb.32:
	v_dual_mov_b32 v1, 0 :: v_dual_add_nc_u32 v8, 0x1b0, v13
	v_dual_mov_b32 v2, 0 :: v_dual_add_nc_u32 v7, -1, v92
	v_or_b32_e32 v9, 8, v14
	s_mov_b32 s3, 0
	s_delay_alu instid0(VALU_DEP_2)
	v_dual_mov_b32 v4, v2 :: v_dual_mov_b32 v3, v1
	.p2align	6
.LBB90_33:                              ; =>This Inner Loop Header: Depth=1
	scratch_load_b128 v[15:18], v9, off offset:-8
	ds_load_b128 v[19:22], v8
	v_add_nc_u32_e32 v7, 1, v7
	v_add_nc_u32_e32 v8, 16, v8
	;; [unrolled: 1-line block ×3, first 2 shown]
	s_delay_alu instid0(VALU_DEP_3) | instskip(SKIP_4) | instid1(VALU_DEP_2)
	v_cmp_lt_u32_e32 vcc_lo, 3, v7
	s_or_b32 s3, vcc_lo, s3
	s_waitcnt vmcnt(0) lgkmcnt(0)
	v_mul_f64 v[10:11], v[21:22], v[17:18]
	v_mul_f64 v[17:18], v[19:20], v[17:18]
	v_fma_f64 v[10:11], v[19:20], v[15:16], -v[10:11]
	s_delay_alu instid0(VALU_DEP_2) | instskip(NEXT) | instid1(VALU_DEP_2)
	v_fma_f64 v[15:16], v[21:22], v[15:16], v[17:18]
	v_add_f64 v[3:4], v[3:4], v[10:11]
	s_delay_alu instid0(VALU_DEP_2)
	v_add_f64 v[1:2], v[1:2], v[15:16]
	s_and_not1_b32 exec_lo, exec_lo, s3
	s_cbranch_execnz .LBB90_33
; %bb.34:
	s_or_b32 exec_lo, exec_lo, s3
	v_mov_b32_e32 v7, 0
	ds_load_b128 v[7:10], v7 offset:80
	s_waitcnt lgkmcnt(0)
	v_mul_f64 v[11:12], v[1:2], v[9:10]
	v_mul_f64 v[15:16], v[3:4], v[9:10]
	s_delay_alu instid0(VALU_DEP_2) | instskip(NEXT) | instid1(VALU_DEP_2)
	v_fma_f64 v[9:10], v[3:4], v[7:8], -v[11:12]
	v_fma_f64 v[11:12], v[1:2], v[7:8], v[15:16]
	scratch_store_b128 off, v[9:12], off offset:80
.LBB90_35:
	s_or_b32 exec_lo, exec_lo, s2
	s_waitcnt_vscnt null, 0x0
	s_barrier
	buffer_gl0_inv
	scratch_load_b128 v[1:4], v105, off
	s_mov_b32 s2, exec_lo
	s_waitcnt vmcnt(0)
	ds_store_b128 v5, v[1:4]
	s_waitcnt lgkmcnt(0)
	s_barrier
	buffer_gl0_inv
	v_cmpx_gt_u32_e32 6, v92
	s_cbranch_execz .LBB90_39
; %bb.36:
	v_dual_mov_b32 v1, 0 :: v_dual_add_nc_u32 v8, 0x1b0, v13
	v_dual_mov_b32 v2, 0 :: v_dual_add_nc_u32 v7, -1, v92
	v_or_b32_e32 v9, 8, v14
	s_mov_b32 s3, 0
	s_delay_alu instid0(VALU_DEP_2)
	v_dual_mov_b32 v4, v2 :: v_dual_mov_b32 v3, v1
	.p2align	6
.LBB90_37:                              ; =>This Inner Loop Header: Depth=1
	scratch_load_b128 v[15:18], v9, off offset:-8
	ds_load_b128 v[19:22], v8
	v_add_nc_u32_e32 v7, 1, v7
	v_add_nc_u32_e32 v8, 16, v8
	;; [unrolled: 1-line block ×3, first 2 shown]
	s_delay_alu instid0(VALU_DEP_3) | instskip(SKIP_4) | instid1(VALU_DEP_2)
	v_cmp_lt_u32_e32 vcc_lo, 4, v7
	s_or_b32 s3, vcc_lo, s3
	s_waitcnt vmcnt(0) lgkmcnt(0)
	v_mul_f64 v[10:11], v[21:22], v[17:18]
	v_mul_f64 v[17:18], v[19:20], v[17:18]
	v_fma_f64 v[10:11], v[19:20], v[15:16], -v[10:11]
	s_delay_alu instid0(VALU_DEP_2) | instskip(NEXT) | instid1(VALU_DEP_2)
	v_fma_f64 v[15:16], v[21:22], v[15:16], v[17:18]
	v_add_f64 v[3:4], v[3:4], v[10:11]
	s_delay_alu instid0(VALU_DEP_2)
	v_add_f64 v[1:2], v[1:2], v[15:16]
	s_and_not1_b32 exec_lo, exec_lo, s3
	s_cbranch_execnz .LBB90_37
; %bb.38:
	s_or_b32 exec_lo, exec_lo, s3
	v_mov_b32_e32 v7, 0
	ds_load_b128 v[7:10], v7 offset:96
	s_waitcnt lgkmcnt(0)
	v_mul_f64 v[11:12], v[1:2], v[9:10]
	v_mul_f64 v[15:16], v[3:4], v[9:10]
	s_delay_alu instid0(VALU_DEP_2) | instskip(NEXT) | instid1(VALU_DEP_2)
	v_fma_f64 v[9:10], v[3:4], v[7:8], -v[11:12]
	v_fma_f64 v[11:12], v[1:2], v[7:8], v[15:16]
	scratch_store_b128 off, v[9:12], off offset:96
.LBB90_39:
	s_or_b32 exec_lo, exec_lo, s2
	s_waitcnt_vscnt null, 0x0
	s_barrier
	buffer_gl0_inv
	scratch_load_b128 v[1:4], v104, off
	s_mov_b32 s2, exec_lo
	s_waitcnt vmcnt(0)
	ds_store_b128 v5, v[1:4]
	s_waitcnt lgkmcnt(0)
	s_barrier
	buffer_gl0_inv
	v_cmpx_gt_u32_e32 7, v92
	s_cbranch_execz .LBB90_43
; %bb.40:
	v_dual_mov_b32 v1, 0 :: v_dual_add_nc_u32 v8, 0x1b0, v13
	v_dual_mov_b32 v2, 0 :: v_dual_add_nc_u32 v7, -1, v92
	v_or_b32_e32 v9, 8, v14
	s_mov_b32 s3, 0
	s_delay_alu instid0(VALU_DEP_2)
	v_dual_mov_b32 v4, v2 :: v_dual_mov_b32 v3, v1
	.p2align	6
.LBB90_41:                              ; =>This Inner Loop Header: Depth=1
	scratch_load_b128 v[15:18], v9, off offset:-8
	ds_load_b128 v[19:22], v8
	v_add_nc_u32_e32 v7, 1, v7
	v_add_nc_u32_e32 v8, 16, v8
	;; [unrolled: 1-line block ×3, first 2 shown]
	s_delay_alu instid0(VALU_DEP_3) | instskip(SKIP_4) | instid1(VALU_DEP_2)
	v_cmp_lt_u32_e32 vcc_lo, 5, v7
	s_or_b32 s3, vcc_lo, s3
	s_waitcnt vmcnt(0) lgkmcnt(0)
	v_mul_f64 v[10:11], v[21:22], v[17:18]
	v_mul_f64 v[17:18], v[19:20], v[17:18]
	v_fma_f64 v[10:11], v[19:20], v[15:16], -v[10:11]
	s_delay_alu instid0(VALU_DEP_2) | instskip(NEXT) | instid1(VALU_DEP_2)
	v_fma_f64 v[15:16], v[21:22], v[15:16], v[17:18]
	v_add_f64 v[3:4], v[3:4], v[10:11]
	s_delay_alu instid0(VALU_DEP_2)
	v_add_f64 v[1:2], v[1:2], v[15:16]
	s_and_not1_b32 exec_lo, exec_lo, s3
	s_cbranch_execnz .LBB90_41
; %bb.42:
	s_or_b32 exec_lo, exec_lo, s3
	v_mov_b32_e32 v7, 0
	ds_load_b128 v[7:10], v7 offset:112
	s_waitcnt lgkmcnt(0)
	v_mul_f64 v[11:12], v[1:2], v[9:10]
	v_mul_f64 v[15:16], v[3:4], v[9:10]
	s_delay_alu instid0(VALU_DEP_2) | instskip(NEXT) | instid1(VALU_DEP_2)
	v_fma_f64 v[9:10], v[3:4], v[7:8], -v[11:12]
	v_fma_f64 v[11:12], v[1:2], v[7:8], v[15:16]
	scratch_store_b128 off, v[9:12], off offset:112
.LBB90_43:
	s_or_b32 exec_lo, exec_lo, s2
	s_waitcnt_vscnt null, 0x0
	s_barrier
	buffer_gl0_inv
	scratch_load_b128 v[1:4], v102, off
	s_mov_b32 s2, exec_lo
	s_waitcnt vmcnt(0)
	ds_store_b128 v5, v[1:4]
	s_waitcnt lgkmcnt(0)
	s_barrier
	buffer_gl0_inv
	v_cmpx_gt_u32_e32 8, v92
	s_cbranch_execz .LBB90_47
; %bb.44:
	v_dual_mov_b32 v1, 0 :: v_dual_add_nc_u32 v8, 0x1b0, v13
	v_dual_mov_b32 v2, 0 :: v_dual_add_nc_u32 v7, -1, v92
	v_or_b32_e32 v9, 8, v14
	s_mov_b32 s3, 0
	s_delay_alu instid0(VALU_DEP_2)
	v_dual_mov_b32 v4, v2 :: v_dual_mov_b32 v3, v1
	.p2align	6
.LBB90_45:                              ; =>This Inner Loop Header: Depth=1
	scratch_load_b128 v[15:18], v9, off offset:-8
	ds_load_b128 v[19:22], v8
	v_add_nc_u32_e32 v7, 1, v7
	v_add_nc_u32_e32 v8, 16, v8
	;; [unrolled: 1-line block ×3, first 2 shown]
	s_delay_alu instid0(VALU_DEP_3) | instskip(SKIP_4) | instid1(VALU_DEP_2)
	v_cmp_lt_u32_e32 vcc_lo, 6, v7
	s_or_b32 s3, vcc_lo, s3
	s_waitcnt vmcnt(0) lgkmcnt(0)
	v_mul_f64 v[10:11], v[21:22], v[17:18]
	v_mul_f64 v[17:18], v[19:20], v[17:18]
	v_fma_f64 v[10:11], v[19:20], v[15:16], -v[10:11]
	s_delay_alu instid0(VALU_DEP_2) | instskip(NEXT) | instid1(VALU_DEP_2)
	v_fma_f64 v[15:16], v[21:22], v[15:16], v[17:18]
	v_add_f64 v[3:4], v[3:4], v[10:11]
	s_delay_alu instid0(VALU_DEP_2)
	v_add_f64 v[1:2], v[1:2], v[15:16]
	s_and_not1_b32 exec_lo, exec_lo, s3
	s_cbranch_execnz .LBB90_45
; %bb.46:
	s_or_b32 exec_lo, exec_lo, s3
	v_mov_b32_e32 v7, 0
	ds_load_b128 v[7:10], v7 offset:128
	s_waitcnt lgkmcnt(0)
	v_mul_f64 v[11:12], v[1:2], v[9:10]
	v_mul_f64 v[15:16], v[3:4], v[9:10]
	s_delay_alu instid0(VALU_DEP_2) | instskip(NEXT) | instid1(VALU_DEP_2)
	v_fma_f64 v[9:10], v[3:4], v[7:8], -v[11:12]
	v_fma_f64 v[11:12], v[1:2], v[7:8], v[15:16]
	scratch_store_b128 off, v[9:12], off offset:128
.LBB90_47:
	s_or_b32 exec_lo, exec_lo, s2
	s_waitcnt_vscnt null, 0x0
	s_barrier
	buffer_gl0_inv
	scratch_load_b128 v[1:4], v103, off
	s_mov_b32 s2, exec_lo
	s_waitcnt vmcnt(0)
	ds_store_b128 v5, v[1:4]
	s_waitcnt lgkmcnt(0)
	s_barrier
	buffer_gl0_inv
	v_cmpx_gt_u32_e32 9, v92
	s_cbranch_execz .LBB90_51
; %bb.48:
	v_dual_mov_b32 v1, 0 :: v_dual_add_nc_u32 v8, 0x1b0, v13
	v_dual_mov_b32 v2, 0 :: v_dual_add_nc_u32 v7, -1, v92
	v_or_b32_e32 v9, 8, v14
	s_mov_b32 s3, 0
	s_delay_alu instid0(VALU_DEP_2)
	v_dual_mov_b32 v4, v2 :: v_dual_mov_b32 v3, v1
	.p2align	6
.LBB90_49:                              ; =>This Inner Loop Header: Depth=1
	scratch_load_b128 v[15:18], v9, off offset:-8
	ds_load_b128 v[19:22], v8
	v_add_nc_u32_e32 v7, 1, v7
	v_add_nc_u32_e32 v8, 16, v8
	;; [unrolled: 1-line block ×3, first 2 shown]
	s_delay_alu instid0(VALU_DEP_3) | instskip(SKIP_4) | instid1(VALU_DEP_2)
	v_cmp_lt_u32_e32 vcc_lo, 7, v7
	s_or_b32 s3, vcc_lo, s3
	s_waitcnt vmcnt(0) lgkmcnt(0)
	v_mul_f64 v[10:11], v[21:22], v[17:18]
	v_mul_f64 v[17:18], v[19:20], v[17:18]
	v_fma_f64 v[10:11], v[19:20], v[15:16], -v[10:11]
	s_delay_alu instid0(VALU_DEP_2) | instskip(NEXT) | instid1(VALU_DEP_2)
	v_fma_f64 v[15:16], v[21:22], v[15:16], v[17:18]
	v_add_f64 v[3:4], v[3:4], v[10:11]
	s_delay_alu instid0(VALU_DEP_2)
	v_add_f64 v[1:2], v[1:2], v[15:16]
	s_and_not1_b32 exec_lo, exec_lo, s3
	s_cbranch_execnz .LBB90_49
; %bb.50:
	s_or_b32 exec_lo, exec_lo, s3
	v_mov_b32_e32 v7, 0
	ds_load_b128 v[7:10], v7 offset:144
	s_waitcnt lgkmcnt(0)
	v_mul_f64 v[11:12], v[1:2], v[9:10]
	v_mul_f64 v[15:16], v[3:4], v[9:10]
	s_delay_alu instid0(VALU_DEP_2) | instskip(NEXT) | instid1(VALU_DEP_2)
	v_fma_f64 v[9:10], v[3:4], v[7:8], -v[11:12]
	v_fma_f64 v[11:12], v[1:2], v[7:8], v[15:16]
	scratch_store_b128 off, v[9:12], off offset:144
.LBB90_51:
	s_or_b32 exec_lo, exec_lo, s2
	s_waitcnt_vscnt null, 0x0
	s_barrier
	buffer_gl0_inv
	scratch_load_b128 v[1:4], v101, off
	s_mov_b32 s2, exec_lo
	s_waitcnt vmcnt(0)
	ds_store_b128 v5, v[1:4]
	s_waitcnt lgkmcnt(0)
	s_barrier
	buffer_gl0_inv
	v_cmpx_gt_u32_e32 10, v92
	s_cbranch_execz .LBB90_55
; %bb.52:
	v_dual_mov_b32 v1, 0 :: v_dual_add_nc_u32 v8, 0x1b0, v13
	v_dual_mov_b32 v2, 0 :: v_dual_add_nc_u32 v7, -1, v92
	v_or_b32_e32 v9, 8, v14
	s_mov_b32 s3, 0
	s_delay_alu instid0(VALU_DEP_2)
	v_dual_mov_b32 v4, v2 :: v_dual_mov_b32 v3, v1
	.p2align	6
.LBB90_53:                              ; =>This Inner Loop Header: Depth=1
	scratch_load_b128 v[15:18], v9, off offset:-8
	ds_load_b128 v[19:22], v8
	v_add_nc_u32_e32 v7, 1, v7
	v_add_nc_u32_e32 v8, 16, v8
	;; [unrolled: 1-line block ×3, first 2 shown]
	s_delay_alu instid0(VALU_DEP_3) | instskip(SKIP_4) | instid1(VALU_DEP_2)
	v_cmp_lt_u32_e32 vcc_lo, 8, v7
	s_or_b32 s3, vcc_lo, s3
	s_waitcnt vmcnt(0) lgkmcnt(0)
	v_mul_f64 v[10:11], v[21:22], v[17:18]
	v_mul_f64 v[17:18], v[19:20], v[17:18]
	v_fma_f64 v[10:11], v[19:20], v[15:16], -v[10:11]
	s_delay_alu instid0(VALU_DEP_2) | instskip(NEXT) | instid1(VALU_DEP_2)
	v_fma_f64 v[15:16], v[21:22], v[15:16], v[17:18]
	v_add_f64 v[3:4], v[3:4], v[10:11]
	s_delay_alu instid0(VALU_DEP_2)
	v_add_f64 v[1:2], v[1:2], v[15:16]
	s_and_not1_b32 exec_lo, exec_lo, s3
	s_cbranch_execnz .LBB90_53
; %bb.54:
	s_or_b32 exec_lo, exec_lo, s3
	v_mov_b32_e32 v7, 0
	ds_load_b128 v[7:10], v7 offset:160
	s_waitcnt lgkmcnt(0)
	v_mul_f64 v[11:12], v[1:2], v[9:10]
	v_mul_f64 v[15:16], v[3:4], v[9:10]
	s_delay_alu instid0(VALU_DEP_2) | instskip(NEXT) | instid1(VALU_DEP_2)
	v_fma_f64 v[9:10], v[3:4], v[7:8], -v[11:12]
	v_fma_f64 v[11:12], v[1:2], v[7:8], v[15:16]
	scratch_store_b128 off, v[9:12], off offset:160
.LBB90_55:
	s_or_b32 exec_lo, exec_lo, s2
	s_waitcnt_vscnt null, 0x0
	s_barrier
	buffer_gl0_inv
	scratch_load_b128 v[1:4], v100, off
	s_mov_b32 s2, exec_lo
	s_waitcnt vmcnt(0)
	ds_store_b128 v5, v[1:4]
	s_waitcnt lgkmcnt(0)
	s_barrier
	buffer_gl0_inv
	v_cmpx_gt_u32_e32 11, v92
	s_cbranch_execz .LBB90_59
; %bb.56:
	v_dual_mov_b32 v1, 0 :: v_dual_add_nc_u32 v8, 0x1b0, v13
	v_dual_mov_b32 v2, 0 :: v_dual_add_nc_u32 v7, -1, v92
	v_or_b32_e32 v9, 8, v14
	s_mov_b32 s3, 0
	s_delay_alu instid0(VALU_DEP_2)
	v_dual_mov_b32 v4, v2 :: v_dual_mov_b32 v3, v1
	.p2align	6
.LBB90_57:                              ; =>This Inner Loop Header: Depth=1
	scratch_load_b128 v[15:18], v9, off offset:-8
	ds_load_b128 v[19:22], v8
	v_add_nc_u32_e32 v7, 1, v7
	v_add_nc_u32_e32 v8, 16, v8
	;; [unrolled: 1-line block ×3, first 2 shown]
	s_delay_alu instid0(VALU_DEP_3) | instskip(SKIP_4) | instid1(VALU_DEP_2)
	v_cmp_lt_u32_e32 vcc_lo, 9, v7
	s_or_b32 s3, vcc_lo, s3
	s_waitcnt vmcnt(0) lgkmcnt(0)
	v_mul_f64 v[10:11], v[21:22], v[17:18]
	v_mul_f64 v[17:18], v[19:20], v[17:18]
	v_fma_f64 v[10:11], v[19:20], v[15:16], -v[10:11]
	s_delay_alu instid0(VALU_DEP_2) | instskip(NEXT) | instid1(VALU_DEP_2)
	v_fma_f64 v[15:16], v[21:22], v[15:16], v[17:18]
	v_add_f64 v[3:4], v[3:4], v[10:11]
	s_delay_alu instid0(VALU_DEP_2)
	v_add_f64 v[1:2], v[1:2], v[15:16]
	s_and_not1_b32 exec_lo, exec_lo, s3
	s_cbranch_execnz .LBB90_57
; %bb.58:
	s_or_b32 exec_lo, exec_lo, s3
	v_mov_b32_e32 v7, 0
	ds_load_b128 v[7:10], v7 offset:176
	s_waitcnt lgkmcnt(0)
	v_mul_f64 v[11:12], v[1:2], v[9:10]
	v_mul_f64 v[15:16], v[3:4], v[9:10]
	s_delay_alu instid0(VALU_DEP_2) | instskip(NEXT) | instid1(VALU_DEP_2)
	v_fma_f64 v[9:10], v[3:4], v[7:8], -v[11:12]
	v_fma_f64 v[11:12], v[1:2], v[7:8], v[15:16]
	scratch_store_b128 off, v[9:12], off offset:176
.LBB90_59:
	s_or_b32 exec_lo, exec_lo, s2
	s_waitcnt_vscnt null, 0x0
	s_barrier
	buffer_gl0_inv
	scratch_load_b128 v[1:4], v98, off
	s_mov_b32 s2, exec_lo
	s_waitcnt vmcnt(0)
	ds_store_b128 v5, v[1:4]
	s_waitcnt lgkmcnt(0)
	s_barrier
	buffer_gl0_inv
	v_cmpx_gt_u32_e32 12, v92
	s_cbranch_execz .LBB90_63
; %bb.60:
	v_dual_mov_b32 v1, 0 :: v_dual_add_nc_u32 v8, 0x1b0, v13
	v_dual_mov_b32 v2, 0 :: v_dual_add_nc_u32 v7, -1, v92
	v_or_b32_e32 v9, 8, v14
	s_mov_b32 s3, 0
	s_delay_alu instid0(VALU_DEP_2)
	v_dual_mov_b32 v4, v2 :: v_dual_mov_b32 v3, v1
	.p2align	6
.LBB90_61:                              ; =>This Inner Loop Header: Depth=1
	scratch_load_b128 v[15:18], v9, off offset:-8
	ds_load_b128 v[19:22], v8
	v_add_nc_u32_e32 v7, 1, v7
	v_add_nc_u32_e32 v8, 16, v8
	;; [unrolled: 1-line block ×3, first 2 shown]
	s_delay_alu instid0(VALU_DEP_3) | instskip(SKIP_4) | instid1(VALU_DEP_2)
	v_cmp_lt_u32_e32 vcc_lo, 10, v7
	s_or_b32 s3, vcc_lo, s3
	s_waitcnt vmcnt(0) lgkmcnt(0)
	v_mul_f64 v[10:11], v[21:22], v[17:18]
	v_mul_f64 v[17:18], v[19:20], v[17:18]
	v_fma_f64 v[10:11], v[19:20], v[15:16], -v[10:11]
	s_delay_alu instid0(VALU_DEP_2) | instskip(NEXT) | instid1(VALU_DEP_2)
	v_fma_f64 v[15:16], v[21:22], v[15:16], v[17:18]
	v_add_f64 v[3:4], v[3:4], v[10:11]
	s_delay_alu instid0(VALU_DEP_2)
	v_add_f64 v[1:2], v[1:2], v[15:16]
	s_and_not1_b32 exec_lo, exec_lo, s3
	s_cbranch_execnz .LBB90_61
; %bb.62:
	s_or_b32 exec_lo, exec_lo, s3
	v_mov_b32_e32 v7, 0
	ds_load_b128 v[7:10], v7 offset:192
	s_waitcnt lgkmcnt(0)
	v_mul_f64 v[11:12], v[1:2], v[9:10]
	v_mul_f64 v[15:16], v[3:4], v[9:10]
	s_delay_alu instid0(VALU_DEP_2) | instskip(NEXT) | instid1(VALU_DEP_2)
	v_fma_f64 v[9:10], v[3:4], v[7:8], -v[11:12]
	v_fma_f64 v[11:12], v[1:2], v[7:8], v[15:16]
	scratch_store_b128 off, v[9:12], off offset:192
.LBB90_63:
	s_or_b32 exec_lo, exec_lo, s2
	s_waitcnt_vscnt null, 0x0
	s_barrier
	buffer_gl0_inv
	scratch_load_b128 v[1:4], v99, off
	s_mov_b32 s2, exec_lo
	s_waitcnt vmcnt(0)
	ds_store_b128 v5, v[1:4]
	s_waitcnt lgkmcnt(0)
	s_barrier
	buffer_gl0_inv
	v_cmpx_gt_u32_e32 13, v92
	s_cbranch_execz .LBB90_67
; %bb.64:
	v_dual_mov_b32 v1, 0 :: v_dual_add_nc_u32 v8, 0x1b0, v13
	v_dual_mov_b32 v2, 0 :: v_dual_add_nc_u32 v7, -1, v92
	v_or_b32_e32 v9, 8, v14
	s_mov_b32 s3, 0
	s_delay_alu instid0(VALU_DEP_2)
	v_dual_mov_b32 v4, v2 :: v_dual_mov_b32 v3, v1
	.p2align	6
.LBB90_65:                              ; =>This Inner Loop Header: Depth=1
	scratch_load_b128 v[15:18], v9, off offset:-8
	ds_load_b128 v[19:22], v8
	v_add_nc_u32_e32 v7, 1, v7
	v_add_nc_u32_e32 v8, 16, v8
	;; [unrolled: 1-line block ×3, first 2 shown]
	s_delay_alu instid0(VALU_DEP_3) | instskip(SKIP_4) | instid1(VALU_DEP_2)
	v_cmp_lt_u32_e32 vcc_lo, 11, v7
	s_or_b32 s3, vcc_lo, s3
	s_waitcnt vmcnt(0) lgkmcnt(0)
	v_mul_f64 v[10:11], v[21:22], v[17:18]
	v_mul_f64 v[17:18], v[19:20], v[17:18]
	v_fma_f64 v[10:11], v[19:20], v[15:16], -v[10:11]
	s_delay_alu instid0(VALU_DEP_2) | instskip(NEXT) | instid1(VALU_DEP_2)
	v_fma_f64 v[15:16], v[21:22], v[15:16], v[17:18]
	v_add_f64 v[3:4], v[3:4], v[10:11]
	s_delay_alu instid0(VALU_DEP_2)
	v_add_f64 v[1:2], v[1:2], v[15:16]
	s_and_not1_b32 exec_lo, exec_lo, s3
	s_cbranch_execnz .LBB90_65
; %bb.66:
	s_or_b32 exec_lo, exec_lo, s3
	v_mov_b32_e32 v7, 0
	ds_load_b128 v[7:10], v7 offset:208
	s_waitcnt lgkmcnt(0)
	v_mul_f64 v[11:12], v[1:2], v[9:10]
	v_mul_f64 v[15:16], v[3:4], v[9:10]
	s_delay_alu instid0(VALU_DEP_2) | instskip(NEXT) | instid1(VALU_DEP_2)
	v_fma_f64 v[9:10], v[3:4], v[7:8], -v[11:12]
	v_fma_f64 v[11:12], v[1:2], v[7:8], v[15:16]
	scratch_store_b128 off, v[9:12], off offset:208
.LBB90_67:
	s_or_b32 exec_lo, exec_lo, s2
	s_waitcnt_vscnt null, 0x0
	s_barrier
	buffer_gl0_inv
	scratch_load_b128 v[1:4], v97, off
	s_mov_b32 s2, exec_lo
	s_waitcnt vmcnt(0)
	ds_store_b128 v5, v[1:4]
	s_waitcnt lgkmcnt(0)
	s_barrier
	buffer_gl0_inv
	v_cmpx_gt_u32_e32 14, v92
	s_cbranch_execz .LBB90_71
; %bb.68:
	v_dual_mov_b32 v1, 0 :: v_dual_add_nc_u32 v8, 0x1b0, v13
	v_dual_mov_b32 v2, 0 :: v_dual_add_nc_u32 v7, -1, v92
	v_or_b32_e32 v9, 8, v14
	s_mov_b32 s3, 0
	s_delay_alu instid0(VALU_DEP_2)
	v_dual_mov_b32 v4, v2 :: v_dual_mov_b32 v3, v1
	.p2align	6
.LBB90_69:                              ; =>This Inner Loop Header: Depth=1
	scratch_load_b128 v[15:18], v9, off offset:-8
	ds_load_b128 v[19:22], v8
	v_add_nc_u32_e32 v7, 1, v7
	v_add_nc_u32_e32 v8, 16, v8
	;; [unrolled: 1-line block ×3, first 2 shown]
	s_delay_alu instid0(VALU_DEP_3) | instskip(SKIP_4) | instid1(VALU_DEP_2)
	v_cmp_lt_u32_e32 vcc_lo, 12, v7
	s_or_b32 s3, vcc_lo, s3
	s_waitcnt vmcnt(0) lgkmcnt(0)
	v_mul_f64 v[10:11], v[21:22], v[17:18]
	v_mul_f64 v[17:18], v[19:20], v[17:18]
	v_fma_f64 v[10:11], v[19:20], v[15:16], -v[10:11]
	s_delay_alu instid0(VALU_DEP_2) | instskip(NEXT) | instid1(VALU_DEP_2)
	v_fma_f64 v[15:16], v[21:22], v[15:16], v[17:18]
	v_add_f64 v[3:4], v[3:4], v[10:11]
	s_delay_alu instid0(VALU_DEP_2)
	v_add_f64 v[1:2], v[1:2], v[15:16]
	s_and_not1_b32 exec_lo, exec_lo, s3
	s_cbranch_execnz .LBB90_69
; %bb.70:
	s_or_b32 exec_lo, exec_lo, s3
	v_mov_b32_e32 v7, 0
	ds_load_b128 v[7:10], v7 offset:224
	s_waitcnt lgkmcnt(0)
	v_mul_f64 v[11:12], v[1:2], v[9:10]
	v_mul_f64 v[15:16], v[3:4], v[9:10]
	s_delay_alu instid0(VALU_DEP_2) | instskip(NEXT) | instid1(VALU_DEP_2)
	v_fma_f64 v[9:10], v[3:4], v[7:8], -v[11:12]
	v_fma_f64 v[11:12], v[1:2], v[7:8], v[15:16]
	scratch_store_b128 off, v[9:12], off offset:224
.LBB90_71:
	s_or_b32 exec_lo, exec_lo, s2
	s_waitcnt_vscnt null, 0x0
	s_barrier
	buffer_gl0_inv
	scratch_load_b128 v[1:4], v117, off
	s_mov_b32 s2, exec_lo
	s_waitcnt vmcnt(0)
	ds_store_b128 v5, v[1:4]
	s_waitcnt lgkmcnt(0)
	s_barrier
	buffer_gl0_inv
	v_cmpx_gt_u32_e32 15, v92
	s_cbranch_execz .LBB90_75
; %bb.72:
	v_dual_mov_b32 v1, 0 :: v_dual_add_nc_u32 v8, 0x1b0, v13
	v_dual_mov_b32 v2, 0 :: v_dual_add_nc_u32 v7, -1, v92
	v_or_b32_e32 v9, 8, v14
	s_mov_b32 s3, 0
	s_delay_alu instid0(VALU_DEP_2)
	v_dual_mov_b32 v4, v2 :: v_dual_mov_b32 v3, v1
	.p2align	6
.LBB90_73:                              ; =>This Inner Loop Header: Depth=1
	scratch_load_b128 v[15:18], v9, off offset:-8
	ds_load_b128 v[19:22], v8
	v_add_nc_u32_e32 v7, 1, v7
	v_add_nc_u32_e32 v8, 16, v8
	;; [unrolled: 1-line block ×3, first 2 shown]
	s_delay_alu instid0(VALU_DEP_3) | instskip(SKIP_4) | instid1(VALU_DEP_2)
	v_cmp_lt_u32_e32 vcc_lo, 13, v7
	s_or_b32 s3, vcc_lo, s3
	s_waitcnt vmcnt(0) lgkmcnt(0)
	v_mul_f64 v[10:11], v[21:22], v[17:18]
	v_mul_f64 v[17:18], v[19:20], v[17:18]
	v_fma_f64 v[10:11], v[19:20], v[15:16], -v[10:11]
	s_delay_alu instid0(VALU_DEP_2) | instskip(NEXT) | instid1(VALU_DEP_2)
	v_fma_f64 v[15:16], v[21:22], v[15:16], v[17:18]
	v_add_f64 v[3:4], v[3:4], v[10:11]
	s_delay_alu instid0(VALU_DEP_2)
	v_add_f64 v[1:2], v[1:2], v[15:16]
	s_and_not1_b32 exec_lo, exec_lo, s3
	s_cbranch_execnz .LBB90_73
; %bb.74:
	s_or_b32 exec_lo, exec_lo, s3
	v_mov_b32_e32 v7, 0
	ds_load_b128 v[7:10], v7 offset:240
	s_waitcnt lgkmcnt(0)
	v_mul_f64 v[11:12], v[1:2], v[9:10]
	v_mul_f64 v[15:16], v[3:4], v[9:10]
	s_delay_alu instid0(VALU_DEP_2) | instskip(NEXT) | instid1(VALU_DEP_2)
	v_fma_f64 v[9:10], v[3:4], v[7:8], -v[11:12]
	v_fma_f64 v[11:12], v[1:2], v[7:8], v[15:16]
	scratch_store_b128 off, v[9:12], off offset:240
.LBB90_75:
	s_or_b32 exec_lo, exec_lo, s2
	s_waitcnt_vscnt null, 0x0
	s_barrier
	buffer_gl0_inv
	scratch_load_b128 v[1:4], v113, off
	s_mov_b32 s2, exec_lo
	s_waitcnt vmcnt(0)
	ds_store_b128 v5, v[1:4]
	s_waitcnt lgkmcnt(0)
	s_barrier
	buffer_gl0_inv
	v_cmpx_gt_u32_e32 16, v92
	s_cbranch_execz .LBB90_79
; %bb.76:
	v_dual_mov_b32 v1, 0 :: v_dual_add_nc_u32 v8, 0x1b0, v13
	v_dual_mov_b32 v2, 0 :: v_dual_add_nc_u32 v7, -1, v92
	v_or_b32_e32 v9, 8, v14
	s_mov_b32 s3, 0
	s_delay_alu instid0(VALU_DEP_2)
	v_dual_mov_b32 v4, v2 :: v_dual_mov_b32 v3, v1
	.p2align	6
.LBB90_77:                              ; =>This Inner Loop Header: Depth=1
	scratch_load_b128 v[15:18], v9, off offset:-8
	ds_load_b128 v[19:22], v8
	v_add_nc_u32_e32 v7, 1, v7
	v_add_nc_u32_e32 v8, 16, v8
	;; [unrolled: 1-line block ×3, first 2 shown]
	s_delay_alu instid0(VALU_DEP_3) | instskip(SKIP_4) | instid1(VALU_DEP_2)
	v_cmp_lt_u32_e32 vcc_lo, 14, v7
	s_or_b32 s3, vcc_lo, s3
	s_waitcnt vmcnt(0) lgkmcnt(0)
	v_mul_f64 v[10:11], v[21:22], v[17:18]
	v_mul_f64 v[17:18], v[19:20], v[17:18]
	v_fma_f64 v[10:11], v[19:20], v[15:16], -v[10:11]
	s_delay_alu instid0(VALU_DEP_2) | instskip(NEXT) | instid1(VALU_DEP_2)
	v_fma_f64 v[15:16], v[21:22], v[15:16], v[17:18]
	v_add_f64 v[3:4], v[3:4], v[10:11]
	s_delay_alu instid0(VALU_DEP_2)
	v_add_f64 v[1:2], v[1:2], v[15:16]
	s_and_not1_b32 exec_lo, exec_lo, s3
	s_cbranch_execnz .LBB90_77
; %bb.78:
	s_or_b32 exec_lo, exec_lo, s3
	v_mov_b32_e32 v7, 0
	ds_load_b128 v[7:10], v7 offset:256
	s_waitcnt lgkmcnt(0)
	v_mul_f64 v[11:12], v[1:2], v[9:10]
	v_mul_f64 v[15:16], v[3:4], v[9:10]
	s_delay_alu instid0(VALU_DEP_2) | instskip(NEXT) | instid1(VALU_DEP_2)
	v_fma_f64 v[9:10], v[3:4], v[7:8], -v[11:12]
	v_fma_f64 v[11:12], v[1:2], v[7:8], v[15:16]
	scratch_store_b128 off, v[9:12], off offset:256
.LBB90_79:
	s_or_b32 exec_lo, exec_lo, s2
	s_waitcnt_vscnt null, 0x0
	s_barrier
	buffer_gl0_inv
	scratch_load_b128 v[1:4], v112, off
	s_mov_b32 s2, exec_lo
	s_waitcnt vmcnt(0)
	ds_store_b128 v5, v[1:4]
	s_waitcnt lgkmcnt(0)
	s_barrier
	buffer_gl0_inv
	v_cmpx_gt_u32_e32 17, v92
	s_cbranch_execz .LBB90_83
; %bb.80:
	v_dual_mov_b32 v1, 0 :: v_dual_add_nc_u32 v8, 0x1b0, v13
	v_dual_mov_b32 v2, 0 :: v_dual_add_nc_u32 v7, -1, v92
	v_or_b32_e32 v9, 8, v14
	s_mov_b32 s3, 0
	s_delay_alu instid0(VALU_DEP_2)
	v_dual_mov_b32 v4, v2 :: v_dual_mov_b32 v3, v1
	.p2align	6
.LBB90_81:                              ; =>This Inner Loop Header: Depth=1
	scratch_load_b128 v[15:18], v9, off offset:-8
	ds_load_b128 v[19:22], v8
	v_add_nc_u32_e32 v7, 1, v7
	v_add_nc_u32_e32 v8, 16, v8
	;; [unrolled: 1-line block ×3, first 2 shown]
	s_delay_alu instid0(VALU_DEP_3) | instskip(SKIP_4) | instid1(VALU_DEP_2)
	v_cmp_lt_u32_e32 vcc_lo, 15, v7
	s_or_b32 s3, vcc_lo, s3
	s_waitcnt vmcnt(0) lgkmcnt(0)
	v_mul_f64 v[10:11], v[21:22], v[17:18]
	v_mul_f64 v[17:18], v[19:20], v[17:18]
	v_fma_f64 v[10:11], v[19:20], v[15:16], -v[10:11]
	s_delay_alu instid0(VALU_DEP_2) | instskip(NEXT) | instid1(VALU_DEP_2)
	v_fma_f64 v[15:16], v[21:22], v[15:16], v[17:18]
	v_add_f64 v[3:4], v[3:4], v[10:11]
	s_delay_alu instid0(VALU_DEP_2)
	v_add_f64 v[1:2], v[1:2], v[15:16]
	s_and_not1_b32 exec_lo, exec_lo, s3
	s_cbranch_execnz .LBB90_81
; %bb.82:
	s_or_b32 exec_lo, exec_lo, s3
	v_mov_b32_e32 v7, 0
	ds_load_b128 v[7:10], v7 offset:272
	s_waitcnt lgkmcnt(0)
	v_mul_f64 v[11:12], v[1:2], v[9:10]
	v_mul_f64 v[15:16], v[3:4], v[9:10]
	s_delay_alu instid0(VALU_DEP_2) | instskip(NEXT) | instid1(VALU_DEP_2)
	v_fma_f64 v[9:10], v[3:4], v[7:8], -v[11:12]
	v_fma_f64 v[11:12], v[1:2], v[7:8], v[15:16]
	scratch_store_b128 off, v[9:12], off offset:272
.LBB90_83:
	s_or_b32 exec_lo, exec_lo, s2
	s_waitcnt_vscnt null, 0x0
	s_barrier
	buffer_gl0_inv
	scratch_load_b128 v[1:4], v109, off
	s_mov_b32 s2, exec_lo
	s_waitcnt vmcnt(0)
	ds_store_b128 v5, v[1:4]
	s_waitcnt lgkmcnt(0)
	s_barrier
	buffer_gl0_inv
	v_cmpx_gt_u32_e32 18, v92
	s_cbranch_execz .LBB90_87
; %bb.84:
	v_dual_mov_b32 v1, 0 :: v_dual_add_nc_u32 v8, 0x1b0, v13
	v_dual_mov_b32 v2, 0 :: v_dual_add_nc_u32 v7, -1, v92
	v_or_b32_e32 v9, 8, v14
	s_mov_b32 s3, 0
	s_delay_alu instid0(VALU_DEP_2)
	v_dual_mov_b32 v4, v2 :: v_dual_mov_b32 v3, v1
	.p2align	6
.LBB90_85:                              ; =>This Inner Loop Header: Depth=1
	scratch_load_b128 v[15:18], v9, off offset:-8
	ds_load_b128 v[19:22], v8
	v_add_nc_u32_e32 v7, 1, v7
	v_add_nc_u32_e32 v8, 16, v8
	;; [unrolled: 1-line block ×3, first 2 shown]
	s_delay_alu instid0(VALU_DEP_3) | instskip(SKIP_4) | instid1(VALU_DEP_2)
	v_cmp_lt_u32_e32 vcc_lo, 16, v7
	s_or_b32 s3, vcc_lo, s3
	s_waitcnt vmcnt(0) lgkmcnt(0)
	v_mul_f64 v[10:11], v[21:22], v[17:18]
	v_mul_f64 v[17:18], v[19:20], v[17:18]
	v_fma_f64 v[10:11], v[19:20], v[15:16], -v[10:11]
	s_delay_alu instid0(VALU_DEP_2) | instskip(NEXT) | instid1(VALU_DEP_2)
	v_fma_f64 v[15:16], v[21:22], v[15:16], v[17:18]
	v_add_f64 v[3:4], v[3:4], v[10:11]
	s_delay_alu instid0(VALU_DEP_2)
	v_add_f64 v[1:2], v[1:2], v[15:16]
	s_and_not1_b32 exec_lo, exec_lo, s3
	s_cbranch_execnz .LBB90_85
; %bb.86:
	s_or_b32 exec_lo, exec_lo, s3
	v_mov_b32_e32 v7, 0
	ds_load_b128 v[7:10], v7 offset:288
	s_waitcnt lgkmcnt(0)
	v_mul_f64 v[11:12], v[1:2], v[9:10]
	v_mul_f64 v[15:16], v[3:4], v[9:10]
	s_delay_alu instid0(VALU_DEP_2) | instskip(NEXT) | instid1(VALU_DEP_2)
	v_fma_f64 v[9:10], v[3:4], v[7:8], -v[11:12]
	v_fma_f64 v[11:12], v[1:2], v[7:8], v[15:16]
	scratch_store_b128 off, v[9:12], off offset:288
.LBB90_87:
	s_or_b32 exec_lo, exec_lo, s2
	s_waitcnt_vscnt null, 0x0
	s_barrier
	buffer_gl0_inv
	scratch_load_b128 v[1:4], v108, off
	s_mov_b32 s2, exec_lo
	s_waitcnt vmcnt(0)
	ds_store_b128 v5, v[1:4]
	s_waitcnt lgkmcnt(0)
	s_barrier
	buffer_gl0_inv
	v_cmpx_gt_u32_e32 19, v92
	s_cbranch_execz .LBB90_91
; %bb.88:
	v_dual_mov_b32 v1, 0 :: v_dual_add_nc_u32 v8, 0x1b0, v13
	v_dual_mov_b32 v2, 0 :: v_dual_add_nc_u32 v7, -1, v92
	v_or_b32_e32 v9, 8, v14
	s_mov_b32 s3, 0
	s_delay_alu instid0(VALU_DEP_2)
	v_dual_mov_b32 v4, v2 :: v_dual_mov_b32 v3, v1
	.p2align	6
.LBB90_89:                              ; =>This Inner Loop Header: Depth=1
	scratch_load_b128 v[15:18], v9, off offset:-8
	ds_load_b128 v[19:22], v8
	v_add_nc_u32_e32 v7, 1, v7
	v_add_nc_u32_e32 v8, 16, v8
	;; [unrolled: 1-line block ×3, first 2 shown]
	s_delay_alu instid0(VALU_DEP_3) | instskip(SKIP_4) | instid1(VALU_DEP_2)
	v_cmp_lt_u32_e32 vcc_lo, 17, v7
	s_or_b32 s3, vcc_lo, s3
	s_waitcnt vmcnt(0) lgkmcnt(0)
	v_mul_f64 v[10:11], v[21:22], v[17:18]
	v_mul_f64 v[17:18], v[19:20], v[17:18]
	v_fma_f64 v[10:11], v[19:20], v[15:16], -v[10:11]
	s_delay_alu instid0(VALU_DEP_2) | instskip(NEXT) | instid1(VALU_DEP_2)
	v_fma_f64 v[15:16], v[21:22], v[15:16], v[17:18]
	v_add_f64 v[3:4], v[3:4], v[10:11]
	s_delay_alu instid0(VALU_DEP_2)
	v_add_f64 v[1:2], v[1:2], v[15:16]
	s_and_not1_b32 exec_lo, exec_lo, s3
	s_cbranch_execnz .LBB90_89
; %bb.90:
	s_or_b32 exec_lo, exec_lo, s3
	v_mov_b32_e32 v7, 0
	ds_load_b128 v[7:10], v7 offset:304
	s_waitcnt lgkmcnt(0)
	v_mul_f64 v[11:12], v[1:2], v[9:10]
	v_mul_f64 v[15:16], v[3:4], v[9:10]
	s_delay_alu instid0(VALU_DEP_2) | instskip(NEXT) | instid1(VALU_DEP_2)
	v_fma_f64 v[9:10], v[3:4], v[7:8], -v[11:12]
	v_fma_f64 v[11:12], v[1:2], v[7:8], v[15:16]
	scratch_store_b128 off, v[9:12], off offset:304
.LBB90_91:
	s_or_b32 exec_lo, exec_lo, s2
	s_waitcnt_vscnt null, 0x0
	s_barrier
	buffer_gl0_inv
	scratch_load_b128 v[1:4], v107, off
	s_mov_b32 s2, exec_lo
	s_waitcnt vmcnt(0)
	ds_store_b128 v5, v[1:4]
	s_waitcnt lgkmcnt(0)
	s_barrier
	buffer_gl0_inv
	v_cmpx_gt_u32_e32 20, v92
	s_cbranch_execz .LBB90_95
; %bb.92:
	v_dual_mov_b32 v1, 0 :: v_dual_add_nc_u32 v8, 0x1b0, v13
	v_dual_mov_b32 v2, 0 :: v_dual_add_nc_u32 v7, -1, v92
	v_or_b32_e32 v9, 8, v14
	s_mov_b32 s3, 0
	s_delay_alu instid0(VALU_DEP_2)
	v_dual_mov_b32 v4, v2 :: v_dual_mov_b32 v3, v1
	.p2align	6
.LBB90_93:                              ; =>This Inner Loop Header: Depth=1
	scratch_load_b128 v[15:18], v9, off offset:-8
	ds_load_b128 v[19:22], v8
	v_add_nc_u32_e32 v7, 1, v7
	v_add_nc_u32_e32 v8, 16, v8
	;; [unrolled: 1-line block ×3, first 2 shown]
	s_delay_alu instid0(VALU_DEP_3) | instskip(SKIP_4) | instid1(VALU_DEP_2)
	v_cmp_lt_u32_e32 vcc_lo, 18, v7
	s_or_b32 s3, vcc_lo, s3
	s_waitcnt vmcnt(0) lgkmcnt(0)
	v_mul_f64 v[10:11], v[21:22], v[17:18]
	v_mul_f64 v[17:18], v[19:20], v[17:18]
	v_fma_f64 v[10:11], v[19:20], v[15:16], -v[10:11]
	s_delay_alu instid0(VALU_DEP_2) | instskip(NEXT) | instid1(VALU_DEP_2)
	v_fma_f64 v[15:16], v[21:22], v[15:16], v[17:18]
	v_add_f64 v[3:4], v[3:4], v[10:11]
	s_delay_alu instid0(VALU_DEP_2)
	v_add_f64 v[1:2], v[1:2], v[15:16]
	s_and_not1_b32 exec_lo, exec_lo, s3
	s_cbranch_execnz .LBB90_93
; %bb.94:
	s_or_b32 exec_lo, exec_lo, s3
	v_mov_b32_e32 v7, 0
	ds_load_b128 v[7:10], v7 offset:320
	s_waitcnt lgkmcnt(0)
	v_mul_f64 v[11:12], v[1:2], v[9:10]
	v_mul_f64 v[15:16], v[3:4], v[9:10]
	s_delay_alu instid0(VALU_DEP_2) | instskip(NEXT) | instid1(VALU_DEP_2)
	v_fma_f64 v[9:10], v[3:4], v[7:8], -v[11:12]
	v_fma_f64 v[11:12], v[1:2], v[7:8], v[15:16]
	scratch_store_b128 off, v[9:12], off offset:320
.LBB90_95:
	s_or_b32 exec_lo, exec_lo, s2
	s_waitcnt_vscnt null, 0x0
	s_barrier
	buffer_gl0_inv
	scratch_load_b128 v[1:4], v116, off
	s_mov_b32 s2, exec_lo
	s_waitcnt vmcnt(0)
	ds_store_b128 v5, v[1:4]
	s_waitcnt lgkmcnt(0)
	s_barrier
	buffer_gl0_inv
	v_cmpx_gt_u32_e32 21, v92
	s_cbranch_execz .LBB90_99
; %bb.96:
	v_dual_mov_b32 v1, 0 :: v_dual_add_nc_u32 v8, 0x1b0, v13
	v_dual_mov_b32 v2, 0 :: v_dual_add_nc_u32 v7, -1, v92
	v_or_b32_e32 v9, 8, v14
	s_mov_b32 s3, 0
	s_delay_alu instid0(VALU_DEP_2)
	v_dual_mov_b32 v4, v2 :: v_dual_mov_b32 v3, v1
	.p2align	6
.LBB90_97:                              ; =>This Inner Loop Header: Depth=1
	scratch_load_b128 v[15:18], v9, off offset:-8
	ds_load_b128 v[19:22], v8
	v_add_nc_u32_e32 v7, 1, v7
	v_add_nc_u32_e32 v8, 16, v8
	;; [unrolled: 1-line block ×3, first 2 shown]
	s_delay_alu instid0(VALU_DEP_3) | instskip(SKIP_4) | instid1(VALU_DEP_2)
	v_cmp_lt_u32_e32 vcc_lo, 19, v7
	s_or_b32 s3, vcc_lo, s3
	s_waitcnt vmcnt(0) lgkmcnt(0)
	v_mul_f64 v[10:11], v[21:22], v[17:18]
	v_mul_f64 v[17:18], v[19:20], v[17:18]
	v_fma_f64 v[10:11], v[19:20], v[15:16], -v[10:11]
	s_delay_alu instid0(VALU_DEP_2) | instskip(NEXT) | instid1(VALU_DEP_2)
	v_fma_f64 v[15:16], v[21:22], v[15:16], v[17:18]
	v_add_f64 v[3:4], v[3:4], v[10:11]
	s_delay_alu instid0(VALU_DEP_2)
	v_add_f64 v[1:2], v[1:2], v[15:16]
	s_and_not1_b32 exec_lo, exec_lo, s3
	s_cbranch_execnz .LBB90_97
; %bb.98:
	s_or_b32 exec_lo, exec_lo, s3
	v_mov_b32_e32 v7, 0
	ds_load_b128 v[7:10], v7 offset:336
	s_waitcnt lgkmcnt(0)
	v_mul_f64 v[11:12], v[1:2], v[9:10]
	v_mul_f64 v[15:16], v[3:4], v[9:10]
	s_delay_alu instid0(VALU_DEP_2) | instskip(NEXT) | instid1(VALU_DEP_2)
	v_fma_f64 v[9:10], v[3:4], v[7:8], -v[11:12]
	v_fma_f64 v[11:12], v[1:2], v[7:8], v[15:16]
	scratch_store_b128 off, v[9:12], off offset:336
.LBB90_99:
	s_or_b32 exec_lo, exec_lo, s2
	s_waitcnt_vscnt null, 0x0
	s_barrier
	buffer_gl0_inv
	scratch_load_b128 v[1:4], v111, off
	s_mov_b32 s2, exec_lo
	s_waitcnt vmcnt(0)
	ds_store_b128 v5, v[1:4]
	s_waitcnt lgkmcnt(0)
	s_barrier
	buffer_gl0_inv
	v_cmpx_gt_u32_e32 22, v92
	s_cbranch_execz .LBB90_103
; %bb.100:
	v_dual_mov_b32 v1, 0 :: v_dual_add_nc_u32 v8, 0x1b0, v13
	v_dual_mov_b32 v2, 0 :: v_dual_add_nc_u32 v7, -1, v92
	v_or_b32_e32 v9, 8, v14
	s_mov_b32 s3, 0
	s_delay_alu instid0(VALU_DEP_2)
	v_dual_mov_b32 v4, v2 :: v_dual_mov_b32 v3, v1
	.p2align	6
.LBB90_101:                             ; =>This Inner Loop Header: Depth=1
	scratch_load_b128 v[15:18], v9, off offset:-8
	ds_load_b128 v[19:22], v8
	v_add_nc_u32_e32 v7, 1, v7
	v_add_nc_u32_e32 v8, 16, v8
	;; [unrolled: 1-line block ×3, first 2 shown]
	s_delay_alu instid0(VALU_DEP_3) | instskip(SKIP_4) | instid1(VALU_DEP_2)
	v_cmp_lt_u32_e32 vcc_lo, 20, v7
	s_or_b32 s3, vcc_lo, s3
	s_waitcnt vmcnt(0) lgkmcnt(0)
	v_mul_f64 v[10:11], v[21:22], v[17:18]
	v_mul_f64 v[17:18], v[19:20], v[17:18]
	v_fma_f64 v[10:11], v[19:20], v[15:16], -v[10:11]
	s_delay_alu instid0(VALU_DEP_2) | instskip(NEXT) | instid1(VALU_DEP_2)
	v_fma_f64 v[15:16], v[21:22], v[15:16], v[17:18]
	v_add_f64 v[3:4], v[3:4], v[10:11]
	s_delay_alu instid0(VALU_DEP_2)
	v_add_f64 v[1:2], v[1:2], v[15:16]
	s_and_not1_b32 exec_lo, exec_lo, s3
	s_cbranch_execnz .LBB90_101
; %bb.102:
	s_or_b32 exec_lo, exec_lo, s3
	v_mov_b32_e32 v7, 0
	ds_load_b128 v[7:10], v7 offset:352
	s_waitcnt lgkmcnt(0)
	v_mul_f64 v[11:12], v[1:2], v[9:10]
	v_mul_f64 v[15:16], v[3:4], v[9:10]
	s_delay_alu instid0(VALU_DEP_2) | instskip(NEXT) | instid1(VALU_DEP_2)
	v_fma_f64 v[9:10], v[3:4], v[7:8], -v[11:12]
	v_fma_f64 v[11:12], v[1:2], v[7:8], v[15:16]
	scratch_store_b128 off, v[9:12], off offset:352
.LBB90_103:
	s_or_b32 exec_lo, exec_lo, s2
	s_waitcnt_vscnt null, 0x0
	s_barrier
	buffer_gl0_inv
	scratch_load_b128 v[1:4], v115, off
	s_mov_b32 s2, exec_lo
	s_waitcnt vmcnt(0)
	ds_store_b128 v5, v[1:4]
	s_waitcnt lgkmcnt(0)
	s_barrier
	buffer_gl0_inv
	v_cmpx_gt_u32_e32 23, v92
	s_cbranch_execz .LBB90_107
; %bb.104:
	v_dual_mov_b32 v1, 0 :: v_dual_add_nc_u32 v8, 0x1b0, v13
	v_dual_mov_b32 v2, 0 :: v_dual_add_nc_u32 v7, -1, v92
	v_or_b32_e32 v9, 8, v14
	s_mov_b32 s3, 0
	s_delay_alu instid0(VALU_DEP_2)
	v_dual_mov_b32 v4, v2 :: v_dual_mov_b32 v3, v1
	.p2align	6
.LBB90_105:                             ; =>This Inner Loop Header: Depth=1
	scratch_load_b128 v[15:18], v9, off offset:-8
	ds_load_b128 v[19:22], v8
	v_add_nc_u32_e32 v7, 1, v7
	v_add_nc_u32_e32 v8, 16, v8
	;; [unrolled: 1-line block ×3, first 2 shown]
	s_delay_alu instid0(VALU_DEP_3) | instskip(SKIP_4) | instid1(VALU_DEP_2)
	v_cmp_lt_u32_e32 vcc_lo, 21, v7
	s_or_b32 s3, vcc_lo, s3
	s_waitcnt vmcnt(0) lgkmcnt(0)
	v_mul_f64 v[10:11], v[21:22], v[17:18]
	v_mul_f64 v[17:18], v[19:20], v[17:18]
	v_fma_f64 v[10:11], v[19:20], v[15:16], -v[10:11]
	s_delay_alu instid0(VALU_DEP_2) | instskip(NEXT) | instid1(VALU_DEP_2)
	v_fma_f64 v[15:16], v[21:22], v[15:16], v[17:18]
	v_add_f64 v[3:4], v[3:4], v[10:11]
	s_delay_alu instid0(VALU_DEP_2)
	v_add_f64 v[1:2], v[1:2], v[15:16]
	s_and_not1_b32 exec_lo, exec_lo, s3
	s_cbranch_execnz .LBB90_105
; %bb.106:
	s_or_b32 exec_lo, exec_lo, s3
	v_mov_b32_e32 v7, 0
	ds_load_b128 v[7:10], v7 offset:368
	s_waitcnt lgkmcnt(0)
	v_mul_f64 v[11:12], v[1:2], v[9:10]
	v_mul_f64 v[15:16], v[3:4], v[9:10]
	s_delay_alu instid0(VALU_DEP_2) | instskip(NEXT) | instid1(VALU_DEP_2)
	v_fma_f64 v[9:10], v[3:4], v[7:8], -v[11:12]
	v_fma_f64 v[11:12], v[1:2], v[7:8], v[15:16]
	scratch_store_b128 off, v[9:12], off offset:368
.LBB90_107:
	s_or_b32 exec_lo, exec_lo, s2
	s_waitcnt_vscnt null, 0x0
	s_barrier
	buffer_gl0_inv
	scratch_load_b128 v[1:4], v110, off
	s_mov_b32 s2, exec_lo
	s_waitcnt vmcnt(0)
	ds_store_b128 v5, v[1:4]
	s_waitcnt lgkmcnt(0)
	s_barrier
	buffer_gl0_inv
	v_cmpx_gt_u32_e32 24, v92
	s_cbranch_execz .LBB90_111
; %bb.108:
	v_dual_mov_b32 v1, 0 :: v_dual_add_nc_u32 v8, 0x1b0, v13
	v_dual_mov_b32 v2, 0 :: v_dual_add_nc_u32 v7, -1, v92
	v_or_b32_e32 v9, 8, v14
	s_mov_b32 s3, 0
	s_delay_alu instid0(VALU_DEP_2)
	v_dual_mov_b32 v4, v2 :: v_dual_mov_b32 v3, v1
	.p2align	6
.LBB90_109:                             ; =>This Inner Loop Header: Depth=1
	scratch_load_b128 v[15:18], v9, off offset:-8
	ds_load_b128 v[19:22], v8
	v_add_nc_u32_e32 v7, 1, v7
	v_add_nc_u32_e32 v8, 16, v8
	;; [unrolled: 1-line block ×3, first 2 shown]
	s_delay_alu instid0(VALU_DEP_3) | instskip(SKIP_4) | instid1(VALU_DEP_2)
	v_cmp_lt_u32_e32 vcc_lo, 22, v7
	s_or_b32 s3, vcc_lo, s3
	s_waitcnt vmcnt(0) lgkmcnt(0)
	v_mul_f64 v[10:11], v[21:22], v[17:18]
	v_mul_f64 v[17:18], v[19:20], v[17:18]
	v_fma_f64 v[10:11], v[19:20], v[15:16], -v[10:11]
	s_delay_alu instid0(VALU_DEP_2) | instskip(NEXT) | instid1(VALU_DEP_2)
	v_fma_f64 v[15:16], v[21:22], v[15:16], v[17:18]
	v_add_f64 v[3:4], v[3:4], v[10:11]
	s_delay_alu instid0(VALU_DEP_2)
	v_add_f64 v[1:2], v[1:2], v[15:16]
	s_and_not1_b32 exec_lo, exec_lo, s3
	s_cbranch_execnz .LBB90_109
; %bb.110:
	s_or_b32 exec_lo, exec_lo, s3
	v_mov_b32_e32 v7, 0
	ds_load_b128 v[7:10], v7 offset:384
	s_waitcnt lgkmcnt(0)
	v_mul_f64 v[11:12], v[1:2], v[9:10]
	v_mul_f64 v[15:16], v[3:4], v[9:10]
	s_delay_alu instid0(VALU_DEP_2) | instskip(NEXT) | instid1(VALU_DEP_2)
	v_fma_f64 v[9:10], v[3:4], v[7:8], -v[11:12]
	v_fma_f64 v[11:12], v[1:2], v[7:8], v[15:16]
	scratch_store_b128 off, v[9:12], off offset:384
.LBB90_111:
	s_or_b32 exec_lo, exec_lo, s2
	s_waitcnt_vscnt null, 0x0
	s_barrier
	buffer_gl0_inv
	scratch_load_b128 v[1:4], v118, off
	s_mov_b32 s2, exec_lo
	s_waitcnt vmcnt(0)
	ds_store_b128 v5, v[1:4]
	s_waitcnt lgkmcnt(0)
	s_barrier
	buffer_gl0_inv
	v_cmpx_gt_u32_e32 25, v92
	s_cbranch_execz .LBB90_115
; %bb.112:
	v_dual_mov_b32 v1, 0 :: v_dual_add_nc_u32 v8, 0x1b0, v13
	v_dual_mov_b32 v2, 0 :: v_dual_add_nc_u32 v7, -1, v92
	v_or_b32_e32 v9, 8, v14
	s_mov_b32 s3, 0
	s_delay_alu instid0(VALU_DEP_2)
	v_dual_mov_b32 v4, v2 :: v_dual_mov_b32 v3, v1
	.p2align	6
.LBB90_113:                             ; =>This Inner Loop Header: Depth=1
	scratch_load_b128 v[10:13], v9, off offset:-8
	ds_load_b128 v[15:18], v8
	v_add_nc_u32_e32 v7, 1, v7
	v_add_nc_u32_e32 v8, 16, v8
	v_add_nc_u32_e32 v9, 16, v9
	s_delay_alu instid0(VALU_DEP_3) | instskip(SKIP_4) | instid1(VALU_DEP_2)
	v_cmp_lt_u32_e32 vcc_lo, 23, v7
	s_or_b32 s3, vcc_lo, s3
	s_waitcnt vmcnt(0) lgkmcnt(0)
	v_mul_f64 v[19:20], v[17:18], v[12:13]
	v_mul_f64 v[12:13], v[15:16], v[12:13]
	v_fma_f64 v[15:16], v[15:16], v[10:11], -v[19:20]
	s_delay_alu instid0(VALU_DEP_2) | instskip(NEXT) | instid1(VALU_DEP_2)
	v_fma_f64 v[10:11], v[17:18], v[10:11], v[12:13]
	v_add_f64 v[3:4], v[3:4], v[15:16]
	s_delay_alu instid0(VALU_DEP_2)
	v_add_f64 v[1:2], v[1:2], v[10:11]
	s_and_not1_b32 exec_lo, exec_lo, s3
	s_cbranch_execnz .LBB90_113
; %bb.114:
	s_or_b32 exec_lo, exec_lo, s3
	v_mov_b32_e32 v7, 0
	ds_load_b128 v[7:10], v7 offset:400
	s_waitcnt lgkmcnt(0)
	v_mul_f64 v[11:12], v[1:2], v[9:10]
	v_mul_f64 v[15:16], v[3:4], v[9:10]
	s_delay_alu instid0(VALU_DEP_2) | instskip(NEXT) | instid1(VALU_DEP_2)
	v_fma_f64 v[9:10], v[3:4], v[7:8], -v[11:12]
	v_fma_f64 v[11:12], v[1:2], v[7:8], v[15:16]
	scratch_store_b128 off, v[9:12], off offset:400
.LBB90_115:
	s_or_b32 exec_lo, exec_lo, s2
	s_waitcnt_vscnt null, 0x0
	s_barrier
	buffer_gl0_inv
	scratch_load_b128 v[1:4], v114, off
	s_mov_b32 s2, exec_lo
	s_waitcnt vmcnt(0)
	ds_store_b128 v5, v[1:4]
	s_waitcnt lgkmcnt(0)
	s_barrier
	buffer_gl0_inv
	v_cmpx_ne_u32_e32 26, v92
	s_cbranch_execz .LBB90_119
; %bb.116:
	v_mov_b32_e32 v1, 0
	v_mov_b32_e32 v2, 0
	v_or_b32_e32 v7, 8, v14
	s_mov_b32 s3, 0
	s_delay_alu instid0(VALU_DEP_2)
	v_dual_mov_b32 v4, v2 :: v_dual_mov_b32 v3, v1
	.p2align	6
.LBB90_117:                             ; =>This Inner Loop Header: Depth=1
	scratch_load_b128 v[8:11], v7, off offset:-8
	ds_load_b128 v[12:15], v5
	v_add_nc_u32_e32 v6, 1, v6
	v_add_nc_u32_e32 v5, 16, v5
	;; [unrolled: 1-line block ×3, first 2 shown]
	s_delay_alu instid0(VALU_DEP_3) | instskip(SKIP_4) | instid1(VALU_DEP_2)
	v_cmp_lt_u32_e32 vcc_lo, 24, v6
	s_or_b32 s3, vcc_lo, s3
	s_waitcnt vmcnt(0) lgkmcnt(0)
	v_mul_f64 v[16:17], v[14:15], v[10:11]
	v_mul_f64 v[10:11], v[12:13], v[10:11]
	v_fma_f64 v[12:13], v[12:13], v[8:9], -v[16:17]
	s_delay_alu instid0(VALU_DEP_2) | instskip(NEXT) | instid1(VALU_DEP_2)
	v_fma_f64 v[8:9], v[14:15], v[8:9], v[10:11]
	v_add_f64 v[3:4], v[3:4], v[12:13]
	s_delay_alu instid0(VALU_DEP_2)
	v_add_f64 v[1:2], v[1:2], v[8:9]
	s_and_not1_b32 exec_lo, exec_lo, s3
	s_cbranch_execnz .LBB90_117
; %bb.118:
	s_or_b32 exec_lo, exec_lo, s3
	v_mov_b32_e32 v5, 0
	ds_load_b128 v[5:8], v5 offset:416
	s_waitcnt lgkmcnt(0)
	v_mul_f64 v[9:10], v[1:2], v[7:8]
	v_mul_f64 v[7:8], v[3:4], v[7:8]
	s_delay_alu instid0(VALU_DEP_2) | instskip(NEXT) | instid1(VALU_DEP_2)
	v_fma_f64 v[3:4], v[3:4], v[5:6], -v[9:10]
	v_fma_f64 v[5:6], v[1:2], v[5:6], v[7:8]
	scratch_store_b128 off, v[3:6], off offset:416
.LBB90_119:
	s_or_b32 exec_lo, exec_lo, s2
	s_mov_b32 s3, -1
	s_waitcnt_vscnt null, 0x0
	s_barrier
	buffer_gl0_inv
.LBB90_120:
	s_and_b32 vcc_lo, exec_lo, s3
	s_cbranch_vccz .LBB90_122
; %bb.121:
	s_lshl_b64 s[2:3], s[10:11], 2
	v_mov_b32_e32 v1, 0
	s_add_u32 s2, s6, s2
	s_addc_u32 s3, s7, s3
	global_load_b32 v1, v1, s[2:3]
	s_waitcnt vmcnt(0)
	v_cmp_ne_u32_e32 vcc_lo, 0, v1
	s_cbranch_vccz .LBB90_123
.LBB90_122:
	s_endpgm
.LBB90_123:
	v_lshl_add_u32 v34, v92, 4, 0x1b0
	s_mov_b32 s2, exec_lo
	v_cmpx_eq_u32_e32 26, v92
	s_cbranch_execz .LBB90_125
; %bb.124:
	scratch_load_b128 v[1:4], v118, off
	v_mov_b32_e32 v5, 0
	s_delay_alu instid0(VALU_DEP_1)
	v_mov_b32_e32 v6, v5
	v_mov_b32_e32 v7, v5
	;; [unrolled: 1-line block ×3, first 2 shown]
	scratch_store_b128 off, v[5:8], off offset:400
	s_waitcnt vmcnt(0)
	ds_store_b128 v34, v[1:4]
.LBB90_125:
	s_or_b32 exec_lo, exec_lo, s2
	s_waitcnt lgkmcnt(0)
	s_waitcnt_vscnt null, 0x0
	s_barrier
	buffer_gl0_inv
	s_clause 0x1
	scratch_load_b128 v[2:5], off, off offset:416
	scratch_load_b128 v[6:9], off, off offset:400
	v_mov_b32_e32 v1, 0
	s_mov_b32 s2, exec_lo
	ds_load_b128 v[10:13], v1 offset:848
	s_waitcnt vmcnt(1) lgkmcnt(0)
	v_mul_f64 v[14:15], v[12:13], v[4:5]
	v_mul_f64 v[4:5], v[10:11], v[4:5]
	s_delay_alu instid0(VALU_DEP_2) | instskip(NEXT) | instid1(VALU_DEP_2)
	v_fma_f64 v[10:11], v[10:11], v[2:3], -v[14:15]
	v_fma_f64 v[2:3], v[12:13], v[2:3], v[4:5]
	s_delay_alu instid0(VALU_DEP_2) | instskip(NEXT) | instid1(VALU_DEP_2)
	v_add_f64 v[4:5], v[10:11], 0
	v_add_f64 v[10:11], v[2:3], 0
	s_waitcnt vmcnt(0)
	s_delay_alu instid0(VALU_DEP_2) | instskip(NEXT) | instid1(VALU_DEP_2)
	v_add_f64 v[2:3], v[6:7], -v[4:5]
	v_add_f64 v[4:5], v[8:9], -v[10:11]
	scratch_store_b128 off, v[2:5], off offset:400
	v_cmpx_lt_u32_e32 24, v92
	s_cbranch_execz .LBB90_127
; %bb.126:
	scratch_load_b128 v[5:8], v110, off
	v_mov_b32_e32 v2, v1
	v_mov_b32_e32 v3, v1
	;; [unrolled: 1-line block ×3, first 2 shown]
	scratch_store_b128 off, v[1:4], off offset:384
	s_waitcnt vmcnt(0)
	ds_store_b128 v34, v[5:8]
.LBB90_127:
	s_or_b32 exec_lo, exec_lo, s2
	s_waitcnt lgkmcnt(0)
	s_waitcnt_vscnt null, 0x0
	s_barrier
	buffer_gl0_inv
	s_clause 0x2
	scratch_load_b128 v[2:5], off, off offset:400
	scratch_load_b128 v[6:9], off, off offset:416
	;; [unrolled: 1-line block ×3, first 2 shown]
	ds_load_b128 v[14:17], v1 offset:832
	ds_load_b128 v[18:21], v1 offset:848
	s_mov_b32 s2, exec_lo
	s_waitcnt vmcnt(2) lgkmcnt(1)
	v_mul_f64 v[22:23], v[16:17], v[4:5]
	v_mul_f64 v[4:5], v[14:15], v[4:5]
	s_waitcnt vmcnt(1) lgkmcnt(0)
	v_mul_f64 v[24:25], v[18:19], v[8:9]
	v_mul_f64 v[8:9], v[20:21], v[8:9]
	s_delay_alu instid0(VALU_DEP_4) | instskip(NEXT) | instid1(VALU_DEP_4)
	v_fma_f64 v[14:15], v[14:15], v[2:3], -v[22:23]
	v_fma_f64 v[1:2], v[16:17], v[2:3], v[4:5]
	s_delay_alu instid0(VALU_DEP_4) | instskip(NEXT) | instid1(VALU_DEP_4)
	v_fma_f64 v[3:4], v[20:21], v[6:7], v[24:25]
	v_fma_f64 v[5:6], v[18:19], v[6:7], -v[8:9]
	s_delay_alu instid0(VALU_DEP_4) | instskip(NEXT) | instid1(VALU_DEP_4)
	v_add_f64 v[7:8], v[14:15], 0
	v_add_f64 v[1:2], v[1:2], 0
	s_delay_alu instid0(VALU_DEP_2) | instskip(NEXT) | instid1(VALU_DEP_2)
	v_add_f64 v[5:6], v[7:8], v[5:6]
	v_add_f64 v[3:4], v[1:2], v[3:4]
	s_waitcnt vmcnt(0)
	s_delay_alu instid0(VALU_DEP_2) | instskip(NEXT) | instid1(VALU_DEP_2)
	v_add_f64 v[1:2], v[10:11], -v[5:6]
	v_add_f64 v[3:4], v[12:13], -v[3:4]
	scratch_store_b128 off, v[1:4], off offset:384
	v_cmpx_lt_u32_e32 23, v92
	s_cbranch_execz .LBB90_129
; %bb.128:
	scratch_load_b128 v[1:4], v115, off
	v_mov_b32_e32 v5, 0
	s_delay_alu instid0(VALU_DEP_1)
	v_mov_b32_e32 v6, v5
	v_mov_b32_e32 v7, v5
	;; [unrolled: 1-line block ×3, first 2 shown]
	scratch_store_b128 off, v[5:8], off offset:368
	s_waitcnt vmcnt(0)
	ds_store_b128 v34, v[1:4]
.LBB90_129:
	s_or_b32 exec_lo, exec_lo, s2
	s_waitcnt lgkmcnt(0)
	s_waitcnt_vscnt null, 0x0
	s_barrier
	buffer_gl0_inv
	s_clause 0x3
	scratch_load_b128 v[2:5], off, off offset:384
	scratch_load_b128 v[6:9], off, off offset:400
	;; [unrolled: 1-line block ×4, first 2 shown]
	v_mov_b32_e32 v1, 0
	ds_load_b128 v[18:21], v1 offset:816
	ds_load_b128 v[22:25], v1 offset:832
	s_mov_b32 s2, exec_lo
	s_waitcnt vmcnt(3) lgkmcnt(1)
	v_mul_f64 v[26:27], v[20:21], v[4:5]
	v_mul_f64 v[4:5], v[18:19], v[4:5]
	s_waitcnt vmcnt(2) lgkmcnt(0)
	v_mul_f64 v[28:29], v[22:23], v[8:9]
	v_mul_f64 v[8:9], v[24:25], v[8:9]
	s_delay_alu instid0(VALU_DEP_4) | instskip(NEXT) | instid1(VALU_DEP_4)
	v_fma_f64 v[18:19], v[18:19], v[2:3], -v[26:27]
	v_fma_f64 v[20:21], v[20:21], v[2:3], v[4:5]
	ds_load_b128 v[2:5], v1 offset:848
	v_fma_f64 v[24:25], v[24:25], v[6:7], v[28:29]
	v_fma_f64 v[6:7], v[22:23], v[6:7], -v[8:9]
	s_waitcnt vmcnt(1) lgkmcnt(0)
	v_mul_f64 v[26:27], v[2:3], v[12:13]
	v_mul_f64 v[12:13], v[4:5], v[12:13]
	v_add_f64 v[8:9], v[18:19], 0
	v_add_f64 v[18:19], v[20:21], 0
	s_delay_alu instid0(VALU_DEP_4) | instskip(NEXT) | instid1(VALU_DEP_4)
	v_fma_f64 v[4:5], v[4:5], v[10:11], v[26:27]
	v_fma_f64 v[2:3], v[2:3], v[10:11], -v[12:13]
	s_delay_alu instid0(VALU_DEP_4) | instskip(NEXT) | instid1(VALU_DEP_4)
	v_add_f64 v[6:7], v[8:9], v[6:7]
	v_add_f64 v[8:9], v[18:19], v[24:25]
	s_delay_alu instid0(VALU_DEP_2) | instskip(NEXT) | instid1(VALU_DEP_2)
	v_add_f64 v[2:3], v[6:7], v[2:3]
	v_add_f64 v[4:5], v[8:9], v[4:5]
	s_waitcnt vmcnt(0)
	s_delay_alu instid0(VALU_DEP_2) | instskip(NEXT) | instid1(VALU_DEP_2)
	v_add_f64 v[2:3], v[14:15], -v[2:3]
	v_add_f64 v[4:5], v[16:17], -v[4:5]
	scratch_store_b128 off, v[2:5], off offset:368
	v_cmpx_lt_u32_e32 22, v92
	s_cbranch_execz .LBB90_131
; %bb.130:
	scratch_load_b128 v[5:8], v111, off
	v_mov_b32_e32 v2, v1
	v_mov_b32_e32 v3, v1
	;; [unrolled: 1-line block ×3, first 2 shown]
	scratch_store_b128 off, v[1:4], off offset:352
	s_waitcnt vmcnt(0)
	ds_store_b128 v34, v[5:8]
.LBB90_131:
	s_or_b32 exec_lo, exec_lo, s2
	s_waitcnt lgkmcnt(0)
	s_waitcnt_vscnt null, 0x0
	s_barrier
	buffer_gl0_inv
	s_clause 0x4
	scratch_load_b128 v[2:5], off, off offset:368
	scratch_load_b128 v[6:9], off, off offset:384
	;; [unrolled: 1-line block ×5, first 2 shown]
	ds_load_b128 v[22:25], v1 offset:800
	ds_load_b128 v[26:29], v1 offset:816
	s_mov_b32 s2, exec_lo
	s_waitcnt vmcnt(4) lgkmcnt(1)
	v_mul_f64 v[30:31], v[24:25], v[4:5]
	v_mul_f64 v[4:5], v[22:23], v[4:5]
	s_waitcnt vmcnt(3) lgkmcnt(0)
	v_mul_f64 v[32:33], v[26:27], v[8:9]
	v_mul_f64 v[8:9], v[28:29], v[8:9]
	s_delay_alu instid0(VALU_DEP_4) | instskip(NEXT) | instid1(VALU_DEP_4)
	v_fma_f64 v[30:31], v[22:23], v[2:3], -v[30:31]
	v_fma_f64 v[35:36], v[24:25], v[2:3], v[4:5]
	ds_load_b128 v[2:5], v1 offset:832
	ds_load_b128 v[22:25], v1 offset:848
	v_fma_f64 v[28:29], v[28:29], v[6:7], v[32:33]
	v_fma_f64 v[6:7], v[26:27], v[6:7], -v[8:9]
	s_waitcnt vmcnt(2) lgkmcnt(1)
	v_mul_f64 v[119:120], v[2:3], v[12:13]
	v_mul_f64 v[12:13], v[4:5], v[12:13]
	v_add_f64 v[8:9], v[30:31], 0
	v_add_f64 v[26:27], v[35:36], 0
	s_waitcnt vmcnt(1) lgkmcnt(0)
	v_mul_f64 v[30:31], v[22:23], v[16:17]
	v_mul_f64 v[16:17], v[24:25], v[16:17]
	v_fma_f64 v[4:5], v[4:5], v[10:11], v[119:120]
	v_fma_f64 v[1:2], v[2:3], v[10:11], -v[12:13]
	v_add_f64 v[6:7], v[8:9], v[6:7]
	v_add_f64 v[8:9], v[26:27], v[28:29]
	v_fma_f64 v[10:11], v[24:25], v[14:15], v[30:31]
	v_fma_f64 v[12:13], v[22:23], v[14:15], -v[16:17]
	s_delay_alu instid0(VALU_DEP_4) | instskip(NEXT) | instid1(VALU_DEP_4)
	v_add_f64 v[1:2], v[6:7], v[1:2]
	v_add_f64 v[3:4], v[8:9], v[4:5]
	s_delay_alu instid0(VALU_DEP_2) | instskip(NEXT) | instid1(VALU_DEP_2)
	v_add_f64 v[1:2], v[1:2], v[12:13]
	v_add_f64 v[3:4], v[3:4], v[10:11]
	s_waitcnt vmcnt(0)
	s_delay_alu instid0(VALU_DEP_2) | instskip(NEXT) | instid1(VALU_DEP_2)
	v_add_f64 v[1:2], v[18:19], -v[1:2]
	v_add_f64 v[3:4], v[20:21], -v[3:4]
	scratch_store_b128 off, v[1:4], off offset:352
	v_cmpx_lt_u32_e32 21, v92
	s_cbranch_execz .LBB90_133
; %bb.132:
	scratch_load_b128 v[1:4], v116, off
	v_mov_b32_e32 v5, 0
	s_delay_alu instid0(VALU_DEP_1)
	v_mov_b32_e32 v6, v5
	v_mov_b32_e32 v7, v5
	;; [unrolled: 1-line block ×3, first 2 shown]
	scratch_store_b128 off, v[5:8], off offset:336
	s_waitcnt vmcnt(0)
	ds_store_b128 v34, v[1:4]
.LBB90_133:
	s_or_b32 exec_lo, exec_lo, s2
	s_waitcnt lgkmcnt(0)
	s_waitcnt_vscnt null, 0x0
	s_barrier
	buffer_gl0_inv
	s_clause 0x5
	scratch_load_b128 v[2:5], off, off offset:352
	scratch_load_b128 v[6:9], off, off offset:368
	;; [unrolled: 1-line block ×6, first 2 shown]
	v_mov_b32_e32 v1, 0
	ds_load_b128 v[26:29], v1 offset:784
	ds_load_b128 v[30:33], v1 offset:800
	s_mov_b32 s2, exec_lo
	s_waitcnt vmcnt(5) lgkmcnt(1)
	v_mul_f64 v[35:36], v[28:29], v[4:5]
	v_mul_f64 v[4:5], v[26:27], v[4:5]
	s_waitcnt vmcnt(4) lgkmcnt(0)
	v_mul_f64 v[119:120], v[30:31], v[8:9]
	v_mul_f64 v[8:9], v[32:33], v[8:9]
	s_delay_alu instid0(VALU_DEP_4) | instskip(NEXT) | instid1(VALU_DEP_4)
	v_fma_f64 v[35:36], v[26:27], v[2:3], -v[35:36]
	v_fma_f64 v[121:122], v[28:29], v[2:3], v[4:5]
	ds_load_b128 v[2:5], v1 offset:816
	ds_load_b128 v[26:29], v1 offset:832
	v_fma_f64 v[32:33], v[32:33], v[6:7], v[119:120]
	v_fma_f64 v[6:7], v[30:31], v[6:7], -v[8:9]
	s_waitcnt vmcnt(3) lgkmcnt(1)
	v_mul_f64 v[123:124], v[2:3], v[12:13]
	v_mul_f64 v[12:13], v[4:5], v[12:13]
	v_add_f64 v[8:9], v[35:36], 0
	v_add_f64 v[30:31], v[121:122], 0
	s_waitcnt vmcnt(2) lgkmcnt(0)
	v_mul_f64 v[35:36], v[26:27], v[16:17]
	v_mul_f64 v[16:17], v[28:29], v[16:17]
	v_fma_f64 v[119:120], v[4:5], v[10:11], v[123:124]
	v_fma_f64 v[10:11], v[2:3], v[10:11], -v[12:13]
	ds_load_b128 v[2:5], v1 offset:848
	v_add_f64 v[6:7], v[8:9], v[6:7]
	v_add_f64 v[8:9], v[30:31], v[32:33]
	v_fma_f64 v[28:29], v[28:29], v[14:15], v[35:36]
	v_fma_f64 v[14:15], v[26:27], v[14:15], -v[16:17]
	s_waitcnt vmcnt(1) lgkmcnt(0)
	v_mul_f64 v[12:13], v[2:3], v[20:21]
	v_mul_f64 v[20:21], v[4:5], v[20:21]
	v_add_f64 v[6:7], v[6:7], v[10:11]
	v_add_f64 v[8:9], v[8:9], v[119:120]
	s_delay_alu instid0(VALU_DEP_4) | instskip(NEXT) | instid1(VALU_DEP_4)
	v_fma_f64 v[4:5], v[4:5], v[18:19], v[12:13]
	v_fma_f64 v[2:3], v[2:3], v[18:19], -v[20:21]
	s_delay_alu instid0(VALU_DEP_4) | instskip(NEXT) | instid1(VALU_DEP_4)
	v_add_f64 v[6:7], v[6:7], v[14:15]
	v_add_f64 v[8:9], v[8:9], v[28:29]
	s_delay_alu instid0(VALU_DEP_2) | instskip(NEXT) | instid1(VALU_DEP_2)
	v_add_f64 v[2:3], v[6:7], v[2:3]
	v_add_f64 v[4:5], v[8:9], v[4:5]
	s_waitcnt vmcnt(0)
	s_delay_alu instid0(VALU_DEP_2) | instskip(NEXT) | instid1(VALU_DEP_2)
	v_add_f64 v[2:3], v[22:23], -v[2:3]
	v_add_f64 v[4:5], v[24:25], -v[4:5]
	scratch_store_b128 off, v[2:5], off offset:336
	v_cmpx_lt_u32_e32 20, v92
	s_cbranch_execz .LBB90_135
; %bb.134:
	scratch_load_b128 v[5:8], v107, off
	v_mov_b32_e32 v2, v1
	v_mov_b32_e32 v3, v1
	;; [unrolled: 1-line block ×3, first 2 shown]
	scratch_store_b128 off, v[1:4], off offset:320
	s_waitcnt vmcnt(0)
	ds_store_b128 v34, v[5:8]
.LBB90_135:
	s_or_b32 exec_lo, exec_lo, s2
	s_waitcnt lgkmcnt(0)
	s_waitcnt_vscnt null, 0x0
	s_barrier
	buffer_gl0_inv
	s_clause 0x5
	scratch_load_b128 v[2:5], off, off offset:336
	scratch_load_b128 v[6:9], off, off offset:352
	;; [unrolled: 1-line block ×6, first 2 shown]
	ds_load_b128 v[26:29], v1 offset:768
	ds_load_b128 v[119:122], v1 offset:784
	scratch_load_b128 v[30:33], off, off offset:320
	s_mov_b32 s2, exec_lo
	s_waitcnt vmcnt(6) lgkmcnt(1)
	v_mul_f64 v[35:36], v[28:29], v[4:5]
	v_mul_f64 v[4:5], v[26:27], v[4:5]
	s_waitcnt vmcnt(5) lgkmcnt(0)
	v_mul_f64 v[123:124], v[119:120], v[8:9]
	v_mul_f64 v[8:9], v[121:122], v[8:9]
	s_delay_alu instid0(VALU_DEP_4) | instskip(NEXT) | instid1(VALU_DEP_4)
	v_fma_f64 v[35:36], v[26:27], v[2:3], -v[35:36]
	v_fma_f64 v[125:126], v[28:29], v[2:3], v[4:5]
	ds_load_b128 v[2:5], v1 offset:800
	ds_load_b128 v[26:29], v1 offset:816
	v_fma_f64 v[121:122], v[121:122], v[6:7], v[123:124]
	v_fma_f64 v[6:7], v[119:120], v[6:7], -v[8:9]
	s_waitcnt vmcnt(4) lgkmcnt(1)
	v_mul_f64 v[127:128], v[2:3], v[12:13]
	v_mul_f64 v[12:13], v[4:5], v[12:13]
	s_waitcnt vmcnt(3) lgkmcnt(0)
	v_mul_f64 v[119:120], v[26:27], v[16:17]
	v_mul_f64 v[16:17], v[28:29], v[16:17]
	v_add_f64 v[8:9], v[35:36], 0
	v_add_f64 v[35:36], v[125:126], 0
	v_fma_f64 v[123:124], v[4:5], v[10:11], v[127:128]
	v_fma_f64 v[10:11], v[2:3], v[10:11], -v[12:13]
	v_fma_f64 v[28:29], v[28:29], v[14:15], v[119:120]
	v_fma_f64 v[14:15], v[26:27], v[14:15], -v[16:17]
	v_add_f64 v[12:13], v[8:9], v[6:7]
	v_add_f64 v[35:36], v[35:36], v[121:122]
	ds_load_b128 v[2:5], v1 offset:832
	ds_load_b128 v[6:9], v1 offset:848
	s_waitcnt vmcnt(2) lgkmcnt(1)
	v_mul_f64 v[121:122], v[2:3], v[20:21]
	v_mul_f64 v[20:21], v[4:5], v[20:21]
	s_waitcnt vmcnt(1) lgkmcnt(0)
	v_mul_f64 v[16:17], v[6:7], v[24:25]
	v_mul_f64 v[24:25], v[8:9], v[24:25]
	v_add_f64 v[10:11], v[12:13], v[10:11]
	v_add_f64 v[12:13], v[35:36], v[123:124]
	v_fma_f64 v[4:5], v[4:5], v[18:19], v[121:122]
	v_fma_f64 v[1:2], v[2:3], v[18:19], -v[20:21]
	v_fma_f64 v[8:9], v[8:9], v[22:23], v[16:17]
	v_fma_f64 v[6:7], v[6:7], v[22:23], -v[24:25]
	v_add_f64 v[10:11], v[10:11], v[14:15]
	v_add_f64 v[12:13], v[12:13], v[28:29]
	s_delay_alu instid0(VALU_DEP_2) | instskip(NEXT) | instid1(VALU_DEP_2)
	v_add_f64 v[1:2], v[10:11], v[1:2]
	v_add_f64 v[3:4], v[12:13], v[4:5]
	s_delay_alu instid0(VALU_DEP_2) | instskip(NEXT) | instid1(VALU_DEP_2)
	v_add_f64 v[1:2], v[1:2], v[6:7]
	v_add_f64 v[3:4], v[3:4], v[8:9]
	s_waitcnt vmcnt(0)
	s_delay_alu instid0(VALU_DEP_2) | instskip(NEXT) | instid1(VALU_DEP_2)
	v_add_f64 v[1:2], v[30:31], -v[1:2]
	v_add_f64 v[3:4], v[32:33], -v[3:4]
	scratch_store_b128 off, v[1:4], off offset:320
	v_cmpx_lt_u32_e32 19, v92
	s_cbranch_execz .LBB90_137
; %bb.136:
	scratch_load_b128 v[1:4], v108, off
	v_mov_b32_e32 v5, 0
	s_delay_alu instid0(VALU_DEP_1)
	v_mov_b32_e32 v6, v5
	v_mov_b32_e32 v7, v5
	;; [unrolled: 1-line block ×3, first 2 shown]
	scratch_store_b128 off, v[5:8], off offset:304
	s_waitcnt vmcnt(0)
	ds_store_b128 v34, v[1:4]
.LBB90_137:
	s_or_b32 exec_lo, exec_lo, s2
	s_waitcnt lgkmcnt(0)
	s_waitcnt_vscnt null, 0x0
	s_barrier
	buffer_gl0_inv
	s_clause 0x6
	scratch_load_b128 v[2:5], off, off offset:320
	scratch_load_b128 v[6:9], off, off offset:336
	;; [unrolled: 1-line block ×7, first 2 shown]
	v_mov_b32_e32 v1, 0
	scratch_load_b128 v[119:122], off, off offset:304
	s_mov_b32 s2, exec_lo
	ds_load_b128 v[30:33], v1 offset:752
	ds_load_b128 v[123:126], v1 offset:768
	s_waitcnt vmcnt(7) lgkmcnt(1)
	v_mul_f64 v[35:36], v[32:33], v[4:5]
	v_mul_f64 v[4:5], v[30:31], v[4:5]
	s_waitcnt vmcnt(6) lgkmcnt(0)
	v_mul_f64 v[127:128], v[123:124], v[8:9]
	v_mul_f64 v[8:9], v[125:126], v[8:9]
	s_delay_alu instid0(VALU_DEP_4) | instskip(NEXT) | instid1(VALU_DEP_4)
	v_fma_f64 v[35:36], v[30:31], v[2:3], -v[35:36]
	v_fma_f64 v[129:130], v[32:33], v[2:3], v[4:5]
	ds_load_b128 v[2:5], v1 offset:784
	ds_load_b128 v[30:33], v1 offset:800
	v_fma_f64 v[125:126], v[125:126], v[6:7], v[127:128]
	v_fma_f64 v[6:7], v[123:124], v[6:7], -v[8:9]
	s_waitcnt vmcnt(5) lgkmcnt(1)
	v_mul_f64 v[131:132], v[2:3], v[12:13]
	v_mul_f64 v[12:13], v[4:5], v[12:13]
	s_waitcnt vmcnt(4) lgkmcnt(0)
	v_mul_f64 v[123:124], v[30:31], v[16:17]
	v_mul_f64 v[16:17], v[32:33], v[16:17]
	v_add_f64 v[8:9], v[35:36], 0
	v_add_f64 v[35:36], v[129:130], 0
	v_fma_f64 v[127:128], v[4:5], v[10:11], v[131:132]
	v_fma_f64 v[10:11], v[2:3], v[10:11], -v[12:13]
	v_fma_f64 v[32:33], v[32:33], v[14:15], v[123:124]
	v_fma_f64 v[14:15], v[30:31], v[14:15], -v[16:17]
	v_add_f64 v[12:13], v[8:9], v[6:7]
	v_add_f64 v[35:36], v[35:36], v[125:126]
	ds_load_b128 v[2:5], v1 offset:816
	ds_load_b128 v[6:9], v1 offset:832
	s_waitcnt vmcnt(3) lgkmcnt(1)
	v_mul_f64 v[125:126], v[2:3], v[20:21]
	v_mul_f64 v[20:21], v[4:5], v[20:21]
	s_waitcnt vmcnt(2) lgkmcnt(0)
	v_mul_f64 v[16:17], v[6:7], v[24:25]
	v_mul_f64 v[24:25], v[8:9], v[24:25]
	v_add_f64 v[10:11], v[12:13], v[10:11]
	v_add_f64 v[12:13], v[35:36], v[127:128]
	v_fma_f64 v[30:31], v[4:5], v[18:19], v[125:126]
	v_fma_f64 v[18:19], v[2:3], v[18:19], -v[20:21]
	ds_load_b128 v[2:5], v1 offset:848
	v_fma_f64 v[8:9], v[8:9], v[22:23], v[16:17]
	v_fma_f64 v[6:7], v[6:7], v[22:23], -v[24:25]
	v_add_f64 v[10:11], v[10:11], v[14:15]
	v_add_f64 v[12:13], v[12:13], v[32:33]
	s_waitcnt vmcnt(1) lgkmcnt(0)
	v_mul_f64 v[14:15], v[2:3], v[28:29]
	v_mul_f64 v[20:21], v[4:5], v[28:29]
	s_delay_alu instid0(VALU_DEP_4) | instskip(NEXT) | instid1(VALU_DEP_4)
	v_add_f64 v[10:11], v[10:11], v[18:19]
	v_add_f64 v[12:13], v[12:13], v[30:31]
	s_delay_alu instid0(VALU_DEP_4) | instskip(NEXT) | instid1(VALU_DEP_4)
	v_fma_f64 v[4:5], v[4:5], v[26:27], v[14:15]
	v_fma_f64 v[2:3], v[2:3], v[26:27], -v[20:21]
	s_delay_alu instid0(VALU_DEP_4) | instskip(NEXT) | instid1(VALU_DEP_4)
	v_add_f64 v[6:7], v[10:11], v[6:7]
	v_add_f64 v[8:9], v[12:13], v[8:9]
	s_delay_alu instid0(VALU_DEP_2) | instskip(NEXT) | instid1(VALU_DEP_2)
	v_add_f64 v[2:3], v[6:7], v[2:3]
	v_add_f64 v[4:5], v[8:9], v[4:5]
	s_waitcnt vmcnt(0)
	s_delay_alu instid0(VALU_DEP_2) | instskip(NEXT) | instid1(VALU_DEP_2)
	v_add_f64 v[2:3], v[119:120], -v[2:3]
	v_add_f64 v[4:5], v[121:122], -v[4:5]
	scratch_store_b128 off, v[2:5], off offset:304
	v_cmpx_lt_u32_e32 18, v92
	s_cbranch_execz .LBB90_139
; %bb.138:
	scratch_load_b128 v[5:8], v109, off
	v_mov_b32_e32 v2, v1
	v_mov_b32_e32 v3, v1
	;; [unrolled: 1-line block ×3, first 2 shown]
	scratch_store_b128 off, v[1:4], off offset:288
	s_waitcnt vmcnt(0)
	ds_store_b128 v34, v[5:8]
.LBB90_139:
	s_or_b32 exec_lo, exec_lo, s2
	s_waitcnt lgkmcnt(0)
	s_waitcnt_vscnt null, 0x0
	s_barrier
	buffer_gl0_inv
	s_clause 0x7
	scratch_load_b128 v[2:5], off, off offset:304
	scratch_load_b128 v[6:9], off, off offset:320
	scratch_load_b128 v[10:13], off, off offset:336
	scratch_load_b128 v[14:17], off, off offset:352
	scratch_load_b128 v[18:21], off, off offset:368
	scratch_load_b128 v[22:25], off, off offset:384
	scratch_load_b128 v[26:29], off, off offset:400
	scratch_load_b128 v[30:33], off, off offset:416
	ds_load_b128 v[119:122], v1 offset:736
	ds_load_b128 v[123:126], v1 offset:752
	scratch_load_b128 v[127:130], off, off offset:288
	s_mov_b32 s2, exec_lo
	s_waitcnt vmcnt(8) lgkmcnt(1)
	v_mul_f64 v[35:36], v[121:122], v[4:5]
	v_mul_f64 v[4:5], v[119:120], v[4:5]
	s_waitcnt vmcnt(7) lgkmcnt(0)
	v_mul_f64 v[131:132], v[123:124], v[8:9]
	v_mul_f64 v[8:9], v[125:126], v[8:9]
	s_delay_alu instid0(VALU_DEP_4) | instskip(NEXT) | instid1(VALU_DEP_4)
	v_fma_f64 v[35:36], v[119:120], v[2:3], -v[35:36]
	v_fma_f64 v[133:134], v[121:122], v[2:3], v[4:5]
	ds_load_b128 v[2:5], v1 offset:768
	ds_load_b128 v[119:122], v1 offset:784
	v_fma_f64 v[125:126], v[125:126], v[6:7], v[131:132]
	v_fma_f64 v[6:7], v[123:124], v[6:7], -v[8:9]
	s_waitcnt vmcnt(6) lgkmcnt(1)
	v_mul_f64 v[135:136], v[2:3], v[12:13]
	v_mul_f64 v[12:13], v[4:5], v[12:13]
	s_waitcnt vmcnt(5) lgkmcnt(0)
	v_mul_f64 v[123:124], v[119:120], v[16:17]
	v_mul_f64 v[16:17], v[121:122], v[16:17]
	v_add_f64 v[8:9], v[35:36], 0
	v_add_f64 v[35:36], v[133:134], 0
	v_fma_f64 v[131:132], v[4:5], v[10:11], v[135:136]
	v_fma_f64 v[10:11], v[2:3], v[10:11], -v[12:13]
	v_fma_f64 v[121:122], v[121:122], v[14:15], v[123:124]
	v_fma_f64 v[14:15], v[119:120], v[14:15], -v[16:17]
	v_add_f64 v[12:13], v[8:9], v[6:7]
	v_add_f64 v[35:36], v[35:36], v[125:126]
	ds_load_b128 v[2:5], v1 offset:800
	ds_load_b128 v[6:9], v1 offset:816
	s_waitcnt vmcnt(4) lgkmcnt(1)
	v_mul_f64 v[125:126], v[2:3], v[20:21]
	v_mul_f64 v[20:21], v[4:5], v[20:21]
	s_waitcnt vmcnt(3) lgkmcnt(0)
	v_mul_f64 v[16:17], v[6:7], v[24:25]
	v_mul_f64 v[24:25], v[8:9], v[24:25]
	v_add_f64 v[10:11], v[12:13], v[10:11]
	v_add_f64 v[12:13], v[35:36], v[131:132]
	v_fma_f64 v[35:36], v[4:5], v[18:19], v[125:126]
	v_fma_f64 v[18:19], v[2:3], v[18:19], -v[20:21]
	v_fma_f64 v[8:9], v[8:9], v[22:23], v[16:17]
	v_fma_f64 v[6:7], v[6:7], v[22:23], -v[24:25]
	v_add_f64 v[14:15], v[10:11], v[14:15]
	v_add_f64 v[20:21], v[12:13], v[121:122]
	ds_load_b128 v[2:5], v1 offset:832
	ds_load_b128 v[10:13], v1 offset:848
	s_waitcnt vmcnt(2) lgkmcnt(1)
	v_mul_f64 v[119:120], v[2:3], v[28:29]
	v_mul_f64 v[28:29], v[4:5], v[28:29]
	v_add_f64 v[14:15], v[14:15], v[18:19]
	v_add_f64 v[16:17], v[20:21], v[35:36]
	s_waitcnt vmcnt(1) lgkmcnt(0)
	v_mul_f64 v[18:19], v[10:11], v[32:33]
	v_mul_f64 v[20:21], v[12:13], v[32:33]
	v_fma_f64 v[4:5], v[4:5], v[26:27], v[119:120]
	v_fma_f64 v[1:2], v[2:3], v[26:27], -v[28:29]
	v_add_f64 v[6:7], v[14:15], v[6:7]
	v_add_f64 v[8:9], v[16:17], v[8:9]
	v_fma_f64 v[12:13], v[12:13], v[30:31], v[18:19]
	v_fma_f64 v[10:11], v[10:11], v[30:31], -v[20:21]
	s_delay_alu instid0(VALU_DEP_4) | instskip(NEXT) | instid1(VALU_DEP_4)
	v_add_f64 v[1:2], v[6:7], v[1:2]
	v_add_f64 v[3:4], v[8:9], v[4:5]
	s_delay_alu instid0(VALU_DEP_2) | instskip(NEXT) | instid1(VALU_DEP_2)
	v_add_f64 v[1:2], v[1:2], v[10:11]
	v_add_f64 v[3:4], v[3:4], v[12:13]
	s_waitcnt vmcnt(0)
	s_delay_alu instid0(VALU_DEP_2) | instskip(NEXT) | instid1(VALU_DEP_2)
	v_add_f64 v[1:2], v[127:128], -v[1:2]
	v_add_f64 v[3:4], v[129:130], -v[3:4]
	scratch_store_b128 off, v[1:4], off offset:288
	v_cmpx_lt_u32_e32 17, v92
	s_cbranch_execz .LBB90_141
; %bb.140:
	scratch_load_b128 v[1:4], v112, off
	v_mov_b32_e32 v5, 0
	s_delay_alu instid0(VALU_DEP_1)
	v_mov_b32_e32 v6, v5
	v_mov_b32_e32 v7, v5
	;; [unrolled: 1-line block ×3, first 2 shown]
	scratch_store_b128 off, v[5:8], off offset:272
	s_waitcnt vmcnt(0)
	ds_store_b128 v34, v[1:4]
.LBB90_141:
	s_or_b32 exec_lo, exec_lo, s2
	s_waitcnt lgkmcnt(0)
	s_waitcnt_vscnt null, 0x0
	s_barrier
	buffer_gl0_inv
	s_clause 0x7
	scratch_load_b128 v[2:5], off, off offset:288
	scratch_load_b128 v[6:9], off, off offset:304
	;; [unrolled: 1-line block ×8, first 2 shown]
	v_mov_b32_e32 v1, 0
	s_mov_b32 s2, exec_lo
	ds_load_b128 v[119:122], v1 offset:720
	s_clause 0x1
	scratch_load_b128 v[123:126], off, off offset:416
	scratch_load_b128 v[127:130], off, off offset:272
	ds_load_b128 v[131:134], v1 offset:736
	s_waitcnt vmcnt(9) lgkmcnt(1)
	v_mul_f64 v[35:36], v[121:122], v[4:5]
	v_mul_f64 v[4:5], v[119:120], v[4:5]
	s_waitcnt vmcnt(8) lgkmcnt(0)
	v_mul_f64 v[135:136], v[131:132], v[8:9]
	v_mul_f64 v[8:9], v[133:134], v[8:9]
	s_delay_alu instid0(VALU_DEP_4) | instskip(NEXT) | instid1(VALU_DEP_4)
	v_fma_f64 v[35:36], v[119:120], v[2:3], -v[35:36]
	v_fma_f64 v[137:138], v[121:122], v[2:3], v[4:5]
	ds_load_b128 v[2:5], v1 offset:752
	ds_load_b128 v[119:122], v1 offset:768
	v_fma_f64 v[133:134], v[133:134], v[6:7], v[135:136]
	v_fma_f64 v[6:7], v[131:132], v[6:7], -v[8:9]
	s_waitcnt vmcnt(7) lgkmcnt(1)
	v_mul_f64 v[139:140], v[2:3], v[12:13]
	v_mul_f64 v[12:13], v[4:5], v[12:13]
	s_waitcnt vmcnt(6) lgkmcnt(0)
	v_mul_f64 v[131:132], v[119:120], v[16:17]
	v_mul_f64 v[16:17], v[121:122], v[16:17]
	v_add_f64 v[8:9], v[35:36], 0
	v_add_f64 v[35:36], v[137:138], 0
	v_fma_f64 v[135:136], v[4:5], v[10:11], v[139:140]
	v_fma_f64 v[10:11], v[2:3], v[10:11], -v[12:13]
	v_fma_f64 v[121:122], v[121:122], v[14:15], v[131:132]
	v_fma_f64 v[14:15], v[119:120], v[14:15], -v[16:17]
	v_add_f64 v[12:13], v[8:9], v[6:7]
	v_add_f64 v[35:36], v[35:36], v[133:134]
	ds_load_b128 v[2:5], v1 offset:784
	ds_load_b128 v[6:9], v1 offset:800
	s_waitcnt vmcnt(5) lgkmcnt(1)
	v_mul_f64 v[133:134], v[2:3], v[20:21]
	v_mul_f64 v[20:21], v[4:5], v[20:21]
	s_waitcnt vmcnt(4) lgkmcnt(0)
	v_mul_f64 v[16:17], v[6:7], v[24:25]
	v_mul_f64 v[24:25], v[8:9], v[24:25]
	v_add_f64 v[10:11], v[12:13], v[10:11]
	v_add_f64 v[12:13], v[35:36], v[135:136]
	v_fma_f64 v[35:36], v[4:5], v[18:19], v[133:134]
	v_fma_f64 v[18:19], v[2:3], v[18:19], -v[20:21]
	v_fma_f64 v[8:9], v[8:9], v[22:23], v[16:17]
	v_fma_f64 v[6:7], v[6:7], v[22:23], -v[24:25]
	v_add_f64 v[14:15], v[10:11], v[14:15]
	v_add_f64 v[20:21], v[12:13], v[121:122]
	ds_load_b128 v[2:5], v1 offset:816
	ds_load_b128 v[10:13], v1 offset:832
	s_waitcnt vmcnt(3) lgkmcnt(1)
	v_mul_f64 v[119:120], v[2:3], v[28:29]
	v_mul_f64 v[28:29], v[4:5], v[28:29]
	v_add_f64 v[14:15], v[14:15], v[18:19]
	v_add_f64 v[16:17], v[20:21], v[35:36]
	s_waitcnt vmcnt(2) lgkmcnt(0)
	v_mul_f64 v[18:19], v[10:11], v[32:33]
	v_mul_f64 v[20:21], v[12:13], v[32:33]
	v_fma_f64 v[22:23], v[4:5], v[26:27], v[119:120]
	v_fma_f64 v[24:25], v[2:3], v[26:27], -v[28:29]
	ds_load_b128 v[2:5], v1 offset:848
	v_add_f64 v[6:7], v[14:15], v[6:7]
	v_add_f64 v[8:9], v[16:17], v[8:9]
	v_fma_f64 v[12:13], v[12:13], v[30:31], v[18:19]
	v_fma_f64 v[10:11], v[10:11], v[30:31], -v[20:21]
	s_waitcnt vmcnt(1) lgkmcnt(0)
	v_mul_f64 v[14:15], v[2:3], v[125:126]
	v_mul_f64 v[16:17], v[4:5], v[125:126]
	v_add_f64 v[6:7], v[6:7], v[24:25]
	v_add_f64 v[8:9], v[8:9], v[22:23]
	s_delay_alu instid0(VALU_DEP_4) | instskip(NEXT) | instid1(VALU_DEP_4)
	v_fma_f64 v[4:5], v[4:5], v[123:124], v[14:15]
	v_fma_f64 v[2:3], v[2:3], v[123:124], -v[16:17]
	s_delay_alu instid0(VALU_DEP_4) | instskip(NEXT) | instid1(VALU_DEP_4)
	v_add_f64 v[6:7], v[6:7], v[10:11]
	v_add_f64 v[8:9], v[8:9], v[12:13]
	s_delay_alu instid0(VALU_DEP_2) | instskip(NEXT) | instid1(VALU_DEP_2)
	v_add_f64 v[2:3], v[6:7], v[2:3]
	v_add_f64 v[4:5], v[8:9], v[4:5]
	s_waitcnt vmcnt(0)
	s_delay_alu instid0(VALU_DEP_2) | instskip(NEXT) | instid1(VALU_DEP_2)
	v_add_f64 v[2:3], v[127:128], -v[2:3]
	v_add_f64 v[4:5], v[129:130], -v[4:5]
	scratch_store_b128 off, v[2:5], off offset:272
	v_cmpx_lt_u32_e32 16, v92
	s_cbranch_execz .LBB90_143
; %bb.142:
	scratch_load_b128 v[5:8], v113, off
	v_mov_b32_e32 v2, v1
	v_mov_b32_e32 v3, v1
	;; [unrolled: 1-line block ×3, first 2 shown]
	scratch_store_b128 off, v[1:4], off offset:256
	s_waitcnt vmcnt(0)
	ds_store_b128 v34, v[5:8]
.LBB90_143:
	s_or_b32 exec_lo, exec_lo, s2
	s_waitcnt lgkmcnt(0)
	s_waitcnt_vscnt null, 0x0
	s_barrier
	buffer_gl0_inv
	s_clause 0x7
	scratch_load_b128 v[2:5], off, off offset:272
	scratch_load_b128 v[6:9], off, off offset:288
	;; [unrolled: 1-line block ×8, first 2 shown]
	ds_load_b128 v[119:122], v1 offset:704
	ds_load_b128 v[127:130], v1 offset:720
	s_clause 0x1
	scratch_load_b128 v[123:126], off, off offset:400
	scratch_load_b128 v[131:134], off, off offset:416
	s_mov_b32 s2, exec_lo
	s_waitcnt vmcnt(9) lgkmcnt(1)
	v_mul_f64 v[35:36], v[121:122], v[4:5]
	v_mul_f64 v[4:5], v[119:120], v[4:5]
	s_waitcnt vmcnt(8) lgkmcnt(0)
	v_mul_f64 v[135:136], v[127:128], v[8:9]
	v_mul_f64 v[8:9], v[129:130], v[8:9]
	s_delay_alu instid0(VALU_DEP_4) | instskip(NEXT) | instid1(VALU_DEP_4)
	v_fma_f64 v[35:36], v[119:120], v[2:3], -v[35:36]
	v_fma_f64 v[119:120], v[121:122], v[2:3], v[4:5]
	ds_load_b128 v[2:5], v1 offset:736
	v_fma_f64 v[129:130], v[129:130], v[6:7], v[135:136]
	v_fma_f64 v[127:128], v[127:128], v[6:7], -v[8:9]
	ds_load_b128 v[6:9], v1 offset:752
	s_waitcnt vmcnt(7) lgkmcnt(1)
	v_mul_f64 v[121:122], v[2:3], v[12:13]
	v_mul_f64 v[12:13], v[4:5], v[12:13]
	s_waitcnt vmcnt(6) lgkmcnt(0)
	v_mul_f64 v[135:136], v[6:7], v[16:17]
	v_mul_f64 v[16:17], v[8:9], v[16:17]
	v_add_f64 v[35:36], v[35:36], 0
	v_add_f64 v[119:120], v[119:120], 0
	v_fma_f64 v[121:122], v[4:5], v[10:11], v[121:122]
	v_fma_f64 v[137:138], v[2:3], v[10:11], -v[12:13]
	ds_load_b128 v[2:5], v1 offset:768
	scratch_load_b128 v[10:13], off, off offset:256
	v_add_f64 v[35:36], v[35:36], v[127:128]
	v_add_f64 v[119:120], v[119:120], v[129:130]
	v_fma_f64 v[129:130], v[8:9], v[14:15], v[135:136]
	v_fma_f64 v[14:15], v[6:7], v[14:15], -v[16:17]
	ds_load_b128 v[6:9], v1 offset:784
	s_waitcnt vmcnt(6) lgkmcnt(1)
	v_mul_f64 v[127:128], v[2:3], v[20:21]
	v_mul_f64 v[20:21], v[4:5], v[20:21]
	v_add_f64 v[16:17], v[35:36], v[137:138]
	v_add_f64 v[35:36], v[119:120], v[121:122]
	s_waitcnt vmcnt(5) lgkmcnt(0)
	v_mul_f64 v[119:120], v[6:7], v[24:25]
	v_mul_f64 v[24:25], v[8:9], v[24:25]
	v_fma_f64 v[121:122], v[4:5], v[18:19], v[127:128]
	v_fma_f64 v[18:19], v[2:3], v[18:19], -v[20:21]
	ds_load_b128 v[2:5], v1 offset:800
	v_add_f64 v[14:15], v[16:17], v[14:15]
	v_add_f64 v[16:17], v[35:36], v[129:130]
	v_fma_f64 v[35:36], v[8:9], v[22:23], v[119:120]
	v_fma_f64 v[22:23], v[6:7], v[22:23], -v[24:25]
	ds_load_b128 v[6:9], v1 offset:816
	s_waitcnt vmcnt(4) lgkmcnt(1)
	v_mul_f64 v[20:21], v[2:3], v[28:29]
	v_mul_f64 v[28:29], v[4:5], v[28:29]
	s_waitcnt vmcnt(3) lgkmcnt(0)
	v_mul_f64 v[24:25], v[8:9], v[32:33]
	v_add_f64 v[14:15], v[14:15], v[18:19]
	v_add_f64 v[16:17], v[16:17], v[121:122]
	v_mul_f64 v[18:19], v[6:7], v[32:33]
	v_fma_f64 v[20:21], v[4:5], v[26:27], v[20:21]
	v_fma_f64 v[26:27], v[2:3], v[26:27], -v[28:29]
	ds_load_b128 v[2:5], v1 offset:832
	v_fma_f64 v[24:25], v[6:7], v[30:31], -v[24:25]
	v_add_f64 v[14:15], v[14:15], v[22:23]
	v_add_f64 v[16:17], v[16:17], v[35:36]
	v_fma_f64 v[18:19], v[8:9], v[30:31], v[18:19]
	ds_load_b128 v[6:9], v1 offset:848
	s_waitcnt vmcnt(2) lgkmcnt(1)
	v_mul_f64 v[22:23], v[2:3], v[125:126]
	v_mul_f64 v[28:29], v[4:5], v[125:126]
	v_add_f64 v[14:15], v[14:15], v[26:27]
	v_add_f64 v[16:17], v[16:17], v[20:21]
	s_waitcnt vmcnt(1) lgkmcnt(0)
	v_mul_f64 v[20:21], v[6:7], v[133:134]
	v_mul_f64 v[26:27], v[8:9], v[133:134]
	v_fma_f64 v[4:5], v[4:5], v[123:124], v[22:23]
	v_fma_f64 v[1:2], v[2:3], v[123:124], -v[28:29]
	v_add_f64 v[14:15], v[14:15], v[24:25]
	v_add_f64 v[16:17], v[16:17], v[18:19]
	v_fma_f64 v[8:9], v[8:9], v[131:132], v[20:21]
	v_fma_f64 v[6:7], v[6:7], v[131:132], -v[26:27]
	s_delay_alu instid0(VALU_DEP_4) | instskip(NEXT) | instid1(VALU_DEP_4)
	v_add_f64 v[1:2], v[14:15], v[1:2]
	v_add_f64 v[3:4], v[16:17], v[4:5]
	s_delay_alu instid0(VALU_DEP_2) | instskip(NEXT) | instid1(VALU_DEP_2)
	v_add_f64 v[1:2], v[1:2], v[6:7]
	v_add_f64 v[3:4], v[3:4], v[8:9]
	s_waitcnt vmcnt(0)
	s_delay_alu instid0(VALU_DEP_2) | instskip(NEXT) | instid1(VALU_DEP_2)
	v_add_f64 v[1:2], v[10:11], -v[1:2]
	v_add_f64 v[3:4], v[12:13], -v[3:4]
	scratch_store_b128 off, v[1:4], off offset:256
	v_cmpx_lt_u32_e32 15, v92
	s_cbranch_execz .LBB90_145
; %bb.144:
	scratch_load_b128 v[1:4], v117, off
	v_mov_b32_e32 v5, 0
	s_delay_alu instid0(VALU_DEP_1)
	v_mov_b32_e32 v6, v5
	v_mov_b32_e32 v7, v5
	v_mov_b32_e32 v8, v5
	scratch_store_b128 off, v[5:8], off offset:240
	s_waitcnt vmcnt(0)
	ds_store_b128 v34, v[1:4]
.LBB90_145:
	s_or_b32 exec_lo, exec_lo, s2
	s_waitcnt lgkmcnt(0)
	s_waitcnt_vscnt null, 0x0
	s_barrier
	buffer_gl0_inv
	s_clause 0x7
	scratch_load_b128 v[2:5], off, off offset:256
	scratch_load_b128 v[6:9], off, off offset:272
	;; [unrolled: 1-line block ×8, first 2 shown]
	v_mov_b32_e32 v1, 0
	s_clause 0x1
	scratch_load_b128 v[123:126], off, off offset:384
	scratch_load_b128 v[131:134], off, off offset:400
	s_mov_b32 s2, exec_lo
	ds_load_b128 v[119:122], v1 offset:688
	ds_load_b128 v[127:130], v1 offset:704
	s_waitcnt vmcnt(9) lgkmcnt(1)
	v_mul_f64 v[35:36], v[121:122], v[4:5]
	v_mul_f64 v[4:5], v[119:120], v[4:5]
	s_waitcnt vmcnt(8) lgkmcnt(0)
	v_mul_f64 v[135:136], v[127:128], v[8:9]
	v_mul_f64 v[8:9], v[129:130], v[8:9]
	s_delay_alu instid0(VALU_DEP_4) | instskip(NEXT) | instid1(VALU_DEP_4)
	v_fma_f64 v[35:36], v[119:120], v[2:3], -v[35:36]
	v_fma_f64 v[137:138], v[121:122], v[2:3], v[4:5]
	ds_load_b128 v[2:5], v1 offset:720
	scratch_load_b128 v[119:122], off, off offset:416
	v_fma_f64 v[129:130], v[129:130], v[6:7], v[135:136]
	v_fma_f64 v[127:128], v[127:128], v[6:7], -v[8:9]
	ds_load_b128 v[6:9], v1 offset:736
	s_waitcnt vmcnt(8) lgkmcnt(1)
	v_mul_f64 v[139:140], v[2:3], v[12:13]
	v_mul_f64 v[12:13], v[4:5], v[12:13]
	v_add_f64 v[35:36], v[35:36], 0
	v_add_f64 v[135:136], v[137:138], 0
	s_waitcnt vmcnt(7) lgkmcnt(0)
	v_mul_f64 v[137:138], v[6:7], v[16:17]
	v_mul_f64 v[16:17], v[8:9], v[16:17]
	v_fma_f64 v[139:140], v[4:5], v[10:11], v[139:140]
	v_fma_f64 v[10:11], v[2:3], v[10:11], -v[12:13]
	ds_load_b128 v[2:5], v1 offset:752
	v_add_f64 v[12:13], v[35:36], v[127:128]
	v_add_f64 v[35:36], v[135:136], v[129:130]
	v_fma_f64 v[129:130], v[8:9], v[14:15], v[137:138]
	v_fma_f64 v[14:15], v[6:7], v[14:15], -v[16:17]
	ds_load_b128 v[6:9], v1 offset:768
	s_waitcnt vmcnt(6) lgkmcnt(1)
	v_mul_f64 v[127:128], v[2:3], v[20:21]
	v_mul_f64 v[20:21], v[4:5], v[20:21]
	s_waitcnt vmcnt(5) lgkmcnt(0)
	v_mul_f64 v[135:136], v[6:7], v[24:25]
	v_mul_f64 v[24:25], v[8:9], v[24:25]
	v_add_f64 v[16:17], v[12:13], v[10:11]
	v_add_f64 v[35:36], v[35:36], v[139:140]
	scratch_load_b128 v[10:13], off, off offset:240
	v_fma_f64 v[127:128], v[4:5], v[18:19], v[127:128]
	v_fma_f64 v[18:19], v[2:3], v[18:19], -v[20:21]
	ds_load_b128 v[2:5], v1 offset:784
	v_add_f64 v[14:15], v[16:17], v[14:15]
	v_add_f64 v[16:17], v[35:36], v[129:130]
	v_fma_f64 v[35:36], v[8:9], v[22:23], v[135:136]
	v_fma_f64 v[22:23], v[6:7], v[22:23], -v[24:25]
	ds_load_b128 v[6:9], v1 offset:800
	s_waitcnt vmcnt(5) lgkmcnt(1)
	v_mul_f64 v[20:21], v[2:3], v[28:29]
	v_mul_f64 v[28:29], v[4:5], v[28:29]
	s_waitcnt vmcnt(4) lgkmcnt(0)
	v_mul_f64 v[24:25], v[8:9], v[32:33]
	v_add_f64 v[14:15], v[14:15], v[18:19]
	v_add_f64 v[16:17], v[16:17], v[127:128]
	v_mul_f64 v[18:19], v[6:7], v[32:33]
	v_fma_f64 v[20:21], v[4:5], v[26:27], v[20:21]
	v_fma_f64 v[26:27], v[2:3], v[26:27], -v[28:29]
	ds_load_b128 v[2:5], v1 offset:816
	v_fma_f64 v[24:25], v[6:7], v[30:31], -v[24:25]
	v_add_f64 v[14:15], v[14:15], v[22:23]
	v_add_f64 v[16:17], v[16:17], v[35:36]
	v_fma_f64 v[18:19], v[8:9], v[30:31], v[18:19]
	ds_load_b128 v[6:9], v1 offset:832
	s_waitcnt vmcnt(3) lgkmcnt(1)
	v_mul_f64 v[22:23], v[2:3], v[125:126]
	v_mul_f64 v[28:29], v[4:5], v[125:126]
	v_add_f64 v[14:15], v[14:15], v[26:27]
	v_add_f64 v[16:17], v[16:17], v[20:21]
	s_waitcnt vmcnt(2) lgkmcnt(0)
	v_mul_f64 v[20:21], v[6:7], v[133:134]
	v_mul_f64 v[26:27], v[8:9], v[133:134]
	v_fma_f64 v[22:23], v[4:5], v[123:124], v[22:23]
	v_fma_f64 v[28:29], v[2:3], v[123:124], -v[28:29]
	ds_load_b128 v[2:5], v1 offset:848
	v_add_f64 v[14:15], v[14:15], v[24:25]
	v_add_f64 v[16:17], v[16:17], v[18:19]
	v_fma_f64 v[8:9], v[8:9], v[131:132], v[20:21]
	v_fma_f64 v[6:7], v[6:7], v[131:132], -v[26:27]
	s_waitcnt vmcnt(1) lgkmcnt(0)
	v_mul_f64 v[18:19], v[2:3], v[121:122]
	v_mul_f64 v[24:25], v[4:5], v[121:122]
	v_add_f64 v[14:15], v[14:15], v[28:29]
	v_add_f64 v[16:17], v[16:17], v[22:23]
	s_delay_alu instid0(VALU_DEP_4) | instskip(NEXT) | instid1(VALU_DEP_4)
	v_fma_f64 v[4:5], v[4:5], v[119:120], v[18:19]
	v_fma_f64 v[2:3], v[2:3], v[119:120], -v[24:25]
	s_delay_alu instid0(VALU_DEP_4) | instskip(NEXT) | instid1(VALU_DEP_4)
	v_add_f64 v[6:7], v[14:15], v[6:7]
	v_add_f64 v[8:9], v[16:17], v[8:9]
	s_delay_alu instid0(VALU_DEP_2) | instskip(NEXT) | instid1(VALU_DEP_2)
	v_add_f64 v[2:3], v[6:7], v[2:3]
	v_add_f64 v[4:5], v[8:9], v[4:5]
	s_waitcnt vmcnt(0)
	s_delay_alu instid0(VALU_DEP_2) | instskip(NEXT) | instid1(VALU_DEP_2)
	v_add_f64 v[2:3], v[10:11], -v[2:3]
	v_add_f64 v[4:5], v[12:13], -v[4:5]
	scratch_store_b128 off, v[2:5], off offset:240
	v_cmpx_lt_u32_e32 14, v92
	s_cbranch_execz .LBB90_147
; %bb.146:
	scratch_load_b128 v[5:8], v97, off
	v_mov_b32_e32 v2, v1
	v_mov_b32_e32 v3, v1
	;; [unrolled: 1-line block ×3, first 2 shown]
	scratch_store_b128 off, v[1:4], off offset:224
	s_waitcnt vmcnt(0)
	ds_store_b128 v34, v[5:8]
.LBB90_147:
	s_or_b32 exec_lo, exec_lo, s2
	s_waitcnt lgkmcnt(0)
	s_waitcnt_vscnt null, 0x0
	s_barrier
	buffer_gl0_inv
	s_clause 0x7
	scratch_load_b128 v[2:5], off, off offset:240
	scratch_load_b128 v[6:9], off, off offset:256
	;; [unrolled: 1-line block ×8, first 2 shown]
	ds_load_b128 v[119:122], v1 offset:672
	ds_load_b128 v[127:130], v1 offset:688
	s_clause 0x1
	scratch_load_b128 v[123:126], off, off offset:368
	scratch_load_b128 v[131:134], off, off offset:384
	s_mov_b32 s2, exec_lo
	s_waitcnt vmcnt(9) lgkmcnt(1)
	v_mul_f64 v[35:36], v[121:122], v[4:5]
	v_mul_f64 v[4:5], v[119:120], v[4:5]
	s_waitcnt vmcnt(8) lgkmcnt(0)
	v_mul_f64 v[135:136], v[127:128], v[8:9]
	v_mul_f64 v[8:9], v[129:130], v[8:9]
	s_delay_alu instid0(VALU_DEP_4) | instskip(NEXT) | instid1(VALU_DEP_4)
	v_fma_f64 v[35:36], v[119:120], v[2:3], -v[35:36]
	v_fma_f64 v[137:138], v[121:122], v[2:3], v[4:5]
	scratch_load_b128 v[119:122], off, off offset:400
	ds_load_b128 v[2:5], v1 offset:704
	v_fma_f64 v[135:136], v[129:130], v[6:7], v[135:136]
	v_fma_f64 v[141:142], v[127:128], v[6:7], -v[8:9]
	ds_load_b128 v[6:9], v1 offset:720
	scratch_load_b128 v[127:130], off, off offset:416
	s_waitcnt vmcnt(9) lgkmcnt(1)
	v_mul_f64 v[139:140], v[2:3], v[12:13]
	v_mul_f64 v[12:13], v[4:5], v[12:13]
	s_waitcnt vmcnt(8) lgkmcnt(0)
	v_mul_f64 v[143:144], v[6:7], v[16:17]
	v_mul_f64 v[16:17], v[8:9], v[16:17]
	v_add_f64 v[35:36], v[35:36], 0
	v_add_f64 v[137:138], v[137:138], 0
	v_fma_f64 v[139:140], v[4:5], v[10:11], v[139:140]
	v_fma_f64 v[10:11], v[2:3], v[10:11], -v[12:13]
	ds_load_b128 v[2:5], v1 offset:736
	v_add_f64 v[12:13], v[35:36], v[141:142]
	v_add_f64 v[35:36], v[137:138], v[135:136]
	v_fma_f64 v[137:138], v[8:9], v[14:15], v[143:144]
	v_fma_f64 v[14:15], v[6:7], v[14:15], -v[16:17]
	ds_load_b128 v[6:9], v1 offset:752
	s_waitcnt vmcnt(7) lgkmcnt(1)
	v_mul_f64 v[135:136], v[2:3], v[20:21]
	v_mul_f64 v[20:21], v[4:5], v[20:21]
	s_waitcnt vmcnt(6) lgkmcnt(0)
	v_mul_f64 v[16:17], v[6:7], v[24:25]
	v_mul_f64 v[24:25], v[8:9], v[24:25]
	v_add_f64 v[10:11], v[12:13], v[10:11]
	v_add_f64 v[12:13], v[35:36], v[139:140]
	v_fma_f64 v[35:36], v[4:5], v[18:19], v[135:136]
	v_fma_f64 v[18:19], v[2:3], v[18:19], -v[20:21]
	ds_load_b128 v[2:5], v1 offset:768
	v_fma_f64 v[16:17], v[8:9], v[22:23], v[16:17]
	v_fma_f64 v[22:23], v[6:7], v[22:23], -v[24:25]
	ds_load_b128 v[6:9], v1 offset:784
	s_waitcnt vmcnt(5) lgkmcnt(1)
	v_mul_f64 v[135:136], v[2:3], v[28:29]
	v_mul_f64 v[28:29], v[4:5], v[28:29]
	v_add_f64 v[14:15], v[10:11], v[14:15]
	v_add_f64 v[20:21], v[12:13], v[137:138]
	scratch_load_b128 v[10:13], off, off offset:224
	s_waitcnt vmcnt(5) lgkmcnt(0)
	v_mul_f64 v[24:25], v[8:9], v[32:33]
	v_add_f64 v[14:15], v[14:15], v[18:19]
	v_add_f64 v[18:19], v[20:21], v[35:36]
	v_mul_f64 v[20:21], v[6:7], v[32:33]
	v_fma_f64 v[32:33], v[4:5], v[26:27], v[135:136]
	v_fma_f64 v[26:27], v[2:3], v[26:27], -v[28:29]
	ds_load_b128 v[2:5], v1 offset:800
	v_fma_f64 v[24:25], v[6:7], v[30:31], -v[24:25]
	v_add_f64 v[14:15], v[14:15], v[22:23]
	v_add_f64 v[16:17], v[18:19], v[16:17]
	v_fma_f64 v[20:21], v[8:9], v[30:31], v[20:21]
	ds_load_b128 v[6:9], v1 offset:816
	s_waitcnt vmcnt(4) lgkmcnt(1)
	v_mul_f64 v[18:19], v[2:3], v[125:126]
	v_mul_f64 v[22:23], v[4:5], v[125:126]
	s_waitcnt vmcnt(3) lgkmcnt(0)
	v_mul_f64 v[28:29], v[8:9], v[133:134]
	v_add_f64 v[14:15], v[14:15], v[26:27]
	v_add_f64 v[16:17], v[16:17], v[32:33]
	v_mul_f64 v[26:27], v[6:7], v[133:134]
	v_fma_f64 v[18:19], v[4:5], v[123:124], v[18:19]
	v_fma_f64 v[22:23], v[2:3], v[123:124], -v[22:23]
	ds_load_b128 v[2:5], v1 offset:832
	v_fma_f64 v[28:29], v[6:7], v[131:132], -v[28:29]
	v_add_f64 v[14:15], v[14:15], v[24:25]
	v_add_f64 v[16:17], v[16:17], v[20:21]
	v_fma_f64 v[26:27], v[8:9], v[131:132], v[26:27]
	ds_load_b128 v[6:9], v1 offset:848
	s_waitcnt vmcnt(2) lgkmcnt(1)
	v_mul_f64 v[20:21], v[2:3], v[121:122]
	v_mul_f64 v[24:25], v[4:5], v[121:122]
	v_add_f64 v[14:15], v[14:15], v[22:23]
	v_add_f64 v[16:17], v[16:17], v[18:19]
	s_waitcnt vmcnt(1) lgkmcnt(0)
	v_mul_f64 v[18:19], v[6:7], v[129:130]
	v_mul_f64 v[22:23], v[8:9], v[129:130]
	v_fma_f64 v[4:5], v[4:5], v[119:120], v[20:21]
	v_fma_f64 v[1:2], v[2:3], v[119:120], -v[24:25]
	v_add_f64 v[14:15], v[14:15], v[28:29]
	v_add_f64 v[16:17], v[16:17], v[26:27]
	v_fma_f64 v[8:9], v[8:9], v[127:128], v[18:19]
	v_fma_f64 v[6:7], v[6:7], v[127:128], -v[22:23]
	s_delay_alu instid0(VALU_DEP_4) | instskip(NEXT) | instid1(VALU_DEP_4)
	v_add_f64 v[1:2], v[14:15], v[1:2]
	v_add_f64 v[3:4], v[16:17], v[4:5]
	s_delay_alu instid0(VALU_DEP_2) | instskip(NEXT) | instid1(VALU_DEP_2)
	v_add_f64 v[1:2], v[1:2], v[6:7]
	v_add_f64 v[3:4], v[3:4], v[8:9]
	s_waitcnt vmcnt(0)
	s_delay_alu instid0(VALU_DEP_2) | instskip(NEXT) | instid1(VALU_DEP_2)
	v_add_f64 v[1:2], v[10:11], -v[1:2]
	v_add_f64 v[3:4], v[12:13], -v[3:4]
	scratch_store_b128 off, v[1:4], off offset:224
	v_cmpx_lt_u32_e32 13, v92
	s_cbranch_execz .LBB90_149
; %bb.148:
	scratch_load_b128 v[1:4], v99, off
	v_mov_b32_e32 v5, 0
	s_delay_alu instid0(VALU_DEP_1)
	v_mov_b32_e32 v6, v5
	v_mov_b32_e32 v7, v5
	;; [unrolled: 1-line block ×3, first 2 shown]
	scratch_store_b128 off, v[5:8], off offset:208
	s_waitcnt vmcnt(0)
	ds_store_b128 v34, v[1:4]
.LBB90_149:
	s_or_b32 exec_lo, exec_lo, s2
	s_waitcnt lgkmcnt(0)
	s_waitcnt_vscnt null, 0x0
	s_barrier
	buffer_gl0_inv
	s_clause 0x7
	scratch_load_b128 v[2:5], off, off offset:224
	scratch_load_b128 v[6:9], off, off offset:240
	;; [unrolled: 1-line block ×8, first 2 shown]
	v_mov_b32_e32 v1, 0
	s_mov_b32 s2, exec_lo
	ds_load_b128 v[119:122], v1 offset:656
	s_clause 0x1
	scratch_load_b128 v[123:126], off, off offset:352
	scratch_load_b128 v[127:130], off, off offset:208
	ds_load_b128 v[131:134], v1 offset:672
	scratch_load_b128 v[135:138], off, off offset:368
	ds_load_b128 v[139:142], v1 offset:704
	s_waitcnt vmcnt(10) lgkmcnt(2)
	v_mul_f64 v[35:36], v[121:122], v[4:5]
	v_mul_f64 v[4:5], v[119:120], v[4:5]
	s_delay_alu instid0(VALU_DEP_2) | instskip(NEXT) | instid1(VALU_DEP_2)
	v_fma_f64 v[35:36], v[119:120], v[2:3], -v[35:36]
	v_fma_f64 v[145:146], v[121:122], v[2:3], v[4:5]
	ds_load_b128 v[2:5], v1 offset:688
	s_waitcnt vmcnt(9) lgkmcnt(2)
	v_mul_f64 v[143:144], v[131:132], v[8:9]
	v_mul_f64 v[8:9], v[133:134], v[8:9]
	scratch_load_b128 v[119:122], off, off offset:384
	s_waitcnt vmcnt(9) lgkmcnt(0)
	v_mul_f64 v[147:148], v[2:3], v[12:13]
	v_mul_f64 v[12:13], v[4:5], v[12:13]
	v_add_f64 v[35:36], v[35:36], 0
	v_fma_f64 v[133:134], v[133:134], v[6:7], v[143:144]
	v_fma_f64 v[131:132], v[131:132], v[6:7], -v[8:9]
	v_add_f64 v[143:144], v[145:146], 0
	scratch_load_b128 v[6:9], off, off offset:400
	v_fma_f64 v[147:148], v[4:5], v[10:11], v[147:148]
	v_fma_f64 v[149:150], v[2:3], v[10:11], -v[12:13]
	scratch_load_b128 v[10:13], off, off offset:416
	ds_load_b128 v[2:5], v1 offset:720
	s_waitcnt vmcnt(10)
	v_mul_f64 v[145:146], v[139:140], v[16:17]
	v_mul_f64 v[16:17], v[141:142], v[16:17]
	v_add_f64 v[35:36], v[35:36], v[131:132]
	v_add_f64 v[143:144], v[143:144], v[133:134]
	ds_load_b128 v[131:134], v1 offset:736
	s_waitcnt vmcnt(9) lgkmcnt(1)
	v_mul_f64 v[151:152], v[2:3], v[20:21]
	v_mul_f64 v[20:21], v[4:5], v[20:21]
	v_fma_f64 v[141:142], v[141:142], v[14:15], v[145:146]
	v_fma_f64 v[14:15], v[139:140], v[14:15], -v[16:17]
	s_waitcnt vmcnt(8) lgkmcnt(0)
	v_mul_f64 v[139:140], v[131:132], v[24:25]
	v_mul_f64 v[24:25], v[133:134], v[24:25]
	v_add_f64 v[16:17], v[35:36], v[149:150]
	v_add_f64 v[35:36], v[143:144], v[147:148]
	v_fma_f64 v[143:144], v[4:5], v[18:19], v[151:152]
	v_fma_f64 v[18:19], v[2:3], v[18:19], -v[20:21]
	v_fma_f64 v[133:134], v[133:134], v[22:23], v[139:140]
	v_fma_f64 v[22:23], v[131:132], v[22:23], -v[24:25]
	v_add_f64 v[20:21], v[16:17], v[14:15]
	v_add_f64 v[35:36], v[35:36], v[141:142]
	ds_load_b128 v[2:5], v1 offset:752
	ds_load_b128 v[14:17], v1 offset:768
	s_waitcnt vmcnt(7) lgkmcnt(1)
	v_mul_f64 v[141:142], v[2:3], v[28:29]
	v_mul_f64 v[28:29], v[4:5], v[28:29]
	s_waitcnt vmcnt(6) lgkmcnt(0)
	v_mul_f64 v[24:25], v[14:15], v[32:33]
	v_mul_f64 v[32:33], v[16:17], v[32:33]
	v_add_f64 v[18:19], v[20:21], v[18:19]
	v_add_f64 v[20:21], v[35:36], v[143:144]
	v_fma_f64 v[35:36], v[4:5], v[26:27], v[141:142]
	v_fma_f64 v[26:27], v[2:3], v[26:27], -v[28:29]
	v_fma_f64 v[16:17], v[16:17], v[30:31], v[24:25]
	v_fma_f64 v[14:15], v[14:15], v[30:31], -v[32:33]
	v_add_f64 v[22:23], v[18:19], v[22:23]
	v_add_f64 v[28:29], v[20:21], v[133:134]
	ds_load_b128 v[2:5], v1 offset:784
	ds_load_b128 v[18:21], v1 offset:800
	s_waitcnt vmcnt(5) lgkmcnt(1)
	v_mul_f64 v[131:132], v[2:3], v[125:126]
	v_mul_f64 v[125:126], v[4:5], v[125:126]
	v_add_f64 v[22:23], v[22:23], v[26:27]
	v_add_f64 v[24:25], v[28:29], v[35:36]
	s_waitcnt vmcnt(3) lgkmcnt(0)
	v_mul_f64 v[26:27], v[18:19], v[137:138]
	v_mul_f64 v[28:29], v[20:21], v[137:138]
	v_fma_f64 v[30:31], v[4:5], v[123:124], v[131:132]
	v_fma_f64 v[32:33], v[2:3], v[123:124], -v[125:126]
	v_add_f64 v[22:23], v[22:23], v[14:15]
	v_add_f64 v[24:25], v[24:25], v[16:17]
	ds_load_b128 v[2:5], v1 offset:816
	ds_load_b128 v[14:17], v1 offset:832
	v_fma_f64 v[20:21], v[20:21], v[135:136], v[26:27]
	v_fma_f64 v[18:19], v[18:19], v[135:136], -v[28:29]
	s_waitcnt vmcnt(2) lgkmcnt(1)
	v_mul_f64 v[35:36], v[2:3], v[121:122]
	v_mul_f64 v[121:122], v[4:5], v[121:122]
	v_add_f64 v[22:23], v[22:23], v[32:33]
	v_add_f64 v[24:25], v[24:25], v[30:31]
	s_waitcnt vmcnt(1) lgkmcnt(0)
	v_mul_f64 v[26:27], v[14:15], v[8:9]
	v_mul_f64 v[8:9], v[16:17], v[8:9]
	v_fma_f64 v[28:29], v[4:5], v[119:120], v[35:36]
	v_fma_f64 v[30:31], v[2:3], v[119:120], -v[121:122]
	ds_load_b128 v[2:5], v1 offset:848
	v_add_f64 v[18:19], v[22:23], v[18:19]
	v_add_f64 v[20:21], v[24:25], v[20:21]
	s_waitcnt vmcnt(0) lgkmcnt(0)
	v_mul_f64 v[22:23], v[2:3], v[12:13]
	v_mul_f64 v[12:13], v[4:5], v[12:13]
	v_fma_f64 v[16:17], v[16:17], v[6:7], v[26:27]
	v_fma_f64 v[6:7], v[14:15], v[6:7], -v[8:9]
	v_add_f64 v[8:9], v[18:19], v[30:31]
	v_add_f64 v[14:15], v[20:21], v[28:29]
	v_fma_f64 v[4:5], v[4:5], v[10:11], v[22:23]
	v_fma_f64 v[2:3], v[2:3], v[10:11], -v[12:13]
	s_delay_alu instid0(VALU_DEP_4) | instskip(NEXT) | instid1(VALU_DEP_4)
	v_add_f64 v[6:7], v[8:9], v[6:7]
	v_add_f64 v[8:9], v[14:15], v[16:17]
	s_delay_alu instid0(VALU_DEP_2) | instskip(NEXT) | instid1(VALU_DEP_2)
	v_add_f64 v[2:3], v[6:7], v[2:3]
	v_add_f64 v[4:5], v[8:9], v[4:5]
	s_delay_alu instid0(VALU_DEP_2) | instskip(NEXT) | instid1(VALU_DEP_2)
	v_add_f64 v[2:3], v[127:128], -v[2:3]
	v_add_f64 v[4:5], v[129:130], -v[4:5]
	scratch_store_b128 off, v[2:5], off offset:208
	v_cmpx_lt_u32_e32 12, v92
	s_cbranch_execz .LBB90_151
; %bb.150:
	scratch_load_b128 v[5:8], v98, off
	v_mov_b32_e32 v2, v1
	v_mov_b32_e32 v3, v1
	v_mov_b32_e32 v4, v1
	scratch_store_b128 off, v[1:4], off offset:192
	s_waitcnt vmcnt(0)
	ds_store_b128 v34, v[5:8]
.LBB90_151:
	s_or_b32 exec_lo, exec_lo, s2
	s_waitcnt lgkmcnt(0)
	s_waitcnt_vscnt null, 0x0
	s_barrier
	buffer_gl0_inv
	s_clause 0x8
	scratch_load_b128 v[2:5], off, off offset:208
	scratch_load_b128 v[6:9], off, off offset:224
	;; [unrolled: 1-line block ×9, first 2 shown]
	ds_load_b128 v[123:126], v1 offset:640
	ds_load_b128 v[127:130], v1 offset:656
	s_clause 0x1
	scratch_load_b128 v[131:134], off, off offset:192
	scratch_load_b128 v[135:138], off, off offset:352
	s_mov_b32 s2, exec_lo
	ds_load_b128 v[139:142], v1 offset:688
	s_waitcnt vmcnt(10) lgkmcnt(2)
	v_mul_f64 v[35:36], v[125:126], v[4:5]
	v_mul_f64 v[4:5], v[123:124], v[4:5]
	s_waitcnt vmcnt(9) lgkmcnt(1)
	v_mul_f64 v[143:144], v[127:128], v[8:9]
	v_mul_f64 v[8:9], v[129:130], v[8:9]
	s_delay_alu instid0(VALU_DEP_4) | instskip(NEXT) | instid1(VALU_DEP_4)
	v_fma_f64 v[35:36], v[123:124], v[2:3], -v[35:36]
	v_fma_f64 v[145:146], v[125:126], v[2:3], v[4:5]
	ds_load_b128 v[2:5], v1 offset:672
	scratch_load_b128 v[123:126], off, off offset:368
	v_fma_f64 v[129:130], v[129:130], v[6:7], v[143:144]
	v_fma_f64 v[127:128], v[127:128], v[6:7], -v[8:9]
	scratch_load_b128 v[6:9], off, off offset:384
	s_waitcnt vmcnt(10) lgkmcnt(0)
	v_mul_f64 v[147:148], v[2:3], v[12:13]
	v_mul_f64 v[12:13], v[4:5], v[12:13]
	v_add_f64 v[35:36], v[35:36], 0
	v_add_f64 v[143:144], v[145:146], 0
	s_waitcnt vmcnt(9)
	v_mul_f64 v[145:146], v[139:140], v[16:17]
	v_mul_f64 v[16:17], v[141:142], v[16:17]
	v_fma_f64 v[147:148], v[4:5], v[10:11], v[147:148]
	v_fma_f64 v[149:150], v[2:3], v[10:11], -v[12:13]
	ds_load_b128 v[2:5], v1 offset:704
	scratch_load_b128 v[10:13], off, off offset:400
	v_add_f64 v[35:36], v[35:36], v[127:128]
	v_add_f64 v[143:144], v[143:144], v[129:130]
	ds_load_b128 v[127:130], v1 offset:720
	v_fma_f64 v[141:142], v[141:142], v[14:15], v[145:146]
	v_fma_f64 v[139:140], v[139:140], v[14:15], -v[16:17]
	scratch_load_b128 v[14:17], off, off offset:416
	s_waitcnt vmcnt(10) lgkmcnt(1)
	v_mul_f64 v[151:152], v[2:3], v[20:21]
	v_mul_f64 v[20:21], v[4:5], v[20:21]
	s_waitcnt vmcnt(9) lgkmcnt(0)
	v_mul_f64 v[145:146], v[127:128], v[24:25]
	v_mul_f64 v[24:25], v[129:130], v[24:25]
	v_add_f64 v[35:36], v[35:36], v[149:150]
	v_add_f64 v[143:144], v[143:144], v[147:148]
	v_fma_f64 v[147:148], v[4:5], v[18:19], v[151:152]
	v_fma_f64 v[149:150], v[2:3], v[18:19], -v[20:21]
	ds_load_b128 v[2:5], v1 offset:736
	ds_load_b128 v[18:21], v1 offset:752
	v_fma_f64 v[129:130], v[129:130], v[22:23], v[145:146]
	v_fma_f64 v[22:23], v[127:128], v[22:23], -v[24:25]
	s_waitcnt vmcnt(7) lgkmcnt(0)
	v_mul_f64 v[127:128], v[18:19], v[32:33]
	v_mul_f64 v[32:33], v[20:21], v[32:33]
	v_add_f64 v[35:36], v[35:36], v[139:140]
	v_add_f64 v[139:140], v[143:144], v[141:142]
	v_mul_f64 v[141:142], v[2:3], v[28:29]
	v_mul_f64 v[28:29], v[4:5], v[28:29]
	v_fma_f64 v[20:21], v[20:21], v[30:31], v[127:128]
	v_fma_f64 v[18:19], v[18:19], v[30:31], -v[32:33]
	v_add_f64 v[24:25], v[35:36], v[149:150]
	v_add_f64 v[35:36], v[139:140], v[147:148]
	v_fma_f64 v[139:140], v[4:5], v[26:27], v[141:142]
	v_fma_f64 v[26:27], v[2:3], v[26:27], -v[28:29]
	s_delay_alu instid0(VALU_DEP_4) | instskip(NEXT) | instid1(VALU_DEP_4)
	v_add_f64 v[28:29], v[24:25], v[22:23]
	v_add_f64 v[35:36], v[35:36], v[129:130]
	ds_load_b128 v[2:5], v1 offset:768
	ds_load_b128 v[22:25], v1 offset:784
	s_waitcnt vmcnt(6) lgkmcnt(1)
	v_mul_f64 v[129:130], v[2:3], v[121:122]
	v_mul_f64 v[121:122], v[4:5], v[121:122]
	s_waitcnt vmcnt(4) lgkmcnt(0)
	v_mul_f64 v[30:31], v[22:23], v[137:138]
	v_mul_f64 v[32:33], v[24:25], v[137:138]
	v_add_f64 v[26:27], v[28:29], v[26:27]
	v_add_f64 v[28:29], v[35:36], v[139:140]
	v_fma_f64 v[35:36], v[4:5], v[119:120], v[129:130]
	v_fma_f64 v[119:120], v[2:3], v[119:120], -v[121:122]
	v_fma_f64 v[24:25], v[24:25], v[135:136], v[30:31]
	v_fma_f64 v[22:23], v[22:23], v[135:136], -v[32:33]
	v_add_f64 v[26:27], v[26:27], v[18:19]
	v_add_f64 v[28:29], v[28:29], v[20:21]
	ds_load_b128 v[2:5], v1 offset:800
	ds_load_b128 v[18:21], v1 offset:816
	s_waitcnt vmcnt(3) lgkmcnt(1)
	v_mul_f64 v[121:122], v[2:3], v[125:126]
	v_mul_f64 v[125:126], v[4:5], v[125:126]
	s_waitcnt vmcnt(2) lgkmcnt(0)
	v_mul_f64 v[30:31], v[18:19], v[8:9]
	v_mul_f64 v[8:9], v[20:21], v[8:9]
	v_add_f64 v[26:27], v[26:27], v[119:120]
	v_add_f64 v[28:29], v[28:29], v[35:36]
	v_fma_f64 v[32:33], v[4:5], v[123:124], v[121:122]
	v_fma_f64 v[35:36], v[2:3], v[123:124], -v[125:126]
	v_fma_f64 v[20:21], v[20:21], v[6:7], v[30:31]
	v_fma_f64 v[6:7], v[18:19], v[6:7], -v[8:9]
	v_add_f64 v[26:27], v[26:27], v[22:23]
	v_add_f64 v[28:29], v[28:29], v[24:25]
	ds_load_b128 v[2:5], v1 offset:832
	ds_load_b128 v[22:25], v1 offset:848
	s_waitcnt vmcnt(1) lgkmcnt(1)
	v_mul_f64 v[119:120], v[2:3], v[12:13]
	v_mul_f64 v[12:13], v[4:5], v[12:13]
	v_add_f64 v[8:9], v[26:27], v[35:36]
	v_add_f64 v[18:19], v[28:29], v[32:33]
	s_waitcnt vmcnt(0) lgkmcnt(0)
	v_mul_f64 v[26:27], v[22:23], v[16:17]
	v_mul_f64 v[16:17], v[24:25], v[16:17]
	v_fma_f64 v[4:5], v[4:5], v[10:11], v[119:120]
	v_fma_f64 v[1:2], v[2:3], v[10:11], -v[12:13]
	v_add_f64 v[6:7], v[8:9], v[6:7]
	v_add_f64 v[8:9], v[18:19], v[20:21]
	v_fma_f64 v[10:11], v[24:25], v[14:15], v[26:27]
	v_fma_f64 v[12:13], v[22:23], v[14:15], -v[16:17]
	s_delay_alu instid0(VALU_DEP_4) | instskip(NEXT) | instid1(VALU_DEP_4)
	v_add_f64 v[1:2], v[6:7], v[1:2]
	v_add_f64 v[3:4], v[8:9], v[4:5]
	s_delay_alu instid0(VALU_DEP_2) | instskip(NEXT) | instid1(VALU_DEP_2)
	v_add_f64 v[1:2], v[1:2], v[12:13]
	v_add_f64 v[3:4], v[3:4], v[10:11]
	s_delay_alu instid0(VALU_DEP_2) | instskip(NEXT) | instid1(VALU_DEP_2)
	v_add_f64 v[1:2], v[131:132], -v[1:2]
	v_add_f64 v[3:4], v[133:134], -v[3:4]
	scratch_store_b128 off, v[1:4], off offset:192
	v_cmpx_lt_u32_e32 11, v92
	s_cbranch_execz .LBB90_153
; %bb.152:
	scratch_load_b128 v[1:4], v100, off
	v_mov_b32_e32 v5, 0
	s_delay_alu instid0(VALU_DEP_1)
	v_mov_b32_e32 v6, v5
	v_mov_b32_e32 v7, v5
	;; [unrolled: 1-line block ×3, first 2 shown]
	scratch_store_b128 off, v[5:8], off offset:176
	s_waitcnt vmcnt(0)
	ds_store_b128 v34, v[1:4]
.LBB90_153:
	s_or_b32 exec_lo, exec_lo, s2
	s_waitcnt lgkmcnt(0)
	s_waitcnt_vscnt null, 0x0
	s_barrier
	buffer_gl0_inv
	s_clause 0x7
	scratch_load_b128 v[2:5], off, off offset:192
	scratch_load_b128 v[6:9], off, off offset:208
	;; [unrolled: 1-line block ×8, first 2 shown]
	v_mov_b32_e32 v1, 0
	s_mov_b32 s2, exec_lo
	ds_load_b128 v[119:122], v1 offset:624
	s_clause 0x1
	scratch_load_b128 v[123:126], off, off offset:320
	scratch_load_b128 v[127:130], off, off offset:176
	ds_load_b128 v[131:134], v1 offset:640
	scratch_load_b128 v[135:138], off, off offset:336
	ds_load_b128 v[139:142], v1 offset:672
	s_waitcnt vmcnt(10) lgkmcnt(2)
	v_mul_f64 v[35:36], v[121:122], v[4:5]
	v_mul_f64 v[4:5], v[119:120], v[4:5]
	s_delay_alu instid0(VALU_DEP_2) | instskip(NEXT) | instid1(VALU_DEP_2)
	v_fma_f64 v[35:36], v[119:120], v[2:3], -v[35:36]
	v_fma_f64 v[145:146], v[121:122], v[2:3], v[4:5]
	ds_load_b128 v[2:5], v1 offset:656
	s_waitcnt vmcnt(9) lgkmcnt(2)
	v_mul_f64 v[143:144], v[131:132], v[8:9]
	v_mul_f64 v[8:9], v[133:134], v[8:9]
	scratch_load_b128 v[119:122], off, off offset:352
	s_waitcnt vmcnt(9) lgkmcnt(0)
	v_mul_f64 v[147:148], v[2:3], v[12:13]
	v_mul_f64 v[12:13], v[4:5], v[12:13]
	v_add_f64 v[35:36], v[35:36], 0
	v_fma_f64 v[133:134], v[133:134], v[6:7], v[143:144]
	v_fma_f64 v[131:132], v[131:132], v[6:7], -v[8:9]
	v_add_f64 v[143:144], v[145:146], 0
	scratch_load_b128 v[6:9], off, off offset:368
	v_fma_f64 v[147:148], v[4:5], v[10:11], v[147:148]
	v_fma_f64 v[149:150], v[2:3], v[10:11], -v[12:13]
	scratch_load_b128 v[10:13], off, off offset:384
	ds_load_b128 v[2:5], v1 offset:688
	s_waitcnt vmcnt(10)
	v_mul_f64 v[145:146], v[139:140], v[16:17]
	v_mul_f64 v[16:17], v[141:142], v[16:17]
	v_add_f64 v[35:36], v[35:36], v[131:132]
	v_add_f64 v[143:144], v[143:144], v[133:134]
	ds_load_b128 v[131:134], v1 offset:704
	s_waitcnt vmcnt(9) lgkmcnt(1)
	v_mul_f64 v[151:152], v[2:3], v[20:21]
	v_mul_f64 v[20:21], v[4:5], v[20:21]
	v_fma_f64 v[141:142], v[141:142], v[14:15], v[145:146]
	v_fma_f64 v[139:140], v[139:140], v[14:15], -v[16:17]
	scratch_load_b128 v[14:17], off, off offset:400
	v_add_f64 v[35:36], v[35:36], v[149:150]
	v_add_f64 v[143:144], v[143:144], v[147:148]
	v_fma_f64 v[147:148], v[4:5], v[18:19], v[151:152]
	v_fma_f64 v[149:150], v[2:3], v[18:19], -v[20:21]
	scratch_load_b128 v[18:21], off, off offset:416
	ds_load_b128 v[2:5], v1 offset:720
	s_waitcnt vmcnt(10) lgkmcnt(1)
	v_mul_f64 v[145:146], v[131:132], v[24:25]
	v_mul_f64 v[24:25], v[133:134], v[24:25]
	s_waitcnt vmcnt(9) lgkmcnt(0)
	v_mul_f64 v[151:152], v[2:3], v[28:29]
	v_mul_f64 v[28:29], v[4:5], v[28:29]
	v_add_f64 v[35:36], v[35:36], v[139:140]
	v_add_f64 v[143:144], v[143:144], v[141:142]
	ds_load_b128 v[139:142], v1 offset:736
	v_fma_f64 v[133:134], v[133:134], v[22:23], v[145:146]
	v_fma_f64 v[22:23], v[131:132], v[22:23], -v[24:25]
	s_waitcnt vmcnt(8) lgkmcnt(0)
	v_mul_f64 v[131:132], v[139:140], v[32:33]
	v_mul_f64 v[32:33], v[141:142], v[32:33]
	v_add_f64 v[24:25], v[35:36], v[149:150]
	v_add_f64 v[35:36], v[143:144], v[147:148]
	v_fma_f64 v[143:144], v[4:5], v[26:27], v[151:152]
	v_fma_f64 v[26:27], v[2:3], v[26:27], -v[28:29]
	v_fma_f64 v[131:132], v[141:142], v[30:31], v[131:132]
	v_fma_f64 v[30:31], v[139:140], v[30:31], -v[32:33]
	v_add_f64 v[28:29], v[24:25], v[22:23]
	v_add_f64 v[35:36], v[35:36], v[133:134]
	ds_load_b128 v[2:5], v1 offset:752
	ds_load_b128 v[22:25], v1 offset:768
	s_waitcnt vmcnt(7) lgkmcnt(1)
	v_mul_f64 v[133:134], v[2:3], v[125:126]
	v_mul_f64 v[125:126], v[4:5], v[125:126]
	s_waitcnt vmcnt(5) lgkmcnt(0)
	v_mul_f64 v[32:33], v[22:23], v[137:138]
	v_add_f64 v[26:27], v[28:29], v[26:27]
	v_add_f64 v[28:29], v[35:36], v[143:144]
	v_mul_f64 v[35:36], v[24:25], v[137:138]
	v_fma_f64 v[133:134], v[4:5], v[123:124], v[133:134]
	v_fma_f64 v[123:124], v[2:3], v[123:124], -v[125:126]
	v_fma_f64 v[24:25], v[24:25], v[135:136], v[32:33]
	v_add_f64 v[30:31], v[26:27], v[30:31]
	v_add_f64 v[125:126], v[28:29], v[131:132]
	ds_load_b128 v[2:5], v1 offset:784
	ds_load_b128 v[26:29], v1 offset:800
	v_fma_f64 v[22:23], v[22:23], v[135:136], -v[35:36]
	s_waitcnt vmcnt(4) lgkmcnt(1)
	v_mul_f64 v[131:132], v[2:3], v[121:122]
	v_mul_f64 v[121:122], v[4:5], v[121:122]
	v_add_f64 v[30:31], v[30:31], v[123:124]
	v_add_f64 v[32:33], v[125:126], v[133:134]
	s_waitcnt vmcnt(3) lgkmcnt(0)
	v_mul_f64 v[35:36], v[26:27], v[8:9]
	v_mul_f64 v[8:9], v[28:29], v[8:9]
	v_fma_f64 v[123:124], v[4:5], v[119:120], v[131:132]
	v_fma_f64 v[119:120], v[2:3], v[119:120], -v[121:122]
	v_add_f64 v[30:31], v[30:31], v[22:23]
	v_add_f64 v[32:33], v[32:33], v[24:25]
	ds_load_b128 v[2:5], v1 offset:816
	ds_load_b128 v[22:25], v1 offset:832
	v_fma_f64 v[28:29], v[28:29], v[6:7], v[35:36]
	v_fma_f64 v[6:7], v[26:27], v[6:7], -v[8:9]
	s_waitcnt vmcnt(2) lgkmcnt(1)
	v_mul_f64 v[121:122], v[2:3], v[12:13]
	v_mul_f64 v[12:13], v[4:5], v[12:13]
	v_add_f64 v[8:9], v[30:31], v[119:120]
	v_add_f64 v[26:27], v[32:33], v[123:124]
	s_waitcnt vmcnt(1) lgkmcnt(0)
	v_mul_f64 v[30:31], v[22:23], v[16:17]
	v_mul_f64 v[16:17], v[24:25], v[16:17]
	v_fma_f64 v[32:33], v[4:5], v[10:11], v[121:122]
	v_fma_f64 v[10:11], v[2:3], v[10:11], -v[12:13]
	ds_load_b128 v[2:5], v1 offset:848
	v_add_f64 v[6:7], v[8:9], v[6:7]
	v_add_f64 v[8:9], v[26:27], v[28:29]
	v_fma_f64 v[24:25], v[24:25], v[14:15], v[30:31]
	v_fma_f64 v[14:15], v[22:23], v[14:15], -v[16:17]
	s_waitcnt vmcnt(0) lgkmcnt(0)
	v_mul_f64 v[12:13], v[2:3], v[20:21]
	v_mul_f64 v[20:21], v[4:5], v[20:21]
	v_add_f64 v[6:7], v[6:7], v[10:11]
	v_add_f64 v[8:9], v[8:9], v[32:33]
	s_delay_alu instid0(VALU_DEP_4) | instskip(NEXT) | instid1(VALU_DEP_4)
	v_fma_f64 v[4:5], v[4:5], v[18:19], v[12:13]
	v_fma_f64 v[2:3], v[2:3], v[18:19], -v[20:21]
	s_delay_alu instid0(VALU_DEP_4) | instskip(NEXT) | instid1(VALU_DEP_4)
	v_add_f64 v[6:7], v[6:7], v[14:15]
	v_add_f64 v[8:9], v[8:9], v[24:25]
	s_delay_alu instid0(VALU_DEP_2) | instskip(NEXT) | instid1(VALU_DEP_2)
	v_add_f64 v[2:3], v[6:7], v[2:3]
	v_add_f64 v[4:5], v[8:9], v[4:5]
	s_delay_alu instid0(VALU_DEP_2) | instskip(NEXT) | instid1(VALU_DEP_2)
	v_add_f64 v[2:3], v[127:128], -v[2:3]
	v_add_f64 v[4:5], v[129:130], -v[4:5]
	scratch_store_b128 off, v[2:5], off offset:176
	v_cmpx_lt_u32_e32 10, v92
	s_cbranch_execz .LBB90_155
; %bb.154:
	scratch_load_b128 v[5:8], v101, off
	v_mov_b32_e32 v2, v1
	v_mov_b32_e32 v3, v1
	;; [unrolled: 1-line block ×3, first 2 shown]
	scratch_store_b128 off, v[1:4], off offset:160
	s_waitcnt vmcnt(0)
	ds_store_b128 v34, v[5:8]
.LBB90_155:
	s_or_b32 exec_lo, exec_lo, s2
	s_waitcnt lgkmcnt(0)
	s_waitcnt_vscnt null, 0x0
	s_barrier
	buffer_gl0_inv
	s_clause 0x8
	scratch_load_b128 v[2:5], off, off offset:176
	scratch_load_b128 v[6:9], off, off offset:192
	;; [unrolled: 1-line block ×9, first 2 shown]
	ds_load_b128 v[123:126], v1 offset:608
	ds_load_b128 v[127:130], v1 offset:624
	s_clause 0x1
	scratch_load_b128 v[131:134], off, off offset:160
	scratch_load_b128 v[135:138], off, off offset:320
	s_mov_b32 s2, exec_lo
	ds_load_b128 v[139:142], v1 offset:656
	s_waitcnt vmcnt(10) lgkmcnt(2)
	v_mul_f64 v[35:36], v[125:126], v[4:5]
	v_mul_f64 v[4:5], v[123:124], v[4:5]
	s_waitcnt vmcnt(9) lgkmcnt(1)
	v_mul_f64 v[143:144], v[127:128], v[8:9]
	v_mul_f64 v[8:9], v[129:130], v[8:9]
	s_delay_alu instid0(VALU_DEP_4) | instskip(NEXT) | instid1(VALU_DEP_4)
	v_fma_f64 v[35:36], v[123:124], v[2:3], -v[35:36]
	v_fma_f64 v[145:146], v[125:126], v[2:3], v[4:5]
	ds_load_b128 v[2:5], v1 offset:640
	scratch_load_b128 v[123:126], off, off offset:336
	v_fma_f64 v[129:130], v[129:130], v[6:7], v[143:144]
	v_fma_f64 v[127:128], v[127:128], v[6:7], -v[8:9]
	scratch_load_b128 v[6:9], off, off offset:352
	s_waitcnt vmcnt(10) lgkmcnt(0)
	v_mul_f64 v[147:148], v[2:3], v[12:13]
	v_mul_f64 v[12:13], v[4:5], v[12:13]
	v_add_f64 v[35:36], v[35:36], 0
	v_add_f64 v[143:144], v[145:146], 0
	s_waitcnt vmcnt(9)
	v_mul_f64 v[145:146], v[139:140], v[16:17]
	v_mul_f64 v[16:17], v[141:142], v[16:17]
	v_fma_f64 v[147:148], v[4:5], v[10:11], v[147:148]
	v_fma_f64 v[149:150], v[2:3], v[10:11], -v[12:13]
	ds_load_b128 v[2:5], v1 offset:672
	scratch_load_b128 v[10:13], off, off offset:368
	v_add_f64 v[35:36], v[35:36], v[127:128]
	v_add_f64 v[143:144], v[143:144], v[129:130]
	ds_load_b128 v[127:130], v1 offset:688
	v_fma_f64 v[141:142], v[141:142], v[14:15], v[145:146]
	v_fma_f64 v[139:140], v[139:140], v[14:15], -v[16:17]
	scratch_load_b128 v[14:17], off, off offset:384
	s_waitcnt vmcnt(10) lgkmcnt(1)
	v_mul_f64 v[151:152], v[2:3], v[20:21]
	v_mul_f64 v[20:21], v[4:5], v[20:21]
	s_waitcnt vmcnt(9) lgkmcnt(0)
	v_mul_f64 v[145:146], v[127:128], v[24:25]
	v_mul_f64 v[24:25], v[129:130], v[24:25]
	v_add_f64 v[35:36], v[35:36], v[149:150]
	v_add_f64 v[143:144], v[143:144], v[147:148]
	v_fma_f64 v[147:148], v[4:5], v[18:19], v[151:152]
	v_fma_f64 v[149:150], v[2:3], v[18:19], -v[20:21]
	ds_load_b128 v[2:5], v1 offset:704
	scratch_load_b128 v[18:21], off, off offset:400
	v_fma_f64 v[129:130], v[129:130], v[22:23], v[145:146]
	v_fma_f64 v[127:128], v[127:128], v[22:23], -v[24:25]
	scratch_load_b128 v[22:25], off, off offset:416
	v_add_f64 v[35:36], v[35:36], v[139:140]
	v_add_f64 v[143:144], v[143:144], v[141:142]
	ds_load_b128 v[139:142], v1 offset:720
	s_waitcnt vmcnt(10) lgkmcnt(1)
	v_mul_f64 v[151:152], v[2:3], v[28:29]
	v_mul_f64 v[28:29], v[4:5], v[28:29]
	s_waitcnt vmcnt(9) lgkmcnt(0)
	v_mul_f64 v[145:146], v[139:140], v[32:33]
	v_mul_f64 v[32:33], v[141:142], v[32:33]
	v_add_f64 v[35:36], v[35:36], v[149:150]
	v_add_f64 v[143:144], v[143:144], v[147:148]
	v_fma_f64 v[147:148], v[4:5], v[26:27], v[151:152]
	v_fma_f64 v[149:150], v[2:3], v[26:27], -v[28:29]
	ds_load_b128 v[2:5], v1 offset:736
	ds_load_b128 v[26:29], v1 offset:752
	v_fma_f64 v[141:142], v[141:142], v[30:31], v[145:146]
	v_fma_f64 v[30:31], v[139:140], v[30:31], -v[32:33]
	v_add_f64 v[35:36], v[35:36], v[127:128]
	v_add_f64 v[127:128], v[143:144], v[129:130]
	s_waitcnt vmcnt(8) lgkmcnt(1)
	v_mul_f64 v[129:130], v[2:3], v[121:122]
	v_mul_f64 v[121:122], v[4:5], v[121:122]
	s_delay_alu instid0(VALU_DEP_4) | instskip(NEXT) | instid1(VALU_DEP_4)
	v_add_f64 v[32:33], v[35:36], v[149:150]
	v_add_f64 v[35:36], v[127:128], v[147:148]
	s_waitcnt vmcnt(6) lgkmcnt(0)
	v_mul_f64 v[127:128], v[26:27], v[137:138]
	v_mul_f64 v[137:138], v[28:29], v[137:138]
	v_fma_f64 v[129:130], v[4:5], v[119:120], v[129:130]
	v_fma_f64 v[119:120], v[2:3], v[119:120], -v[121:122]
	v_add_f64 v[121:122], v[32:33], v[30:31]
	v_add_f64 v[35:36], v[35:36], v[141:142]
	ds_load_b128 v[2:5], v1 offset:768
	ds_load_b128 v[30:33], v1 offset:784
	v_fma_f64 v[28:29], v[28:29], v[135:136], v[127:128]
	v_fma_f64 v[26:27], v[26:27], v[135:136], -v[137:138]
	s_waitcnt vmcnt(5) lgkmcnt(1)
	v_mul_f64 v[139:140], v[2:3], v[125:126]
	v_mul_f64 v[125:126], v[4:5], v[125:126]
	v_add_f64 v[119:120], v[121:122], v[119:120]
	v_add_f64 v[35:36], v[35:36], v[129:130]
	s_waitcnt vmcnt(4) lgkmcnt(0)
	v_mul_f64 v[121:122], v[30:31], v[8:9]
	v_mul_f64 v[8:9], v[32:33], v[8:9]
	v_fma_f64 v[127:128], v[4:5], v[123:124], v[139:140]
	v_fma_f64 v[123:124], v[2:3], v[123:124], -v[125:126]
	v_add_f64 v[119:120], v[119:120], v[26:27]
	v_add_f64 v[35:36], v[35:36], v[28:29]
	ds_load_b128 v[2:5], v1 offset:800
	ds_load_b128 v[26:29], v1 offset:816
	v_fma_f64 v[32:33], v[32:33], v[6:7], v[121:122]
	v_fma_f64 v[6:7], v[30:31], v[6:7], -v[8:9]
	s_waitcnt vmcnt(3) lgkmcnt(1)
	v_mul_f64 v[125:126], v[2:3], v[12:13]
	v_mul_f64 v[12:13], v[4:5], v[12:13]
	;; [unrolled: 16-line block ×3, first 2 shown]
	s_waitcnt vmcnt(0) lgkmcnt(0)
	v_mul_f64 v[16:17], v[6:7], v[24:25]
	v_mul_f64 v[24:25], v[8:9], v[24:25]
	v_add_f64 v[10:11], v[12:13], v[10:11]
	v_add_f64 v[12:13], v[30:31], v[119:120]
	v_fma_f64 v[4:5], v[4:5], v[18:19], v[32:33]
	v_fma_f64 v[1:2], v[2:3], v[18:19], -v[20:21]
	v_fma_f64 v[8:9], v[8:9], v[22:23], v[16:17]
	v_fma_f64 v[6:7], v[6:7], v[22:23], -v[24:25]
	v_add_f64 v[10:11], v[10:11], v[14:15]
	v_add_f64 v[12:13], v[12:13], v[28:29]
	s_delay_alu instid0(VALU_DEP_2) | instskip(NEXT) | instid1(VALU_DEP_2)
	v_add_f64 v[1:2], v[10:11], v[1:2]
	v_add_f64 v[3:4], v[12:13], v[4:5]
	s_delay_alu instid0(VALU_DEP_2) | instskip(NEXT) | instid1(VALU_DEP_2)
	;; [unrolled: 3-line block ×3, first 2 shown]
	v_add_f64 v[1:2], v[131:132], -v[1:2]
	v_add_f64 v[3:4], v[133:134], -v[3:4]
	scratch_store_b128 off, v[1:4], off offset:160
	v_cmpx_lt_u32_e32 9, v92
	s_cbranch_execz .LBB90_157
; %bb.156:
	scratch_load_b128 v[1:4], v103, off
	v_mov_b32_e32 v5, 0
	s_delay_alu instid0(VALU_DEP_1)
	v_mov_b32_e32 v6, v5
	v_mov_b32_e32 v7, v5
	;; [unrolled: 1-line block ×3, first 2 shown]
	scratch_store_b128 off, v[5:8], off offset:144
	s_waitcnt vmcnt(0)
	ds_store_b128 v34, v[1:4]
.LBB90_157:
	s_or_b32 exec_lo, exec_lo, s2
	s_waitcnt lgkmcnt(0)
	s_waitcnt_vscnt null, 0x0
	s_barrier
	buffer_gl0_inv
	s_clause 0x7
	scratch_load_b128 v[2:5], off, off offset:160
	scratch_load_b128 v[6:9], off, off offset:176
	;; [unrolled: 1-line block ×8, first 2 shown]
	v_mov_b32_e32 v1, 0
	s_mov_b32 s2, exec_lo
	ds_load_b128 v[119:122], v1 offset:592
	s_clause 0x1
	scratch_load_b128 v[123:126], off, off offset:288
	scratch_load_b128 v[127:130], off, off offset:144
	ds_load_b128 v[131:134], v1 offset:608
	scratch_load_b128 v[135:138], off, off offset:304
	ds_load_b128 v[139:142], v1 offset:640
	s_waitcnt vmcnt(10) lgkmcnt(2)
	v_mul_f64 v[35:36], v[121:122], v[4:5]
	v_mul_f64 v[4:5], v[119:120], v[4:5]
	s_delay_alu instid0(VALU_DEP_2) | instskip(NEXT) | instid1(VALU_DEP_2)
	v_fma_f64 v[35:36], v[119:120], v[2:3], -v[35:36]
	v_fma_f64 v[145:146], v[121:122], v[2:3], v[4:5]
	ds_load_b128 v[2:5], v1 offset:624
	s_waitcnt vmcnt(9) lgkmcnt(2)
	v_mul_f64 v[143:144], v[131:132], v[8:9]
	v_mul_f64 v[8:9], v[133:134], v[8:9]
	scratch_load_b128 v[119:122], off, off offset:320
	s_waitcnt vmcnt(9) lgkmcnt(0)
	v_mul_f64 v[147:148], v[2:3], v[12:13]
	v_mul_f64 v[12:13], v[4:5], v[12:13]
	v_add_f64 v[35:36], v[35:36], 0
	v_fma_f64 v[133:134], v[133:134], v[6:7], v[143:144]
	v_fma_f64 v[131:132], v[131:132], v[6:7], -v[8:9]
	v_add_f64 v[143:144], v[145:146], 0
	scratch_load_b128 v[6:9], off, off offset:336
	v_fma_f64 v[147:148], v[4:5], v[10:11], v[147:148]
	v_fma_f64 v[149:150], v[2:3], v[10:11], -v[12:13]
	scratch_load_b128 v[10:13], off, off offset:352
	ds_load_b128 v[2:5], v1 offset:656
	s_waitcnt vmcnt(10)
	v_mul_f64 v[145:146], v[139:140], v[16:17]
	v_mul_f64 v[16:17], v[141:142], v[16:17]
	v_add_f64 v[35:36], v[35:36], v[131:132]
	v_add_f64 v[143:144], v[143:144], v[133:134]
	ds_load_b128 v[131:134], v1 offset:672
	s_waitcnt vmcnt(9) lgkmcnt(1)
	v_mul_f64 v[151:152], v[2:3], v[20:21]
	v_mul_f64 v[20:21], v[4:5], v[20:21]
	v_fma_f64 v[141:142], v[141:142], v[14:15], v[145:146]
	v_fma_f64 v[139:140], v[139:140], v[14:15], -v[16:17]
	scratch_load_b128 v[14:17], off, off offset:368
	v_add_f64 v[35:36], v[35:36], v[149:150]
	v_add_f64 v[143:144], v[143:144], v[147:148]
	v_fma_f64 v[147:148], v[4:5], v[18:19], v[151:152]
	v_fma_f64 v[149:150], v[2:3], v[18:19], -v[20:21]
	scratch_load_b128 v[18:21], off, off offset:384
	ds_load_b128 v[2:5], v1 offset:688
	s_waitcnt vmcnt(10) lgkmcnt(1)
	v_mul_f64 v[145:146], v[131:132], v[24:25]
	v_mul_f64 v[24:25], v[133:134], v[24:25]
	s_waitcnt vmcnt(9) lgkmcnt(0)
	v_mul_f64 v[151:152], v[2:3], v[28:29]
	v_mul_f64 v[28:29], v[4:5], v[28:29]
	v_add_f64 v[35:36], v[35:36], v[139:140]
	v_add_f64 v[143:144], v[143:144], v[141:142]
	ds_load_b128 v[139:142], v1 offset:704
	v_fma_f64 v[133:134], v[133:134], v[22:23], v[145:146]
	v_fma_f64 v[131:132], v[131:132], v[22:23], -v[24:25]
	scratch_load_b128 v[22:25], off, off offset:400
	v_add_f64 v[35:36], v[35:36], v[149:150]
	v_add_f64 v[143:144], v[143:144], v[147:148]
	v_fma_f64 v[147:148], v[4:5], v[26:27], v[151:152]
	v_fma_f64 v[149:150], v[2:3], v[26:27], -v[28:29]
	scratch_load_b128 v[26:29], off, off offset:416
	ds_load_b128 v[2:5], v1 offset:720
	s_waitcnt vmcnt(10) lgkmcnt(1)
	v_mul_f64 v[145:146], v[139:140], v[32:33]
	v_mul_f64 v[32:33], v[141:142], v[32:33]
	s_waitcnt vmcnt(9) lgkmcnt(0)
	v_mul_f64 v[151:152], v[2:3], v[125:126]
	v_mul_f64 v[125:126], v[4:5], v[125:126]
	v_add_f64 v[35:36], v[35:36], v[131:132]
	v_add_f64 v[143:144], v[143:144], v[133:134]
	ds_load_b128 v[131:134], v1 offset:736
	v_fma_f64 v[141:142], v[141:142], v[30:31], v[145:146]
	v_fma_f64 v[30:31], v[139:140], v[30:31], -v[32:33]
	s_waitcnt vmcnt(7) lgkmcnt(0)
	v_mul_f64 v[139:140], v[131:132], v[137:138]
	v_mul_f64 v[137:138], v[133:134], v[137:138]
	v_add_f64 v[32:33], v[35:36], v[149:150]
	v_add_f64 v[35:36], v[143:144], v[147:148]
	v_fma_f64 v[143:144], v[4:5], v[123:124], v[151:152]
	v_fma_f64 v[123:124], v[2:3], v[123:124], -v[125:126]
	v_fma_f64 v[133:134], v[133:134], v[135:136], v[139:140]
	v_fma_f64 v[131:132], v[131:132], v[135:136], -v[137:138]
	v_add_f64 v[125:126], v[32:33], v[30:31]
	v_add_f64 v[35:36], v[35:36], v[141:142]
	ds_load_b128 v[2:5], v1 offset:752
	ds_load_b128 v[30:33], v1 offset:768
	s_waitcnt vmcnt(6) lgkmcnt(1)
	v_mul_f64 v[141:142], v[2:3], v[121:122]
	v_mul_f64 v[121:122], v[4:5], v[121:122]
	v_add_f64 v[123:124], v[125:126], v[123:124]
	v_add_f64 v[35:36], v[35:36], v[143:144]
	s_waitcnt vmcnt(5) lgkmcnt(0)
	v_mul_f64 v[125:126], v[30:31], v[8:9]
	v_mul_f64 v[8:9], v[32:33], v[8:9]
	v_fma_f64 v[135:136], v[4:5], v[119:120], v[141:142]
	v_fma_f64 v[137:138], v[2:3], v[119:120], -v[121:122]
	ds_load_b128 v[2:5], v1 offset:784
	ds_load_b128 v[119:122], v1 offset:800
	v_add_f64 v[123:124], v[123:124], v[131:132]
	v_add_f64 v[35:36], v[35:36], v[133:134]
	s_waitcnt vmcnt(4) lgkmcnt(1)
	v_mul_f64 v[131:132], v[2:3], v[12:13]
	v_mul_f64 v[12:13], v[4:5], v[12:13]
	v_fma_f64 v[32:33], v[32:33], v[6:7], v[125:126]
	v_fma_f64 v[6:7], v[30:31], v[6:7], -v[8:9]
	v_add_f64 v[8:9], v[123:124], v[137:138]
	v_add_f64 v[30:31], v[35:36], v[135:136]
	s_waitcnt vmcnt(3) lgkmcnt(0)
	v_mul_f64 v[35:36], v[119:120], v[16:17]
	v_mul_f64 v[16:17], v[121:122], v[16:17]
	v_fma_f64 v[123:124], v[4:5], v[10:11], v[131:132]
	v_fma_f64 v[10:11], v[2:3], v[10:11], -v[12:13]
	v_add_f64 v[12:13], v[8:9], v[6:7]
	v_add_f64 v[30:31], v[30:31], v[32:33]
	ds_load_b128 v[2:5], v1 offset:816
	ds_load_b128 v[6:9], v1 offset:832
	v_fma_f64 v[35:36], v[121:122], v[14:15], v[35:36]
	v_fma_f64 v[14:15], v[119:120], v[14:15], -v[16:17]
	s_waitcnt vmcnt(2) lgkmcnt(1)
	v_mul_f64 v[32:33], v[2:3], v[20:21]
	v_mul_f64 v[20:21], v[4:5], v[20:21]
	s_waitcnt vmcnt(1) lgkmcnt(0)
	v_mul_f64 v[16:17], v[6:7], v[24:25]
	v_mul_f64 v[24:25], v[8:9], v[24:25]
	v_add_f64 v[10:11], v[12:13], v[10:11]
	v_add_f64 v[12:13], v[30:31], v[123:124]
	v_fma_f64 v[30:31], v[4:5], v[18:19], v[32:33]
	v_fma_f64 v[18:19], v[2:3], v[18:19], -v[20:21]
	ds_load_b128 v[2:5], v1 offset:848
	v_fma_f64 v[8:9], v[8:9], v[22:23], v[16:17]
	v_fma_f64 v[6:7], v[6:7], v[22:23], -v[24:25]
	v_add_f64 v[10:11], v[10:11], v[14:15]
	v_add_f64 v[12:13], v[12:13], v[35:36]
	s_waitcnt vmcnt(0) lgkmcnt(0)
	v_mul_f64 v[14:15], v[2:3], v[28:29]
	v_mul_f64 v[20:21], v[4:5], v[28:29]
	s_delay_alu instid0(VALU_DEP_4) | instskip(NEXT) | instid1(VALU_DEP_4)
	v_add_f64 v[10:11], v[10:11], v[18:19]
	v_add_f64 v[12:13], v[12:13], v[30:31]
	s_delay_alu instid0(VALU_DEP_4) | instskip(NEXT) | instid1(VALU_DEP_4)
	v_fma_f64 v[4:5], v[4:5], v[26:27], v[14:15]
	v_fma_f64 v[2:3], v[2:3], v[26:27], -v[20:21]
	s_delay_alu instid0(VALU_DEP_4) | instskip(NEXT) | instid1(VALU_DEP_4)
	v_add_f64 v[6:7], v[10:11], v[6:7]
	v_add_f64 v[8:9], v[12:13], v[8:9]
	s_delay_alu instid0(VALU_DEP_2) | instskip(NEXT) | instid1(VALU_DEP_2)
	v_add_f64 v[2:3], v[6:7], v[2:3]
	v_add_f64 v[4:5], v[8:9], v[4:5]
	s_delay_alu instid0(VALU_DEP_2) | instskip(NEXT) | instid1(VALU_DEP_2)
	v_add_f64 v[2:3], v[127:128], -v[2:3]
	v_add_f64 v[4:5], v[129:130], -v[4:5]
	scratch_store_b128 off, v[2:5], off offset:144
	v_cmpx_lt_u32_e32 8, v92
	s_cbranch_execz .LBB90_159
; %bb.158:
	scratch_load_b128 v[5:8], v102, off
	v_mov_b32_e32 v2, v1
	v_mov_b32_e32 v3, v1
	;; [unrolled: 1-line block ×3, first 2 shown]
	scratch_store_b128 off, v[1:4], off offset:128
	s_waitcnt vmcnt(0)
	ds_store_b128 v34, v[5:8]
.LBB90_159:
	s_or_b32 exec_lo, exec_lo, s2
	s_waitcnt lgkmcnt(0)
	s_waitcnt_vscnt null, 0x0
	s_barrier
	buffer_gl0_inv
	s_clause 0x8
	scratch_load_b128 v[2:5], off, off offset:144
	scratch_load_b128 v[6:9], off, off offset:160
	;; [unrolled: 1-line block ×9, first 2 shown]
	ds_load_b128 v[123:126], v1 offset:576
	ds_load_b128 v[127:130], v1 offset:592
	s_clause 0x1
	scratch_load_b128 v[131:134], off, off offset:128
	scratch_load_b128 v[135:138], off, off offset:288
	s_mov_b32 s2, exec_lo
	ds_load_b128 v[139:142], v1 offset:624
	s_waitcnt vmcnt(10) lgkmcnt(2)
	v_mul_f64 v[35:36], v[125:126], v[4:5]
	v_mul_f64 v[4:5], v[123:124], v[4:5]
	s_waitcnt vmcnt(9) lgkmcnt(1)
	v_mul_f64 v[143:144], v[127:128], v[8:9]
	v_mul_f64 v[8:9], v[129:130], v[8:9]
	s_delay_alu instid0(VALU_DEP_4) | instskip(NEXT) | instid1(VALU_DEP_4)
	v_fma_f64 v[35:36], v[123:124], v[2:3], -v[35:36]
	v_fma_f64 v[145:146], v[125:126], v[2:3], v[4:5]
	ds_load_b128 v[2:5], v1 offset:608
	scratch_load_b128 v[123:126], off, off offset:304
	v_fma_f64 v[129:130], v[129:130], v[6:7], v[143:144]
	v_fma_f64 v[127:128], v[127:128], v[6:7], -v[8:9]
	scratch_load_b128 v[6:9], off, off offset:320
	s_waitcnt vmcnt(10) lgkmcnt(0)
	v_mul_f64 v[147:148], v[2:3], v[12:13]
	v_mul_f64 v[12:13], v[4:5], v[12:13]
	v_add_f64 v[35:36], v[35:36], 0
	v_add_f64 v[143:144], v[145:146], 0
	s_waitcnt vmcnt(9)
	v_mul_f64 v[145:146], v[139:140], v[16:17]
	v_mul_f64 v[16:17], v[141:142], v[16:17]
	v_fma_f64 v[147:148], v[4:5], v[10:11], v[147:148]
	v_fma_f64 v[149:150], v[2:3], v[10:11], -v[12:13]
	ds_load_b128 v[2:5], v1 offset:640
	scratch_load_b128 v[10:13], off, off offset:336
	v_add_f64 v[35:36], v[35:36], v[127:128]
	v_add_f64 v[143:144], v[143:144], v[129:130]
	ds_load_b128 v[127:130], v1 offset:656
	v_fma_f64 v[141:142], v[141:142], v[14:15], v[145:146]
	v_fma_f64 v[139:140], v[139:140], v[14:15], -v[16:17]
	scratch_load_b128 v[14:17], off, off offset:352
	s_waitcnt vmcnt(10) lgkmcnt(1)
	v_mul_f64 v[151:152], v[2:3], v[20:21]
	v_mul_f64 v[20:21], v[4:5], v[20:21]
	s_waitcnt vmcnt(9) lgkmcnt(0)
	v_mul_f64 v[145:146], v[127:128], v[24:25]
	v_mul_f64 v[24:25], v[129:130], v[24:25]
	v_add_f64 v[35:36], v[35:36], v[149:150]
	v_add_f64 v[143:144], v[143:144], v[147:148]
	v_fma_f64 v[147:148], v[4:5], v[18:19], v[151:152]
	v_fma_f64 v[149:150], v[2:3], v[18:19], -v[20:21]
	ds_load_b128 v[2:5], v1 offset:672
	scratch_load_b128 v[18:21], off, off offset:368
	v_fma_f64 v[129:130], v[129:130], v[22:23], v[145:146]
	v_fma_f64 v[127:128], v[127:128], v[22:23], -v[24:25]
	scratch_load_b128 v[22:25], off, off offset:384
	v_add_f64 v[35:36], v[35:36], v[139:140]
	v_add_f64 v[143:144], v[143:144], v[141:142]
	ds_load_b128 v[139:142], v1 offset:688
	s_waitcnt vmcnt(10) lgkmcnt(1)
	v_mul_f64 v[151:152], v[2:3], v[28:29]
	v_mul_f64 v[28:29], v[4:5], v[28:29]
	s_waitcnt vmcnt(9) lgkmcnt(0)
	v_mul_f64 v[145:146], v[139:140], v[32:33]
	v_mul_f64 v[32:33], v[141:142], v[32:33]
	v_add_f64 v[35:36], v[35:36], v[149:150]
	v_add_f64 v[143:144], v[143:144], v[147:148]
	v_fma_f64 v[147:148], v[4:5], v[26:27], v[151:152]
	v_fma_f64 v[149:150], v[2:3], v[26:27], -v[28:29]
	ds_load_b128 v[2:5], v1 offset:704
	scratch_load_b128 v[26:29], off, off offset:400
	v_fma_f64 v[141:142], v[141:142], v[30:31], v[145:146]
	v_fma_f64 v[139:140], v[139:140], v[30:31], -v[32:33]
	scratch_load_b128 v[30:33], off, off offset:416
	v_add_f64 v[35:36], v[35:36], v[127:128]
	v_add_f64 v[143:144], v[143:144], v[129:130]
	ds_load_b128 v[127:130], v1 offset:720
	s_waitcnt vmcnt(10) lgkmcnt(1)
	v_mul_f64 v[151:152], v[2:3], v[121:122]
	v_mul_f64 v[121:122], v[4:5], v[121:122]
	s_waitcnt vmcnt(8) lgkmcnt(0)
	v_mul_f64 v[145:146], v[127:128], v[137:138]
	v_mul_f64 v[137:138], v[129:130], v[137:138]
	v_add_f64 v[35:36], v[35:36], v[149:150]
	v_add_f64 v[143:144], v[143:144], v[147:148]
	v_fma_f64 v[147:148], v[4:5], v[119:120], v[151:152]
	v_fma_f64 v[149:150], v[2:3], v[119:120], -v[121:122]
	ds_load_b128 v[2:5], v1 offset:736
	ds_load_b128 v[119:122], v1 offset:752
	v_fma_f64 v[129:130], v[129:130], v[135:136], v[145:146]
	v_fma_f64 v[127:128], v[127:128], v[135:136], -v[137:138]
	v_add_f64 v[35:36], v[35:36], v[139:140]
	v_add_f64 v[139:140], v[143:144], v[141:142]
	s_waitcnt vmcnt(7) lgkmcnt(1)
	v_mul_f64 v[141:142], v[2:3], v[125:126]
	v_mul_f64 v[125:126], v[4:5], v[125:126]
	s_waitcnt vmcnt(6) lgkmcnt(0)
	v_mul_f64 v[137:138], v[119:120], v[8:9]
	v_mul_f64 v[8:9], v[121:122], v[8:9]
	v_add_f64 v[35:36], v[35:36], v[149:150]
	v_add_f64 v[135:136], v[139:140], v[147:148]
	v_fma_f64 v[139:140], v[4:5], v[123:124], v[141:142]
	v_fma_f64 v[141:142], v[2:3], v[123:124], -v[125:126]
	ds_load_b128 v[2:5], v1 offset:768
	ds_load_b128 v[123:126], v1 offset:784
	v_fma_f64 v[121:122], v[121:122], v[6:7], v[137:138]
	v_fma_f64 v[6:7], v[119:120], v[6:7], -v[8:9]
	v_add_f64 v[35:36], v[35:36], v[127:128]
	v_add_f64 v[127:128], v[135:136], v[129:130]
	s_waitcnt vmcnt(5) lgkmcnt(1)
	v_mul_f64 v[129:130], v[2:3], v[12:13]
	v_mul_f64 v[12:13], v[4:5], v[12:13]
	s_waitcnt vmcnt(4) lgkmcnt(0)
	v_mul_f64 v[119:120], v[123:124], v[16:17]
	v_mul_f64 v[16:17], v[125:126], v[16:17]
	v_add_f64 v[8:9], v[35:36], v[141:142]
	v_add_f64 v[35:36], v[127:128], v[139:140]
	v_fma_f64 v[127:128], v[4:5], v[10:11], v[129:130]
	v_fma_f64 v[10:11], v[2:3], v[10:11], -v[12:13]
	v_fma_f64 v[119:120], v[125:126], v[14:15], v[119:120]
	v_fma_f64 v[14:15], v[123:124], v[14:15], -v[16:17]
	v_add_f64 v[12:13], v[8:9], v[6:7]
	v_add_f64 v[35:36], v[35:36], v[121:122]
	ds_load_b128 v[2:5], v1 offset:800
	ds_load_b128 v[6:9], v1 offset:816
	s_waitcnt vmcnt(3) lgkmcnt(1)
	v_mul_f64 v[121:122], v[2:3], v[20:21]
	v_mul_f64 v[20:21], v[4:5], v[20:21]
	s_waitcnt vmcnt(2) lgkmcnt(0)
	v_mul_f64 v[16:17], v[6:7], v[24:25]
	v_mul_f64 v[24:25], v[8:9], v[24:25]
	v_add_f64 v[10:11], v[12:13], v[10:11]
	v_add_f64 v[12:13], v[35:36], v[127:128]
	v_fma_f64 v[35:36], v[4:5], v[18:19], v[121:122]
	v_fma_f64 v[18:19], v[2:3], v[18:19], -v[20:21]
	v_fma_f64 v[8:9], v[8:9], v[22:23], v[16:17]
	v_fma_f64 v[6:7], v[6:7], v[22:23], -v[24:25]
	v_add_f64 v[14:15], v[10:11], v[14:15]
	v_add_f64 v[20:21], v[12:13], v[119:120]
	ds_load_b128 v[2:5], v1 offset:832
	ds_load_b128 v[10:13], v1 offset:848
	s_waitcnt vmcnt(1) lgkmcnt(1)
	v_mul_f64 v[119:120], v[2:3], v[28:29]
	v_mul_f64 v[28:29], v[4:5], v[28:29]
	v_add_f64 v[14:15], v[14:15], v[18:19]
	v_add_f64 v[16:17], v[20:21], v[35:36]
	s_waitcnt vmcnt(0) lgkmcnt(0)
	v_mul_f64 v[18:19], v[10:11], v[32:33]
	v_mul_f64 v[20:21], v[12:13], v[32:33]
	v_fma_f64 v[4:5], v[4:5], v[26:27], v[119:120]
	v_fma_f64 v[1:2], v[2:3], v[26:27], -v[28:29]
	v_add_f64 v[6:7], v[14:15], v[6:7]
	v_add_f64 v[8:9], v[16:17], v[8:9]
	v_fma_f64 v[12:13], v[12:13], v[30:31], v[18:19]
	v_fma_f64 v[10:11], v[10:11], v[30:31], -v[20:21]
	s_delay_alu instid0(VALU_DEP_4) | instskip(NEXT) | instid1(VALU_DEP_4)
	v_add_f64 v[1:2], v[6:7], v[1:2]
	v_add_f64 v[3:4], v[8:9], v[4:5]
	s_delay_alu instid0(VALU_DEP_2) | instskip(NEXT) | instid1(VALU_DEP_2)
	v_add_f64 v[1:2], v[1:2], v[10:11]
	v_add_f64 v[3:4], v[3:4], v[12:13]
	s_delay_alu instid0(VALU_DEP_2) | instskip(NEXT) | instid1(VALU_DEP_2)
	v_add_f64 v[1:2], v[131:132], -v[1:2]
	v_add_f64 v[3:4], v[133:134], -v[3:4]
	scratch_store_b128 off, v[1:4], off offset:128
	v_cmpx_lt_u32_e32 7, v92
	s_cbranch_execz .LBB90_161
; %bb.160:
	scratch_load_b128 v[1:4], v104, off
	v_mov_b32_e32 v5, 0
	s_delay_alu instid0(VALU_DEP_1)
	v_mov_b32_e32 v6, v5
	v_mov_b32_e32 v7, v5
	v_mov_b32_e32 v8, v5
	scratch_store_b128 off, v[5:8], off offset:112
	s_waitcnt vmcnt(0)
	ds_store_b128 v34, v[1:4]
.LBB90_161:
	s_or_b32 exec_lo, exec_lo, s2
	s_waitcnt lgkmcnt(0)
	s_waitcnt_vscnt null, 0x0
	s_barrier
	buffer_gl0_inv
	s_clause 0x7
	scratch_load_b128 v[2:5], off, off offset:128
	scratch_load_b128 v[6:9], off, off offset:144
	;; [unrolled: 1-line block ×8, first 2 shown]
	v_mov_b32_e32 v1, 0
	s_mov_b32 s2, exec_lo
	ds_load_b128 v[119:122], v1 offset:560
	s_clause 0x1
	scratch_load_b128 v[123:126], off, off offset:256
	scratch_load_b128 v[127:130], off, off offset:112
	ds_load_b128 v[131:134], v1 offset:576
	scratch_load_b128 v[135:138], off, off offset:272
	ds_load_b128 v[139:142], v1 offset:608
	s_waitcnt vmcnt(10) lgkmcnt(2)
	v_mul_f64 v[35:36], v[121:122], v[4:5]
	v_mul_f64 v[4:5], v[119:120], v[4:5]
	s_delay_alu instid0(VALU_DEP_2) | instskip(NEXT) | instid1(VALU_DEP_2)
	v_fma_f64 v[35:36], v[119:120], v[2:3], -v[35:36]
	v_fma_f64 v[145:146], v[121:122], v[2:3], v[4:5]
	ds_load_b128 v[2:5], v1 offset:592
	s_waitcnt vmcnt(9) lgkmcnt(2)
	v_mul_f64 v[143:144], v[131:132], v[8:9]
	v_mul_f64 v[8:9], v[133:134], v[8:9]
	scratch_load_b128 v[119:122], off, off offset:288
	s_waitcnt vmcnt(9) lgkmcnt(0)
	v_mul_f64 v[147:148], v[2:3], v[12:13]
	v_mul_f64 v[12:13], v[4:5], v[12:13]
	v_add_f64 v[35:36], v[35:36], 0
	v_fma_f64 v[133:134], v[133:134], v[6:7], v[143:144]
	v_fma_f64 v[131:132], v[131:132], v[6:7], -v[8:9]
	v_add_f64 v[143:144], v[145:146], 0
	scratch_load_b128 v[6:9], off, off offset:304
	v_fma_f64 v[147:148], v[4:5], v[10:11], v[147:148]
	v_fma_f64 v[149:150], v[2:3], v[10:11], -v[12:13]
	scratch_load_b128 v[10:13], off, off offset:320
	ds_load_b128 v[2:5], v1 offset:624
	s_waitcnt vmcnt(10)
	v_mul_f64 v[145:146], v[139:140], v[16:17]
	v_mul_f64 v[16:17], v[141:142], v[16:17]
	v_add_f64 v[35:36], v[35:36], v[131:132]
	v_add_f64 v[143:144], v[143:144], v[133:134]
	ds_load_b128 v[131:134], v1 offset:640
	s_waitcnt vmcnt(9) lgkmcnt(1)
	v_mul_f64 v[151:152], v[2:3], v[20:21]
	v_mul_f64 v[20:21], v[4:5], v[20:21]
	v_fma_f64 v[141:142], v[141:142], v[14:15], v[145:146]
	v_fma_f64 v[139:140], v[139:140], v[14:15], -v[16:17]
	scratch_load_b128 v[14:17], off, off offset:336
	v_add_f64 v[35:36], v[35:36], v[149:150]
	v_add_f64 v[143:144], v[143:144], v[147:148]
	v_fma_f64 v[147:148], v[4:5], v[18:19], v[151:152]
	v_fma_f64 v[149:150], v[2:3], v[18:19], -v[20:21]
	scratch_load_b128 v[18:21], off, off offset:352
	ds_load_b128 v[2:5], v1 offset:656
	s_waitcnt vmcnt(10) lgkmcnt(1)
	v_mul_f64 v[145:146], v[131:132], v[24:25]
	v_mul_f64 v[24:25], v[133:134], v[24:25]
	s_waitcnt vmcnt(9) lgkmcnt(0)
	v_mul_f64 v[151:152], v[2:3], v[28:29]
	v_mul_f64 v[28:29], v[4:5], v[28:29]
	v_add_f64 v[35:36], v[35:36], v[139:140]
	v_add_f64 v[143:144], v[143:144], v[141:142]
	ds_load_b128 v[139:142], v1 offset:672
	v_fma_f64 v[133:134], v[133:134], v[22:23], v[145:146]
	v_fma_f64 v[131:132], v[131:132], v[22:23], -v[24:25]
	scratch_load_b128 v[22:25], off, off offset:368
	v_add_f64 v[35:36], v[35:36], v[149:150]
	v_add_f64 v[143:144], v[143:144], v[147:148]
	v_fma_f64 v[147:148], v[4:5], v[26:27], v[151:152]
	v_fma_f64 v[149:150], v[2:3], v[26:27], -v[28:29]
	scratch_load_b128 v[26:29], off, off offset:384
	ds_load_b128 v[2:5], v1 offset:688
	s_waitcnt vmcnt(10) lgkmcnt(1)
	v_mul_f64 v[145:146], v[139:140], v[32:33]
	v_mul_f64 v[32:33], v[141:142], v[32:33]
	s_waitcnt vmcnt(9) lgkmcnt(0)
	v_mul_f64 v[151:152], v[2:3], v[125:126]
	v_mul_f64 v[125:126], v[4:5], v[125:126]
	v_add_f64 v[35:36], v[35:36], v[131:132]
	v_add_f64 v[143:144], v[143:144], v[133:134]
	ds_load_b128 v[131:134], v1 offset:704
	v_fma_f64 v[141:142], v[141:142], v[30:31], v[145:146]
	v_fma_f64 v[139:140], v[139:140], v[30:31], -v[32:33]
	scratch_load_b128 v[30:33], off, off offset:400
	v_add_f64 v[35:36], v[35:36], v[149:150]
	v_add_f64 v[143:144], v[143:144], v[147:148]
	v_fma_f64 v[149:150], v[4:5], v[123:124], v[151:152]
	v_fma_f64 v[151:152], v[2:3], v[123:124], -v[125:126]
	scratch_load_b128 v[123:126], off, off offset:416
	ds_load_b128 v[2:5], v1 offset:720
	s_waitcnt vmcnt(9) lgkmcnt(1)
	v_mul_f64 v[145:146], v[131:132], v[137:138]
	v_mul_f64 v[147:148], v[133:134], v[137:138]
	v_add_f64 v[35:36], v[35:36], v[139:140]
	v_add_f64 v[141:142], v[143:144], v[141:142]
	ds_load_b128 v[137:140], v1 offset:736
	v_fma_f64 v[133:134], v[133:134], v[135:136], v[145:146]
	v_fma_f64 v[131:132], v[131:132], v[135:136], -v[147:148]
	s_waitcnt vmcnt(8) lgkmcnt(1)
	v_mul_f64 v[143:144], v[2:3], v[121:122]
	v_mul_f64 v[121:122], v[4:5], v[121:122]
	v_add_f64 v[35:36], v[35:36], v[151:152]
	v_add_f64 v[135:136], v[141:142], v[149:150]
	s_delay_alu instid0(VALU_DEP_4)
	v_fma_f64 v[143:144], v[4:5], v[119:120], v[143:144]
	s_waitcnt vmcnt(7) lgkmcnt(0)
	v_mul_f64 v[141:142], v[137:138], v[8:9]
	v_mul_f64 v[8:9], v[139:140], v[8:9]
	v_fma_f64 v[145:146], v[2:3], v[119:120], -v[121:122]
	ds_load_b128 v[2:5], v1 offset:752
	ds_load_b128 v[119:122], v1 offset:768
	v_add_f64 v[35:36], v[35:36], v[131:132]
	v_add_f64 v[131:132], v[135:136], v[133:134]
	s_waitcnt vmcnt(6) lgkmcnt(1)
	v_mul_f64 v[133:134], v[2:3], v[12:13]
	v_mul_f64 v[12:13], v[4:5], v[12:13]
	v_fma_f64 v[135:136], v[139:140], v[6:7], v[141:142]
	v_fma_f64 v[6:7], v[137:138], v[6:7], -v[8:9]
	v_add_f64 v[8:9], v[35:36], v[145:146]
	v_add_f64 v[35:36], v[131:132], v[143:144]
	s_waitcnt vmcnt(5) lgkmcnt(0)
	v_mul_f64 v[131:132], v[119:120], v[16:17]
	v_mul_f64 v[16:17], v[121:122], v[16:17]
	v_fma_f64 v[133:134], v[4:5], v[10:11], v[133:134]
	v_fma_f64 v[10:11], v[2:3], v[10:11], -v[12:13]
	v_add_f64 v[12:13], v[8:9], v[6:7]
	v_add_f64 v[35:36], v[35:36], v[135:136]
	ds_load_b128 v[2:5], v1 offset:784
	ds_load_b128 v[6:9], v1 offset:800
	v_fma_f64 v[121:122], v[121:122], v[14:15], v[131:132]
	v_fma_f64 v[14:15], v[119:120], v[14:15], -v[16:17]
	s_waitcnt vmcnt(4) lgkmcnt(1)
	v_mul_f64 v[135:136], v[2:3], v[20:21]
	v_mul_f64 v[20:21], v[4:5], v[20:21]
	s_waitcnt vmcnt(3) lgkmcnt(0)
	v_mul_f64 v[16:17], v[6:7], v[24:25]
	v_mul_f64 v[24:25], v[8:9], v[24:25]
	v_add_f64 v[10:11], v[12:13], v[10:11]
	v_add_f64 v[12:13], v[35:36], v[133:134]
	v_fma_f64 v[35:36], v[4:5], v[18:19], v[135:136]
	v_fma_f64 v[18:19], v[2:3], v[18:19], -v[20:21]
	v_fma_f64 v[8:9], v[8:9], v[22:23], v[16:17]
	v_fma_f64 v[6:7], v[6:7], v[22:23], -v[24:25]
	v_add_f64 v[14:15], v[10:11], v[14:15]
	v_add_f64 v[20:21], v[12:13], v[121:122]
	ds_load_b128 v[2:5], v1 offset:816
	ds_load_b128 v[10:13], v1 offset:832
	s_waitcnt vmcnt(2) lgkmcnt(1)
	v_mul_f64 v[119:120], v[2:3], v[28:29]
	v_mul_f64 v[28:29], v[4:5], v[28:29]
	v_add_f64 v[14:15], v[14:15], v[18:19]
	v_add_f64 v[16:17], v[20:21], v[35:36]
	s_waitcnt vmcnt(1) lgkmcnt(0)
	v_mul_f64 v[18:19], v[10:11], v[32:33]
	v_mul_f64 v[20:21], v[12:13], v[32:33]
	v_fma_f64 v[22:23], v[4:5], v[26:27], v[119:120]
	v_fma_f64 v[24:25], v[2:3], v[26:27], -v[28:29]
	ds_load_b128 v[2:5], v1 offset:848
	v_add_f64 v[6:7], v[14:15], v[6:7]
	v_add_f64 v[8:9], v[16:17], v[8:9]
	v_fma_f64 v[12:13], v[12:13], v[30:31], v[18:19]
	v_fma_f64 v[10:11], v[10:11], v[30:31], -v[20:21]
	s_waitcnt vmcnt(0) lgkmcnt(0)
	v_mul_f64 v[14:15], v[2:3], v[125:126]
	v_mul_f64 v[16:17], v[4:5], v[125:126]
	v_add_f64 v[6:7], v[6:7], v[24:25]
	v_add_f64 v[8:9], v[8:9], v[22:23]
	s_delay_alu instid0(VALU_DEP_4) | instskip(NEXT) | instid1(VALU_DEP_4)
	v_fma_f64 v[4:5], v[4:5], v[123:124], v[14:15]
	v_fma_f64 v[2:3], v[2:3], v[123:124], -v[16:17]
	s_delay_alu instid0(VALU_DEP_4) | instskip(NEXT) | instid1(VALU_DEP_4)
	v_add_f64 v[6:7], v[6:7], v[10:11]
	v_add_f64 v[8:9], v[8:9], v[12:13]
	s_delay_alu instid0(VALU_DEP_2) | instskip(NEXT) | instid1(VALU_DEP_2)
	v_add_f64 v[2:3], v[6:7], v[2:3]
	v_add_f64 v[4:5], v[8:9], v[4:5]
	s_delay_alu instid0(VALU_DEP_2) | instskip(NEXT) | instid1(VALU_DEP_2)
	v_add_f64 v[2:3], v[127:128], -v[2:3]
	v_add_f64 v[4:5], v[129:130], -v[4:5]
	scratch_store_b128 off, v[2:5], off offset:112
	v_cmpx_lt_u32_e32 6, v92
	s_cbranch_execz .LBB90_163
; %bb.162:
	scratch_load_b128 v[5:8], v105, off
	v_mov_b32_e32 v2, v1
	v_mov_b32_e32 v3, v1
	;; [unrolled: 1-line block ×3, first 2 shown]
	scratch_store_b128 off, v[1:4], off offset:96
	s_waitcnt vmcnt(0)
	ds_store_b128 v34, v[5:8]
.LBB90_163:
	s_or_b32 exec_lo, exec_lo, s2
	s_waitcnt lgkmcnt(0)
	s_waitcnt_vscnt null, 0x0
	s_barrier
	buffer_gl0_inv
	s_clause 0x8
	scratch_load_b128 v[2:5], off, off offset:112
	scratch_load_b128 v[6:9], off, off offset:128
	;; [unrolled: 1-line block ×9, first 2 shown]
	ds_load_b128 v[123:126], v1 offset:544
	ds_load_b128 v[127:130], v1 offset:560
	s_clause 0x1
	scratch_load_b128 v[131:134], off, off offset:96
	scratch_load_b128 v[135:138], off, off offset:256
	s_mov_b32 s2, exec_lo
	ds_load_b128 v[139:142], v1 offset:592
	s_waitcnt vmcnt(10) lgkmcnt(2)
	v_mul_f64 v[35:36], v[125:126], v[4:5]
	v_mul_f64 v[4:5], v[123:124], v[4:5]
	s_waitcnt vmcnt(9) lgkmcnt(1)
	v_mul_f64 v[143:144], v[127:128], v[8:9]
	v_mul_f64 v[8:9], v[129:130], v[8:9]
	s_delay_alu instid0(VALU_DEP_4) | instskip(NEXT) | instid1(VALU_DEP_4)
	v_fma_f64 v[35:36], v[123:124], v[2:3], -v[35:36]
	v_fma_f64 v[145:146], v[125:126], v[2:3], v[4:5]
	ds_load_b128 v[2:5], v1 offset:576
	scratch_load_b128 v[123:126], off, off offset:272
	v_fma_f64 v[129:130], v[129:130], v[6:7], v[143:144]
	v_fma_f64 v[127:128], v[127:128], v[6:7], -v[8:9]
	scratch_load_b128 v[6:9], off, off offset:288
	s_waitcnt vmcnt(10) lgkmcnt(0)
	v_mul_f64 v[147:148], v[2:3], v[12:13]
	v_mul_f64 v[12:13], v[4:5], v[12:13]
	v_add_f64 v[35:36], v[35:36], 0
	v_add_f64 v[143:144], v[145:146], 0
	s_waitcnt vmcnt(9)
	v_mul_f64 v[145:146], v[139:140], v[16:17]
	v_mul_f64 v[16:17], v[141:142], v[16:17]
	v_fma_f64 v[147:148], v[4:5], v[10:11], v[147:148]
	v_fma_f64 v[149:150], v[2:3], v[10:11], -v[12:13]
	ds_load_b128 v[2:5], v1 offset:608
	scratch_load_b128 v[10:13], off, off offset:304
	v_add_f64 v[35:36], v[35:36], v[127:128]
	v_add_f64 v[143:144], v[143:144], v[129:130]
	ds_load_b128 v[127:130], v1 offset:624
	v_fma_f64 v[141:142], v[141:142], v[14:15], v[145:146]
	v_fma_f64 v[139:140], v[139:140], v[14:15], -v[16:17]
	scratch_load_b128 v[14:17], off, off offset:320
	s_waitcnt vmcnt(10) lgkmcnt(1)
	v_mul_f64 v[151:152], v[2:3], v[20:21]
	v_mul_f64 v[20:21], v[4:5], v[20:21]
	s_waitcnt vmcnt(9) lgkmcnt(0)
	v_mul_f64 v[145:146], v[127:128], v[24:25]
	v_mul_f64 v[24:25], v[129:130], v[24:25]
	v_add_f64 v[35:36], v[35:36], v[149:150]
	v_add_f64 v[143:144], v[143:144], v[147:148]
	v_fma_f64 v[147:148], v[4:5], v[18:19], v[151:152]
	v_fma_f64 v[149:150], v[2:3], v[18:19], -v[20:21]
	ds_load_b128 v[2:5], v1 offset:640
	scratch_load_b128 v[18:21], off, off offset:336
	v_fma_f64 v[129:130], v[129:130], v[22:23], v[145:146]
	v_fma_f64 v[127:128], v[127:128], v[22:23], -v[24:25]
	scratch_load_b128 v[22:25], off, off offset:352
	v_add_f64 v[35:36], v[35:36], v[139:140]
	v_add_f64 v[143:144], v[143:144], v[141:142]
	ds_load_b128 v[139:142], v1 offset:656
	s_waitcnt vmcnt(10) lgkmcnt(1)
	v_mul_f64 v[151:152], v[2:3], v[28:29]
	v_mul_f64 v[28:29], v[4:5], v[28:29]
	s_waitcnt vmcnt(9) lgkmcnt(0)
	v_mul_f64 v[145:146], v[139:140], v[32:33]
	v_mul_f64 v[32:33], v[141:142], v[32:33]
	v_add_f64 v[35:36], v[35:36], v[149:150]
	v_add_f64 v[143:144], v[143:144], v[147:148]
	v_fma_f64 v[147:148], v[4:5], v[26:27], v[151:152]
	v_fma_f64 v[149:150], v[2:3], v[26:27], -v[28:29]
	ds_load_b128 v[2:5], v1 offset:672
	scratch_load_b128 v[26:29], off, off offset:368
	v_fma_f64 v[141:142], v[141:142], v[30:31], v[145:146]
	v_fma_f64 v[139:140], v[139:140], v[30:31], -v[32:33]
	scratch_load_b128 v[30:33], off, off offset:384
	v_add_f64 v[35:36], v[35:36], v[127:128]
	v_add_f64 v[143:144], v[143:144], v[129:130]
	ds_load_b128 v[127:130], v1 offset:688
	s_waitcnt vmcnt(10) lgkmcnt(1)
	v_mul_f64 v[151:152], v[2:3], v[121:122]
	v_mul_f64 v[121:122], v[4:5], v[121:122]
	s_waitcnt vmcnt(8) lgkmcnt(0)
	v_mul_f64 v[145:146], v[127:128], v[137:138]
	v_add_f64 v[35:36], v[35:36], v[149:150]
	v_add_f64 v[143:144], v[143:144], v[147:148]
	v_mul_f64 v[147:148], v[129:130], v[137:138]
	v_fma_f64 v[149:150], v[4:5], v[119:120], v[151:152]
	v_fma_f64 v[151:152], v[2:3], v[119:120], -v[121:122]
	ds_load_b128 v[2:5], v1 offset:704
	scratch_load_b128 v[119:122], off, off offset:400
	v_fma_f64 v[129:130], v[129:130], v[135:136], v[145:146]
	v_add_f64 v[35:36], v[35:36], v[139:140]
	v_add_f64 v[141:142], v[143:144], v[141:142]
	ds_load_b128 v[137:140], v1 offset:720
	v_fma_f64 v[135:136], v[127:128], v[135:136], -v[147:148]
	s_waitcnt vmcnt(8) lgkmcnt(1)
	v_mul_f64 v[143:144], v[2:3], v[125:126]
	v_mul_f64 v[153:154], v[4:5], v[125:126]
	scratch_load_b128 v[125:128], off, off offset:416
	s_waitcnt vmcnt(8) lgkmcnt(0)
	v_mul_f64 v[145:146], v[137:138], v[8:9]
	v_mul_f64 v[8:9], v[139:140], v[8:9]
	v_add_f64 v[35:36], v[35:36], v[151:152]
	v_add_f64 v[141:142], v[141:142], v[149:150]
	v_fma_f64 v[147:148], v[4:5], v[123:124], v[143:144]
	v_fma_f64 v[123:124], v[2:3], v[123:124], -v[153:154]
	v_fma_f64 v[139:140], v[139:140], v[6:7], v[145:146]
	v_fma_f64 v[6:7], v[137:138], v[6:7], -v[8:9]
	v_add_f64 v[35:36], v[35:36], v[135:136]
	v_add_f64 v[129:130], v[141:142], v[129:130]
	ds_load_b128 v[2:5], v1 offset:736
	ds_load_b128 v[141:144], v1 offset:752
	s_waitcnt vmcnt(7) lgkmcnt(1)
	v_mul_f64 v[135:136], v[2:3], v[12:13]
	v_mul_f64 v[12:13], v[4:5], v[12:13]
	v_add_f64 v[8:9], v[35:36], v[123:124]
	v_add_f64 v[35:36], v[129:130], v[147:148]
	s_waitcnt vmcnt(6) lgkmcnt(0)
	v_mul_f64 v[123:124], v[141:142], v[16:17]
	v_mul_f64 v[16:17], v[143:144], v[16:17]
	v_fma_f64 v[129:130], v[4:5], v[10:11], v[135:136]
	v_fma_f64 v[10:11], v[2:3], v[10:11], -v[12:13]
	v_add_f64 v[12:13], v[8:9], v[6:7]
	v_add_f64 v[35:36], v[35:36], v[139:140]
	ds_load_b128 v[2:5], v1 offset:768
	ds_load_b128 v[6:9], v1 offset:784
	v_fma_f64 v[123:124], v[143:144], v[14:15], v[123:124]
	v_fma_f64 v[14:15], v[141:142], v[14:15], -v[16:17]
	s_waitcnt vmcnt(5) lgkmcnt(1)
	v_mul_f64 v[135:136], v[2:3], v[20:21]
	v_mul_f64 v[20:21], v[4:5], v[20:21]
	s_waitcnt vmcnt(4) lgkmcnt(0)
	v_mul_f64 v[16:17], v[6:7], v[24:25]
	v_mul_f64 v[24:25], v[8:9], v[24:25]
	v_add_f64 v[10:11], v[12:13], v[10:11]
	v_add_f64 v[12:13], v[35:36], v[129:130]
	v_fma_f64 v[35:36], v[4:5], v[18:19], v[135:136]
	v_fma_f64 v[18:19], v[2:3], v[18:19], -v[20:21]
	v_fma_f64 v[8:9], v[8:9], v[22:23], v[16:17]
	v_fma_f64 v[6:7], v[6:7], v[22:23], -v[24:25]
	v_add_f64 v[14:15], v[10:11], v[14:15]
	v_add_f64 v[20:21], v[12:13], v[123:124]
	ds_load_b128 v[2:5], v1 offset:800
	ds_load_b128 v[10:13], v1 offset:816
	s_waitcnt vmcnt(3) lgkmcnt(1)
	v_mul_f64 v[123:124], v[2:3], v[28:29]
	v_mul_f64 v[28:29], v[4:5], v[28:29]
	v_add_f64 v[14:15], v[14:15], v[18:19]
	v_add_f64 v[16:17], v[20:21], v[35:36]
	s_waitcnt vmcnt(2) lgkmcnt(0)
	v_mul_f64 v[18:19], v[10:11], v[32:33]
	v_mul_f64 v[20:21], v[12:13], v[32:33]
	v_fma_f64 v[22:23], v[4:5], v[26:27], v[123:124]
	v_fma_f64 v[24:25], v[2:3], v[26:27], -v[28:29]
	v_add_f64 v[14:15], v[14:15], v[6:7]
	v_add_f64 v[16:17], v[16:17], v[8:9]
	ds_load_b128 v[2:5], v1 offset:832
	ds_load_b128 v[6:9], v1 offset:848
	v_fma_f64 v[12:13], v[12:13], v[30:31], v[18:19]
	v_fma_f64 v[10:11], v[10:11], v[30:31], -v[20:21]
	s_waitcnt vmcnt(1) lgkmcnt(1)
	v_mul_f64 v[26:27], v[2:3], v[121:122]
	v_mul_f64 v[28:29], v[4:5], v[121:122]
	s_waitcnt vmcnt(0) lgkmcnt(0)
	v_mul_f64 v[18:19], v[6:7], v[127:128]
	v_add_f64 v[14:15], v[14:15], v[24:25]
	v_add_f64 v[16:17], v[16:17], v[22:23]
	v_mul_f64 v[20:21], v[8:9], v[127:128]
	v_fma_f64 v[4:5], v[4:5], v[119:120], v[26:27]
	v_fma_f64 v[1:2], v[2:3], v[119:120], -v[28:29]
	v_fma_f64 v[8:9], v[8:9], v[125:126], v[18:19]
	v_add_f64 v[10:11], v[14:15], v[10:11]
	v_add_f64 v[12:13], v[16:17], v[12:13]
	v_fma_f64 v[6:7], v[6:7], v[125:126], -v[20:21]
	s_delay_alu instid0(VALU_DEP_3) | instskip(NEXT) | instid1(VALU_DEP_3)
	v_add_f64 v[1:2], v[10:11], v[1:2]
	v_add_f64 v[3:4], v[12:13], v[4:5]
	s_delay_alu instid0(VALU_DEP_2) | instskip(NEXT) | instid1(VALU_DEP_2)
	v_add_f64 v[1:2], v[1:2], v[6:7]
	v_add_f64 v[3:4], v[3:4], v[8:9]
	s_delay_alu instid0(VALU_DEP_2) | instskip(NEXT) | instid1(VALU_DEP_2)
	v_add_f64 v[1:2], v[131:132], -v[1:2]
	v_add_f64 v[3:4], v[133:134], -v[3:4]
	scratch_store_b128 off, v[1:4], off offset:96
	v_cmpx_lt_u32_e32 5, v92
	s_cbranch_execz .LBB90_165
; %bb.164:
	scratch_load_b128 v[1:4], v106, off
	v_mov_b32_e32 v5, 0
	s_delay_alu instid0(VALU_DEP_1)
	v_mov_b32_e32 v6, v5
	v_mov_b32_e32 v7, v5
	;; [unrolled: 1-line block ×3, first 2 shown]
	scratch_store_b128 off, v[5:8], off offset:80
	s_waitcnt vmcnt(0)
	ds_store_b128 v34, v[1:4]
.LBB90_165:
	s_or_b32 exec_lo, exec_lo, s2
	s_waitcnt lgkmcnt(0)
	s_waitcnt_vscnt null, 0x0
	s_barrier
	buffer_gl0_inv
	s_clause 0x7
	scratch_load_b128 v[2:5], off, off offset:96
	scratch_load_b128 v[6:9], off, off offset:112
	;; [unrolled: 1-line block ×8, first 2 shown]
	v_mov_b32_e32 v1, 0
	s_mov_b32 s2, exec_lo
	ds_load_b128 v[119:122], v1 offset:528
	s_clause 0x1
	scratch_load_b128 v[123:126], off, off offset:224
	scratch_load_b128 v[127:130], off, off offset:80
	ds_load_b128 v[131:134], v1 offset:544
	scratch_load_b128 v[135:138], off, off offset:240
	ds_load_b128 v[139:142], v1 offset:576
	s_waitcnt vmcnt(10) lgkmcnt(2)
	v_mul_f64 v[35:36], v[121:122], v[4:5]
	v_mul_f64 v[4:5], v[119:120], v[4:5]
	s_delay_alu instid0(VALU_DEP_2) | instskip(NEXT) | instid1(VALU_DEP_2)
	v_fma_f64 v[35:36], v[119:120], v[2:3], -v[35:36]
	v_fma_f64 v[145:146], v[121:122], v[2:3], v[4:5]
	ds_load_b128 v[2:5], v1 offset:560
	s_waitcnt vmcnt(9) lgkmcnt(2)
	v_mul_f64 v[143:144], v[131:132], v[8:9]
	v_mul_f64 v[8:9], v[133:134], v[8:9]
	scratch_load_b128 v[119:122], off, off offset:256
	s_waitcnt vmcnt(9) lgkmcnt(0)
	v_mul_f64 v[147:148], v[2:3], v[12:13]
	v_mul_f64 v[12:13], v[4:5], v[12:13]
	v_add_f64 v[35:36], v[35:36], 0
	v_fma_f64 v[133:134], v[133:134], v[6:7], v[143:144]
	v_fma_f64 v[131:132], v[131:132], v[6:7], -v[8:9]
	v_add_f64 v[143:144], v[145:146], 0
	scratch_load_b128 v[6:9], off, off offset:272
	v_fma_f64 v[147:148], v[4:5], v[10:11], v[147:148]
	v_fma_f64 v[149:150], v[2:3], v[10:11], -v[12:13]
	scratch_load_b128 v[10:13], off, off offset:288
	ds_load_b128 v[2:5], v1 offset:592
	s_waitcnt vmcnt(10)
	v_mul_f64 v[145:146], v[139:140], v[16:17]
	v_mul_f64 v[16:17], v[141:142], v[16:17]
	v_add_f64 v[35:36], v[35:36], v[131:132]
	v_add_f64 v[143:144], v[143:144], v[133:134]
	ds_load_b128 v[131:134], v1 offset:608
	s_waitcnt vmcnt(9) lgkmcnt(1)
	v_mul_f64 v[151:152], v[2:3], v[20:21]
	v_mul_f64 v[20:21], v[4:5], v[20:21]
	v_fma_f64 v[141:142], v[141:142], v[14:15], v[145:146]
	v_fma_f64 v[139:140], v[139:140], v[14:15], -v[16:17]
	scratch_load_b128 v[14:17], off, off offset:304
	v_add_f64 v[35:36], v[35:36], v[149:150]
	v_add_f64 v[143:144], v[143:144], v[147:148]
	v_fma_f64 v[147:148], v[4:5], v[18:19], v[151:152]
	v_fma_f64 v[149:150], v[2:3], v[18:19], -v[20:21]
	scratch_load_b128 v[18:21], off, off offset:320
	ds_load_b128 v[2:5], v1 offset:624
	s_waitcnt vmcnt(10) lgkmcnt(1)
	v_mul_f64 v[145:146], v[131:132], v[24:25]
	v_mul_f64 v[24:25], v[133:134], v[24:25]
	s_waitcnt vmcnt(9) lgkmcnt(0)
	v_mul_f64 v[151:152], v[2:3], v[28:29]
	v_mul_f64 v[28:29], v[4:5], v[28:29]
	v_add_f64 v[35:36], v[35:36], v[139:140]
	v_add_f64 v[143:144], v[143:144], v[141:142]
	ds_load_b128 v[139:142], v1 offset:640
	v_fma_f64 v[133:134], v[133:134], v[22:23], v[145:146]
	v_fma_f64 v[131:132], v[131:132], v[22:23], -v[24:25]
	scratch_load_b128 v[22:25], off, off offset:336
	v_add_f64 v[35:36], v[35:36], v[149:150]
	v_add_f64 v[143:144], v[143:144], v[147:148]
	v_fma_f64 v[147:148], v[4:5], v[26:27], v[151:152]
	v_fma_f64 v[149:150], v[2:3], v[26:27], -v[28:29]
	scratch_load_b128 v[26:29], off, off offset:352
	ds_load_b128 v[2:5], v1 offset:656
	s_waitcnt vmcnt(10) lgkmcnt(1)
	v_mul_f64 v[145:146], v[139:140], v[32:33]
	v_mul_f64 v[32:33], v[141:142], v[32:33]
	s_waitcnt vmcnt(9) lgkmcnt(0)
	v_mul_f64 v[151:152], v[2:3], v[125:126]
	v_mul_f64 v[125:126], v[4:5], v[125:126]
	v_add_f64 v[35:36], v[35:36], v[131:132]
	v_add_f64 v[143:144], v[143:144], v[133:134]
	ds_load_b128 v[131:134], v1 offset:672
	v_fma_f64 v[141:142], v[141:142], v[30:31], v[145:146]
	v_fma_f64 v[139:140], v[139:140], v[30:31], -v[32:33]
	scratch_load_b128 v[30:33], off, off offset:368
	v_add_f64 v[35:36], v[35:36], v[149:150]
	v_add_f64 v[143:144], v[143:144], v[147:148]
	v_fma_f64 v[149:150], v[4:5], v[123:124], v[151:152]
	v_fma_f64 v[151:152], v[2:3], v[123:124], -v[125:126]
	scratch_load_b128 v[123:126], off, off offset:384
	ds_load_b128 v[2:5], v1 offset:688
	s_waitcnt vmcnt(9) lgkmcnt(1)
	v_mul_f64 v[145:146], v[131:132], v[137:138]
	v_mul_f64 v[147:148], v[133:134], v[137:138]
	v_add_f64 v[35:36], v[35:36], v[139:140]
	v_add_f64 v[141:142], v[143:144], v[141:142]
	ds_load_b128 v[137:140], v1 offset:704
	v_fma_f64 v[145:146], v[133:134], v[135:136], v[145:146]
	v_fma_f64 v[135:136], v[131:132], v[135:136], -v[147:148]
	scratch_load_b128 v[131:134], off, off offset:400
	s_waitcnt vmcnt(9) lgkmcnt(1)
	v_mul_f64 v[143:144], v[2:3], v[121:122]
	v_mul_f64 v[121:122], v[4:5], v[121:122]
	v_add_f64 v[35:36], v[35:36], v[151:152]
	v_add_f64 v[141:142], v[141:142], v[149:150]
	s_delay_alu instid0(VALU_DEP_4) | instskip(NEXT) | instid1(VALU_DEP_4)
	v_fma_f64 v[149:150], v[4:5], v[119:120], v[143:144]
	v_fma_f64 v[151:152], v[2:3], v[119:120], -v[121:122]
	scratch_load_b128 v[119:122], off, off offset:416
	ds_load_b128 v[2:5], v1 offset:720
	s_waitcnt vmcnt(9) lgkmcnt(1)
	v_mul_f64 v[147:148], v[137:138], v[8:9]
	v_mul_f64 v[8:9], v[139:140], v[8:9]
	v_add_f64 v[35:36], v[35:36], v[135:136]
	v_add_f64 v[135:136], v[141:142], v[145:146]
	s_waitcnt vmcnt(8) lgkmcnt(0)
	v_mul_f64 v[145:146], v[2:3], v[12:13]
	v_mul_f64 v[12:13], v[4:5], v[12:13]
	ds_load_b128 v[141:144], v1 offset:736
	v_fma_f64 v[139:140], v[139:140], v[6:7], v[147:148]
	v_fma_f64 v[6:7], v[137:138], v[6:7], -v[8:9]
	v_add_f64 v[8:9], v[35:36], v[151:152]
	v_add_f64 v[35:36], v[135:136], v[149:150]
	s_waitcnt vmcnt(7) lgkmcnt(0)
	v_mul_f64 v[135:136], v[141:142], v[16:17]
	v_mul_f64 v[16:17], v[143:144], v[16:17]
	v_fma_f64 v[137:138], v[4:5], v[10:11], v[145:146]
	v_fma_f64 v[10:11], v[2:3], v[10:11], -v[12:13]
	v_add_f64 v[12:13], v[8:9], v[6:7]
	v_add_f64 v[35:36], v[35:36], v[139:140]
	ds_load_b128 v[2:5], v1 offset:752
	ds_load_b128 v[6:9], v1 offset:768
	v_fma_f64 v[135:136], v[143:144], v[14:15], v[135:136]
	v_fma_f64 v[14:15], v[141:142], v[14:15], -v[16:17]
	s_waitcnt vmcnt(6) lgkmcnt(1)
	v_mul_f64 v[139:140], v[2:3], v[20:21]
	v_mul_f64 v[20:21], v[4:5], v[20:21]
	s_waitcnt vmcnt(5) lgkmcnt(0)
	v_mul_f64 v[16:17], v[6:7], v[24:25]
	v_mul_f64 v[24:25], v[8:9], v[24:25]
	v_add_f64 v[10:11], v[12:13], v[10:11]
	v_add_f64 v[12:13], v[35:36], v[137:138]
	v_fma_f64 v[35:36], v[4:5], v[18:19], v[139:140]
	v_fma_f64 v[18:19], v[2:3], v[18:19], -v[20:21]
	v_fma_f64 v[8:9], v[8:9], v[22:23], v[16:17]
	v_fma_f64 v[6:7], v[6:7], v[22:23], -v[24:25]
	v_add_f64 v[14:15], v[10:11], v[14:15]
	v_add_f64 v[20:21], v[12:13], v[135:136]
	ds_load_b128 v[2:5], v1 offset:784
	ds_load_b128 v[10:13], v1 offset:800
	s_waitcnt vmcnt(4) lgkmcnt(1)
	v_mul_f64 v[135:136], v[2:3], v[28:29]
	v_mul_f64 v[28:29], v[4:5], v[28:29]
	v_add_f64 v[14:15], v[14:15], v[18:19]
	v_add_f64 v[16:17], v[20:21], v[35:36]
	s_waitcnt vmcnt(3) lgkmcnt(0)
	v_mul_f64 v[18:19], v[10:11], v[32:33]
	v_mul_f64 v[20:21], v[12:13], v[32:33]
	v_fma_f64 v[22:23], v[4:5], v[26:27], v[135:136]
	v_fma_f64 v[24:25], v[2:3], v[26:27], -v[28:29]
	v_add_f64 v[14:15], v[14:15], v[6:7]
	v_add_f64 v[16:17], v[16:17], v[8:9]
	ds_load_b128 v[2:5], v1 offset:816
	ds_load_b128 v[6:9], v1 offset:832
	v_fma_f64 v[12:13], v[12:13], v[30:31], v[18:19]
	v_fma_f64 v[10:11], v[10:11], v[30:31], -v[20:21]
	s_waitcnt vmcnt(2) lgkmcnt(1)
	v_mul_f64 v[26:27], v[2:3], v[125:126]
	v_mul_f64 v[28:29], v[4:5], v[125:126]
	s_waitcnt vmcnt(1) lgkmcnt(0)
	v_mul_f64 v[18:19], v[6:7], v[133:134]
	v_mul_f64 v[20:21], v[8:9], v[133:134]
	v_add_f64 v[14:15], v[14:15], v[24:25]
	v_add_f64 v[16:17], v[16:17], v[22:23]
	v_fma_f64 v[22:23], v[4:5], v[123:124], v[26:27]
	v_fma_f64 v[24:25], v[2:3], v[123:124], -v[28:29]
	ds_load_b128 v[2:5], v1 offset:848
	v_fma_f64 v[8:9], v[8:9], v[131:132], v[18:19]
	v_fma_f64 v[6:7], v[6:7], v[131:132], -v[20:21]
	v_add_f64 v[10:11], v[14:15], v[10:11]
	v_add_f64 v[12:13], v[16:17], v[12:13]
	s_waitcnt vmcnt(0) lgkmcnt(0)
	v_mul_f64 v[14:15], v[2:3], v[121:122]
	v_mul_f64 v[16:17], v[4:5], v[121:122]
	s_delay_alu instid0(VALU_DEP_4) | instskip(NEXT) | instid1(VALU_DEP_4)
	v_add_f64 v[10:11], v[10:11], v[24:25]
	v_add_f64 v[12:13], v[12:13], v[22:23]
	s_delay_alu instid0(VALU_DEP_4) | instskip(NEXT) | instid1(VALU_DEP_4)
	v_fma_f64 v[4:5], v[4:5], v[119:120], v[14:15]
	v_fma_f64 v[2:3], v[2:3], v[119:120], -v[16:17]
	s_delay_alu instid0(VALU_DEP_4) | instskip(NEXT) | instid1(VALU_DEP_4)
	v_add_f64 v[6:7], v[10:11], v[6:7]
	v_add_f64 v[8:9], v[12:13], v[8:9]
	s_delay_alu instid0(VALU_DEP_2) | instskip(NEXT) | instid1(VALU_DEP_2)
	v_add_f64 v[2:3], v[6:7], v[2:3]
	v_add_f64 v[4:5], v[8:9], v[4:5]
	s_delay_alu instid0(VALU_DEP_2) | instskip(NEXT) | instid1(VALU_DEP_2)
	v_add_f64 v[2:3], v[127:128], -v[2:3]
	v_add_f64 v[4:5], v[129:130], -v[4:5]
	scratch_store_b128 off, v[2:5], off offset:80
	v_cmpx_lt_u32_e32 4, v92
	s_cbranch_execz .LBB90_167
; %bb.166:
	scratch_load_b128 v[5:8], v93, off
	v_mov_b32_e32 v2, v1
	v_mov_b32_e32 v3, v1
	;; [unrolled: 1-line block ×3, first 2 shown]
	scratch_store_b128 off, v[1:4], off offset:64
	s_waitcnt vmcnt(0)
	ds_store_b128 v34, v[5:8]
.LBB90_167:
	s_or_b32 exec_lo, exec_lo, s2
	s_waitcnt lgkmcnt(0)
	s_waitcnt_vscnt null, 0x0
	s_barrier
	buffer_gl0_inv
	s_clause 0x8
	scratch_load_b128 v[2:5], off, off offset:80
	scratch_load_b128 v[6:9], off, off offset:96
	;; [unrolled: 1-line block ×9, first 2 shown]
	ds_load_b128 v[123:126], v1 offset:512
	ds_load_b128 v[127:130], v1 offset:528
	s_clause 0x1
	scratch_load_b128 v[131:134], off, off offset:64
	scratch_load_b128 v[135:138], off, off offset:224
	s_mov_b32 s2, exec_lo
	ds_load_b128 v[139:142], v1 offset:560
	s_waitcnt vmcnt(10) lgkmcnt(2)
	v_mul_f64 v[35:36], v[125:126], v[4:5]
	v_mul_f64 v[4:5], v[123:124], v[4:5]
	s_waitcnt vmcnt(9) lgkmcnt(1)
	v_mul_f64 v[143:144], v[127:128], v[8:9]
	v_mul_f64 v[8:9], v[129:130], v[8:9]
	s_delay_alu instid0(VALU_DEP_4) | instskip(NEXT) | instid1(VALU_DEP_4)
	v_fma_f64 v[35:36], v[123:124], v[2:3], -v[35:36]
	v_fma_f64 v[145:146], v[125:126], v[2:3], v[4:5]
	ds_load_b128 v[2:5], v1 offset:544
	scratch_load_b128 v[123:126], off, off offset:240
	v_fma_f64 v[129:130], v[129:130], v[6:7], v[143:144]
	v_fma_f64 v[127:128], v[127:128], v[6:7], -v[8:9]
	scratch_load_b128 v[6:9], off, off offset:256
	s_waitcnt vmcnt(10) lgkmcnt(0)
	v_mul_f64 v[147:148], v[2:3], v[12:13]
	v_mul_f64 v[12:13], v[4:5], v[12:13]
	v_add_f64 v[35:36], v[35:36], 0
	v_add_f64 v[143:144], v[145:146], 0
	s_waitcnt vmcnt(9)
	v_mul_f64 v[145:146], v[139:140], v[16:17]
	v_mul_f64 v[16:17], v[141:142], v[16:17]
	v_fma_f64 v[147:148], v[4:5], v[10:11], v[147:148]
	v_fma_f64 v[149:150], v[2:3], v[10:11], -v[12:13]
	ds_load_b128 v[2:5], v1 offset:576
	scratch_load_b128 v[10:13], off, off offset:272
	v_add_f64 v[35:36], v[35:36], v[127:128]
	v_add_f64 v[143:144], v[143:144], v[129:130]
	ds_load_b128 v[127:130], v1 offset:592
	v_fma_f64 v[141:142], v[141:142], v[14:15], v[145:146]
	v_fma_f64 v[139:140], v[139:140], v[14:15], -v[16:17]
	scratch_load_b128 v[14:17], off, off offset:288
	s_waitcnt vmcnt(10) lgkmcnt(1)
	v_mul_f64 v[151:152], v[2:3], v[20:21]
	v_mul_f64 v[20:21], v[4:5], v[20:21]
	s_waitcnt vmcnt(9) lgkmcnt(0)
	v_mul_f64 v[145:146], v[127:128], v[24:25]
	v_mul_f64 v[24:25], v[129:130], v[24:25]
	v_add_f64 v[35:36], v[35:36], v[149:150]
	v_add_f64 v[143:144], v[143:144], v[147:148]
	v_fma_f64 v[147:148], v[4:5], v[18:19], v[151:152]
	v_fma_f64 v[149:150], v[2:3], v[18:19], -v[20:21]
	ds_load_b128 v[2:5], v1 offset:608
	scratch_load_b128 v[18:21], off, off offset:304
	v_fma_f64 v[129:130], v[129:130], v[22:23], v[145:146]
	v_fma_f64 v[127:128], v[127:128], v[22:23], -v[24:25]
	scratch_load_b128 v[22:25], off, off offset:320
	v_add_f64 v[35:36], v[35:36], v[139:140]
	v_add_f64 v[143:144], v[143:144], v[141:142]
	ds_load_b128 v[139:142], v1 offset:624
	s_waitcnt vmcnt(10) lgkmcnt(1)
	v_mul_f64 v[151:152], v[2:3], v[28:29]
	v_mul_f64 v[28:29], v[4:5], v[28:29]
	s_waitcnt vmcnt(9) lgkmcnt(0)
	v_mul_f64 v[145:146], v[139:140], v[32:33]
	v_mul_f64 v[32:33], v[141:142], v[32:33]
	v_add_f64 v[35:36], v[35:36], v[149:150]
	v_add_f64 v[143:144], v[143:144], v[147:148]
	v_fma_f64 v[147:148], v[4:5], v[26:27], v[151:152]
	v_fma_f64 v[149:150], v[2:3], v[26:27], -v[28:29]
	ds_load_b128 v[2:5], v1 offset:640
	scratch_load_b128 v[26:29], off, off offset:336
	v_fma_f64 v[141:142], v[141:142], v[30:31], v[145:146]
	v_fma_f64 v[139:140], v[139:140], v[30:31], -v[32:33]
	scratch_load_b128 v[30:33], off, off offset:352
	v_add_f64 v[35:36], v[35:36], v[127:128]
	v_add_f64 v[143:144], v[143:144], v[129:130]
	ds_load_b128 v[127:130], v1 offset:656
	s_waitcnt vmcnt(10) lgkmcnt(1)
	v_mul_f64 v[151:152], v[2:3], v[121:122]
	v_mul_f64 v[121:122], v[4:5], v[121:122]
	s_waitcnt vmcnt(8) lgkmcnt(0)
	v_mul_f64 v[145:146], v[127:128], v[137:138]
	v_add_f64 v[35:36], v[35:36], v[149:150]
	v_add_f64 v[143:144], v[143:144], v[147:148]
	v_mul_f64 v[147:148], v[129:130], v[137:138]
	v_fma_f64 v[149:150], v[4:5], v[119:120], v[151:152]
	v_fma_f64 v[151:152], v[2:3], v[119:120], -v[121:122]
	ds_load_b128 v[2:5], v1 offset:672
	scratch_load_b128 v[119:122], off, off offset:368
	v_fma_f64 v[129:130], v[129:130], v[135:136], v[145:146]
	v_add_f64 v[35:36], v[35:36], v[139:140]
	v_add_f64 v[141:142], v[143:144], v[141:142]
	ds_load_b128 v[137:140], v1 offset:688
	v_fma_f64 v[135:136], v[127:128], v[135:136], -v[147:148]
	ds_load_b128 v[145:148], v1 offset:720
	s_waitcnt vmcnt(8) lgkmcnt(2)
	v_mul_f64 v[143:144], v[2:3], v[125:126]
	v_mul_f64 v[153:154], v[4:5], v[125:126]
	scratch_load_b128 v[125:128], off, off offset:384
	v_add_f64 v[35:36], v[35:36], v[151:152]
	v_add_f64 v[141:142], v[141:142], v[149:150]
	s_waitcnt vmcnt(8) lgkmcnt(1)
	v_mul_f64 v[149:150], v[137:138], v[8:9]
	v_mul_f64 v[8:9], v[139:140], v[8:9]
	v_fma_f64 v[151:152], v[4:5], v[123:124], v[143:144]
	v_fma_f64 v[123:124], v[2:3], v[123:124], -v[153:154]
	ds_load_b128 v[2:5], v1 offset:704
	v_add_f64 v[35:36], v[35:36], v[135:136]
	v_add_f64 v[129:130], v[141:142], v[129:130]
	scratch_load_b128 v[141:144], off, off offset:400
	s_waitcnt vmcnt(8) lgkmcnt(0)
	v_mul_f64 v[135:136], v[2:3], v[12:13]
	v_mul_f64 v[12:13], v[4:5], v[12:13]
	v_fma_f64 v[139:140], v[139:140], v[6:7], v[149:150]
	v_fma_f64 v[137:138], v[137:138], v[6:7], -v[8:9]
	scratch_load_b128 v[6:9], off, off offset:416
	v_add_f64 v[35:36], v[35:36], v[123:124]
	v_add_f64 v[123:124], v[129:130], v[151:152]
	s_waitcnt vmcnt(8)
	v_mul_f64 v[129:130], v[145:146], v[16:17]
	v_mul_f64 v[16:17], v[147:148], v[16:17]
	v_fma_f64 v[135:136], v[4:5], v[10:11], v[135:136]
	v_fma_f64 v[149:150], v[2:3], v[10:11], -v[12:13]
	ds_load_b128 v[2:5], v1 offset:736
	ds_load_b128 v[10:13], v1 offset:752
	v_add_f64 v[35:36], v[35:36], v[137:138]
	v_add_f64 v[123:124], v[123:124], v[139:140]
	s_waitcnt vmcnt(7) lgkmcnt(1)
	v_mul_f64 v[137:138], v[2:3], v[20:21]
	v_mul_f64 v[20:21], v[4:5], v[20:21]
	v_fma_f64 v[129:130], v[147:148], v[14:15], v[129:130]
	v_fma_f64 v[14:15], v[145:146], v[14:15], -v[16:17]
	v_add_f64 v[16:17], v[35:36], v[149:150]
	v_add_f64 v[35:36], v[123:124], v[135:136]
	s_waitcnt vmcnt(6) lgkmcnt(0)
	v_mul_f64 v[123:124], v[10:11], v[24:25]
	v_mul_f64 v[24:25], v[12:13], v[24:25]
	v_fma_f64 v[135:136], v[4:5], v[18:19], v[137:138]
	v_fma_f64 v[18:19], v[2:3], v[18:19], -v[20:21]
	v_add_f64 v[20:21], v[16:17], v[14:15]
	v_add_f64 v[35:36], v[35:36], v[129:130]
	ds_load_b128 v[2:5], v1 offset:768
	ds_load_b128 v[14:17], v1 offset:784
	v_fma_f64 v[12:13], v[12:13], v[22:23], v[123:124]
	v_fma_f64 v[10:11], v[10:11], v[22:23], -v[24:25]
	s_waitcnt vmcnt(5) lgkmcnt(1)
	v_mul_f64 v[129:130], v[2:3], v[28:29]
	v_mul_f64 v[28:29], v[4:5], v[28:29]
	s_waitcnt vmcnt(4) lgkmcnt(0)
	v_mul_f64 v[22:23], v[14:15], v[32:33]
	v_mul_f64 v[24:25], v[16:17], v[32:33]
	v_add_f64 v[18:19], v[20:21], v[18:19]
	v_add_f64 v[20:21], v[35:36], v[135:136]
	v_fma_f64 v[32:33], v[4:5], v[26:27], v[129:130]
	v_fma_f64 v[26:27], v[2:3], v[26:27], -v[28:29]
	v_fma_f64 v[16:17], v[16:17], v[30:31], v[22:23]
	v_fma_f64 v[14:15], v[14:15], v[30:31], -v[24:25]
	v_add_f64 v[18:19], v[18:19], v[10:11]
	v_add_f64 v[20:21], v[20:21], v[12:13]
	ds_load_b128 v[2:5], v1 offset:800
	ds_load_b128 v[10:13], v1 offset:816
	s_waitcnt vmcnt(3) lgkmcnt(1)
	v_mul_f64 v[28:29], v[2:3], v[121:122]
	v_mul_f64 v[35:36], v[4:5], v[121:122]
	s_waitcnt vmcnt(2) lgkmcnt(0)
	v_mul_f64 v[22:23], v[10:11], v[127:128]
	v_add_f64 v[18:19], v[18:19], v[26:27]
	v_add_f64 v[20:21], v[20:21], v[32:33]
	v_mul_f64 v[24:25], v[12:13], v[127:128]
	v_fma_f64 v[26:27], v[4:5], v[119:120], v[28:29]
	v_fma_f64 v[28:29], v[2:3], v[119:120], -v[35:36]
	v_fma_f64 v[12:13], v[12:13], v[125:126], v[22:23]
	v_add_f64 v[18:19], v[18:19], v[14:15]
	v_add_f64 v[20:21], v[20:21], v[16:17]
	ds_load_b128 v[2:5], v1 offset:832
	ds_load_b128 v[14:17], v1 offset:848
	v_fma_f64 v[10:11], v[10:11], v[125:126], -v[24:25]
	s_waitcnt vmcnt(1) lgkmcnt(1)
	v_mul_f64 v[30:31], v[2:3], v[143:144]
	v_mul_f64 v[32:33], v[4:5], v[143:144]
	s_waitcnt vmcnt(0) lgkmcnt(0)
	v_mul_f64 v[22:23], v[14:15], v[8:9]
	v_mul_f64 v[8:9], v[16:17], v[8:9]
	v_add_f64 v[18:19], v[18:19], v[28:29]
	v_add_f64 v[20:21], v[20:21], v[26:27]
	v_fma_f64 v[4:5], v[4:5], v[141:142], v[30:31]
	v_fma_f64 v[1:2], v[2:3], v[141:142], -v[32:33]
	v_fma_f64 v[16:17], v[16:17], v[6:7], v[22:23]
	v_fma_f64 v[6:7], v[14:15], v[6:7], -v[8:9]
	v_add_f64 v[10:11], v[18:19], v[10:11]
	v_add_f64 v[12:13], v[20:21], v[12:13]
	s_delay_alu instid0(VALU_DEP_2) | instskip(NEXT) | instid1(VALU_DEP_2)
	v_add_f64 v[1:2], v[10:11], v[1:2]
	v_add_f64 v[3:4], v[12:13], v[4:5]
	s_delay_alu instid0(VALU_DEP_2) | instskip(NEXT) | instid1(VALU_DEP_2)
	;; [unrolled: 3-line block ×3, first 2 shown]
	v_add_f64 v[1:2], v[131:132], -v[1:2]
	v_add_f64 v[3:4], v[133:134], -v[3:4]
	scratch_store_b128 off, v[1:4], off offset:64
	v_cmpx_lt_u32_e32 3, v92
	s_cbranch_execz .LBB90_169
; %bb.168:
	scratch_load_b128 v[1:4], v94, off
	v_mov_b32_e32 v5, 0
	s_delay_alu instid0(VALU_DEP_1)
	v_mov_b32_e32 v6, v5
	v_mov_b32_e32 v7, v5
	;; [unrolled: 1-line block ×3, first 2 shown]
	scratch_store_b128 off, v[5:8], off offset:48
	s_waitcnt vmcnt(0)
	ds_store_b128 v34, v[1:4]
.LBB90_169:
	s_or_b32 exec_lo, exec_lo, s2
	s_waitcnt lgkmcnt(0)
	s_waitcnt_vscnt null, 0x0
	s_barrier
	buffer_gl0_inv
	s_clause 0x7
	scratch_load_b128 v[2:5], off, off offset:64
	scratch_load_b128 v[6:9], off, off offset:80
	;; [unrolled: 1-line block ×8, first 2 shown]
	v_mov_b32_e32 v1, 0
	s_mov_b32 s2, exec_lo
	ds_load_b128 v[119:122], v1 offset:496
	s_clause 0x1
	scratch_load_b128 v[123:126], off, off offset:192
	scratch_load_b128 v[127:130], off, off offset:48
	ds_load_b128 v[131:134], v1 offset:512
	scratch_load_b128 v[135:138], off, off offset:208
	ds_load_b128 v[139:142], v1 offset:544
	s_waitcnt vmcnt(10) lgkmcnt(2)
	v_mul_f64 v[35:36], v[121:122], v[4:5]
	v_mul_f64 v[4:5], v[119:120], v[4:5]
	s_delay_alu instid0(VALU_DEP_2) | instskip(NEXT) | instid1(VALU_DEP_2)
	v_fma_f64 v[35:36], v[119:120], v[2:3], -v[35:36]
	v_fma_f64 v[145:146], v[121:122], v[2:3], v[4:5]
	ds_load_b128 v[2:5], v1 offset:528
	s_waitcnt vmcnt(9) lgkmcnt(2)
	v_mul_f64 v[143:144], v[131:132], v[8:9]
	v_mul_f64 v[8:9], v[133:134], v[8:9]
	scratch_load_b128 v[119:122], off, off offset:224
	s_waitcnt vmcnt(9) lgkmcnt(0)
	v_mul_f64 v[147:148], v[2:3], v[12:13]
	v_mul_f64 v[12:13], v[4:5], v[12:13]
	v_add_f64 v[35:36], v[35:36], 0
	v_fma_f64 v[133:134], v[133:134], v[6:7], v[143:144]
	v_fma_f64 v[131:132], v[131:132], v[6:7], -v[8:9]
	v_add_f64 v[143:144], v[145:146], 0
	scratch_load_b128 v[6:9], off, off offset:240
	v_fma_f64 v[147:148], v[4:5], v[10:11], v[147:148]
	v_fma_f64 v[149:150], v[2:3], v[10:11], -v[12:13]
	scratch_load_b128 v[10:13], off, off offset:256
	ds_load_b128 v[2:5], v1 offset:560
	s_waitcnt vmcnt(10)
	v_mul_f64 v[145:146], v[139:140], v[16:17]
	v_mul_f64 v[16:17], v[141:142], v[16:17]
	v_add_f64 v[35:36], v[35:36], v[131:132]
	v_add_f64 v[143:144], v[143:144], v[133:134]
	ds_load_b128 v[131:134], v1 offset:576
	s_waitcnt vmcnt(9) lgkmcnt(1)
	v_mul_f64 v[151:152], v[2:3], v[20:21]
	v_mul_f64 v[20:21], v[4:5], v[20:21]
	v_fma_f64 v[141:142], v[141:142], v[14:15], v[145:146]
	v_fma_f64 v[139:140], v[139:140], v[14:15], -v[16:17]
	scratch_load_b128 v[14:17], off, off offset:272
	v_add_f64 v[35:36], v[35:36], v[149:150]
	v_add_f64 v[143:144], v[143:144], v[147:148]
	v_fma_f64 v[147:148], v[4:5], v[18:19], v[151:152]
	v_fma_f64 v[149:150], v[2:3], v[18:19], -v[20:21]
	scratch_load_b128 v[18:21], off, off offset:288
	ds_load_b128 v[2:5], v1 offset:592
	s_waitcnt vmcnt(10) lgkmcnt(1)
	v_mul_f64 v[145:146], v[131:132], v[24:25]
	v_mul_f64 v[24:25], v[133:134], v[24:25]
	s_waitcnt vmcnt(9) lgkmcnt(0)
	v_mul_f64 v[151:152], v[2:3], v[28:29]
	v_mul_f64 v[28:29], v[4:5], v[28:29]
	v_add_f64 v[35:36], v[35:36], v[139:140]
	v_add_f64 v[143:144], v[143:144], v[141:142]
	ds_load_b128 v[139:142], v1 offset:608
	v_fma_f64 v[133:134], v[133:134], v[22:23], v[145:146]
	v_fma_f64 v[131:132], v[131:132], v[22:23], -v[24:25]
	scratch_load_b128 v[22:25], off, off offset:304
	v_add_f64 v[35:36], v[35:36], v[149:150]
	v_add_f64 v[143:144], v[143:144], v[147:148]
	v_fma_f64 v[147:148], v[4:5], v[26:27], v[151:152]
	v_fma_f64 v[149:150], v[2:3], v[26:27], -v[28:29]
	scratch_load_b128 v[26:29], off, off offset:320
	ds_load_b128 v[2:5], v1 offset:624
	s_waitcnt vmcnt(10) lgkmcnt(1)
	v_mul_f64 v[145:146], v[139:140], v[32:33]
	v_mul_f64 v[32:33], v[141:142], v[32:33]
	s_waitcnt vmcnt(9) lgkmcnt(0)
	v_mul_f64 v[151:152], v[2:3], v[125:126]
	v_mul_f64 v[125:126], v[4:5], v[125:126]
	v_add_f64 v[35:36], v[35:36], v[131:132]
	v_add_f64 v[143:144], v[143:144], v[133:134]
	ds_load_b128 v[131:134], v1 offset:640
	v_fma_f64 v[141:142], v[141:142], v[30:31], v[145:146]
	v_fma_f64 v[139:140], v[139:140], v[30:31], -v[32:33]
	scratch_load_b128 v[30:33], off, off offset:336
	v_add_f64 v[35:36], v[35:36], v[149:150]
	v_add_f64 v[143:144], v[143:144], v[147:148]
	v_fma_f64 v[149:150], v[4:5], v[123:124], v[151:152]
	v_fma_f64 v[151:152], v[2:3], v[123:124], -v[125:126]
	scratch_load_b128 v[123:126], off, off offset:352
	ds_load_b128 v[2:5], v1 offset:656
	s_waitcnt vmcnt(9) lgkmcnt(1)
	v_mul_f64 v[145:146], v[131:132], v[137:138]
	v_mul_f64 v[147:148], v[133:134], v[137:138]
	v_add_f64 v[35:36], v[35:36], v[139:140]
	v_add_f64 v[141:142], v[143:144], v[141:142]
	ds_load_b128 v[137:140], v1 offset:672
	v_fma_f64 v[145:146], v[133:134], v[135:136], v[145:146]
	v_fma_f64 v[135:136], v[131:132], v[135:136], -v[147:148]
	scratch_load_b128 v[131:134], off, off offset:368
	s_waitcnt vmcnt(9) lgkmcnt(1)
	v_mul_f64 v[143:144], v[2:3], v[121:122]
	v_mul_f64 v[121:122], v[4:5], v[121:122]
	v_add_f64 v[35:36], v[35:36], v[151:152]
	v_add_f64 v[141:142], v[141:142], v[149:150]
	s_delay_alu instid0(VALU_DEP_4) | instskip(NEXT) | instid1(VALU_DEP_4)
	v_fma_f64 v[149:150], v[4:5], v[119:120], v[143:144]
	v_fma_f64 v[151:152], v[2:3], v[119:120], -v[121:122]
	scratch_load_b128 v[119:122], off, off offset:384
	ds_load_b128 v[2:5], v1 offset:688
	s_waitcnt vmcnt(9) lgkmcnt(1)
	v_mul_f64 v[147:148], v[137:138], v[8:9]
	v_mul_f64 v[8:9], v[139:140], v[8:9]
	v_add_f64 v[35:36], v[35:36], v[135:136]
	v_add_f64 v[135:136], v[141:142], v[145:146]
	s_waitcnt vmcnt(8) lgkmcnt(0)
	v_mul_f64 v[145:146], v[2:3], v[12:13]
	v_mul_f64 v[12:13], v[4:5], v[12:13]
	ds_load_b128 v[141:144], v1 offset:704
	v_fma_f64 v[139:140], v[139:140], v[6:7], v[147:148]
	v_fma_f64 v[137:138], v[137:138], v[6:7], -v[8:9]
	scratch_load_b128 v[6:9], off, off offset:400
	v_add_f64 v[35:36], v[35:36], v[151:152]
	v_add_f64 v[135:136], v[135:136], v[149:150]
	v_fma_f64 v[145:146], v[4:5], v[10:11], v[145:146]
	v_fma_f64 v[149:150], v[2:3], v[10:11], -v[12:13]
	scratch_load_b128 v[10:13], off, off offset:416
	ds_load_b128 v[2:5], v1 offset:720
	s_waitcnt vmcnt(9) lgkmcnt(1)
	v_mul_f64 v[147:148], v[141:142], v[16:17]
	v_mul_f64 v[16:17], v[143:144], v[16:17]
	s_waitcnt vmcnt(8) lgkmcnt(0)
	v_mul_f64 v[151:152], v[2:3], v[20:21]
	v_mul_f64 v[20:21], v[4:5], v[20:21]
	v_add_f64 v[35:36], v[35:36], v[137:138]
	v_add_f64 v[139:140], v[135:136], v[139:140]
	ds_load_b128 v[135:138], v1 offset:736
	v_fma_f64 v[143:144], v[143:144], v[14:15], v[147:148]
	v_fma_f64 v[14:15], v[141:142], v[14:15], -v[16:17]
	v_fma_f64 v[141:142], v[4:5], v[18:19], v[151:152]
	v_fma_f64 v[18:19], v[2:3], v[18:19], -v[20:21]
	v_add_f64 v[16:17], v[35:36], v[149:150]
	v_add_f64 v[35:36], v[139:140], v[145:146]
	s_waitcnt vmcnt(7) lgkmcnt(0)
	v_mul_f64 v[139:140], v[135:136], v[24:25]
	v_mul_f64 v[24:25], v[137:138], v[24:25]
	s_delay_alu instid0(VALU_DEP_4) | instskip(NEXT) | instid1(VALU_DEP_4)
	v_add_f64 v[20:21], v[16:17], v[14:15]
	v_add_f64 v[35:36], v[35:36], v[143:144]
	ds_load_b128 v[2:5], v1 offset:752
	ds_load_b128 v[14:17], v1 offset:768
	v_fma_f64 v[137:138], v[137:138], v[22:23], v[139:140]
	v_fma_f64 v[22:23], v[135:136], v[22:23], -v[24:25]
	s_waitcnt vmcnt(6) lgkmcnt(1)
	v_mul_f64 v[143:144], v[2:3], v[28:29]
	v_mul_f64 v[28:29], v[4:5], v[28:29]
	s_waitcnt vmcnt(5) lgkmcnt(0)
	v_mul_f64 v[24:25], v[14:15], v[32:33]
	v_mul_f64 v[32:33], v[16:17], v[32:33]
	v_add_f64 v[18:19], v[20:21], v[18:19]
	v_add_f64 v[20:21], v[35:36], v[141:142]
	v_fma_f64 v[35:36], v[4:5], v[26:27], v[143:144]
	v_fma_f64 v[26:27], v[2:3], v[26:27], -v[28:29]
	v_fma_f64 v[16:17], v[16:17], v[30:31], v[24:25]
	v_fma_f64 v[14:15], v[14:15], v[30:31], -v[32:33]
	v_add_f64 v[22:23], v[18:19], v[22:23]
	v_add_f64 v[28:29], v[20:21], v[137:138]
	ds_load_b128 v[2:5], v1 offset:784
	ds_load_b128 v[18:21], v1 offset:800
	s_waitcnt vmcnt(4) lgkmcnt(1)
	v_mul_f64 v[135:136], v[2:3], v[125:126]
	v_mul_f64 v[125:126], v[4:5], v[125:126]
	v_add_f64 v[22:23], v[22:23], v[26:27]
	v_add_f64 v[24:25], v[28:29], v[35:36]
	s_waitcnt vmcnt(3) lgkmcnt(0)
	v_mul_f64 v[26:27], v[18:19], v[133:134]
	v_mul_f64 v[28:29], v[20:21], v[133:134]
	v_fma_f64 v[30:31], v[4:5], v[123:124], v[135:136]
	v_fma_f64 v[32:33], v[2:3], v[123:124], -v[125:126]
	v_add_f64 v[22:23], v[22:23], v[14:15]
	v_add_f64 v[24:25], v[24:25], v[16:17]
	ds_load_b128 v[2:5], v1 offset:816
	ds_load_b128 v[14:17], v1 offset:832
	v_fma_f64 v[20:21], v[20:21], v[131:132], v[26:27]
	v_fma_f64 v[18:19], v[18:19], v[131:132], -v[28:29]
	s_waitcnt vmcnt(2) lgkmcnt(1)
	v_mul_f64 v[35:36], v[2:3], v[121:122]
	v_mul_f64 v[121:122], v[4:5], v[121:122]
	v_add_f64 v[22:23], v[22:23], v[32:33]
	v_add_f64 v[24:25], v[24:25], v[30:31]
	s_waitcnt vmcnt(1) lgkmcnt(0)
	v_mul_f64 v[26:27], v[14:15], v[8:9]
	v_mul_f64 v[8:9], v[16:17], v[8:9]
	v_fma_f64 v[28:29], v[4:5], v[119:120], v[35:36]
	v_fma_f64 v[30:31], v[2:3], v[119:120], -v[121:122]
	ds_load_b128 v[2:5], v1 offset:848
	v_add_f64 v[18:19], v[22:23], v[18:19]
	v_add_f64 v[20:21], v[24:25], v[20:21]
	v_fma_f64 v[16:17], v[16:17], v[6:7], v[26:27]
	v_fma_f64 v[6:7], v[14:15], v[6:7], -v[8:9]
	s_waitcnt vmcnt(0) lgkmcnt(0)
	v_mul_f64 v[22:23], v[2:3], v[12:13]
	v_mul_f64 v[12:13], v[4:5], v[12:13]
	v_add_f64 v[8:9], v[18:19], v[30:31]
	v_add_f64 v[14:15], v[20:21], v[28:29]
	s_delay_alu instid0(VALU_DEP_4) | instskip(NEXT) | instid1(VALU_DEP_4)
	v_fma_f64 v[4:5], v[4:5], v[10:11], v[22:23]
	v_fma_f64 v[2:3], v[2:3], v[10:11], -v[12:13]
	s_delay_alu instid0(VALU_DEP_4) | instskip(NEXT) | instid1(VALU_DEP_4)
	v_add_f64 v[6:7], v[8:9], v[6:7]
	v_add_f64 v[8:9], v[14:15], v[16:17]
	s_delay_alu instid0(VALU_DEP_2) | instskip(NEXT) | instid1(VALU_DEP_2)
	v_add_f64 v[2:3], v[6:7], v[2:3]
	v_add_f64 v[4:5], v[8:9], v[4:5]
	s_delay_alu instid0(VALU_DEP_2) | instskip(NEXT) | instid1(VALU_DEP_2)
	v_add_f64 v[2:3], v[127:128], -v[2:3]
	v_add_f64 v[4:5], v[129:130], -v[4:5]
	scratch_store_b128 off, v[2:5], off offset:48
	v_cmpx_lt_u32_e32 2, v92
	s_cbranch_execz .LBB90_171
; %bb.170:
	scratch_load_b128 v[5:8], v95, off
	v_mov_b32_e32 v2, v1
	v_mov_b32_e32 v3, v1
	;; [unrolled: 1-line block ×3, first 2 shown]
	scratch_store_b128 off, v[1:4], off offset:32
	s_waitcnt vmcnt(0)
	ds_store_b128 v34, v[5:8]
.LBB90_171:
	s_or_b32 exec_lo, exec_lo, s2
	s_waitcnt lgkmcnt(0)
	s_waitcnt_vscnt null, 0x0
	s_barrier
	buffer_gl0_inv
	s_clause 0x8
	scratch_load_b128 v[2:5], off, off offset:48
	scratch_load_b128 v[6:9], off, off offset:64
	;; [unrolled: 1-line block ×9, first 2 shown]
	ds_load_b128 v[123:126], v1 offset:480
	ds_load_b128 v[127:130], v1 offset:496
	s_clause 0x1
	scratch_load_b128 v[131:134], off, off offset:32
	scratch_load_b128 v[135:138], off, off offset:192
	s_mov_b32 s2, exec_lo
	ds_load_b128 v[139:142], v1 offset:528
	s_waitcnt vmcnt(10) lgkmcnt(2)
	v_mul_f64 v[35:36], v[125:126], v[4:5]
	v_mul_f64 v[4:5], v[123:124], v[4:5]
	s_waitcnt vmcnt(9) lgkmcnt(1)
	v_mul_f64 v[143:144], v[127:128], v[8:9]
	v_mul_f64 v[8:9], v[129:130], v[8:9]
	s_delay_alu instid0(VALU_DEP_4) | instskip(NEXT) | instid1(VALU_DEP_4)
	v_fma_f64 v[35:36], v[123:124], v[2:3], -v[35:36]
	v_fma_f64 v[145:146], v[125:126], v[2:3], v[4:5]
	ds_load_b128 v[2:5], v1 offset:512
	scratch_load_b128 v[123:126], off, off offset:208
	v_fma_f64 v[129:130], v[129:130], v[6:7], v[143:144]
	v_fma_f64 v[127:128], v[127:128], v[6:7], -v[8:9]
	scratch_load_b128 v[6:9], off, off offset:224
	s_waitcnt vmcnt(10) lgkmcnt(0)
	v_mul_f64 v[147:148], v[2:3], v[12:13]
	v_mul_f64 v[12:13], v[4:5], v[12:13]
	v_add_f64 v[35:36], v[35:36], 0
	v_add_f64 v[143:144], v[145:146], 0
	s_waitcnt vmcnt(9)
	v_mul_f64 v[145:146], v[139:140], v[16:17]
	v_mul_f64 v[16:17], v[141:142], v[16:17]
	v_fma_f64 v[147:148], v[4:5], v[10:11], v[147:148]
	v_fma_f64 v[149:150], v[2:3], v[10:11], -v[12:13]
	ds_load_b128 v[2:5], v1 offset:544
	scratch_load_b128 v[10:13], off, off offset:240
	v_add_f64 v[35:36], v[35:36], v[127:128]
	v_add_f64 v[143:144], v[143:144], v[129:130]
	ds_load_b128 v[127:130], v1 offset:560
	v_fma_f64 v[141:142], v[141:142], v[14:15], v[145:146]
	v_fma_f64 v[139:140], v[139:140], v[14:15], -v[16:17]
	scratch_load_b128 v[14:17], off, off offset:256
	s_waitcnt vmcnt(10) lgkmcnt(1)
	v_mul_f64 v[151:152], v[2:3], v[20:21]
	v_mul_f64 v[20:21], v[4:5], v[20:21]
	s_waitcnt vmcnt(9) lgkmcnt(0)
	v_mul_f64 v[145:146], v[127:128], v[24:25]
	v_mul_f64 v[24:25], v[129:130], v[24:25]
	v_add_f64 v[35:36], v[35:36], v[149:150]
	v_add_f64 v[143:144], v[143:144], v[147:148]
	v_fma_f64 v[147:148], v[4:5], v[18:19], v[151:152]
	v_fma_f64 v[149:150], v[2:3], v[18:19], -v[20:21]
	ds_load_b128 v[2:5], v1 offset:576
	scratch_load_b128 v[18:21], off, off offset:272
	v_fma_f64 v[129:130], v[129:130], v[22:23], v[145:146]
	v_fma_f64 v[127:128], v[127:128], v[22:23], -v[24:25]
	scratch_load_b128 v[22:25], off, off offset:288
	v_add_f64 v[35:36], v[35:36], v[139:140]
	v_add_f64 v[143:144], v[143:144], v[141:142]
	ds_load_b128 v[139:142], v1 offset:592
	s_waitcnt vmcnt(10) lgkmcnt(1)
	v_mul_f64 v[151:152], v[2:3], v[28:29]
	v_mul_f64 v[28:29], v[4:5], v[28:29]
	s_waitcnt vmcnt(9) lgkmcnt(0)
	v_mul_f64 v[145:146], v[139:140], v[32:33]
	v_mul_f64 v[32:33], v[141:142], v[32:33]
	v_add_f64 v[35:36], v[35:36], v[149:150]
	v_add_f64 v[143:144], v[143:144], v[147:148]
	v_fma_f64 v[147:148], v[4:5], v[26:27], v[151:152]
	v_fma_f64 v[149:150], v[2:3], v[26:27], -v[28:29]
	ds_load_b128 v[2:5], v1 offset:608
	scratch_load_b128 v[26:29], off, off offset:304
	v_fma_f64 v[141:142], v[141:142], v[30:31], v[145:146]
	v_fma_f64 v[139:140], v[139:140], v[30:31], -v[32:33]
	scratch_load_b128 v[30:33], off, off offset:320
	v_add_f64 v[35:36], v[35:36], v[127:128]
	v_add_f64 v[143:144], v[143:144], v[129:130]
	ds_load_b128 v[127:130], v1 offset:624
	s_waitcnt vmcnt(10) lgkmcnt(1)
	v_mul_f64 v[151:152], v[2:3], v[121:122]
	v_mul_f64 v[121:122], v[4:5], v[121:122]
	s_waitcnt vmcnt(8) lgkmcnt(0)
	v_mul_f64 v[145:146], v[127:128], v[137:138]
	v_add_f64 v[35:36], v[35:36], v[149:150]
	v_add_f64 v[143:144], v[143:144], v[147:148]
	v_mul_f64 v[147:148], v[129:130], v[137:138]
	v_fma_f64 v[149:150], v[4:5], v[119:120], v[151:152]
	v_fma_f64 v[151:152], v[2:3], v[119:120], -v[121:122]
	ds_load_b128 v[2:5], v1 offset:640
	scratch_load_b128 v[119:122], off, off offset:336
	v_fma_f64 v[129:130], v[129:130], v[135:136], v[145:146]
	v_add_f64 v[35:36], v[35:36], v[139:140]
	v_add_f64 v[141:142], v[143:144], v[141:142]
	ds_load_b128 v[137:140], v1 offset:656
	v_fma_f64 v[135:136], v[127:128], v[135:136], -v[147:148]
	ds_load_b128 v[145:148], v1 offset:688
	s_waitcnt vmcnt(8) lgkmcnt(2)
	v_mul_f64 v[143:144], v[2:3], v[125:126]
	v_mul_f64 v[153:154], v[4:5], v[125:126]
	scratch_load_b128 v[125:128], off, off offset:352
	v_add_f64 v[35:36], v[35:36], v[151:152]
	v_add_f64 v[141:142], v[141:142], v[149:150]
	s_waitcnt vmcnt(8) lgkmcnt(1)
	v_mul_f64 v[149:150], v[137:138], v[8:9]
	v_mul_f64 v[8:9], v[139:140], v[8:9]
	v_fma_f64 v[151:152], v[4:5], v[123:124], v[143:144]
	v_fma_f64 v[123:124], v[2:3], v[123:124], -v[153:154]
	ds_load_b128 v[2:5], v1 offset:672
	v_add_f64 v[35:36], v[35:36], v[135:136]
	v_add_f64 v[129:130], v[141:142], v[129:130]
	scratch_load_b128 v[141:144], off, off offset:368
	s_waitcnt vmcnt(8) lgkmcnt(0)
	v_mul_f64 v[135:136], v[2:3], v[12:13]
	v_mul_f64 v[12:13], v[4:5], v[12:13]
	v_fma_f64 v[139:140], v[139:140], v[6:7], v[149:150]
	v_fma_f64 v[137:138], v[137:138], v[6:7], -v[8:9]
	scratch_load_b128 v[6:9], off, off offset:384
	v_add_f64 v[35:36], v[35:36], v[123:124]
	v_add_f64 v[123:124], v[129:130], v[151:152]
	s_waitcnt vmcnt(8)
	v_mul_f64 v[129:130], v[145:146], v[16:17]
	v_mul_f64 v[16:17], v[147:148], v[16:17]
	v_fma_f64 v[149:150], v[4:5], v[10:11], v[135:136]
	v_fma_f64 v[151:152], v[2:3], v[10:11], -v[12:13]
	ds_load_b128 v[2:5], v1 offset:704
	scratch_load_b128 v[10:13], off, off offset:400
	v_add_f64 v[35:36], v[35:36], v[137:138]
	v_add_f64 v[123:124], v[123:124], v[139:140]
	ds_load_b128 v[135:138], v1 offset:720
	s_waitcnt vmcnt(8) lgkmcnt(1)
	v_mul_f64 v[139:140], v[2:3], v[20:21]
	v_mul_f64 v[20:21], v[4:5], v[20:21]
	v_fma_f64 v[129:130], v[147:148], v[14:15], v[129:130]
	v_fma_f64 v[145:146], v[145:146], v[14:15], -v[16:17]
	scratch_load_b128 v[14:17], off, off offset:416
	s_waitcnt vmcnt(8) lgkmcnt(0)
	v_mul_f64 v[147:148], v[135:136], v[24:25]
	v_mul_f64 v[24:25], v[137:138], v[24:25]
	v_add_f64 v[35:36], v[35:36], v[151:152]
	v_add_f64 v[123:124], v[123:124], v[149:150]
	v_fma_f64 v[139:140], v[4:5], v[18:19], v[139:140]
	v_fma_f64 v[149:150], v[2:3], v[18:19], -v[20:21]
	ds_load_b128 v[2:5], v1 offset:736
	ds_load_b128 v[18:21], v1 offset:752
	v_fma_f64 v[137:138], v[137:138], v[22:23], v[147:148]
	v_fma_f64 v[22:23], v[135:136], v[22:23], -v[24:25]
	v_add_f64 v[35:36], v[35:36], v[145:146]
	v_add_f64 v[123:124], v[123:124], v[129:130]
	s_waitcnt vmcnt(7) lgkmcnt(1)
	v_mul_f64 v[129:130], v[2:3], v[28:29]
	v_mul_f64 v[28:29], v[4:5], v[28:29]
	s_delay_alu instid0(VALU_DEP_4) | instskip(NEXT) | instid1(VALU_DEP_4)
	v_add_f64 v[24:25], v[35:36], v[149:150]
	v_add_f64 v[35:36], v[123:124], v[139:140]
	s_waitcnt vmcnt(6) lgkmcnt(0)
	v_mul_f64 v[123:124], v[18:19], v[32:33]
	v_mul_f64 v[32:33], v[20:21], v[32:33]
	v_fma_f64 v[129:130], v[4:5], v[26:27], v[129:130]
	v_fma_f64 v[26:27], v[2:3], v[26:27], -v[28:29]
	v_add_f64 v[28:29], v[24:25], v[22:23]
	v_add_f64 v[35:36], v[35:36], v[137:138]
	ds_load_b128 v[2:5], v1 offset:768
	ds_load_b128 v[22:25], v1 offset:784
	v_fma_f64 v[20:21], v[20:21], v[30:31], v[123:124]
	v_fma_f64 v[18:19], v[18:19], v[30:31], -v[32:33]
	s_waitcnt vmcnt(5) lgkmcnt(1)
	v_mul_f64 v[135:136], v[2:3], v[121:122]
	v_mul_f64 v[121:122], v[4:5], v[121:122]
	s_waitcnt vmcnt(4) lgkmcnt(0)
	v_mul_f64 v[30:31], v[22:23], v[127:128]
	v_add_f64 v[26:27], v[28:29], v[26:27]
	v_add_f64 v[28:29], v[35:36], v[129:130]
	v_mul_f64 v[32:33], v[24:25], v[127:128]
	v_fma_f64 v[35:36], v[4:5], v[119:120], v[135:136]
	v_fma_f64 v[119:120], v[2:3], v[119:120], -v[121:122]
	v_fma_f64 v[24:25], v[24:25], v[125:126], v[30:31]
	v_add_f64 v[26:27], v[26:27], v[18:19]
	v_add_f64 v[28:29], v[28:29], v[20:21]
	ds_load_b128 v[2:5], v1 offset:800
	ds_load_b128 v[18:21], v1 offset:816
	v_fma_f64 v[22:23], v[22:23], v[125:126], -v[32:33]
	s_waitcnt vmcnt(3) lgkmcnt(1)
	v_mul_f64 v[121:122], v[2:3], v[143:144]
	v_mul_f64 v[123:124], v[4:5], v[143:144]
	s_waitcnt vmcnt(2) lgkmcnt(0)
	v_mul_f64 v[30:31], v[18:19], v[8:9]
	v_mul_f64 v[8:9], v[20:21], v[8:9]
	v_add_f64 v[26:27], v[26:27], v[119:120]
	v_add_f64 v[28:29], v[28:29], v[35:36]
	v_fma_f64 v[32:33], v[4:5], v[141:142], v[121:122]
	v_fma_f64 v[35:36], v[2:3], v[141:142], -v[123:124]
	v_fma_f64 v[20:21], v[20:21], v[6:7], v[30:31]
	v_fma_f64 v[6:7], v[18:19], v[6:7], -v[8:9]
	v_add_f64 v[26:27], v[26:27], v[22:23]
	v_add_f64 v[28:29], v[28:29], v[24:25]
	ds_load_b128 v[2:5], v1 offset:832
	ds_load_b128 v[22:25], v1 offset:848
	s_waitcnt vmcnt(1) lgkmcnt(1)
	v_mul_f64 v[119:120], v[2:3], v[12:13]
	v_mul_f64 v[12:13], v[4:5], v[12:13]
	v_add_f64 v[8:9], v[26:27], v[35:36]
	v_add_f64 v[18:19], v[28:29], v[32:33]
	s_waitcnt vmcnt(0) lgkmcnt(0)
	v_mul_f64 v[26:27], v[22:23], v[16:17]
	v_mul_f64 v[16:17], v[24:25], v[16:17]
	v_fma_f64 v[4:5], v[4:5], v[10:11], v[119:120]
	v_fma_f64 v[1:2], v[2:3], v[10:11], -v[12:13]
	v_add_f64 v[6:7], v[8:9], v[6:7]
	v_add_f64 v[8:9], v[18:19], v[20:21]
	v_fma_f64 v[10:11], v[24:25], v[14:15], v[26:27]
	v_fma_f64 v[12:13], v[22:23], v[14:15], -v[16:17]
	s_delay_alu instid0(VALU_DEP_4) | instskip(NEXT) | instid1(VALU_DEP_4)
	v_add_f64 v[1:2], v[6:7], v[1:2]
	v_add_f64 v[3:4], v[8:9], v[4:5]
	s_delay_alu instid0(VALU_DEP_2) | instskip(NEXT) | instid1(VALU_DEP_2)
	v_add_f64 v[1:2], v[1:2], v[12:13]
	v_add_f64 v[3:4], v[3:4], v[10:11]
	s_delay_alu instid0(VALU_DEP_2) | instskip(NEXT) | instid1(VALU_DEP_2)
	v_add_f64 v[1:2], v[131:132], -v[1:2]
	v_add_f64 v[3:4], v[133:134], -v[3:4]
	scratch_store_b128 off, v[1:4], off offset:32
	v_cmpx_lt_u32_e32 1, v92
	s_cbranch_execz .LBB90_173
; %bb.172:
	scratch_load_b128 v[1:4], v96, off
	v_mov_b32_e32 v5, 0
	s_delay_alu instid0(VALU_DEP_1)
	v_mov_b32_e32 v6, v5
	v_mov_b32_e32 v7, v5
	;; [unrolled: 1-line block ×3, first 2 shown]
	scratch_store_b128 off, v[5:8], off offset:16
	s_waitcnt vmcnt(0)
	ds_store_b128 v34, v[1:4]
.LBB90_173:
	s_or_b32 exec_lo, exec_lo, s2
	s_waitcnt lgkmcnt(0)
	s_waitcnt_vscnt null, 0x0
	s_barrier
	buffer_gl0_inv
	s_clause 0x7
	scratch_load_b128 v[2:5], off, off offset:32
	scratch_load_b128 v[6:9], off, off offset:48
	;; [unrolled: 1-line block ×8, first 2 shown]
	v_mov_b32_e32 v1, 0
	s_mov_b32 s2, exec_lo
	ds_load_b128 v[119:122], v1 offset:464
	s_clause 0x1
	scratch_load_b128 v[123:126], off, off offset:160
	scratch_load_b128 v[127:130], off, off offset:16
	ds_load_b128 v[131:134], v1 offset:480
	scratch_load_b128 v[135:138], off, off offset:176
	ds_load_b128 v[139:142], v1 offset:512
	s_waitcnt vmcnt(10) lgkmcnt(2)
	v_mul_f64 v[35:36], v[121:122], v[4:5]
	v_mul_f64 v[4:5], v[119:120], v[4:5]
	s_delay_alu instid0(VALU_DEP_2) | instskip(NEXT) | instid1(VALU_DEP_2)
	v_fma_f64 v[35:36], v[119:120], v[2:3], -v[35:36]
	v_fma_f64 v[145:146], v[121:122], v[2:3], v[4:5]
	ds_load_b128 v[2:5], v1 offset:496
	s_waitcnt vmcnt(9) lgkmcnt(2)
	v_mul_f64 v[143:144], v[131:132], v[8:9]
	v_mul_f64 v[8:9], v[133:134], v[8:9]
	scratch_load_b128 v[119:122], off, off offset:192
	s_waitcnt vmcnt(9) lgkmcnt(0)
	v_mul_f64 v[147:148], v[2:3], v[12:13]
	v_mul_f64 v[12:13], v[4:5], v[12:13]
	v_add_f64 v[35:36], v[35:36], 0
	v_fma_f64 v[133:134], v[133:134], v[6:7], v[143:144]
	v_fma_f64 v[131:132], v[131:132], v[6:7], -v[8:9]
	v_add_f64 v[143:144], v[145:146], 0
	scratch_load_b128 v[6:9], off, off offset:208
	v_fma_f64 v[147:148], v[4:5], v[10:11], v[147:148]
	v_fma_f64 v[149:150], v[2:3], v[10:11], -v[12:13]
	scratch_load_b128 v[10:13], off, off offset:224
	ds_load_b128 v[2:5], v1 offset:528
	s_waitcnt vmcnt(10)
	v_mul_f64 v[145:146], v[139:140], v[16:17]
	v_mul_f64 v[16:17], v[141:142], v[16:17]
	v_add_f64 v[35:36], v[35:36], v[131:132]
	v_add_f64 v[143:144], v[143:144], v[133:134]
	ds_load_b128 v[131:134], v1 offset:544
	s_waitcnt vmcnt(9) lgkmcnt(1)
	v_mul_f64 v[151:152], v[2:3], v[20:21]
	v_mul_f64 v[20:21], v[4:5], v[20:21]
	v_fma_f64 v[141:142], v[141:142], v[14:15], v[145:146]
	v_fma_f64 v[139:140], v[139:140], v[14:15], -v[16:17]
	scratch_load_b128 v[14:17], off, off offset:240
	v_add_f64 v[35:36], v[35:36], v[149:150]
	v_add_f64 v[143:144], v[143:144], v[147:148]
	v_fma_f64 v[147:148], v[4:5], v[18:19], v[151:152]
	v_fma_f64 v[149:150], v[2:3], v[18:19], -v[20:21]
	scratch_load_b128 v[18:21], off, off offset:256
	ds_load_b128 v[2:5], v1 offset:560
	s_waitcnt vmcnt(10) lgkmcnt(1)
	v_mul_f64 v[145:146], v[131:132], v[24:25]
	v_mul_f64 v[24:25], v[133:134], v[24:25]
	s_waitcnt vmcnt(9) lgkmcnt(0)
	v_mul_f64 v[151:152], v[2:3], v[28:29]
	v_mul_f64 v[28:29], v[4:5], v[28:29]
	v_add_f64 v[35:36], v[35:36], v[139:140]
	v_add_f64 v[143:144], v[143:144], v[141:142]
	ds_load_b128 v[139:142], v1 offset:576
	v_fma_f64 v[133:134], v[133:134], v[22:23], v[145:146]
	v_fma_f64 v[131:132], v[131:132], v[22:23], -v[24:25]
	scratch_load_b128 v[22:25], off, off offset:272
	v_add_f64 v[35:36], v[35:36], v[149:150]
	v_add_f64 v[143:144], v[143:144], v[147:148]
	v_fma_f64 v[147:148], v[4:5], v[26:27], v[151:152]
	v_fma_f64 v[149:150], v[2:3], v[26:27], -v[28:29]
	scratch_load_b128 v[26:29], off, off offset:288
	ds_load_b128 v[2:5], v1 offset:592
	s_waitcnt vmcnt(10) lgkmcnt(1)
	v_mul_f64 v[145:146], v[139:140], v[32:33]
	v_mul_f64 v[32:33], v[141:142], v[32:33]
	s_waitcnt vmcnt(9) lgkmcnt(0)
	v_mul_f64 v[151:152], v[2:3], v[125:126]
	v_mul_f64 v[125:126], v[4:5], v[125:126]
	v_add_f64 v[35:36], v[35:36], v[131:132]
	v_add_f64 v[143:144], v[143:144], v[133:134]
	ds_load_b128 v[131:134], v1 offset:608
	v_fma_f64 v[141:142], v[141:142], v[30:31], v[145:146]
	v_fma_f64 v[139:140], v[139:140], v[30:31], -v[32:33]
	scratch_load_b128 v[30:33], off, off offset:304
	v_add_f64 v[35:36], v[35:36], v[149:150]
	v_add_f64 v[143:144], v[143:144], v[147:148]
	v_fma_f64 v[149:150], v[4:5], v[123:124], v[151:152]
	v_fma_f64 v[151:152], v[2:3], v[123:124], -v[125:126]
	scratch_load_b128 v[123:126], off, off offset:320
	ds_load_b128 v[2:5], v1 offset:624
	s_waitcnt vmcnt(9) lgkmcnt(1)
	v_mul_f64 v[145:146], v[131:132], v[137:138]
	v_mul_f64 v[147:148], v[133:134], v[137:138]
	v_add_f64 v[35:36], v[35:36], v[139:140]
	v_add_f64 v[141:142], v[143:144], v[141:142]
	ds_load_b128 v[137:140], v1 offset:640
	v_fma_f64 v[145:146], v[133:134], v[135:136], v[145:146]
	v_fma_f64 v[135:136], v[131:132], v[135:136], -v[147:148]
	scratch_load_b128 v[131:134], off, off offset:336
	s_waitcnt vmcnt(9) lgkmcnt(1)
	v_mul_f64 v[143:144], v[2:3], v[121:122]
	v_mul_f64 v[121:122], v[4:5], v[121:122]
	v_add_f64 v[35:36], v[35:36], v[151:152]
	v_add_f64 v[141:142], v[141:142], v[149:150]
	s_delay_alu instid0(VALU_DEP_4) | instskip(NEXT) | instid1(VALU_DEP_4)
	v_fma_f64 v[149:150], v[4:5], v[119:120], v[143:144]
	v_fma_f64 v[151:152], v[2:3], v[119:120], -v[121:122]
	scratch_load_b128 v[119:122], off, off offset:352
	ds_load_b128 v[2:5], v1 offset:656
	s_waitcnt vmcnt(9) lgkmcnt(1)
	v_mul_f64 v[147:148], v[137:138], v[8:9]
	v_mul_f64 v[8:9], v[139:140], v[8:9]
	v_add_f64 v[35:36], v[35:36], v[135:136]
	v_add_f64 v[135:136], v[141:142], v[145:146]
	s_waitcnt vmcnt(8) lgkmcnt(0)
	v_mul_f64 v[145:146], v[2:3], v[12:13]
	v_mul_f64 v[12:13], v[4:5], v[12:13]
	ds_load_b128 v[141:144], v1 offset:672
	v_fma_f64 v[139:140], v[139:140], v[6:7], v[147:148]
	v_fma_f64 v[137:138], v[137:138], v[6:7], -v[8:9]
	scratch_load_b128 v[6:9], off, off offset:368
	v_add_f64 v[35:36], v[35:36], v[151:152]
	v_add_f64 v[135:136], v[135:136], v[149:150]
	v_fma_f64 v[145:146], v[4:5], v[10:11], v[145:146]
	v_fma_f64 v[149:150], v[2:3], v[10:11], -v[12:13]
	scratch_load_b128 v[10:13], off, off offset:384
	ds_load_b128 v[2:5], v1 offset:688
	s_waitcnt vmcnt(9) lgkmcnt(1)
	v_mul_f64 v[147:148], v[141:142], v[16:17]
	v_mul_f64 v[16:17], v[143:144], v[16:17]
	s_waitcnt vmcnt(8) lgkmcnt(0)
	v_mul_f64 v[151:152], v[2:3], v[20:21]
	v_mul_f64 v[20:21], v[4:5], v[20:21]
	v_add_f64 v[35:36], v[35:36], v[137:138]
	v_add_f64 v[139:140], v[135:136], v[139:140]
	ds_load_b128 v[135:138], v1 offset:704
	v_fma_f64 v[143:144], v[143:144], v[14:15], v[147:148]
	v_fma_f64 v[141:142], v[141:142], v[14:15], -v[16:17]
	scratch_load_b128 v[14:17], off, off offset:400
	v_fma_f64 v[147:148], v[4:5], v[18:19], v[151:152]
	v_add_f64 v[35:36], v[35:36], v[149:150]
	v_add_f64 v[139:140], v[139:140], v[145:146]
	v_fma_f64 v[149:150], v[2:3], v[18:19], -v[20:21]
	scratch_load_b128 v[18:21], off, off offset:416
	ds_load_b128 v[2:5], v1 offset:720
	s_waitcnt vmcnt(9) lgkmcnt(1)
	v_mul_f64 v[145:146], v[135:136], v[24:25]
	v_mul_f64 v[24:25], v[137:138], v[24:25]
	s_waitcnt vmcnt(8) lgkmcnt(0)
	v_mul_f64 v[151:152], v[2:3], v[28:29]
	v_mul_f64 v[28:29], v[4:5], v[28:29]
	v_add_f64 v[35:36], v[35:36], v[141:142]
	v_add_f64 v[143:144], v[139:140], v[143:144]
	ds_load_b128 v[139:142], v1 offset:736
	v_fma_f64 v[137:138], v[137:138], v[22:23], v[145:146]
	v_fma_f64 v[22:23], v[135:136], v[22:23], -v[24:25]
	s_waitcnt vmcnt(7) lgkmcnt(0)
	v_mul_f64 v[135:136], v[139:140], v[32:33]
	v_mul_f64 v[32:33], v[141:142], v[32:33]
	v_add_f64 v[24:25], v[35:36], v[149:150]
	v_add_f64 v[35:36], v[143:144], v[147:148]
	v_fma_f64 v[143:144], v[4:5], v[26:27], v[151:152]
	v_fma_f64 v[26:27], v[2:3], v[26:27], -v[28:29]
	v_fma_f64 v[135:136], v[141:142], v[30:31], v[135:136]
	v_fma_f64 v[30:31], v[139:140], v[30:31], -v[32:33]
	v_add_f64 v[28:29], v[24:25], v[22:23]
	v_add_f64 v[35:36], v[35:36], v[137:138]
	ds_load_b128 v[2:5], v1 offset:752
	ds_load_b128 v[22:25], v1 offset:768
	s_waitcnt vmcnt(6) lgkmcnt(1)
	v_mul_f64 v[137:138], v[2:3], v[125:126]
	v_mul_f64 v[125:126], v[4:5], v[125:126]
	s_waitcnt vmcnt(5) lgkmcnt(0)
	v_mul_f64 v[32:33], v[22:23], v[133:134]
	v_add_f64 v[26:27], v[28:29], v[26:27]
	v_add_f64 v[28:29], v[35:36], v[143:144]
	v_mul_f64 v[35:36], v[24:25], v[133:134]
	v_fma_f64 v[133:134], v[4:5], v[123:124], v[137:138]
	v_fma_f64 v[123:124], v[2:3], v[123:124], -v[125:126]
	v_fma_f64 v[24:25], v[24:25], v[131:132], v[32:33]
	v_add_f64 v[30:31], v[26:27], v[30:31]
	v_add_f64 v[125:126], v[28:29], v[135:136]
	ds_load_b128 v[2:5], v1 offset:784
	ds_load_b128 v[26:29], v1 offset:800
	v_fma_f64 v[22:23], v[22:23], v[131:132], -v[35:36]
	s_waitcnt vmcnt(4) lgkmcnt(1)
	v_mul_f64 v[135:136], v[2:3], v[121:122]
	v_mul_f64 v[121:122], v[4:5], v[121:122]
	v_add_f64 v[30:31], v[30:31], v[123:124]
	v_add_f64 v[32:33], v[125:126], v[133:134]
	s_waitcnt vmcnt(3) lgkmcnt(0)
	v_mul_f64 v[35:36], v[26:27], v[8:9]
	v_mul_f64 v[8:9], v[28:29], v[8:9]
	v_fma_f64 v[123:124], v[4:5], v[119:120], v[135:136]
	v_fma_f64 v[119:120], v[2:3], v[119:120], -v[121:122]
	v_add_f64 v[30:31], v[30:31], v[22:23]
	v_add_f64 v[32:33], v[32:33], v[24:25]
	ds_load_b128 v[2:5], v1 offset:816
	ds_load_b128 v[22:25], v1 offset:832
	v_fma_f64 v[28:29], v[28:29], v[6:7], v[35:36]
	v_fma_f64 v[6:7], v[26:27], v[6:7], -v[8:9]
	s_waitcnt vmcnt(2) lgkmcnt(1)
	v_mul_f64 v[121:122], v[2:3], v[12:13]
	v_mul_f64 v[12:13], v[4:5], v[12:13]
	v_add_f64 v[8:9], v[30:31], v[119:120]
	v_add_f64 v[26:27], v[32:33], v[123:124]
	s_waitcnt vmcnt(1) lgkmcnt(0)
	v_mul_f64 v[30:31], v[22:23], v[16:17]
	v_mul_f64 v[16:17], v[24:25], v[16:17]
	v_fma_f64 v[32:33], v[4:5], v[10:11], v[121:122]
	v_fma_f64 v[10:11], v[2:3], v[10:11], -v[12:13]
	ds_load_b128 v[2:5], v1 offset:848
	v_add_f64 v[6:7], v[8:9], v[6:7]
	v_add_f64 v[8:9], v[26:27], v[28:29]
	v_fma_f64 v[24:25], v[24:25], v[14:15], v[30:31]
	v_fma_f64 v[14:15], v[22:23], v[14:15], -v[16:17]
	s_waitcnt vmcnt(0) lgkmcnt(0)
	v_mul_f64 v[12:13], v[2:3], v[20:21]
	v_mul_f64 v[20:21], v[4:5], v[20:21]
	v_add_f64 v[6:7], v[6:7], v[10:11]
	v_add_f64 v[8:9], v[8:9], v[32:33]
	s_delay_alu instid0(VALU_DEP_4) | instskip(NEXT) | instid1(VALU_DEP_4)
	v_fma_f64 v[4:5], v[4:5], v[18:19], v[12:13]
	v_fma_f64 v[2:3], v[2:3], v[18:19], -v[20:21]
	s_delay_alu instid0(VALU_DEP_4) | instskip(NEXT) | instid1(VALU_DEP_4)
	v_add_f64 v[6:7], v[6:7], v[14:15]
	v_add_f64 v[8:9], v[8:9], v[24:25]
	s_delay_alu instid0(VALU_DEP_2) | instskip(NEXT) | instid1(VALU_DEP_2)
	v_add_f64 v[2:3], v[6:7], v[2:3]
	v_add_f64 v[4:5], v[8:9], v[4:5]
	s_delay_alu instid0(VALU_DEP_2) | instskip(NEXT) | instid1(VALU_DEP_2)
	v_add_f64 v[2:3], v[127:128], -v[2:3]
	v_add_f64 v[4:5], v[129:130], -v[4:5]
	scratch_store_b128 off, v[2:5], off offset:16
	v_cmpx_ne_u32_e32 0, v92
	s_cbranch_execz .LBB90_175
; %bb.174:
	scratch_load_b128 v[5:8], off, off
	v_mov_b32_e32 v2, v1
	v_mov_b32_e32 v3, v1
	;; [unrolled: 1-line block ×3, first 2 shown]
	scratch_store_b128 off, v[1:4], off
	s_waitcnt vmcnt(0)
	ds_store_b128 v34, v[5:8]
.LBB90_175:
	s_or_b32 exec_lo, exec_lo, s2
	s_waitcnt lgkmcnt(0)
	s_waitcnt_vscnt null, 0x0
	s_barrier
	buffer_gl0_inv
	s_clause 0x8
	scratch_load_b128 v[2:5], off, off offset:16
	scratch_load_b128 v[6:9], off, off offset:32
	;; [unrolled: 1-line block ×9, first 2 shown]
	ds_load_b128 v[119:122], v1 offset:448
	ds_load_b128 v[123:126], v1 offset:464
	s_clause 0x1
	scratch_load_b128 v[127:130], off, off
	scratch_load_b128 v[131:134], off, off offset:160
	s_and_b32 vcc_lo, exec_lo, s14
	s_waitcnt vmcnt(10) lgkmcnt(1)
	v_mul_f64 v[135:136], v[121:122], v[4:5]
	v_mul_f64 v[4:5], v[119:120], v[4:5]
	s_waitcnt vmcnt(9) lgkmcnt(0)
	v_mul_f64 v[139:140], v[123:124], v[8:9]
	v_mul_f64 v[8:9], v[125:126], v[8:9]
	s_delay_alu instid0(VALU_DEP_4) | instskip(NEXT) | instid1(VALU_DEP_4)
	v_fma_f64 v[141:142], v[119:120], v[2:3], -v[135:136]
	v_fma_f64 v[143:144], v[121:122], v[2:3], v[4:5]
	ds_load_b128 v[2:5], v1 offset:480
	ds_load_b128 v[135:138], v1 offset:496
	scratch_load_b128 v[119:122], off, off offset:176
	v_fma_f64 v[125:126], v[125:126], v[6:7], v[139:140]
	v_fma_f64 v[123:124], v[123:124], v[6:7], -v[8:9]
	scratch_load_b128 v[6:9], off, off offset:192
	s_waitcnt vmcnt(10) lgkmcnt(1)
	v_mul_f64 v[145:146], v[2:3], v[12:13]
	v_mul_f64 v[12:13], v[4:5], v[12:13]
	v_add_f64 v[139:140], v[141:142], 0
	v_add_f64 v[141:142], v[143:144], 0
	s_waitcnt vmcnt(9) lgkmcnt(0)
	v_mul_f64 v[143:144], v[135:136], v[16:17]
	v_mul_f64 v[16:17], v[137:138], v[16:17]
	v_fma_f64 v[145:146], v[4:5], v[10:11], v[145:146]
	v_fma_f64 v[147:148], v[2:3], v[10:11], -v[12:13]
	ds_load_b128 v[2:5], v1 offset:512
	scratch_load_b128 v[10:13], off, off offset:208
	v_add_f64 v[139:140], v[139:140], v[123:124]
	v_add_f64 v[141:142], v[141:142], v[125:126]
	ds_load_b128 v[123:126], v1 offset:528
	v_fma_f64 v[137:138], v[137:138], v[14:15], v[143:144]
	v_fma_f64 v[135:136], v[135:136], v[14:15], -v[16:17]
	scratch_load_b128 v[14:17], off, off offset:224
	s_waitcnt vmcnt(10) lgkmcnt(1)
	v_mul_f64 v[149:150], v[2:3], v[20:21]
	v_mul_f64 v[20:21], v[4:5], v[20:21]
	s_waitcnt vmcnt(9) lgkmcnt(0)
	v_mul_f64 v[143:144], v[123:124], v[24:25]
	v_mul_f64 v[24:25], v[125:126], v[24:25]
	v_add_f64 v[139:140], v[139:140], v[147:148]
	v_add_f64 v[141:142], v[141:142], v[145:146]
	v_fma_f64 v[145:146], v[4:5], v[18:19], v[149:150]
	v_fma_f64 v[147:148], v[2:3], v[18:19], -v[20:21]
	ds_load_b128 v[2:5], v1 offset:544
	scratch_load_b128 v[18:21], off, off offset:240
	v_fma_f64 v[125:126], v[125:126], v[22:23], v[143:144]
	v_fma_f64 v[123:124], v[123:124], v[22:23], -v[24:25]
	scratch_load_b128 v[22:25], off, off offset:256
	v_add_f64 v[139:140], v[139:140], v[135:136]
	v_add_f64 v[141:142], v[141:142], v[137:138]
	ds_load_b128 v[135:138], v1 offset:560
	s_waitcnt vmcnt(10) lgkmcnt(1)
	v_mul_f64 v[149:150], v[2:3], v[28:29]
	v_mul_f64 v[28:29], v[4:5], v[28:29]
	s_waitcnt vmcnt(9) lgkmcnt(0)
	v_mul_f64 v[143:144], v[135:136], v[32:33]
	v_mul_f64 v[32:33], v[137:138], v[32:33]
	v_add_f64 v[139:140], v[139:140], v[147:148]
	v_add_f64 v[141:142], v[141:142], v[145:146]
	v_fma_f64 v[145:146], v[4:5], v[26:27], v[149:150]
	v_fma_f64 v[147:148], v[2:3], v[26:27], -v[28:29]
	ds_load_b128 v[2:5], v1 offset:576
	scratch_load_b128 v[26:29], off, off offset:272
	v_fma_f64 v[137:138], v[137:138], v[30:31], v[143:144]
	v_fma_f64 v[135:136], v[135:136], v[30:31], -v[32:33]
	scratch_load_b128 v[30:33], off, off offset:288
	v_add_f64 v[139:140], v[139:140], v[123:124]
	v_add_f64 v[141:142], v[141:142], v[125:126]
	ds_load_b128 v[123:126], v1 offset:592
	s_waitcnt vmcnt(10) lgkmcnt(1)
	v_mul_f64 v[149:150], v[2:3], v[36:37]
	v_mul_f64 v[36:37], v[4:5], v[36:37]
	s_waitcnt vmcnt(8) lgkmcnt(0)
	v_mul_f64 v[143:144], v[123:124], v[133:134]
	v_add_f64 v[139:140], v[139:140], v[147:148]
	v_add_f64 v[141:142], v[141:142], v[145:146]
	v_mul_f64 v[145:146], v[125:126], v[133:134]
	v_fma_f64 v[147:148], v[4:5], v[34:35], v[149:150]
	v_fma_f64 v[149:150], v[2:3], v[34:35], -v[36:37]
	ds_load_b128 v[2:5], v1 offset:608
	scratch_load_b128 v[34:37], off, off offset:304
	v_fma_f64 v[125:126], v[125:126], v[131:132], v[143:144]
	v_add_f64 v[139:140], v[139:140], v[135:136]
	v_add_f64 v[137:138], v[141:142], v[137:138]
	ds_load_b128 v[133:136], v1 offset:624
	v_fma_f64 v[131:132], v[123:124], v[131:132], -v[145:146]
	s_waitcnt vmcnt(8) lgkmcnt(1)
	v_mul_f64 v[141:142], v[2:3], v[121:122]
	v_mul_f64 v[151:152], v[4:5], v[121:122]
	scratch_load_b128 v[121:124], off, off offset:320
	s_waitcnt vmcnt(8) lgkmcnt(0)
	v_mul_f64 v[145:146], v[133:134], v[8:9]
	v_mul_f64 v[8:9], v[135:136], v[8:9]
	v_add_f64 v[139:140], v[139:140], v[149:150]
	v_add_f64 v[137:138], v[137:138], v[147:148]
	v_fma_f64 v[147:148], v[4:5], v[119:120], v[141:142]
	v_fma_f64 v[119:120], v[2:3], v[119:120], -v[151:152]
	ds_load_b128 v[2:5], v1 offset:640
	ds_load_b128 v[141:144], v1 offset:656
	v_fma_f64 v[135:136], v[135:136], v[6:7], v[145:146]
	v_fma_f64 v[133:134], v[133:134], v[6:7], -v[8:9]
	scratch_load_b128 v[6:9], off, off offset:352
	v_add_f64 v[131:132], v[139:140], v[131:132]
	v_add_f64 v[125:126], v[137:138], v[125:126]
	scratch_load_b128 v[137:140], off, off offset:336
	s_waitcnt vmcnt(9) lgkmcnt(1)
	v_mul_f64 v[149:150], v[2:3], v[12:13]
	v_mul_f64 v[12:13], v[4:5], v[12:13]
	s_waitcnt vmcnt(8) lgkmcnt(0)
	v_mul_f64 v[145:146], v[141:142], v[16:17]
	v_mul_f64 v[16:17], v[143:144], v[16:17]
	v_add_f64 v[119:120], v[131:132], v[119:120]
	v_add_f64 v[125:126], v[125:126], v[147:148]
	v_fma_f64 v[147:148], v[4:5], v[10:11], v[149:150]
	v_fma_f64 v[149:150], v[2:3], v[10:11], -v[12:13]
	ds_load_b128 v[2:5], v1 offset:672
	scratch_load_b128 v[10:13], off, off offset:368
	v_fma_f64 v[143:144], v[143:144], v[14:15], v[145:146]
	v_fma_f64 v[141:142], v[141:142], v[14:15], -v[16:17]
	scratch_load_b128 v[14:17], off, off offset:384
	v_add_f64 v[119:120], v[119:120], v[133:134]
	v_add_f64 v[125:126], v[125:126], v[135:136]
	ds_load_b128 v[131:134], v1 offset:688
	s_waitcnt vmcnt(9) lgkmcnt(1)
	v_mul_f64 v[135:136], v[2:3], v[20:21]
	v_mul_f64 v[20:21], v[4:5], v[20:21]
	s_waitcnt vmcnt(8) lgkmcnt(0)
	v_mul_f64 v[145:146], v[131:132], v[24:25]
	v_mul_f64 v[24:25], v[133:134], v[24:25]
	v_add_f64 v[119:120], v[119:120], v[149:150]
	v_add_f64 v[125:126], v[125:126], v[147:148]
	v_fma_f64 v[135:136], v[4:5], v[18:19], v[135:136]
	v_fma_f64 v[147:148], v[2:3], v[18:19], -v[20:21]
	ds_load_b128 v[2:5], v1 offset:704
	scratch_load_b128 v[18:21], off, off offset:400
	v_fma_f64 v[133:134], v[133:134], v[22:23], v[145:146]
	v_fma_f64 v[131:132], v[131:132], v[22:23], -v[24:25]
	scratch_load_b128 v[22:25], off, off offset:416
	v_add_f64 v[119:120], v[119:120], v[141:142]
	v_add_f64 v[125:126], v[125:126], v[143:144]
	ds_load_b128 v[141:144], v1 offset:720
	s_waitcnt vmcnt(9) lgkmcnt(1)
	v_mul_f64 v[149:150], v[2:3], v[28:29]
	v_mul_f64 v[28:29], v[4:5], v[28:29]
	v_add_f64 v[119:120], v[119:120], v[147:148]
	v_add_f64 v[125:126], v[125:126], v[135:136]
	s_waitcnt vmcnt(8) lgkmcnt(0)
	v_mul_f64 v[135:136], v[141:142], v[32:33]
	v_mul_f64 v[32:33], v[143:144], v[32:33]
	v_fma_f64 v[145:146], v[4:5], v[26:27], v[149:150]
	v_fma_f64 v[147:148], v[2:3], v[26:27], -v[28:29]
	ds_load_b128 v[2:5], v1 offset:736
	ds_load_b128 v[26:29], v1 offset:752
	v_add_f64 v[119:120], v[119:120], v[131:132]
	v_add_f64 v[125:126], v[125:126], v[133:134]
	s_waitcnt vmcnt(7) lgkmcnt(1)
	v_mul_f64 v[131:132], v[2:3], v[36:37]
	v_mul_f64 v[36:37], v[4:5], v[36:37]
	v_fma_f64 v[133:134], v[143:144], v[30:31], v[135:136]
	v_fma_f64 v[30:31], v[141:142], v[30:31], -v[32:33]
	v_add_f64 v[32:33], v[119:120], v[147:148]
	v_add_f64 v[119:120], v[125:126], v[145:146]
	s_waitcnt vmcnt(6) lgkmcnt(0)
	v_mul_f64 v[125:126], v[26:27], v[123:124]
	v_mul_f64 v[123:124], v[28:29], v[123:124]
	v_fma_f64 v[131:132], v[4:5], v[34:35], v[131:132]
	v_fma_f64 v[34:35], v[2:3], v[34:35], -v[36:37]
	v_add_f64 v[36:37], v[32:33], v[30:31]
	v_add_f64 v[119:120], v[119:120], v[133:134]
	ds_load_b128 v[2:5], v1 offset:768
	ds_load_b128 v[30:33], v1 offset:784
	v_fma_f64 v[28:29], v[28:29], v[121:122], v[125:126]
	v_fma_f64 v[26:27], v[26:27], v[121:122], -v[123:124]
	s_waitcnt vmcnt(4) lgkmcnt(1)
	v_mul_f64 v[133:134], v[2:3], v[139:140]
	v_mul_f64 v[135:136], v[4:5], v[139:140]
	v_add_f64 v[34:35], v[36:37], v[34:35]
	v_add_f64 v[36:37], v[119:120], v[131:132]
	s_waitcnt lgkmcnt(0)
	v_mul_f64 v[119:120], v[30:31], v[8:9]
	v_mul_f64 v[8:9], v[32:33], v[8:9]
	v_fma_f64 v[121:122], v[4:5], v[137:138], v[133:134]
	v_fma_f64 v[123:124], v[2:3], v[137:138], -v[135:136]
	v_add_f64 v[34:35], v[34:35], v[26:27]
	v_add_f64 v[36:37], v[36:37], v[28:29]
	ds_load_b128 v[2:5], v1 offset:800
	ds_load_b128 v[26:29], v1 offset:816
	v_fma_f64 v[32:33], v[32:33], v[6:7], v[119:120]
	v_fma_f64 v[6:7], v[30:31], v[6:7], -v[8:9]
	s_waitcnt vmcnt(3) lgkmcnt(1)
	v_mul_f64 v[125:126], v[2:3], v[12:13]
	v_mul_f64 v[12:13], v[4:5], v[12:13]
	v_add_f64 v[8:9], v[34:35], v[123:124]
	v_add_f64 v[30:31], v[36:37], v[121:122]
	s_waitcnt vmcnt(2) lgkmcnt(0)
	v_mul_f64 v[34:35], v[26:27], v[16:17]
	v_mul_f64 v[16:17], v[28:29], v[16:17]
	v_fma_f64 v[36:37], v[4:5], v[10:11], v[125:126]
	v_fma_f64 v[10:11], v[2:3], v[10:11], -v[12:13]
	v_add_f64 v[12:13], v[8:9], v[6:7]
	v_add_f64 v[30:31], v[30:31], v[32:33]
	ds_load_b128 v[2:5], v1 offset:832
	ds_load_b128 v[6:9], v1 offset:848
	v_fma_f64 v[28:29], v[28:29], v[14:15], v[34:35]
	v_fma_f64 v[14:15], v[26:27], v[14:15], -v[16:17]
	s_waitcnt vmcnt(1) lgkmcnt(1)
	v_mul_f64 v[32:33], v[2:3], v[20:21]
	v_mul_f64 v[20:21], v[4:5], v[20:21]
	s_waitcnt vmcnt(0) lgkmcnt(0)
	v_mul_f64 v[16:17], v[6:7], v[24:25]
	v_mul_f64 v[24:25], v[8:9], v[24:25]
	v_add_f64 v[10:11], v[12:13], v[10:11]
	v_add_f64 v[12:13], v[30:31], v[36:37]
	v_fma_f64 v[4:5], v[4:5], v[18:19], v[32:33]
	v_fma_f64 v[1:2], v[2:3], v[18:19], -v[20:21]
	v_fma_f64 v[8:9], v[8:9], v[22:23], v[16:17]
	v_fma_f64 v[6:7], v[6:7], v[22:23], -v[24:25]
	v_add_f64 v[10:11], v[10:11], v[14:15]
	v_add_f64 v[12:13], v[12:13], v[28:29]
	s_delay_alu instid0(VALU_DEP_2) | instskip(NEXT) | instid1(VALU_DEP_2)
	v_add_f64 v[1:2], v[10:11], v[1:2]
	v_add_f64 v[3:4], v[12:13], v[4:5]
	s_delay_alu instid0(VALU_DEP_2) | instskip(NEXT) | instid1(VALU_DEP_2)
	;; [unrolled: 3-line block ×3, first 2 shown]
	v_add_f64 v[1:2], v[127:128], -v[1:2]
	v_add_f64 v[3:4], v[129:130], -v[3:4]
	scratch_store_b128 off, v[1:4], off
	s_cbranch_vccz .LBB90_229
; %bb.176:
	v_dual_mov_b32 v1, s8 :: v_dual_mov_b32 v2, s9
	s_load_b64 s[0:1], s[0:1], 0x4
	flat_load_b32 v1, v[1:2] offset:100
	v_bfe_u32 v2, v0, 10, 10
	v_bfe_u32 v0, v0, 20, 10
	s_waitcnt lgkmcnt(0)
	s_lshr_b32 s0, s0, 16
	s_delay_alu instid0(VALU_DEP_2) | instskip(SKIP_1) | instid1(SALU_CYCLE_1)
	v_mul_u32_u24_e32 v2, s1, v2
	s_mul_i32 s0, s0, s1
	v_mul_u32_u24_e32 v3, s0, v92
	s_mov_b32 s0, exec_lo
	s_delay_alu instid0(VALU_DEP_1) | instskip(NEXT) | instid1(VALU_DEP_1)
	v_add3_u32 v0, v3, v2, v0
	v_lshl_add_u32 v0, v0, 4, 0x368
	s_waitcnt vmcnt(0)
	v_cmpx_ne_u32_e32 26, v1
	s_cbranch_execz .LBB90_178
; %bb.177:
	v_lshl_add_u32 v9, v1, 4, 0
	s_clause 0x1
	scratch_load_b128 v[1:4], v118, off
	scratch_load_b128 v[5:8], v9, off offset:-16
	s_waitcnt vmcnt(1)
	ds_store_2addr_b64 v0, v[1:2], v[3:4] offset1:1
	s_waitcnt vmcnt(0)
	s_clause 0x1
	scratch_store_b128 v118, v[5:8], off
	scratch_store_b128 v9, v[1:4], off offset:-16
.LBB90_178:
	s_or_b32 exec_lo, exec_lo, s0
	v_dual_mov_b32 v1, s8 :: v_dual_mov_b32 v2, s9
	s_mov_b32 s0, exec_lo
	flat_load_b32 v1, v[1:2] offset:96
	s_waitcnt vmcnt(0) lgkmcnt(0)
	v_cmpx_ne_u32_e32 25, v1
	s_cbranch_execz .LBB90_180
; %bb.179:
	v_lshl_add_u32 v9, v1, 4, 0
	s_clause 0x1
	scratch_load_b128 v[1:4], v110, off
	scratch_load_b128 v[5:8], v9, off offset:-16
	s_waitcnt vmcnt(1)
	ds_store_2addr_b64 v0, v[1:2], v[3:4] offset1:1
	s_waitcnt vmcnt(0)
	s_clause 0x1
	scratch_store_b128 v110, v[5:8], off
	scratch_store_b128 v9, v[1:4], off offset:-16
.LBB90_180:
	s_or_b32 exec_lo, exec_lo, s0
	v_dual_mov_b32 v1, s8 :: v_dual_mov_b32 v2, s9
	s_mov_b32 s0, exec_lo
	flat_load_b32 v1, v[1:2] offset:92
	s_waitcnt vmcnt(0) lgkmcnt(0)
	;; [unrolled: 19-line block ×24, first 2 shown]
	v_cmpx_ne_u32_e32 2, v1
	s_cbranch_execz .LBB90_226
; %bb.225:
	v_lshl_add_u32 v9, v1, 4, 0
	s_clause 0x1
	scratch_load_b128 v[1:4], v96, off
	scratch_load_b128 v[5:8], v9, off offset:-16
	s_waitcnt vmcnt(1)
	ds_store_2addr_b64 v0, v[1:2], v[3:4] offset1:1
	s_waitcnt vmcnt(0)
	s_clause 0x1
	scratch_store_b128 v96, v[5:8], off
	scratch_store_b128 v9, v[1:4], off offset:-16
.LBB90_226:
	s_or_b32 exec_lo, exec_lo, s0
	v_dual_mov_b32 v1, s8 :: v_dual_mov_b32 v2, s9
	s_mov_b32 s0, exec_lo
	flat_load_b32 v1, v[1:2]
	s_waitcnt vmcnt(0) lgkmcnt(0)
	v_cmpx_ne_u32_e32 1, v1
	s_cbranch_execz .LBB90_228
; %bb.227:
	v_lshl_add_u32 v9, v1, 4, 0
	scratch_load_b128 v[1:4], off, off
	scratch_load_b128 v[5:8], v9, off offset:-16
	s_waitcnt vmcnt(1)
	ds_store_2addr_b64 v0, v[1:2], v[3:4] offset1:1
	s_waitcnt vmcnt(0)
	scratch_store_b128 off, v[5:8], off
	scratch_store_b128 v9, v[1:4], off offset:-16
.LBB90_228:
	s_or_b32 exec_lo, exec_lo, s0
.LBB90_229:
	scratch_load_b128 v[0:3], off, off
	s_clause 0x19
	scratch_load_b128 v[4:7], v96, off
	scratch_load_b128 v[8:11], v95, off
	;; [unrolled: 1-line block ×26, first 2 shown]
	s_waitcnt vmcnt(26)
	global_store_b128 v[38:39], v[0:3], off
	s_waitcnt vmcnt(25)
	global_store_b128 v[40:41], v[4:7], off
	;; [unrolled: 2-line block ×27, first 2 shown]
	s_endpgm
	.section	.rodata,"a",@progbits
	.p2align	6, 0x0
	.amdhsa_kernel _ZN9rocsolver6v33100L18getri_kernel_smallILi27E19rocblas_complex_numIdEPKPS3_EEvT1_iilPiilS8_bb
		.amdhsa_group_segment_fixed_size 1896
		.amdhsa_private_segment_fixed_size 448
		.amdhsa_kernarg_size 60
		.amdhsa_user_sgpr_count 15
		.amdhsa_user_sgpr_dispatch_ptr 1
		.amdhsa_user_sgpr_queue_ptr 0
		.amdhsa_user_sgpr_kernarg_segment_ptr 1
		.amdhsa_user_sgpr_dispatch_id 0
		.amdhsa_user_sgpr_private_segment_size 0
		.amdhsa_wavefront_size32 1
		.amdhsa_uses_dynamic_stack 0
		.amdhsa_enable_private_segment 1
		.amdhsa_system_sgpr_workgroup_id_x 1
		.amdhsa_system_sgpr_workgroup_id_y 0
		.amdhsa_system_sgpr_workgroup_id_z 0
		.amdhsa_system_sgpr_workgroup_info 0
		.amdhsa_system_vgpr_workitem_id 2
		.amdhsa_next_free_vgpr 179
		.amdhsa_next_free_sgpr 25
		.amdhsa_reserve_vcc 1
		.amdhsa_float_round_mode_32 0
		.amdhsa_float_round_mode_16_64 0
		.amdhsa_float_denorm_mode_32 3
		.amdhsa_float_denorm_mode_16_64 3
		.amdhsa_dx10_clamp 1
		.amdhsa_ieee_mode 1
		.amdhsa_fp16_overflow 0
		.amdhsa_workgroup_processor_mode 1
		.amdhsa_memory_ordered 1
		.amdhsa_forward_progress 0
		.amdhsa_shared_vgpr_count 0
		.amdhsa_exception_fp_ieee_invalid_op 0
		.amdhsa_exception_fp_denorm_src 0
		.amdhsa_exception_fp_ieee_div_zero 0
		.amdhsa_exception_fp_ieee_overflow 0
		.amdhsa_exception_fp_ieee_underflow 0
		.amdhsa_exception_fp_ieee_inexact 0
		.amdhsa_exception_int_div_zero 0
	.end_amdhsa_kernel
	.section	.text._ZN9rocsolver6v33100L18getri_kernel_smallILi27E19rocblas_complex_numIdEPKPS3_EEvT1_iilPiilS8_bb,"axG",@progbits,_ZN9rocsolver6v33100L18getri_kernel_smallILi27E19rocblas_complex_numIdEPKPS3_EEvT1_iilPiilS8_bb,comdat
.Lfunc_end90:
	.size	_ZN9rocsolver6v33100L18getri_kernel_smallILi27E19rocblas_complex_numIdEPKPS3_EEvT1_iilPiilS8_bb, .Lfunc_end90-_ZN9rocsolver6v33100L18getri_kernel_smallILi27E19rocblas_complex_numIdEPKPS3_EEvT1_iilPiilS8_bb
                                        ; -- End function
	.section	.AMDGPU.csdata,"",@progbits
; Kernel info:
; codeLenInByte = 40884
; NumSgprs: 27
; NumVgprs: 179
; ScratchSize: 448
; MemoryBound: 0
; FloatMode: 240
; IeeeMode: 1
; LDSByteSize: 1896 bytes/workgroup (compile time only)
; SGPRBlocks: 3
; VGPRBlocks: 22
; NumSGPRsForWavesPerEU: 27
; NumVGPRsForWavesPerEU: 179
; Occupancy: 8
; WaveLimiterHint : 1
; COMPUTE_PGM_RSRC2:SCRATCH_EN: 1
; COMPUTE_PGM_RSRC2:USER_SGPR: 15
; COMPUTE_PGM_RSRC2:TRAP_HANDLER: 0
; COMPUTE_PGM_RSRC2:TGID_X_EN: 1
; COMPUTE_PGM_RSRC2:TGID_Y_EN: 0
; COMPUTE_PGM_RSRC2:TGID_Z_EN: 0
; COMPUTE_PGM_RSRC2:TIDIG_COMP_CNT: 2
	.section	.text._ZN9rocsolver6v33100L18getri_kernel_smallILi28E19rocblas_complex_numIdEPKPS3_EEvT1_iilPiilS8_bb,"axG",@progbits,_ZN9rocsolver6v33100L18getri_kernel_smallILi28E19rocblas_complex_numIdEPKPS3_EEvT1_iilPiilS8_bb,comdat
	.globl	_ZN9rocsolver6v33100L18getri_kernel_smallILi28E19rocblas_complex_numIdEPKPS3_EEvT1_iilPiilS8_bb ; -- Begin function _ZN9rocsolver6v33100L18getri_kernel_smallILi28E19rocblas_complex_numIdEPKPS3_EEvT1_iilPiilS8_bb
	.p2align	8
	.type	_ZN9rocsolver6v33100L18getri_kernel_smallILi28E19rocblas_complex_numIdEPKPS3_EEvT1_iilPiilS8_bb,@function
_ZN9rocsolver6v33100L18getri_kernel_smallILi28E19rocblas_complex_numIdEPKPS3_EEvT1_iilPiilS8_bb: ; @_ZN9rocsolver6v33100L18getri_kernel_smallILi28E19rocblas_complex_numIdEPKPS3_EEvT1_iilPiilS8_bb
; %bb.0:
	v_and_b32_e32 v94, 0x3ff, v0
	s_mov_b32 s4, exec_lo
	s_delay_alu instid0(VALU_DEP_1)
	v_cmpx_gt_u32_e32 28, v94
	s_cbranch_execz .LBB91_126
; %bb.1:
	s_mov_b32 s10, s15
	s_clause 0x2
	s_load_b32 s15, s[2:3], 0x38
	s_load_b64 s[8:9], s[2:3], 0x0
	s_load_b128 s[4:7], s[2:3], 0x28
	s_waitcnt lgkmcnt(0)
	s_bitcmp1_b32 s15, 8
	s_cselect_b32 s14, -1, 0
	s_ashr_i32 s11, s10, 31
	s_delay_alu instid0(SALU_CYCLE_1) | instskip(NEXT) | instid1(SALU_CYCLE_1)
	s_lshl_b64 s[12:13], s[10:11], 3
	s_add_u32 s8, s8, s12
	s_addc_u32 s9, s9, s13
	s_load_b64 s[12:13], s[8:9], 0x0
	s_bfe_u32 s8, s15, 0x10008
	s_delay_alu instid0(SALU_CYCLE_1)
	s_cmp_eq_u32 s8, 0
                                        ; implicit-def: $sgpr8_sgpr9
	s_cbranch_scc1 .LBB91_3
; %bb.2:
	s_clause 0x1
	s_load_b32 s8, s[2:3], 0x20
	s_load_b64 s[16:17], s[2:3], 0x18
	s_mul_i32 s5, s10, s5
	s_mul_hi_u32 s9, s10, s4
	s_mul_i32 s18, s11, s4
	s_add_i32 s5, s9, s5
	s_mul_i32 s4, s10, s4
	s_add_i32 s5, s5, s18
	s_delay_alu instid0(SALU_CYCLE_1)
	s_lshl_b64 s[4:5], s[4:5], 2
	s_waitcnt lgkmcnt(0)
	s_ashr_i32 s9, s8, 31
	s_add_u32 s16, s16, s4
	s_addc_u32 s17, s17, s5
	s_lshl_b64 s[4:5], s[8:9], 2
	s_delay_alu instid0(SALU_CYCLE_1)
	s_add_u32 s8, s16, s4
	s_addc_u32 s9, s17, s5
.LBB91_3:
	s_load_b64 s[2:3], s[2:3], 0x8
	v_lshlrev_b32_e32 v13, 4, v94
	s_movk_i32 s18, 0xd0
	s_movk_i32 s19, 0xe0
	;; [unrolled: 1-line block ×12, first 2 shown]
	v_add_nc_u32_e64 v98, 0, 16
	v_add_nc_u32_e64 v97, 0, 48
	;; [unrolled: 1-line block ×6, first 2 shown]
	s_waitcnt lgkmcnt(0)
	s_ashr_i32 s5, s2, 31
	s_mov_b32 s4, s2
	s_mov_b32 s16, s3
	s_lshl_b64 s[4:5], s[4:5], 4
	v_add3_u32 v9, s3, s3, v94
	s_add_u32 s4, s12, s4
	s_addc_u32 s5, s13, s5
	v_add_co_u32 v38, s2, s4, v13
	s_ashr_i32 s17, s3, 31
	v_add_co_ci_u32_e64 v39, null, s5, 0, s2
	s_lshl_b64 s[12:13], s[16:17], 4
	global_load_b128 v[1:4], v13, s[4:5]
	v_add_co_u32 v40, vcc_lo, v38, s12
	v_add_co_ci_u32_e32 v41, vcc_lo, s13, v39, vcc_lo
	v_add_nc_u32_e32 v11, s3, v9
	v_ashrrev_i32_e32 v10, 31, v9
	s_movk_i32 s2, 0x50
	global_load_b128 v[5:8], v[40:41], off
	v_add_nc_u32_e64 v117, s2, 0
	v_add_nc_u32_e32 v14, s3, v11
	v_ashrrev_i32_e32 v12, 31, v11
	v_lshlrev_b64 v[9:10], 4, v[9:10]
	s_movk_i32 s2, 0x190
	s_movk_i32 s12, 0x90
	v_add_nc_u32_e32 v16, s3, v14
	v_ashrrev_i32_e32 v15, 31, v14
	v_lshlrev_b64 v[18:19], 4, v[11:12]
	v_add_co_u32 v42, vcc_lo, s4, v9
	s_delay_alu instid0(VALU_DEP_4) | instskip(SKIP_3) | instid1(VALU_DEP_4)
	v_add_nc_u32_e32 v20, s3, v16
	v_ashrrev_i32_e32 v17, 31, v16
	v_lshlrev_b64 v[14:15], 4, v[14:15]
	v_add_co_ci_u32_e32 v43, vcc_lo, s5, v10, vcc_lo
	v_add_nc_u32_e32 v24, s3, v20
	v_ashrrev_i32_e32 v21, 31, v20
	v_add_co_u32 v44, vcc_lo, s4, v18
	v_lshlrev_b64 v[22:23], 4, v[16:17]
	s_delay_alu instid0(VALU_DEP_4) | instskip(SKIP_3) | instid1(VALU_DEP_4)
	v_add_nc_u32_e32 v26, s3, v24
	v_ashrrev_i32_e32 v25, 31, v24
	v_add_co_ci_u32_e32 v45, vcc_lo, s5, v19, vcc_lo
	v_add_co_u32 v46, vcc_lo, s4, v14
	v_add_nc_u32_e32 v30, s3, v26
	v_lshlrev_b64 v[28:29], 4, v[20:21]
	v_ashrrev_i32_e32 v27, 31, v26
	v_add_co_ci_u32_e32 v47, vcc_lo, s5, v15, vcc_lo
	s_delay_alu instid0(VALU_DEP_4) | instskip(SKIP_3) | instid1(VALU_DEP_4)
	v_add_nc_u32_e32 v34, s3, v30
	v_add_co_u32 v48, vcc_lo, s4, v22
	v_lshlrev_b64 v[32:33], 4, v[24:25]
	v_ashrrev_i32_e32 v31, 31, v30
	v_add_nc_u32_e32 v58, s3, v34
	v_add_co_ci_u32_e32 v49, vcc_lo, s5, v23, vcc_lo
	v_add_co_u32 v50, vcc_lo, s4, v28
	v_lshlrev_b64 v[36:37], 4, v[26:27]
	s_delay_alu instid0(VALU_DEP_4)
	v_add_nc_u32_e32 v60, s3, v58
	v_ashrrev_i32_e32 v35, 31, v34
	v_add_co_ci_u32_e32 v51, vcc_lo, s5, v29, vcc_lo
	v_add_co_u32 v52, vcc_lo, s4, v32
	v_lshlrev_b64 v[56:57], 4, v[30:31]
	v_ashrrev_i32_e32 v59, 31, v58
	v_add_co_ci_u32_e32 v53, vcc_lo, s5, v33, vcc_lo
	v_add_nc_u32_e32 v64, s3, v60
	v_add_co_u32 v54, vcc_lo, s4, v36
	v_lshlrev_b64 v[62:63], 4, v[34:35]
	v_add_co_ci_u32_e32 v55, vcc_lo, s5, v37, vcc_lo
	v_add_co_u32 v56, vcc_lo, s4, v56
	v_lshlrev_b64 v[66:67], 4, v[58:59]
	v_ashrrev_i32_e32 v61, 31, v60
	v_add_nc_u32_e32 v68, s3, v64
	v_add_co_ci_u32_e32 v57, vcc_lo, s5, v57, vcc_lo
	v_add_co_u32 v58, vcc_lo, s4, v62
	v_add_co_ci_u32_e32 v59, vcc_lo, s5, v63, vcc_lo
	v_lshlrev_b64 v[62:63], 4, v[60:61]
	v_add_co_u32 v60, vcc_lo, s4, v66
	v_add_nc_u32_e32 v66, s3, v68
	v_ashrrev_i32_e32 v65, 31, v64
	v_ashrrev_i32_e32 v69, 31, v68
	v_add_co_ci_u32_e32 v61, vcc_lo, s5, v67, vcc_lo
	s_delay_alu instid0(VALU_DEP_4) | instskip(NEXT) | instid1(VALU_DEP_4)
	v_add_nc_u32_e32 v70, s3, v66
	v_lshlrev_b64 v[64:65], 4, v[64:65]
	v_ashrrev_i32_e32 v67, 31, v66
	v_add_co_u32 v62, vcc_lo, s4, v62
	s_delay_alu instid0(VALU_DEP_4)
	v_add_nc_u32_e32 v72, s3, v70
	v_lshlrev_b64 v[68:69], 4, v[68:69]
	v_add_co_ci_u32_e32 v63, vcc_lo, s5, v63, vcc_lo
	v_add_co_u32 v64, vcc_lo, s4, v64
	v_lshlrev_b64 v[74:75], 4, v[66:67]
	v_add_nc_u32_e32 v76, s3, v72
	v_add_co_ci_u32_e32 v65, vcc_lo, s5, v65, vcc_lo
	v_add_co_u32 v66, vcc_lo, s4, v68
	v_add_co_ci_u32_e32 v67, vcc_lo, s5, v69, vcc_lo
	v_ashrrev_i32_e32 v71, 31, v70
	v_add_co_u32 v68, vcc_lo, s4, v74
	v_add_nc_u32_e32 v74, s3, v76
	v_ashrrev_i32_e32 v73, 31, v72
	s_delay_alu instid0(VALU_DEP_4)
	v_lshlrev_b64 v[70:71], 4, v[70:71]
	v_ashrrev_i32_e32 v77, 31, v76
	v_add_co_ci_u32_e32 v69, vcc_lo, s5, v75, vcc_lo
	v_add_nc_u32_e32 v78, s3, v74
	v_lshlrev_b64 v[72:73], 4, v[72:73]
	v_ashrrev_i32_e32 v75, 31, v74
	v_add_co_u32 v70, vcc_lo, s4, v70
	s_delay_alu instid0(VALU_DEP_4)
	v_add_nc_u32_e32 v80, s3, v78
	v_lshlrev_b64 v[76:77], 4, v[76:77]
	v_add_co_ci_u32_e32 v71, vcc_lo, s5, v71, vcc_lo
	v_add_co_u32 v72, vcc_lo, s4, v72
	v_lshlrev_b64 v[82:83], 4, v[74:75]
	v_add_nc_u32_e32 v84, s3, v80
	v_add_co_ci_u32_e32 v73, vcc_lo, s5, v73, vcc_lo
	v_add_co_u32 v74, vcc_lo, s4, v76
	v_add_co_ci_u32_e32 v75, vcc_lo, s5, v77, vcc_lo
	v_add_co_u32 v76, vcc_lo, s4, v82
	v_add_nc_u32_e32 v82, s3, v84
	v_ashrrev_i32_e32 v79, 31, v78
	v_ashrrev_i32_e32 v81, 31, v80
	;; [unrolled: 1-line block ×3, first 2 shown]
	v_add_co_ci_u32_e32 v77, vcc_lo, s5, v83, vcc_lo
	v_add_nc_u32_e32 v86, s3, v82
	v_lshlrev_b64 v[78:79], 4, v[78:79]
	v_lshlrev_b64 v[80:81], 4, v[80:81]
	v_ashrrev_i32_e32 v83, 31, v82
	v_lshlrev_b64 v[84:85], 4, v[84:85]
	v_add_nc_u32_e32 v88, s3, v86
	v_ashrrev_i32_e32 v87, 31, v86
	v_add_co_u32 v78, vcc_lo, s4, v78
	v_add_co_ci_u32_e32 v79, vcc_lo, s5, v79, vcc_lo
	s_delay_alu instid0(VALU_DEP_4) | instskip(SKIP_3) | instid1(VALU_DEP_4)
	v_add_nc_u32_e32 v92, s3, v88
	v_add_co_u32 v80, vcc_lo, s4, v80
	v_lshlrev_b64 v[90:91], 4, v[82:83]
	v_add_co_ci_u32_e32 v81, vcc_lo, s5, v81, vcc_lo
	v_add_nc_u32_e32 v95, s3, v92
	v_add_co_u32 v82, vcc_lo, s4, v84
	v_ashrrev_i32_e32 v89, 31, v88
	v_add_co_ci_u32_e32 v83, vcc_lo, s5, v85, vcc_lo
	s_delay_alu instid0(VALU_DEP_4)
	v_ashrrev_i32_e32 v96, 31, v95
	v_lshlrev_b64 v[86:87], 4, v[86:87]
	v_add_co_u32 v84, vcc_lo, s4, v90
	v_add_co_ci_u32_e32 v85, vcc_lo, s5, v91, vcc_lo
	v_lshlrev_b64 v[90:91], 4, v[88:89]
	v_lshlrev_b64 v[88:89], 4, v[95:96]
	v_ashrrev_i32_e32 v93, 31, v92
	v_add_co_u32 v86, vcc_lo, s4, v86
	v_add_co_ci_u32_e32 v87, vcc_lo, s5, v87, vcc_lo
	s_delay_alu instid0(VALU_DEP_3)
	v_lshlrev_b64 v[92:93], 4, v[92:93]
	v_add_co_u32 v88, vcc_lo, s4, v88
	v_add_co_ci_u32_e32 v89, vcc_lo, s5, v89, vcc_lo
	v_add_co_u32 v90, vcc_lo, s4, v90
	v_add_co_ci_u32_e32 v91, vcc_lo, s5, v91, vcc_lo
	s_clause 0x14
	global_load_b128 v[9:12], v[42:43], off
	global_load_b128 v[14:17], v[44:45], off
	;; [unrolled: 1-line block ×21, first 2 shown]
	v_add_co_u32 v92, vcc_lo, s4, v92
	s_clause 0x2
	global_load_b128 v[174:177], v[84:85], off
	global_load_b128 v[178:181], v[86:87], off
	;; [unrolled: 1-line block ×3, first 2 shown]
	v_add_co_ci_u32_e32 v93, vcc_lo, s5, v93, vcc_lo
	s_movk_i32 s3, 0x60
	s_movk_i32 s4, 0x70
	;; [unrolled: 1-line block ×6, first 2 shown]
	v_add_nc_u32_e64 v115, s3, 0
	s_movk_i32 s3, 0x1a0
	v_add_nc_u32_e64 v96, 0, 32
	v_add_nc_u32_e64 v95, 0, 64
	;; [unrolled: 1-line block ×15, first 2 shown]
	s_bitcmp0_b32 s15, 0
	s_waitcnt vmcnt(25)
	scratch_store_b128 off, v[1:4], off
	global_load_b128 v[1:4], v[90:91], off
	s_waitcnt vmcnt(25)
	scratch_store_b128 off, v[5:8], off offset:16
	global_load_b128 v[5:8], v[92:93], off
	s_waitcnt vmcnt(25)
	scratch_store_b128 off, v[9:12], off offset:32
	s_waitcnt vmcnt(24)
	scratch_store_b128 off, v[14:17], off offset:48
	;; [unrolled: 2-line block ×24, first 2 shown]
	v_add_nc_u32_e64 v121, s2, 0
	s_movk_i32 s2, 0x1b0
	v_add_nc_u32_e64 v118, s29, 0
	v_add_nc_u32_e64 v120, s3, 0
	;; [unrolled: 1-line block ×3, first 2 shown]
	s_mov_b32 s3, -1
	s_waitcnt vmcnt(0)
	s_clause 0x1
	scratch_store_b128 off, v[5:8], off offset:416
	scratch_store_b128 off, v[182:185], off offset:432
	s_cbranch_scc1 .LBB91_124
; %bb.4:
	v_cmp_eq_u32_e64 s2, 0, v94
	s_delay_alu instid0(VALU_DEP_1)
	s_and_saveexec_b32 s3, s2
	s_cbranch_execz .LBB91_6
; %bb.5:
	v_mov_b32_e32 v1, 0
	ds_store_b32 v1, v1 offset:896
.LBB91_6:
	s_or_b32 exec_lo, exec_lo, s3
	s_waitcnt lgkmcnt(0)
	s_waitcnt_vscnt null, 0x0
	s_barrier
	buffer_gl0_inv
	scratch_load_b128 v[1:4], v13, off
	s_waitcnt vmcnt(0)
	v_cmp_eq_f64_e32 vcc_lo, 0, v[1:2]
	v_cmp_eq_f64_e64 s3, 0, v[3:4]
	s_delay_alu instid0(VALU_DEP_1) | instskip(NEXT) | instid1(SALU_CYCLE_1)
	s_and_b32 s3, vcc_lo, s3
	s_and_saveexec_b32 s4, s3
	s_cbranch_execz .LBB91_10
; %bb.7:
	v_mov_b32_e32 v1, 0
	s_mov_b32 s5, 0
	ds_load_b32 v2, v1 offset:896
	s_waitcnt lgkmcnt(0)
	v_readfirstlane_b32 s3, v2
	v_add_nc_u32_e32 v2, 1, v94
	s_delay_alu instid0(VALU_DEP_2) | instskip(NEXT) | instid1(VALU_DEP_1)
	s_cmp_eq_u32 s3, 0
	v_cmp_gt_i32_e32 vcc_lo, s3, v2
	s_cselect_b32 s12, -1, 0
	s_delay_alu instid0(SALU_CYCLE_1) | instskip(NEXT) | instid1(SALU_CYCLE_1)
	s_or_b32 s12, s12, vcc_lo
	s_and_b32 exec_lo, exec_lo, s12
	s_cbranch_execz .LBB91_10
; %bb.8:
	v_mov_b32_e32 v3, s3
.LBB91_9:                               ; =>This Inner Loop Header: Depth=1
	ds_cmpstore_rtn_b32 v3, v1, v2, v3 offset:896
	s_waitcnt lgkmcnt(0)
	v_cmp_ne_u32_e32 vcc_lo, 0, v3
	v_cmp_le_i32_e64 s3, v3, v2
	s_delay_alu instid0(VALU_DEP_1) | instskip(NEXT) | instid1(SALU_CYCLE_1)
	s_and_b32 s3, vcc_lo, s3
	s_and_b32 s3, exec_lo, s3
	s_delay_alu instid0(SALU_CYCLE_1) | instskip(NEXT) | instid1(SALU_CYCLE_1)
	s_or_b32 s5, s3, s5
	s_and_not1_b32 exec_lo, exec_lo, s5
	s_cbranch_execnz .LBB91_9
.LBB91_10:
	s_or_b32 exec_lo, exec_lo, s4
	v_mov_b32_e32 v1, 0
	s_barrier
	buffer_gl0_inv
	ds_load_b32 v2, v1 offset:896
	s_and_saveexec_b32 s3, s2
	s_cbranch_execz .LBB91_12
; %bb.11:
	s_lshl_b64 s[4:5], s[10:11], 2
	s_delay_alu instid0(SALU_CYCLE_1)
	s_add_u32 s4, s6, s4
	s_addc_u32 s5, s7, s5
	s_waitcnt lgkmcnt(0)
	global_store_b32 v1, v2, s[4:5]
.LBB91_12:
	s_or_b32 exec_lo, exec_lo, s3
	s_waitcnt lgkmcnt(0)
	v_cmp_ne_u32_e32 vcc_lo, 0, v2
	s_mov_b32 s3, 0
	s_cbranch_vccnz .LBB91_124
; %bb.13:
	v_add_nc_u32_e32 v14, 0, v13
                                        ; implicit-def: $vgpr9_vgpr10
	scratch_load_b128 v[1:4], v14, off
	s_waitcnt vmcnt(0)
	v_mov_b32_e32 v5, v1
	v_cmp_gt_f64_e32 vcc_lo, 0, v[1:2]
	v_xor_b32_e32 v6, 0x80000000, v2
	v_xor_b32_e32 v7, 0x80000000, v4
	s_delay_alu instid0(VALU_DEP_2) | instskip(SKIP_1) | instid1(VALU_DEP_3)
	v_cndmask_b32_e32 v6, v2, v6, vcc_lo
	v_cmp_gt_f64_e32 vcc_lo, 0, v[3:4]
	v_dual_cndmask_b32 v8, v4, v7 :: v_dual_mov_b32 v7, v3
	s_delay_alu instid0(VALU_DEP_1) | instskip(SKIP_1) | instid1(SALU_CYCLE_1)
	v_cmp_ngt_f64_e32 vcc_lo, v[5:6], v[7:8]
                                        ; implicit-def: $vgpr5_vgpr6
	s_and_saveexec_b32 s3, vcc_lo
	s_xor_b32 s3, exec_lo, s3
	s_cbranch_execz .LBB91_15
; %bb.14:
	v_div_scale_f64 v[5:6], null, v[3:4], v[3:4], v[1:2]
	v_div_scale_f64 v[11:12], vcc_lo, v[1:2], v[3:4], v[1:2]
	s_delay_alu instid0(VALU_DEP_2) | instskip(SKIP_2) | instid1(VALU_DEP_1)
	v_rcp_f64_e32 v[7:8], v[5:6]
	s_waitcnt_depctr 0xfff
	v_fma_f64 v[9:10], -v[5:6], v[7:8], 1.0
	v_fma_f64 v[7:8], v[7:8], v[9:10], v[7:8]
	s_delay_alu instid0(VALU_DEP_1) | instskip(NEXT) | instid1(VALU_DEP_1)
	v_fma_f64 v[9:10], -v[5:6], v[7:8], 1.0
	v_fma_f64 v[7:8], v[7:8], v[9:10], v[7:8]
	s_delay_alu instid0(VALU_DEP_1) | instskip(NEXT) | instid1(VALU_DEP_1)
	v_mul_f64 v[9:10], v[11:12], v[7:8]
	v_fma_f64 v[5:6], -v[5:6], v[9:10], v[11:12]
	s_delay_alu instid0(VALU_DEP_1) | instskip(NEXT) | instid1(VALU_DEP_1)
	v_div_fmas_f64 v[5:6], v[5:6], v[7:8], v[9:10]
	v_div_fixup_f64 v[5:6], v[5:6], v[3:4], v[1:2]
	s_delay_alu instid0(VALU_DEP_1) | instskip(NEXT) | instid1(VALU_DEP_1)
	v_fma_f64 v[1:2], v[1:2], v[5:6], v[3:4]
	v_div_scale_f64 v[3:4], null, v[1:2], v[1:2], 1.0
	v_div_scale_f64 v[11:12], vcc_lo, 1.0, v[1:2], 1.0
	s_delay_alu instid0(VALU_DEP_2) | instskip(SKIP_2) | instid1(VALU_DEP_1)
	v_rcp_f64_e32 v[7:8], v[3:4]
	s_waitcnt_depctr 0xfff
	v_fma_f64 v[9:10], -v[3:4], v[7:8], 1.0
	v_fma_f64 v[7:8], v[7:8], v[9:10], v[7:8]
	s_delay_alu instid0(VALU_DEP_1) | instskip(NEXT) | instid1(VALU_DEP_1)
	v_fma_f64 v[9:10], -v[3:4], v[7:8], 1.0
	v_fma_f64 v[7:8], v[7:8], v[9:10], v[7:8]
	s_delay_alu instid0(VALU_DEP_1) | instskip(NEXT) | instid1(VALU_DEP_1)
	v_mul_f64 v[9:10], v[11:12], v[7:8]
	v_fma_f64 v[3:4], -v[3:4], v[9:10], v[11:12]
	s_delay_alu instid0(VALU_DEP_1) | instskip(NEXT) | instid1(VALU_DEP_1)
	v_div_fmas_f64 v[3:4], v[3:4], v[7:8], v[9:10]
	v_div_fixup_f64 v[7:8], v[3:4], v[1:2], 1.0
                                        ; implicit-def: $vgpr1_vgpr2
	s_delay_alu instid0(VALU_DEP_1) | instskip(SKIP_1) | instid1(VALU_DEP_2)
	v_mul_f64 v[5:6], v[5:6], v[7:8]
	v_xor_b32_e32 v8, 0x80000000, v8
	v_xor_b32_e32 v10, 0x80000000, v6
	s_delay_alu instid0(VALU_DEP_3)
	v_mov_b32_e32 v9, v5
.LBB91_15:
	s_and_not1_saveexec_b32 s3, s3
	s_cbranch_execz .LBB91_17
; %bb.16:
	v_div_scale_f64 v[5:6], null, v[1:2], v[1:2], v[3:4]
	v_div_scale_f64 v[11:12], vcc_lo, v[3:4], v[1:2], v[3:4]
	s_delay_alu instid0(VALU_DEP_2) | instskip(SKIP_2) | instid1(VALU_DEP_1)
	v_rcp_f64_e32 v[7:8], v[5:6]
	s_waitcnt_depctr 0xfff
	v_fma_f64 v[9:10], -v[5:6], v[7:8], 1.0
	v_fma_f64 v[7:8], v[7:8], v[9:10], v[7:8]
	s_delay_alu instid0(VALU_DEP_1) | instskip(NEXT) | instid1(VALU_DEP_1)
	v_fma_f64 v[9:10], -v[5:6], v[7:8], 1.0
	v_fma_f64 v[7:8], v[7:8], v[9:10], v[7:8]
	s_delay_alu instid0(VALU_DEP_1) | instskip(NEXT) | instid1(VALU_DEP_1)
	v_mul_f64 v[9:10], v[11:12], v[7:8]
	v_fma_f64 v[5:6], -v[5:6], v[9:10], v[11:12]
	s_delay_alu instid0(VALU_DEP_1) | instskip(NEXT) | instid1(VALU_DEP_1)
	v_div_fmas_f64 v[5:6], v[5:6], v[7:8], v[9:10]
	v_div_fixup_f64 v[7:8], v[5:6], v[1:2], v[3:4]
	s_delay_alu instid0(VALU_DEP_1) | instskip(NEXT) | instid1(VALU_DEP_1)
	v_fma_f64 v[1:2], v[3:4], v[7:8], v[1:2]
	v_div_scale_f64 v[3:4], null, v[1:2], v[1:2], 1.0
	s_delay_alu instid0(VALU_DEP_1) | instskip(SKIP_2) | instid1(VALU_DEP_1)
	v_rcp_f64_e32 v[5:6], v[3:4]
	s_waitcnt_depctr 0xfff
	v_fma_f64 v[9:10], -v[3:4], v[5:6], 1.0
	v_fma_f64 v[5:6], v[5:6], v[9:10], v[5:6]
	s_delay_alu instid0(VALU_DEP_1) | instskip(NEXT) | instid1(VALU_DEP_1)
	v_fma_f64 v[9:10], -v[3:4], v[5:6], 1.0
	v_fma_f64 v[5:6], v[5:6], v[9:10], v[5:6]
	v_div_scale_f64 v[9:10], vcc_lo, 1.0, v[1:2], 1.0
	s_delay_alu instid0(VALU_DEP_1) | instskip(NEXT) | instid1(VALU_DEP_1)
	v_mul_f64 v[11:12], v[9:10], v[5:6]
	v_fma_f64 v[3:4], -v[3:4], v[11:12], v[9:10]
	s_delay_alu instid0(VALU_DEP_1) | instskip(NEXT) | instid1(VALU_DEP_1)
	v_div_fmas_f64 v[3:4], v[3:4], v[5:6], v[11:12]
	v_div_fixup_f64 v[5:6], v[3:4], v[1:2], 1.0
	s_delay_alu instid0(VALU_DEP_1)
	v_mul_f64 v[7:8], v[7:8], -v[5:6]
	v_xor_b32_e32 v10, 0x80000000, v6
	v_mov_b32_e32 v9, v5
.LBB91_17:
	s_or_b32 exec_lo, exec_lo, s3
	scratch_store_b128 v14, v[5:8], off
	scratch_load_b128 v[1:4], v98, off
	v_xor_b32_e32 v12, 0x80000000, v8
	v_mov_b32_e32 v11, v7
	v_add_nc_u32_e32 v5, 0x1c0, v13
	ds_store_b128 v13, v[9:12]
	s_waitcnt vmcnt(0)
	ds_store_b128 v13, v[1:4] offset:448
	s_waitcnt lgkmcnt(0)
	s_waitcnt_vscnt null, 0x0
	s_barrier
	buffer_gl0_inv
	s_and_saveexec_b32 s3, s2
	s_cbranch_execz .LBB91_19
; %bb.18:
	scratch_load_b128 v[1:4], v14, off
	ds_load_b128 v[6:9], v5
	v_mov_b32_e32 v10, 0
	ds_load_b128 v[15:18], v10 offset:16
	s_waitcnt vmcnt(0) lgkmcnt(1)
	v_mul_f64 v[10:11], v[6:7], v[3:4]
	v_mul_f64 v[3:4], v[8:9], v[3:4]
	s_delay_alu instid0(VALU_DEP_2) | instskip(NEXT) | instid1(VALU_DEP_2)
	v_fma_f64 v[8:9], v[8:9], v[1:2], v[10:11]
	v_fma_f64 v[1:2], v[6:7], v[1:2], -v[3:4]
	s_delay_alu instid0(VALU_DEP_2) | instskip(NEXT) | instid1(VALU_DEP_2)
	v_add_f64 v[3:4], v[8:9], 0
	v_add_f64 v[1:2], v[1:2], 0
	s_waitcnt lgkmcnt(0)
	s_delay_alu instid0(VALU_DEP_2) | instskip(NEXT) | instid1(VALU_DEP_2)
	v_mul_f64 v[6:7], v[3:4], v[17:18]
	v_mul_f64 v[8:9], v[1:2], v[17:18]
	s_delay_alu instid0(VALU_DEP_2) | instskip(NEXT) | instid1(VALU_DEP_2)
	v_fma_f64 v[1:2], v[1:2], v[15:16], -v[6:7]
	v_fma_f64 v[3:4], v[3:4], v[15:16], v[8:9]
	scratch_store_b128 off, v[1:4], off offset:16
.LBB91_19:
	s_or_b32 exec_lo, exec_lo, s3
	s_waitcnt_vscnt null, 0x0
	s_barrier
	buffer_gl0_inv
	scratch_load_b128 v[1:4], v96, off
	s_mov_b32 s3, exec_lo
	s_waitcnt vmcnt(0)
	ds_store_b128 v5, v[1:4]
	s_waitcnt lgkmcnt(0)
	s_barrier
	buffer_gl0_inv
	v_cmpx_gt_u32_e32 2, v94
	s_cbranch_execz .LBB91_23
; %bb.20:
	scratch_load_b128 v[1:4], v14, off
	ds_load_b128 v[6:9], v5
	s_waitcnt vmcnt(0) lgkmcnt(0)
	v_mul_f64 v[10:11], v[8:9], v[3:4]
	v_mul_f64 v[3:4], v[6:7], v[3:4]
	s_delay_alu instid0(VALU_DEP_2) | instskip(NEXT) | instid1(VALU_DEP_2)
	v_fma_f64 v[6:7], v[6:7], v[1:2], -v[10:11]
	v_fma_f64 v[3:4], v[8:9], v[1:2], v[3:4]
	s_delay_alu instid0(VALU_DEP_2) | instskip(NEXT) | instid1(VALU_DEP_2)
	v_add_f64 v[1:2], v[6:7], 0
	v_add_f64 v[3:4], v[3:4], 0
	s_and_saveexec_b32 s4, s2
	s_cbranch_execz .LBB91_22
; %bb.21:
	scratch_load_b128 v[6:9], off, off offset:16
	v_mov_b32_e32 v10, 0
	ds_load_b128 v[15:18], v10 offset:464
	s_waitcnt vmcnt(0) lgkmcnt(0)
	v_mul_f64 v[10:11], v[15:16], v[8:9]
	v_mul_f64 v[8:9], v[17:18], v[8:9]
	s_delay_alu instid0(VALU_DEP_2) | instskip(NEXT) | instid1(VALU_DEP_2)
	v_fma_f64 v[10:11], v[17:18], v[6:7], v[10:11]
	v_fma_f64 v[6:7], v[15:16], v[6:7], -v[8:9]
	s_delay_alu instid0(VALU_DEP_2) | instskip(NEXT) | instid1(VALU_DEP_2)
	v_add_f64 v[3:4], v[3:4], v[10:11]
	v_add_f64 v[1:2], v[1:2], v[6:7]
.LBB91_22:
	s_or_b32 exec_lo, exec_lo, s4
	v_mov_b32_e32 v6, 0
	ds_load_b128 v[6:9], v6 offset:32
	s_waitcnt lgkmcnt(0)
	v_mul_f64 v[10:11], v[3:4], v[8:9]
	v_mul_f64 v[8:9], v[1:2], v[8:9]
	s_delay_alu instid0(VALU_DEP_2) | instskip(NEXT) | instid1(VALU_DEP_2)
	v_fma_f64 v[1:2], v[1:2], v[6:7], -v[10:11]
	v_fma_f64 v[3:4], v[3:4], v[6:7], v[8:9]
	scratch_store_b128 off, v[1:4], off offset:32
.LBB91_23:
	s_or_b32 exec_lo, exec_lo, s3
	s_waitcnt_vscnt null, 0x0
	s_barrier
	buffer_gl0_inv
	scratch_load_b128 v[1:4], v97, off
	v_add_nc_u32_e32 v6, -1, v94
	s_mov_b32 s2, exec_lo
	s_waitcnt vmcnt(0)
	ds_store_b128 v5, v[1:4]
	s_waitcnt lgkmcnt(0)
	s_barrier
	buffer_gl0_inv
	v_cmpx_gt_u32_e32 3, v94
	s_cbranch_execz .LBB91_27
; %bb.24:
	v_dual_mov_b32 v1, 0 :: v_dual_add_nc_u32 v8, 0x1c0, v13
	v_dual_mov_b32 v2, 0 :: v_dual_add_nc_u32 v7, -1, v94
	v_or_b32_e32 v9, 8, v14
	s_mov_b32 s3, 0
	s_delay_alu instid0(VALU_DEP_2)
	v_dual_mov_b32 v4, v2 :: v_dual_mov_b32 v3, v1
	.p2align	6
.LBB91_25:                              ; =>This Inner Loop Header: Depth=1
	scratch_load_b128 v[15:18], v9, off offset:-8
	ds_load_b128 v[19:22], v8
	v_add_nc_u32_e32 v7, 1, v7
	v_add_nc_u32_e32 v8, 16, v8
	;; [unrolled: 1-line block ×3, first 2 shown]
	s_delay_alu instid0(VALU_DEP_3) | instskip(SKIP_4) | instid1(VALU_DEP_2)
	v_cmp_lt_u32_e32 vcc_lo, 1, v7
	s_or_b32 s3, vcc_lo, s3
	s_waitcnt vmcnt(0) lgkmcnt(0)
	v_mul_f64 v[10:11], v[21:22], v[17:18]
	v_mul_f64 v[17:18], v[19:20], v[17:18]
	v_fma_f64 v[10:11], v[19:20], v[15:16], -v[10:11]
	s_delay_alu instid0(VALU_DEP_2) | instskip(NEXT) | instid1(VALU_DEP_2)
	v_fma_f64 v[15:16], v[21:22], v[15:16], v[17:18]
	v_add_f64 v[3:4], v[3:4], v[10:11]
	s_delay_alu instid0(VALU_DEP_2)
	v_add_f64 v[1:2], v[1:2], v[15:16]
	s_and_not1_b32 exec_lo, exec_lo, s3
	s_cbranch_execnz .LBB91_25
; %bb.26:
	s_or_b32 exec_lo, exec_lo, s3
	v_mov_b32_e32 v7, 0
	ds_load_b128 v[7:10], v7 offset:48
	s_waitcnt lgkmcnt(0)
	v_mul_f64 v[11:12], v[1:2], v[9:10]
	v_mul_f64 v[15:16], v[3:4], v[9:10]
	s_delay_alu instid0(VALU_DEP_2) | instskip(NEXT) | instid1(VALU_DEP_2)
	v_fma_f64 v[9:10], v[3:4], v[7:8], -v[11:12]
	v_fma_f64 v[11:12], v[1:2], v[7:8], v[15:16]
	scratch_store_b128 off, v[9:12], off offset:48
.LBB91_27:
	s_or_b32 exec_lo, exec_lo, s2
	s_waitcnt_vscnt null, 0x0
	s_barrier
	buffer_gl0_inv
	scratch_load_b128 v[1:4], v95, off
	s_mov_b32 s2, exec_lo
	s_waitcnt vmcnt(0)
	ds_store_b128 v5, v[1:4]
	s_waitcnt lgkmcnt(0)
	s_barrier
	buffer_gl0_inv
	v_cmpx_gt_u32_e32 4, v94
	s_cbranch_execz .LBB91_31
; %bb.28:
	v_dual_mov_b32 v1, 0 :: v_dual_add_nc_u32 v8, 0x1c0, v13
	v_dual_mov_b32 v2, 0 :: v_dual_add_nc_u32 v7, -1, v94
	v_or_b32_e32 v9, 8, v14
	s_mov_b32 s3, 0
	s_delay_alu instid0(VALU_DEP_2)
	v_dual_mov_b32 v4, v2 :: v_dual_mov_b32 v3, v1
	.p2align	6
.LBB91_29:                              ; =>This Inner Loop Header: Depth=1
	scratch_load_b128 v[15:18], v9, off offset:-8
	ds_load_b128 v[19:22], v8
	v_add_nc_u32_e32 v7, 1, v7
	v_add_nc_u32_e32 v8, 16, v8
	v_add_nc_u32_e32 v9, 16, v9
	s_delay_alu instid0(VALU_DEP_3) | instskip(SKIP_4) | instid1(VALU_DEP_2)
	v_cmp_lt_u32_e32 vcc_lo, 2, v7
	s_or_b32 s3, vcc_lo, s3
	s_waitcnt vmcnt(0) lgkmcnt(0)
	v_mul_f64 v[10:11], v[21:22], v[17:18]
	v_mul_f64 v[17:18], v[19:20], v[17:18]
	v_fma_f64 v[10:11], v[19:20], v[15:16], -v[10:11]
	s_delay_alu instid0(VALU_DEP_2) | instskip(NEXT) | instid1(VALU_DEP_2)
	v_fma_f64 v[15:16], v[21:22], v[15:16], v[17:18]
	v_add_f64 v[3:4], v[3:4], v[10:11]
	s_delay_alu instid0(VALU_DEP_2)
	v_add_f64 v[1:2], v[1:2], v[15:16]
	s_and_not1_b32 exec_lo, exec_lo, s3
	s_cbranch_execnz .LBB91_29
; %bb.30:
	s_or_b32 exec_lo, exec_lo, s3
	v_mov_b32_e32 v7, 0
	ds_load_b128 v[7:10], v7 offset:64
	s_waitcnt lgkmcnt(0)
	v_mul_f64 v[11:12], v[1:2], v[9:10]
	v_mul_f64 v[15:16], v[3:4], v[9:10]
	s_delay_alu instid0(VALU_DEP_2) | instskip(NEXT) | instid1(VALU_DEP_2)
	v_fma_f64 v[9:10], v[3:4], v[7:8], -v[11:12]
	v_fma_f64 v[11:12], v[1:2], v[7:8], v[15:16]
	scratch_store_b128 off, v[9:12], off offset:64
.LBB91_31:
	s_or_b32 exec_lo, exec_lo, s2
	s_waitcnt_vscnt null, 0x0
	s_barrier
	buffer_gl0_inv
	scratch_load_b128 v[1:4], v117, off
	s_mov_b32 s2, exec_lo
	s_waitcnt vmcnt(0)
	ds_store_b128 v5, v[1:4]
	s_waitcnt lgkmcnt(0)
	s_barrier
	buffer_gl0_inv
	v_cmpx_gt_u32_e32 5, v94
	s_cbranch_execz .LBB91_35
; %bb.32:
	v_dual_mov_b32 v1, 0 :: v_dual_add_nc_u32 v8, 0x1c0, v13
	v_dual_mov_b32 v2, 0 :: v_dual_add_nc_u32 v7, -1, v94
	v_or_b32_e32 v9, 8, v14
	s_mov_b32 s3, 0
	s_delay_alu instid0(VALU_DEP_2)
	v_dual_mov_b32 v4, v2 :: v_dual_mov_b32 v3, v1
	.p2align	6
.LBB91_33:                              ; =>This Inner Loop Header: Depth=1
	scratch_load_b128 v[15:18], v9, off offset:-8
	ds_load_b128 v[19:22], v8
	v_add_nc_u32_e32 v7, 1, v7
	v_add_nc_u32_e32 v8, 16, v8
	v_add_nc_u32_e32 v9, 16, v9
	s_delay_alu instid0(VALU_DEP_3) | instskip(SKIP_4) | instid1(VALU_DEP_2)
	v_cmp_lt_u32_e32 vcc_lo, 3, v7
	s_or_b32 s3, vcc_lo, s3
	s_waitcnt vmcnt(0) lgkmcnt(0)
	v_mul_f64 v[10:11], v[21:22], v[17:18]
	v_mul_f64 v[17:18], v[19:20], v[17:18]
	v_fma_f64 v[10:11], v[19:20], v[15:16], -v[10:11]
	s_delay_alu instid0(VALU_DEP_2) | instskip(NEXT) | instid1(VALU_DEP_2)
	v_fma_f64 v[15:16], v[21:22], v[15:16], v[17:18]
	v_add_f64 v[3:4], v[3:4], v[10:11]
	s_delay_alu instid0(VALU_DEP_2)
	v_add_f64 v[1:2], v[1:2], v[15:16]
	s_and_not1_b32 exec_lo, exec_lo, s3
	s_cbranch_execnz .LBB91_33
; %bb.34:
	s_or_b32 exec_lo, exec_lo, s3
	v_mov_b32_e32 v7, 0
	ds_load_b128 v[7:10], v7 offset:80
	s_waitcnt lgkmcnt(0)
	v_mul_f64 v[11:12], v[1:2], v[9:10]
	v_mul_f64 v[15:16], v[3:4], v[9:10]
	s_delay_alu instid0(VALU_DEP_2) | instskip(NEXT) | instid1(VALU_DEP_2)
	v_fma_f64 v[9:10], v[3:4], v[7:8], -v[11:12]
	v_fma_f64 v[11:12], v[1:2], v[7:8], v[15:16]
	scratch_store_b128 off, v[9:12], off offset:80
.LBB91_35:
	s_or_b32 exec_lo, exec_lo, s2
	s_waitcnt_vscnt null, 0x0
	s_barrier
	buffer_gl0_inv
	scratch_load_b128 v[1:4], v115, off
	s_mov_b32 s2, exec_lo
	s_waitcnt vmcnt(0)
	ds_store_b128 v5, v[1:4]
	s_waitcnt lgkmcnt(0)
	s_barrier
	buffer_gl0_inv
	v_cmpx_gt_u32_e32 6, v94
	s_cbranch_execz .LBB91_39
; %bb.36:
	v_dual_mov_b32 v1, 0 :: v_dual_add_nc_u32 v8, 0x1c0, v13
	v_dual_mov_b32 v2, 0 :: v_dual_add_nc_u32 v7, -1, v94
	v_or_b32_e32 v9, 8, v14
	s_mov_b32 s3, 0
	s_delay_alu instid0(VALU_DEP_2)
	v_dual_mov_b32 v4, v2 :: v_dual_mov_b32 v3, v1
	.p2align	6
.LBB91_37:                              ; =>This Inner Loop Header: Depth=1
	scratch_load_b128 v[15:18], v9, off offset:-8
	ds_load_b128 v[19:22], v8
	v_add_nc_u32_e32 v7, 1, v7
	v_add_nc_u32_e32 v8, 16, v8
	;; [unrolled: 1-line block ×3, first 2 shown]
	s_delay_alu instid0(VALU_DEP_3) | instskip(SKIP_4) | instid1(VALU_DEP_2)
	v_cmp_lt_u32_e32 vcc_lo, 4, v7
	s_or_b32 s3, vcc_lo, s3
	s_waitcnt vmcnt(0) lgkmcnt(0)
	v_mul_f64 v[10:11], v[21:22], v[17:18]
	v_mul_f64 v[17:18], v[19:20], v[17:18]
	v_fma_f64 v[10:11], v[19:20], v[15:16], -v[10:11]
	s_delay_alu instid0(VALU_DEP_2) | instskip(NEXT) | instid1(VALU_DEP_2)
	v_fma_f64 v[15:16], v[21:22], v[15:16], v[17:18]
	v_add_f64 v[3:4], v[3:4], v[10:11]
	s_delay_alu instid0(VALU_DEP_2)
	v_add_f64 v[1:2], v[1:2], v[15:16]
	s_and_not1_b32 exec_lo, exec_lo, s3
	s_cbranch_execnz .LBB91_37
; %bb.38:
	s_or_b32 exec_lo, exec_lo, s3
	v_mov_b32_e32 v7, 0
	ds_load_b128 v[7:10], v7 offset:96
	s_waitcnt lgkmcnt(0)
	v_mul_f64 v[11:12], v[1:2], v[9:10]
	v_mul_f64 v[15:16], v[3:4], v[9:10]
	s_delay_alu instid0(VALU_DEP_2) | instskip(NEXT) | instid1(VALU_DEP_2)
	v_fma_f64 v[9:10], v[3:4], v[7:8], -v[11:12]
	v_fma_f64 v[11:12], v[1:2], v[7:8], v[15:16]
	scratch_store_b128 off, v[9:12], off offset:96
.LBB91_39:
	s_or_b32 exec_lo, exec_lo, s2
	s_waitcnt_vscnt null, 0x0
	s_barrier
	buffer_gl0_inv
	scratch_load_b128 v[1:4], v116, off
	s_mov_b32 s2, exec_lo
	s_waitcnt vmcnt(0)
	ds_store_b128 v5, v[1:4]
	s_waitcnt lgkmcnt(0)
	s_barrier
	buffer_gl0_inv
	v_cmpx_gt_u32_e32 7, v94
	s_cbranch_execz .LBB91_43
; %bb.40:
	v_dual_mov_b32 v1, 0 :: v_dual_add_nc_u32 v8, 0x1c0, v13
	v_dual_mov_b32 v2, 0 :: v_dual_add_nc_u32 v7, -1, v94
	v_or_b32_e32 v9, 8, v14
	s_mov_b32 s3, 0
	s_delay_alu instid0(VALU_DEP_2)
	v_dual_mov_b32 v4, v2 :: v_dual_mov_b32 v3, v1
	.p2align	6
.LBB91_41:                              ; =>This Inner Loop Header: Depth=1
	scratch_load_b128 v[15:18], v9, off offset:-8
	ds_load_b128 v[19:22], v8
	v_add_nc_u32_e32 v7, 1, v7
	v_add_nc_u32_e32 v8, 16, v8
	;; [unrolled: 1-line block ×3, first 2 shown]
	s_delay_alu instid0(VALU_DEP_3) | instskip(SKIP_4) | instid1(VALU_DEP_2)
	v_cmp_lt_u32_e32 vcc_lo, 5, v7
	s_or_b32 s3, vcc_lo, s3
	s_waitcnt vmcnt(0) lgkmcnt(0)
	v_mul_f64 v[10:11], v[21:22], v[17:18]
	v_mul_f64 v[17:18], v[19:20], v[17:18]
	v_fma_f64 v[10:11], v[19:20], v[15:16], -v[10:11]
	s_delay_alu instid0(VALU_DEP_2) | instskip(NEXT) | instid1(VALU_DEP_2)
	v_fma_f64 v[15:16], v[21:22], v[15:16], v[17:18]
	v_add_f64 v[3:4], v[3:4], v[10:11]
	s_delay_alu instid0(VALU_DEP_2)
	v_add_f64 v[1:2], v[1:2], v[15:16]
	s_and_not1_b32 exec_lo, exec_lo, s3
	s_cbranch_execnz .LBB91_41
; %bb.42:
	s_or_b32 exec_lo, exec_lo, s3
	v_mov_b32_e32 v7, 0
	ds_load_b128 v[7:10], v7 offset:112
	s_waitcnt lgkmcnt(0)
	v_mul_f64 v[11:12], v[1:2], v[9:10]
	v_mul_f64 v[15:16], v[3:4], v[9:10]
	s_delay_alu instid0(VALU_DEP_2) | instskip(NEXT) | instid1(VALU_DEP_2)
	v_fma_f64 v[9:10], v[3:4], v[7:8], -v[11:12]
	v_fma_f64 v[11:12], v[1:2], v[7:8], v[15:16]
	scratch_store_b128 off, v[9:12], off offset:112
.LBB91_43:
	s_or_b32 exec_lo, exec_lo, s2
	s_waitcnt_vscnt null, 0x0
	s_barrier
	buffer_gl0_inv
	scratch_load_b128 v[1:4], v114, off
	s_mov_b32 s2, exec_lo
	s_waitcnt vmcnt(0)
	ds_store_b128 v5, v[1:4]
	s_waitcnt lgkmcnt(0)
	s_barrier
	buffer_gl0_inv
	v_cmpx_gt_u32_e32 8, v94
	s_cbranch_execz .LBB91_47
; %bb.44:
	v_dual_mov_b32 v1, 0 :: v_dual_add_nc_u32 v8, 0x1c0, v13
	v_dual_mov_b32 v2, 0 :: v_dual_add_nc_u32 v7, -1, v94
	v_or_b32_e32 v9, 8, v14
	s_mov_b32 s3, 0
	s_delay_alu instid0(VALU_DEP_2)
	v_dual_mov_b32 v4, v2 :: v_dual_mov_b32 v3, v1
	.p2align	6
.LBB91_45:                              ; =>This Inner Loop Header: Depth=1
	scratch_load_b128 v[15:18], v9, off offset:-8
	ds_load_b128 v[19:22], v8
	v_add_nc_u32_e32 v7, 1, v7
	v_add_nc_u32_e32 v8, 16, v8
	;; [unrolled: 1-line block ×3, first 2 shown]
	s_delay_alu instid0(VALU_DEP_3) | instskip(SKIP_4) | instid1(VALU_DEP_2)
	v_cmp_lt_u32_e32 vcc_lo, 6, v7
	s_or_b32 s3, vcc_lo, s3
	s_waitcnt vmcnt(0) lgkmcnt(0)
	v_mul_f64 v[10:11], v[21:22], v[17:18]
	v_mul_f64 v[17:18], v[19:20], v[17:18]
	v_fma_f64 v[10:11], v[19:20], v[15:16], -v[10:11]
	s_delay_alu instid0(VALU_DEP_2) | instskip(NEXT) | instid1(VALU_DEP_2)
	v_fma_f64 v[15:16], v[21:22], v[15:16], v[17:18]
	v_add_f64 v[3:4], v[3:4], v[10:11]
	s_delay_alu instid0(VALU_DEP_2)
	v_add_f64 v[1:2], v[1:2], v[15:16]
	s_and_not1_b32 exec_lo, exec_lo, s3
	s_cbranch_execnz .LBB91_45
; %bb.46:
	s_or_b32 exec_lo, exec_lo, s3
	v_mov_b32_e32 v7, 0
	ds_load_b128 v[7:10], v7 offset:128
	s_waitcnt lgkmcnt(0)
	v_mul_f64 v[11:12], v[1:2], v[9:10]
	v_mul_f64 v[15:16], v[3:4], v[9:10]
	s_delay_alu instid0(VALU_DEP_2) | instskip(NEXT) | instid1(VALU_DEP_2)
	v_fma_f64 v[9:10], v[3:4], v[7:8], -v[11:12]
	v_fma_f64 v[11:12], v[1:2], v[7:8], v[15:16]
	scratch_store_b128 off, v[9:12], off offset:128
.LBB91_47:
	s_or_b32 exec_lo, exec_lo, s2
	s_waitcnt_vscnt null, 0x0
	s_barrier
	buffer_gl0_inv
	scratch_load_b128 v[1:4], v113, off
	s_mov_b32 s2, exec_lo
	s_waitcnt vmcnt(0)
	ds_store_b128 v5, v[1:4]
	s_waitcnt lgkmcnt(0)
	s_barrier
	buffer_gl0_inv
	v_cmpx_gt_u32_e32 9, v94
	s_cbranch_execz .LBB91_51
; %bb.48:
	v_dual_mov_b32 v1, 0 :: v_dual_add_nc_u32 v8, 0x1c0, v13
	v_dual_mov_b32 v2, 0 :: v_dual_add_nc_u32 v7, -1, v94
	v_or_b32_e32 v9, 8, v14
	s_mov_b32 s3, 0
	s_delay_alu instid0(VALU_DEP_2)
	v_dual_mov_b32 v4, v2 :: v_dual_mov_b32 v3, v1
	.p2align	6
.LBB91_49:                              ; =>This Inner Loop Header: Depth=1
	scratch_load_b128 v[15:18], v9, off offset:-8
	ds_load_b128 v[19:22], v8
	v_add_nc_u32_e32 v7, 1, v7
	v_add_nc_u32_e32 v8, 16, v8
	;; [unrolled: 1-line block ×3, first 2 shown]
	s_delay_alu instid0(VALU_DEP_3) | instskip(SKIP_4) | instid1(VALU_DEP_2)
	v_cmp_lt_u32_e32 vcc_lo, 7, v7
	s_or_b32 s3, vcc_lo, s3
	s_waitcnt vmcnt(0) lgkmcnt(0)
	v_mul_f64 v[10:11], v[21:22], v[17:18]
	v_mul_f64 v[17:18], v[19:20], v[17:18]
	v_fma_f64 v[10:11], v[19:20], v[15:16], -v[10:11]
	s_delay_alu instid0(VALU_DEP_2) | instskip(NEXT) | instid1(VALU_DEP_2)
	v_fma_f64 v[15:16], v[21:22], v[15:16], v[17:18]
	v_add_f64 v[3:4], v[3:4], v[10:11]
	s_delay_alu instid0(VALU_DEP_2)
	v_add_f64 v[1:2], v[1:2], v[15:16]
	s_and_not1_b32 exec_lo, exec_lo, s3
	s_cbranch_execnz .LBB91_49
; %bb.50:
	s_or_b32 exec_lo, exec_lo, s3
	v_mov_b32_e32 v7, 0
	ds_load_b128 v[7:10], v7 offset:144
	s_waitcnt lgkmcnt(0)
	v_mul_f64 v[11:12], v[1:2], v[9:10]
	v_mul_f64 v[15:16], v[3:4], v[9:10]
	s_delay_alu instid0(VALU_DEP_2) | instskip(NEXT) | instid1(VALU_DEP_2)
	v_fma_f64 v[9:10], v[3:4], v[7:8], -v[11:12]
	v_fma_f64 v[11:12], v[1:2], v[7:8], v[15:16]
	scratch_store_b128 off, v[9:12], off offset:144
.LBB91_51:
	s_or_b32 exec_lo, exec_lo, s2
	s_waitcnt_vscnt null, 0x0
	s_barrier
	buffer_gl0_inv
	scratch_load_b128 v[1:4], v111, off
	s_mov_b32 s2, exec_lo
	s_waitcnt vmcnt(0)
	ds_store_b128 v5, v[1:4]
	s_waitcnt lgkmcnt(0)
	s_barrier
	buffer_gl0_inv
	v_cmpx_gt_u32_e32 10, v94
	s_cbranch_execz .LBB91_55
; %bb.52:
	v_dual_mov_b32 v1, 0 :: v_dual_add_nc_u32 v8, 0x1c0, v13
	v_dual_mov_b32 v2, 0 :: v_dual_add_nc_u32 v7, -1, v94
	v_or_b32_e32 v9, 8, v14
	s_mov_b32 s3, 0
	s_delay_alu instid0(VALU_DEP_2)
	v_dual_mov_b32 v4, v2 :: v_dual_mov_b32 v3, v1
	.p2align	6
.LBB91_53:                              ; =>This Inner Loop Header: Depth=1
	scratch_load_b128 v[15:18], v9, off offset:-8
	ds_load_b128 v[19:22], v8
	v_add_nc_u32_e32 v7, 1, v7
	v_add_nc_u32_e32 v8, 16, v8
	;; [unrolled: 1-line block ×3, first 2 shown]
	s_delay_alu instid0(VALU_DEP_3) | instskip(SKIP_4) | instid1(VALU_DEP_2)
	v_cmp_lt_u32_e32 vcc_lo, 8, v7
	s_or_b32 s3, vcc_lo, s3
	s_waitcnt vmcnt(0) lgkmcnt(0)
	v_mul_f64 v[10:11], v[21:22], v[17:18]
	v_mul_f64 v[17:18], v[19:20], v[17:18]
	v_fma_f64 v[10:11], v[19:20], v[15:16], -v[10:11]
	s_delay_alu instid0(VALU_DEP_2) | instskip(NEXT) | instid1(VALU_DEP_2)
	v_fma_f64 v[15:16], v[21:22], v[15:16], v[17:18]
	v_add_f64 v[3:4], v[3:4], v[10:11]
	s_delay_alu instid0(VALU_DEP_2)
	v_add_f64 v[1:2], v[1:2], v[15:16]
	s_and_not1_b32 exec_lo, exec_lo, s3
	s_cbranch_execnz .LBB91_53
; %bb.54:
	s_or_b32 exec_lo, exec_lo, s3
	v_mov_b32_e32 v7, 0
	ds_load_b128 v[7:10], v7 offset:160
	s_waitcnt lgkmcnt(0)
	v_mul_f64 v[11:12], v[1:2], v[9:10]
	v_mul_f64 v[15:16], v[3:4], v[9:10]
	s_delay_alu instid0(VALU_DEP_2) | instskip(NEXT) | instid1(VALU_DEP_2)
	v_fma_f64 v[9:10], v[3:4], v[7:8], -v[11:12]
	v_fma_f64 v[11:12], v[1:2], v[7:8], v[15:16]
	scratch_store_b128 off, v[9:12], off offset:160
.LBB91_55:
	s_or_b32 exec_lo, exec_lo, s2
	s_waitcnt_vscnt null, 0x0
	s_barrier
	buffer_gl0_inv
	scratch_load_b128 v[1:4], v112, off
	s_mov_b32 s2, exec_lo
	s_waitcnt vmcnt(0)
	ds_store_b128 v5, v[1:4]
	s_waitcnt lgkmcnt(0)
	s_barrier
	buffer_gl0_inv
	v_cmpx_gt_u32_e32 11, v94
	s_cbranch_execz .LBB91_59
; %bb.56:
	v_dual_mov_b32 v1, 0 :: v_dual_add_nc_u32 v8, 0x1c0, v13
	v_dual_mov_b32 v2, 0 :: v_dual_add_nc_u32 v7, -1, v94
	v_or_b32_e32 v9, 8, v14
	s_mov_b32 s3, 0
	s_delay_alu instid0(VALU_DEP_2)
	v_dual_mov_b32 v4, v2 :: v_dual_mov_b32 v3, v1
	.p2align	6
.LBB91_57:                              ; =>This Inner Loop Header: Depth=1
	scratch_load_b128 v[15:18], v9, off offset:-8
	ds_load_b128 v[19:22], v8
	v_add_nc_u32_e32 v7, 1, v7
	v_add_nc_u32_e32 v8, 16, v8
	;; [unrolled: 1-line block ×3, first 2 shown]
	s_delay_alu instid0(VALU_DEP_3) | instskip(SKIP_4) | instid1(VALU_DEP_2)
	v_cmp_lt_u32_e32 vcc_lo, 9, v7
	s_or_b32 s3, vcc_lo, s3
	s_waitcnt vmcnt(0) lgkmcnt(0)
	v_mul_f64 v[10:11], v[21:22], v[17:18]
	v_mul_f64 v[17:18], v[19:20], v[17:18]
	v_fma_f64 v[10:11], v[19:20], v[15:16], -v[10:11]
	s_delay_alu instid0(VALU_DEP_2) | instskip(NEXT) | instid1(VALU_DEP_2)
	v_fma_f64 v[15:16], v[21:22], v[15:16], v[17:18]
	v_add_f64 v[3:4], v[3:4], v[10:11]
	s_delay_alu instid0(VALU_DEP_2)
	v_add_f64 v[1:2], v[1:2], v[15:16]
	s_and_not1_b32 exec_lo, exec_lo, s3
	s_cbranch_execnz .LBB91_57
; %bb.58:
	s_or_b32 exec_lo, exec_lo, s3
	v_mov_b32_e32 v7, 0
	ds_load_b128 v[7:10], v7 offset:176
	s_waitcnt lgkmcnt(0)
	v_mul_f64 v[11:12], v[1:2], v[9:10]
	v_mul_f64 v[15:16], v[3:4], v[9:10]
	s_delay_alu instid0(VALU_DEP_2) | instskip(NEXT) | instid1(VALU_DEP_2)
	v_fma_f64 v[9:10], v[3:4], v[7:8], -v[11:12]
	v_fma_f64 v[11:12], v[1:2], v[7:8], v[15:16]
	scratch_store_b128 off, v[9:12], off offset:176
.LBB91_59:
	s_or_b32 exec_lo, exec_lo, s2
	s_waitcnt_vscnt null, 0x0
	s_barrier
	buffer_gl0_inv
	scratch_load_b128 v[1:4], v110, off
	s_mov_b32 s2, exec_lo
	s_waitcnt vmcnt(0)
	ds_store_b128 v5, v[1:4]
	s_waitcnt lgkmcnt(0)
	s_barrier
	buffer_gl0_inv
	v_cmpx_gt_u32_e32 12, v94
	s_cbranch_execz .LBB91_63
; %bb.60:
	v_dual_mov_b32 v1, 0 :: v_dual_add_nc_u32 v8, 0x1c0, v13
	v_dual_mov_b32 v2, 0 :: v_dual_add_nc_u32 v7, -1, v94
	v_or_b32_e32 v9, 8, v14
	s_mov_b32 s3, 0
	s_delay_alu instid0(VALU_DEP_2)
	v_dual_mov_b32 v4, v2 :: v_dual_mov_b32 v3, v1
	.p2align	6
.LBB91_61:                              ; =>This Inner Loop Header: Depth=1
	scratch_load_b128 v[15:18], v9, off offset:-8
	ds_load_b128 v[19:22], v8
	v_add_nc_u32_e32 v7, 1, v7
	v_add_nc_u32_e32 v8, 16, v8
	;; [unrolled: 1-line block ×3, first 2 shown]
	s_delay_alu instid0(VALU_DEP_3) | instskip(SKIP_4) | instid1(VALU_DEP_2)
	v_cmp_lt_u32_e32 vcc_lo, 10, v7
	s_or_b32 s3, vcc_lo, s3
	s_waitcnt vmcnt(0) lgkmcnt(0)
	v_mul_f64 v[10:11], v[21:22], v[17:18]
	v_mul_f64 v[17:18], v[19:20], v[17:18]
	v_fma_f64 v[10:11], v[19:20], v[15:16], -v[10:11]
	s_delay_alu instid0(VALU_DEP_2) | instskip(NEXT) | instid1(VALU_DEP_2)
	v_fma_f64 v[15:16], v[21:22], v[15:16], v[17:18]
	v_add_f64 v[3:4], v[3:4], v[10:11]
	s_delay_alu instid0(VALU_DEP_2)
	v_add_f64 v[1:2], v[1:2], v[15:16]
	s_and_not1_b32 exec_lo, exec_lo, s3
	s_cbranch_execnz .LBB91_61
; %bb.62:
	s_or_b32 exec_lo, exec_lo, s3
	v_mov_b32_e32 v7, 0
	ds_load_b128 v[7:10], v7 offset:192
	s_waitcnt lgkmcnt(0)
	v_mul_f64 v[11:12], v[1:2], v[9:10]
	v_mul_f64 v[15:16], v[3:4], v[9:10]
	s_delay_alu instid0(VALU_DEP_2) | instskip(NEXT) | instid1(VALU_DEP_2)
	v_fma_f64 v[9:10], v[3:4], v[7:8], -v[11:12]
	v_fma_f64 v[11:12], v[1:2], v[7:8], v[15:16]
	scratch_store_b128 off, v[9:12], off offset:192
.LBB91_63:
	s_or_b32 exec_lo, exec_lo, s2
	s_waitcnt_vscnt null, 0x0
	s_barrier
	buffer_gl0_inv
	scratch_load_b128 v[1:4], v109, off
	s_mov_b32 s2, exec_lo
	s_waitcnt vmcnt(0)
	ds_store_b128 v5, v[1:4]
	s_waitcnt lgkmcnt(0)
	s_barrier
	buffer_gl0_inv
	v_cmpx_gt_u32_e32 13, v94
	s_cbranch_execz .LBB91_67
; %bb.64:
	v_dual_mov_b32 v1, 0 :: v_dual_add_nc_u32 v8, 0x1c0, v13
	v_dual_mov_b32 v2, 0 :: v_dual_add_nc_u32 v7, -1, v94
	v_or_b32_e32 v9, 8, v14
	s_mov_b32 s3, 0
	s_delay_alu instid0(VALU_DEP_2)
	v_dual_mov_b32 v4, v2 :: v_dual_mov_b32 v3, v1
	.p2align	6
.LBB91_65:                              ; =>This Inner Loop Header: Depth=1
	scratch_load_b128 v[15:18], v9, off offset:-8
	ds_load_b128 v[19:22], v8
	v_add_nc_u32_e32 v7, 1, v7
	v_add_nc_u32_e32 v8, 16, v8
	;; [unrolled: 1-line block ×3, first 2 shown]
	s_delay_alu instid0(VALU_DEP_3) | instskip(SKIP_4) | instid1(VALU_DEP_2)
	v_cmp_lt_u32_e32 vcc_lo, 11, v7
	s_or_b32 s3, vcc_lo, s3
	s_waitcnt vmcnt(0) lgkmcnt(0)
	v_mul_f64 v[10:11], v[21:22], v[17:18]
	v_mul_f64 v[17:18], v[19:20], v[17:18]
	v_fma_f64 v[10:11], v[19:20], v[15:16], -v[10:11]
	s_delay_alu instid0(VALU_DEP_2) | instskip(NEXT) | instid1(VALU_DEP_2)
	v_fma_f64 v[15:16], v[21:22], v[15:16], v[17:18]
	v_add_f64 v[3:4], v[3:4], v[10:11]
	s_delay_alu instid0(VALU_DEP_2)
	v_add_f64 v[1:2], v[1:2], v[15:16]
	s_and_not1_b32 exec_lo, exec_lo, s3
	s_cbranch_execnz .LBB91_65
; %bb.66:
	s_or_b32 exec_lo, exec_lo, s3
	v_mov_b32_e32 v7, 0
	ds_load_b128 v[7:10], v7 offset:208
	s_waitcnt lgkmcnt(0)
	v_mul_f64 v[11:12], v[1:2], v[9:10]
	v_mul_f64 v[15:16], v[3:4], v[9:10]
	s_delay_alu instid0(VALU_DEP_2) | instskip(NEXT) | instid1(VALU_DEP_2)
	v_fma_f64 v[9:10], v[3:4], v[7:8], -v[11:12]
	v_fma_f64 v[11:12], v[1:2], v[7:8], v[15:16]
	scratch_store_b128 off, v[9:12], off offset:208
.LBB91_67:
	s_or_b32 exec_lo, exec_lo, s2
	s_waitcnt_vscnt null, 0x0
	s_barrier
	buffer_gl0_inv
	scratch_load_b128 v[1:4], v107, off
	s_mov_b32 s2, exec_lo
	s_waitcnt vmcnt(0)
	ds_store_b128 v5, v[1:4]
	s_waitcnt lgkmcnt(0)
	s_barrier
	buffer_gl0_inv
	v_cmpx_gt_u32_e32 14, v94
	s_cbranch_execz .LBB91_71
; %bb.68:
	v_dual_mov_b32 v1, 0 :: v_dual_add_nc_u32 v8, 0x1c0, v13
	v_dual_mov_b32 v2, 0 :: v_dual_add_nc_u32 v7, -1, v94
	v_or_b32_e32 v9, 8, v14
	s_mov_b32 s3, 0
	s_delay_alu instid0(VALU_DEP_2)
	v_dual_mov_b32 v4, v2 :: v_dual_mov_b32 v3, v1
	.p2align	6
.LBB91_69:                              ; =>This Inner Loop Header: Depth=1
	scratch_load_b128 v[15:18], v9, off offset:-8
	ds_load_b128 v[19:22], v8
	v_add_nc_u32_e32 v7, 1, v7
	v_add_nc_u32_e32 v8, 16, v8
	;; [unrolled: 1-line block ×3, first 2 shown]
	s_delay_alu instid0(VALU_DEP_3) | instskip(SKIP_4) | instid1(VALU_DEP_2)
	v_cmp_lt_u32_e32 vcc_lo, 12, v7
	s_or_b32 s3, vcc_lo, s3
	s_waitcnt vmcnt(0) lgkmcnt(0)
	v_mul_f64 v[10:11], v[21:22], v[17:18]
	v_mul_f64 v[17:18], v[19:20], v[17:18]
	v_fma_f64 v[10:11], v[19:20], v[15:16], -v[10:11]
	s_delay_alu instid0(VALU_DEP_2) | instskip(NEXT) | instid1(VALU_DEP_2)
	v_fma_f64 v[15:16], v[21:22], v[15:16], v[17:18]
	v_add_f64 v[3:4], v[3:4], v[10:11]
	s_delay_alu instid0(VALU_DEP_2)
	v_add_f64 v[1:2], v[1:2], v[15:16]
	s_and_not1_b32 exec_lo, exec_lo, s3
	s_cbranch_execnz .LBB91_69
; %bb.70:
	s_or_b32 exec_lo, exec_lo, s3
	v_mov_b32_e32 v7, 0
	ds_load_b128 v[7:10], v7 offset:224
	s_waitcnt lgkmcnt(0)
	v_mul_f64 v[11:12], v[1:2], v[9:10]
	v_mul_f64 v[15:16], v[3:4], v[9:10]
	s_delay_alu instid0(VALU_DEP_2) | instskip(NEXT) | instid1(VALU_DEP_2)
	v_fma_f64 v[9:10], v[3:4], v[7:8], -v[11:12]
	v_fma_f64 v[11:12], v[1:2], v[7:8], v[15:16]
	scratch_store_b128 off, v[9:12], off offset:224
.LBB91_71:
	s_or_b32 exec_lo, exec_lo, s2
	s_waitcnt_vscnt null, 0x0
	s_barrier
	buffer_gl0_inv
	scratch_load_b128 v[1:4], v108, off
	s_mov_b32 s2, exec_lo
	s_waitcnt vmcnt(0)
	ds_store_b128 v5, v[1:4]
	s_waitcnt lgkmcnt(0)
	s_barrier
	buffer_gl0_inv
	v_cmpx_gt_u32_e32 15, v94
	s_cbranch_execz .LBB91_75
; %bb.72:
	v_dual_mov_b32 v1, 0 :: v_dual_add_nc_u32 v8, 0x1c0, v13
	v_dual_mov_b32 v2, 0 :: v_dual_add_nc_u32 v7, -1, v94
	v_or_b32_e32 v9, 8, v14
	s_mov_b32 s3, 0
	s_delay_alu instid0(VALU_DEP_2)
	v_dual_mov_b32 v4, v2 :: v_dual_mov_b32 v3, v1
	.p2align	6
.LBB91_73:                              ; =>This Inner Loop Header: Depth=1
	scratch_load_b128 v[15:18], v9, off offset:-8
	ds_load_b128 v[19:22], v8
	v_add_nc_u32_e32 v7, 1, v7
	v_add_nc_u32_e32 v8, 16, v8
	;; [unrolled: 1-line block ×3, first 2 shown]
	s_delay_alu instid0(VALU_DEP_3) | instskip(SKIP_4) | instid1(VALU_DEP_2)
	v_cmp_lt_u32_e32 vcc_lo, 13, v7
	s_or_b32 s3, vcc_lo, s3
	s_waitcnt vmcnt(0) lgkmcnt(0)
	v_mul_f64 v[10:11], v[21:22], v[17:18]
	v_mul_f64 v[17:18], v[19:20], v[17:18]
	v_fma_f64 v[10:11], v[19:20], v[15:16], -v[10:11]
	s_delay_alu instid0(VALU_DEP_2) | instskip(NEXT) | instid1(VALU_DEP_2)
	v_fma_f64 v[15:16], v[21:22], v[15:16], v[17:18]
	v_add_f64 v[3:4], v[3:4], v[10:11]
	s_delay_alu instid0(VALU_DEP_2)
	v_add_f64 v[1:2], v[1:2], v[15:16]
	s_and_not1_b32 exec_lo, exec_lo, s3
	s_cbranch_execnz .LBB91_73
; %bb.74:
	s_or_b32 exec_lo, exec_lo, s3
	v_mov_b32_e32 v7, 0
	ds_load_b128 v[7:10], v7 offset:240
	s_waitcnt lgkmcnt(0)
	v_mul_f64 v[11:12], v[1:2], v[9:10]
	v_mul_f64 v[15:16], v[3:4], v[9:10]
	s_delay_alu instid0(VALU_DEP_2) | instskip(NEXT) | instid1(VALU_DEP_2)
	v_fma_f64 v[9:10], v[3:4], v[7:8], -v[11:12]
	v_fma_f64 v[11:12], v[1:2], v[7:8], v[15:16]
	scratch_store_b128 off, v[9:12], off offset:240
.LBB91_75:
	s_or_b32 exec_lo, exec_lo, s2
	s_waitcnt_vscnt null, 0x0
	s_barrier
	buffer_gl0_inv
	scratch_load_b128 v[1:4], v106, off
	s_mov_b32 s2, exec_lo
	s_waitcnt vmcnt(0)
	ds_store_b128 v5, v[1:4]
	s_waitcnt lgkmcnt(0)
	s_barrier
	buffer_gl0_inv
	v_cmpx_gt_u32_e32 16, v94
	s_cbranch_execz .LBB91_79
; %bb.76:
	v_dual_mov_b32 v1, 0 :: v_dual_add_nc_u32 v8, 0x1c0, v13
	v_dual_mov_b32 v2, 0 :: v_dual_add_nc_u32 v7, -1, v94
	v_or_b32_e32 v9, 8, v14
	s_mov_b32 s3, 0
	s_delay_alu instid0(VALU_DEP_2)
	v_dual_mov_b32 v4, v2 :: v_dual_mov_b32 v3, v1
	.p2align	6
.LBB91_77:                              ; =>This Inner Loop Header: Depth=1
	scratch_load_b128 v[15:18], v9, off offset:-8
	ds_load_b128 v[19:22], v8
	v_add_nc_u32_e32 v7, 1, v7
	v_add_nc_u32_e32 v8, 16, v8
	;; [unrolled: 1-line block ×3, first 2 shown]
	s_delay_alu instid0(VALU_DEP_3) | instskip(SKIP_4) | instid1(VALU_DEP_2)
	v_cmp_lt_u32_e32 vcc_lo, 14, v7
	s_or_b32 s3, vcc_lo, s3
	s_waitcnt vmcnt(0) lgkmcnt(0)
	v_mul_f64 v[10:11], v[21:22], v[17:18]
	v_mul_f64 v[17:18], v[19:20], v[17:18]
	v_fma_f64 v[10:11], v[19:20], v[15:16], -v[10:11]
	s_delay_alu instid0(VALU_DEP_2) | instskip(NEXT) | instid1(VALU_DEP_2)
	v_fma_f64 v[15:16], v[21:22], v[15:16], v[17:18]
	v_add_f64 v[3:4], v[3:4], v[10:11]
	s_delay_alu instid0(VALU_DEP_2)
	v_add_f64 v[1:2], v[1:2], v[15:16]
	s_and_not1_b32 exec_lo, exec_lo, s3
	s_cbranch_execnz .LBB91_77
; %bb.78:
	s_or_b32 exec_lo, exec_lo, s3
	v_mov_b32_e32 v7, 0
	ds_load_b128 v[7:10], v7 offset:256
	s_waitcnt lgkmcnt(0)
	v_mul_f64 v[11:12], v[1:2], v[9:10]
	v_mul_f64 v[15:16], v[3:4], v[9:10]
	s_delay_alu instid0(VALU_DEP_2) | instskip(NEXT) | instid1(VALU_DEP_2)
	v_fma_f64 v[9:10], v[3:4], v[7:8], -v[11:12]
	v_fma_f64 v[11:12], v[1:2], v[7:8], v[15:16]
	scratch_store_b128 off, v[9:12], off offset:256
.LBB91_79:
	s_or_b32 exec_lo, exec_lo, s2
	s_waitcnt_vscnt null, 0x0
	s_barrier
	buffer_gl0_inv
	scratch_load_b128 v[1:4], v105, off
	s_mov_b32 s2, exec_lo
	s_waitcnt vmcnt(0)
	ds_store_b128 v5, v[1:4]
	s_waitcnt lgkmcnt(0)
	s_barrier
	buffer_gl0_inv
	v_cmpx_gt_u32_e32 17, v94
	s_cbranch_execz .LBB91_83
; %bb.80:
	v_dual_mov_b32 v1, 0 :: v_dual_add_nc_u32 v8, 0x1c0, v13
	v_dual_mov_b32 v2, 0 :: v_dual_add_nc_u32 v7, -1, v94
	v_or_b32_e32 v9, 8, v14
	s_mov_b32 s3, 0
	s_delay_alu instid0(VALU_DEP_2)
	v_dual_mov_b32 v4, v2 :: v_dual_mov_b32 v3, v1
	.p2align	6
.LBB91_81:                              ; =>This Inner Loop Header: Depth=1
	scratch_load_b128 v[15:18], v9, off offset:-8
	ds_load_b128 v[19:22], v8
	v_add_nc_u32_e32 v7, 1, v7
	v_add_nc_u32_e32 v8, 16, v8
	;; [unrolled: 1-line block ×3, first 2 shown]
	s_delay_alu instid0(VALU_DEP_3) | instskip(SKIP_4) | instid1(VALU_DEP_2)
	v_cmp_lt_u32_e32 vcc_lo, 15, v7
	s_or_b32 s3, vcc_lo, s3
	s_waitcnt vmcnt(0) lgkmcnt(0)
	v_mul_f64 v[10:11], v[21:22], v[17:18]
	v_mul_f64 v[17:18], v[19:20], v[17:18]
	v_fma_f64 v[10:11], v[19:20], v[15:16], -v[10:11]
	s_delay_alu instid0(VALU_DEP_2) | instskip(NEXT) | instid1(VALU_DEP_2)
	v_fma_f64 v[15:16], v[21:22], v[15:16], v[17:18]
	v_add_f64 v[3:4], v[3:4], v[10:11]
	s_delay_alu instid0(VALU_DEP_2)
	v_add_f64 v[1:2], v[1:2], v[15:16]
	s_and_not1_b32 exec_lo, exec_lo, s3
	s_cbranch_execnz .LBB91_81
; %bb.82:
	s_or_b32 exec_lo, exec_lo, s3
	v_mov_b32_e32 v7, 0
	ds_load_b128 v[7:10], v7 offset:272
	s_waitcnt lgkmcnt(0)
	v_mul_f64 v[11:12], v[1:2], v[9:10]
	v_mul_f64 v[15:16], v[3:4], v[9:10]
	s_delay_alu instid0(VALU_DEP_2) | instskip(NEXT) | instid1(VALU_DEP_2)
	v_fma_f64 v[9:10], v[3:4], v[7:8], -v[11:12]
	v_fma_f64 v[11:12], v[1:2], v[7:8], v[15:16]
	scratch_store_b128 off, v[9:12], off offset:272
.LBB91_83:
	s_or_b32 exec_lo, exec_lo, s2
	s_waitcnt_vscnt null, 0x0
	s_barrier
	buffer_gl0_inv
	scratch_load_b128 v[1:4], v103, off
	s_mov_b32 s2, exec_lo
	s_waitcnt vmcnt(0)
	ds_store_b128 v5, v[1:4]
	s_waitcnt lgkmcnt(0)
	s_barrier
	buffer_gl0_inv
	v_cmpx_gt_u32_e32 18, v94
	s_cbranch_execz .LBB91_87
; %bb.84:
	v_dual_mov_b32 v1, 0 :: v_dual_add_nc_u32 v8, 0x1c0, v13
	v_dual_mov_b32 v2, 0 :: v_dual_add_nc_u32 v7, -1, v94
	v_or_b32_e32 v9, 8, v14
	s_mov_b32 s3, 0
	s_delay_alu instid0(VALU_DEP_2)
	v_dual_mov_b32 v4, v2 :: v_dual_mov_b32 v3, v1
	.p2align	6
.LBB91_85:                              ; =>This Inner Loop Header: Depth=1
	scratch_load_b128 v[15:18], v9, off offset:-8
	ds_load_b128 v[19:22], v8
	v_add_nc_u32_e32 v7, 1, v7
	v_add_nc_u32_e32 v8, 16, v8
	;; [unrolled: 1-line block ×3, first 2 shown]
	s_delay_alu instid0(VALU_DEP_3) | instskip(SKIP_4) | instid1(VALU_DEP_2)
	v_cmp_lt_u32_e32 vcc_lo, 16, v7
	s_or_b32 s3, vcc_lo, s3
	s_waitcnt vmcnt(0) lgkmcnt(0)
	v_mul_f64 v[10:11], v[21:22], v[17:18]
	v_mul_f64 v[17:18], v[19:20], v[17:18]
	v_fma_f64 v[10:11], v[19:20], v[15:16], -v[10:11]
	s_delay_alu instid0(VALU_DEP_2) | instskip(NEXT) | instid1(VALU_DEP_2)
	v_fma_f64 v[15:16], v[21:22], v[15:16], v[17:18]
	v_add_f64 v[3:4], v[3:4], v[10:11]
	s_delay_alu instid0(VALU_DEP_2)
	v_add_f64 v[1:2], v[1:2], v[15:16]
	s_and_not1_b32 exec_lo, exec_lo, s3
	s_cbranch_execnz .LBB91_85
; %bb.86:
	s_or_b32 exec_lo, exec_lo, s3
	v_mov_b32_e32 v7, 0
	ds_load_b128 v[7:10], v7 offset:288
	s_waitcnt lgkmcnt(0)
	v_mul_f64 v[11:12], v[1:2], v[9:10]
	v_mul_f64 v[15:16], v[3:4], v[9:10]
	s_delay_alu instid0(VALU_DEP_2) | instskip(NEXT) | instid1(VALU_DEP_2)
	v_fma_f64 v[9:10], v[3:4], v[7:8], -v[11:12]
	v_fma_f64 v[11:12], v[1:2], v[7:8], v[15:16]
	scratch_store_b128 off, v[9:12], off offset:288
.LBB91_87:
	s_or_b32 exec_lo, exec_lo, s2
	s_waitcnt_vscnt null, 0x0
	s_barrier
	buffer_gl0_inv
	scratch_load_b128 v[1:4], v104, off
	s_mov_b32 s2, exec_lo
	s_waitcnt vmcnt(0)
	ds_store_b128 v5, v[1:4]
	s_waitcnt lgkmcnt(0)
	s_barrier
	buffer_gl0_inv
	v_cmpx_gt_u32_e32 19, v94
	s_cbranch_execz .LBB91_91
; %bb.88:
	v_dual_mov_b32 v1, 0 :: v_dual_add_nc_u32 v8, 0x1c0, v13
	v_dual_mov_b32 v2, 0 :: v_dual_add_nc_u32 v7, -1, v94
	v_or_b32_e32 v9, 8, v14
	s_mov_b32 s3, 0
	s_delay_alu instid0(VALU_DEP_2)
	v_dual_mov_b32 v4, v2 :: v_dual_mov_b32 v3, v1
	.p2align	6
.LBB91_89:                              ; =>This Inner Loop Header: Depth=1
	scratch_load_b128 v[15:18], v9, off offset:-8
	ds_load_b128 v[19:22], v8
	v_add_nc_u32_e32 v7, 1, v7
	v_add_nc_u32_e32 v8, 16, v8
	;; [unrolled: 1-line block ×3, first 2 shown]
	s_delay_alu instid0(VALU_DEP_3) | instskip(SKIP_4) | instid1(VALU_DEP_2)
	v_cmp_lt_u32_e32 vcc_lo, 17, v7
	s_or_b32 s3, vcc_lo, s3
	s_waitcnt vmcnt(0) lgkmcnt(0)
	v_mul_f64 v[10:11], v[21:22], v[17:18]
	v_mul_f64 v[17:18], v[19:20], v[17:18]
	v_fma_f64 v[10:11], v[19:20], v[15:16], -v[10:11]
	s_delay_alu instid0(VALU_DEP_2) | instskip(NEXT) | instid1(VALU_DEP_2)
	v_fma_f64 v[15:16], v[21:22], v[15:16], v[17:18]
	v_add_f64 v[3:4], v[3:4], v[10:11]
	s_delay_alu instid0(VALU_DEP_2)
	v_add_f64 v[1:2], v[1:2], v[15:16]
	s_and_not1_b32 exec_lo, exec_lo, s3
	s_cbranch_execnz .LBB91_89
; %bb.90:
	s_or_b32 exec_lo, exec_lo, s3
	v_mov_b32_e32 v7, 0
	ds_load_b128 v[7:10], v7 offset:304
	s_waitcnt lgkmcnt(0)
	v_mul_f64 v[11:12], v[1:2], v[9:10]
	v_mul_f64 v[15:16], v[3:4], v[9:10]
	s_delay_alu instid0(VALU_DEP_2) | instskip(NEXT) | instid1(VALU_DEP_2)
	v_fma_f64 v[9:10], v[3:4], v[7:8], -v[11:12]
	v_fma_f64 v[11:12], v[1:2], v[7:8], v[15:16]
	scratch_store_b128 off, v[9:12], off offset:304
.LBB91_91:
	s_or_b32 exec_lo, exec_lo, s2
	s_waitcnt_vscnt null, 0x0
	s_barrier
	buffer_gl0_inv
	scratch_load_b128 v[1:4], v102, off
	s_mov_b32 s2, exec_lo
	s_waitcnt vmcnt(0)
	ds_store_b128 v5, v[1:4]
	s_waitcnt lgkmcnt(0)
	s_barrier
	buffer_gl0_inv
	v_cmpx_gt_u32_e32 20, v94
	s_cbranch_execz .LBB91_95
; %bb.92:
	v_dual_mov_b32 v1, 0 :: v_dual_add_nc_u32 v8, 0x1c0, v13
	v_dual_mov_b32 v2, 0 :: v_dual_add_nc_u32 v7, -1, v94
	v_or_b32_e32 v9, 8, v14
	s_mov_b32 s3, 0
	s_delay_alu instid0(VALU_DEP_2)
	v_dual_mov_b32 v4, v2 :: v_dual_mov_b32 v3, v1
	.p2align	6
.LBB91_93:                              ; =>This Inner Loop Header: Depth=1
	scratch_load_b128 v[15:18], v9, off offset:-8
	ds_load_b128 v[19:22], v8
	v_add_nc_u32_e32 v7, 1, v7
	v_add_nc_u32_e32 v8, 16, v8
	;; [unrolled: 1-line block ×3, first 2 shown]
	s_delay_alu instid0(VALU_DEP_3) | instskip(SKIP_4) | instid1(VALU_DEP_2)
	v_cmp_lt_u32_e32 vcc_lo, 18, v7
	s_or_b32 s3, vcc_lo, s3
	s_waitcnt vmcnt(0) lgkmcnt(0)
	v_mul_f64 v[10:11], v[21:22], v[17:18]
	v_mul_f64 v[17:18], v[19:20], v[17:18]
	v_fma_f64 v[10:11], v[19:20], v[15:16], -v[10:11]
	s_delay_alu instid0(VALU_DEP_2) | instskip(NEXT) | instid1(VALU_DEP_2)
	v_fma_f64 v[15:16], v[21:22], v[15:16], v[17:18]
	v_add_f64 v[3:4], v[3:4], v[10:11]
	s_delay_alu instid0(VALU_DEP_2)
	v_add_f64 v[1:2], v[1:2], v[15:16]
	s_and_not1_b32 exec_lo, exec_lo, s3
	s_cbranch_execnz .LBB91_93
; %bb.94:
	s_or_b32 exec_lo, exec_lo, s3
	v_mov_b32_e32 v7, 0
	ds_load_b128 v[7:10], v7 offset:320
	s_waitcnt lgkmcnt(0)
	v_mul_f64 v[11:12], v[1:2], v[9:10]
	v_mul_f64 v[15:16], v[3:4], v[9:10]
	s_delay_alu instid0(VALU_DEP_2) | instskip(NEXT) | instid1(VALU_DEP_2)
	v_fma_f64 v[9:10], v[3:4], v[7:8], -v[11:12]
	v_fma_f64 v[11:12], v[1:2], v[7:8], v[15:16]
	scratch_store_b128 off, v[9:12], off offset:320
.LBB91_95:
	s_or_b32 exec_lo, exec_lo, s2
	s_waitcnt_vscnt null, 0x0
	s_barrier
	buffer_gl0_inv
	scratch_load_b128 v[1:4], v101, off
	s_mov_b32 s2, exec_lo
	s_waitcnt vmcnt(0)
	ds_store_b128 v5, v[1:4]
	s_waitcnt lgkmcnt(0)
	s_barrier
	buffer_gl0_inv
	v_cmpx_gt_u32_e32 21, v94
	s_cbranch_execz .LBB91_99
; %bb.96:
	v_dual_mov_b32 v1, 0 :: v_dual_add_nc_u32 v8, 0x1c0, v13
	v_dual_mov_b32 v2, 0 :: v_dual_add_nc_u32 v7, -1, v94
	v_or_b32_e32 v9, 8, v14
	s_mov_b32 s3, 0
	s_delay_alu instid0(VALU_DEP_2)
	v_dual_mov_b32 v4, v2 :: v_dual_mov_b32 v3, v1
	.p2align	6
.LBB91_97:                              ; =>This Inner Loop Header: Depth=1
	scratch_load_b128 v[15:18], v9, off offset:-8
	ds_load_b128 v[19:22], v8
	v_add_nc_u32_e32 v7, 1, v7
	v_add_nc_u32_e32 v8, 16, v8
	;; [unrolled: 1-line block ×3, first 2 shown]
	s_delay_alu instid0(VALU_DEP_3) | instskip(SKIP_4) | instid1(VALU_DEP_2)
	v_cmp_lt_u32_e32 vcc_lo, 19, v7
	s_or_b32 s3, vcc_lo, s3
	s_waitcnt vmcnt(0) lgkmcnt(0)
	v_mul_f64 v[10:11], v[21:22], v[17:18]
	v_mul_f64 v[17:18], v[19:20], v[17:18]
	v_fma_f64 v[10:11], v[19:20], v[15:16], -v[10:11]
	s_delay_alu instid0(VALU_DEP_2) | instskip(NEXT) | instid1(VALU_DEP_2)
	v_fma_f64 v[15:16], v[21:22], v[15:16], v[17:18]
	v_add_f64 v[3:4], v[3:4], v[10:11]
	s_delay_alu instid0(VALU_DEP_2)
	v_add_f64 v[1:2], v[1:2], v[15:16]
	s_and_not1_b32 exec_lo, exec_lo, s3
	s_cbranch_execnz .LBB91_97
; %bb.98:
	s_or_b32 exec_lo, exec_lo, s3
	v_mov_b32_e32 v7, 0
	ds_load_b128 v[7:10], v7 offset:336
	s_waitcnt lgkmcnt(0)
	v_mul_f64 v[11:12], v[1:2], v[9:10]
	v_mul_f64 v[15:16], v[3:4], v[9:10]
	s_delay_alu instid0(VALU_DEP_2) | instskip(NEXT) | instid1(VALU_DEP_2)
	v_fma_f64 v[9:10], v[3:4], v[7:8], -v[11:12]
	v_fma_f64 v[11:12], v[1:2], v[7:8], v[15:16]
	scratch_store_b128 off, v[9:12], off offset:336
.LBB91_99:
	s_or_b32 exec_lo, exec_lo, s2
	s_waitcnt_vscnt null, 0x0
	s_barrier
	buffer_gl0_inv
	scratch_load_b128 v[1:4], v99, off
	s_mov_b32 s2, exec_lo
	s_waitcnt vmcnt(0)
	ds_store_b128 v5, v[1:4]
	s_waitcnt lgkmcnt(0)
	s_barrier
	buffer_gl0_inv
	v_cmpx_gt_u32_e32 22, v94
	s_cbranch_execz .LBB91_103
; %bb.100:
	v_dual_mov_b32 v1, 0 :: v_dual_add_nc_u32 v8, 0x1c0, v13
	v_dual_mov_b32 v2, 0 :: v_dual_add_nc_u32 v7, -1, v94
	v_or_b32_e32 v9, 8, v14
	s_mov_b32 s3, 0
	s_delay_alu instid0(VALU_DEP_2)
	v_dual_mov_b32 v4, v2 :: v_dual_mov_b32 v3, v1
	.p2align	6
.LBB91_101:                             ; =>This Inner Loop Header: Depth=1
	scratch_load_b128 v[15:18], v9, off offset:-8
	ds_load_b128 v[19:22], v8
	v_add_nc_u32_e32 v7, 1, v7
	v_add_nc_u32_e32 v8, 16, v8
	;; [unrolled: 1-line block ×3, first 2 shown]
	s_delay_alu instid0(VALU_DEP_3) | instskip(SKIP_4) | instid1(VALU_DEP_2)
	v_cmp_lt_u32_e32 vcc_lo, 20, v7
	s_or_b32 s3, vcc_lo, s3
	s_waitcnt vmcnt(0) lgkmcnt(0)
	v_mul_f64 v[10:11], v[21:22], v[17:18]
	v_mul_f64 v[17:18], v[19:20], v[17:18]
	v_fma_f64 v[10:11], v[19:20], v[15:16], -v[10:11]
	s_delay_alu instid0(VALU_DEP_2) | instskip(NEXT) | instid1(VALU_DEP_2)
	v_fma_f64 v[15:16], v[21:22], v[15:16], v[17:18]
	v_add_f64 v[3:4], v[3:4], v[10:11]
	s_delay_alu instid0(VALU_DEP_2)
	v_add_f64 v[1:2], v[1:2], v[15:16]
	s_and_not1_b32 exec_lo, exec_lo, s3
	s_cbranch_execnz .LBB91_101
; %bb.102:
	s_or_b32 exec_lo, exec_lo, s3
	v_mov_b32_e32 v7, 0
	ds_load_b128 v[7:10], v7 offset:352
	s_waitcnt lgkmcnt(0)
	v_mul_f64 v[11:12], v[1:2], v[9:10]
	v_mul_f64 v[15:16], v[3:4], v[9:10]
	s_delay_alu instid0(VALU_DEP_2) | instskip(NEXT) | instid1(VALU_DEP_2)
	v_fma_f64 v[9:10], v[3:4], v[7:8], -v[11:12]
	v_fma_f64 v[11:12], v[1:2], v[7:8], v[15:16]
	scratch_store_b128 off, v[9:12], off offset:352
.LBB91_103:
	s_or_b32 exec_lo, exec_lo, s2
	s_waitcnt_vscnt null, 0x0
	s_barrier
	buffer_gl0_inv
	scratch_load_b128 v[1:4], v100, off
	s_mov_b32 s2, exec_lo
	s_waitcnt vmcnt(0)
	ds_store_b128 v5, v[1:4]
	s_waitcnt lgkmcnt(0)
	s_barrier
	buffer_gl0_inv
	v_cmpx_gt_u32_e32 23, v94
	s_cbranch_execz .LBB91_107
; %bb.104:
	v_dual_mov_b32 v1, 0 :: v_dual_add_nc_u32 v8, 0x1c0, v13
	v_dual_mov_b32 v2, 0 :: v_dual_add_nc_u32 v7, -1, v94
	v_or_b32_e32 v9, 8, v14
	s_mov_b32 s3, 0
	s_delay_alu instid0(VALU_DEP_2)
	v_dual_mov_b32 v4, v2 :: v_dual_mov_b32 v3, v1
	.p2align	6
.LBB91_105:                             ; =>This Inner Loop Header: Depth=1
	scratch_load_b128 v[15:18], v9, off offset:-8
	ds_load_b128 v[19:22], v8
	v_add_nc_u32_e32 v7, 1, v7
	v_add_nc_u32_e32 v8, 16, v8
	;; [unrolled: 1-line block ×3, first 2 shown]
	s_delay_alu instid0(VALU_DEP_3) | instskip(SKIP_4) | instid1(VALU_DEP_2)
	v_cmp_lt_u32_e32 vcc_lo, 21, v7
	s_or_b32 s3, vcc_lo, s3
	s_waitcnt vmcnt(0) lgkmcnt(0)
	v_mul_f64 v[10:11], v[21:22], v[17:18]
	v_mul_f64 v[17:18], v[19:20], v[17:18]
	v_fma_f64 v[10:11], v[19:20], v[15:16], -v[10:11]
	s_delay_alu instid0(VALU_DEP_2) | instskip(NEXT) | instid1(VALU_DEP_2)
	v_fma_f64 v[15:16], v[21:22], v[15:16], v[17:18]
	v_add_f64 v[3:4], v[3:4], v[10:11]
	s_delay_alu instid0(VALU_DEP_2)
	v_add_f64 v[1:2], v[1:2], v[15:16]
	s_and_not1_b32 exec_lo, exec_lo, s3
	s_cbranch_execnz .LBB91_105
; %bb.106:
	s_or_b32 exec_lo, exec_lo, s3
	v_mov_b32_e32 v7, 0
	ds_load_b128 v[7:10], v7 offset:368
	s_waitcnt lgkmcnt(0)
	v_mul_f64 v[11:12], v[1:2], v[9:10]
	v_mul_f64 v[15:16], v[3:4], v[9:10]
	s_delay_alu instid0(VALU_DEP_2) | instskip(NEXT) | instid1(VALU_DEP_2)
	v_fma_f64 v[9:10], v[3:4], v[7:8], -v[11:12]
	v_fma_f64 v[11:12], v[1:2], v[7:8], v[15:16]
	scratch_store_b128 off, v[9:12], off offset:368
.LBB91_107:
	s_or_b32 exec_lo, exec_lo, s2
	s_waitcnt_vscnt null, 0x0
	s_barrier
	buffer_gl0_inv
	scratch_load_b128 v[1:4], v118, off
	s_mov_b32 s2, exec_lo
	s_waitcnt vmcnt(0)
	ds_store_b128 v5, v[1:4]
	s_waitcnt lgkmcnt(0)
	s_barrier
	buffer_gl0_inv
	v_cmpx_gt_u32_e32 24, v94
	s_cbranch_execz .LBB91_111
; %bb.108:
	v_dual_mov_b32 v1, 0 :: v_dual_add_nc_u32 v8, 0x1c0, v13
	v_dual_mov_b32 v2, 0 :: v_dual_add_nc_u32 v7, -1, v94
	v_or_b32_e32 v9, 8, v14
	s_mov_b32 s3, 0
	s_delay_alu instid0(VALU_DEP_2)
	v_dual_mov_b32 v4, v2 :: v_dual_mov_b32 v3, v1
	.p2align	6
.LBB91_109:                             ; =>This Inner Loop Header: Depth=1
	scratch_load_b128 v[15:18], v9, off offset:-8
	ds_load_b128 v[19:22], v8
	v_add_nc_u32_e32 v7, 1, v7
	v_add_nc_u32_e32 v8, 16, v8
	;; [unrolled: 1-line block ×3, first 2 shown]
	s_delay_alu instid0(VALU_DEP_3) | instskip(SKIP_4) | instid1(VALU_DEP_2)
	v_cmp_lt_u32_e32 vcc_lo, 22, v7
	s_or_b32 s3, vcc_lo, s3
	s_waitcnt vmcnt(0) lgkmcnt(0)
	v_mul_f64 v[10:11], v[21:22], v[17:18]
	v_mul_f64 v[17:18], v[19:20], v[17:18]
	v_fma_f64 v[10:11], v[19:20], v[15:16], -v[10:11]
	s_delay_alu instid0(VALU_DEP_2) | instskip(NEXT) | instid1(VALU_DEP_2)
	v_fma_f64 v[15:16], v[21:22], v[15:16], v[17:18]
	v_add_f64 v[3:4], v[3:4], v[10:11]
	s_delay_alu instid0(VALU_DEP_2)
	v_add_f64 v[1:2], v[1:2], v[15:16]
	s_and_not1_b32 exec_lo, exec_lo, s3
	s_cbranch_execnz .LBB91_109
; %bb.110:
	s_or_b32 exec_lo, exec_lo, s3
	v_mov_b32_e32 v7, 0
	ds_load_b128 v[7:10], v7 offset:384
	s_waitcnt lgkmcnt(0)
	v_mul_f64 v[11:12], v[1:2], v[9:10]
	v_mul_f64 v[15:16], v[3:4], v[9:10]
	s_delay_alu instid0(VALU_DEP_2) | instskip(NEXT) | instid1(VALU_DEP_2)
	v_fma_f64 v[9:10], v[3:4], v[7:8], -v[11:12]
	v_fma_f64 v[11:12], v[1:2], v[7:8], v[15:16]
	scratch_store_b128 off, v[9:12], off offset:384
.LBB91_111:
	s_or_b32 exec_lo, exec_lo, s2
	s_waitcnt_vscnt null, 0x0
	s_barrier
	buffer_gl0_inv
	scratch_load_b128 v[1:4], v121, off
	s_mov_b32 s2, exec_lo
	s_waitcnt vmcnt(0)
	ds_store_b128 v5, v[1:4]
	s_waitcnt lgkmcnt(0)
	s_barrier
	buffer_gl0_inv
	v_cmpx_gt_u32_e32 25, v94
	s_cbranch_execz .LBB91_115
; %bb.112:
	v_dual_mov_b32 v1, 0 :: v_dual_add_nc_u32 v8, 0x1c0, v13
	v_dual_mov_b32 v2, 0 :: v_dual_add_nc_u32 v7, -1, v94
	v_or_b32_e32 v9, 8, v14
	s_mov_b32 s3, 0
	s_delay_alu instid0(VALU_DEP_2)
	v_dual_mov_b32 v4, v2 :: v_dual_mov_b32 v3, v1
	.p2align	6
.LBB91_113:                             ; =>This Inner Loop Header: Depth=1
	scratch_load_b128 v[15:18], v9, off offset:-8
	ds_load_b128 v[19:22], v8
	v_add_nc_u32_e32 v7, 1, v7
	v_add_nc_u32_e32 v8, 16, v8
	;; [unrolled: 1-line block ×3, first 2 shown]
	s_delay_alu instid0(VALU_DEP_3) | instskip(SKIP_4) | instid1(VALU_DEP_2)
	v_cmp_lt_u32_e32 vcc_lo, 23, v7
	s_or_b32 s3, vcc_lo, s3
	s_waitcnt vmcnt(0) lgkmcnt(0)
	v_mul_f64 v[10:11], v[21:22], v[17:18]
	v_mul_f64 v[17:18], v[19:20], v[17:18]
	v_fma_f64 v[10:11], v[19:20], v[15:16], -v[10:11]
	s_delay_alu instid0(VALU_DEP_2) | instskip(NEXT) | instid1(VALU_DEP_2)
	v_fma_f64 v[15:16], v[21:22], v[15:16], v[17:18]
	v_add_f64 v[3:4], v[3:4], v[10:11]
	s_delay_alu instid0(VALU_DEP_2)
	v_add_f64 v[1:2], v[1:2], v[15:16]
	s_and_not1_b32 exec_lo, exec_lo, s3
	s_cbranch_execnz .LBB91_113
; %bb.114:
	s_or_b32 exec_lo, exec_lo, s3
	v_mov_b32_e32 v7, 0
	ds_load_b128 v[7:10], v7 offset:400
	s_waitcnt lgkmcnt(0)
	v_mul_f64 v[11:12], v[1:2], v[9:10]
	v_mul_f64 v[15:16], v[3:4], v[9:10]
	s_delay_alu instid0(VALU_DEP_2) | instskip(NEXT) | instid1(VALU_DEP_2)
	v_fma_f64 v[9:10], v[3:4], v[7:8], -v[11:12]
	v_fma_f64 v[11:12], v[1:2], v[7:8], v[15:16]
	scratch_store_b128 off, v[9:12], off offset:400
.LBB91_115:
	s_or_b32 exec_lo, exec_lo, s2
	s_waitcnt_vscnt null, 0x0
	s_barrier
	buffer_gl0_inv
	scratch_load_b128 v[1:4], v120, off
	s_mov_b32 s2, exec_lo
	s_waitcnt vmcnt(0)
	ds_store_b128 v5, v[1:4]
	s_waitcnt lgkmcnt(0)
	s_barrier
	buffer_gl0_inv
	v_cmpx_gt_u32_e32 26, v94
	s_cbranch_execz .LBB91_119
; %bb.116:
	v_dual_mov_b32 v1, 0 :: v_dual_add_nc_u32 v8, 0x1c0, v13
	v_dual_mov_b32 v2, 0 :: v_dual_add_nc_u32 v7, -1, v94
	v_or_b32_e32 v9, 8, v14
	s_mov_b32 s3, 0
	s_delay_alu instid0(VALU_DEP_2)
	v_dual_mov_b32 v4, v2 :: v_dual_mov_b32 v3, v1
	.p2align	6
.LBB91_117:                             ; =>This Inner Loop Header: Depth=1
	scratch_load_b128 v[10:13], v9, off offset:-8
	ds_load_b128 v[15:18], v8
	v_add_nc_u32_e32 v7, 1, v7
	v_add_nc_u32_e32 v8, 16, v8
	v_add_nc_u32_e32 v9, 16, v9
	s_delay_alu instid0(VALU_DEP_3) | instskip(SKIP_4) | instid1(VALU_DEP_2)
	v_cmp_lt_u32_e32 vcc_lo, 24, v7
	s_or_b32 s3, vcc_lo, s3
	s_waitcnt vmcnt(0) lgkmcnt(0)
	v_mul_f64 v[19:20], v[17:18], v[12:13]
	v_mul_f64 v[12:13], v[15:16], v[12:13]
	v_fma_f64 v[15:16], v[15:16], v[10:11], -v[19:20]
	s_delay_alu instid0(VALU_DEP_2) | instskip(NEXT) | instid1(VALU_DEP_2)
	v_fma_f64 v[10:11], v[17:18], v[10:11], v[12:13]
	v_add_f64 v[3:4], v[3:4], v[15:16]
	s_delay_alu instid0(VALU_DEP_2)
	v_add_f64 v[1:2], v[1:2], v[10:11]
	s_and_not1_b32 exec_lo, exec_lo, s3
	s_cbranch_execnz .LBB91_117
; %bb.118:
	s_or_b32 exec_lo, exec_lo, s3
	v_mov_b32_e32 v7, 0
	ds_load_b128 v[7:10], v7 offset:416
	s_waitcnt lgkmcnt(0)
	v_mul_f64 v[11:12], v[1:2], v[9:10]
	v_mul_f64 v[15:16], v[3:4], v[9:10]
	s_delay_alu instid0(VALU_DEP_2) | instskip(NEXT) | instid1(VALU_DEP_2)
	v_fma_f64 v[9:10], v[3:4], v[7:8], -v[11:12]
	v_fma_f64 v[11:12], v[1:2], v[7:8], v[15:16]
	scratch_store_b128 off, v[9:12], off offset:416
.LBB91_119:
	s_or_b32 exec_lo, exec_lo, s2
	s_waitcnt_vscnt null, 0x0
	s_barrier
	buffer_gl0_inv
	scratch_load_b128 v[1:4], v119, off
	s_mov_b32 s2, exec_lo
	s_waitcnt vmcnt(0)
	ds_store_b128 v5, v[1:4]
	s_waitcnt lgkmcnt(0)
	s_barrier
	buffer_gl0_inv
	v_cmpx_ne_u32_e32 27, v94
	s_cbranch_execz .LBB91_123
; %bb.120:
	v_mov_b32_e32 v1, 0
	v_mov_b32_e32 v2, 0
	v_or_b32_e32 v7, 8, v14
	s_mov_b32 s3, 0
	s_delay_alu instid0(VALU_DEP_2)
	v_dual_mov_b32 v4, v2 :: v_dual_mov_b32 v3, v1
	.p2align	6
.LBB91_121:                             ; =>This Inner Loop Header: Depth=1
	scratch_load_b128 v[8:11], v7, off offset:-8
	ds_load_b128 v[12:15], v5
	v_add_nc_u32_e32 v6, 1, v6
	v_add_nc_u32_e32 v5, 16, v5
	;; [unrolled: 1-line block ×3, first 2 shown]
	s_delay_alu instid0(VALU_DEP_3) | instskip(SKIP_4) | instid1(VALU_DEP_2)
	v_cmp_lt_u32_e32 vcc_lo, 25, v6
	s_or_b32 s3, vcc_lo, s3
	s_waitcnt vmcnt(0) lgkmcnt(0)
	v_mul_f64 v[16:17], v[14:15], v[10:11]
	v_mul_f64 v[10:11], v[12:13], v[10:11]
	v_fma_f64 v[12:13], v[12:13], v[8:9], -v[16:17]
	s_delay_alu instid0(VALU_DEP_2) | instskip(NEXT) | instid1(VALU_DEP_2)
	v_fma_f64 v[8:9], v[14:15], v[8:9], v[10:11]
	v_add_f64 v[3:4], v[3:4], v[12:13]
	s_delay_alu instid0(VALU_DEP_2)
	v_add_f64 v[1:2], v[1:2], v[8:9]
	s_and_not1_b32 exec_lo, exec_lo, s3
	s_cbranch_execnz .LBB91_121
; %bb.122:
	s_or_b32 exec_lo, exec_lo, s3
	v_mov_b32_e32 v5, 0
	ds_load_b128 v[5:8], v5 offset:432
	s_waitcnt lgkmcnt(0)
	v_mul_f64 v[9:10], v[1:2], v[7:8]
	v_mul_f64 v[7:8], v[3:4], v[7:8]
	s_delay_alu instid0(VALU_DEP_2) | instskip(NEXT) | instid1(VALU_DEP_2)
	v_fma_f64 v[3:4], v[3:4], v[5:6], -v[9:10]
	v_fma_f64 v[5:6], v[1:2], v[5:6], v[7:8]
	scratch_store_b128 off, v[3:6], off offset:432
.LBB91_123:
	s_or_b32 exec_lo, exec_lo, s2
	s_mov_b32 s3, -1
	s_waitcnt_vscnt null, 0x0
	s_barrier
	buffer_gl0_inv
.LBB91_124:
	s_and_b32 vcc_lo, exec_lo, s3
	s_cbranch_vccz .LBB91_126
; %bb.125:
	s_lshl_b64 s[2:3], s[10:11], 2
	v_mov_b32_e32 v1, 0
	s_add_u32 s2, s6, s2
	s_addc_u32 s3, s7, s3
	global_load_b32 v1, v1, s[2:3]
	s_waitcnt vmcnt(0)
	v_cmp_ne_u32_e32 vcc_lo, 0, v1
	s_cbranch_vccz .LBB91_127
.LBB91_126:
	s_endpgm
.LBB91_127:
	v_lshl_add_u32 v122, v94, 4, 0x1c0
	s_mov_b32 s2, exec_lo
	v_cmpx_eq_u32_e32 27, v94
	s_cbranch_execz .LBB91_129
; %bb.128:
	scratch_load_b128 v[1:4], v120, off
	v_mov_b32_e32 v5, 0
	s_delay_alu instid0(VALU_DEP_1)
	v_mov_b32_e32 v6, v5
	v_mov_b32_e32 v7, v5
	;; [unrolled: 1-line block ×3, first 2 shown]
	scratch_store_b128 off, v[5:8], off offset:416
	s_waitcnt vmcnt(0)
	ds_store_b128 v122, v[1:4]
.LBB91_129:
	s_or_b32 exec_lo, exec_lo, s2
	s_waitcnt lgkmcnt(0)
	s_waitcnt_vscnt null, 0x0
	s_barrier
	buffer_gl0_inv
	s_clause 0x1
	scratch_load_b128 v[2:5], off, off offset:432
	scratch_load_b128 v[6:9], off, off offset:416
	v_mov_b32_e32 v1, 0
	s_mov_b32 s2, exec_lo
	ds_load_b128 v[10:13], v1 offset:880
	s_waitcnt vmcnt(1) lgkmcnt(0)
	v_mul_f64 v[14:15], v[12:13], v[4:5]
	v_mul_f64 v[4:5], v[10:11], v[4:5]
	s_delay_alu instid0(VALU_DEP_2) | instskip(NEXT) | instid1(VALU_DEP_2)
	v_fma_f64 v[10:11], v[10:11], v[2:3], -v[14:15]
	v_fma_f64 v[2:3], v[12:13], v[2:3], v[4:5]
	s_delay_alu instid0(VALU_DEP_2) | instskip(NEXT) | instid1(VALU_DEP_2)
	v_add_f64 v[4:5], v[10:11], 0
	v_add_f64 v[10:11], v[2:3], 0
	s_waitcnt vmcnt(0)
	s_delay_alu instid0(VALU_DEP_2) | instskip(NEXT) | instid1(VALU_DEP_2)
	v_add_f64 v[2:3], v[6:7], -v[4:5]
	v_add_f64 v[4:5], v[8:9], -v[10:11]
	scratch_store_b128 off, v[2:5], off offset:416
	v_cmpx_lt_u32_e32 25, v94
	s_cbranch_execz .LBB91_131
; %bb.130:
	scratch_load_b128 v[5:8], v121, off
	v_mov_b32_e32 v2, v1
	v_mov_b32_e32 v3, v1
	;; [unrolled: 1-line block ×3, first 2 shown]
	scratch_store_b128 off, v[1:4], off offset:400
	s_waitcnt vmcnt(0)
	ds_store_b128 v122, v[5:8]
.LBB91_131:
	s_or_b32 exec_lo, exec_lo, s2
	s_waitcnt lgkmcnt(0)
	s_waitcnt_vscnt null, 0x0
	s_barrier
	buffer_gl0_inv
	s_clause 0x2
	scratch_load_b128 v[2:5], off, off offset:416
	scratch_load_b128 v[6:9], off, off offset:432
	;; [unrolled: 1-line block ×3, first 2 shown]
	ds_load_b128 v[14:17], v1 offset:864
	ds_load_b128 v[18:21], v1 offset:880
	s_mov_b32 s2, exec_lo
	s_waitcnt vmcnt(2) lgkmcnt(1)
	v_mul_f64 v[22:23], v[16:17], v[4:5]
	v_mul_f64 v[4:5], v[14:15], v[4:5]
	s_waitcnt vmcnt(1) lgkmcnt(0)
	v_mul_f64 v[24:25], v[18:19], v[8:9]
	v_mul_f64 v[8:9], v[20:21], v[8:9]
	s_delay_alu instid0(VALU_DEP_4) | instskip(NEXT) | instid1(VALU_DEP_4)
	v_fma_f64 v[14:15], v[14:15], v[2:3], -v[22:23]
	v_fma_f64 v[1:2], v[16:17], v[2:3], v[4:5]
	s_delay_alu instid0(VALU_DEP_4) | instskip(NEXT) | instid1(VALU_DEP_4)
	v_fma_f64 v[3:4], v[20:21], v[6:7], v[24:25]
	v_fma_f64 v[5:6], v[18:19], v[6:7], -v[8:9]
	s_delay_alu instid0(VALU_DEP_4) | instskip(NEXT) | instid1(VALU_DEP_4)
	v_add_f64 v[7:8], v[14:15], 0
	v_add_f64 v[1:2], v[1:2], 0
	s_delay_alu instid0(VALU_DEP_2) | instskip(NEXT) | instid1(VALU_DEP_2)
	v_add_f64 v[5:6], v[7:8], v[5:6]
	v_add_f64 v[3:4], v[1:2], v[3:4]
	s_waitcnt vmcnt(0)
	s_delay_alu instid0(VALU_DEP_2) | instskip(NEXT) | instid1(VALU_DEP_2)
	v_add_f64 v[1:2], v[10:11], -v[5:6]
	v_add_f64 v[3:4], v[12:13], -v[3:4]
	scratch_store_b128 off, v[1:4], off offset:400
	v_cmpx_lt_u32_e32 24, v94
	s_cbranch_execz .LBB91_133
; %bb.132:
	scratch_load_b128 v[1:4], v118, off
	v_mov_b32_e32 v5, 0
	s_delay_alu instid0(VALU_DEP_1)
	v_mov_b32_e32 v6, v5
	v_mov_b32_e32 v7, v5
	;; [unrolled: 1-line block ×3, first 2 shown]
	scratch_store_b128 off, v[5:8], off offset:384
	s_waitcnt vmcnt(0)
	ds_store_b128 v122, v[1:4]
.LBB91_133:
	s_or_b32 exec_lo, exec_lo, s2
	s_waitcnt lgkmcnt(0)
	s_waitcnt_vscnt null, 0x0
	s_barrier
	buffer_gl0_inv
	s_clause 0x3
	scratch_load_b128 v[2:5], off, off offset:400
	scratch_load_b128 v[6:9], off, off offset:416
	;; [unrolled: 1-line block ×4, first 2 shown]
	v_mov_b32_e32 v1, 0
	ds_load_b128 v[18:21], v1 offset:848
	ds_load_b128 v[22:25], v1 offset:864
	s_mov_b32 s2, exec_lo
	s_waitcnt vmcnt(3) lgkmcnt(1)
	v_mul_f64 v[26:27], v[20:21], v[4:5]
	v_mul_f64 v[4:5], v[18:19], v[4:5]
	s_waitcnt vmcnt(2) lgkmcnt(0)
	v_mul_f64 v[28:29], v[22:23], v[8:9]
	v_mul_f64 v[8:9], v[24:25], v[8:9]
	s_delay_alu instid0(VALU_DEP_4) | instskip(NEXT) | instid1(VALU_DEP_4)
	v_fma_f64 v[18:19], v[18:19], v[2:3], -v[26:27]
	v_fma_f64 v[20:21], v[20:21], v[2:3], v[4:5]
	ds_load_b128 v[2:5], v1 offset:880
	v_fma_f64 v[24:25], v[24:25], v[6:7], v[28:29]
	v_fma_f64 v[6:7], v[22:23], v[6:7], -v[8:9]
	s_waitcnt vmcnt(1) lgkmcnt(0)
	v_mul_f64 v[26:27], v[2:3], v[12:13]
	v_mul_f64 v[12:13], v[4:5], v[12:13]
	v_add_f64 v[8:9], v[18:19], 0
	v_add_f64 v[18:19], v[20:21], 0
	s_delay_alu instid0(VALU_DEP_4) | instskip(NEXT) | instid1(VALU_DEP_4)
	v_fma_f64 v[4:5], v[4:5], v[10:11], v[26:27]
	v_fma_f64 v[2:3], v[2:3], v[10:11], -v[12:13]
	s_delay_alu instid0(VALU_DEP_4) | instskip(NEXT) | instid1(VALU_DEP_4)
	v_add_f64 v[6:7], v[8:9], v[6:7]
	v_add_f64 v[8:9], v[18:19], v[24:25]
	s_delay_alu instid0(VALU_DEP_2) | instskip(NEXT) | instid1(VALU_DEP_2)
	v_add_f64 v[2:3], v[6:7], v[2:3]
	v_add_f64 v[4:5], v[8:9], v[4:5]
	s_waitcnt vmcnt(0)
	s_delay_alu instid0(VALU_DEP_2) | instskip(NEXT) | instid1(VALU_DEP_2)
	v_add_f64 v[2:3], v[14:15], -v[2:3]
	v_add_f64 v[4:5], v[16:17], -v[4:5]
	scratch_store_b128 off, v[2:5], off offset:384
	v_cmpx_lt_u32_e32 23, v94
	s_cbranch_execz .LBB91_135
; %bb.134:
	scratch_load_b128 v[5:8], v100, off
	v_mov_b32_e32 v2, v1
	v_mov_b32_e32 v3, v1
	;; [unrolled: 1-line block ×3, first 2 shown]
	scratch_store_b128 off, v[1:4], off offset:368
	s_waitcnt vmcnt(0)
	ds_store_b128 v122, v[5:8]
.LBB91_135:
	s_or_b32 exec_lo, exec_lo, s2
	s_waitcnt lgkmcnt(0)
	s_waitcnt_vscnt null, 0x0
	s_barrier
	buffer_gl0_inv
	s_clause 0x4
	scratch_load_b128 v[2:5], off, off offset:384
	scratch_load_b128 v[6:9], off, off offset:400
	;; [unrolled: 1-line block ×5, first 2 shown]
	ds_load_b128 v[22:25], v1 offset:832
	ds_load_b128 v[26:29], v1 offset:848
	s_mov_b32 s2, exec_lo
	s_waitcnt vmcnt(4) lgkmcnt(1)
	v_mul_f64 v[30:31], v[24:25], v[4:5]
	v_mul_f64 v[4:5], v[22:23], v[4:5]
	s_waitcnt vmcnt(3) lgkmcnt(0)
	v_mul_f64 v[32:33], v[26:27], v[8:9]
	v_mul_f64 v[8:9], v[28:29], v[8:9]
	s_delay_alu instid0(VALU_DEP_4) | instskip(NEXT) | instid1(VALU_DEP_4)
	v_fma_f64 v[30:31], v[22:23], v[2:3], -v[30:31]
	v_fma_f64 v[34:35], v[24:25], v[2:3], v[4:5]
	ds_load_b128 v[2:5], v1 offset:864
	ds_load_b128 v[22:25], v1 offset:880
	v_fma_f64 v[28:29], v[28:29], v[6:7], v[32:33]
	v_fma_f64 v[6:7], v[26:27], v[6:7], -v[8:9]
	s_waitcnt vmcnt(2) lgkmcnt(1)
	v_mul_f64 v[36:37], v[2:3], v[12:13]
	v_mul_f64 v[12:13], v[4:5], v[12:13]
	v_add_f64 v[8:9], v[30:31], 0
	v_add_f64 v[26:27], v[34:35], 0
	s_waitcnt vmcnt(1) lgkmcnt(0)
	v_mul_f64 v[30:31], v[22:23], v[16:17]
	v_mul_f64 v[16:17], v[24:25], v[16:17]
	v_fma_f64 v[4:5], v[4:5], v[10:11], v[36:37]
	v_fma_f64 v[1:2], v[2:3], v[10:11], -v[12:13]
	v_add_f64 v[6:7], v[8:9], v[6:7]
	v_add_f64 v[8:9], v[26:27], v[28:29]
	v_fma_f64 v[10:11], v[24:25], v[14:15], v[30:31]
	v_fma_f64 v[12:13], v[22:23], v[14:15], -v[16:17]
	s_delay_alu instid0(VALU_DEP_4) | instskip(NEXT) | instid1(VALU_DEP_4)
	v_add_f64 v[1:2], v[6:7], v[1:2]
	v_add_f64 v[3:4], v[8:9], v[4:5]
	s_delay_alu instid0(VALU_DEP_2) | instskip(NEXT) | instid1(VALU_DEP_2)
	v_add_f64 v[1:2], v[1:2], v[12:13]
	v_add_f64 v[3:4], v[3:4], v[10:11]
	s_waitcnt vmcnt(0)
	s_delay_alu instid0(VALU_DEP_2) | instskip(NEXT) | instid1(VALU_DEP_2)
	v_add_f64 v[1:2], v[18:19], -v[1:2]
	v_add_f64 v[3:4], v[20:21], -v[3:4]
	scratch_store_b128 off, v[1:4], off offset:368
	v_cmpx_lt_u32_e32 22, v94
	s_cbranch_execz .LBB91_137
; %bb.136:
	scratch_load_b128 v[1:4], v99, off
	v_mov_b32_e32 v5, 0
	s_delay_alu instid0(VALU_DEP_1)
	v_mov_b32_e32 v6, v5
	v_mov_b32_e32 v7, v5
	;; [unrolled: 1-line block ×3, first 2 shown]
	scratch_store_b128 off, v[5:8], off offset:352
	s_waitcnt vmcnt(0)
	ds_store_b128 v122, v[1:4]
.LBB91_137:
	s_or_b32 exec_lo, exec_lo, s2
	s_waitcnt lgkmcnt(0)
	s_waitcnt_vscnt null, 0x0
	s_barrier
	buffer_gl0_inv
	s_clause 0x5
	scratch_load_b128 v[2:5], off, off offset:368
	scratch_load_b128 v[6:9], off, off offset:384
	;; [unrolled: 1-line block ×6, first 2 shown]
	v_mov_b32_e32 v1, 0
	ds_load_b128 v[26:29], v1 offset:816
	ds_load_b128 v[30:33], v1 offset:832
	s_mov_b32 s2, exec_lo
	s_waitcnt vmcnt(5) lgkmcnt(1)
	v_mul_f64 v[34:35], v[28:29], v[4:5]
	v_mul_f64 v[4:5], v[26:27], v[4:5]
	s_waitcnt vmcnt(4) lgkmcnt(0)
	v_mul_f64 v[36:37], v[30:31], v[8:9]
	v_mul_f64 v[8:9], v[32:33], v[8:9]
	s_delay_alu instid0(VALU_DEP_4) | instskip(NEXT) | instid1(VALU_DEP_4)
	v_fma_f64 v[34:35], v[26:27], v[2:3], -v[34:35]
	v_fma_f64 v[123:124], v[28:29], v[2:3], v[4:5]
	ds_load_b128 v[2:5], v1 offset:848
	ds_load_b128 v[26:29], v1 offset:864
	v_fma_f64 v[32:33], v[32:33], v[6:7], v[36:37]
	v_fma_f64 v[6:7], v[30:31], v[6:7], -v[8:9]
	s_waitcnt vmcnt(3) lgkmcnt(1)
	v_mul_f64 v[125:126], v[2:3], v[12:13]
	v_mul_f64 v[12:13], v[4:5], v[12:13]
	v_add_f64 v[8:9], v[34:35], 0
	v_add_f64 v[30:31], v[123:124], 0
	s_waitcnt vmcnt(2) lgkmcnt(0)
	v_mul_f64 v[34:35], v[26:27], v[16:17]
	v_mul_f64 v[16:17], v[28:29], v[16:17]
	v_fma_f64 v[36:37], v[4:5], v[10:11], v[125:126]
	v_fma_f64 v[10:11], v[2:3], v[10:11], -v[12:13]
	ds_load_b128 v[2:5], v1 offset:880
	v_add_f64 v[6:7], v[8:9], v[6:7]
	v_add_f64 v[8:9], v[30:31], v[32:33]
	v_fma_f64 v[28:29], v[28:29], v[14:15], v[34:35]
	v_fma_f64 v[14:15], v[26:27], v[14:15], -v[16:17]
	s_waitcnt vmcnt(1) lgkmcnt(0)
	v_mul_f64 v[12:13], v[2:3], v[20:21]
	v_mul_f64 v[20:21], v[4:5], v[20:21]
	v_add_f64 v[6:7], v[6:7], v[10:11]
	v_add_f64 v[8:9], v[8:9], v[36:37]
	s_delay_alu instid0(VALU_DEP_4) | instskip(NEXT) | instid1(VALU_DEP_4)
	v_fma_f64 v[4:5], v[4:5], v[18:19], v[12:13]
	v_fma_f64 v[2:3], v[2:3], v[18:19], -v[20:21]
	s_delay_alu instid0(VALU_DEP_4) | instskip(NEXT) | instid1(VALU_DEP_4)
	v_add_f64 v[6:7], v[6:7], v[14:15]
	v_add_f64 v[8:9], v[8:9], v[28:29]
	s_delay_alu instid0(VALU_DEP_2) | instskip(NEXT) | instid1(VALU_DEP_2)
	v_add_f64 v[2:3], v[6:7], v[2:3]
	v_add_f64 v[4:5], v[8:9], v[4:5]
	s_waitcnt vmcnt(0)
	s_delay_alu instid0(VALU_DEP_2) | instskip(NEXT) | instid1(VALU_DEP_2)
	v_add_f64 v[2:3], v[22:23], -v[2:3]
	v_add_f64 v[4:5], v[24:25], -v[4:5]
	scratch_store_b128 off, v[2:5], off offset:352
	v_cmpx_lt_u32_e32 21, v94
	s_cbranch_execz .LBB91_139
; %bb.138:
	scratch_load_b128 v[5:8], v101, off
	v_mov_b32_e32 v2, v1
	v_mov_b32_e32 v3, v1
	;; [unrolled: 1-line block ×3, first 2 shown]
	scratch_store_b128 off, v[1:4], off offset:336
	s_waitcnt vmcnt(0)
	ds_store_b128 v122, v[5:8]
.LBB91_139:
	s_or_b32 exec_lo, exec_lo, s2
	s_waitcnt lgkmcnt(0)
	s_waitcnt_vscnt null, 0x0
	s_barrier
	buffer_gl0_inv
	s_clause 0x5
	scratch_load_b128 v[2:5], off, off offset:352
	scratch_load_b128 v[6:9], off, off offset:368
	;; [unrolled: 1-line block ×6, first 2 shown]
	ds_load_b128 v[26:29], v1 offset:800
	ds_load_b128 v[34:37], v1 offset:816
	scratch_load_b128 v[30:33], off, off offset:336
	s_mov_b32 s2, exec_lo
	s_waitcnt vmcnt(6) lgkmcnt(1)
	v_mul_f64 v[123:124], v[28:29], v[4:5]
	v_mul_f64 v[4:5], v[26:27], v[4:5]
	s_waitcnt vmcnt(5) lgkmcnt(0)
	v_mul_f64 v[125:126], v[34:35], v[8:9]
	v_mul_f64 v[8:9], v[36:37], v[8:9]
	s_delay_alu instid0(VALU_DEP_4) | instskip(NEXT) | instid1(VALU_DEP_4)
	v_fma_f64 v[123:124], v[26:27], v[2:3], -v[123:124]
	v_fma_f64 v[127:128], v[28:29], v[2:3], v[4:5]
	ds_load_b128 v[2:5], v1 offset:832
	ds_load_b128 v[26:29], v1 offset:848
	v_fma_f64 v[36:37], v[36:37], v[6:7], v[125:126]
	v_fma_f64 v[6:7], v[34:35], v[6:7], -v[8:9]
	s_waitcnt vmcnt(4) lgkmcnt(1)
	v_mul_f64 v[129:130], v[2:3], v[12:13]
	v_mul_f64 v[12:13], v[4:5], v[12:13]
	v_add_f64 v[8:9], v[123:124], 0
	v_add_f64 v[34:35], v[127:128], 0
	s_waitcnt vmcnt(3) lgkmcnt(0)
	v_mul_f64 v[123:124], v[26:27], v[16:17]
	v_mul_f64 v[16:17], v[28:29], v[16:17]
	v_fma_f64 v[125:126], v[4:5], v[10:11], v[129:130]
	v_fma_f64 v[10:11], v[2:3], v[10:11], -v[12:13]
	v_add_f64 v[12:13], v[8:9], v[6:7]
	v_add_f64 v[34:35], v[34:35], v[36:37]
	ds_load_b128 v[2:5], v1 offset:864
	ds_load_b128 v[6:9], v1 offset:880
	v_fma_f64 v[28:29], v[28:29], v[14:15], v[123:124]
	v_fma_f64 v[14:15], v[26:27], v[14:15], -v[16:17]
	s_waitcnt vmcnt(2) lgkmcnt(1)
	v_mul_f64 v[36:37], v[2:3], v[20:21]
	v_mul_f64 v[20:21], v[4:5], v[20:21]
	s_waitcnt vmcnt(1) lgkmcnt(0)
	v_mul_f64 v[16:17], v[6:7], v[24:25]
	v_mul_f64 v[24:25], v[8:9], v[24:25]
	v_add_f64 v[10:11], v[12:13], v[10:11]
	v_add_f64 v[12:13], v[34:35], v[125:126]
	v_fma_f64 v[4:5], v[4:5], v[18:19], v[36:37]
	v_fma_f64 v[1:2], v[2:3], v[18:19], -v[20:21]
	v_fma_f64 v[8:9], v[8:9], v[22:23], v[16:17]
	v_fma_f64 v[6:7], v[6:7], v[22:23], -v[24:25]
	v_add_f64 v[10:11], v[10:11], v[14:15]
	v_add_f64 v[12:13], v[12:13], v[28:29]
	s_delay_alu instid0(VALU_DEP_2) | instskip(NEXT) | instid1(VALU_DEP_2)
	v_add_f64 v[1:2], v[10:11], v[1:2]
	v_add_f64 v[3:4], v[12:13], v[4:5]
	s_delay_alu instid0(VALU_DEP_2) | instskip(NEXT) | instid1(VALU_DEP_2)
	v_add_f64 v[1:2], v[1:2], v[6:7]
	v_add_f64 v[3:4], v[3:4], v[8:9]
	s_waitcnt vmcnt(0)
	s_delay_alu instid0(VALU_DEP_2) | instskip(NEXT) | instid1(VALU_DEP_2)
	v_add_f64 v[1:2], v[30:31], -v[1:2]
	v_add_f64 v[3:4], v[32:33], -v[3:4]
	scratch_store_b128 off, v[1:4], off offset:336
	v_cmpx_lt_u32_e32 20, v94
	s_cbranch_execz .LBB91_141
; %bb.140:
	scratch_load_b128 v[1:4], v102, off
	v_mov_b32_e32 v5, 0
	s_delay_alu instid0(VALU_DEP_1)
	v_mov_b32_e32 v6, v5
	v_mov_b32_e32 v7, v5
	;; [unrolled: 1-line block ×3, first 2 shown]
	scratch_store_b128 off, v[5:8], off offset:320
	s_waitcnt vmcnt(0)
	ds_store_b128 v122, v[1:4]
.LBB91_141:
	s_or_b32 exec_lo, exec_lo, s2
	s_waitcnt lgkmcnt(0)
	s_waitcnt_vscnt null, 0x0
	s_barrier
	buffer_gl0_inv
	s_clause 0x6
	scratch_load_b128 v[2:5], off, off offset:336
	scratch_load_b128 v[6:9], off, off offset:352
	;; [unrolled: 1-line block ×7, first 2 shown]
	v_mov_b32_e32 v1, 0
	scratch_load_b128 v[34:37], off, off offset:320
	s_mov_b32 s2, exec_lo
	ds_load_b128 v[30:33], v1 offset:784
	ds_load_b128 v[123:126], v1 offset:800
	s_waitcnt vmcnt(7) lgkmcnt(1)
	v_mul_f64 v[127:128], v[32:33], v[4:5]
	v_mul_f64 v[4:5], v[30:31], v[4:5]
	s_waitcnt vmcnt(6) lgkmcnt(0)
	v_mul_f64 v[129:130], v[123:124], v[8:9]
	v_mul_f64 v[8:9], v[125:126], v[8:9]
	s_delay_alu instid0(VALU_DEP_4) | instskip(NEXT) | instid1(VALU_DEP_4)
	v_fma_f64 v[127:128], v[30:31], v[2:3], -v[127:128]
	v_fma_f64 v[131:132], v[32:33], v[2:3], v[4:5]
	ds_load_b128 v[2:5], v1 offset:816
	ds_load_b128 v[30:33], v1 offset:832
	v_fma_f64 v[125:126], v[125:126], v[6:7], v[129:130]
	v_fma_f64 v[6:7], v[123:124], v[6:7], -v[8:9]
	s_waitcnt vmcnt(5) lgkmcnt(1)
	v_mul_f64 v[133:134], v[2:3], v[12:13]
	v_mul_f64 v[12:13], v[4:5], v[12:13]
	v_add_f64 v[8:9], v[127:128], 0
	v_add_f64 v[123:124], v[131:132], 0
	s_waitcnt vmcnt(4) lgkmcnt(0)
	v_mul_f64 v[127:128], v[30:31], v[16:17]
	v_mul_f64 v[16:17], v[32:33], v[16:17]
	v_fma_f64 v[129:130], v[4:5], v[10:11], v[133:134]
	v_fma_f64 v[10:11], v[2:3], v[10:11], -v[12:13]
	v_add_f64 v[12:13], v[8:9], v[6:7]
	v_add_f64 v[123:124], v[123:124], v[125:126]
	ds_load_b128 v[2:5], v1 offset:848
	ds_load_b128 v[6:9], v1 offset:864
	v_fma_f64 v[32:33], v[32:33], v[14:15], v[127:128]
	v_fma_f64 v[14:15], v[30:31], v[14:15], -v[16:17]
	s_waitcnt vmcnt(3) lgkmcnt(1)
	v_mul_f64 v[125:126], v[2:3], v[20:21]
	v_mul_f64 v[20:21], v[4:5], v[20:21]
	s_waitcnt vmcnt(2) lgkmcnt(0)
	v_mul_f64 v[16:17], v[6:7], v[24:25]
	v_mul_f64 v[24:25], v[8:9], v[24:25]
	v_add_f64 v[10:11], v[12:13], v[10:11]
	v_add_f64 v[12:13], v[123:124], v[129:130]
	v_fma_f64 v[30:31], v[4:5], v[18:19], v[125:126]
	v_fma_f64 v[18:19], v[2:3], v[18:19], -v[20:21]
	ds_load_b128 v[2:5], v1 offset:880
	v_fma_f64 v[8:9], v[8:9], v[22:23], v[16:17]
	v_fma_f64 v[6:7], v[6:7], v[22:23], -v[24:25]
	v_add_f64 v[10:11], v[10:11], v[14:15]
	v_add_f64 v[12:13], v[12:13], v[32:33]
	s_waitcnt vmcnt(1) lgkmcnt(0)
	v_mul_f64 v[14:15], v[2:3], v[28:29]
	v_mul_f64 v[20:21], v[4:5], v[28:29]
	s_delay_alu instid0(VALU_DEP_4) | instskip(NEXT) | instid1(VALU_DEP_4)
	v_add_f64 v[10:11], v[10:11], v[18:19]
	v_add_f64 v[12:13], v[12:13], v[30:31]
	s_delay_alu instid0(VALU_DEP_4) | instskip(NEXT) | instid1(VALU_DEP_4)
	v_fma_f64 v[4:5], v[4:5], v[26:27], v[14:15]
	v_fma_f64 v[2:3], v[2:3], v[26:27], -v[20:21]
	s_delay_alu instid0(VALU_DEP_4) | instskip(NEXT) | instid1(VALU_DEP_4)
	v_add_f64 v[6:7], v[10:11], v[6:7]
	v_add_f64 v[8:9], v[12:13], v[8:9]
	s_delay_alu instid0(VALU_DEP_2) | instskip(NEXT) | instid1(VALU_DEP_2)
	v_add_f64 v[2:3], v[6:7], v[2:3]
	v_add_f64 v[4:5], v[8:9], v[4:5]
	s_waitcnt vmcnt(0)
	s_delay_alu instid0(VALU_DEP_2) | instskip(NEXT) | instid1(VALU_DEP_2)
	v_add_f64 v[2:3], v[34:35], -v[2:3]
	v_add_f64 v[4:5], v[36:37], -v[4:5]
	scratch_store_b128 off, v[2:5], off offset:320
	v_cmpx_lt_u32_e32 19, v94
	s_cbranch_execz .LBB91_143
; %bb.142:
	scratch_load_b128 v[5:8], v104, off
	v_mov_b32_e32 v2, v1
	v_mov_b32_e32 v3, v1
	;; [unrolled: 1-line block ×3, first 2 shown]
	scratch_store_b128 off, v[1:4], off offset:304
	s_waitcnt vmcnt(0)
	ds_store_b128 v122, v[5:8]
.LBB91_143:
	s_or_b32 exec_lo, exec_lo, s2
	s_waitcnt lgkmcnt(0)
	s_waitcnt_vscnt null, 0x0
	s_barrier
	buffer_gl0_inv
	s_clause 0x7
	scratch_load_b128 v[2:5], off, off offset:320
	scratch_load_b128 v[6:9], off, off offset:336
	;; [unrolled: 1-line block ×8, first 2 shown]
	ds_load_b128 v[34:37], v1 offset:768
	ds_load_b128 v[123:126], v1 offset:784
	scratch_load_b128 v[127:130], off, off offset:304
	s_mov_b32 s2, exec_lo
	s_waitcnt vmcnt(8) lgkmcnt(1)
	v_mul_f64 v[131:132], v[36:37], v[4:5]
	v_mul_f64 v[4:5], v[34:35], v[4:5]
	s_waitcnt vmcnt(7) lgkmcnt(0)
	v_mul_f64 v[133:134], v[123:124], v[8:9]
	v_mul_f64 v[8:9], v[125:126], v[8:9]
	s_delay_alu instid0(VALU_DEP_4) | instskip(NEXT) | instid1(VALU_DEP_4)
	v_fma_f64 v[131:132], v[34:35], v[2:3], -v[131:132]
	v_fma_f64 v[135:136], v[36:37], v[2:3], v[4:5]
	ds_load_b128 v[2:5], v1 offset:800
	ds_load_b128 v[34:37], v1 offset:816
	v_fma_f64 v[125:126], v[125:126], v[6:7], v[133:134]
	v_fma_f64 v[6:7], v[123:124], v[6:7], -v[8:9]
	s_waitcnt vmcnt(6) lgkmcnt(1)
	v_mul_f64 v[137:138], v[2:3], v[12:13]
	v_mul_f64 v[12:13], v[4:5], v[12:13]
	v_add_f64 v[8:9], v[131:132], 0
	v_add_f64 v[123:124], v[135:136], 0
	s_waitcnt vmcnt(5) lgkmcnt(0)
	v_mul_f64 v[131:132], v[34:35], v[16:17]
	v_mul_f64 v[16:17], v[36:37], v[16:17]
	v_fma_f64 v[133:134], v[4:5], v[10:11], v[137:138]
	v_fma_f64 v[10:11], v[2:3], v[10:11], -v[12:13]
	v_add_f64 v[12:13], v[8:9], v[6:7]
	v_add_f64 v[123:124], v[123:124], v[125:126]
	ds_load_b128 v[2:5], v1 offset:832
	ds_load_b128 v[6:9], v1 offset:848
	v_fma_f64 v[36:37], v[36:37], v[14:15], v[131:132]
	v_fma_f64 v[14:15], v[34:35], v[14:15], -v[16:17]
	s_waitcnt vmcnt(4) lgkmcnt(1)
	v_mul_f64 v[125:126], v[2:3], v[20:21]
	v_mul_f64 v[20:21], v[4:5], v[20:21]
	s_waitcnt vmcnt(3) lgkmcnt(0)
	v_mul_f64 v[16:17], v[6:7], v[24:25]
	v_mul_f64 v[24:25], v[8:9], v[24:25]
	v_add_f64 v[10:11], v[12:13], v[10:11]
	v_add_f64 v[12:13], v[123:124], v[133:134]
	v_fma_f64 v[34:35], v[4:5], v[18:19], v[125:126]
	v_fma_f64 v[18:19], v[2:3], v[18:19], -v[20:21]
	v_fma_f64 v[8:9], v[8:9], v[22:23], v[16:17]
	v_fma_f64 v[6:7], v[6:7], v[22:23], -v[24:25]
	v_add_f64 v[14:15], v[10:11], v[14:15]
	v_add_f64 v[20:21], v[12:13], v[36:37]
	ds_load_b128 v[2:5], v1 offset:864
	ds_load_b128 v[10:13], v1 offset:880
	s_waitcnt vmcnt(2) lgkmcnt(1)
	v_mul_f64 v[36:37], v[2:3], v[28:29]
	v_mul_f64 v[28:29], v[4:5], v[28:29]
	v_add_f64 v[14:15], v[14:15], v[18:19]
	v_add_f64 v[16:17], v[20:21], v[34:35]
	s_waitcnt vmcnt(1) lgkmcnt(0)
	v_mul_f64 v[18:19], v[10:11], v[32:33]
	v_mul_f64 v[20:21], v[12:13], v[32:33]
	v_fma_f64 v[4:5], v[4:5], v[26:27], v[36:37]
	v_fma_f64 v[1:2], v[2:3], v[26:27], -v[28:29]
	v_add_f64 v[6:7], v[14:15], v[6:7]
	v_add_f64 v[8:9], v[16:17], v[8:9]
	v_fma_f64 v[12:13], v[12:13], v[30:31], v[18:19]
	v_fma_f64 v[10:11], v[10:11], v[30:31], -v[20:21]
	s_delay_alu instid0(VALU_DEP_4) | instskip(NEXT) | instid1(VALU_DEP_4)
	v_add_f64 v[1:2], v[6:7], v[1:2]
	v_add_f64 v[3:4], v[8:9], v[4:5]
	s_delay_alu instid0(VALU_DEP_2) | instskip(NEXT) | instid1(VALU_DEP_2)
	v_add_f64 v[1:2], v[1:2], v[10:11]
	v_add_f64 v[3:4], v[3:4], v[12:13]
	s_waitcnt vmcnt(0)
	s_delay_alu instid0(VALU_DEP_2) | instskip(NEXT) | instid1(VALU_DEP_2)
	v_add_f64 v[1:2], v[127:128], -v[1:2]
	v_add_f64 v[3:4], v[129:130], -v[3:4]
	scratch_store_b128 off, v[1:4], off offset:304
	v_cmpx_lt_u32_e32 18, v94
	s_cbranch_execz .LBB91_145
; %bb.144:
	scratch_load_b128 v[1:4], v103, off
	v_mov_b32_e32 v5, 0
	s_delay_alu instid0(VALU_DEP_1)
	v_mov_b32_e32 v6, v5
	v_mov_b32_e32 v7, v5
	;; [unrolled: 1-line block ×3, first 2 shown]
	scratch_store_b128 off, v[5:8], off offset:288
	s_waitcnt vmcnt(0)
	ds_store_b128 v122, v[1:4]
.LBB91_145:
	s_or_b32 exec_lo, exec_lo, s2
	s_waitcnt lgkmcnt(0)
	s_waitcnt_vscnt null, 0x0
	s_barrier
	buffer_gl0_inv
	s_clause 0x7
	scratch_load_b128 v[2:5], off, off offset:304
	scratch_load_b128 v[6:9], off, off offset:320
	;; [unrolled: 1-line block ×8, first 2 shown]
	v_mov_b32_e32 v1, 0
	scratch_load_b128 v[123:126], off, off offset:432
	s_mov_b32 s2, exec_lo
	ds_load_b128 v[34:37], v1 offset:752
	ds_load_b128 v[127:130], v1 offset:768
	s_waitcnt vmcnt(8) lgkmcnt(1)
	v_mul_f64 v[131:132], v[36:37], v[4:5]
	v_mul_f64 v[4:5], v[34:35], v[4:5]
	s_waitcnt vmcnt(7) lgkmcnt(0)
	v_mul_f64 v[133:134], v[127:128], v[8:9]
	v_mul_f64 v[8:9], v[129:130], v[8:9]
	s_delay_alu instid0(VALU_DEP_4) | instskip(NEXT) | instid1(VALU_DEP_4)
	v_fma_f64 v[34:35], v[34:35], v[2:3], -v[131:132]
	v_fma_f64 v[36:37], v[36:37], v[2:3], v[4:5]
	ds_load_b128 v[2:5], v1 offset:784
	v_fma_f64 v[129:130], v[129:130], v[6:7], v[133:134]
	v_fma_f64 v[127:128], v[127:128], v[6:7], -v[8:9]
	ds_load_b128 v[6:9], v1 offset:800
	s_waitcnt vmcnt(6) lgkmcnt(1)
	v_mul_f64 v[131:132], v[2:3], v[12:13]
	v_mul_f64 v[12:13], v[4:5], v[12:13]
	s_waitcnt vmcnt(5) lgkmcnt(0)
	v_mul_f64 v[137:138], v[6:7], v[16:17]
	v_mul_f64 v[16:17], v[8:9], v[16:17]
	v_add_f64 v[133:134], v[34:35], 0
	v_add_f64 v[135:136], v[36:37], 0
	scratch_load_b128 v[34:37], off, off offset:288
	v_fma_f64 v[131:132], v[4:5], v[10:11], v[131:132]
	v_fma_f64 v[10:11], v[2:3], v[10:11], -v[12:13]
	ds_load_b128 v[2:5], v1 offset:816
	v_add_f64 v[12:13], v[133:134], v[127:128]
	v_add_f64 v[127:128], v[135:136], v[129:130]
	v_fma_f64 v[133:134], v[8:9], v[14:15], v[137:138]
	v_fma_f64 v[14:15], v[6:7], v[14:15], -v[16:17]
	ds_load_b128 v[6:9], v1 offset:832
	s_waitcnt vmcnt(5) lgkmcnt(1)
	v_mul_f64 v[129:130], v[2:3], v[20:21]
	v_mul_f64 v[20:21], v[4:5], v[20:21]
	s_waitcnt vmcnt(4) lgkmcnt(0)
	v_mul_f64 v[16:17], v[6:7], v[24:25]
	v_mul_f64 v[24:25], v[8:9], v[24:25]
	v_add_f64 v[10:11], v[12:13], v[10:11]
	v_add_f64 v[12:13], v[127:128], v[131:132]
	v_fma_f64 v[127:128], v[4:5], v[18:19], v[129:130]
	v_fma_f64 v[18:19], v[2:3], v[18:19], -v[20:21]
	ds_load_b128 v[2:5], v1 offset:848
	v_fma_f64 v[16:17], v[8:9], v[22:23], v[16:17]
	v_fma_f64 v[22:23], v[6:7], v[22:23], -v[24:25]
	ds_load_b128 v[6:9], v1 offset:864
	s_waitcnt vmcnt(3) lgkmcnt(1)
	v_mul_f64 v[20:21], v[4:5], v[28:29]
	v_add_f64 v[10:11], v[10:11], v[14:15]
	v_add_f64 v[12:13], v[12:13], v[133:134]
	v_mul_f64 v[14:15], v[2:3], v[28:29]
	s_waitcnt vmcnt(2) lgkmcnt(0)
	v_mul_f64 v[24:25], v[8:9], v[32:33]
	v_fma_f64 v[20:21], v[2:3], v[26:27], -v[20:21]
	v_add_f64 v[10:11], v[10:11], v[18:19]
	v_add_f64 v[12:13], v[12:13], v[127:128]
	v_mul_f64 v[18:19], v[6:7], v[32:33]
	v_fma_f64 v[14:15], v[4:5], v[26:27], v[14:15]
	ds_load_b128 v[2:5], v1 offset:880
	v_fma_f64 v[6:7], v[6:7], v[30:31], -v[24:25]
	v_add_f64 v[10:11], v[10:11], v[22:23]
	v_add_f64 v[12:13], v[12:13], v[16:17]
	s_waitcnt vmcnt(1) lgkmcnt(0)
	v_mul_f64 v[16:17], v[2:3], v[125:126]
	v_mul_f64 v[22:23], v[4:5], v[125:126]
	v_fma_f64 v[8:9], v[8:9], v[30:31], v[18:19]
	v_add_f64 v[10:11], v[10:11], v[20:21]
	v_add_f64 v[12:13], v[12:13], v[14:15]
	v_fma_f64 v[4:5], v[4:5], v[123:124], v[16:17]
	v_fma_f64 v[2:3], v[2:3], v[123:124], -v[22:23]
	s_delay_alu instid0(VALU_DEP_4) | instskip(NEXT) | instid1(VALU_DEP_4)
	v_add_f64 v[6:7], v[10:11], v[6:7]
	v_add_f64 v[8:9], v[12:13], v[8:9]
	s_delay_alu instid0(VALU_DEP_2) | instskip(NEXT) | instid1(VALU_DEP_2)
	v_add_f64 v[2:3], v[6:7], v[2:3]
	v_add_f64 v[4:5], v[8:9], v[4:5]
	s_waitcnt vmcnt(0)
	s_delay_alu instid0(VALU_DEP_2) | instskip(NEXT) | instid1(VALU_DEP_2)
	v_add_f64 v[2:3], v[34:35], -v[2:3]
	v_add_f64 v[4:5], v[36:37], -v[4:5]
	scratch_store_b128 off, v[2:5], off offset:288
	v_cmpx_lt_u32_e32 17, v94
	s_cbranch_execz .LBB91_147
; %bb.146:
	scratch_load_b128 v[5:8], v105, off
	v_mov_b32_e32 v2, v1
	v_mov_b32_e32 v3, v1
	;; [unrolled: 1-line block ×3, first 2 shown]
	scratch_store_b128 off, v[1:4], off offset:272
	s_waitcnt vmcnt(0)
	ds_store_b128 v122, v[5:8]
.LBB91_147:
	s_or_b32 exec_lo, exec_lo, s2
	s_waitcnt lgkmcnt(0)
	s_waitcnt_vscnt null, 0x0
	s_barrier
	buffer_gl0_inv
	s_clause 0x7
	scratch_load_b128 v[2:5], off, off offset:288
	scratch_load_b128 v[6:9], off, off offset:304
	;; [unrolled: 1-line block ×8, first 2 shown]
	ds_load_b128 v[34:37], v1 offset:736
	ds_load_b128 v[127:130], v1 offset:752
	s_clause 0x1
	scratch_load_b128 v[123:126], off, off offset:416
	scratch_load_b128 v[131:134], off, off offset:432
	s_mov_b32 s2, exec_lo
	s_waitcnt vmcnt(9) lgkmcnt(1)
	v_mul_f64 v[135:136], v[36:37], v[4:5]
	v_mul_f64 v[4:5], v[34:35], v[4:5]
	s_waitcnt vmcnt(8) lgkmcnt(0)
	v_mul_f64 v[137:138], v[127:128], v[8:9]
	v_mul_f64 v[8:9], v[129:130], v[8:9]
	s_delay_alu instid0(VALU_DEP_4) | instskip(NEXT) | instid1(VALU_DEP_4)
	v_fma_f64 v[34:35], v[34:35], v[2:3], -v[135:136]
	v_fma_f64 v[36:37], v[36:37], v[2:3], v[4:5]
	ds_load_b128 v[2:5], v1 offset:768
	v_fma_f64 v[129:130], v[129:130], v[6:7], v[137:138]
	v_fma_f64 v[127:128], v[127:128], v[6:7], -v[8:9]
	ds_load_b128 v[6:9], v1 offset:784
	s_waitcnt vmcnt(7) lgkmcnt(1)
	v_mul_f64 v[135:136], v[2:3], v[12:13]
	v_mul_f64 v[12:13], v[4:5], v[12:13]
	s_waitcnt vmcnt(6) lgkmcnt(0)
	v_mul_f64 v[137:138], v[6:7], v[16:17]
	v_mul_f64 v[16:17], v[8:9], v[16:17]
	v_add_f64 v[34:35], v[34:35], 0
	v_add_f64 v[36:37], v[36:37], 0
	v_fma_f64 v[135:136], v[4:5], v[10:11], v[135:136]
	v_fma_f64 v[139:140], v[2:3], v[10:11], -v[12:13]
	ds_load_b128 v[2:5], v1 offset:800
	scratch_load_b128 v[10:13], off, off offset:272
	v_add_f64 v[34:35], v[34:35], v[127:128]
	v_add_f64 v[36:37], v[36:37], v[129:130]
	v_fma_f64 v[129:130], v[8:9], v[14:15], v[137:138]
	v_fma_f64 v[14:15], v[6:7], v[14:15], -v[16:17]
	ds_load_b128 v[6:9], v1 offset:816
	s_waitcnt vmcnt(6) lgkmcnt(1)
	v_mul_f64 v[127:128], v[2:3], v[20:21]
	v_mul_f64 v[20:21], v[4:5], v[20:21]
	v_add_f64 v[16:17], v[34:35], v[139:140]
	v_add_f64 v[34:35], v[36:37], v[135:136]
	s_waitcnt vmcnt(5) lgkmcnt(0)
	v_mul_f64 v[36:37], v[6:7], v[24:25]
	v_mul_f64 v[24:25], v[8:9], v[24:25]
	v_fma_f64 v[127:128], v[4:5], v[18:19], v[127:128]
	v_fma_f64 v[18:19], v[2:3], v[18:19], -v[20:21]
	ds_load_b128 v[2:5], v1 offset:832
	v_add_f64 v[14:15], v[16:17], v[14:15]
	v_add_f64 v[16:17], v[34:35], v[129:130]
	v_fma_f64 v[34:35], v[8:9], v[22:23], v[36:37]
	v_fma_f64 v[22:23], v[6:7], v[22:23], -v[24:25]
	ds_load_b128 v[6:9], v1 offset:848
	s_waitcnt vmcnt(4) lgkmcnt(1)
	v_mul_f64 v[20:21], v[2:3], v[28:29]
	v_mul_f64 v[28:29], v[4:5], v[28:29]
	s_waitcnt vmcnt(3) lgkmcnt(0)
	v_mul_f64 v[24:25], v[8:9], v[32:33]
	v_add_f64 v[14:15], v[14:15], v[18:19]
	v_add_f64 v[16:17], v[16:17], v[127:128]
	v_mul_f64 v[18:19], v[6:7], v[32:33]
	v_fma_f64 v[20:21], v[4:5], v[26:27], v[20:21]
	v_fma_f64 v[26:27], v[2:3], v[26:27], -v[28:29]
	ds_load_b128 v[2:5], v1 offset:864
	v_fma_f64 v[24:25], v[6:7], v[30:31], -v[24:25]
	v_add_f64 v[14:15], v[14:15], v[22:23]
	v_add_f64 v[16:17], v[16:17], v[34:35]
	v_fma_f64 v[18:19], v[8:9], v[30:31], v[18:19]
	ds_load_b128 v[6:9], v1 offset:880
	s_waitcnt vmcnt(2) lgkmcnt(1)
	v_mul_f64 v[22:23], v[2:3], v[125:126]
	v_mul_f64 v[28:29], v[4:5], v[125:126]
	v_add_f64 v[14:15], v[14:15], v[26:27]
	v_add_f64 v[16:17], v[16:17], v[20:21]
	s_waitcnt vmcnt(1) lgkmcnt(0)
	v_mul_f64 v[20:21], v[6:7], v[133:134]
	v_mul_f64 v[26:27], v[8:9], v[133:134]
	v_fma_f64 v[4:5], v[4:5], v[123:124], v[22:23]
	v_fma_f64 v[1:2], v[2:3], v[123:124], -v[28:29]
	v_add_f64 v[14:15], v[14:15], v[24:25]
	v_add_f64 v[16:17], v[16:17], v[18:19]
	v_fma_f64 v[8:9], v[8:9], v[131:132], v[20:21]
	v_fma_f64 v[6:7], v[6:7], v[131:132], -v[26:27]
	s_delay_alu instid0(VALU_DEP_4) | instskip(NEXT) | instid1(VALU_DEP_4)
	v_add_f64 v[1:2], v[14:15], v[1:2]
	v_add_f64 v[3:4], v[16:17], v[4:5]
	s_delay_alu instid0(VALU_DEP_2) | instskip(NEXT) | instid1(VALU_DEP_2)
	v_add_f64 v[1:2], v[1:2], v[6:7]
	v_add_f64 v[3:4], v[3:4], v[8:9]
	s_waitcnt vmcnt(0)
	s_delay_alu instid0(VALU_DEP_2) | instskip(NEXT) | instid1(VALU_DEP_2)
	v_add_f64 v[1:2], v[10:11], -v[1:2]
	v_add_f64 v[3:4], v[12:13], -v[3:4]
	scratch_store_b128 off, v[1:4], off offset:272
	v_cmpx_lt_u32_e32 16, v94
	s_cbranch_execz .LBB91_149
; %bb.148:
	scratch_load_b128 v[1:4], v106, off
	v_mov_b32_e32 v5, 0
	s_delay_alu instid0(VALU_DEP_1)
	v_mov_b32_e32 v6, v5
	v_mov_b32_e32 v7, v5
	;; [unrolled: 1-line block ×3, first 2 shown]
	scratch_store_b128 off, v[5:8], off offset:256
	s_waitcnt vmcnt(0)
	ds_store_b128 v122, v[1:4]
.LBB91_149:
	s_or_b32 exec_lo, exec_lo, s2
	s_waitcnt lgkmcnt(0)
	s_waitcnt_vscnt null, 0x0
	s_barrier
	buffer_gl0_inv
	s_clause 0x7
	scratch_load_b128 v[2:5], off, off offset:272
	scratch_load_b128 v[6:9], off, off offset:288
	scratch_load_b128 v[10:13], off, off offset:304
	scratch_load_b128 v[14:17], off, off offset:320
	scratch_load_b128 v[18:21], off, off offset:336
	scratch_load_b128 v[22:25], off, off offset:352
	scratch_load_b128 v[26:29], off, off offset:368
	scratch_load_b128 v[30:33], off, off offset:384
	v_mov_b32_e32 v1, 0
	s_clause 0x1
	scratch_load_b128 v[123:126], off, off offset:400
	scratch_load_b128 v[131:134], off, off offset:416
	s_mov_b32 s2, exec_lo
	ds_load_b128 v[34:37], v1 offset:720
	ds_load_b128 v[127:130], v1 offset:736
	s_waitcnt vmcnt(9) lgkmcnt(1)
	v_mul_f64 v[135:136], v[36:37], v[4:5]
	v_mul_f64 v[4:5], v[34:35], v[4:5]
	s_waitcnt vmcnt(8) lgkmcnt(0)
	v_mul_f64 v[137:138], v[127:128], v[8:9]
	v_mul_f64 v[8:9], v[129:130], v[8:9]
	s_delay_alu instid0(VALU_DEP_4) | instskip(NEXT) | instid1(VALU_DEP_4)
	v_fma_f64 v[135:136], v[34:35], v[2:3], -v[135:136]
	v_fma_f64 v[139:140], v[36:37], v[2:3], v[4:5]
	ds_load_b128 v[2:5], v1 offset:752
	scratch_load_b128 v[34:37], off, off offset:432
	v_fma_f64 v[129:130], v[129:130], v[6:7], v[137:138]
	v_fma_f64 v[127:128], v[127:128], v[6:7], -v[8:9]
	ds_load_b128 v[6:9], v1 offset:768
	s_waitcnt vmcnt(8) lgkmcnt(1)
	v_mul_f64 v[141:142], v[2:3], v[12:13]
	v_mul_f64 v[12:13], v[4:5], v[12:13]
	v_add_f64 v[135:136], v[135:136], 0
	v_add_f64 v[137:138], v[139:140], 0
	s_waitcnt vmcnt(7) lgkmcnt(0)
	v_mul_f64 v[139:140], v[6:7], v[16:17]
	v_mul_f64 v[16:17], v[8:9], v[16:17]
	v_fma_f64 v[141:142], v[4:5], v[10:11], v[141:142]
	v_fma_f64 v[10:11], v[2:3], v[10:11], -v[12:13]
	ds_load_b128 v[2:5], v1 offset:784
	v_add_f64 v[12:13], v[135:136], v[127:128]
	v_add_f64 v[127:128], v[137:138], v[129:130]
	v_fma_f64 v[135:136], v[8:9], v[14:15], v[139:140]
	v_fma_f64 v[14:15], v[6:7], v[14:15], -v[16:17]
	ds_load_b128 v[6:9], v1 offset:800
	s_waitcnt vmcnt(6) lgkmcnt(1)
	v_mul_f64 v[129:130], v[2:3], v[20:21]
	v_mul_f64 v[20:21], v[4:5], v[20:21]
	s_waitcnt vmcnt(5) lgkmcnt(0)
	v_mul_f64 v[137:138], v[6:7], v[24:25]
	v_mul_f64 v[24:25], v[8:9], v[24:25]
	v_add_f64 v[16:17], v[12:13], v[10:11]
	v_add_f64 v[127:128], v[127:128], v[141:142]
	scratch_load_b128 v[10:13], off, off offset:256
	v_fma_f64 v[129:130], v[4:5], v[18:19], v[129:130]
	v_fma_f64 v[18:19], v[2:3], v[18:19], -v[20:21]
	ds_load_b128 v[2:5], v1 offset:816
	v_add_f64 v[14:15], v[16:17], v[14:15]
	v_add_f64 v[16:17], v[127:128], v[135:136]
	v_fma_f64 v[127:128], v[8:9], v[22:23], v[137:138]
	v_fma_f64 v[22:23], v[6:7], v[22:23], -v[24:25]
	ds_load_b128 v[6:9], v1 offset:832
	s_waitcnt vmcnt(5) lgkmcnt(1)
	v_mul_f64 v[20:21], v[2:3], v[28:29]
	v_mul_f64 v[28:29], v[4:5], v[28:29]
	s_waitcnt vmcnt(4) lgkmcnt(0)
	v_mul_f64 v[24:25], v[8:9], v[32:33]
	v_add_f64 v[14:15], v[14:15], v[18:19]
	v_add_f64 v[16:17], v[16:17], v[129:130]
	v_mul_f64 v[18:19], v[6:7], v[32:33]
	v_fma_f64 v[20:21], v[4:5], v[26:27], v[20:21]
	v_fma_f64 v[26:27], v[2:3], v[26:27], -v[28:29]
	ds_load_b128 v[2:5], v1 offset:848
	v_fma_f64 v[24:25], v[6:7], v[30:31], -v[24:25]
	v_add_f64 v[14:15], v[14:15], v[22:23]
	v_add_f64 v[16:17], v[16:17], v[127:128]
	v_fma_f64 v[18:19], v[8:9], v[30:31], v[18:19]
	ds_load_b128 v[6:9], v1 offset:864
	s_waitcnt vmcnt(3) lgkmcnt(1)
	v_mul_f64 v[22:23], v[2:3], v[125:126]
	v_mul_f64 v[28:29], v[4:5], v[125:126]
	v_add_f64 v[14:15], v[14:15], v[26:27]
	v_add_f64 v[16:17], v[16:17], v[20:21]
	s_waitcnt vmcnt(2) lgkmcnt(0)
	v_mul_f64 v[20:21], v[6:7], v[133:134]
	v_mul_f64 v[26:27], v[8:9], v[133:134]
	v_fma_f64 v[22:23], v[4:5], v[123:124], v[22:23]
	v_fma_f64 v[28:29], v[2:3], v[123:124], -v[28:29]
	ds_load_b128 v[2:5], v1 offset:880
	v_add_f64 v[14:15], v[14:15], v[24:25]
	v_add_f64 v[16:17], v[16:17], v[18:19]
	v_fma_f64 v[8:9], v[8:9], v[131:132], v[20:21]
	v_fma_f64 v[6:7], v[6:7], v[131:132], -v[26:27]
	s_waitcnt vmcnt(1) lgkmcnt(0)
	v_mul_f64 v[18:19], v[2:3], v[36:37]
	v_mul_f64 v[24:25], v[4:5], v[36:37]
	v_add_f64 v[14:15], v[14:15], v[28:29]
	v_add_f64 v[16:17], v[16:17], v[22:23]
	s_delay_alu instid0(VALU_DEP_4) | instskip(NEXT) | instid1(VALU_DEP_4)
	v_fma_f64 v[4:5], v[4:5], v[34:35], v[18:19]
	v_fma_f64 v[2:3], v[2:3], v[34:35], -v[24:25]
	s_delay_alu instid0(VALU_DEP_4) | instskip(NEXT) | instid1(VALU_DEP_4)
	v_add_f64 v[6:7], v[14:15], v[6:7]
	v_add_f64 v[8:9], v[16:17], v[8:9]
	s_delay_alu instid0(VALU_DEP_2) | instskip(NEXT) | instid1(VALU_DEP_2)
	v_add_f64 v[2:3], v[6:7], v[2:3]
	v_add_f64 v[4:5], v[8:9], v[4:5]
	s_waitcnt vmcnt(0)
	s_delay_alu instid0(VALU_DEP_2) | instskip(NEXT) | instid1(VALU_DEP_2)
	v_add_f64 v[2:3], v[10:11], -v[2:3]
	v_add_f64 v[4:5], v[12:13], -v[4:5]
	scratch_store_b128 off, v[2:5], off offset:256
	v_cmpx_lt_u32_e32 15, v94
	s_cbranch_execz .LBB91_151
; %bb.150:
	scratch_load_b128 v[5:8], v108, off
	v_mov_b32_e32 v2, v1
	v_mov_b32_e32 v3, v1
	v_mov_b32_e32 v4, v1
	scratch_store_b128 off, v[1:4], off offset:240
	s_waitcnt vmcnt(0)
	ds_store_b128 v122, v[5:8]
.LBB91_151:
	s_or_b32 exec_lo, exec_lo, s2
	s_waitcnt lgkmcnt(0)
	s_waitcnt_vscnt null, 0x0
	s_barrier
	buffer_gl0_inv
	s_clause 0x8
	scratch_load_b128 v[2:5], off, off offset:256
	scratch_load_b128 v[6:9], off, off offset:272
	;; [unrolled: 1-line block ×9, first 2 shown]
	ds_load_b128 v[123:126], v1 offset:704
	ds_load_b128 v[127:130], v1 offset:720
	s_clause 0x1
	scratch_load_b128 v[131:134], off, off offset:240
	scratch_load_b128 v[135:138], off, off offset:400
	s_mov_b32 s2, exec_lo
	s_waitcnt vmcnt(10) lgkmcnt(1)
	v_mul_f64 v[139:140], v[125:126], v[4:5]
	v_mul_f64 v[4:5], v[123:124], v[4:5]
	s_waitcnt vmcnt(9) lgkmcnt(0)
	v_mul_f64 v[143:144], v[127:128], v[8:9]
	v_mul_f64 v[8:9], v[129:130], v[8:9]
	s_delay_alu instid0(VALU_DEP_4) | instskip(NEXT) | instid1(VALU_DEP_4)
	v_fma_f64 v[145:146], v[123:124], v[2:3], -v[139:140]
	v_fma_f64 v[147:148], v[125:126], v[2:3], v[4:5]
	ds_load_b128 v[2:5], v1 offset:736
	ds_load_b128 v[139:142], v1 offset:752
	scratch_load_b128 v[123:126], off, off offset:416
	v_fma_f64 v[129:130], v[129:130], v[6:7], v[143:144]
	v_fma_f64 v[127:128], v[127:128], v[6:7], -v[8:9]
	scratch_load_b128 v[6:9], off, off offset:432
	s_waitcnt vmcnt(10) lgkmcnt(1)
	v_mul_f64 v[149:150], v[2:3], v[12:13]
	v_mul_f64 v[12:13], v[4:5], v[12:13]
	v_add_f64 v[143:144], v[145:146], 0
	v_add_f64 v[145:146], v[147:148], 0
	s_waitcnt vmcnt(9) lgkmcnt(0)
	v_mul_f64 v[147:148], v[139:140], v[16:17]
	v_mul_f64 v[16:17], v[141:142], v[16:17]
	v_fma_f64 v[149:150], v[4:5], v[10:11], v[149:150]
	v_fma_f64 v[151:152], v[2:3], v[10:11], -v[12:13]
	ds_load_b128 v[2:5], v1 offset:768
	ds_load_b128 v[10:13], v1 offset:784
	v_add_f64 v[127:128], v[143:144], v[127:128]
	v_add_f64 v[129:130], v[145:146], v[129:130]
	v_fma_f64 v[141:142], v[141:142], v[14:15], v[147:148]
	v_fma_f64 v[14:15], v[139:140], v[14:15], -v[16:17]
	s_waitcnt vmcnt(8) lgkmcnt(1)
	v_mul_f64 v[143:144], v[2:3], v[20:21]
	v_mul_f64 v[20:21], v[4:5], v[20:21]
	v_add_f64 v[16:17], v[127:128], v[151:152]
	v_add_f64 v[127:128], v[129:130], v[149:150]
	s_waitcnt vmcnt(7) lgkmcnt(0)
	v_mul_f64 v[129:130], v[10:11], v[24:25]
	v_mul_f64 v[24:25], v[12:13], v[24:25]
	v_fma_f64 v[139:140], v[4:5], v[18:19], v[143:144]
	v_fma_f64 v[18:19], v[2:3], v[18:19], -v[20:21]
	v_add_f64 v[20:21], v[16:17], v[14:15]
	v_add_f64 v[127:128], v[127:128], v[141:142]
	ds_load_b128 v[2:5], v1 offset:800
	ds_load_b128 v[14:17], v1 offset:816
	v_fma_f64 v[12:13], v[12:13], v[22:23], v[129:130]
	v_fma_f64 v[10:11], v[10:11], v[22:23], -v[24:25]
	s_waitcnt vmcnt(6) lgkmcnt(1)
	v_mul_f64 v[141:142], v[2:3], v[28:29]
	v_mul_f64 v[28:29], v[4:5], v[28:29]
	s_waitcnt vmcnt(5) lgkmcnt(0)
	v_mul_f64 v[22:23], v[14:15], v[32:33]
	v_mul_f64 v[24:25], v[16:17], v[32:33]
	v_add_f64 v[18:19], v[20:21], v[18:19]
	v_add_f64 v[20:21], v[127:128], v[139:140]
	v_fma_f64 v[32:33], v[4:5], v[26:27], v[141:142]
	v_fma_f64 v[26:27], v[2:3], v[26:27], -v[28:29]
	v_fma_f64 v[16:17], v[16:17], v[30:31], v[22:23]
	v_fma_f64 v[14:15], v[14:15], v[30:31], -v[24:25]
	v_add_f64 v[18:19], v[18:19], v[10:11]
	v_add_f64 v[20:21], v[20:21], v[12:13]
	ds_load_b128 v[2:5], v1 offset:832
	ds_load_b128 v[10:13], v1 offset:848
	s_waitcnt vmcnt(4) lgkmcnt(1)
	v_mul_f64 v[28:29], v[2:3], v[36:37]
	v_mul_f64 v[36:37], v[4:5], v[36:37]
	s_waitcnt vmcnt(2) lgkmcnt(0)
	v_mul_f64 v[22:23], v[10:11], v[137:138]
	v_mul_f64 v[24:25], v[12:13], v[137:138]
	v_add_f64 v[18:19], v[18:19], v[26:27]
	v_add_f64 v[20:21], v[20:21], v[32:33]
	v_fma_f64 v[26:27], v[4:5], v[34:35], v[28:29]
	v_fma_f64 v[28:29], v[2:3], v[34:35], -v[36:37]
	v_fma_f64 v[12:13], v[12:13], v[135:136], v[22:23]
	v_fma_f64 v[10:11], v[10:11], v[135:136], -v[24:25]
	v_add_f64 v[18:19], v[18:19], v[14:15]
	v_add_f64 v[20:21], v[20:21], v[16:17]
	ds_load_b128 v[2:5], v1 offset:864
	ds_load_b128 v[14:17], v1 offset:880
	s_waitcnt vmcnt(1) lgkmcnt(1)
	v_mul_f64 v[30:31], v[2:3], v[125:126]
	v_mul_f64 v[32:33], v[4:5], v[125:126]
	s_waitcnt vmcnt(0) lgkmcnt(0)
	v_mul_f64 v[22:23], v[14:15], v[8:9]
	v_mul_f64 v[8:9], v[16:17], v[8:9]
	v_add_f64 v[18:19], v[18:19], v[28:29]
	v_add_f64 v[20:21], v[20:21], v[26:27]
	v_fma_f64 v[4:5], v[4:5], v[123:124], v[30:31]
	v_fma_f64 v[1:2], v[2:3], v[123:124], -v[32:33]
	v_fma_f64 v[16:17], v[16:17], v[6:7], v[22:23]
	v_fma_f64 v[6:7], v[14:15], v[6:7], -v[8:9]
	v_add_f64 v[10:11], v[18:19], v[10:11]
	v_add_f64 v[12:13], v[20:21], v[12:13]
	s_delay_alu instid0(VALU_DEP_2) | instskip(NEXT) | instid1(VALU_DEP_2)
	v_add_f64 v[1:2], v[10:11], v[1:2]
	v_add_f64 v[3:4], v[12:13], v[4:5]
	s_delay_alu instid0(VALU_DEP_2) | instskip(NEXT) | instid1(VALU_DEP_2)
	;; [unrolled: 3-line block ×3, first 2 shown]
	v_add_f64 v[1:2], v[131:132], -v[1:2]
	v_add_f64 v[3:4], v[133:134], -v[3:4]
	scratch_store_b128 off, v[1:4], off offset:240
	v_cmpx_lt_u32_e32 14, v94
	s_cbranch_execz .LBB91_153
; %bb.152:
	scratch_load_b128 v[1:4], v107, off
	v_mov_b32_e32 v5, 0
	s_delay_alu instid0(VALU_DEP_1)
	v_mov_b32_e32 v6, v5
	v_mov_b32_e32 v7, v5
	;; [unrolled: 1-line block ×3, first 2 shown]
	scratch_store_b128 off, v[5:8], off offset:224
	s_waitcnt vmcnt(0)
	ds_store_b128 v122, v[1:4]
.LBB91_153:
	s_or_b32 exec_lo, exec_lo, s2
	s_waitcnt lgkmcnt(0)
	s_waitcnt_vscnt null, 0x0
	s_barrier
	buffer_gl0_inv
	s_clause 0x7
	scratch_load_b128 v[2:5], off, off offset:240
	scratch_load_b128 v[6:9], off, off offset:256
	;; [unrolled: 1-line block ×8, first 2 shown]
	v_mov_b32_e32 v1, 0
	s_mov_b32 s2, exec_lo
	ds_load_b128 v[34:37], v1 offset:688
	s_clause 0x1
	scratch_load_b128 v[123:126], off, off offset:368
	scratch_load_b128 v[127:130], off, off offset:224
	ds_load_b128 v[131:134], v1 offset:704
	scratch_load_b128 v[135:138], off, off offset:384
	s_waitcnt vmcnt(10) lgkmcnt(1)
	v_mul_f64 v[139:140], v[36:37], v[4:5]
	v_mul_f64 v[4:5], v[34:35], v[4:5]
	s_delay_alu instid0(VALU_DEP_2) | instskip(NEXT) | instid1(VALU_DEP_2)
	v_fma_f64 v[145:146], v[34:35], v[2:3], -v[139:140]
	v_fma_f64 v[147:148], v[36:37], v[2:3], v[4:5]
	scratch_load_b128 v[34:37], off, off offset:400
	ds_load_b128 v[2:5], v1 offset:720
	s_waitcnt vmcnt(10) lgkmcnt(1)
	v_mul_f64 v[143:144], v[131:132], v[8:9]
	v_mul_f64 v[8:9], v[133:134], v[8:9]
	ds_load_b128 v[139:142], v1 offset:736
	s_waitcnt vmcnt(9) lgkmcnt(1)
	v_mul_f64 v[149:150], v[2:3], v[12:13]
	v_mul_f64 v[12:13], v[4:5], v[12:13]
	v_fma_f64 v[133:134], v[133:134], v[6:7], v[143:144]
	v_fma_f64 v[131:132], v[131:132], v[6:7], -v[8:9]
	v_add_f64 v[143:144], v[145:146], 0
	v_add_f64 v[145:146], v[147:148], 0
	scratch_load_b128 v[6:9], off, off offset:416
	v_fma_f64 v[149:150], v[4:5], v[10:11], v[149:150]
	v_fma_f64 v[151:152], v[2:3], v[10:11], -v[12:13]
	scratch_load_b128 v[10:13], off, off offset:432
	ds_load_b128 v[2:5], v1 offset:752
	s_waitcnt vmcnt(10) lgkmcnt(1)
	v_mul_f64 v[147:148], v[139:140], v[16:17]
	v_mul_f64 v[16:17], v[141:142], v[16:17]
	v_add_f64 v[143:144], v[143:144], v[131:132]
	v_add_f64 v[145:146], v[145:146], v[133:134]
	s_waitcnt vmcnt(9) lgkmcnt(0)
	v_mul_f64 v[153:154], v[2:3], v[20:21]
	v_mul_f64 v[20:21], v[4:5], v[20:21]
	ds_load_b128 v[131:134], v1 offset:768
	v_fma_f64 v[141:142], v[141:142], v[14:15], v[147:148]
	v_fma_f64 v[14:15], v[139:140], v[14:15], -v[16:17]
	v_add_f64 v[16:17], v[143:144], v[151:152]
	v_add_f64 v[139:140], v[145:146], v[149:150]
	s_waitcnt vmcnt(8) lgkmcnt(0)
	v_mul_f64 v[143:144], v[131:132], v[24:25]
	v_mul_f64 v[24:25], v[133:134], v[24:25]
	v_fma_f64 v[145:146], v[4:5], v[18:19], v[153:154]
	v_fma_f64 v[18:19], v[2:3], v[18:19], -v[20:21]
	v_add_f64 v[20:21], v[16:17], v[14:15]
	v_add_f64 v[139:140], v[139:140], v[141:142]
	ds_load_b128 v[2:5], v1 offset:784
	ds_load_b128 v[14:17], v1 offset:800
	v_fma_f64 v[133:134], v[133:134], v[22:23], v[143:144]
	v_fma_f64 v[22:23], v[131:132], v[22:23], -v[24:25]
	s_waitcnt vmcnt(7) lgkmcnt(1)
	v_mul_f64 v[141:142], v[2:3], v[28:29]
	v_mul_f64 v[28:29], v[4:5], v[28:29]
	s_waitcnt vmcnt(6) lgkmcnt(0)
	v_mul_f64 v[24:25], v[14:15], v[32:33]
	v_mul_f64 v[32:33], v[16:17], v[32:33]
	v_add_f64 v[18:19], v[20:21], v[18:19]
	v_add_f64 v[20:21], v[139:140], v[145:146]
	v_fma_f64 v[131:132], v[4:5], v[26:27], v[141:142]
	v_fma_f64 v[26:27], v[2:3], v[26:27], -v[28:29]
	v_fma_f64 v[16:17], v[16:17], v[30:31], v[24:25]
	v_fma_f64 v[14:15], v[14:15], v[30:31], -v[32:33]
	v_add_f64 v[22:23], v[18:19], v[22:23]
	v_add_f64 v[28:29], v[20:21], v[133:134]
	ds_load_b128 v[2:5], v1 offset:816
	ds_load_b128 v[18:21], v1 offset:832
	s_waitcnt vmcnt(5) lgkmcnt(1)
	v_mul_f64 v[133:134], v[2:3], v[125:126]
	v_mul_f64 v[125:126], v[4:5], v[125:126]
	v_add_f64 v[22:23], v[22:23], v[26:27]
	v_add_f64 v[24:25], v[28:29], v[131:132]
	s_waitcnt vmcnt(3) lgkmcnt(0)
	v_mul_f64 v[26:27], v[18:19], v[137:138]
	v_mul_f64 v[28:29], v[20:21], v[137:138]
	v_fma_f64 v[30:31], v[4:5], v[123:124], v[133:134]
	v_fma_f64 v[32:33], v[2:3], v[123:124], -v[125:126]
	v_add_f64 v[22:23], v[22:23], v[14:15]
	v_add_f64 v[24:25], v[24:25], v[16:17]
	ds_load_b128 v[2:5], v1 offset:848
	ds_load_b128 v[14:17], v1 offset:864
	v_fma_f64 v[20:21], v[20:21], v[135:136], v[26:27]
	v_fma_f64 v[18:19], v[18:19], v[135:136], -v[28:29]
	s_waitcnt vmcnt(2) lgkmcnt(1)
	v_mul_f64 v[123:124], v[2:3], v[36:37]
	v_mul_f64 v[36:37], v[4:5], v[36:37]
	v_add_f64 v[22:23], v[22:23], v[32:33]
	v_add_f64 v[24:25], v[24:25], v[30:31]
	s_waitcnt vmcnt(1) lgkmcnt(0)
	v_mul_f64 v[26:27], v[14:15], v[8:9]
	v_mul_f64 v[8:9], v[16:17], v[8:9]
	v_fma_f64 v[28:29], v[4:5], v[34:35], v[123:124]
	v_fma_f64 v[30:31], v[2:3], v[34:35], -v[36:37]
	ds_load_b128 v[2:5], v1 offset:880
	v_add_f64 v[18:19], v[22:23], v[18:19]
	v_add_f64 v[20:21], v[24:25], v[20:21]
	s_waitcnt vmcnt(0) lgkmcnt(0)
	v_mul_f64 v[22:23], v[2:3], v[12:13]
	v_mul_f64 v[12:13], v[4:5], v[12:13]
	v_fma_f64 v[16:17], v[16:17], v[6:7], v[26:27]
	v_fma_f64 v[6:7], v[14:15], v[6:7], -v[8:9]
	v_add_f64 v[8:9], v[18:19], v[30:31]
	v_add_f64 v[14:15], v[20:21], v[28:29]
	v_fma_f64 v[4:5], v[4:5], v[10:11], v[22:23]
	v_fma_f64 v[2:3], v[2:3], v[10:11], -v[12:13]
	s_delay_alu instid0(VALU_DEP_4) | instskip(NEXT) | instid1(VALU_DEP_4)
	v_add_f64 v[6:7], v[8:9], v[6:7]
	v_add_f64 v[8:9], v[14:15], v[16:17]
	s_delay_alu instid0(VALU_DEP_2) | instskip(NEXT) | instid1(VALU_DEP_2)
	v_add_f64 v[2:3], v[6:7], v[2:3]
	v_add_f64 v[4:5], v[8:9], v[4:5]
	s_delay_alu instid0(VALU_DEP_2) | instskip(NEXT) | instid1(VALU_DEP_2)
	v_add_f64 v[2:3], v[127:128], -v[2:3]
	v_add_f64 v[4:5], v[129:130], -v[4:5]
	scratch_store_b128 off, v[2:5], off offset:224
	v_cmpx_lt_u32_e32 13, v94
	s_cbranch_execz .LBB91_155
; %bb.154:
	scratch_load_b128 v[5:8], v109, off
	v_mov_b32_e32 v2, v1
	v_mov_b32_e32 v3, v1
	;; [unrolled: 1-line block ×3, first 2 shown]
	scratch_store_b128 off, v[1:4], off offset:208
	s_waitcnt vmcnt(0)
	ds_store_b128 v122, v[5:8]
.LBB91_155:
	s_or_b32 exec_lo, exec_lo, s2
	s_waitcnt lgkmcnt(0)
	s_waitcnt_vscnt null, 0x0
	s_barrier
	buffer_gl0_inv
	s_clause 0x8
	scratch_load_b128 v[2:5], off, off offset:224
	scratch_load_b128 v[6:9], off, off offset:240
	;; [unrolled: 1-line block ×9, first 2 shown]
	ds_load_b128 v[123:126], v1 offset:672
	ds_load_b128 v[127:130], v1 offset:688
	s_clause 0x1
	scratch_load_b128 v[131:134], off, off offset:208
	scratch_load_b128 v[135:138], off, off offset:368
	s_mov_b32 s2, exec_lo
	s_waitcnt vmcnt(10) lgkmcnt(1)
	v_mul_f64 v[139:140], v[125:126], v[4:5]
	v_mul_f64 v[4:5], v[123:124], v[4:5]
	s_waitcnt vmcnt(9) lgkmcnt(0)
	v_mul_f64 v[143:144], v[127:128], v[8:9]
	v_mul_f64 v[8:9], v[129:130], v[8:9]
	s_delay_alu instid0(VALU_DEP_4) | instskip(NEXT) | instid1(VALU_DEP_4)
	v_fma_f64 v[145:146], v[123:124], v[2:3], -v[139:140]
	v_fma_f64 v[147:148], v[125:126], v[2:3], v[4:5]
	ds_load_b128 v[2:5], v1 offset:704
	ds_load_b128 v[139:142], v1 offset:720
	scratch_load_b128 v[123:126], off, off offset:384
	v_fma_f64 v[129:130], v[129:130], v[6:7], v[143:144]
	v_fma_f64 v[127:128], v[127:128], v[6:7], -v[8:9]
	scratch_load_b128 v[6:9], off, off offset:400
	s_waitcnt vmcnt(10) lgkmcnt(1)
	v_mul_f64 v[149:150], v[2:3], v[12:13]
	v_mul_f64 v[12:13], v[4:5], v[12:13]
	v_add_f64 v[143:144], v[145:146], 0
	v_add_f64 v[145:146], v[147:148], 0
	s_waitcnt vmcnt(9) lgkmcnt(0)
	v_mul_f64 v[147:148], v[139:140], v[16:17]
	v_mul_f64 v[16:17], v[141:142], v[16:17]
	v_fma_f64 v[149:150], v[4:5], v[10:11], v[149:150]
	v_fma_f64 v[151:152], v[2:3], v[10:11], -v[12:13]
	ds_load_b128 v[2:5], v1 offset:736
	scratch_load_b128 v[10:13], off, off offset:416
	v_add_f64 v[143:144], v[143:144], v[127:128]
	v_add_f64 v[145:146], v[145:146], v[129:130]
	ds_load_b128 v[127:130], v1 offset:752
	v_fma_f64 v[141:142], v[141:142], v[14:15], v[147:148]
	v_fma_f64 v[139:140], v[139:140], v[14:15], -v[16:17]
	scratch_load_b128 v[14:17], off, off offset:432
	s_waitcnt vmcnt(10) lgkmcnt(1)
	v_mul_f64 v[153:154], v[2:3], v[20:21]
	v_mul_f64 v[20:21], v[4:5], v[20:21]
	s_waitcnt vmcnt(9) lgkmcnt(0)
	v_mul_f64 v[147:148], v[127:128], v[24:25]
	v_mul_f64 v[24:25], v[129:130], v[24:25]
	v_add_f64 v[143:144], v[143:144], v[151:152]
	v_add_f64 v[145:146], v[145:146], v[149:150]
	v_fma_f64 v[149:150], v[4:5], v[18:19], v[153:154]
	v_fma_f64 v[151:152], v[2:3], v[18:19], -v[20:21]
	ds_load_b128 v[2:5], v1 offset:768
	ds_load_b128 v[18:21], v1 offset:784
	v_fma_f64 v[129:130], v[129:130], v[22:23], v[147:148]
	v_fma_f64 v[22:23], v[127:128], v[22:23], -v[24:25]
	v_add_f64 v[139:140], v[143:144], v[139:140]
	v_add_f64 v[141:142], v[145:146], v[141:142]
	s_waitcnt vmcnt(8) lgkmcnt(1)
	v_mul_f64 v[143:144], v[2:3], v[28:29]
	v_mul_f64 v[28:29], v[4:5], v[28:29]
	s_delay_alu instid0(VALU_DEP_4) | instskip(NEXT) | instid1(VALU_DEP_4)
	v_add_f64 v[24:25], v[139:140], v[151:152]
	v_add_f64 v[127:128], v[141:142], v[149:150]
	s_waitcnt vmcnt(7) lgkmcnt(0)
	v_mul_f64 v[139:140], v[18:19], v[32:33]
	v_mul_f64 v[32:33], v[20:21], v[32:33]
	v_fma_f64 v[141:142], v[4:5], v[26:27], v[143:144]
	v_fma_f64 v[26:27], v[2:3], v[26:27], -v[28:29]
	v_add_f64 v[28:29], v[24:25], v[22:23]
	v_add_f64 v[127:128], v[127:128], v[129:130]
	ds_load_b128 v[2:5], v1 offset:800
	ds_load_b128 v[22:25], v1 offset:816
	v_fma_f64 v[20:21], v[20:21], v[30:31], v[139:140]
	v_fma_f64 v[18:19], v[18:19], v[30:31], -v[32:33]
	s_waitcnt vmcnt(6) lgkmcnt(1)
	v_mul_f64 v[129:130], v[2:3], v[36:37]
	v_mul_f64 v[36:37], v[4:5], v[36:37]
	s_waitcnt vmcnt(4) lgkmcnt(0)
	v_mul_f64 v[30:31], v[22:23], v[137:138]
	v_mul_f64 v[32:33], v[24:25], v[137:138]
	v_add_f64 v[26:27], v[28:29], v[26:27]
	v_add_f64 v[28:29], v[127:128], v[141:142]
	v_fma_f64 v[127:128], v[4:5], v[34:35], v[129:130]
	v_fma_f64 v[34:35], v[2:3], v[34:35], -v[36:37]
	v_fma_f64 v[24:25], v[24:25], v[135:136], v[30:31]
	v_fma_f64 v[22:23], v[22:23], v[135:136], -v[32:33]
	v_add_f64 v[26:27], v[26:27], v[18:19]
	v_add_f64 v[28:29], v[28:29], v[20:21]
	ds_load_b128 v[2:5], v1 offset:832
	ds_load_b128 v[18:21], v1 offset:848
	s_waitcnt vmcnt(3) lgkmcnt(1)
	v_mul_f64 v[36:37], v[2:3], v[125:126]
	v_mul_f64 v[125:126], v[4:5], v[125:126]
	s_waitcnt vmcnt(2) lgkmcnt(0)
	v_mul_f64 v[30:31], v[18:19], v[8:9]
	v_mul_f64 v[8:9], v[20:21], v[8:9]
	v_add_f64 v[26:27], v[26:27], v[34:35]
	v_add_f64 v[28:29], v[28:29], v[127:128]
	v_fma_f64 v[32:33], v[4:5], v[123:124], v[36:37]
	v_fma_f64 v[34:35], v[2:3], v[123:124], -v[125:126]
	v_fma_f64 v[20:21], v[20:21], v[6:7], v[30:31]
	v_fma_f64 v[6:7], v[18:19], v[6:7], -v[8:9]
	v_add_f64 v[26:27], v[26:27], v[22:23]
	v_add_f64 v[28:29], v[28:29], v[24:25]
	ds_load_b128 v[2:5], v1 offset:864
	ds_load_b128 v[22:25], v1 offset:880
	s_waitcnt vmcnt(1) lgkmcnt(1)
	v_mul_f64 v[36:37], v[2:3], v[12:13]
	v_mul_f64 v[12:13], v[4:5], v[12:13]
	v_add_f64 v[8:9], v[26:27], v[34:35]
	v_add_f64 v[18:19], v[28:29], v[32:33]
	s_waitcnt vmcnt(0) lgkmcnt(0)
	v_mul_f64 v[26:27], v[22:23], v[16:17]
	v_mul_f64 v[16:17], v[24:25], v[16:17]
	v_fma_f64 v[4:5], v[4:5], v[10:11], v[36:37]
	v_fma_f64 v[1:2], v[2:3], v[10:11], -v[12:13]
	v_add_f64 v[6:7], v[8:9], v[6:7]
	v_add_f64 v[8:9], v[18:19], v[20:21]
	v_fma_f64 v[10:11], v[24:25], v[14:15], v[26:27]
	v_fma_f64 v[12:13], v[22:23], v[14:15], -v[16:17]
	s_delay_alu instid0(VALU_DEP_4) | instskip(NEXT) | instid1(VALU_DEP_4)
	v_add_f64 v[1:2], v[6:7], v[1:2]
	v_add_f64 v[3:4], v[8:9], v[4:5]
	s_delay_alu instid0(VALU_DEP_2) | instskip(NEXT) | instid1(VALU_DEP_2)
	v_add_f64 v[1:2], v[1:2], v[12:13]
	v_add_f64 v[3:4], v[3:4], v[10:11]
	s_delay_alu instid0(VALU_DEP_2) | instskip(NEXT) | instid1(VALU_DEP_2)
	v_add_f64 v[1:2], v[131:132], -v[1:2]
	v_add_f64 v[3:4], v[133:134], -v[3:4]
	scratch_store_b128 off, v[1:4], off offset:208
	v_cmpx_lt_u32_e32 12, v94
	s_cbranch_execz .LBB91_157
; %bb.156:
	scratch_load_b128 v[1:4], v110, off
	v_mov_b32_e32 v5, 0
	s_delay_alu instid0(VALU_DEP_1)
	v_mov_b32_e32 v6, v5
	v_mov_b32_e32 v7, v5
	;; [unrolled: 1-line block ×3, first 2 shown]
	scratch_store_b128 off, v[5:8], off offset:192
	s_waitcnt vmcnt(0)
	ds_store_b128 v122, v[1:4]
.LBB91_157:
	s_or_b32 exec_lo, exec_lo, s2
	s_waitcnt lgkmcnt(0)
	s_waitcnt_vscnt null, 0x0
	s_barrier
	buffer_gl0_inv
	s_clause 0x7
	scratch_load_b128 v[2:5], off, off offset:208
	scratch_load_b128 v[6:9], off, off offset:224
	;; [unrolled: 1-line block ×8, first 2 shown]
	v_mov_b32_e32 v1, 0
	s_mov_b32 s2, exec_lo
	ds_load_b128 v[34:37], v1 offset:656
	s_clause 0x1
	scratch_load_b128 v[123:126], off, off offset:336
	scratch_load_b128 v[127:130], off, off offset:192
	ds_load_b128 v[131:134], v1 offset:672
	scratch_load_b128 v[135:138], off, off offset:352
	s_waitcnt vmcnt(10) lgkmcnt(1)
	v_mul_f64 v[139:140], v[36:37], v[4:5]
	v_mul_f64 v[4:5], v[34:35], v[4:5]
	s_delay_alu instid0(VALU_DEP_2) | instskip(NEXT) | instid1(VALU_DEP_2)
	v_fma_f64 v[145:146], v[34:35], v[2:3], -v[139:140]
	v_fma_f64 v[147:148], v[36:37], v[2:3], v[4:5]
	scratch_load_b128 v[34:37], off, off offset:368
	ds_load_b128 v[2:5], v1 offset:688
	s_waitcnt vmcnt(10) lgkmcnt(1)
	v_mul_f64 v[143:144], v[131:132], v[8:9]
	v_mul_f64 v[8:9], v[133:134], v[8:9]
	ds_load_b128 v[139:142], v1 offset:704
	s_waitcnt vmcnt(9) lgkmcnt(1)
	v_mul_f64 v[149:150], v[2:3], v[12:13]
	v_mul_f64 v[12:13], v[4:5], v[12:13]
	v_fma_f64 v[133:134], v[133:134], v[6:7], v[143:144]
	v_fma_f64 v[131:132], v[131:132], v[6:7], -v[8:9]
	v_add_f64 v[143:144], v[145:146], 0
	v_add_f64 v[145:146], v[147:148], 0
	scratch_load_b128 v[6:9], off, off offset:384
	v_fma_f64 v[149:150], v[4:5], v[10:11], v[149:150]
	v_fma_f64 v[151:152], v[2:3], v[10:11], -v[12:13]
	scratch_load_b128 v[10:13], off, off offset:400
	ds_load_b128 v[2:5], v1 offset:720
	s_waitcnt vmcnt(10) lgkmcnt(1)
	v_mul_f64 v[147:148], v[139:140], v[16:17]
	v_mul_f64 v[16:17], v[141:142], v[16:17]
	v_add_f64 v[143:144], v[143:144], v[131:132]
	v_add_f64 v[145:146], v[145:146], v[133:134]
	s_waitcnt vmcnt(9) lgkmcnt(0)
	v_mul_f64 v[153:154], v[2:3], v[20:21]
	v_mul_f64 v[20:21], v[4:5], v[20:21]
	ds_load_b128 v[131:134], v1 offset:736
	v_fma_f64 v[141:142], v[141:142], v[14:15], v[147:148]
	v_fma_f64 v[139:140], v[139:140], v[14:15], -v[16:17]
	scratch_load_b128 v[14:17], off, off offset:416
	v_add_f64 v[143:144], v[143:144], v[151:152]
	v_add_f64 v[145:146], v[145:146], v[149:150]
	v_fma_f64 v[149:150], v[4:5], v[18:19], v[153:154]
	v_fma_f64 v[151:152], v[2:3], v[18:19], -v[20:21]
	scratch_load_b128 v[18:21], off, off offset:432
	ds_load_b128 v[2:5], v1 offset:752
	s_waitcnt vmcnt(10) lgkmcnt(1)
	v_mul_f64 v[147:148], v[131:132], v[24:25]
	v_mul_f64 v[24:25], v[133:134], v[24:25]
	s_waitcnt vmcnt(9) lgkmcnt(0)
	v_mul_f64 v[153:154], v[2:3], v[28:29]
	v_mul_f64 v[28:29], v[4:5], v[28:29]
	v_add_f64 v[143:144], v[143:144], v[139:140]
	v_add_f64 v[145:146], v[145:146], v[141:142]
	ds_load_b128 v[139:142], v1 offset:768
	v_fma_f64 v[133:134], v[133:134], v[22:23], v[147:148]
	v_fma_f64 v[22:23], v[131:132], v[22:23], -v[24:25]
	v_add_f64 v[24:25], v[143:144], v[151:152]
	v_add_f64 v[131:132], v[145:146], v[149:150]
	s_waitcnt vmcnt(8) lgkmcnt(0)
	v_mul_f64 v[143:144], v[139:140], v[32:33]
	v_mul_f64 v[32:33], v[141:142], v[32:33]
	v_fma_f64 v[145:146], v[4:5], v[26:27], v[153:154]
	v_fma_f64 v[26:27], v[2:3], v[26:27], -v[28:29]
	v_add_f64 v[28:29], v[24:25], v[22:23]
	v_add_f64 v[131:132], v[131:132], v[133:134]
	ds_load_b128 v[2:5], v1 offset:784
	ds_load_b128 v[22:25], v1 offset:800
	v_fma_f64 v[141:142], v[141:142], v[30:31], v[143:144]
	v_fma_f64 v[30:31], v[139:140], v[30:31], -v[32:33]
	s_waitcnt vmcnt(7) lgkmcnt(1)
	v_mul_f64 v[133:134], v[2:3], v[125:126]
	v_mul_f64 v[125:126], v[4:5], v[125:126]
	s_waitcnt vmcnt(5) lgkmcnt(0)
	v_mul_f64 v[32:33], v[22:23], v[137:138]
	v_add_f64 v[26:27], v[28:29], v[26:27]
	v_add_f64 v[28:29], v[131:132], v[145:146]
	v_mul_f64 v[131:132], v[24:25], v[137:138]
	v_fma_f64 v[133:134], v[4:5], v[123:124], v[133:134]
	v_fma_f64 v[123:124], v[2:3], v[123:124], -v[125:126]
	v_fma_f64 v[24:25], v[24:25], v[135:136], v[32:33]
	v_add_f64 v[30:31], v[26:27], v[30:31]
	v_add_f64 v[125:126], v[28:29], v[141:142]
	ds_load_b128 v[2:5], v1 offset:816
	ds_load_b128 v[26:29], v1 offset:832
	v_fma_f64 v[22:23], v[22:23], v[135:136], -v[131:132]
	s_waitcnt vmcnt(4) lgkmcnt(1)
	v_mul_f64 v[137:138], v[2:3], v[36:37]
	v_mul_f64 v[36:37], v[4:5], v[36:37]
	v_add_f64 v[30:31], v[30:31], v[123:124]
	v_add_f64 v[32:33], v[125:126], v[133:134]
	s_waitcnt vmcnt(3) lgkmcnt(0)
	v_mul_f64 v[123:124], v[26:27], v[8:9]
	v_mul_f64 v[8:9], v[28:29], v[8:9]
	v_fma_f64 v[125:126], v[4:5], v[34:35], v[137:138]
	v_fma_f64 v[34:35], v[2:3], v[34:35], -v[36:37]
	v_add_f64 v[30:31], v[30:31], v[22:23]
	v_add_f64 v[32:33], v[32:33], v[24:25]
	ds_load_b128 v[2:5], v1 offset:848
	ds_load_b128 v[22:25], v1 offset:864
	v_fma_f64 v[28:29], v[28:29], v[6:7], v[123:124]
	v_fma_f64 v[6:7], v[26:27], v[6:7], -v[8:9]
	s_waitcnt vmcnt(2) lgkmcnt(1)
	v_mul_f64 v[36:37], v[2:3], v[12:13]
	v_mul_f64 v[12:13], v[4:5], v[12:13]
	v_add_f64 v[8:9], v[30:31], v[34:35]
	v_add_f64 v[26:27], v[32:33], v[125:126]
	s_waitcnt vmcnt(1) lgkmcnt(0)
	v_mul_f64 v[30:31], v[22:23], v[16:17]
	v_mul_f64 v[16:17], v[24:25], v[16:17]
	v_fma_f64 v[32:33], v[4:5], v[10:11], v[36:37]
	v_fma_f64 v[10:11], v[2:3], v[10:11], -v[12:13]
	ds_load_b128 v[2:5], v1 offset:880
	v_add_f64 v[6:7], v[8:9], v[6:7]
	v_add_f64 v[8:9], v[26:27], v[28:29]
	v_fma_f64 v[24:25], v[24:25], v[14:15], v[30:31]
	v_fma_f64 v[14:15], v[22:23], v[14:15], -v[16:17]
	s_waitcnt vmcnt(0) lgkmcnt(0)
	v_mul_f64 v[12:13], v[2:3], v[20:21]
	v_mul_f64 v[20:21], v[4:5], v[20:21]
	v_add_f64 v[6:7], v[6:7], v[10:11]
	v_add_f64 v[8:9], v[8:9], v[32:33]
	s_delay_alu instid0(VALU_DEP_4) | instskip(NEXT) | instid1(VALU_DEP_4)
	v_fma_f64 v[4:5], v[4:5], v[18:19], v[12:13]
	v_fma_f64 v[2:3], v[2:3], v[18:19], -v[20:21]
	s_delay_alu instid0(VALU_DEP_4) | instskip(NEXT) | instid1(VALU_DEP_4)
	v_add_f64 v[6:7], v[6:7], v[14:15]
	v_add_f64 v[8:9], v[8:9], v[24:25]
	s_delay_alu instid0(VALU_DEP_2) | instskip(NEXT) | instid1(VALU_DEP_2)
	v_add_f64 v[2:3], v[6:7], v[2:3]
	v_add_f64 v[4:5], v[8:9], v[4:5]
	s_delay_alu instid0(VALU_DEP_2) | instskip(NEXT) | instid1(VALU_DEP_2)
	v_add_f64 v[2:3], v[127:128], -v[2:3]
	v_add_f64 v[4:5], v[129:130], -v[4:5]
	scratch_store_b128 off, v[2:5], off offset:192
	v_cmpx_lt_u32_e32 11, v94
	s_cbranch_execz .LBB91_159
; %bb.158:
	scratch_load_b128 v[5:8], v112, off
	v_mov_b32_e32 v2, v1
	v_mov_b32_e32 v3, v1
	;; [unrolled: 1-line block ×3, first 2 shown]
	scratch_store_b128 off, v[1:4], off offset:176
	s_waitcnt vmcnt(0)
	ds_store_b128 v122, v[5:8]
.LBB91_159:
	s_or_b32 exec_lo, exec_lo, s2
	s_waitcnt lgkmcnt(0)
	s_waitcnt_vscnt null, 0x0
	s_barrier
	buffer_gl0_inv
	s_clause 0x8
	scratch_load_b128 v[2:5], off, off offset:192
	scratch_load_b128 v[6:9], off, off offset:208
	scratch_load_b128 v[10:13], off, off offset:224
	scratch_load_b128 v[14:17], off, off offset:240
	scratch_load_b128 v[18:21], off, off offset:256
	scratch_load_b128 v[22:25], off, off offset:272
	scratch_load_b128 v[26:29], off, off offset:288
	scratch_load_b128 v[30:33], off, off offset:304
	scratch_load_b128 v[34:37], off, off offset:320
	ds_load_b128 v[123:126], v1 offset:640
	ds_load_b128 v[127:130], v1 offset:656
	s_clause 0x1
	scratch_load_b128 v[131:134], off, off offset:176
	scratch_load_b128 v[135:138], off, off offset:336
	s_mov_b32 s2, exec_lo
	s_waitcnt vmcnt(10) lgkmcnt(1)
	v_mul_f64 v[139:140], v[125:126], v[4:5]
	v_mul_f64 v[4:5], v[123:124], v[4:5]
	s_waitcnt vmcnt(9) lgkmcnt(0)
	v_mul_f64 v[143:144], v[127:128], v[8:9]
	v_mul_f64 v[8:9], v[129:130], v[8:9]
	s_delay_alu instid0(VALU_DEP_4) | instskip(NEXT) | instid1(VALU_DEP_4)
	v_fma_f64 v[145:146], v[123:124], v[2:3], -v[139:140]
	v_fma_f64 v[147:148], v[125:126], v[2:3], v[4:5]
	ds_load_b128 v[2:5], v1 offset:672
	ds_load_b128 v[139:142], v1 offset:688
	scratch_load_b128 v[123:126], off, off offset:352
	v_fma_f64 v[129:130], v[129:130], v[6:7], v[143:144]
	v_fma_f64 v[127:128], v[127:128], v[6:7], -v[8:9]
	scratch_load_b128 v[6:9], off, off offset:368
	s_waitcnt vmcnt(10) lgkmcnt(1)
	v_mul_f64 v[149:150], v[2:3], v[12:13]
	v_mul_f64 v[12:13], v[4:5], v[12:13]
	v_add_f64 v[143:144], v[145:146], 0
	v_add_f64 v[145:146], v[147:148], 0
	s_waitcnt vmcnt(9) lgkmcnt(0)
	v_mul_f64 v[147:148], v[139:140], v[16:17]
	v_mul_f64 v[16:17], v[141:142], v[16:17]
	v_fma_f64 v[149:150], v[4:5], v[10:11], v[149:150]
	v_fma_f64 v[151:152], v[2:3], v[10:11], -v[12:13]
	ds_load_b128 v[2:5], v1 offset:704
	scratch_load_b128 v[10:13], off, off offset:384
	v_add_f64 v[143:144], v[143:144], v[127:128]
	v_add_f64 v[145:146], v[145:146], v[129:130]
	ds_load_b128 v[127:130], v1 offset:720
	v_fma_f64 v[141:142], v[141:142], v[14:15], v[147:148]
	v_fma_f64 v[139:140], v[139:140], v[14:15], -v[16:17]
	scratch_load_b128 v[14:17], off, off offset:400
	s_waitcnt vmcnt(10) lgkmcnt(1)
	v_mul_f64 v[153:154], v[2:3], v[20:21]
	v_mul_f64 v[20:21], v[4:5], v[20:21]
	s_waitcnt vmcnt(9) lgkmcnt(0)
	v_mul_f64 v[147:148], v[127:128], v[24:25]
	v_mul_f64 v[24:25], v[129:130], v[24:25]
	v_add_f64 v[143:144], v[143:144], v[151:152]
	v_add_f64 v[145:146], v[145:146], v[149:150]
	v_fma_f64 v[149:150], v[4:5], v[18:19], v[153:154]
	v_fma_f64 v[151:152], v[2:3], v[18:19], -v[20:21]
	ds_load_b128 v[2:5], v1 offset:736
	scratch_load_b128 v[18:21], off, off offset:416
	v_fma_f64 v[129:130], v[129:130], v[22:23], v[147:148]
	v_fma_f64 v[127:128], v[127:128], v[22:23], -v[24:25]
	scratch_load_b128 v[22:25], off, off offset:432
	v_add_f64 v[143:144], v[143:144], v[139:140]
	v_add_f64 v[145:146], v[145:146], v[141:142]
	ds_load_b128 v[139:142], v1 offset:752
	s_waitcnt vmcnt(10) lgkmcnt(1)
	v_mul_f64 v[153:154], v[2:3], v[28:29]
	v_mul_f64 v[28:29], v[4:5], v[28:29]
	s_waitcnt vmcnt(9) lgkmcnt(0)
	v_mul_f64 v[147:148], v[139:140], v[32:33]
	v_mul_f64 v[32:33], v[141:142], v[32:33]
	v_add_f64 v[143:144], v[143:144], v[151:152]
	v_add_f64 v[145:146], v[145:146], v[149:150]
	v_fma_f64 v[149:150], v[4:5], v[26:27], v[153:154]
	v_fma_f64 v[151:152], v[2:3], v[26:27], -v[28:29]
	ds_load_b128 v[2:5], v1 offset:768
	ds_load_b128 v[26:29], v1 offset:784
	v_fma_f64 v[141:142], v[141:142], v[30:31], v[147:148]
	v_fma_f64 v[30:31], v[139:140], v[30:31], -v[32:33]
	v_add_f64 v[127:128], v[143:144], v[127:128]
	v_add_f64 v[129:130], v[145:146], v[129:130]
	s_waitcnt vmcnt(8) lgkmcnt(1)
	v_mul_f64 v[143:144], v[2:3], v[36:37]
	v_mul_f64 v[36:37], v[4:5], v[36:37]
	s_delay_alu instid0(VALU_DEP_4) | instskip(NEXT) | instid1(VALU_DEP_4)
	v_add_f64 v[32:33], v[127:128], v[151:152]
	v_add_f64 v[127:128], v[129:130], v[149:150]
	s_waitcnt vmcnt(6) lgkmcnt(0)
	v_mul_f64 v[129:130], v[26:27], v[137:138]
	v_mul_f64 v[137:138], v[28:29], v[137:138]
	v_fma_f64 v[139:140], v[4:5], v[34:35], v[143:144]
	v_fma_f64 v[34:35], v[2:3], v[34:35], -v[36:37]
	v_add_f64 v[36:37], v[32:33], v[30:31]
	v_add_f64 v[127:128], v[127:128], v[141:142]
	ds_load_b128 v[2:5], v1 offset:800
	ds_load_b128 v[30:33], v1 offset:816
	v_fma_f64 v[28:29], v[28:29], v[135:136], v[129:130]
	v_fma_f64 v[26:27], v[26:27], v[135:136], -v[137:138]
	s_waitcnt vmcnt(5) lgkmcnt(1)
	v_mul_f64 v[141:142], v[2:3], v[125:126]
	v_mul_f64 v[125:126], v[4:5], v[125:126]
	v_add_f64 v[34:35], v[36:37], v[34:35]
	v_add_f64 v[36:37], v[127:128], v[139:140]
	s_waitcnt vmcnt(4) lgkmcnt(0)
	v_mul_f64 v[127:128], v[30:31], v[8:9]
	v_mul_f64 v[8:9], v[32:33], v[8:9]
	v_fma_f64 v[129:130], v[4:5], v[123:124], v[141:142]
	v_fma_f64 v[123:124], v[2:3], v[123:124], -v[125:126]
	v_add_f64 v[34:35], v[34:35], v[26:27]
	v_add_f64 v[36:37], v[36:37], v[28:29]
	ds_load_b128 v[2:5], v1 offset:832
	ds_load_b128 v[26:29], v1 offset:848
	v_fma_f64 v[32:33], v[32:33], v[6:7], v[127:128]
	v_fma_f64 v[6:7], v[30:31], v[6:7], -v[8:9]
	s_waitcnt vmcnt(3) lgkmcnt(1)
	v_mul_f64 v[125:126], v[2:3], v[12:13]
	v_mul_f64 v[12:13], v[4:5], v[12:13]
	;; [unrolled: 16-line block ×3, first 2 shown]
	s_waitcnt vmcnt(0) lgkmcnt(0)
	v_mul_f64 v[16:17], v[6:7], v[24:25]
	v_mul_f64 v[24:25], v[8:9], v[24:25]
	v_add_f64 v[10:11], v[12:13], v[10:11]
	v_add_f64 v[12:13], v[30:31], v[36:37]
	v_fma_f64 v[4:5], v[4:5], v[18:19], v[32:33]
	v_fma_f64 v[1:2], v[2:3], v[18:19], -v[20:21]
	v_fma_f64 v[8:9], v[8:9], v[22:23], v[16:17]
	v_fma_f64 v[6:7], v[6:7], v[22:23], -v[24:25]
	v_add_f64 v[10:11], v[10:11], v[14:15]
	v_add_f64 v[12:13], v[12:13], v[28:29]
	s_delay_alu instid0(VALU_DEP_2) | instskip(NEXT) | instid1(VALU_DEP_2)
	v_add_f64 v[1:2], v[10:11], v[1:2]
	v_add_f64 v[3:4], v[12:13], v[4:5]
	s_delay_alu instid0(VALU_DEP_2) | instskip(NEXT) | instid1(VALU_DEP_2)
	;; [unrolled: 3-line block ×3, first 2 shown]
	v_add_f64 v[1:2], v[131:132], -v[1:2]
	v_add_f64 v[3:4], v[133:134], -v[3:4]
	scratch_store_b128 off, v[1:4], off offset:176
	v_cmpx_lt_u32_e32 10, v94
	s_cbranch_execz .LBB91_161
; %bb.160:
	scratch_load_b128 v[1:4], v111, off
	v_mov_b32_e32 v5, 0
	s_delay_alu instid0(VALU_DEP_1)
	v_mov_b32_e32 v6, v5
	v_mov_b32_e32 v7, v5
	;; [unrolled: 1-line block ×3, first 2 shown]
	scratch_store_b128 off, v[5:8], off offset:160
	s_waitcnt vmcnt(0)
	ds_store_b128 v122, v[1:4]
.LBB91_161:
	s_or_b32 exec_lo, exec_lo, s2
	s_waitcnt lgkmcnt(0)
	s_waitcnt_vscnt null, 0x0
	s_barrier
	buffer_gl0_inv
	s_clause 0x7
	scratch_load_b128 v[2:5], off, off offset:176
	scratch_load_b128 v[6:9], off, off offset:192
	;; [unrolled: 1-line block ×8, first 2 shown]
	v_mov_b32_e32 v1, 0
	s_mov_b32 s2, exec_lo
	ds_load_b128 v[34:37], v1 offset:624
	s_clause 0x1
	scratch_load_b128 v[123:126], off, off offset:304
	scratch_load_b128 v[127:130], off, off offset:160
	ds_load_b128 v[131:134], v1 offset:640
	scratch_load_b128 v[135:138], off, off offset:320
	s_waitcnt vmcnt(10) lgkmcnt(1)
	v_mul_f64 v[139:140], v[36:37], v[4:5]
	v_mul_f64 v[4:5], v[34:35], v[4:5]
	s_delay_alu instid0(VALU_DEP_2) | instskip(NEXT) | instid1(VALU_DEP_2)
	v_fma_f64 v[145:146], v[34:35], v[2:3], -v[139:140]
	v_fma_f64 v[147:148], v[36:37], v[2:3], v[4:5]
	scratch_load_b128 v[34:37], off, off offset:336
	ds_load_b128 v[2:5], v1 offset:656
	s_waitcnt vmcnt(10) lgkmcnt(1)
	v_mul_f64 v[143:144], v[131:132], v[8:9]
	v_mul_f64 v[8:9], v[133:134], v[8:9]
	ds_load_b128 v[139:142], v1 offset:672
	s_waitcnt vmcnt(9) lgkmcnt(1)
	v_mul_f64 v[149:150], v[2:3], v[12:13]
	v_mul_f64 v[12:13], v[4:5], v[12:13]
	v_fma_f64 v[133:134], v[133:134], v[6:7], v[143:144]
	v_fma_f64 v[131:132], v[131:132], v[6:7], -v[8:9]
	v_add_f64 v[143:144], v[145:146], 0
	v_add_f64 v[145:146], v[147:148], 0
	scratch_load_b128 v[6:9], off, off offset:352
	v_fma_f64 v[149:150], v[4:5], v[10:11], v[149:150]
	v_fma_f64 v[151:152], v[2:3], v[10:11], -v[12:13]
	scratch_load_b128 v[10:13], off, off offset:368
	ds_load_b128 v[2:5], v1 offset:688
	s_waitcnt vmcnt(10) lgkmcnt(1)
	v_mul_f64 v[147:148], v[139:140], v[16:17]
	v_mul_f64 v[16:17], v[141:142], v[16:17]
	v_add_f64 v[143:144], v[143:144], v[131:132]
	v_add_f64 v[145:146], v[145:146], v[133:134]
	s_waitcnt vmcnt(9) lgkmcnt(0)
	v_mul_f64 v[153:154], v[2:3], v[20:21]
	v_mul_f64 v[20:21], v[4:5], v[20:21]
	ds_load_b128 v[131:134], v1 offset:704
	v_fma_f64 v[141:142], v[141:142], v[14:15], v[147:148]
	v_fma_f64 v[139:140], v[139:140], v[14:15], -v[16:17]
	scratch_load_b128 v[14:17], off, off offset:384
	v_add_f64 v[143:144], v[143:144], v[151:152]
	v_add_f64 v[145:146], v[145:146], v[149:150]
	v_fma_f64 v[149:150], v[4:5], v[18:19], v[153:154]
	v_fma_f64 v[151:152], v[2:3], v[18:19], -v[20:21]
	scratch_load_b128 v[18:21], off, off offset:400
	ds_load_b128 v[2:5], v1 offset:720
	s_waitcnt vmcnt(10) lgkmcnt(1)
	v_mul_f64 v[147:148], v[131:132], v[24:25]
	v_mul_f64 v[24:25], v[133:134], v[24:25]
	s_waitcnt vmcnt(9) lgkmcnt(0)
	v_mul_f64 v[153:154], v[2:3], v[28:29]
	v_mul_f64 v[28:29], v[4:5], v[28:29]
	v_add_f64 v[143:144], v[143:144], v[139:140]
	v_add_f64 v[145:146], v[145:146], v[141:142]
	ds_load_b128 v[139:142], v1 offset:736
	v_fma_f64 v[133:134], v[133:134], v[22:23], v[147:148]
	v_fma_f64 v[131:132], v[131:132], v[22:23], -v[24:25]
	scratch_load_b128 v[22:25], off, off offset:416
	v_add_f64 v[143:144], v[143:144], v[151:152]
	v_add_f64 v[145:146], v[145:146], v[149:150]
	v_fma_f64 v[149:150], v[4:5], v[26:27], v[153:154]
	v_fma_f64 v[151:152], v[2:3], v[26:27], -v[28:29]
	scratch_load_b128 v[26:29], off, off offset:432
	ds_load_b128 v[2:5], v1 offset:752
	s_waitcnt vmcnt(10) lgkmcnt(1)
	v_mul_f64 v[147:148], v[139:140], v[32:33]
	v_mul_f64 v[32:33], v[141:142], v[32:33]
	s_waitcnt vmcnt(9) lgkmcnt(0)
	v_mul_f64 v[153:154], v[2:3], v[125:126]
	v_mul_f64 v[125:126], v[4:5], v[125:126]
	v_add_f64 v[143:144], v[143:144], v[131:132]
	v_add_f64 v[145:146], v[145:146], v[133:134]
	ds_load_b128 v[131:134], v1 offset:768
	v_fma_f64 v[141:142], v[141:142], v[30:31], v[147:148]
	v_fma_f64 v[30:31], v[139:140], v[30:31], -v[32:33]
	v_add_f64 v[32:33], v[143:144], v[151:152]
	v_add_f64 v[139:140], v[145:146], v[149:150]
	s_waitcnt vmcnt(7) lgkmcnt(0)
	v_mul_f64 v[143:144], v[131:132], v[137:138]
	v_mul_f64 v[137:138], v[133:134], v[137:138]
	v_fma_f64 v[145:146], v[4:5], v[123:124], v[153:154]
	v_fma_f64 v[123:124], v[2:3], v[123:124], -v[125:126]
	v_add_f64 v[125:126], v[32:33], v[30:31]
	v_add_f64 v[139:140], v[139:140], v[141:142]
	ds_load_b128 v[2:5], v1 offset:784
	ds_load_b128 v[30:33], v1 offset:800
	v_fma_f64 v[133:134], v[133:134], v[135:136], v[143:144]
	v_fma_f64 v[131:132], v[131:132], v[135:136], -v[137:138]
	s_waitcnt vmcnt(6) lgkmcnt(1)
	v_mul_f64 v[141:142], v[2:3], v[36:37]
	v_mul_f64 v[36:37], v[4:5], v[36:37]
	v_add_f64 v[123:124], v[125:126], v[123:124]
	v_add_f64 v[125:126], v[139:140], v[145:146]
	s_waitcnt vmcnt(5) lgkmcnt(0)
	v_mul_f64 v[135:136], v[30:31], v[8:9]
	v_mul_f64 v[8:9], v[32:33], v[8:9]
	v_fma_f64 v[137:138], v[4:5], v[34:35], v[141:142]
	v_fma_f64 v[139:140], v[2:3], v[34:35], -v[36:37]
	ds_load_b128 v[2:5], v1 offset:816
	ds_load_b128 v[34:37], v1 offset:832
	v_add_f64 v[123:124], v[123:124], v[131:132]
	v_add_f64 v[125:126], v[125:126], v[133:134]
	s_waitcnt vmcnt(4) lgkmcnt(1)
	v_mul_f64 v[131:132], v[2:3], v[12:13]
	v_mul_f64 v[12:13], v[4:5], v[12:13]
	v_fma_f64 v[32:33], v[32:33], v[6:7], v[135:136]
	v_fma_f64 v[6:7], v[30:31], v[6:7], -v[8:9]
	v_add_f64 v[8:9], v[123:124], v[139:140]
	v_add_f64 v[30:31], v[125:126], v[137:138]
	s_waitcnt vmcnt(3) lgkmcnt(0)
	v_mul_f64 v[123:124], v[34:35], v[16:17]
	v_mul_f64 v[16:17], v[36:37], v[16:17]
	v_fma_f64 v[125:126], v[4:5], v[10:11], v[131:132]
	v_fma_f64 v[10:11], v[2:3], v[10:11], -v[12:13]
	v_add_f64 v[12:13], v[8:9], v[6:7]
	v_add_f64 v[30:31], v[30:31], v[32:33]
	ds_load_b128 v[2:5], v1 offset:848
	ds_load_b128 v[6:9], v1 offset:864
	v_fma_f64 v[36:37], v[36:37], v[14:15], v[123:124]
	v_fma_f64 v[14:15], v[34:35], v[14:15], -v[16:17]
	s_waitcnt vmcnt(2) lgkmcnt(1)
	v_mul_f64 v[32:33], v[2:3], v[20:21]
	v_mul_f64 v[20:21], v[4:5], v[20:21]
	s_waitcnt vmcnt(1) lgkmcnt(0)
	v_mul_f64 v[16:17], v[6:7], v[24:25]
	v_mul_f64 v[24:25], v[8:9], v[24:25]
	v_add_f64 v[10:11], v[12:13], v[10:11]
	v_add_f64 v[12:13], v[30:31], v[125:126]
	v_fma_f64 v[30:31], v[4:5], v[18:19], v[32:33]
	v_fma_f64 v[18:19], v[2:3], v[18:19], -v[20:21]
	ds_load_b128 v[2:5], v1 offset:880
	v_fma_f64 v[8:9], v[8:9], v[22:23], v[16:17]
	v_fma_f64 v[6:7], v[6:7], v[22:23], -v[24:25]
	v_add_f64 v[10:11], v[10:11], v[14:15]
	v_add_f64 v[12:13], v[12:13], v[36:37]
	s_waitcnt vmcnt(0) lgkmcnt(0)
	v_mul_f64 v[14:15], v[2:3], v[28:29]
	v_mul_f64 v[20:21], v[4:5], v[28:29]
	s_delay_alu instid0(VALU_DEP_4) | instskip(NEXT) | instid1(VALU_DEP_4)
	v_add_f64 v[10:11], v[10:11], v[18:19]
	v_add_f64 v[12:13], v[12:13], v[30:31]
	s_delay_alu instid0(VALU_DEP_4) | instskip(NEXT) | instid1(VALU_DEP_4)
	v_fma_f64 v[4:5], v[4:5], v[26:27], v[14:15]
	v_fma_f64 v[2:3], v[2:3], v[26:27], -v[20:21]
	s_delay_alu instid0(VALU_DEP_4) | instskip(NEXT) | instid1(VALU_DEP_4)
	v_add_f64 v[6:7], v[10:11], v[6:7]
	v_add_f64 v[8:9], v[12:13], v[8:9]
	s_delay_alu instid0(VALU_DEP_2) | instskip(NEXT) | instid1(VALU_DEP_2)
	v_add_f64 v[2:3], v[6:7], v[2:3]
	v_add_f64 v[4:5], v[8:9], v[4:5]
	s_delay_alu instid0(VALU_DEP_2) | instskip(NEXT) | instid1(VALU_DEP_2)
	v_add_f64 v[2:3], v[127:128], -v[2:3]
	v_add_f64 v[4:5], v[129:130], -v[4:5]
	scratch_store_b128 off, v[2:5], off offset:160
	v_cmpx_lt_u32_e32 9, v94
	s_cbranch_execz .LBB91_163
; %bb.162:
	scratch_load_b128 v[5:8], v113, off
	v_mov_b32_e32 v2, v1
	v_mov_b32_e32 v3, v1
	;; [unrolled: 1-line block ×3, first 2 shown]
	scratch_store_b128 off, v[1:4], off offset:144
	s_waitcnt vmcnt(0)
	ds_store_b128 v122, v[5:8]
.LBB91_163:
	s_or_b32 exec_lo, exec_lo, s2
	s_waitcnt lgkmcnt(0)
	s_waitcnt_vscnt null, 0x0
	s_barrier
	buffer_gl0_inv
	s_clause 0x8
	scratch_load_b128 v[2:5], off, off offset:160
	scratch_load_b128 v[6:9], off, off offset:176
	;; [unrolled: 1-line block ×9, first 2 shown]
	ds_load_b128 v[123:126], v1 offset:608
	ds_load_b128 v[127:130], v1 offset:624
	s_clause 0x1
	scratch_load_b128 v[131:134], off, off offset:144
	scratch_load_b128 v[135:138], off, off offset:304
	s_mov_b32 s2, exec_lo
	s_waitcnt vmcnt(10) lgkmcnt(1)
	v_mul_f64 v[139:140], v[125:126], v[4:5]
	v_mul_f64 v[4:5], v[123:124], v[4:5]
	s_waitcnt vmcnt(9) lgkmcnt(0)
	v_mul_f64 v[143:144], v[127:128], v[8:9]
	v_mul_f64 v[8:9], v[129:130], v[8:9]
	s_delay_alu instid0(VALU_DEP_4) | instskip(NEXT) | instid1(VALU_DEP_4)
	v_fma_f64 v[145:146], v[123:124], v[2:3], -v[139:140]
	v_fma_f64 v[147:148], v[125:126], v[2:3], v[4:5]
	ds_load_b128 v[2:5], v1 offset:640
	ds_load_b128 v[139:142], v1 offset:656
	scratch_load_b128 v[123:126], off, off offset:320
	v_fma_f64 v[129:130], v[129:130], v[6:7], v[143:144]
	v_fma_f64 v[127:128], v[127:128], v[6:7], -v[8:9]
	scratch_load_b128 v[6:9], off, off offset:336
	s_waitcnt vmcnt(10) lgkmcnt(1)
	v_mul_f64 v[149:150], v[2:3], v[12:13]
	v_mul_f64 v[12:13], v[4:5], v[12:13]
	v_add_f64 v[143:144], v[145:146], 0
	v_add_f64 v[145:146], v[147:148], 0
	s_waitcnt vmcnt(9) lgkmcnt(0)
	v_mul_f64 v[147:148], v[139:140], v[16:17]
	v_mul_f64 v[16:17], v[141:142], v[16:17]
	v_fma_f64 v[149:150], v[4:5], v[10:11], v[149:150]
	v_fma_f64 v[151:152], v[2:3], v[10:11], -v[12:13]
	ds_load_b128 v[2:5], v1 offset:672
	scratch_load_b128 v[10:13], off, off offset:352
	v_add_f64 v[143:144], v[143:144], v[127:128]
	v_add_f64 v[145:146], v[145:146], v[129:130]
	ds_load_b128 v[127:130], v1 offset:688
	v_fma_f64 v[141:142], v[141:142], v[14:15], v[147:148]
	v_fma_f64 v[139:140], v[139:140], v[14:15], -v[16:17]
	scratch_load_b128 v[14:17], off, off offset:368
	s_waitcnt vmcnt(10) lgkmcnt(1)
	v_mul_f64 v[153:154], v[2:3], v[20:21]
	v_mul_f64 v[20:21], v[4:5], v[20:21]
	s_waitcnt vmcnt(9) lgkmcnt(0)
	v_mul_f64 v[147:148], v[127:128], v[24:25]
	v_mul_f64 v[24:25], v[129:130], v[24:25]
	v_add_f64 v[143:144], v[143:144], v[151:152]
	v_add_f64 v[145:146], v[145:146], v[149:150]
	v_fma_f64 v[149:150], v[4:5], v[18:19], v[153:154]
	v_fma_f64 v[151:152], v[2:3], v[18:19], -v[20:21]
	ds_load_b128 v[2:5], v1 offset:704
	scratch_load_b128 v[18:21], off, off offset:384
	v_fma_f64 v[129:130], v[129:130], v[22:23], v[147:148]
	v_fma_f64 v[127:128], v[127:128], v[22:23], -v[24:25]
	scratch_load_b128 v[22:25], off, off offset:400
	v_add_f64 v[143:144], v[143:144], v[139:140]
	v_add_f64 v[145:146], v[145:146], v[141:142]
	ds_load_b128 v[139:142], v1 offset:720
	s_waitcnt vmcnt(10) lgkmcnt(1)
	v_mul_f64 v[153:154], v[2:3], v[28:29]
	v_mul_f64 v[28:29], v[4:5], v[28:29]
	s_waitcnt vmcnt(9) lgkmcnt(0)
	v_mul_f64 v[147:148], v[139:140], v[32:33]
	v_mul_f64 v[32:33], v[141:142], v[32:33]
	v_add_f64 v[143:144], v[143:144], v[151:152]
	v_add_f64 v[145:146], v[145:146], v[149:150]
	v_fma_f64 v[149:150], v[4:5], v[26:27], v[153:154]
	v_fma_f64 v[151:152], v[2:3], v[26:27], -v[28:29]
	ds_load_b128 v[2:5], v1 offset:736
	scratch_load_b128 v[26:29], off, off offset:416
	v_fma_f64 v[141:142], v[141:142], v[30:31], v[147:148]
	v_fma_f64 v[139:140], v[139:140], v[30:31], -v[32:33]
	scratch_load_b128 v[30:33], off, off offset:432
	v_add_f64 v[143:144], v[143:144], v[127:128]
	v_add_f64 v[145:146], v[145:146], v[129:130]
	ds_load_b128 v[127:130], v1 offset:752
	s_waitcnt vmcnt(10) lgkmcnt(1)
	v_mul_f64 v[153:154], v[2:3], v[36:37]
	v_mul_f64 v[36:37], v[4:5], v[36:37]
	s_waitcnt vmcnt(8) lgkmcnt(0)
	v_mul_f64 v[147:148], v[127:128], v[137:138]
	v_mul_f64 v[137:138], v[129:130], v[137:138]
	v_add_f64 v[143:144], v[143:144], v[151:152]
	v_add_f64 v[145:146], v[145:146], v[149:150]
	v_fma_f64 v[149:150], v[4:5], v[34:35], v[153:154]
	v_fma_f64 v[151:152], v[2:3], v[34:35], -v[36:37]
	ds_load_b128 v[2:5], v1 offset:768
	ds_load_b128 v[34:37], v1 offset:784
	v_fma_f64 v[129:130], v[129:130], v[135:136], v[147:148]
	v_fma_f64 v[127:128], v[127:128], v[135:136], -v[137:138]
	v_add_f64 v[139:140], v[143:144], v[139:140]
	v_add_f64 v[141:142], v[145:146], v[141:142]
	s_waitcnt vmcnt(7) lgkmcnt(1)
	v_mul_f64 v[143:144], v[2:3], v[125:126]
	v_mul_f64 v[125:126], v[4:5], v[125:126]
	s_delay_alu instid0(VALU_DEP_4) | instskip(NEXT) | instid1(VALU_DEP_4)
	v_add_f64 v[135:136], v[139:140], v[151:152]
	v_add_f64 v[137:138], v[141:142], v[149:150]
	s_waitcnt vmcnt(6) lgkmcnt(0)
	v_mul_f64 v[139:140], v[34:35], v[8:9]
	v_mul_f64 v[8:9], v[36:37], v[8:9]
	v_fma_f64 v[141:142], v[4:5], v[123:124], v[143:144]
	v_fma_f64 v[143:144], v[2:3], v[123:124], -v[125:126]
	ds_load_b128 v[2:5], v1 offset:800
	ds_load_b128 v[123:126], v1 offset:816
	v_add_f64 v[127:128], v[135:136], v[127:128]
	v_add_f64 v[129:130], v[137:138], v[129:130]
	v_fma_f64 v[36:37], v[36:37], v[6:7], v[139:140]
	s_waitcnt vmcnt(5) lgkmcnt(1)
	v_mul_f64 v[135:136], v[2:3], v[12:13]
	v_mul_f64 v[12:13], v[4:5], v[12:13]
	v_fma_f64 v[6:7], v[34:35], v[6:7], -v[8:9]
	v_add_f64 v[8:9], v[127:128], v[143:144]
	v_add_f64 v[34:35], v[129:130], v[141:142]
	s_waitcnt vmcnt(4) lgkmcnt(0)
	v_mul_f64 v[127:128], v[123:124], v[16:17]
	v_mul_f64 v[16:17], v[125:126], v[16:17]
	v_fma_f64 v[129:130], v[4:5], v[10:11], v[135:136]
	v_fma_f64 v[10:11], v[2:3], v[10:11], -v[12:13]
	v_add_f64 v[12:13], v[8:9], v[6:7]
	v_add_f64 v[34:35], v[34:35], v[36:37]
	ds_load_b128 v[2:5], v1 offset:832
	ds_load_b128 v[6:9], v1 offset:848
	v_fma_f64 v[125:126], v[125:126], v[14:15], v[127:128]
	v_fma_f64 v[14:15], v[123:124], v[14:15], -v[16:17]
	s_waitcnt vmcnt(3) lgkmcnt(1)
	v_mul_f64 v[36:37], v[2:3], v[20:21]
	v_mul_f64 v[20:21], v[4:5], v[20:21]
	s_waitcnt vmcnt(2) lgkmcnt(0)
	v_mul_f64 v[16:17], v[6:7], v[24:25]
	v_mul_f64 v[24:25], v[8:9], v[24:25]
	v_add_f64 v[10:11], v[12:13], v[10:11]
	v_add_f64 v[12:13], v[34:35], v[129:130]
	v_fma_f64 v[34:35], v[4:5], v[18:19], v[36:37]
	v_fma_f64 v[18:19], v[2:3], v[18:19], -v[20:21]
	v_fma_f64 v[8:9], v[8:9], v[22:23], v[16:17]
	v_fma_f64 v[6:7], v[6:7], v[22:23], -v[24:25]
	v_add_f64 v[14:15], v[10:11], v[14:15]
	v_add_f64 v[20:21], v[12:13], v[125:126]
	ds_load_b128 v[2:5], v1 offset:864
	ds_load_b128 v[10:13], v1 offset:880
	s_waitcnt vmcnt(1) lgkmcnt(1)
	v_mul_f64 v[36:37], v[2:3], v[28:29]
	v_mul_f64 v[28:29], v[4:5], v[28:29]
	v_add_f64 v[14:15], v[14:15], v[18:19]
	v_add_f64 v[16:17], v[20:21], v[34:35]
	s_waitcnt vmcnt(0) lgkmcnt(0)
	v_mul_f64 v[18:19], v[10:11], v[32:33]
	v_mul_f64 v[20:21], v[12:13], v[32:33]
	v_fma_f64 v[4:5], v[4:5], v[26:27], v[36:37]
	v_fma_f64 v[1:2], v[2:3], v[26:27], -v[28:29]
	v_add_f64 v[6:7], v[14:15], v[6:7]
	v_add_f64 v[8:9], v[16:17], v[8:9]
	v_fma_f64 v[12:13], v[12:13], v[30:31], v[18:19]
	v_fma_f64 v[10:11], v[10:11], v[30:31], -v[20:21]
	s_delay_alu instid0(VALU_DEP_4) | instskip(NEXT) | instid1(VALU_DEP_4)
	v_add_f64 v[1:2], v[6:7], v[1:2]
	v_add_f64 v[3:4], v[8:9], v[4:5]
	s_delay_alu instid0(VALU_DEP_2) | instskip(NEXT) | instid1(VALU_DEP_2)
	v_add_f64 v[1:2], v[1:2], v[10:11]
	v_add_f64 v[3:4], v[3:4], v[12:13]
	s_delay_alu instid0(VALU_DEP_2) | instskip(NEXT) | instid1(VALU_DEP_2)
	v_add_f64 v[1:2], v[131:132], -v[1:2]
	v_add_f64 v[3:4], v[133:134], -v[3:4]
	scratch_store_b128 off, v[1:4], off offset:144
	v_cmpx_lt_u32_e32 8, v94
	s_cbranch_execz .LBB91_165
; %bb.164:
	scratch_load_b128 v[1:4], v114, off
	v_mov_b32_e32 v5, 0
	s_delay_alu instid0(VALU_DEP_1)
	v_mov_b32_e32 v6, v5
	v_mov_b32_e32 v7, v5
	;; [unrolled: 1-line block ×3, first 2 shown]
	scratch_store_b128 off, v[5:8], off offset:128
	s_waitcnt vmcnt(0)
	ds_store_b128 v122, v[1:4]
.LBB91_165:
	s_or_b32 exec_lo, exec_lo, s2
	s_waitcnt lgkmcnt(0)
	s_waitcnt_vscnt null, 0x0
	s_barrier
	buffer_gl0_inv
	s_clause 0x7
	scratch_load_b128 v[2:5], off, off offset:144
	scratch_load_b128 v[6:9], off, off offset:160
	;; [unrolled: 1-line block ×8, first 2 shown]
	v_mov_b32_e32 v1, 0
	s_mov_b32 s2, exec_lo
	ds_load_b128 v[34:37], v1 offset:592
	s_clause 0x1
	scratch_load_b128 v[123:126], off, off offset:272
	scratch_load_b128 v[127:130], off, off offset:128
	ds_load_b128 v[131:134], v1 offset:608
	scratch_load_b128 v[135:138], off, off offset:288
	s_waitcnt vmcnt(10) lgkmcnt(1)
	v_mul_f64 v[139:140], v[36:37], v[4:5]
	v_mul_f64 v[4:5], v[34:35], v[4:5]
	s_delay_alu instid0(VALU_DEP_2) | instskip(NEXT) | instid1(VALU_DEP_2)
	v_fma_f64 v[145:146], v[34:35], v[2:3], -v[139:140]
	v_fma_f64 v[147:148], v[36:37], v[2:3], v[4:5]
	scratch_load_b128 v[34:37], off, off offset:304
	ds_load_b128 v[2:5], v1 offset:624
	s_waitcnt vmcnt(10) lgkmcnt(1)
	v_mul_f64 v[143:144], v[131:132], v[8:9]
	v_mul_f64 v[8:9], v[133:134], v[8:9]
	ds_load_b128 v[139:142], v1 offset:640
	s_waitcnt vmcnt(9) lgkmcnt(1)
	v_mul_f64 v[149:150], v[2:3], v[12:13]
	v_mul_f64 v[12:13], v[4:5], v[12:13]
	v_fma_f64 v[133:134], v[133:134], v[6:7], v[143:144]
	v_fma_f64 v[131:132], v[131:132], v[6:7], -v[8:9]
	v_add_f64 v[143:144], v[145:146], 0
	v_add_f64 v[145:146], v[147:148], 0
	scratch_load_b128 v[6:9], off, off offset:320
	v_fma_f64 v[149:150], v[4:5], v[10:11], v[149:150]
	v_fma_f64 v[151:152], v[2:3], v[10:11], -v[12:13]
	scratch_load_b128 v[10:13], off, off offset:336
	ds_load_b128 v[2:5], v1 offset:656
	s_waitcnt vmcnt(10) lgkmcnt(1)
	v_mul_f64 v[147:148], v[139:140], v[16:17]
	v_mul_f64 v[16:17], v[141:142], v[16:17]
	v_add_f64 v[143:144], v[143:144], v[131:132]
	v_add_f64 v[145:146], v[145:146], v[133:134]
	s_waitcnt vmcnt(9) lgkmcnt(0)
	v_mul_f64 v[153:154], v[2:3], v[20:21]
	v_mul_f64 v[20:21], v[4:5], v[20:21]
	ds_load_b128 v[131:134], v1 offset:672
	v_fma_f64 v[141:142], v[141:142], v[14:15], v[147:148]
	v_fma_f64 v[139:140], v[139:140], v[14:15], -v[16:17]
	scratch_load_b128 v[14:17], off, off offset:352
	v_add_f64 v[143:144], v[143:144], v[151:152]
	v_add_f64 v[145:146], v[145:146], v[149:150]
	v_fma_f64 v[149:150], v[4:5], v[18:19], v[153:154]
	v_fma_f64 v[151:152], v[2:3], v[18:19], -v[20:21]
	scratch_load_b128 v[18:21], off, off offset:368
	ds_load_b128 v[2:5], v1 offset:688
	s_waitcnt vmcnt(10) lgkmcnt(1)
	v_mul_f64 v[147:148], v[131:132], v[24:25]
	v_mul_f64 v[24:25], v[133:134], v[24:25]
	s_waitcnt vmcnt(9) lgkmcnt(0)
	v_mul_f64 v[153:154], v[2:3], v[28:29]
	v_mul_f64 v[28:29], v[4:5], v[28:29]
	v_add_f64 v[143:144], v[143:144], v[139:140]
	v_add_f64 v[145:146], v[145:146], v[141:142]
	ds_load_b128 v[139:142], v1 offset:704
	v_fma_f64 v[133:134], v[133:134], v[22:23], v[147:148]
	v_fma_f64 v[131:132], v[131:132], v[22:23], -v[24:25]
	scratch_load_b128 v[22:25], off, off offset:384
	v_add_f64 v[143:144], v[143:144], v[151:152]
	v_add_f64 v[145:146], v[145:146], v[149:150]
	v_fma_f64 v[149:150], v[4:5], v[26:27], v[153:154]
	v_fma_f64 v[151:152], v[2:3], v[26:27], -v[28:29]
	scratch_load_b128 v[26:29], off, off offset:400
	ds_load_b128 v[2:5], v1 offset:720
	s_waitcnt vmcnt(10) lgkmcnt(1)
	v_mul_f64 v[147:148], v[139:140], v[32:33]
	v_mul_f64 v[32:33], v[141:142], v[32:33]
	s_waitcnt vmcnt(9) lgkmcnt(0)
	v_mul_f64 v[153:154], v[2:3], v[125:126]
	v_mul_f64 v[125:126], v[4:5], v[125:126]
	v_add_f64 v[143:144], v[143:144], v[131:132]
	v_add_f64 v[145:146], v[145:146], v[133:134]
	ds_load_b128 v[131:134], v1 offset:736
	v_fma_f64 v[141:142], v[141:142], v[30:31], v[147:148]
	v_fma_f64 v[139:140], v[139:140], v[30:31], -v[32:33]
	scratch_load_b128 v[30:33], off, off offset:416
	v_add_f64 v[143:144], v[143:144], v[151:152]
	v_add_f64 v[145:146], v[145:146], v[149:150]
	v_fma_f64 v[151:152], v[4:5], v[123:124], v[153:154]
	v_fma_f64 v[153:154], v[2:3], v[123:124], -v[125:126]
	scratch_load_b128 v[123:126], off, off offset:432
	ds_load_b128 v[2:5], v1 offset:752
	s_waitcnt vmcnt(9) lgkmcnt(1)
	v_mul_f64 v[147:148], v[131:132], v[137:138]
	v_mul_f64 v[149:150], v[133:134], v[137:138]
	v_add_f64 v[143:144], v[143:144], v[139:140]
	v_add_f64 v[141:142], v[145:146], v[141:142]
	ds_load_b128 v[137:140], v1 offset:768
	v_fma_f64 v[133:134], v[133:134], v[135:136], v[147:148]
	v_fma_f64 v[131:132], v[131:132], v[135:136], -v[149:150]
	s_waitcnt vmcnt(8) lgkmcnt(1)
	v_mul_f64 v[145:146], v[2:3], v[36:37]
	v_mul_f64 v[36:37], v[4:5], v[36:37]
	v_add_f64 v[135:136], v[143:144], v[153:154]
	v_add_f64 v[141:142], v[141:142], v[151:152]
	s_delay_alu instid0(VALU_DEP_4) | instskip(NEXT) | instid1(VALU_DEP_4)
	v_fma_f64 v[145:146], v[4:5], v[34:35], v[145:146]
	v_fma_f64 v[147:148], v[2:3], v[34:35], -v[36:37]
	ds_load_b128 v[2:5], v1 offset:784
	ds_load_b128 v[34:37], v1 offset:800
	s_waitcnt vmcnt(7) lgkmcnt(2)
	v_mul_f64 v[143:144], v[137:138], v[8:9]
	v_mul_f64 v[8:9], v[139:140], v[8:9]
	v_add_f64 v[131:132], v[135:136], v[131:132]
	v_add_f64 v[133:134], v[141:142], v[133:134]
	s_waitcnt vmcnt(6) lgkmcnt(1)
	v_mul_f64 v[135:136], v[2:3], v[12:13]
	v_mul_f64 v[12:13], v[4:5], v[12:13]
	v_fma_f64 v[139:140], v[139:140], v[6:7], v[143:144]
	v_fma_f64 v[6:7], v[137:138], v[6:7], -v[8:9]
	v_add_f64 v[8:9], v[131:132], v[147:148]
	v_add_f64 v[131:132], v[133:134], v[145:146]
	s_waitcnt vmcnt(5) lgkmcnt(0)
	v_mul_f64 v[133:134], v[34:35], v[16:17]
	v_mul_f64 v[16:17], v[36:37], v[16:17]
	v_fma_f64 v[135:136], v[4:5], v[10:11], v[135:136]
	v_fma_f64 v[10:11], v[2:3], v[10:11], -v[12:13]
	v_add_f64 v[12:13], v[8:9], v[6:7]
	v_add_f64 v[131:132], v[131:132], v[139:140]
	ds_load_b128 v[2:5], v1 offset:816
	ds_load_b128 v[6:9], v1 offset:832
	v_fma_f64 v[36:37], v[36:37], v[14:15], v[133:134]
	v_fma_f64 v[14:15], v[34:35], v[14:15], -v[16:17]
	s_waitcnt vmcnt(4) lgkmcnt(1)
	v_mul_f64 v[137:138], v[2:3], v[20:21]
	v_mul_f64 v[20:21], v[4:5], v[20:21]
	s_waitcnt vmcnt(3) lgkmcnt(0)
	v_mul_f64 v[16:17], v[6:7], v[24:25]
	v_mul_f64 v[24:25], v[8:9], v[24:25]
	v_add_f64 v[10:11], v[12:13], v[10:11]
	v_add_f64 v[12:13], v[131:132], v[135:136]
	v_fma_f64 v[34:35], v[4:5], v[18:19], v[137:138]
	v_fma_f64 v[18:19], v[2:3], v[18:19], -v[20:21]
	v_fma_f64 v[8:9], v[8:9], v[22:23], v[16:17]
	v_fma_f64 v[6:7], v[6:7], v[22:23], -v[24:25]
	v_add_f64 v[14:15], v[10:11], v[14:15]
	v_add_f64 v[20:21], v[12:13], v[36:37]
	ds_load_b128 v[2:5], v1 offset:848
	ds_load_b128 v[10:13], v1 offset:864
	s_waitcnt vmcnt(2) lgkmcnt(1)
	v_mul_f64 v[36:37], v[2:3], v[28:29]
	v_mul_f64 v[28:29], v[4:5], v[28:29]
	v_add_f64 v[14:15], v[14:15], v[18:19]
	v_add_f64 v[16:17], v[20:21], v[34:35]
	s_waitcnt vmcnt(1) lgkmcnt(0)
	v_mul_f64 v[18:19], v[10:11], v[32:33]
	v_mul_f64 v[20:21], v[12:13], v[32:33]
	v_fma_f64 v[22:23], v[4:5], v[26:27], v[36:37]
	v_fma_f64 v[24:25], v[2:3], v[26:27], -v[28:29]
	ds_load_b128 v[2:5], v1 offset:880
	v_add_f64 v[6:7], v[14:15], v[6:7]
	v_add_f64 v[8:9], v[16:17], v[8:9]
	v_fma_f64 v[12:13], v[12:13], v[30:31], v[18:19]
	v_fma_f64 v[10:11], v[10:11], v[30:31], -v[20:21]
	s_waitcnt vmcnt(0) lgkmcnt(0)
	v_mul_f64 v[14:15], v[2:3], v[125:126]
	v_mul_f64 v[16:17], v[4:5], v[125:126]
	v_add_f64 v[6:7], v[6:7], v[24:25]
	v_add_f64 v[8:9], v[8:9], v[22:23]
	s_delay_alu instid0(VALU_DEP_4) | instskip(NEXT) | instid1(VALU_DEP_4)
	v_fma_f64 v[4:5], v[4:5], v[123:124], v[14:15]
	v_fma_f64 v[2:3], v[2:3], v[123:124], -v[16:17]
	s_delay_alu instid0(VALU_DEP_4) | instskip(NEXT) | instid1(VALU_DEP_4)
	v_add_f64 v[6:7], v[6:7], v[10:11]
	v_add_f64 v[8:9], v[8:9], v[12:13]
	s_delay_alu instid0(VALU_DEP_2) | instskip(NEXT) | instid1(VALU_DEP_2)
	v_add_f64 v[2:3], v[6:7], v[2:3]
	v_add_f64 v[4:5], v[8:9], v[4:5]
	s_delay_alu instid0(VALU_DEP_2) | instskip(NEXT) | instid1(VALU_DEP_2)
	v_add_f64 v[2:3], v[127:128], -v[2:3]
	v_add_f64 v[4:5], v[129:130], -v[4:5]
	scratch_store_b128 off, v[2:5], off offset:128
	v_cmpx_lt_u32_e32 7, v94
	s_cbranch_execz .LBB91_167
; %bb.166:
	scratch_load_b128 v[5:8], v116, off
	v_mov_b32_e32 v2, v1
	v_mov_b32_e32 v3, v1
	;; [unrolled: 1-line block ×3, first 2 shown]
	scratch_store_b128 off, v[1:4], off offset:112
	s_waitcnt vmcnt(0)
	ds_store_b128 v122, v[5:8]
.LBB91_167:
	s_or_b32 exec_lo, exec_lo, s2
	s_waitcnt lgkmcnt(0)
	s_waitcnt_vscnt null, 0x0
	s_barrier
	buffer_gl0_inv
	s_clause 0x8
	scratch_load_b128 v[2:5], off, off offset:128
	scratch_load_b128 v[6:9], off, off offset:144
	;; [unrolled: 1-line block ×9, first 2 shown]
	ds_load_b128 v[123:126], v1 offset:576
	ds_load_b128 v[127:130], v1 offset:592
	s_clause 0x1
	scratch_load_b128 v[131:134], off, off offset:112
	scratch_load_b128 v[135:138], off, off offset:272
	s_mov_b32 s2, exec_lo
	s_waitcnt vmcnt(10) lgkmcnt(1)
	v_mul_f64 v[139:140], v[125:126], v[4:5]
	v_mul_f64 v[4:5], v[123:124], v[4:5]
	s_waitcnt vmcnt(9) lgkmcnt(0)
	v_mul_f64 v[143:144], v[127:128], v[8:9]
	v_mul_f64 v[8:9], v[129:130], v[8:9]
	s_delay_alu instid0(VALU_DEP_4) | instskip(NEXT) | instid1(VALU_DEP_4)
	v_fma_f64 v[145:146], v[123:124], v[2:3], -v[139:140]
	v_fma_f64 v[147:148], v[125:126], v[2:3], v[4:5]
	ds_load_b128 v[2:5], v1 offset:608
	ds_load_b128 v[139:142], v1 offset:624
	scratch_load_b128 v[123:126], off, off offset:288
	v_fma_f64 v[129:130], v[129:130], v[6:7], v[143:144]
	v_fma_f64 v[127:128], v[127:128], v[6:7], -v[8:9]
	scratch_load_b128 v[6:9], off, off offset:304
	s_waitcnt vmcnt(10) lgkmcnt(1)
	v_mul_f64 v[149:150], v[2:3], v[12:13]
	v_mul_f64 v[12:13], v[4:5], v[12:13]
	v_add_f64 v[143:144], v[145:146], 0
	v_add_f64 v[145:146], v[147:148], 0
	s_waitcnt vmcnt(9) lgkmcnt(0)
	v_mul_f64 v[147:148], v[139:140], v[16:17]
	v_mul_f64 v[16:17], v[141:142], v[16:17]
	v_fma_f64 v[149:150], v[4:5], v[10:11], v[149:150]
	v_fma_f64 v[151:152], v[2:3], v[10:11], -v[12:13]
	ds_load_b128 v[2:5], v1 offset:640
	scratch_load_b128 v[10:13], off, off offset:320
	v_add_f64 v[143:144], v[143:144], v[127:128]
	v_add_f64 v[145:146], v[145:146], v[129:130]
	ds_load_b128 v[127:130], v1 offset:656
	v_fma_f64 v[141:142], v[141:142], v[14:15], v[147:148]
	v_fma_f64 v[139:140], v[139:140], v[14:15], -v[16:17]
	scratch_load_b128 v[14:17], off, off offset:336
	s_waitcnt vmcnt(10) lgkmcnt(1)
	v_mul_f64 v[153:154], v[2:3], v[20:21]
	v_mul_f64 v[20:21], v[4:5], v[20:21]
	s_waitcnt vmcnt(9) lgkmcnt(0)
	v_mul_f64 v[147:148], v[127:128], v[24:25]
	v_mul_f64 v[24:25], v[129:130], v[24:25]
	v_add_f64 v[143:144], v[143:144], v[151:152]
	v_add_f64 v[145:146], v[145:146], v[149:150]
	v_fma_f64 v[149:150], v[4:5], v[18:19], v[153:154]
	v_fma_f64 v[151:152], v[2:3], v[18:19], -v[20:21]
	ds_load_b128 v[2:5], v1 offset:672
	scratch_load_b128 v[18:21], off, off offset:352
	v_fma_f64 v[129:130], v[129:130], v[22:23], v[147:148]
	v_fma_f64 v[127:128], v[127:128], v[22:23], -v[24:25]
	scratch_load_b128 v[22:25], off, off offset:368
	v_add_f64 v[143:144], v[143:144], v[139:140]
	v_add_f64 v[145:146], v[145:146], v[141:142]
	ds_load_b128 v[139:142], v1 offset:688
	s_waitcnt vmcnt(10) lgkmcnt(1)
	v_mul_f64 v[153:154], v[2:3], v[28:29]
	v_mul_f64 v[28:29], v[4:5], v[28:29]
	s_waitcnt vmcnt(9) lgkmcnt(0)
	v_mul_f64 v[147:148], v[139:140], v[32:33]
	v_mul_f64 v[32:33], v[141:142], v[32:33]
	v_add_f64 v[143:144], v[143:144], v[151:152]
	v_add_f64 v[145:146], v[145:146], v[149:150]
	v_fma_f64 v[149:150], v[4:5], v[26:27], v[153:154]
	v_fma_f64 v[151:152], v[2:3], v[26:27], -v[28:29]
	ds_load_b128 v[2:5], v1 offset:704
	scratch_load_b128 v[26:29], off, off offset:384
	v_fma_f64 v[141:142], v[141:142], v[30:31], v[147:148]
	v_fma_f64 v[139:140], v[139:140], v[30:31], -v[32:33]
	scratch_load_b128 v[30:33], off, off offset:400
	v_add_f64 v[143:144], v[143:144], v[127:128]
	v_add_f64 v[145:146], v[145:146], v[129:130]
	ds_load_b128 v[127:130], v1 offset:720
	s_waitcnt vmcnt(10) lgkmcnt(1)
	v_mul_f64 v[153:154], v[2:3], v[36:37]
	v_mul_f64 v[36:37], v[4:5], v[36:37]
	s_waitcnt vmcnt(8) lgkmcnt(0)
	v_mul_f64 v[147:148], v[127:128], v[137:138]
	v_add_f64 v[143:144], v[143:144], v[151:152]
	v_add_f64 v[145:146], v[145:146], v[149:150]
	v_mul_f64 v[149:150], v[129:130], v[137:138]
	v_fma_f64 v[151:152], v[4:5], v[34:35], v[153:154]
	v_fma_f64 v[153:154], v[2:3], v[34:35], -v[36:37]
	ds_load_b128 v[2:5], v1 offset:736
	scratch_load_b128 v[34:37], off, off offset:416
	v_fma_f64 v[129:130], v[129:130], v[135:136], v[147:148]
	v_add_f64 v[143:144], v[143:144], v[139:140]
	v_add_f64 v[141:142], v[145:146], v[141:142]
	ds_load_b128 v[137:140], v1 offset:752
	v_fma_f64 v[135:136], v[127:128], v[135:136], -v[149:150]
	s_waitcnt vmcnt(8) lgkmcnt(1)
	v_mul_f64 v[145:146], v[2:3], v[125:126]
	v_mul_f64 v[155:156], v[4:5], v[125:126]
	scratch_load_b128 v[125:128], off, off offset:432
	s_waitcnt vmcnt(8) lgkmcnt(0)
	v_mul_f64 v[147:148], v[137:138], v[8:9]
	v_mul_f64 v[8:9], v[139:140], v[8:9]
	v_add_f64 v[143:144], v[143:144], v[153:154]
	v_add_f64 v[141:142], v[141:142], v[151:152]
	v_fma_f64 v[145:146], v[4:5], v[123:124], v[145:146]
	v_fma_f64 v[123:124], v[2:3], v[123:124], -v[155:156]
	v_fma_f64 v[139:140], v[139:140], v[6:7], v[147:148]
	v_fma_f64 v[6:7], v[137:138], v[6:7], -v[8:9]
	v_add_f64 v[135:136], v[143:144], v[135:136]
	v_add_f64 v[129:130], v[141:142], v[129:130]
	ds_load_b128 v[2:5], v1 offset:768
	ds_load_b128 v[141:144], v1 offset:784
	s_waitcnt vmcnt(7) lgkmcnt(1)
	v_mul_f64 v[149:150], v[2:3], v[12:13]
	v_mul_f64 v[12:13], v[4:5], v[12:13]
	v_add_f64 v[8:9], v[135:136], v[123:124]
	v_add_f64 v[123:124], v[129:130], v[145:146]
	s_waitcnt vmcnt(6) lgkmcnt(0)
	v_mul_f64 v[129:130], v[141:142], v[16:17]
	v_mul_f64 v[16:17], v[143:144], v[16:17]
	v_fma_f64 v[135:136], v[4:5], v[10:11], v[149:150]
	v_fma_f64 v[10:11], v[2:3], v[10:11], -v[12:13]
	v_add_f64 v[12:13], v[8:9], v[6:7]
	v_add_f64 v[123:124], v[123:124], v[139:140]
	ds_load_b128 v[2:5], v1 offset:800
	ds_load_b128 v[6:9], v1 offset:816
	v_fma_f64 v[129:130], v[143:144], v[14:15], v[129:130]
	v_fma_f64 v[14:15], v[141:142], v[14:15], -v[16:17]
	s_waitcnt vmcnt(5) lgkmcnt(1)
	v_mul_f64 v[137:138], v[2:3], v[20:21]
	v_mul_f64 v[20:21], v[4:5], v[20:21]
	s_waitcnt vmcnt(4) lgkmcnt(0)
	v_mul_f64 v[16:17], v[6:7], v[24:25]
	v_mul_f64 v[24:25], v[8:9], v[24:25]
	v_add_f64 v[10:11], v[12:13], v[10:11]
	v_add_f64 v[12:13], v[123:124], v[135:136]
	v_fma_f64 v[123:124], v[4:5], v[18:19], v[137:138]
	v_fma_f64 v[18:19], v[2:3], v[18:19], -v[20:21]
	v_fma_f64 v[8:9], v[8:9], v[22:23], v[16:17]
	v_fma_f64 v[6:7], v[6:7], v[22:23], -v[24:25]
	v_add_f64 v[14:15], v[10:11], v[14:15]
	v_add_f64 v[20:21], v[12:13], v[129:130]
	ds_load_b128 v[2:5], v1 offset:832
	ds_load_b128 v[10:13], v1 offset:848
	s_waitcnt vmcnt(3) lgkmcnt(1)
	v_mul_f64 v[129:130], v[2:3], v[28:29]
	v_mul_f64 v[28:29], v[4:5], v[28:29]
	v_add_f64 v[14:15], v[14:15], v[18:19]
	v_add_f64 v[16:17], v[20:21], v[123:124]
	s_waitcnt vmcnt(2) lgkmcnt(0)
	v_mul_f64 v[18:19], v[10:11], v[32:33]
	v_mul_f64 v[20:21], v[12:13], v[32:33]
	v_fma_f64 v[22:23], v[4:5], v[26:27], v[129:130]
	v_fma_f64 v[24:25], v[2:3], v[26:27], -v[28:29]
	v_add_f64 v[14:15], v[14:15], v[6:7]
	v_add_f64 v[16:17], v[16:17], v[8:9]
	ds_load_b128 v[2:5], v1 offset:864
	ds_load_b128 v[6:9], v1 offset:880
	v_fma_f64 v[12:13], v[12:13], v[30:31], v[18:19]
	v_fma_f64 v[10:11], v[10:11], v[30:31], -v[20:21]
	s_waitcnt vmcnt(1) lgkmcnt(1)
	v_mul_f64 v[26:27], v[2:3], v[36:37]
	v_mul_f64 v[28:29], v[4:5], v[36:37]
	s_waitcnt vmcnt(0) lgkmcnt(0)
	v_mul_f64 v[18:19], v[6:7], v[127:128]
	v_add_f64 v[14:15], v[14:15], v[24:25]
	v_add_f64 v[16:17], v[16:17], v[22:23]
	v_mul_f64 v[20:21], v[8:9], v[127:128]
	v_fma_f64 v[4:5], v[4:5], v[34:35], v[26:27]
	v_fma_f64 v[1:2], v[2:3], v[34:35], -v[28:29]
	v_fma_f64 v[8:9], v[8:9], v[125:126], v[18:19]
	v_add_f64 v[10:11], v[14:15], v[10:11]
	v_add_f64 v[12:13], v[16:17], v[12:13]
	v_fma_f64 v[6:7], v[6:7], v[125:126], -v[20:21]
	s_delay_alu instid0(VALU_DEP_3) | instskip(NEXT) | instid1(VALU_DEP_3)
	v_add_f64 v[1:2], v[10:11], v[1:2]
	v_add_f64 v[3:4], v[12:13], v[4:5]
	s_delay_alu instid0(VALU_DEP_2) | instskip(NEXT) | instid1(VALU_DEP_2)
	v_add_f64 v[1:2], v[1:2], v[6:7]
	v_add_f64 v[3:4], v[3:4], v[8:9]
	s_delay_alu instid0(VALU_DEP_2) | instskip(NEXT) | instid1(VALU_DEP_2)
	v_add_f64 v[1:2], v[131:132], -v[1:2]
	v_add_f64 v[3:4], v[133:134], -v[3:4]
	scratch_store_b128 off, v[1:4], off offset:112
	v_cmpx_lt_u32_e32 6, v94
	s_cbranch_execz .LBB91_169
; %bb.168:
	scratch_load_b128 v[1:4], v115, off
	v_mov_b32_e32 v5, 0
	s_delay_alu instid0(VALU_DEP_1)
	v_mov_b32_e32 v6, v5
	v_mov_b32_e32 v7, v5
	;; [unrolled: 1-line block ×3, first 2 shown]
	scratch_store_b128 off, v[5:8], off offset:96
	s_waitcnt vmcnt(0)
	ds_store_b128 v122, v[1:4]
.LBB91_169:
	s_or_b32 exec_lo, exec_lo, s2
	s_waitcnt lgkmcnt(0)
	s_waitcnt_vscnt null, 0x0
	s_barrier
	buffer_gl0_inv
	s_clause 0x7
	scratch_load_b128 v[2:5], off, off offset:112
	scratch_load_b128 v[6:9], off, off offset:128
	;; [unrolled: 1-line block ×8, first 2 shown]
	v_mov_b32_e32 v1, 0
	s_mov_b32 s2, exec_lo
	ds_load_b128 v[34:37], v1 offset:560
	s_clause 0x1
	scratch_load_b128 v[123:126], off, off offset:240
	scratch_load_b128 v[127:130], off, off offset:96
	ds_load_b128 v[131:134], v1 offset:576
	scratch_load_b128 v[135:138], off, off offset:256
	s_waitcnt vmcnt(10) lgkmcnt(1)
	v_mul_f64 v[139:140], v[36:37], v[4:5]
	v_mul_f64 v[4:5], v[34:35], v[4:5]
	s_delay_alu instid0(VALU_DEP_2) | instskip(NEXT) | instid1(VALU_DEP_2)
	v_fma_f64 v[145:146], v[34:35], v[2:3], -v[139:140]
	v_fma_f64 v[147:148], v[36:37], v[2:3], v[4:5]
	scratch_load_b128 v[34:37], off, off offset:272
	ds_load_b128 v[2:5], v1 offset:592
	s_waitcnt vmcnt(10) lgkmcnt(1)
	v_mul_f64 v[143:144], v[131:132], v[8:9]
	v_mul_f64 v[8:9], v[133:134], v[8:9]
	ds_load_b128 v[139:142], v1 offset:608
	s_waitcnt vmcnt(9) lgkmcnt(1)
	v_mul_f64 v[149:150], v[2:3], v[12:13]
	v_mul_f64 v[12:13], v[4:5], v[12:13]
	v_fma_f64 v[133:134], v[133:134], v[6:7], v[143:144]
	v_fma_f64 v[131:132], v[131:132], v[6:7], -v[8:9]
	v_add_f64 v[143:144], v[145:146], 0
	v_add_f64 v[145:146], v[147:148], 0
	scratch_load_b128 v[6:9], off, off offset:288
	v_fma_f64 v[149:150], v[4:5], v[10:11], v[149:150]
	v_fma_f64 v[151:152], v[2:3], v[10:11], -v[12:13]
	scratch_load_b128 v[10:13], off, off offset:304
	ds_load_b128 v[2:5], v1 offset:624
	s_waitcnt vmcnt(10) lgkmcnt(1)
	v_mul_f64 v[147:148], v[139:140], v[16:17]
	v_mul_f64 v[16:17], v[141:142], v[16:17]
	v_add_f64 v[143:144], v[143:144], v[131:132]
	v_add_f64 v[145:146], v[145:146], v[133:134]
	s_waitcnt vmcnt(9) lgkmcnt(0)
	v_mul_f64 v[153:154], v[2:3], v[20:21]
	v_mul_f64 v[20:21], v[4:5], v[20:21]
	ds_load_b128 v[131:134], v1 offset:640
	v_fma_f64 v[141:142], v[141:142], v[14:15], v[147:148]
	v_fma_f64 v[139:140], v[139:140], v[14:15], -v[16:17]
	scratch_load_b128 v[14:17], off, off offset:320
	v_add_f64 v[143:144], v[143:144], v[151:152]
	v_add_f64 v[145:146], v[145:146], v[149:150]
	v_fma_f64 v[149:150], v[4:5], v[18:19], v[153:154]
	v_fma_f64 v[151:152], v[2:3], v[18:19], -v[20:21]
	scratch_load_b128 v[18:21], off, off offset:336
	ds_load_b128 v[2:5], v1 offset:656
	s_waitcnt vmcnt(10) lgkmcnt(1)
	v_mul_f64 v[147:148], v[131:132], v[24:25]
	v_mul_f64 v[24:25], v[133:134], v[24:25]
	s_waitcnt vmcnt(9) lgkmcnt(0)
	v_mul_f64 v[153:154], v[2:3], v[28:29]
	v_mul_f64 v[28:29], v[4:5], v[28:29]
	v_add_f64 v[143:144], v[143:144], v[139:140]
	v_add_f64 v[145:146], v[145:146], v[141:142]
	ds_load_b128 v[139:142], v1 offset:672
	v_fma_f64 v[133:134], v[133:134], v[22:23], v[147:148]
	v_fma_f64 v[131:132], v[131:132], v[22:23], -v[24:25]
	scratch_load_b128 v[22:25], off, off offset:352
	v_add_f64 v[143:144], v[143:144], v[151:152]
	v_add_f64 v[145:146], v[145:146], v[149:150]
	v_fma_f64 v[149:150], v[4:5], v[26:27], v[153:154]
	v_fma_f64 v[151:152], v[2:3], v[26:27], -v[28:29]
	scratch_load_b128 v[26:29], off, off offset:368
	ds_load_b128 v[2:5], v1 offset:688
	s_waitcnt vmcnt(10) lgkmcnt(1)
	v_mul_f64 v[147:148], v[139:140], v[32:33]
	v_mul_f64 v[32:33], v[141:142], v[32:33]
	s_waitcnt vmcnt(9) lgkmcnt(0)
	v_mul_f64 v[153:154], v[2:3], v[125:126]
	v_mul_f64 v[125:126], v[4:5], v[125:126]
	v_add_f64 v[143:144], v[143:144], v[131:132]
	v_add_f64 v[145:146], v[145:146], v[133:134]
	ds_load_b128 v[131:134], v1 offset:704
	v_fma_f64 v[141:142], v[141:142], v[30:31], v[147:148]
	v_fma_f64 v[139:140], v[139:140], v[30:31], -v[32:33]
	scratch_load_b128 v[30:33], off, off offset:384
	v_add_f64 v[143:144], v[143:144], v[151:152]
	v_add_f64 v[145:146], v[145:146], v[149:150]
	v_fma_f64 v[151:152], v[4:5], v[123:124], v[153:154]
	v_fma_f64 v[153:154], v[2:3], v[123:124], -v[125:126]
	scratch_load_b128 v[123:126], off, off offset:400
	ds_load_b128 v[2:5], v1 offset:720
	s_waitcnt vmcnt(9) lgkmcnt(1)
	v_mul_f64 v[147:148], v[131:132], v[137:138]
	v_mul_f64 v[149:150], v[133:134], v[137:138]
	v_add_f64 v[143:144], v[143:144], v[139:140]
	v_add_f64 v[141:142], v[145:146], v[141:142]
	ds_load_b128 v[137:140], v1 offset:736
	v_fma_f64 v[147:148], v[133:134], v[135:136], v[147:148]
	v_fma_f64 v[135:136], v[131:132], v[135:136], -v[149:150]
	scratch_load_b128 v[131:134], off, off offset:416
	s_waitcnt vmcnt(9) lgkmcnt(1)
	v_mul_f64 v[145:146], v[2:3], v[36:37]
	v_mul_f64 v[36:37], v[4:5], v[36:37]
	v_add_f64 v[143:144], v[143:144], v[153:154]
	v_add_f64 v[141:142], v[141:142], v[151:152]
	s_delay_alu instid0(VALU_DEP_4) | instskip(NEXT) | instid1(VALU_DEP_4)
	v_fma_f64 v[145:146], v[4:5], v[34:35], v[145:146]
	v_fma_f64 v[151:152], v[2:3], v[34:35], -v[36:37]
	scratch_load_b128 v[34:37], off, off offset:432
	ds_load_b128 v[2:5], v1 offset:752
	s_waitcnt vmcnt(9) lgkmcnt(1)
	v_mul_f64 v[149:150], v[137:138], v[8:9]
	v_mul_f64 v[8:9], v[139:140], v[8:9]
	s_waitcnt vmcnt(8) lgkmcnt(0)
	v_mul_f64 v[153:154], v[2:3], v[12:13]
	v_mul_f64 v[12:13], v[4:5], v[12:13]
	v_add_f64 v[135:136], v[143:144], v[135:136]
	v_add_f64 v[147:148], v[141:142], v[147:148]
	ds_load_b128 v[141:144], v1 offset:768
	v_fma_f64 v[139:140], v[139:140], v[6:7], v[149:150]
	v_fma_f64 v[6:7], v[137:138], v[6:7], -v[8:9]
	v_add_f64 v[8:9], v[135:136], v[151:152]
	v_add_f64 v[135:136], v[147:148], v[145:146]
	s_waitcnt vmcnt(7) lgkmcnt(0)
	v_mul_f64 v[137:138], v[141:142], v[16:17]
	v_mul_f64 v[16:17], v[143:144], v[16:17]
	v_fma_f64 v[145:146], v[4:5], v[10:11], v[153:154]
	v_fma_f64 v[10:11], v[2:3], v[10:11], -v[12:13]
	v_add_f64 v[12:13], v[8:9], v[6:7]
	v_add_f64 v[135:136], v[135:136], v[139:140]
	ds_load_b128 v[2:5], v1 offset:784
	ds_load_b128 v[6:9], v1 offset:800
	v_fma_f64 v[137:138], v[143:144], v[14:15], v[137:138]
	v_fma_f64 v[14:15], v[141:142], v[14:15], -v[16:17]
	s_waitcnt vmcnt(6) lgkmcnt(1)
	v_mul_f64 v[139:140], v[2:3], v[20:21]
	v_mul_f64 v[20:21], v[4:5], v[20:21]
	s_waitcnt vmcnt(5) lgkmcnt(0)
	v_mul_f64 v[16:17], v[6:7], v[24:25]
	v_mul_f64 v[24:25], v[8:9], v[24:25]
	v_add_f64 v[10:11], v[12:13], v[10:11]
	v_add_f64 v[12:13], v[135:136], v[145:146]
	v_fma_f64 v[135:136], v[4:5], v[18:19], v[139:140]
	v_fma_f64 v[18:19], v[2:3], v[18:19], -v[20:21]
	v_fma_f64 v[8:9], v[8:9], v[22:23], v[16:17]
	v_fma_f64 v[6:7], v[6:7], v[22:23], -v[24:25]
	v_add_f64 v[14:15], v[10:11], v[14:15]
	v_add_f64 v[20:21], v[12:13], v[137:138]
	ds_load_b128 v[2:5], v1 offset:816
	ds_load_b128 v[10:13], v1 offset:832
	s_waitcnt vmcnt(4) lgkmcnt(1)
	v_mul_f64 v[137:138], v[2:3], v[28:29]
	v_mul_f64 v[28:29], v[4:5], v[28:29]
	v_add_f64 v[14:15], v[14:15], v[18:19]
	v_add_f64 v[16:17], v[20:21], v[135:136]
	s_waitcnt vmcnt(3) lgkmcnt(0)
	v_mul_f64 v[18:19], v[10:11], v[32:33]
	v_mul_f64 v[20:21], v[12:13], v[32:33]
	v_fma_f64 v[22:23], v[4:5], v[26:27], v[137:138]
	v_fma_f64 v[24:25], v[2:3], v[26:27], -v[28:29]
	v_add_f64 v[14:15], v[14:15], v[6:7]
	v_add_f64 v[16:17], v[16:17], v[8:9]
	ds_load_b128 v[2:5], v1 offset:848
	ds_load_b128 v[6:9], v1 offset:864
	v_fma_f64 v[12:13], v[12:13], v[30:31], v[18:19]
	v_fma_f64 v[10:11], v[10:11], v[30:31], -v[20:21]
	s_waitcnt vmcnt(2) lgkmcnt(1)
	v_mul_f64 v[26:27], v[2:3], v[125:126]
	v_mul_f64 v[28:29], v[4:5], v[125:126]
	s_waitcnt vmcnt(1) lgkmcnt(0)
	v_mul_f64 v[18:19], v[6:7], v[133:134]
	v_mul_f64 v[20:21], v[8:9], v[133:134]
	v_add_f64 v[14:15], v[14:15], v[24:25]
	v_add_f64 v[16:17], v[16:17], v[22:23]
	v_fma_f64 v[22:23], v[4:5], v[123:124], v[26:27]
	v_fma_f64 v[24:25], v[2:3], v[123:124], -v[28:29]
	ds_load_b128 v[2:5], v1 offset:880
	v_fma_f64 v[8:9], v[8:9], v[131:132], v[18:19]
	v_fma_f64 v[6:7], v[6:7], v[131:132], -v[20:21]
	v_add_f64 v[10:11], v[14:15], v[10:11]
	v_add_f64 v[12:13], v[16:17], v[12:13]
	s_waitcnt vmcnt(0) lgkmcnt(0)
	v_mul_f64 v[14:15], v[2:3], v[36:37]
	v_mul_f64 v[16:17], v[4:5], v[36:37]
	s_delay_alu instid0(VALU_DEP_4) | instskip(NEXT) | instid1(VALU_DEP_4)
	v_add_f64 v[10:11], v[10:11], v[24:25]
	v_add_f64 v[12:13], v[12:13], v[22:23]
	s_delay_alu instid0(VALU_DEP_4) | instskip(NEXT) | instid1(VALU_DEP_4)
	v_fma_f64 v[4:5], v[4:5], v[34:35], v[14:15]
	v_fma_f64 v[2:3], v[2:3], v[34:35], -v[16:17]
	s_delay_alu instid0(VALU_DEP_4) | instskip(NEXT) | instid1(VALU_DEP_4)
	v_add_f64 v[6:7], v[10:11], v[6:7]
	v_add_f64 v[8:9], v[12:13], v[8:9]
	s_delay_alu instid0(VALU_DEP_2) | instskip(NEXT) | instid1(VALU_DEP_2)
	v_add_f64 v[2:3], v[6:7], v[2:3]
	v_add_f64 v[4:5], v[8:9], v[4:5]
	s_delay_alu instid0(VALU_DEP_2) | instskip(NEXT) | instid1(VALU_DEP_2)
	v_add_f64 v[2:3], v[127:128], -v[2:3]
	v_add_f64 v[4:5], v[129:130], -v[4:5]
	scratch_store_b128 off, v[2:5], off offset:96
	v_cmpx_lt_u32_e32 5, v94
	s_cbranch_execz .LBB91_171
; %bb.170:
	scratch_load_b128 v[5:8], v117, off
	v_mov_b32_e32 v2, v1
	v_mov_b32_e32 v3, v1
	;; [unrolled: 1-line block ×3, first 2 shown]
	scratch_store_b128 off, v[1:4], off offset:80
	s_waitcnt vmcnt(0)
	ds_store_b128 v122, v[5:8]
.LBB91_171:
	s_or_b32 exec_lo, exec_lo, s2
	s_waitcnt lgkmcnt(0)
	s_waitcnt_vscnt null, 0x0
	s_barrier
	buffer_gl0_inv
	s_clause 0x8
	scratch_load_b128 v[2:5], off, off offset:96
	scratch_load_b128 v[6:9], off, off offset:112
	;; [unrolled: 1-line block ×9, first 2 shown]
	ds_load_b128 v[123:126], v1 offset:544
	ds_load_b128 v[127:130], v1 offset:560
	s_clause 0x1
	scratch_load_b128 v[131:134], off, off offset:80
	scratch_load_b128 v[135:138], off, off offset:240
	s_mov_b32 s2, exec_lo
	s_waitcnt vmcnt(10) lgkmcnt(1)
	v_mul_f64 v[139:140], v[125:126], v[4:5]
	v_mul_f64 v[4:5], v[123:124], v[4:5]
	s_waitcnt vmcnt(9) lgkmcnt(0)
	v_mul_f64 v[143:144], v[127:128], v[8:9]
	v_mul_f64 v[8:9], v[129:130], v[8:9]
	s_delay_alu instid0(VALU_DEP_4) | instskip(NEXT) | instid1(VALU_DEP_4)
	v_fma_f64 v[145:146], v[123:124], v[2:3], -v[139:140]
	v_fma_f64 v[147:148], v[125:126], v[2:3], v[4:5]
	ds_load_b128 v[2:5], v1 offset:576
	ds_load_b128 v[139:142], v1 offset:592
	scratch_load_b128 v[123:126], off, off offset:256
	v_fma_f64 v[129:130], v[129:130], v[6:7], v[143:144]
	v_fma_f64 v[127:128], v[127:128], v[6:7], -v[8:9]
	scratch_load_b128 v[6:9], off, off offset:272
	s_waitcnt vmcnt(10) lgkmcnt(1)
	v_mul_f64 v[149:150], v[2:3], v[12:13]
	v_mul_f64 v[12:13], v[4:5], v[12:13]
	v_add_f64 v[143:144], v[145:146], 0
	v_add_f64 v[145:146], v[147:148], 0
	s_waitcnt vmcnt(9) lgkmcnt(0)
	v_mul_f64 v[147:148], v[139:140], v[16:17]
	v_mul_f64 v[16:17], v[141:142], v[16:17]
	v_fma_f64 v[149:150], v[4:5], v[10:11], v[149:150]
	v_fma_f64 v[151:152], v[2:3], v[10:11], -v[12:13]
	ds_load_b128 v[2:5], v1 offset:608
	scratch_load_b128 v[10:13], off, off offset:288
	v_add_f64 v[143:144], v[143:144], v[127:128]
	v_add_f64 v[145:146], v[145:146], v[129:130]
	ds_load_b128 v[127:130], v1 offset:624
	v_fma_f64 v[141:142], v[141:142], v[14:15], v[147:148]
	v_fma_f64 v[139:140], v[139:140], v[14:15], -v[16:17]
	scratch_load_b128 v[14:17], off, off offset:304
	s_waitcnt vmcnt(10) lgkmcnt(1)
	v_mul_f64 v[153:154], v[2:3], v[20:21]
	v_mul_f64 v[20:21], v[4:5], v[20:21]
	s_waitcnt vmcnt(9) lgkmcnt(0)
	v_mul_f64 v[147:148], v[127:128], v[24:25]
	v_mul_f64 v[24:25], v[129:130], v[24:25]
	v_add_f64 v[143:144], v[143:144], v[151:152]
	v_add_f64 v[145:146], v[145:146], v[149:150]
	v_fma_f64 v[149:150], v[4:5], v[18:19], v[153:154]
	v_fma_f64 v[151:152], v[2:3], v[18:19], -v[20:21]
	ds_load_b128 v[2:5], v1 offset:640
	scratch_load_b128 v[18:21], off, off offset:320
	v_fma_f64 v[129:130], v[129:130], v[22:23], v[147:148]
	v_fma_f64 v[127:128], v[127:128], v[22:23], -v[24:25]
	scratch_load_b128 v[22:25], off, off offset:336
	v_add_f64 v[143:144], v[143:144], v[139:140]
	v_add_f64 v[145:146], v[145:146], v[141:142]
	ds_load_b128 v[139:142], v1 offset:656
	s_waitcnt vmcnt(10) lgkmcnt(1)
	v_mul_f64 v[153:154], v[2:3], v[28:29]
	v_mul_f64 v[28:29], v[4:5], v[28:29]
	s_waitcnt vmcnt(9) lgkmcnt(0)
	v_mul_f64 v[147:148], v[139:140], v[32:33]
	v_mul_f64 v[32:33], v[141:142], v[32:33]
	v_add_f64 v[143:144], v[143:144], v[151:152]
	v_add_f64 v[145:146], v[145:146], v[149:150]
	v_fma_f64 v[149:150], v[4:5], v[26:27], v[153:154]
	v_fma_f64 v[151:152], v[2:3], v[26:27], -v[28:29]
	ds_load_b128 v[2:5], v1 offset:672
	scratch_load_b128 v[26:29], off, off offset:352
	v_fma_f64 v[141:142], v[141:142], v[30:31], v[147:148]
	v_fma_f64 v[139:140], v[139:140], v[30:31], -v[32:33]
	scratch_load_b128 v[30:33], off, off offset:368
	v_add_f64 v[143:144], v[143:144], v[127:128]
	v_add_f64 v[145:146], v[145:146], v[129:130]
	ds_load_b128 v[127:130], v1 offset:688
	s_waitcnt vmcnt(10) lgkmcnt(1)
	v_mul_f64 v[153:154], v[2:3], v[36:37]
	v_mul_f64 v[36:37], v[4:5], v[36:37]
	s_waitcnt vmcnt(8) lgkmcnt(0)
	v_mul_f64 v[147:148], v[127:128], v[137:138]
	v_add_f64 v[143:144], v[143:144], v[151:152]
	v_add_f64 v[145:146], v[145:146], v[149:150]
	v_mul_f64 v[149:150], v[129:130], v[137:138]
	v_fma_f64 v[151:152], v[4:5], v[34:35], v[153:154]
	v_fma_f64 v[153:154], v[2:3], v[34:35], -v[36:37]
	ds_load_b128 v[2:5], v1 offset:704
	scratch_load_b128 v[34:37], off, off offset:384
	v_fma_f64 v[129:130], v[129:130], v[135:136], v[147:148]
	v_add_f64 v[143:144], v[143:144], v[139:140]
	v_add_f64 v[141:142], v[145:146], v[141:142]
	ds_load_b128 v[137:140], v1 offset:720
	v_fma_f64 v[135:136], v[127:128], v[135:136], -v[149:150]
	s_waitcnt vmcnt(8) lgkmcnt(1)
	v_mul_f64 v[145:146], v[2:3], v[125:126]
	v_mul_f64 v[155:156], v[4:5], v[125:126]
	scratch_load_b128 v[125:128], off, off offset:400
	s_waitcnt vmcnt(8) lgkmcnt(0)
	v_mul_f64 v[149:150], v[137:138], v[8:9]
	v_mul_f64 v[8:9], v[139:140], v[8:9]
	v_add_f64 v[143:144], v[143:144], v[153:154]
	v_add_f64 v[141:142], v[141:142], v[151:152]
	v_fma_f64 v[151:152], v[4:5], v[123:124], v[145:146]
	v_fma_f64 v[123:124], v[2:3], v[123:124], -v[155:156]
	ds_load_b128 v[2:5], v1 offset:736
	ds_load_b128 v[145:148], v1 offset:752
	v_fma_f64 v[139:140], v[139:140], v[6:7], v[149:150]
	v_fma_f64 v[137:138], v[137:138], v[6:7], -v[8:9]
	scratch_load_b128 v[6:9], off, off offset:432
	v_add_f64 v[135:136], v[143:144], v[135:136]
	v_add_f64 v[129:130], v[141:142], v[129:130]
	scratch_load_b128 v[141:144], off, off offset:416
	s_waitcnt vmcnt(9) lgkmcnt(1)
	v_mul_f64 v[153:154], v[2:3], v[12:13]
	v_mul_f64 v[12:13], v[4:5], v[12:13]
	v_add_f64 v[123:124], v[135:136], v[123:124]
	v_add_f64 v[129:130], v[129:130], v[151:152]
	s_waitcnt vmcnt(8) lgkmcnt(0)
	v_mul_f64 v[135:136], v[145:146], v[16:17]
	v_mul_f64 v[16:17], v[147:148], v[16:17]
	v_fma_f64 v[149:150], v[4:5], v[10:11], v[153:154]
	v_fma_f64 v[151:152], v[2:3], v[10:11], -v[12:13]
	ds_load_b128 v[2:5], v1 offset:768
	ds_load_b128 v[10:13], v1 offset:784
	v_add_f64 v[123:124], v[123:124], v[137:138]
	v_add_f64 v[129:130], v[129:130], v[139:140]
	s_waitcnt vmcnt(7) lgkmcnt(1)
	v_mul_f64 v[137:138], v[2:3], v[20:21]
	v_mul_f64 v[20:21], v[4:5], v[20:21]
	v_fma_f64 v[135:136], v[147:148], v[14:15], v[135:136]
	v_fma_f64 v[14:15], v[145:146], v[14:15], -v[16:17]
	v_add_f64 v[16:17], v[123:124], v[151:152]
	v_add_f64 v[123:124], v[129:130], v[149:150]
	s_waitcnt vmcnt(6) lgkmcnt(0)
	v_mul_f64 v[129:130], v[10:11], v[24:25]
	v_mul_f64 v[24:25], v[12:13], v[24:25]
	v_fma_f64 v[137:138], v[4:5], v[18:19], v[137:138]
	v_fma_f64 v[18:19], v[2:3], v[18:19], -v[20:21]
	v_add_f64 v[20:21], v[16:17], v[14:15]
	v_add_f64 v[123:124], v[123:124], v[135:136]
	ds_load_b128 v[2:5], v1 offset:800
	ds_load_b128 v[14:17], v1 offset:816
	v_fma_f64 v[12:13], v[12:13], v[22:23], v[129:130]
	v_fma_f64 v[10:11], v[10:11], v[22:23], -v[24:25]
	s_waitcnt vmcnt(5) lgkmcnt(1)
	v_mul_f64 v[135:136], v[2:3], v[28:29]
	v_mul_f64 v[28:29], v[4:5], v[28:29]
	s_waitcnt vmcnt(4) lgkmcnt(0)
	v_mul_f64 v[22:23], v[14:15], v[32:33]
	v_mul_f64 v[24:25], v[16:17], v[32:33]
	v_add_f64 v[18:19], v[20:21], v[18:19]
	v_add_f64 v[20:21], v[123:124], v[137:138]
	v_fma_f64 v[32:33], v[4:5], v[26:27], v[135:136]
	v_fma_f64 v[26:27], v[2:3], v[26:27], -v[28:29]
	v_fma_f64 v[16:17], v[16:17], v[30:31], v[22:23]
	v_fma_f64 v[14:15], v[14:15], v[30:31], -v[24:25]
	v_add_f64 v[18:19], v[18:19], v[10:11]
	v_add_f64 v[20:21], v[20:21], v[12:13]
	ds_load_b128 v[2:5], v1 offset:832
	ds_load_b128 v[10:13], v1 offset:848
	s_waitcnt vmcnt(3) lgkmcnt(1)
	v_mul_f64 v[28:29], v[2:3], v[36:37]
	v_mul_f64 v[36:37], v[4:5], v[36:37]
	s_waitcnt vmcnt(2) lgkmcnt(0)
	v_mul_f64 v[22:23], v[10:11], v[127:128]
	v_add_f64 v[18:19], v[18:19], v[26:27]
	v_add_f64 v[20:21], v[20:21], v[32:33]
	v_mul_f64 v[24:25], v[12:13], v[127:128]
	v_fma_f64 v[26:27], v[4:5], v[34:35], v[28:29]
	v_fma_f64 v[28:29], v[2:3], v[34:35], -v[36:37]
	v_fma_f64 v[12:13], v[12:13], v[125:126], v[22:23]
	v_add_f64 v[18:19], v[18:19], v[14:15]
	v_add_f64 v[20:21], v[20:21], v[16:17]
	ds_load_b128 v[2:5], v1 offset:864
	ds_load_b128 v[14:17], v1 offset:880
	v_fma_f64 v[10:11], v[10:11], v[125:126], -v[24:25]
	s_waitcnt vmcnt(0) lgkmcnt(1)
	v_mul_f64 v[30:31], v[2:3], v[143:144]
	v_mul_f64 v[32:33], v[4:5], v[143:144]
	s_waitcnt lgkmcnt(0)
	v_mul_f64 v[22:23], v[14:15], v[8:9]
	v_mul_f64 v[8:9], v[16:17], v[8:9]
	v_add_f64 v[18:19], v[18:19], v[28:29]
	v_add_f64 v[20:21], v[20:21], v[26:27]
	v_fma_f64 v[4:5], v[4:5], v[141:142], v[30:31]
	v_fma_f64 v[1:2], v[2:3], v[141:142], -v[32:33]
	v_fma_f64 v[16:17], v[16:17], v[6:7], v[22:23]
	v_fma_f64 v[6:7], v[14:15], v[6:7], -v[8:9]
	v_add_f64 v[10:11], v[18:19], v[10:11]
	v_add_f64 v[12:13], v[20:21], v[12:13]
	s_delay_alu instid0(VALU_DEP_2) | instskip(NEXT) | instid1(VALU_DEP_2)
	v_add_f64 v[1:2], v[10:11], v[1:2]
	v_add_f64 v[3:4], v[12:13], v[4:5]
	s_delay_alu instid0(VALU_DEP_2) | instskip(NEXT) | instid1(VALU_DEP_2)
	;; [unrolled: 3-line block ×3, first 2 shown]
	v_add_f64 v[1:2], v[131:132], -v[1:2]
	v_add_f64 v[3:4], v[133:134], -v[3:4]
	scratch_store_b128 off, v[1:4], off offset:80
	v_cmpx_lt_u32_e32 4, v94
	s_cbranch_execz .LBB91_173
; %bb.172:
	scratch_load_b128 v[1:4], v95, off
	v_mov_b32_e32 v5, 0
	s_delay_alu instid0(VALU_DEP_1)
	v_mov_b32_e32 v6, v5
	v_mov_b32_e32 v7, v5
	;; [unrolled: 1-line block ×3, first 2 shown]
	scratch_store_b128 off, v[5:8], off offset:64
	s_waitcnt vmcnt(0)
	ds_store_b128 v122, v[1:4]
.LBB91_173:
	s_or_b32 exec_lo, exec_lo, s2
	s_waitcnt lgkmcnt(0)
	s_waitcnt_vscnt null, 0x0
	s_barrier
	buffer_gl0_inv
	s_clause 0x7
	scratch_load_b128 v[2:5], off, off offset:80
	scratch_load_b128 v[6:9], off, off offset:96
	;; [unrolled: 1-line block ×8, first 2 shown]
	v_mov_b32_e32 v1, 0
	s_mov_b32 s2, exec_lo
	ds_load_b128 v[34:37], v1 offset:528
	s_clause 0x1
	scratch_load_b128 v[123:126], off, off offset:208
	scratch_load_b128 v[127:130], off, off offset:64
	ds_load_b128 v[131:134], v1 offset:544
	scratch_load_b128 v[135:138], off, off offset:224
	s_waitcnt vmcnt(10) lgkmcnt(1)
	v_mul_f64 v[139:140], v[36:37], v[4:5]
	v_mul_f64 v[4:5], v[34:35], v[4:5]
	s_delay_alu instid0(VALU_DEP_2) | instskip(NEXT) | instid1(VALU_DEP_2)
	v_fma_f64 v[145:146], v[34:35], v[2:3], -v[139:140]
	v_fma_f64 v[147:148], v[36:37], v[2:3], v[4:5]
	scratch_load_b128 v[34:37], off, off offset:240
	ds_load_b128 v[2:5], v1 offset:560
	s_waitcnt vmcnt(10) lgkmcnt(1)
	v_mul_f64 v[143:144], v[131:132], v[8:9]
	v_mul_f64 v[8:9], v[133:134], v[8:9]
	ds_load_b128 v[139:142], v1 offset:576
	s_waitcnt vmcnt(9) lgkmcnt(1)
	v_mul_f64 v[149:150], v[2:3], v[12:13]
	v_mul_f64 v[12:13], v[4:5], v[12:13]
	v_fma_f64 v[133:134], v[133:134], v[6:7], v[143:144]
	v_fma_f64 v[131:132], v[131:132], v[6:7], -v[8:9]
	v_add_f64 v[143:144], v[145:146], 0
	v_add_f64 v[145:146], v[147:148], 0
	scratch_load_b128 v[6:9], off, off offset:256
	v_fma_f64 v[149:150], v[4:5], v[10:11], v[149:150]
	v_fma_f64 v[151:152], v[2:3], v[10:11], -v[12:13]
	scratch_load_b128 v[10:13], off, off offset:272
	ds_load_b128 v[2:5], v1 offset:592
	s_waitcnt vmcnt(10) lgkmcnt(1)
	v_mul_f64 v[147:148], v[139:140], v[16:17]
	v_mul_f64 v[16:17], v[141:142], v[16:17]
	v_add_f64 v[143:144], v[143:144], v[131:132]
	v_add_f64 v[145:146], v[145:146], v[133:134]
	s_waitcnt vmcnt(9) lgkmcnt(0)
	v_mul_f64 v[153:154], v[2:3], v[20:21]
	v_mul_f64 v[20:21], v[4:5], v[20:21]
	ds_load_b128 v[131:134], v1 offset:608
	v_fma_f64 v[141:142], v[141:142], v[14:15], v[147:148]
	v_fma_f64 v[139:140], v[139:140], v[14:15], -v[16:17]
	scratch_load_b128 v[14:17], off, off offset:288
	v_add_f64 v[143:144], v[143:144], v[151:152]
	v_add_f64 v[145:146], v[145:146], v[149:150]
	v_fma_f64 v[149:150], v[4:5], v[18:19], v[153:154]
	v_fma_f64 v[151:152], v[2:3], v[18:19], -v[20:21]
	scratch_load_b128 v[18:21], off, off offset:304
	ds_load_b128 v[2:5], v1 offset:624
	s_waitcnt vmcnt(10) lgkmcnt(1)
	v_mul_f64 v[147:148], v[131:132], v[24:25]
	v_mul_f64 v[24:25], v[133:134], v[24:25]
	s_waitcnt vmcnt(9) lgkmcnt(0)
	v_mul_f64 v[153:154], v[2:3], v[28:29]
	v_mul_f64 v[28:29], v[4:5], v[28:29]
	v_add_f64 v[143:144], v[143:144], v[139:140]
	v_add_f64 v[145:146], v[145:146], v[141:142]
	ds_load_b128 v[139:142], v1 offset:640
	v_fma_f64 v[133:134], v[133:134], v[22:23], v[147:148]
	v_fma_f64 v[131:132], v[131:132], v[22:23], -v[24:25]
	scratch_load_b128 v[22:25], off, off offset:320
	v_add_f64 v[143:144], v[143:144], v[151:152]
	v_add_f64 v[145:146], v[145:146], v[149:150]
	v_fma_f64 v[149:150], v[4:5], v[26:27], v[153:154]
	v_fma_f64 v[151:152], v[2:3], v[26:27], -v[28:29]
	scratch_load_b128 v[26:29], off, off offset:336
	ds_load_b128 v[2:5], v1 offset:656
	s_waitcnt vmcnt(10) lgkmcnt(1)
	v_mul_f64 v[147:148], v[139:140], v[32:33]
	v_mul_f64 v[32:33], v[141:142], v[32:33]
	s_waitcnt vmcnt(9) lgkmcnt(0)
	v_mul_f64 v[153:154], v[2:3], v[125:126]
	v_mul_f64 v[125:126], v[4:5], v[125:126]
	v_add_f64 v[143:144], v[143:144], v[131:132]
	v_add_f64 v[145:146], v[145:146], v[133:134]
	ds_load_b128 v[131:134], v1 offset:672
	v_fma_f64 v[141:142], v[141:142], v[30:31], v[147:148]
	v_fma_f64 v[139:140], v[139:140], v[30:31], -v[32:33]
	scratch_load_b128 v[30:33], off, off offset:352
	v_add_f64 v[143:144], v[143:144], v[151:152]
	v_add_f64 v[145:146], v[145:146], v[149:150]
	v_fma_f64 v[151:152], v[4:5], v[123:124], v[153:154]
	v_fma_f64 v[153:154], v[2:3], v[123:124], -v[125:126]
	scratch_load_b128 v[123:126], off, off offset:368
	ds_load_b128 v[2:5], v1 offset:688
	s_waitcnt vmcnt(9) lgkmcnt(1)
	v_mul_f64 v[147:148], v[131:132], v[137:138]
	v_mul_f64 v[149:150], v[133:134], v[137:138]
	v_add_f64 v[143:144], v[143:144], v[139:140]
	v_add_f64 v[141:142], v[145:146], v[141:142]
	ds_load_b128 v[137:140], v1 offset:704
	v_fma_f64 v[147:148], v[133:134], v[135:136], v[147:148]
	v_fma_f64 v[135:136], v[131:132], v[135:136], -v[149:150]
	scratch_load_b128 v[131:134], off, off offset:384
	s_waitcnt vmcnt(9) lgkmcnt(1)
	v_mul_f64 v[145:146], v[2:3], v[36:37]
	v_mul_f64 v[36:37], v[4:5], v[36:37]
	v_add_f64 v[143:144], v[143:144], v[153:154]
	v_add_f64 v[141:142], v[141:142], v[151:152]
	s_delay_alu instid0(VALU_DEP_4) | instskip(NEXT) | instid1(VALU_DEP_4)
	v_fma_f64 v[145:146], v[4:5], v[34:35], v[145:146]
	v_fma_f64 v[151:152], v[2:3], v[34:35], -v[36:37]
	scratch_load_b128 v[34:37], off, off offset:400
	ds_load_b128 v[2:5], v1 offset:720
	s_waitcnt vmcnt(9) lgkmcnt(1)
	v_mul_f64 v[149:150], v[137:138], v[8:9]
	v_mul_f64 v[8:9], v[139:140], v[8:9]
	s_waitcnt vmcnt(8) lgkmcnt(0)
	v_mul_f64 v[153:154], v[2:3], v[12:13]
	v_mul_f64 v[12:13], v[4:5], v[12:13]
	v_add_f64 v[135:136], v[143:144], v[135:136]
	v_add_f64 v[147:148], v[141:142], v[147:148]
	ds_load_b128 v[141:144], v1 offset:736
	v_fma_f64 v[139:140], v[139:140], v[6:7], v[149:150]
	v_fma_f64 v[137:138], v[137:138], v[6:7], -v[8:9]
	scratch_load_b128 v[6:9], off, off offset:416
	v_fma_f64 v[149:150], v[4:5], v[10:11], v[153:154]
	v_add_f64 v[135:136], v[135:136], v[151:152]
	v_add_f64 v[145:146], v[147:148], v[145:146]
	v_fma_f64 v[151:152], v[2:3], v[10:11], -v[12:13]
	scratch_load_b128 v[10:13], off, off offset:432
	ds_load_b128 v[2:5], v1 offset:752
	s_waitcnt vmcnt(9) lgkmcnt(1)
	v_mul_f64 v[147:148], v[141:142], v[16:17]
	v_mul_f64 v[16:17], v[143:144], v[16:17]
	v_add_f64 v[153:154], v[135:136], v[137:138]
	v_add_f64 v[139:140], v[145:146], v[139:140]
	s_waitcnt vmcnt(8) lgkmcnt(0)
	v_mul_f64 v[145:146], v[2:3], v[20:21]
	v_mul_f64 v[20:21], v[4:5], v[20:21]
	ds_load_b128 v[135:138], v1 offset:768
	v_fma_f64 v[143:144], v[143:144], v[14:15], v[147:148]
	v_fma_f64 v[14:15], v[141:142], v[14:15], -v[16:17]
	s_waitcnt vmcnt(7) lgkmcnt(0)
	v_mul_f64 v[141:142], v[135:136], v[24:25]
	v_mul_f64 v[24:25], v[137:138], v[24:25]
	v_add_f64 v[16:17], v[153:154], v[151:152]
	v_add_f64 v[139:140], v[139:140], v[149:150]
	v_fma_f64 v[145:146], v[4:5], v[18:19], v[145:146]
	v_fma_f64 v[18:19], v[2:3], v[18:19], -v[20:21]
	v_fma_f64 v[137:138], v[137:138], v[22:23], v[141:142]
	v_fma_f64 v[22:23], v[135:136], v[22:23], -v[24:25]
	v_add_f64 v[20:21], v[16:17], v[14:15]
	v_add_f64 v[139:140], v[139:140], v[143:144]
	ds_load_b128 v[2:5], v1 offset:784
	ds_load_b128 v[14:17], v1 offset:800
	s_waitcnt vmcnt(6) lgkmcnt(1)
	v_mul_f64 v[143:144], v[2:3], v[28:29]
	v_mul_f64 v[28:29], v[4:5], v[28:29]
	s_waitcnt vmcnt(5) lgkmcnt(0)
	v_mul_f64 v[24:25], v[14:15], v[32:33]
	v_mul_f64 v[32:33], v[16:17], v[32:33]
	v_add_f64 v[18:19], v[20:21], v[18:19]
	v_add_f64 v[20:21], v[139:140], v[145:146]
	v_fma_f64 v[135:136], v[4:5], v[26:27], v[143:144]
	v_fma_f64 v[26:27], v[2:3], v[26:27], -v[28:29]
	v_fma_f64 v[16:17], v[16:17], v[30:31], v[24:25]
	v_fma_f64 v[14:15], v[14:15], v[30:31], -v[32:33]
	v_add_f64 v[22:23], v[18:19], v[22:23]
	v_add_f64 v[28:29], v[20:21], v[137:138]
	ds_load_b128 v[2:5], v1 offset:816
	ds_load_b128 v[18:21], v1 offset:832
	s_waitcnt vmcnt(4) lgkmcnt(1)
	v_mul_f64 v[137:138], v[2:3], v[125:126]
	v_mul_f64 v[125:126], v[4:5], v[125:126]
	v_add_f64 v[22:23], v[22:23], v[26:27]
	v_add_f64 v[24:25], v[28:29], v[135:136]
	s_waitcnt vmcnt(3) lgkmcnt(0)
	v_mul_f64 v[26:27], v[18:19], v[133:134]
	v_mul_f64 v[28:29], v[20:21], v[133:134]
	v_fma_f64 v[30:31], v[4:5], v[123:124], v[137:138]
	v_fma_f64 v[32:33], v[2:3], v[123:124], -v[125:126]
	v_add_f64 v[22:23], v[22:23], v[14:15]
	v_add_f64 v[24:25], v[24:25], v[16:17]
	ds_load_b128 v[2:5], v1 offset:848
	ds_load_b128 v[14:17], v1 offset:864
	v_fma_f64 v[20:21], v[20:21], v[131:132], v[26:27]
	v_fma_f64 v[18:19], v[18:19], v[131:132], -v[28:29]
	s_waitcnt vmcnt(2) lgkmcnt(1)
	v_mul_f64 v[123:124], v[2:3], v[36:37]
	v_mul_f64 v[36:37], v[4:5], v[36:37]
	s_waitcnt vmcnt(1) lgkmcnt(0)
	v_mul_f64 v[26:27], v[14:15], v[8:9]
	v_mul_f64 v[8:9], v[16:17], v[8:9]
	v_add_f64 v[22:23], v[22:23], v[32:33]
	v_add_f64 v[24:25], v[24:25], v[30:31]
	v_fma_f64 v[28:29], v[4:5], v[34:35], v[123:124]
	v_fma_f64 v[30:31], v[2:3], v[34:35], -v[36:37]
	ds_load_b128 v[2:5], v1 offset:880
	v_fma_f64 v[16:17], v[16:17], v[6:7], v[26:27]
	v_fma_f64 v[6:7], v[14:15], v[6:7], -v[8:9]
	v_add_f64 v[18:19], v[22:23], v[18:19]
	v_add_f64 v[20:21], v[24:25], v[20:21]
	s_waitcnt vmcnt(0) lgkmcnt(0)
	v_mul_f64 v[22:23], v[2:3], v[12:13]
	v_mul_f64 v[12:13], v[4:5], v[12:13]
	s_delay_alu instid0(VALU_DEP_4) | instskip(NEXT) | instid1(VALU_DEP_4)
	v_add_f64 v[8:9], v[18:19], v[30:31]
	v_add_f64 v[14:15], v[20:21], v[28:29]
	s_delay_alu instid0(VALU_DEP_4) | instskip(NEXT) | instid1(VALU_DEP_4)
	v_fma_f64 v[4:5], v[4:5], v[10:11], v[22:23]
	v_fma_f64 v[2:3], v[2:3], v[10:11], -v[12:13]
	s_delay_alu instid0(VALU_DEP_4) | instskip(NEXT) | instid1(VALU_DEP_4)
	v_add_f64 v[6:7], v[8:9], v[6:7]
	v_add_f64 v[8:9], v[14:15], v[16:17]
	s_delay_alu instid0(VALU_DEP_2) | instskip(NEXT) | instid1(VALU_DEP_2)
	v_add_f64 v[2:3], v[6:7], v[2:3]
	v_add_f64 v[4:5], v[8:9], v[4:5]
	s_delay_alu instid0(VALU_DEP_2) | instskip(NEXT) | instid1(VALU_DEP_2)
	v_add_f64 v[2:3], v[127:128], -v[2:3]
	v_add_f64 v[4:5], v[129:130], -v[4:5]
	scratch_store_b128 off, v[2:5], off offset:64
	v_cmpx_lt_u32_e32 3, v94
	s_cbranch_execz .LBB91_175
; %bb.174:
	scratch_load_b128 v[5:8], v97, off
	v_mov_b32_e32 v2, v1
	v_mov_b32_e32 v3, v1
	;; [unrolled: 1-line block ×3, first 2 shown]
	scratch_store_b128 off, v[1:4], off offset:48
	s_waitcnt vmcnt(0)
	ds_store_b128 v122, v[5:8]
.LBB91_175:
	s_or_b32 exec_lo, exec_lo, s2
	s_waitcnt lgkmcnt(0)
	s_waitcnt_vscnt null, 0x0
	s_barrier
	buffer_gl0_inv
	s_clause 0x8
	scratch_load_b128 v[2:5], off, off offset:64
	scratch_load_b128 v[6:9], off, off offset:80
	;; [unrolled: 1-line block ×9, first 2 shown]
	ds_load_b128 v[123:126], v1 offset:512
	ds_load_b128 v[127:130], v1 offset:528
	s_clause 0x1
	scratch_load_b128 v[131:134], off, off offset:48
	scratch_load_b128 v[135:138], off, off offset:208
	s_mov_b32 s2, exec_lo
	s_waitcnt vmcnt(10) lgkmcnt(1)
	v_mul_f64 v[139:140], v[125:126], v[4:5]
	v_mul_f64 v[4:5], v[123:124], v[4:5]
	s_waitcnt vmcnt(9) lgkmcnt(0)
	v_mul_f64 v[143:144], v[127:128], v[8:9]
	v_mul_f64 v[8:9], v[129:130], v[8:9]
	s_delay_alu instid0(VALU_DEP_4) | instskip(NEXT) | instid1(VALU_DEP_4)
	v_fma_f64 v[145:146], v[123:124], v[2:3], -v[139:140]
	v_fma_f64 v[147:148], v[125:126], v[2:3], v[4:5]
	ds_load_b128 v[2:5], v1 offset:544
	ds_load_b128 v[139:142], v1 offset:560
	scratch_load_b128 v[123:126], off, off offset:224
	v_fma_f64 v[129:130], v[129:130], v[6:7], v[143:144]
	v_fma_f64 v[127:128], v[127:128], v[6:7], -v[8:9]
	scratch_load_b128 v[6:9], off, off offset:240
	s_waitcnt vmcnt(10) lgkmcnt(1)
	v_mul_f64 v[149:150], v[2:3], v[12:13]
	v_mul_f64 v[12:13], v[4:5], v[12:13]
	v_add_f64 v[143:144], v[145:146], 0
	v_add_f64 v[145:146], v[147:148], 0
	s_waitcnt vmcnt(9) lgkmcnt(0)
	v_mul_f64 v[147:148], v[139:140], v[16:17]
	v_mul_f64 v[16:17], v[141:142], v[16:17]
	v_fma_f64 v[149:150], v[4:5], v[10:11], v[149:150]
	v_fma_f64 v[151:152], v[2:3], v[10:11], -v[12:13]
	ds_load_b128 v[2:5], v1 offset:576
	scratch_load_b128 v[10:13], off, off offset:256
	v_add_f64 v[143:144], v[143:144], v[127:128]
	v_add_f64 v[145:146], v[145:146], v[129:130]
	ds_load_b128 v[127:130], v1 offset:592
	v_fma_f64 v[141:142], v[141:142], v[14:15], v[147:148]
	v_fma_f64 v[139:140], v[139:140], v[14:15], -v[16:17]
	scratch_load_b128 v[14:17], off, off offset:272
	s_waitcnt vmcnt(10) lgkmcnt(1)
	v_mul_f64 v[153:154], v[2:3], v[20:21]
	v_mul_f64 v[20:21], v[4:5], v[20:21]
	s_waitcnt vmcnt(9) lgkmcnt(0)
	v_mul_f64 v[147:148], v[127:128], v[24:25]
	v_mul_f64 v[24:25], v[129:130], v[24:25]
	v_add_f64 v[143:144], v[143:144], v[151:152]
	v_add_f64 v[145:146], v[145:146], v[149:150]
	v_fma_f64 v[149:150], v[4:5], v[18:19], v[153:154]
	v_fma_f64 v[151:152], v[2:3], v[18:19], -v[20:21]
	ds_load_b128 v[2:5], v1 offset:608
	scratch_load_b128 v[18:21], off, off offset:288
	v_fma_f64 v[129:130], v[129:130], v[22:23], v[147:148]
	v_fma_f64 v[127:128], v[127:128], v[22:23], -v[24:25]
	scratch_load_b128 v[22:25], off, off offset:304
	v_add_f64 v[143:144], v[143:144], v[139:140]
	v_add_f64 v[145:146], v[145:146], v[141:142]
	ds_load_b128 v[139:142], v1 offset:624
	s_waitcnt vmcnt(10) lgkmcnt(1)
	v_mul_f64 v[153:154], v[2:3], v[28:29]
	v_mul_f64 v[28:29], v[4:5], v[28:29]
	s_waitcnt vmcnt(9) lgkmcnt(0)
	v_mul_f64 v[147:148], v[139:140], v[32:33]
	v_mul_f64 v[32:33], v[141:142], v[32:33]
	v_add_f64 v[143:144], v[143:144], v[151:152]
	v_add_f64 v[145:146], v[145:146], v[149:150]
	v_fma_f64 v[149:150], v[4:5], v[26:27], v[153:154]
	v_fma_f64 v[151:152], v[2:3], v[26:27], -v[28:29]
	ds_load_b128 v[2:5], v1 offset:640
	scratch_load_b128 v[26:29], off, off offset:320
	v_fma_f64 v[141:142], v[141:142], v[30:31], v[147:148]
	v_fma_f64 v[139:140], v[139:140], v[30:31], -v[32:33]
	scratch_load_b128 v[30:33], off, off offset:336
	v_add_f64 v[143:144], v[143:144], v[127:128]
	v_add_f64 v[145:146], v[145:146], v[129:130]
	ds_load_b128 v[127:130], v1 offset:656
	s_waitcnt vmcnt(10) lgkmcnt(1)
	v_mul_f64 v[153:154], v[2:3], v[36:37]
	v_mul_f64 v[36:37], v[4:5], v[36:37]
	s_waitcnt vmcnt(8) lgkmcnt(0)
	v_mul_f64 v[147:148], v[127:128], v[137:138]
	v_add_f64 v[143:144], v[143:144], v[151:152]
	v_add_f64 v[145:146], v[145:146], v[149:150]
	v_mul_f64 v[149:150], v[129:130], v[137:138]
	v_fma_f64 v[151:152], v[4:5], v[34:35], v[153:154]
	v_fma_f64 v[153:154], v[2:3], v[34:35], -v[36:37]
	ds_load_b128 v[2:5], v1 offset:672
	scratch_load_b128 v[34:37], off, off offset:352
	v_fma_f64 v[129:130], v[129:130], v[135:136], v[147:148]
	v_add_f64 v[143:144], v[143:144], v[139:140]
	v_add_f64 v[141:142], v[145:146], v[141:142]
	ds_load_b128 v[137:140], v1 offset:688
	v_fma_f64 v[135:136], v[127:128], v[135:136], -v[149:150]
	s_waitcnt vmcnt(8) lgkmcnt(1)
	v_mul_f64 v[145:146], v[2:3], v[125:126]
	v_mul_f64 v[155:156], v[4:5], v[125:126]
	scratch_load_b128 v[125:128], off, off offset:368
	s_waitcnt vmcnt(8) lgkmcnt(0)
	v_mul_f64 v[149:150], v[137:138], v[8:9]
	v_mul_f64 v[8:9], v[139:140], v[8:9]
	v_add_f64 v[143:144], v[143:144], v[153:154]
	v_add_f64 v[141:142], v[141:142], v[151:152]
	v_fma_f64 v[151:152], v[4:5], v[123:124], v[145:146]
	v_fma_f64 v[123:124], v[2:3], v[123:124], -v[155:156]
	ds_load_b128 v[2:5], v1 offset:704
	ds_load_b128 v[145:148], v1 offset:720
	v_fma_f64 v[139:140], v[139:140], v[6:7], v[149:150]
	v_fma_f64 v[137:138], v[137:138], v[6:7], -v[8:9]
	scratch_load_b128 v[6:9], off, off offset:400
	v_add_f64 v[135:136], v[143:144], v[135:136]
	v_add_f64 v[129:130], v[141:142], v[129:130]
	scratch_load_b128 v[141:144], off, off offset:384
	s_waitcnt vmcnt(9) lgkmcnt(1)
	v_mul_f64 v[153:154], v[2:3], v[12:13]
	v_mul_f64 v[12:13], v[4:5], v[12:13]
	s_waitcnt vmcnt(8) lgkmcnt(0)
	v_mul_f64 v[149:150], v[145:146], v[16:17]
	v_mul_f64 v[16:17], v[147:148], v[16:17]
	v_add_f64 v[123:124], v[135:136], v[123:124]
	v_add_f64 v[129:130], v[129:130], v[151:152]
	v_fma_f64 v[151:152], v[4:5], v[10:11], v[153:154]
	v_fma_f64 v[153:154], v[2:3], v[10:11], -v[12:13]
	ds_load_b128 v[2:5], v1 offset:736
	scratch_load_b128 v[10:13], off, off offset:416
	v_fma_f64 v[147:148], v[147:148], v[14:15], v[149:150]
	v_fma_f64 v[145:146], v[145:146], v[14:15], -v[16:17]
	scratch_load_b128 v[14:17], off, off offset:432
	v_add_f64 v[123:124], v[123:124], v[137:138]
	v_add_f64 v[129:130], v[129:130], v[139:140]
	ds_load_b128 v[135:138], v1 offset:752
	s_waitcnt vmcnt(9) lgkmcnt(1)
	v_mul_f64 v[139:140], v[2:3], v[20:21]
	v_mul_f64 v[20:21], v[4:5], v[20:21]
	s_waitcnt vmcnt(8) lgkmcnt(0)
	v_mul_f64 v[149:150], v[135:136], v[24:25]
	v_mul_f64 v[24:25], v[137:138], v[24:25]
	v_add_f64 v[123:124], v[123:124], v[153:154]
	v_add_f64 v[129:130], v[129:130], v[151:152]
	v_fma_f64 v[139:140], v[4:5], v[18:19], v[139:140]
	v_fma_f64 v[151:152], v[2:3], v[18:19], -v[20:21]
	ds_load_b128 v[2:5], v1 offset:768
	ds_load_b128 v[18:21], v1 offset:784
	v_fma_f64 v[137:138], v[137:138], v[22:23], v[149:150]
	v_fma_f64 v[22:23], v[135:136], v[22:23], -v[24:25]
	v_add_f64 v[123:124], v[123:124], v[145:146]
	v_add_f64 v[129:130], v[129:130], v[147:148]
	s_waitcnt vmcnt(7) lgkmcnt(1)
	v_mul_f64 v[145:146], v[2:3], v[28:29]
	v_mul_f64 v[28:29], v[4:5], v[28:29]
	s_delay_alu instid0(VALU_DEP_4) | instskip(NEXT) | instid1(VALU_DEP_4)
	v_add_f64 v[24:25], v[123:124], v[151:152]
	v_add_f64 v[123:124], v[129:130], v[139:140]
	s_waitcnt vmcnt(6) lgkmcnt(0)
	v_mul_f64 v[129:130], v[18:19], v[32:33]
	v_mul_f64 v[32:33], v[20:21], v[32:33]
	v_fma_f64 v[135:136], v[4:5], v[26:27], v[145:146]
	v_fma_f64 v[26:27], v[2:3], v[26:27], -v[28:29]
	v_add_f64 v[28:29], v[24:25], v[22:23]
	v_add_f64 v[123:124], v[123:124], v[137:138]
	ds_load_b128 v[2:5], v1 offset:800
	ds_load_b128 v[22:25], v1 offset:816
	v_fma_f64 v[20:21], v[20:21], v[30:31], v[129:130]
	v_fma_f64 v[18:19], v[18:19], v[30:31], -v[32:33]
	s_waitcnt vmcnt(5) lgkmcnt(1)
	v_mul_f64 v[137:138], v[2:3], v[36:37]
	v_mul_f64 v[36:37], v[4:5], v[36:37]
	s_waitcnt vmcnt(4) lgkmcnt(0)
	v_mul_f64 v[30:31], v[22:23], v[127:128]
	v_add_f64 v[26:27], v[28:29], v[26:27]
	v_add_f64 v[28:29], v[123:124], v[135:136]
	v_mul_f64 v[32:33], v[24:25], v[127:128]
	v_fma_f64 v[123:124], v[4:5], v[34:35], v[137:138]
	v_fma_f64 v[34:35], v[2:3], v[34:35], -v[36:37]
	v_fma_f64 v[24:25], v[24:25], v[125:126], v[30:31]
	v_add_f64 v[26:27], v[26:27], v[18:19]
	v_add_f64 v[28:29], v[28:29], v[20:21]
	ds_load_b128 v[2:5], v1 offset:832
	ds_load_b128 v[18:21], v1 offset:848
	v_fma_f64 v[22:23], v[22:23], v[125:126], -v[32:33]
	s_waitcnt vmcnt(2) lgkmcnt(1)
	v_mul_f64 v[36:37], v[2:3], v[143:144]
	v_mul_f64 v[127:128], v[4:5], v[143:144]
	s_waitcnt lgkmcnt(0)
	v_mul_f64 v[30:31], v[18:19], v[8:9]
	v_mul_f64 v[8:9], v[20:21], v[8:9]
	v_add_f64 v[26:27], v[26:27], v[34:35]
	v_add_f64 v[28:29], v[28:29], v[123:124]
	v_fma_f64 v[32:33], v[4:5], v[141:142], v[36:37]
	v_fma_f64 v[34:35], v[2:3], v[141:142], -v[127:128]
	v_fma_f64 v[20:21], v[20:21], v[6:7], v[30:31]
	v_fma_f64 v[6:7], v[18:19], v[6:7], -v[8:9]
	v_add_f64 v[26:27], v[26:27], v[22:23]
	v_add_f64 v[28:29], v[28:29], v[24:25]
	ds_load_b128 v[2:5], v1 offset:864
	ds_load_b128 v[22:25], v1 offset:880
	s_waitcnt vmcnt(1) lgkmcnt(1)
	v_mul_f64 v[36:37], v[2:3], v[12:13]
	v_mul_f64 v[12:13], v[4:5], v[12:13]
	v_add_f64 v[8:9], v[26:27], v[34:35]
	v_add_f64 v[18:19], v[28:29], v[32:33]
	s_waitcnt vmcnt(0) lgkmcnt(0)
	v_mul_f64 v[26:27], v[22:23], v[16:17]
	v_mul_f64 v[16:17], v[24:25], v[16:17]
	v_fma_f64 v[4:5], v[4:5], v[10:11], v[36:37]
	v_fma_f64 v[1:2], v[2:3], v[10:11], -v[12:13]
	v_add_f64 v[6:7], v[8:9], v[6:7]
	v_add_f64 v[8:9], v[18:19], v[20:21]
	v_fma_f64 v[10:11], v[24:25], v[14:15], v[26:27]
	v_fma_f64 v[12:13], v[22:23], v[14:15], -v[16:17]
	s_delay_alu instid0(VALU_DEP_4) | instskip(NEXT) | instid1(VALU_DEP_4)
	v_add_f64 v[1:2], v[6:7], v[1:2]
	v_add_f64 v[3:4], v[8:9], v[4:5]
	s_delay_alu instid0(VALU_DEP_2) | instskip(NEXT) | instid1(VALU_DEP_2)
	v_add_f64 v[1:2], v[1:2], v[12:13]
	v_add_f64 v[3:4], v[3:4], v[10:11]
	s_delay_alu instid0(VALU_DEP_2) | instskip(NEXT) | instid1(VALU_DEP_2)
	v_add_f64 v[1:2], v[131:132], -v[1:2]
	v_add_f64 v[3:4], v[133:134], -v[3:4]
	scratch_store_b128 off, v[1:4], off offset:48
	v_cmpx_lt_u32_e32 2, v94
	s_cbranch_execz .LBB91_177
; %bb.176:
	scratch_load_b128 v[1:4], v96, off
	v_mov_b32_e32 v5, 0
	s_delay_alu instid0(VALU_DEP_1)
	v_mov_b32_e32 v6, v5
	v_mov_b32_e32 v7, v5
	;; [unrolled: 1-line block ×3, first 2 shown]
	scratch_store_b128 off, v[5:8], off offset:32
	s_waitcnt vmcnt(0)
	ds_store_b128 v122, v[1:4]
.LBB91_177:
	s_or_b32 exec_lo, exec_lo, s2
	s_waitcnt lgkmcnt(0)
	s_waitcnt_vscnt null, 0x0
	s_barrier
	buffer_gl0_inv
	s_clause 0x7
	scratch_load_b128 v[2:5], off, off offset:48
	scratch_load_b128 v[6:9], off, off offset:64
	;; [unrolled: 1-line block ×8, first 2 shown]
	v_mov_b32_e32 v1, 0
	s_mov_b32 s2, exec_lo
	ds_load_b128 v[34:37], v1 offset:496
	s_clause 0x1
	scratch_load_b128 v[123:126], off, off offset:176
	scratch_load_b128 v[127:130], off, off offset:32
	ds_load_b128 v[131:134], v1 offset:512
	scratch_load_b128 v[135:138], off, off offset:192
	s_waitcnt vmcnt(10) lgkmcnt(1)
	v_mul_f64 v[139:140], v[36:37], v[4:5]
	v_mul_f64 v[4:5], v[34:35], v[4:5]
	s_delay_alu instid0(VALU_DEP_2) | instskip(NEXT) | instid1(VALU_DEP_2)
	v_fma_f64 v[145:146], v[34:35], v[2:3], -v[139:140]
	v_fma_f64 v[147:148], v[36:37], v[2:3], v[4:5]
	scratch_load_b128 v[34:37], off, off offset:208
	ds_load_b128 v[2:5], v1 offset:528
	s_waitcnt vmcnt(10) lgkmcnt(1)
	v_mul_f64 v[143:144], v[131:132], v[8:9]
	v_mul_f64 v[8:9], v[133:134], v[8:9]
	ds_load_b128 v[139:142], v1 offset:544
	s_waitcnt vmcnt(9) lgkmcnt(1)
	v_mul_f64 v[149:150], v[2:3], v[12:13]
	v_mul_f64 v[12:13], v[4:5], v[12:13]
	v_fma_f64 v[133:134], v[133:134], v[6:7], v[143:144]
	v_fma_f64 v[131:132], v[131:132], v[6:7], -v[8:9]
	v_add_f64 v[143:144], v[145:146], 0
	v_add_f64 v[145:146], v[147:148], 0
	scratch_load_b128 v[6:9], off, off offset:224
	v_fma_f64 v[149:150], v[4:5], v[10:11], v[149:150]
	v_fma_f64 v[151:152], v[2:3], v[10:11], -v[12:13]
	scratch_load_b128 v[10:13], off, off offset:240
	ds_load_b128 v[2:5], v1 offset:560
	s_waitcnt vmcnt(10) lgkmcnt(1)
	v_mul_f64 v[147:148], v[139:140], v[16:17]
	v_mul_f64 v[16:17], v[141:142], v[16:17]
	v_add_f64 v[143:144], v[143:144], v[131:132]
	v_add_f64 v[145:146], v[145:146], v[133:134]
	s_waitcnt vmcnt(9) lgkmcnt(0)
	v_mul_f64 v[153:154], v[2:3], v[20:21]
	v_mul_f64 v[20:21], v[4:5], v[20:21]
	ds_load_b128 v[131:134], v1 offset:576
	v_fma_f64 v[141:142], v[141:142], v[14:15], v[147:148]
	v_fma_f64 v[139:140], v[139:140], v[14:15], -v[16:17]
	scratch_load_b128 v[14:17], off, off offset:256
	v_add_f64 v[143:144], v[143:144], v[151:152]
	v_add_f64 v[145:146], v[145:146], v[149:150]
	v_fma_f64 v[149:150], v[4:5], v[18:19], v[153:154]
	v_fma_f64 v[151:152], v[2:3], v[18:19], -v[20:21]
	scratch_load_b128 v[18:21], off, off offset:272
	ds_load_b128 v[2:5], v1 offset:592
	s_waitcnt vmcnt(10) lgkmcnt(1)
	v_mul_f64 v[147:148], v[131:132], v[24:25]
	v_mul_f64 v[24:25], v[133:134], v[24:25]
	s_waitcnt vmcnt(9) lgkmcnt(0)
	v_mul_f64 v[153:154], v[2:3], v[28:29]
	v_mul_f64 v[28:29], v[4:5], v[28:29]
	v_add_f64 v[143:144], v[143:144], v[139:140]
	v_add_f64 v[145:146], v[145:146], v[141:142]
	ds_load_b128 v[139:142], v1 offset:608
	v_fma_f64 v[133:134], v[133:134], v[22:23], v[147:148]
	v_fma_f64 v[131:132], v[131:132], v[22:23], -v[24:25]
	scratch_load_b128 v[22:25], off, off offset:288
	v_add_f64 v[143:144], v[143:144], v[151:152]
	v_add_f64 v[145:146], v[145:146], v[149:150]
	v_fma_f64 v[149:150], v[4:5], v[26:27], v[153:154]
	v_fma_f64 v[151:152], v[2:3], v[26:27], -v[28:29]
	scratch_load_b128 v[26:29], off, off offset:304
	ds_load_b128 v[2:5], v1 offset:624
	s_waitcnt vmcnt(10) lgkmcnt(1)
	v_mul_f64 v[147:148], v[139:140], v[32:33]
	v_mul_f64 v[32:33], v[141:142], v[32:33]
	s_waitcnt vmcnt(9) lgkmcnt(0)
	v_mul_f64 v[153:154], v[2:3], v[125:126]
	v_mul_f64 v[125:126], v[4:5], v[125:126]
	v_add_f64 v[143:144], v[143:144], v[131:132]
	v_add_f64 v[145:146], v[145:146], v[133:134]
	ds_load_b128 v[131:134], v1 offset:640
	v_fma_f64 v[141:142], v[141:142], v[30:31], v[147:148]
	v_fma_f64 v[139:140], v[139:140], v[30:31], -v[32:33]
	scratch_load_b128 v[30:33], off, off offset:320
	v_add_f64 v[143:144], v[143:144], v[151:152]
	v_add_f64 v[145:146], v[145:146], v[149:150]
	v_fma_f64 v[151:152], v[4:5], v[123:124], v[153:154]
	v_fma_f64 v[153:154], v[2:3], v[123:124], -v[125:126]
	scratch_load_b128 v[123:126], off, off offset:336
	ds_load_b128 v[2:5], v1 offset:656
	s_waitcnt vmcnt(9) lgkmcnt(1)
	v_mul_f64 v[147:148], v[131:132], v[137:138]
	v_mul_f64 v[149:150], v[133:134], v[137:138]
	v_add_f64 v[143:144], v[143:144], v[139:140]
	v_add_f64 v[141:142], v[145:146], v[141:142]
	ds_load_b128 v[137:140], v1 offset:672
	v_fma_f64 v[147:148], v[133:134], v[135:136], v[147:148]
	v_fma_f64 v[135:136], v[131:132], v[135:136], -v[149:150]
	scratch_load_b128 v[131:134], off, off offset:352
	s_waitcnt vmcnt(9) lgkmcnt(1)
	v_mul_f64 v[145:146], v[2:3], v[36:37]
	v_mul_f64 v[36:37], v[4:5], v[36:37]
	v_add_f64 v[143:144], v[143:144], v[153:154]
	v_add_f64 v[141:142], v[141:142], v[151:152]
	s_delay_alu instid0(VALU_DEP_4) | instskip(NEXT) | instid1(VALU_DEP_4)
	v_fma_f64 v[145:146], v[4:5], v[34:35], v[145:146]
	v_fma_f64 v[151:152], v[2:3], v[34:35], -v[36:37]
	scratch_load_b128 v[34:37], off, off offset:368
	ds_load_b128 v[2:5], v1 offset:688
	s_waitcnt vmcnt(9) lgkmcnt(1)
	v_mul_f64 v[149:150], v[137:138], v[8:9]
	v_mul_f64 v[8:9], v[139:140], v[8:9]
	s_waitcnt vmcnt(8) lgkmcnt(0)
	v_mul_f64 v[153:154], v[2:3], v[12:13]
	v_mul_f64 v[12:13], v[4:5], v[12:13]
	v_add_f64 v[135:136], v[143:144], v[135:136]
	v_add_f64 v[147:148], v[141:142], v[147:148]
	ds_load_b128 v[141:144], v1 offset:704
	v_fma_f64 v[139:140], v[139:140], v[6:7], v[149:150]
	v_fma_f64 v[137:138], v[137:138], v[6:7], -v[8:9]
	scratch_load_b128 v[6:9], off, off offset:384
	v_fma_f64 v[149:150], v[4:5], v[10:11], v[153:154]
	v_add_f64 v[135:136], v[135:136], v[151:152]
	v_add_f64 v[145:146], v[147:148], v[145:146]
	v_fma_f64 v[151:152], v[2:3], v[10:11], -v[12:13]
	scratch_load_b128 v[10:13], off, off offset:400
	ds_load_b128 v[2:5], v1 offset:720
	s_waitcnt vmcnt(9) lgkmcnt(1)
	v_mul_f64 v[147:148], v[141:142], v[16:17]
	v_mul_f64 v[16:17], v[143:144], v[16:17]
	v_add_f64 v[153:154], v[135:136], v[137:138]
	v_add_f64 v[139:140], v[145:146], v[139:140]
	s_waitcnt vmcnt(8) lgkmcnt(0)
	v_mul_f64 v[145:146], v[2:3], v[20:21]
	v_mul_f64 v[20:21], v[4:5], v[20:21]
	ds_load_b128 v[135:138], v1 offset:736
	v_fma_f64 v[143:144], v[143:144], v[14:15], v[147:148]
	v_fma_f64 v[141:142], v[141:142], v[14:15], -v[16:17]
	scratch_load_b128 v[14:17], off, off offset:416
	v_add_f64 v[147:148], v[153:154], v[151:152]
	v_add_f64 v[139:140], v[139:140], v[149:150]
	v_fma_f64 v[145:146], v[4:5], v[18:19], v[145:146]
	v_fma_f64 v[151:152], v[2:3], v[18:19], -v[20:21]
	scratch_load_b128 v[18:21], off, off offset:432
	ds_load_b128 v[2:5], v1 offset:752
	s_waitcnt vmcnt(9) lgkmcnt(1)
	v_mul_f64 v[149:150], v[135:136], v[24:25]
	v_mul_f64 v[24:25], v[137:138], v[24:25]
	s_waitcnt vmcnt(8) lgkmcnt(0)
	v_mul_f64 v[153:154], v[2:3], v[28:29]
	v_mul_f64 v[28:29], v[4:5], v[28:29]
	v_add_f64 v[147:148], v[147:148], v[141:142]
	v_add_f64 v[143:144], v[139:140], v[143:144]
	ds_load_b128 v[139:142], v1 offset:768
	v_fma_f64 v[137:138], v[137:138], v[22:23], v[149:150]
	v_fma_f64 v[22:23], v[135:136], v[22:23], -v[24:25]
	v_add_f64 v[24:25], v[147:148], v[151:152]
	v_add_f64 v[135:136], v[143:144], v[145:146]
	s_waitcnt vmcnt(7) lgkmcnt(0)
	v_mul_f64 v[143:144], v[139:140], v[32:33]
	v_mul_f64 v[32:33], v[141:142], v[32:33]
	v_fma_f64 v[145:146], v[4:5], v[26:27], v[153:154]
	v_fma_f64 v[26:27], v[2:3], v[26:27], -v[28:29]
	v_add_f64 v[28:29], v[24:25], v[22:23]
	v_add_f64 v[135:136], v[135:136], v[137:138]
	ds_load_b128 v[2:5], v1 offset:784
	ds_load_b128 v[22:25], v1 offset:800
	v_fma_f64 v[141:142], v[141:142], v[30:31], v[143:144]
	v_fma_f64 v[30:31], v[139:140], v[30:31], -v[32:33]
	s_waitcnt vmcnt(6) lgkmcnt(1)
	v_mul_f64 v[137:138], v[2:3], v[125:126]
	v_mul_f64 v[125:126], v[4:5], v[125:126]
	s_waitcnt vmcnt(5) lgkmcnt(0)
	v_mul_f64 v[32:33], v[22:23], v[133:134]
	v_mul_f64 v[133:134], v[24:25], v[133:134]
	v_add_f64 v[26:27], v[28:29], v[26:27]
	v_add_f64 v[28:29], v[135:136], v[145:146]
	v_fma_f64 v[135:136], v[4:5], v[123:124], v[137:138]
	v_fma_f64 v[123:124], v[2:3], v[123:124], -v[125:126]
	v_fma_f64 v[24:25], v[24:25], v[131:132], v[32:33]
	v_fma_f64 v[22:23], v[22:23], v[131:132], -v[133:134]
	v_add_f64 v[30:31], v[26:27], v[30:31]
	v_add_f64 v[125:126], v[28:29], v[141:142]
	ds_load_b128 v[2:5], v1 offset:816
	ds_load_b128 v[26:29], v1 offset:832
	s_waitcnt vmcnt(4) lgkmcnt(1)
	v_mul_f64 v[137:138], v[2:3], v[36:37]
	v_mul_f64 v[36:37], v[4:5], v[36:37]
	v_add_f64 v[30:31], v[30:31], v[123:124]
	v_add_f64 v[32:33], v[125:126], v[135:136]
	s_waitcnt vmcnt(3) lgkmcnt(0)
	v_mul_f64 v[123:124], v[26:27], v[8:9]
	v_mul_f64 v[8:9], v[28:29], v[8:9]
	v_fma_f64 v[125:126], v[4:5], v[34:35], v[137:138]
	v_fma_f64 v[34:35], v[2:3], v[34:35], -v[36:37]
	v_add_f64 v[30:31], v[30:31], v[22:23]
	v_add_f64 v[32:33], v[32:33], v[24:25]
	ds_load_b128 v[2:5], v1 offset:848
	ds_load_b128 v[22:25], v1 offset:864
	v_fma_f64 v[28:29], v[28:29], v[6:7], v[123:124]
	v_fma_f64 v[6:7], v[26:27], v[6:7], -v[8:9]
	s_waitcnt vmcnt(2) lgkmcnt(1)
	v_mul_f64 v[36:37], v[2:3], v[12:13]
	v_mul_f64 v[12:13], v[4:5], v[12:13]
	v_add_f64 v[8:9], v[30:31], v[34:35]
	v_add_f64 v[26:27], v[32:33], v[125:126]
	s_waitcnt vmcnt(1) lgkmcnt(0)
	v_mul_f64 v[30:31], v[22:23], v[16:17]
	v_mul_f64 v[16:17], v[24:25], v[16:17]
	v_fma_f64 v[32:33], v[4:5], v[10:11], v[36:37]
	v_fma_f64 v[10:11], v[2:3], v[10:11], -v[12:13]
	ds_load_b128 v[2:5], v1 offset:880
	v_add_f64 v[6:7], v[8:9], v[6:7]
	v_add_f64 v[8:9], v[26:27], v[28:29]
	v_fma_f64 v[24:25], v[24:25], v[14:15], v[30:31]
	v_fma_f64 v[14:15], v[22:23], v[14:15], -v[16:17]
	s_waitcnt vmcnt(0) lgkmcnt(0)
	v_mul_f64 v[12:13], v[2:3], v[20:21]
	v_mul_f64 v[20:21], v[4:5], v[20:21]
	v_add_f64 v[6:7], v[6:7], v[10:11]
	v_add_f64 v[8:9], v[8:9], v[32:33]
	s_delay_alu instid0(VALU_DEP_4) | instskip(NEXT) | instid1(VALU_DEP_4)
	v_fma_f64 v[4:5], v[4:5], v[18:19], v[12:13]
	v_fma_f64 v[2:3], v[2:3], v[18:19], -v[20:21]
	s_delay_alu instid0(VALU_DEP_4) | instskip(NEXT) | instid1(VALU_DEP_4)
	v_add_f64 v[6:7], v[6:7], v[14:15]
	v_add_f64 v[8:9], v[8:9], v[24:25]
	s_delay_alu instid0(VALU_DEP_2) | instskip(NEXT) | instid1(VALU_DEP_2)
	v_add_f64 v[2:3], v[6:7], v[2:3]
	v_add_f64 v[4:5], v[8:9], v[4:5]
	s_delay_alu instid0(VALU_DEP_2) | instskip(NEXT) | instid1(VALU_DEP_2)
	v_add_f64 v[2:3], v[127:128], -v[2:3]
	v_add_f64 v[4:5], v[129:130], -v[4:5]
	scratch_store_b128 off, v[2:5], off offset:32
	v_cmpx_lt_u32_e32 1, v94
	s_cbranch_execz .LBB91_179
; %bb.178:
	scratch_load_b128 v[5:8], v98, off
	v_mov_b32_e32 v2, v1
	v_mov_b32_e32 v3, v1
	;; [unrolled: 1-line block ×3, first 2 shown]
	scratch_store_b128 off, v[1:4], off offset:16
	s_waitcnt vmcnt(0)
	ds_store_b128 v122, v[5:8]
.LBB91_179:
	s_or_b32 exec_lo, exec_lo, s2
	s_waitcnt lgkmcnt(0)
	s_waitcnt_vscnt null, 0x0
	s_barrier
	buffer_gl0_inv
	s_clause 0x8
	scratch_load_b128 v[2:5], off, off offset:32
	scratch_load_b128 v[6:9], off, off offset:48
	;; [unrolled: 1-line block ×9, first 2 shown]
	ds_load_b128 v[123:126], v1 offset:480
	ds_load_b128 v[127:130], v1 offset:496
	s_clause 0x1
	scratch_load_b128 v[131:134], off, off offset:16
	scratch_load_b128 v[135:138], off, off offset:176
	s_mov_b32 s2, exec_lo
	s_waitcnt vmcnt(10) lgkmcnt(1)
	v_mul_f64 v[139:140], v[125:126], v[4:5]
	v_mul_f64 v[4:5], v[123:124], v[4:5]
	s_waitcnt vmcnt(9) lgkmcnt(0)
	v_mul_f64 v[143:144], v[127:128], v[8:9]
	v_mul_f64 v[8:9], v[129:130], v[8:9]
	s_delay_alu instid0(VALU_DEP_4) | instskip(NEXT) | instid1(VALU_DEP_4)
	v_fma_f64 v[145:146], v[123:124], v[2:3], -v[139:140]
	v_fma_f64 v[147:148], v[125:126], v[2:3], v[4:5]
	ds_load_b128 v[2:5], v1 offset:512
	ds_load_b128 v[139:142], v1 offset:528
	scratch_load_b128 v[123:126], off, off offset:192
	v_fma_f64 v[129:130], v[129:130], v[6:7], v[143:144]
	v_fma_f64 v[127:128], v[127:128], v[6:7], -v[8:9]
	scratch_load_b128 v[6:9], off, off offset:208
	s_waitcnt vmcnt(10) lgkmcnt(1)
	v_mul_f64 v[149:150], v[2:3], v[12:13]
	v_mul_f64 v[12:13], v[4:5], v[12:13]
	v_add_f64 v[143:144], v[145:146], 0
	v_add_f64 v[145:146], v[147:148], 0
	s_waitcnt vmcnt(9) lgkmcnt(0)
	v_mul_f64 v[147:148], v[139:140], v[16:17]
	v_mul_f64 v[16:17], v[141:142], v[16:17]
	v_fma_f64 v[149:150], v[4:5], v[10:11], v[149:150]
	v_fma_f64 v[151:152], v[2:3], v[10:11], -v[12:13]
	ds_load_b128 v[2:5], v1 offset:544
	scratch_load_b128 v[10:13], off, off offset:224
	v_add_f64 v[143:144], v[143:144], v[127:128]
	v_add_f64 v[145:146], v[145:146], v[129:130]
	ds_load_b128 v[127:130], v1 offset:560
	v_fma_f64 v[141:142], v[141:142], v[14:15], v[147:148]
	v_fma_f64 v[139:140], v[139:140], v[14:15], -v[16:17]
	scratch_load_b128 v[14:17], off, off offset:240
	s_waitcnt vmcnt(10) lgkmcnt(1)
	v_mul_f64 v[153:154], v[2:3], v[20:21]
	v_mul_f64 v[20:21], v[4:5], v[20:21]
	s_waitcnt vmcnt(9) lgkmcnt(0)
	v_mul_f64 v[147:148], v[127:128], v[24:25]
	v_mul_f64 v[24:25], v[129:130], v[24:25]
	v_add_f64 v[143:144], v[143:144], v[151:152]
	v_add_f64 v[145:146], v[145:146], v[149:150]
	v_fma_f64 v[149:150], v[4:5], v[18:19], v[153:154]
	v_fma_f64 v[151:152], v[2:3], v[18:19], -v[20:21]
	ds_load_b128 v[2:5], v1 offset:576
	scratch_load_b128 v[18:21], off, off offset:256
	v_fma_f64 v[129:130], v[129:130], v[22:23], v[147:148]
	v_fma_f64 v[127:128], v[127:128], v[22:23], -v[24:25]
	scratch_load_b128 v[22:25], off, off offset:272
	v_add_f64 v[143:144], v[143:144], v[139:140]
	v_add_f64 v[145:146], v[145:146], v[141:142]
	ds_load_b128 v[139:142], v1 offset:592
	s_waitcnt vmcnt(10) lgkmcnt(1)
	v_mul_f64 v[153:154], v[2:3], v[28:29]
	v_mul_f64 v[28:29], v[4:5], v[28:29]
	s_waitcnt vmcnt(9) lgkmcnt(0)
	v_mul_f64 v[147:148], v[139:140], v[32:33]
	v_mul_f64 v[32:33], v[141:142], v[32:33]
	v_add_f64 v[143:144], v[143:144], v[151:152]
	v_add_f64 v[145:146], v[145:146], v[149:150]
	v_fma_f64 v[149:150], v[4:5], v[26:27], v[153:154]
	v_fma_f64 v[151:152], v[2:3], v[26:27], -v[28:29]
	ds_load_b128 v[2:5], v1 offset:608
	scratch_load_b128 v[26:29], off, off offset:288
	v_fma_f64 v[141:142], v[141:142], v[30:31], v[147:148]
	v_fma_f64 v[139:140], v[139:140], v[30:31], -v[32:33]
	scratch_load_b128 v[30:33], off, off offset:304
	v_add_f64 v[143:144], v[143:144], v[127:128]
	v_add_f64 v[145:146], v[145:146], v[129:130]
	ds_load_b128 v[127:130], v1 offset:624
	s_waitcnt vmcnt(10) lgkmcnt(1)
	v_mul_f64 v[153:154], v[2:3], v[36:37]
	v_mul_f64 v[36:37], v[4:5], v[36:37]
	s_waitcnt vmcnt(8) lgkmcnt(0)
	v_mul_f64 v[147:148], v[127:128], v[137:138]
	v_add_f64 v[143:144], v[143:144], v[151:152]
	v_add_f64 v[145:146], v[145:146], v[149:150]
	v_mul_f64 v[149:150], v[129:130], v[137:138]
	v_fma_f64 v[151:152], v[4:5], v[34:35], v[153:154]
	v_fma_f64 v[153:154], v[2:3], v[34:35], -v[36:37]
	ds_load_b128 v[2:5], v1 offset:640
	scratch_load_b128 v[34:37], off, off offset:320
	v_fma_f64 v[129:130], v[129:130], v[135:136], v[147:148]
	v_add_f64 v[143:144], v[143:144], v[139:140]
	v_add_f64 v[141:142], v[145:146], v[141:142]
	ds_load_b128 v[137:140], v1 offset:656
	v_fma_f64 v[135:136], v[127:128], v[135:136], -v[149:150]
	s_waitcnt vmcnt(8) lgkmcnt(1)
	v_mul_f64 v[145:146], v[2:3], v[125:126]
	v_mul_f64 v[155:156], v[4:5], v[125:126]
	scratch_load_b128 v[125:128], off, off offset:336
	s_waitcnt vmcnt(8) lgkmcnt(0)
	v_mul_f64 v[149:150], v[137:138], v[8:9]
	v_mul_f64 v[8:9], v[139:140], v[8:9]
	v_add_f64 v[143:144], v[143:144], v[153:154]
	v_add_f64 v[141:142], v[141:142], v[151:152]
	v_fma_f64 v[151:152], v[4:5], v[123:124], v[145:146]
	v_fma_f64 v[123:124], v[2:3], v[123:124], -v[155:156]
	ds_load_b128 v[2:5], v1 offset:672
	ds_load_b128 v[145:148], v1 offset:688
	v_fma_f64 v[139:140], v[139:140], v[6:7], v[149:150]
	v_fma_f64 v[137:138], v[137:138], v[6:7], -v[8:9]
	scratch_load_b128 v[6:9], off, off offset:368
	v_add_f64 v[135:136], v[143:144], v[135:136]
	v_add_f64 v[129:130], v[141:142], v[129:130]
	scratch_load_b128 v[141:144], off, off offset:352
	s_waitcnt vmcnt(9) lgkmcnt(1)
	v_mul_f64 v[153:154], v[2:3], v[12:13]
	v_mul_f64 v[12:13], v[4:5], v[12:13]
	s_waitcnt vmcnt(8) lgkmcnt(0)
	v_mul_f64 v[149:150], v[145:146], v[16:17]
	v_mul_f64 v[16:17], v[147:148], v[16:17]
	v_add_f64 v[123:124], v[135:136], v[123:124]
	v_add_f64 v[129:130], v[129:130], v[151:152]
	v_fma_f64 v[151:152], v[4:5], v[10:11], v[153:154]
	v_fma_f64 v[153:154], v[2:3], v[10:11], -v[12:13]
	ds_load_b128 v[2:5], v1 offset:704
	scratch_load_b128 v[10:13], off, off offset:384
	v_fma_f64 v[147:148], v[147:148], v[14:15], v[149:150]
	v_fma_f64 v[145:146], v[145:146], v[14:15], -v[16:17]
	scratch_load_b128 v[14:17], off, off offset:400
	v_add_f64 v[123:124], v[123:124], v[137:138]
	v_add_f64 v[129:130], v[129:130], v[139:140]
	ds_load_b128 v[135:138], v1 offset:720
	s_waitcnt vmcnt(9) lgkmcnt(1)
	v_mul_f64 v[139:140], v[2:3], v[20:21]
	v_mul_f64 v[20:21], v[4:5], v[20:21]
	s_waitcnt vmcnt(8) lgkmcnt(0)
	v_mul_f64 v[149:150], v[135:136], v[24:25]
	v_mul_f64 v[24:25], v[137:138], v[24:25]
	v_add_f64 v[123:124], v[123:124], v[153:154]
	v_add_f64 v[129:130], v[129:130], v[151:152]
	v_fma_f64 v[139:140], v[4:5], v[18:19], v[139:140]
	v_fma_f64 v[151:152], v[2:3], v[18:19], -v[20:21]
	ds_load_b128 v[2:5], v1 offset:736
	scratch_load_b128 v[18:21], off, off offset:416
	v_fma_f64 v[137:138], v[137:138], v[22:23], v[149:150]
	v_fma_f64 v[135:136], v[135:136], v[22:23], -v[24:25]
	scratch_load_b128 v[22:25], off, off offset:432
	v_add_f64 v[123:124], v[123:124], v[145:146]
	v_add_f64 v[129:130], v[129:130], v[147:148]
	ds_load_b128 v[145:148], v1 offset:752
	s_waitcnt vmcnt(9) lgkmcnt(1)
	v_mul_f64 v[153:154], v[2:3], v[28:29]
	v_mul_f64 v[28:29], v[4:5], v[28:29]
	v_add_f64 v[123:124], v[123:124], v[151:152]
	v_add_f64 v[129:130], v[129:130], v[139:140]
	s_waitcnt vmcnt(8) lgkmcnt(0)
	v_mul_f64 v[139:140], v[145:146], v[32:33]
	v_mul_f64 v[32:33], v[147:148], v[32:33]
	v_fma_f64 v[149:150], v[4:5], v[26:27], v[153:154]
	v_fma_f64 v[151:152], v[2:3], v[26:27], -v[28:29]
	ds_load_b128 v[2:5], v1 offset:768
	ds_load_b128 v[26:29], v1 offset:784
	v_add_f64 v[123:124], v[123:124], v[135:136]
	v_add_f64 v[129:130], v[129:130], v[137:138]
	s_waitcnt vmcnt(7) lgkmcnt(1)
	v_mul_f64 v[135:136], v[2:3], v[36:37]
	v_mul_f64 v[36:37], v[4:5], v[36:37]
	v_fma_f64 v[137:138], v[147:148], v[30:31], v[139:140]
	v_fma_f64 v[30:31], v[145:146], v[30:31], -v[32:33]
	v_add_f64 v[32:33], v[123:124], v[151:152]
	v_add_f64 v[123:124], v[129:130], v[149:150]
	s_waitcnt vmcnt(6) lgkmcnt(0)
	v_mul_f64 v[129:130], v[26:27], v[127:128]
	v_mul_f64 v[127:128], v[28:29], v[127:128]
	v_fma_f64 v[135:136], v[4:5], v[34:35], v[135:136]
	v_fma_f64 v[34:35], v[2:3], v[34:35], -v[36:37]
	v_add_f64 v[36:37], v[32:33], v[30:31]
	v_add_f64 v[123:124], v[123:124], v[137:138]
	ds_load_b128 v[2:5], v1 offset:800
	ds_load_b128 v[30:33], v1 offset:816
	v_fma_f64 v[28:29], v[28:29], v[125:126], v[129:130]
	v_fma_f64 v[26:27], v[26:27], v[125:126], -v[127:128]
	s_waitcnt vmcnt(4) lgkmcnt(1)
	v_mul_f64 v[137:138], v[2:3], v[143:144]
	v_mul_f64 v[139:140], v[4:5], v[143:144]
	v_add_f64 v[34:35], v[36:37], v[34:35]
	v_add_f64 v[36:37], v[123:124], v[135:136]
	s_waitcnt lgkmcnt(0)
	v_mul_f64 v[123:124], v[30:31], v[8:9]
	v_mul_f64 v[8:9], v[32:33], v[8:9]
	v_fma_f64 v[125:126], v[4:5], v[141:142], v[137:138]
	v_fma_f64 v[127:128], v[2:3], v[141:142], -v[139:140]
	v_add_f64 v[34:35], v[34:35], v[26:27]
	v_add_f64 v[36:37], v[36:37], v[28:29]
	ds_load_b128 v[2:5], v1 offset:832
	ds_load_b128 v[26:29], v1 offset:848
	v_fma_f64 v[32:33], v[32:33], v[6:7], v[123:124]
	v_fma_f64 v[6:7], v[30:31], v[6:7], -v[8:9]
	s_waitcnt vmcnt(3) lgkmcnt(1)
	v_mul_f64 v[129:130], v[2:3], v[12:13]
	v_mul_f64 v[12:13], v[4:5], v[12:13]
	v_add_f64 v[8:9], v[34:35], v[127:128]
	v_add_f64 v[30:31], v[36:37], v[125:126]
	s_waitcnt vmcnt(2) lgkmcnt(0)
	v_mul_f64 v[34:35], v[26:27], v[16:17]
	v_mul_f64 v[16:17], v[28:29], v[16:17]
	v_fma_f64 v[36:37], v[4:5], v[10:11], v[129:130]
	v_fma_f64 v[10:11], v[2:3], v[10:11], -v[12:13]
	v_add_f64 v[12:13], v[8:9], v[6:7]
	v_add_f64 v[30:31], v[30:31], v[32:33]
	ds_load_b128 v[2:5], v1 offset:864
	ds_load_b128 v[6:9], v1 offset:880
	v_fma_f64 v[28:29], v[28:29], v[14:15], v[34:35]
	v_fma_f64 v[14:15], v[26:27], v[14:15], -v[16:17]
	s_waitcnt vmcnt(1) lgkmcnt(1)
	v_mul_f64 v[32:33], v[2:3], v[20:21]
	v_mul_f64 v[20:21], v[4:5], v[20:21]
	s_waitcnt vmcnt(0) lgkmcnt(0)
	v_mul_f64 v[16:17], v[6:7], v[24:25]
	v_mul_f64 v[24:25], v[8:9], v[24:25]
	v_add_f64 v[10:11], v[12:13], v[10:11]
	v_add_f64 v[12:13], v[30:31], v[36:37]
	v_fma_f64 v[4:5], v[4:5], v[18:19], v[32:33]
	v_fma_f64 v[1:2], v[2:3], v[18:19], -v[20:21]
	v_fma_f64 v[8:9], v[8:9], v[22:23], v[16:17]
	v_fma_f64 v[6:7], v[6:7], v[22:23], -v[24:25]
	v_add_f64 v[10:11], v[10:11], v[14:15]
	v_add_f64 v[12:13], v[12:13], v[28:29]
	s_delay_alu instid0(VALU_DEP_2) | instskip(NEXT) | instid1(VALU_DEP_2)
	v_add_f64 v[1:2], v[10:11], v[1:2]
	v_add_f64 v[3:4], v[12:13], v[4:5]
	s_delay_alu instid0(VALU_DEP_2) | instskip(NEXT) | instid1(VALU_DEP_2)
	;; [unrolled: 3-line block ×3, first 2 shown]
	v_add_f64 v[1:2], v[131:132], -v[1:2]
	v_add_f64 v[3:4], v[133:134], -v[3:4]
	scratch_store_b128 off, v[1:4], off offset:16
	v_cmpx_ne_u32_e32 0, v94
	s_cbranch_execz .LBB91_181
; %bb.180:
	scratch_load_b128 v[1:4], off, off
	v_mov_b32_e32 v5, 0
	s_delay_alu instid0(VALU_DEP_1)
	v_mov_b32_e32 v6, v5
	v_mov_b32_e32 v7, v5
	v_mov_b32_e32 v8, v5
	scratch_store_b128 off, v[5:8], off
	s_waitcnt vmcnt(0)
	ds_store_b128 v122, v[1:4]
.LBB91_181:
	s_or_b32 exec_lo, exec_lo, s2
	s_waitcnt lgkmcnt(0)
	s_waitcnt_vscnt null, 0x0
	s_barrier
	buffer_gl0_inv
	s_clause 0x7
	scratch_load_b128 v[1:4], off, off offset:16
	scratch_load_b128 v[5:8], off, off offset:32
	;; [unrolled: 1-line block ×8, first 2 shown]
	v_mov_b32_e32 v37, 0
	s_and_b32 vcc_lo, exec_lo, s14
	ds_load_b128 v[122:125], v37 offset:464
	s_clause 0x1
	scratch_load_b128 v[33:36], off, off offset:144
	scratch_load_b128 v[126:129], off, off
	ds_load_b128 v[130:133], v37 offset:480
	scratch_load_b128 v[134:137], off, off offset:160
	s_waitcnt vmcnt(10) lgkmcnt(1)
	v_mul_f64 v[138:139], v[124:125], v[3:4]
	v_mul_f64 v[3:4], v[122:123], v[3:4]
	s_delay_alu instid0(VALU_DEP_2) | instskip(NEXT) | instid1(VALU_DEP_2)
	v_fma_f64 v[144:145], v[122:123], v[1:2], -v[138:139]
	v_fma_f64 v[146:147], v[124:125], v[1:2], v[3:4]
	scratch_load_b128 v[122:125], off, off offset:176
	ds_load_b128 v[1:4], v37 offset:496
	s_waitcnt vmcnt(10) lgkmcnt(1)
	v_mul_f64 v[142:143], v[130:131], v[7:8]
	v_mul_f64 v[7:8], v[132:133], v[7:8]
	ds_load_b128 v[138:141], v37 offset:512
	s_waitcnt vmcnt(9) lgkmcnt(1)
	v_mul_f64 v[148:149], v[1:2], v[11:12]
	v_mul_f64 v[11:12], v[3:4], v[11:12]
	v_fma_f64 v[132:133], v[132:133], v[5:6], v[142:143]
	v_fma_f64 v[130:131], v[130:131], v[5:6], -v[7:8]
	v_add_f64 v[142:143], v[144:145], 0
	v_add_f64 v[144:145], v[146:147], 0
	scratch_load_b128 v[5:8], off, off offset:192
	v_fma_f64 v[148:149], v[3:4], v[9:10], v[148:149]
	v_fma_f64 v[150:151], v[1:2], v[9:10], -v[11:12]
	scratch_load_b128 v[9:12], off, off offset:208
	ds_load_b128 v[1:4], v37 offset:528
	s_waitcnt vmcnt(10) lgkmcnt(1)
	v_mul_f64 v[146:147], v[138:139], v[15:16]
	v_mul_f64 v[15:16], v[140:141], v[15:16]
	v_add_f64 v[142:143], v[142:143], v[130:131]
	v_add_f64 v[144:145], v[144:145], v[132:133]
	s_waitcnt vmcnt(9) lgkmcnt(0)
	v_mul_f64 v[152:153], v[1:2], v[19:20]
	v_mul_f64 v[19:20], v[3:4], v[19:20]
	ds_load_b128 v[130:133], v37 offset:544
	v_fma_f64 v[140:141], v[140:141], v[13:14], v[146:147]
	v_fma_f64 v[138:139], v[138:139], v[13:14], -v[15:16]
	scratch_load_b128 v[13:16], off, off offset:224
	v_add_f64 v[142:143], v[142:143], v[150:151]
	v_add_f64 v[144:145], v[144:145], v[148:149]
	v_fma_f64 v[148:149], v[3:4], v[17:18], v[152:153]
	v_fma_f64 v[150:151], v[1:2], v[17:18], -v[19:20]
	scratch_load_b128 v[17:20], off, off offset:240
	ds_load_b128 v[1:4], v37 offset:560
	s_waitcnt vmcnt(10) lgkmcnt(1)
	v_mul_f64 v[146:147], v[130:131], v[23:24]
	v_mul_f64 v[23:24], v[132:133], v[23:24]
	s_waitcnt vmcnt(9) lgkmcnt(0)
	v_mul_f64 v[152:153], v[1:2], v[27:28]
	v_mul_f64 v[27:28], v[3:4], v[27:28]
	v_add_f64 v[142:143], v[142:143], v[138:139]
	v_add_f64 v[144:145], v[144:145], v[140:141]
	ds_load_b128 v[138:141], v37 offset:576
	v_fma_f64 v[132:133], v[132:133], v[21:22], v[146:147]
	v_fma_f64 v[130:131], v[130:131], v[21:22], -v[23:24]
	scratch_load_b128 v[21:24], off, off offset:256
	v_add_f64 v[142:143], v[142:143], v[150:151]
	v_add_f64 v[144:145], v[144:145], v[148:149]
	v_fma_f64 v[148:149], v[3:4], v[25:26], v[152:153]
	v_fma_f64 v[150:151], v[1:2], v[25:26], -v[27:28]
	scratch_load_b128 v[25:28], off, off offset:272
	ds_load_b128 v[1:4], v37 offset:592
	s_waitcnt vmcnt(10) lgkmcnt(1)
	v_mul_f64 v[146:147], v[138:139], v[31:32]
	v_mul_f64 v[31:32], v[140:141], v[31:32]
	s_waitcnt vmcnt(9) lgkmcnt(0)
	v_mul_f64 v[152:153], v[1:2], v[35:36]
	v_mul_f64 v[35:36], v[3:4], v[35:36]
	v_add_f64 v[142:143], v[142:143], v[130:131]
	v_add_f64 v[144:145], v[144:145], v[132:133]
	ds_load_b128 v[130:133], v37 offset:608
	v_fma_f64 v[140:141], v[140:141], v[29:30], v[146:147]
	v_fma_f64 v[138:139], v[138:139], v[29:30], -v[31:32]
	scratch_load_b128 v[29:32], off, off offset:288
	v_add_f64 v[142:143], v[142:143], v[150:151]
	v_add_f64 v[144:145], v[144:145], v[148:149]
	v_fma_f64 v[150:151], v[3:4], v[33:34], v[152:153]
	v_fma_f64 v[152:153], v[1:2], v[33:34], -v[35:36]
	scratch_load_b128 v[33:36], off, off offset:304
	ds_load_b128 v[1:4], v37 offset:624
	s_waitcnt vmcnt(9) lgkmcnt(1)
	v_mul_f64 v[146:147], v[130:131], v[136:137]
	v_mul_f64 v[148:149], v[132:133], v[136:137]
	v_add_f64 v[142:143], v[142:143], v[138:139]
	v_add_f64 v[140:141], v[144:145], v[140:141]
	ds_load_b128 v[136:139], v37 offset:640
	v_fma_f64 v[146:147], v[132:133], v[134:135], v[146:147]
	v_fma_f64 v[134:135], v[130:131], v[134:135], -v[148:149]
	scratch_load_b128 v[130:133], off, off offset:320
	s_waitcnt vmcnt(9) lgkmcnt(1)
	v_mul_f64 v[144:145], v[1:2], v[124:125]
	v_mul_f64 v[124:125], v[3:4], v[124:125]
	v_add_f64 v[142:143], v[142:143], v[152:153]
	v_add_f64 v[140:141], v[140:141], v[150:151]
	s_delay_alu instid0(VALU_DEP_4) | instskip(NEXT) | instid1(VALU_DEP_4)
	v_fma_f64 v[144:145], v[3:4], v[122:123], v[144:145]
	v_fma_f64 v[150:151], v[1:2], v[122:123], -v[124:125]
	scratch_load_b128 v[122:125], off, off offset:336
	ds_load_b128 v[1:4], v37 offset:656
	s_waitcnt vmcnt(9) lgkmcnt(1)
	v_mul_f64 v[148:149], v[136:137], v[7:8]
	v_mul_f64 v[7:8], v[138:139], v[7:8]
	s_waitcnt vmcnt(8) lgkmcnt(0)
	v_mul_f64 v[152:153], v[1:2], v[11:12]
	v_mul_f64 v[11:12], v[3:4], v[11:12]
	v_add_f64 v[134:135], v[142:143], v[134:135]
	v_add_f64 v[146:147], v[140:141], v[146:147]
	ds_load_b128 v[140:143], v37 offset:672
	v_fma_f64 v[138:139], v[138:139], v[5:6], v[148:149]
	v_fma_f64 v[136:137], v[136:137], v[5:6], -v[7:8]
	scratch_load_b128 v[5:8], off, off offset:352
	v_fma_f64 v[148:149], v[3:4], v[9:10], v[152:153]
	v_add_f64 v[134:135], v[134:135], v[150:151]
	v_add_f64 v[144:145], v[146:147], v[144:145]
	v_fma_f64 v[150:151], v[1:2], v[9:10], -v[11:12]
	scratch_load_b128 v[9:12], off, off offset:368
	ds_load_b128 v[1:4], v37 offset:688
	s_waitcnt vmcnt(9) lgkmcnt(1)
	v_mul_f64 v[146:147], v[140:141], v[15:16]
	v_mul_f64 v[15:16], v[142:143], v[15:16]
	v_add_f64 v[152:153], v[134:135], v[136:137]
	v_add_f64 v[138:139], v[144:145], v[138:139]
	s_waitcnt vmcnt(8) lgkmcnt(0)
	v_mul_f64 v[144:145], v[1:2], v[19:20]
	v_mul_f64 v[19:20], v[3:4], v[19:20]
	ds_load_b128 v[134:137], v37 offset:704
	v_fma_f64 v[142:143], v[142:143], v[13:14], v[146:147]
	v_fma_f64 v[140:141], v[140:141], v[13:14], -v[15:16]
	scratch_load_b128 v[13:16], off, off offset:384
	v_add_f64 v[146:147], v[152:153], v[150:151]
	v_add_f64 v[138:139], v[138:139], v[148:149]
	v_fma_f64 v[144:145], v[3:4], v[17:18], v[144:145]
	v_fma_f64 v[150:151], v[1:2], v[17:18], -v[19:20]
	scratch_load_b128 v[17:20], off, off offset:400
	ds_load_b128 v[1:4], v37 offset:720
	s_waitcnt vmcnt(9) lgkmcnt(1)
	v_mul_f64 v[148:149], v[134:135], v[23:24]
	v_mul_f64 v[23:24], v[136:137], v[23:24]
	s_waitcnt vmcnt(8) lgkmcnt(0)
	v_mul_f64 v[152:153], v[1:2], v[27:28]
	v_mul_f64 v[27:28], v[3:4], v[27:28]
	v_add_f64 v[146:147], v[146:147], v[140:141]
	v_add_f64 v[142:143], v[138:139], v[142:143]
	ds_load_b128 v[138:141], v37 offset:736
	v_fma_f64 v[136:137], v[136:137], v[21:22], v[148:149]
	v_fma_f64 v[134:135], v[134:135], v[21:22], -v[23:24]
	scratch_load_b128 v[21:24], off, off offset:416
	v_fma_f64 v[148:149], v[3:4], v[25:26], v[152:153]
	v_add_f64 v[146:147], v[146:147], v[150:151]
	v_add_f64 v[142:143], v[142:143], v[144:145]
	v_fma_f64 v[150:151], v[1:2], v[25:26], -v[27:28]
	scratch_load_b128 v[25:28], off, off offset:432
	ds_load_b128 v[1:4], v37 offset:752
	s_waitcnt vmcnt(9) lgkmcnt(1)
	v_mul_f64 v[144:145], v[138:139], v[31:32]
	v_mul_f64 v[31:32], v[140:141], v[31:32]
	s_waitcnt vmcnt(8) lgkmcnt(0)
	v_mul_f64 v[152:153], v[1:2], v[35:36]
	v_mul_f64 v[35:36], v[3:4], v[35:36]
	v_add_f64 v[146:147], v[146:147], v[134:135]
	v_add_f64 v[142:143], v[142:143], v[136:137]
	ds_load_b128 v[134:137], v37 offset:768
	v_fma_f64 v[140:141], v[140:141], v[29:30], v[144:145]
	v_fma_f64 v[29:30], v[138:139], v[29:30], -v[31:32]
	v_fma_f64 v[144:145], v[3:4], v[33:34], v[152:153]
	v_fma_f64 v[33:34], v[1:2], v[33:34], -v[35:36]
	v_add_f64 v[31:32], v[146:147], v[150:151]
	v_add_f64 v[138:139], v[142:143], v[148:149]
	s_waitcnt vmcnt(7) lgkmcnt(0)
	v_mul_f64 v[142:143], v[134:135], v[132:133]
	v_mul_f64 v[132:133], v[136:137], v[132:133]
	s_delay_alu instid0(VALU_DEP_4) | instskip(NEXT) | instid1(VALU_DEP_4)
	v_add_f64 v[35:36], v[31:32], v[29:30]
	v_add_f64 v[138:139], v[138:139], v[140:141]
	ds_load_b128 v[1:4], v37 offset:784
	ds_load_b128 v[29:32], v37 offset:800
	v_fma_f64 v[136:137], v[136:137], v[130:131], v[142:143]
	v_fma_f64 v[130:131], v[134:135], v[130:131], -v[132:133]
	s_waitcnt vmcnt(6) lgkmcnt(1)
	v_mul_f64 v[140:141], v[1:2], v[124:125]
	v_mul_f64 v[124:125], v[3:4], v[124:125]
	s_waitcnt vmcnt(5) lgkmcnt(0)
	v_mul_f64 v[132:133], v[29:30], v[7:8]
	v_mul_f64 v[7:8], v[31:32], v[7:8]
	v_add_f64 v[33:34], v[35:36], v[33:34]
	v_add_f64 v[35:36], v[138:139], v[144:145]
	v_fma_f64 v[134:135], v[3:4], v[122:123], v[140:141]
	v_fma_f64 v[122:123], v[1:2], v[122:123], -v[124:125]
	v_fma_f64 v[31:32], v[31:32], v[5:6], v[132:133]
	v_fma_f64 v[5:6], v[29:30], v[5:6], -v[7:8]
	v_add_f64 v[124:125], v[33:34], v[130:131]
	v_add_f64 v[130:131], v[35:36], v[136:137]
	ds_load_b128 v[1:4], v37 offset:816
	ds_load_b128 v[33:36], v37 offset:832
	s_waitcnt vmcnt(4) lgkmcnt(1)
	v_mul_f64 v[136:137], v[1:2], v[11:12]
	v_mul_f64 v[11:12], v[3:4], v[11:12]
	v_add_f64 v[7:8], v[124:125], v[122:123]
	v_add_f64 v[29:30], v[130:131], v[134:135]
	s_waitcnt vmcnt(3) lgkmcnt(0)
	v_mul_f64 v[122:123], v[33:34], v[15:16]
	v_mul_f64 v[15:16], v[35:36], v[15:16]
	v_fma_f64 v[124:125], v[3:4], v[9:10], v[136:137]
	v_fma_f64 v[9:10], v[1:2], v[9:10], -v[11:12]
	v_add_f64 v[11:12], v[7:8], v[5:6]
	v_add_f64 v[29:30], v[29:30], v[31:32]
	ds_load_b128 v[1:4], v37 offset:848
	ds_load_b128 v[5:8], v37 offset:864
	v_fma_f64 v[35:36], v[35:36], v[13:14], v[122:123]
	v_fma_f64 v[13:14], v[33:34], v[13:14], -v[15:16]
	s_waitcnt vmcnt(2) lgkmcnt(1)
	v_mul_f64 v[31:32], v[1:2], v[19:20]
	v_mul_f64 v[19:20], v[3:4], v[19:20]
	s_waitcnt vmcnt(1) lgkmcnt(0)
	v_mul_f64 v[15:16], v[5:6], v[23:24]
	v_mul_f64 v[23:24], v[7:8], v[23:24]
	v_add_f64 v[9:10], v[11:12], v[9:10]
	v_add_f64 v[11:12], v[29:30], v[124:125]
	v_fma_f64 v[29:30], v[3:4], v[17:18], v[31:32]
	v_fma_f64 v[17:18], v[1:2], v[17:18], -v[19:20]
	ds_load_b128 v[1:4], v37 offset:880
	v_fma_f64 v[7:8], v[7:8], v[21:22], v[15:16]
	v_fma_f64 v[5:6], v[5:6], v[21:22], -v[23:24]
	v_add_f64 v[9:10], v[9:10], v[13:14]
	v_add_f64 v[11:12], v[11:12], v[35:36]
	s_waitcnt vmcnt(0) lgkmcnt(0)
	v_mul_f64 v[13:14], v[1:2], v[27:28]
	v_mul_f64 v[19:20], v[3:4], v[27:28]
	s_delay_alu instid0(VALU_DEP_4) | instskip(NEXT) | instid1(VALU_DEP_4)
	v_add_f64 v[9:10], v[9:10], v[17:18]
	v_add_f64 v[11:12], v[11:12], v[29:30]
	s_delay_alu instid0(VALU_DEP_4) | instskip(NEXT) | instid1(VALU_DEP_4)
	v_fma_f64 v[3:4], v[3:4], v[25:26], v[13:14]
	v_fma_f64 v[1:2], v[1:2], v[25:26], -v[19:20]
	s_delay_alu instid0(VALU_DEP_4) | instskip(NEXT) | instid1(VALU_DEP_4)
	v_add_f64 v[5:6], v[9:10], v[5:6]
	v_add_f64 v[7:8], v[11:12], v[7:8]
	s_delay_alu instid0(VALU_DEP_2) | instskip(NEXT) | instid1(VALU_DEP_2)
	v_add_f64 v[1:2], v[5:6], v[1:2]
	v_add_f64 v[3:4], v[7:8], v[3:4]
	s_delay_alu instid0(VALU_DEP_2) | instskip(NEXT) | instid1(VALU_DEP_2)
	v_add_f64 v[1:2], v[126:127], -v[1:2]
	v_add_f64 v[3:4], v[128:129], -v[3:4]
	scratch_store_b128 off, v[1:4], off
	s_cbranch_vccz .LBB91_237
; %bb.182:
	v_dual_mov_b32 v1, s8 :: v_dual_mov_b32 v2, s9
	s_load_b64 s[0:1], s[0:1], 0x4
	flat_load_b32 v1, v[1:2] offset:104
	v_bfe_u32 v2, v0, 10, 10
	v_bfe_u32 v0, v0, 20, 10
	s_waitcnt lgkmcnt(0)
	s_lshr_b32 s0, s0, 16
	s_delay_alu instid0(VALU_DEP_2) | instskip(SKIP_1) | instid1(SALU_CYCLE_1)
	v_mul_u32_u24_e32 v2, s1, v2
	s_mul_i32 s0, s0, s1
	v_mul_u32_u24_e32 v3, s0, v94
	s_mov_b32 s0, exec_lo
	s_delay_alu instid0(VALU_DEP_1) | instskip(NEXT) | instid1(VALU_DEP_1)
	v_add3_u32 v0, v3, v2, v0
	v_lshl_add_u32 v0, v0, 4, 0x388
	s_waitcnt vmcnt(0)
	v_cmpx_ne_u32_e32 27, v1
	s_cbranch_execz .LBB91_184
; %bb.183:
	v_lshl_add_u32 v9, v1, 4, 0
	s_clause 0x1
	scratch_load_b128 v[1:4], v120, off
	scratch_load_b128 v[5:8], v9, off offset:-16
	s_waitcnt vmcnt(1)
	ds_store_2addr_b64 v0, v[1:2], v[3:4] offset1:1
	s_waitcnt vmcnt(0)
	s_clause 0x1
	scratch_store_b128 v120, v[5:8], off
	scratch_store_b128 v9, v[1:4], off offset:-16
.LBB91_184:
	s_or_b32 exec_lo, exec_lo, s0
	v_dual_mov_b32 v1, s8 :: v_dual_mov_b32 v2, s9
	s_mov_b32 s0, exec_lo
	flat_load_b32 v1, v[1:2] offset:100
	s_waitcnt vmcnt(0) lgkmcnt(0)
	v_cmpx_ne_u32_e32 26, v1
	s_cbranch_execz .LBB91_186
; %bb.185:
	v_lshl_add_u32 v9, v1, 4, 0
	s_clause 0x1
	scratch_load_b128 v[1:4], v121, off
	scratch_load_b128 v[5:8], v9, off offset:-16
	s_waitcnt vmcnt(1)
	ds_store_2addr_b64 v0, v[1:2], v[3:4] offset1:1
	s_waitcnt vmcnt(0)
	s_clause 0x1
	scratch_store_b128 v121, v[5:8], off
	scratch_store_b128 v9, v[1:4], off offset:-16
.LBB91_186:
	s_or_b32 exec_lo, exec_lo, s0
	v_dual_mov_b32 v1, s8 :: v_dual_mov_b32 v2, s9
	s_mov_b32 s0, exec_lo
	flat_load_b32 v1, v[1:2] offset:96
	s_waitcnt vmcnt(0) lgkmcnt(0)
	;; [unrolled: 19-line block ×25, first 2 shown]
	v_cmpx_ne_u32_e32 2, v1
	s_cbranch_execz .LBB91_234
; %bb.233:
	v_lshl_add_u32 v9, v1, 4, 0
	s_clause 0x1
	scratch_load_b128 v[1:4], v98, off
	scratch_load_b128 v[5:8], v9, off offset:-16
	s_waitcnt vmcnt(1)
	ds_store_2addr_b64 v0, v[1:2], v[3:4] offset1:1
	s_waitcnt vmcnt(0)
	s_clause 0x1
	scratch_store_b128 v98, v[5:8], off
	scratch_store_b128 v9, v[1:4], off offset:-16
.LBB91_234:
	s_or_b32 exec_lo, exec_lo, s0
	v_dual_mov_b32 v1, s8 :: v_dual_mov_b32 v2, s9
	s_mov_b32 s0, exec_lo
	flat_load_b32 v1, v[1:2]
	s_waitcnt vmcnt(0) lgkmcnt(0)
	v_cmpx_ne_u32_e32 1, v1
	s_cbranch_execz .LBB91_236
; %bb.235:
	v_lshl_add_u32 v9, v1, 4, 0
	scratch_load_b128 v[1:4], off, off
	scratch_load_b128 v[5:8], v9, off offset:-16
	s_waitcnt vmcnt(1)
	ds_store_2addr_b64 v0, v[1:2], v[3:4] offset1:1
	s_waitcnt vmcnt(0)
	scratch_store_b128 off, v[5:8], off
	scratch_store_b128 v9, v[1:4], off offset:-16
.LBB91_236:
	s_or_b32 exec_lo, exec_lo, s0
.LBB91_237:
	scratch_load_b128 v[0:3], off, off
	s_clause 0x18
	scratch_load_b128 v[4:7], v98, off
	scratch_load_b128 v[8:11], v96, off
	;; [unrolled: 1-line block ×25, first 2 shown]
	s_waitcnt vmcnt(25)
	global_store_b128 v[38:39], v[0:3], off
	s_clause 0x1
	scratch_load_b128 v[0:3], v120, off
	scratch_load_b128 v[36:39], v119, off
	s_waitcnt vmcnt(26)
	global_store_b128 v[40:41], v[4:7], off
	s_waitcnt vmcnt(25)
	global_store_b128 v[42:43], v[8:11], off
	;; [unrolled: 2-line block ×27, first 2 shown]
	s_endpgm
	.section	.rodata,"a",@progbits
	.p2align	6, 0x0
	.amdhsa_kernel _ZN9rocsolver6v33100L18getri_kernel_smallILi28E19rocblas_complex_numIdEPKPS3_EEvT1_iilPiilS8_bb
		.amdhsa_group_segment_fixed_size 1928
		.amdhsa_private_segment_fixed_size 464
		.amdhsa_kernarg_size 60
		.amdhsa_user_sgpr_count 15
		.amdhsa_user_sgpr_dispatch_ptr 1
		.amdhsa_user_sgpr_queue_ptr 0
		.amdhsa_user_sgpr_kernarg_segment_ptr 1
		.amdhsa_user_sgpr_dispatch_id 0
		.amdhsa_user_sgpr_private_segment_size 0
		.amdhsa_wavefront_size32 1
		.amdhsa_uses_dynamic_stack 0
		.amdhsa_enable_private_segment 1
		.amdhsa_system_sgpr_workgroup_id_x 1
		.amdhsa_system_sgpr_workgroup_id_y 0
		.amdhsa_system_sgpr_workgroup_id_z 0
		.amdhsa_system_sgpr_workgroup_info 0
		.amdhsa_system_vgpr_workitem_id 2
		.amdhsa_next_free_vgpr 186
		.amdhsa_next_free_sgpr 30
		.amdhsa_reserve_vcc 1
		.amdhsa_float_round_mode_32 0
		.amdhsa_float_round_mode_16_64 0
		.amdhsa_float_denorm_mode_32 3
		.amdhsa_float_denorm_mode_16_64 3
		.amdhsa_dx10_clamp 1
		.amdhsa_ieee_mode 1
		.amdhsa_fp16_overflow 0
		.amdhsa_workgroup_processor_mode 1
		.amdhsa_memory_ordered 1
		.amdhsa_forward_progress 0
		.amdhsa_shared_vgpr_count 0
		.amdhsa_exception_fp_ieee_invalid_op 0
		.amdhsa_exception_fp_denorm_src 0
		.amdhsa_exception_fp_ieee_div_zero 0
		.amdhsa_exception_fp_ieee_overflow 0
		.amdhsa_exception_fp_ieee_underflow 0
		.amdhsa_exception_fp_ieee_inexact 0
		.amdhsa_exception_int_div_zero 0
	.end_amdhsa_kernel
	.section	.text._ZN9rocsolver6v33100L18getri_kernel_smallILi28E19rocblas_complex_numIdEPKPS3_EEvT1_iilPiilS8_bb,"axG",@progbits,_ZN9rocsolver6v33100L18getri_kernel_smallILi28E19rocblas_complex_numIdEPKPS3_EEvT1_iilPiilS8_bb,comdat
.Lfunc_end91:
	.size	_ZN9rocsolver6v33100L18getri_kernel_smallILi28E19rocblas_complex_numIdEPKPS3_EEvT1_iilPiilS8_bb, .Lfunc_end91-_ZN9rocsolver6v33100L18getri_kernel_smallILi28E19rocblas_complex_numIdEPKPS3_EEvT1_iilPiilS8_bb
                                        ; -- End function
	.section	.AMDGPU.csdata,"",@progbits
; Kernel info:
; codeLenInByte = 43316
; NumSgprs: 32
; NumVgprs: 186
; ScratchSize: 464
; MemoryBound: 0
; FloatMode: 240
; IeeeMode: 1
; LDSByteSize: 1928 bytes/workgroup (compile time only)
; SGPRBlocks: 3
; VGPRBlocks: 23
; NumSGPRsForWavesPerEU: 32
; NumVGPRsForWavesPerEU: 186
; Occupancy: 8
; WaveLimiterHint : 1
; COMPUTE_PGM_RSRC2:SCRATCH_EN: 1
; COMPUTE_PGM_RSRC2:USER_SGPR: 15
; COMPUTE_PGM_RSRC2:TRAP_HANDLER: 0
; COMPUTE_PGM_RSRC2:TGID_X_EN: 1
; COMPUTE_PGM_RSRC2:TGID_Y_EN: 0
; COMPUTE_PGM_RSRC2:TGID_Z_EN: 0
; COMPUTE_PGM_RSRC2:TIDIG_COMP_CNT: 2
	.section	.text._ZN9rocsolver6v33100L18getri_kernel_smallILi29E19rocblas_complex_numIdEPKPS3_EEvT1_iilPiilS8_bb,"axG",@progbits,_ZN9rocsolver6v33100L18getri_kernel_smallILi29E19rocblas_complex_numIdEPKPS3_EEvT1_iilPiilS8_bb,comdat
	.globl	_ZN9rocsolver6v33100L18getri_kernel_smallILi29E19rocblas_complex_numIdEPKPS3_EEvT1_iilPiilS8_bb ; -- Begin function _ZN9rocsolver6v33100L18getri_kernel_smallILi29E19rocblas_complex_numIdEPKPS3_EEvT1_iilPiilS8_bb
	.p2align	8
	.type	_ZN9rocsolver6v33100L18getri_kernel_smallILi29E19rocblas_complex_numIdEPKPS3_EEvT1_iilPiilS8_bb,@function
_ZN9rocsolver6v33100L18getri_kernel_smallILi29E19rocblas_complex_numIdEPKPS3_EEvT1_iilPiilS8_bb: ; @_ZN9rocsolver6v33100L18getri_kernel_smallILi29E19rocblas_complex_numIdEPKPS3_EEvT1_iilPiilS8_bb
; %bb.0:
	v_and_b32_e32 v100, 0x3ff, v0
	s_mov_b32 s4, exec_lo
	s_delay_alu instid0(VALU_DEP_1)
	v_cmpx_gt_u32_e32 29, v100
	s_cbranch_execz .LBB92_130
; %bb.1:
	s_mov_b32 s10, s15
	s_clause 0x2
	s_load_b32 s15, s[2:3], 0x38
	s_load_b64 s[8:9], s[2:3], 0x0
	s_load_b128 s[4:7], s[2:3], 0x28
	s_waitcnt lgkmcnt(0)
	s_bitcmp1_b32 s15, 8
	s_cselect_b32 s14, -1, 0
	s_ashr_i32 s11, s10, 31
	s_delay_alu instid0(SALU_CYCLE_1) | instskip(NEXT) | instid1(SALU_CYCLE_1)
	s_lshl_b64 s[12:13], s[10:11], 3
	s_add_u32 s8, s8, s12
	s_addc_u32 s9, s9, s13
	s_load_b64 s[12:13], s[8:9], 0x0
	s_bfe_u32 s8, s15, 0x10008
	s_delay_alu instid0(SALU_CYCLE_1)
	s_cmp_eq_u32 s8, 0
                                        ; implicit-def: $sgpr8_sgpr9
	s_cbranch_scc1 .LBB92_3
; %bb.2:
	s_clause 0x1
	s_load_b32 s8, s[2:3], 0x20
	s_load_b64 s[16:17], s[2:3], 0x18
	s_mul_i32 s5, s10, s5
	s_mul_hi_u32 s9, s10, s4
	s_mul_i32 s18, s11, s4
	s_add_i32 s5, s9, s5
	s_mul_i32 s4, s10, s4
	s_add_i32 s5, s5, s18
	s_delay_alu instid0(SALU_CYCLE_1)
	s_lshl_b64 s[4:5], s[4:5], 2
	s_waitcnt lgkmcnt(0)
	s_ashr_i32 s9, s8, 31
	s_add_u32 s16, s16, s4
	s_addc_u32 s17, s17, s5
	s_lshl_b64 s[4:5], s[8:9], 2
	s_delay_alu instid0(SALU_CYCLE_1)
	s_add_u32 s8, s16, s4
	s_addc_u32 s9, s17, s5
.LBB92_3:
	s_load_b64 s[2:3], s[2:3], 0x8
	v_lshlrev_b32_e32 v13, 4, v100
	s_movk_i32 s18, 0xd0
	s_movk_i32 s19, 0xe0
	;; [unrolled: 1-line block ×16, first 2 shown]
	v_add_nc_u32_e64 v104, 0, 16
	v_add_nc_u32_e64 v103, 0, 32
	s_waitcnt lgkmcnt(0)
	v_add3_u32 v14, s3, s3, v100
	s_ashr_i32 s5, s2, 31
	s_mov_b32 s4, s2
	s_mov_b32 s16, s3
	s_lshl_b64 s[4:5], s[4:5], 4
	v_ashrrev_i32_e32 v15, 31, v14
	s_add_u32 s4, s12, s4
	s_addc_u32 s5, s13, s5
	v_add_co_u32 v42, s2, s4, v13
	s_ashr_i32 s17, s3, 31
	v_add_co_ci_u32_e64 v43, null, s5, 0, s2
	v_lshlrev_b64 v[5:6], 4, v[14:15]
	s_lshl_b64 s[12:13], s[16:17], 4
	global_load_b128 v[1:4], v13, s[4:5]
	v_add_co_u32 v46, vcc_lo, v42, s12
	v_add_co_ci_u32_e32 v47, vcc_lo, s13, v43, vcc_lo
	v_add_co_u32 v44, vcc_lo, s4, v5
	v_add_co_ci_u32_e32 v45, vcc_lo, s5, v6, vcc_lo
	s_clause 0x1
	global_load_b128 v[5:8], v[46:47], off
	global_load_b128 v[9:12], v[44:45], off
	v_add_nc_u32_e32 v14, s3, v14
	s_movk_i32 s2, 0x50
	s_movk_i32 s12, 0x90
	;; [unrolled: 1-line block ×4, first 2 shown]
	v_add_nc_u32_e32 v16, s3, v14
	v_ashrrev_i32_e32 v15, 31, v14
	s_movk_i32 s17, 0xc0
	v_add_nc_u32_e64 v117, s2, 0
	v_add_nc_u32_e64 v114, s12, 0
	v_add_nc_u32_e32 v18, s3, v16
	v_ashrrev_i32_e32 v17, 31, v16
	v_lshlrev_b64 v[14:15], 4, v[14:15]
	v_add_nc_u32_e64 v112, s13, 0
	v_add_nc_u32_e64 v111, s16, 0
	v_add_nc_u32_e32 v20, s3, v18
	v_ashrrev_i32_e32 v19, 31, v18
	v_lshlrev_b64 v[16:17], 4, v[16:17]
	v_add_co_u32 v48, vcc_lo, s4, v14
	s_delay_alu instid0(VALU_DEP_4) | instskip(SKIP_3) | instid1(VALU_DEP_4)
	v_add_nc_u32_e32 v22, s3, v20
	v_ashrrev_i32_e32 v21, 31, v20
	v_lshlrev_b64 v[24:25], 4, v[18:19]
	v_add_co_ci_u32_e32 v49, vcc_lo, s5, v15, vcc_lo
	v_add_nc_u32_e32 v28, s3, v22
	v_ashrrev_i32_e32 v23, 31, v22
	v_add_co_u32 v50, vcc_lo, s4, v16
	v_lshlrev_b64 v[26:27], 4, v[20:21]
	s_delay_alu instid0(VALU_DEP_4) | instskip(SKIP_2) | instid1(VALU_DEP_3)
	v_add_nc_u32_e32 v32, s3, v28
	v_add_co_ci_u32_e32 v51, vcc_lo, s5, v17, vcc_lo
	v_add_co_u32 v52, vcc_lo, s4, v24
	v_add_nc_u32_e32 v36, s3, v32
	v_lshlrev_b64 v[30:31], 4, v[22:23]
	v_ashrrev_i32_e32 v29, 31, v28
	v_add_co_ci_u32_e32 v53, vcc_lo, s5, v25, vcc_lo
	s_delay_alu instid0(VALU_DEP_4) | instskip(SKIP_3) | instid1(VALU_DEP_4)
	v_add_nc_u32_e32 v38, s3, v36
	v_add_co_u32 v54, vcc_lo, s4, v26
	v_ashrrev_i32_e32 v33, 31, v32
	v_add_co_ci_u32_e32 v55, vcc_lo, s5, v27, vcc_lo
	v_add_nc_u32_e32 v64, s3, v38
	v_lshlrev_b64 v[34:35], 4, v[28:29]
	v_add_co_u32 v56, vcc_lo, s4, v30
	v_ashrrev_i32_e32 v37, 31, v36
	v_add_co_ci_u32_e32 v57, vcc_lo, s5, v31, vcc_lo
	v_lshlrev_b64 v[30:31], 4, v[32:33]
	v_add_nc_u32_e32 v66, s3, v64
	v_ashrrev_i32_e32 v39, 31, v38
	v_add_co_u32 v58, vcc_lo, s4, v34
	v_lshlrev_b64 v[40:41], 4, v[36:37]
	v_ashrrev_i32_e32 v65, 31, v64
	v_add_co_ci_u32_e32 v59, vcc_lo, s5, v35, vcc_lo
	v_add_nc_u32_e32 v70, s3, v66
	v_add_co_u32 v60, vcc_lo, s4, v30
	v_lshlrev_b64 v[38:39], 4, v[38:39]
	v_ashrrev_i32_e32 v67, 31, v66
	v_add_co_ci_u32_e32 v61, vcc_lo, s5, v31, vcc_lo
	v_add_co_u32 v62, vcc_lo, s4, v40
	v_lshlrev_b64 v[68:69], 4, v[64:65]
	v_add_nc_u32_e32 v74, s3, v70
	v_add_co_ci_u32_e32 v63, vcc_lo, s5, v41, vcc_lo
	v_add_co_u32 v64, vcc_lo, s4, v38
	v_lshlrev_b64 v[72:73], 4, v[66:67]
	v_add_co_ci_u32_e32 v65, vcc_lo, s5, v39, vcc_lo
	v_add_co_u32 v66, vcc_lo, s4, v68
	v_ashrrev_i32_e32 v75, 31, v74
	v_add_nc_u32_e32 v76, s3, v74
	v_add_co_ci_u32_e32 v67, vcc_lo, s5, v69, vcc_lo
	v_ashrrev_i32_e32 v71, 31, v70
	v_add_co_u32 v68, vcc_lo, s4, v72
	v_add_co_ci_u32_e32 v69, vcc_lo, s5, v73, vcc_lo
	v_lshlrev_b64 v[72:73], 4, v[74:75]
	v_add_nc_u32_e32 v74, s3, v76
	v_lshlrev_b64 v[70:71], 4, v[70:71]
	v_ashrrev_i32_e32 v77, 31, v76
	s_clause 0x3
	global_load_b128 v[14:17], v[48:49], off
	global_load_b128 v[18:21], v[50:51], off
	;; [unrolled: 1-line block ×4, first 2 shown]
	v_add_nc_u32_e32 v78, s3, v74
	v_ashrrev_i32_e32 v75, 31, v74
	v_add_co_u32 v70, vcc_lo, s4, v70
	v_lshlrev_b64 v[76:77], 4, v[76:77]
	s_delay_alu instid0(VALU_DEP_4)
	v_add_nc_u32_e32 v82, s3, v78
	v_add_co_ci_u32_e32 v71, vcc_lo, s5, v71, vcc_lo
	v_add_co_u32 v72, vcc_lo, s4, v72
	v_lshlrev_b64 v[80:81], 4, v[74:75]
	v_add_co_ci_u32_e32 v73, vcc_lo, s5, v73, vcc_lo
	v_add_co_u32 v74, vcc_lo, s4, v76
	v_ashrrev_i32_e32 v83, 31, v82
	v_add_nc_u32_e32 v84, s3, v82
	v_add_co_ci_u32_e32 v75, vcc_lo, s5, v77, vcc_lo
	v_ashrrev_i32_e32 v79, 31, v78
	v_add_co_u32 v76, vcc_lo, s4, v80
	v_add_co_ci_u32_e32 v77, vcc_lo, s5, v81, vcc_lo
	v_lshlrev_b64 v[80:81], 4, v[82:83]
	v_add_nc_u32_e32 v82, s3, v84
	v_lshlrev_b64 v[78:79], 4, v[78:79]
	v_ashrrev_i32_e32 v85, 31, v84
	s_clause 0x3
	global_load_b128 v[30:33], v[56:57], off
	global_load_b128 v[34:37], v[58:59], off
	;; [unrolled: 1-line block ×4, first 2 shown]
	v_add_nc_u32_e32 v86, s3, v82
	v_ashrrev_i32_e32 v83, 31, v82
	v_add_co_u32 v78, vcc_lo, s4, v78
	v_lshlrev_b64 v[84:85], 4, v[84:85]
	s_delay_alu instid0(VALU_DEP_4)
	v_add_nc_u32_e32 v90, s3, v86
	v_add_co_ci_u32_e32 v79, vcc_lo, s5, v79, vcc_lo
	v_add_co_u32 v80, vcc_lo, s4, v80
	v_lshlrev_b64 v[88:89], 4, v[82:83]
	v_add_co_ci_u32_e32 v81, vcc_lo, s5, v81, vcc_lo
	v_add_co_u32 v82, vcc_lo, s4, v84
	v_ashrrev_i32_e32 v91, 31, v90
	v_add_nc_u32_e32 v92, s3, v90
	v_add_co_ci_u32_e32 v83, vcc_lo, s5, v85, vcc_lo
	v_add_co_u32 v84, vcc_lo, s4, v88
	v_ashrrev_i32_e32 v87, 31, v86
	v_add_co_ci_u32_e32 v85, vcc_lo, s5, v89, vcc_lo
	v_lshlrev_b64 v[88:89], 4, v[90:91]
	v_add_nc_u32_e32 v90, s3, v92
	s_delay_alu instid0(VALU_DEP_4)
	v_lshlrev_b64 v[86:87], 4, v[86:87]
	v_ashrrev_i32_e32 v93, 31, v92
	s_clause 0x3
	global_load_b128 v[122:125], v[64:65], off
	global_load_b128 v[126:129], v[66:67], off
	;; [unrolled: 1-line block ×4, first 2 shown]
	v_add_nc_u32_e32 v94, s3, v90
	v_ashrrev_i32_e32 v91, 31, v90
	v_add_co_u32 v86, vcc_lo, s4, v86
	v_lshlrev_b64 v[92:93], 4, v[92:93]
	s_delay_alu instid0(VALU_DEP_4)
	v_add_nc_u32_e32 v98, s3, v94
	v_add_co_ci_u32_e32 v87, vcc_lo, s5, v87, vcc_lo
	v_add_co_u32 v88, vcc_lo, s4, v88
	v_lshlrev_b64 v[96:97], 4, v[90:91]
	v_ashrrev_i32_e32 v95, 31, v94
	v_add_nc_u32_e32 v101, s3, v98
	v_add_co_ci_u32_e32 v89, vcc_lo, s5, v89, vcc_lo
	v_add_co_u32 v90, vcc_lo, s4, v92
	v_ashrrev_i32_e32 v99, 31, v98
	v_add_co_ci_u32_e32 v91, vcc_lo, s5, v93, vcc_lo
	v_lshlrev_b64 v[94:95], 4, v[94:95]
	v_add_co_u32 v92, vcc_lo, s4, v96
	v_ashrrev_i32_e32 v102, 31, v101
	v_add_co_ci_u32_e32 v93, vcc_lo, s5, v97, vcc_lo
	v_lshlrev_b64 v[96:97], 4, v[98:99]
	v_add_co_u32 v94, vcc_lo, s4, v94
	s_delay_alu instid0(VALU_DEP_4) | instskip(SKIP_1) | instid1(VALU_DEP_4)
	v_lshlrev_b64 v[98:99], 4, v[101:102]
	v_add_co_ci_u32_e32 v95, vcc_lo, s5, v95, vcc_lo
	v_add_co_u32 v96, vcc_lo, s4, v96
	v_add_co_ci_u32_e32 v97, vcc_lo, s5, v97, vcc_lo
	s_delay_alu instid0(VALU_DEP_4)
	v_add_co_u32 v98, vcc_lo, s4, v98
	s_clause 0x9
	global_load_b128 v[138:141], v[72:73], off
	global_load_b128 v[142:145], v[74:75], off
	;; [unrolled: 1-line block ×10, first 2 shown]
	v_add_co_ci_u32_e32 v99, vcc_lo, s5, v99, vcc_lo
	global_load_b128 v[178:181], v[92:93], off
	s_movk_i32 s3, 0x60
	s_movk_i32 s4, 0x70
	;; [unrolled: 1-line block ×3, first 2 shown]
	v_add_nc_u32_e64 v102, 0, 48
	v_add_nc_u32_e64 v101, 0, 64
	v_add_nc_u32_e64 v116, s3, 0
	v_add_nc_u32_e64 v115, s4, 0
	v_add_nc_u32_e64 v113, s5, 0
	v_add_nc_u32_e64 v109, s17, 0
	v_add_nc_u32_e64 v110, s18, 0
	v_add_nc_u32_e64 v108, s19, 0
	v_add_nc_u32_e64 v107, s20, 0
	v_add_nc_u32_e64 v105, s21, 0
	v_add_nc_u32_e64 v106, s22, 0
	s_bitcmp0_b32 s15, 0
	s_mov_b32 s3, -1
	s_waitcnt vmcnt(25)
	scratch_store_b128 off, v[1:4], off
	global_load_b128 v[1:4], v[94:95], off
	s_waitcnt vmcnt(25)
	scratch_store_b128 off, v[5:8], off offset:16
	global_load_b128 v[5:8], v[96:97], off
	s_waitcnt vmcnt(25)
	scratch_store_b128 off, v[9:12], off offset:32
	global_load_b128 v[9:12], v[98:99], off
	s_waitcnt vmcnt(25)
	scratch_store_b128 off, v[14:17], off offset:48
	s_waitcnt vmcnt(24)
	scratch_store_b128 off, v[18:21], off offset:64
	s_waitcnt vmcnt(23)
	scratch_store_b128 off, v[22:25], off offset:80
	;; [unrolled: 2-line block ×22, first 2 shown]
	v_add_nc_u32_e64 v128, s23, 0
	v_add_nc_u32_e64 v127, s24, 0
	;; [unrolled: 1-line block ×11, first 2 shown]
	s_waitcnt vmcnt(2)
	scratch_store_b128 off, v[1:4], off offset:416
	s_waitcnt vmcnt(1)
	scratch_store_b128 off, v[5:8], off offset:432
	;; [unrolled: 2-line block ×3, first 2 shown]
	s_cbranch_scc1 .LBB92_128
; %bb.4:
	v_cmp_eq_u32_e64 s2, 0, v100
	s_delay_alu instid0(VALU_DEP_1)
	s_and_saveexec_b32 s3, s2
	s_cbranch_execz .LBB92_6
; %bb.5:
	v_mov_b32_e32 v1, 0
	ds_store_b32 v1, v1 offset:928
.LBB92_6:
	s_or_b32 exec_lo, exec_lo, s3
	s_waitcnt lgkmcnt(0)
	s_waitcnt_vscnt null, 0x0
	s_barrier
	buffer_gl0_inv
	scratch_load_b128 v[1:4], v13, off
	s_waitcnt vmcnt(0)
	v_cmp_eq_f64_e32 vcc_lo, 0, v[1:2]
	v_cmp_eq_f64_e64 s3, 0, v[3:4]
	s_delay_alu instid0(VALU_DEP_1) | instskip(NEXT) | instid1(SALU_CYCLE_1)
	s_and_b32 s3, vcc_lo, s3
	s_and_saveexec_b32 s4, s3
	s_cbranch_execz .LBB92_10
; %bb.7:
	v_mov_b32_e32 v1, 0
	s_mov_b32 s5, 0
	ds_load_b32 v2, v1 offset:928
	s_waitcnt lgkmcnt(0)
	v_readfirstlane_b32 s3, v2
	v_add_nc_u32_e32 v2, 1, v100
	s_delay_alu instid0(VALU_DEP_2) | instskip(NEXT) | instid1(VALU_DEP_1)
	s_cmp_eq_u32 s3, 0
	v_cmp_gt_i32_e32 vcc_lo, s3, v2
	s_cselect_b32 s12, -1, 0
	s_delay_alu instid0(SALU_CYCLE_1) | instskip(NEXT) | instid1(SALU_CYCLE_1)
	s_or_b32 s12, s12, vcc_lo
	s_and_b32 exec_lo, exec_lo, s12
	s_cbranch_execz .LBB92_10
; %bb.8:
	v_mov_b32_e32 v3, s3
.LBB92_9:                               ; =>This Inner Loop Header: Depth=1
	ds_cmpstore_rtn_b32 v3, v1, v2, v3 offset:928
	s_waitcnt lgkmcnt(0)
	v_cmp_ne_u32_e32 vcc_lo, 0, v3
	v_cmp_le_i32_e64 s3, v3, v2
	s_delay_alu instid0(VALU_DEP_1) | instskip(NEXT) | instid1(SALU_CYCLE_1)
	s_and_b32 s3, vcc_lo, s3
	s_and_b32 s3, exec_lo, s3
	s_delay_alu instid0(SALU_CYCLE_1) | instskip(NEXT) | instid1(SALU_CYCLE_1)
	s_or_b32 s5, s3, s5
	s_and_not1_b32 exec_lo, exec_lo, s5
	s_cbranch_execnz .LBB92_9
.LBB92_10:
	s_or_b32 exec_lo, exec_lo, s4
	v_mov_b32_e32 v1, 0
	s_barrier
	buffer_gl0_inv
	ds_load_b32 v2, v1 offset:928
	s_and_saveexec_b32 s3, s2
	s_cbranch_execz .LBB92_12
; %bb.11:
	s_lshl_b64 s[4:5], s[10:11], 2
	s_delay_alu instid0(SALU_CYCLE_1)
	s_add_u32 s4, s6, s4
	s_addc_u32 s5, s7, s5
	s_waitcnt lgkmcnt(0)
	global_store_b32 v1, v2, s[4:5]
.LBB92_12:
	s_or_b32 exec_lo, exec_lo, s3
	s_waitcnt lgkmcnt(0)
	v_cmp_ne_u32_e32 vcc_lo, 0, v2
	s_mov_b32 s3, 0
	s_cbranch_vccnz .LBB92_128
; %bb.13:
	v_add_nc_u32_e32 v14, 0, v13
                                        ; implicit-def: $vgpr9_vgpr10
	scratch_load_b128 v[1:4], v14, off
	s_waitcnt vmcnt(0)
	v_mov_b32_e32 v5, v1
	v_cmp_gt_f64_e32 vcc_lo, 0, v[1:2]
	v_xor_b32_e32 v6, 0x80000000, v2
	v_xor_b32_e32 v7, 0x80000000, v4
	s_delay_alu instid0(VALU_DEP_2) | instskip(SKIP_1) | instid1(VALU_DEP_3)
	v_cndmask_b32_e32 v6, v2, v6, vcc_lo
	v_cmp_gt_f64_e32 vcc_lo, 0, v[3:4]
	v_dual_cndmask_b32 v8, v4, v7 :: v_dual_mov_b32 v7, v3
	s_delay_alu instid0(VALU_DEP_1) | instskip(SKIP_1) | instid1(SALU_CYCLE_1)
	v_cmp_ngt_f64_e32 vcc_lo, v[5:6], v[7:8]
                                        ; implicit-def: $vgpr5_vgpr6
	s_and_saveexec_b32 s3, vcc_lo
	s_xor_b32 s3, exec_lo, s3
	s_cbranch_execz .LBB92_15
; %bb.14:
	v_div_scale_f64 v[5:6], null, v[3:4], v[3:4], v[1:2]
	v_div_scale_f64 v[11:12], vcc_lo, v[1:2], v[3:4], v[1:2]
	s_delay_alu instid0(VALU_DEP_2) | instskip(SKIP_2) | instid1(VALU_DEP_1)
	v_rcp_f64_e32 v[7:8], v[5:6]
	s_waitcnt_depctr 0xfff
	v_fma_f64 v[9:10], -v[5:6], v[7:8], 1.0
	v_fma_f64 v[7:8], v[7:8], v[9:10], v[7:8]
	s_delay_alu instid0(VALU_DEP_1) | instskip(NEXT) | instid1(VALU_DEP_1)
	v_fma_f64 v[9:10], -v[5:6], v[7:8], 1.0
	v_fma_f64 v[7:8], v[7:8], v[9:10], v[7:8]
	s_delay_alu instid0(VALU_DEP_1) | instskip(NEXT) | instid1(VALU_DEP_1)
	v_mul_f64 v[9:10], v[11:12], v[7:8]
	v_fma_f64 v[5:6], -v[5:6], v[9:10], v[11:12]
	s_delay_alu instid0(VALU_DEP_1) | instskip(NEXT) | instid1(VALU_DEP_1)
	v_div_fmas_f64 v[5:6], v[5:6], v[7:8], v[9:10]
	v_div_fixup_f64 v[5:6], v[5:6], v[3:4], v[1:2]
	s_delay_alu instid0(VALU_DEP_1) | instskip(NEXT) | instid1(VALU_DEP_1)
	v_fma_f64 v[1:2], v[1:2], v[5:6], v[3:4]
	v_div_scale_f64 v[3:4], null, v[1:2], v[1:2], 1.0
	v_div_scale_f64 v[11:12], vcc_lo, 1.0, v[1:2], 1.0
	s_delay_alu instid0(VALU_DEP_2) | instskip(SKIP_2) | instid1(VALU_DEP_1)
	v_rcp_f64_e32 v[7:8], v[3:4]
	s_waitcnt_depctr 0xfff
	v_fma_f64 v[9:10], -v[3:4], v[7:8], 1.0
	v_fma_f64 v[7:8], v[7:8], v[9:10], v[7:8]
	s_delay_alu instid0(VALU_DEP_1) | instskip(NEXT) | instid1(VALU_DEP_1)
	v_fma_f64 v[9:10], -v[3:4], v[7:8], 1.0
	v_fma_f64 v[7:8], v[7:8], v[9:10], v[7:8]
	s_delay_alu instid0(VALU_DEP_1) | instskip(NEXT) | instid1(VALU_DEP_1)
	v_mul_f64 v[9:10], v[11:12], v[7:8]
	v_fma_f64 v[3:4], -v[3:4], v[9:10], v[11:12]
	s_delay_alu instid0(VALU_DEP_1) | instskip(NEXT) | instid1(VALU_DEP_1)
	v_div_fmas_f64 v[3:4], v[3:4], v[7:8], v[9:10]
	v_div_fixup_f64 v[7:8], v[3:4], v[1:2], 1.0
                                        ; implicit-def: $vgpr1_vgpr2
	s_delay_alu instid0(VALU_DEP_1) | instskip(SKIP_1) | instid1(VALU_DEP_2)
	v_mul_f64 v[5:6], v[5:6], v[7:8]
	v_xor_b32_e32 v8, 0x80000000, v8
	v_xor_b32_e32 v10, 0x80000000, v6
	s_delay_alu instid0(VALU_DEP_3)
	v_mov_b32_e32 v9, v5
.LBB92_15:
	s_and_not1_saveexec_b32 s3, s3
	s_cbranch_execz .LBB92_17
; %bb.16:
	v_div_scale_f64 v[5:6], null, v[1:2], v[1:2], v[3:4]
	v_div_scale_f64 v[11:12], vcc_lo, v[3:4], v[1:2], v[3:4]
	s_delay_alu instid0(VALU_DEP_2) | instskip(SKIP_2) | instid1(VALU_DEP_1)
	v_rcp_f64_e32 v[7:8], v[5:6]
	s_waitcnt_depctr 0xfff
	v_fma_f64 v[9:10], -v[5:6], v[7:8], 1.0
	v_fma_f64 v[7:8], v[7:8], v[9:10], v[7:8]
	s_delay_alu instid0(VALU_DEP_1) | instskip(NEXT) | instid1(VALU_DEP_1)
	v_fma_f64 v[9:10], -v[5:6], v[7:8], 1.0
	v_fma_f64 v[7:8], v[7:8], v[9:10], v[7:8]
	s_delay_alu instid0(VALU_DEP_1) | instskip(NEXT) | instid1(VALU_DEP_1)
	v_mul_f64 v[9:10], v[11:12], v[7:8]
	v_fma_f64 v[5:6], -v[5:6], v[9:10], v[11:12]
	s_delay_alu instid0(VALU_DEP_1) | instskip(NEXT) | instid1(VALU_DEP_1)
	v_div_fmas_f64 v[5:6], v[5:6], v[7:8], v[9:10]
	v_div_fixup_f64 v[7:8], v[5:6], v[1:2], v[3:4]
	s_delay_alu instid0(VALU_DEP_1) | instskip(NEXT) | instid1(VALU_DEP_1)
	v_fma_f64 v[1:2], v[3:4], v[7:8], v[1:2]
	v_div_scale_f64 v[3:4], null, v[1:2], v[1:2], 1.0
	s_delay_alu instid0(VALU_DEP_1) | instskip(SKIP_2) | instid1(VALU_DEP_1)
	v_rcp_f64_e32 v[5:6], v[3:4]
	s_waitcnt_depctr 0xfff
	v_fma_f64 v[9:10], -v[3:4], v[5:6], 1.0
	v_fma_f64 v[5:6], v[5:6], v[9:10], v[5:6]
	s_delay_alu instid0(VALU_DEP_1) | instskip(NEXT) | instid1(VALU_DEP_1)
	v_fma_f64 v[9:10], -v[3:4], v[5:6], 1.0
	v_fma_f64 v[5:6], v[5:6], v[9:10], v[5:6]
	v_div_scale_f64 v[9:10], vcc_lo, 1.0, v[1:2], 1.0
	s_delay_alu instid0(VALU_DEP_1) | instskip(NEXT) | instid1(VALU_DEP_1)
	v_mul_f64 v[11:12], v[9:10], v[5:6]
	v_fma_f64 v[3:4], -v[3:4], v[11:12], v[9:10]
	s_delay_alu instid0(VALU_DEP_1) | instskip(NEXT) | instid1(VALU_DEP_1)
	v_div_fmas_f64 v[3:4], v[3:4], v[5:6], v[11:12]
	v_div_fixup_f64 v[5:6], v[3:4], v[1:2], 1.0
	s_delay_alu instid0(VALU_DEP_1)
	v_mul_f64 v[7:8], v[7:8], -v[5:6]
	v_xor_b32_e32 v10, 0x80000000, v6
	v_mov_b32_e32 v9, v5
.LBB92_17:
	s_or_b32 exec_lo, exec_lo, s3
	scratch_store_b128 v14, v[5:8], off
	scratch_load_b128 v[1:4], v104, off
	v_xor_b32_e32 v12, 0x80000000, v8
	v_mov_b32_e32 v11, v7
	v_add_nc_u32_e32 v5, 0x1d0, v13
	ds_store_b128 v13, v[9:12]
	s_waitcnt vmcnt(0)
	ds_store_b128 v13, v[1:4] offset:464
	s_waitcnt lgkmcnt(0)
	s_waitcnt_vscnt null, 0x0
	s_barrier
	buffer_gl0_inv
	s_and_saveexec_b32 s3, s2
	s_cbranch_execz .LBB92_19
; %bb.18:
	scratch_load_b128 v[1:4], v14, off
	ds_load_b128 v[6:9], v5
	v_mov_b32_e32 v10, 0
	ds_load_b128 v[15:18], v10 offset:16
	s_waitcnt vmcnt(0) lgkmcnt(1)
	v_mul_f64 v[10:11], v[6:7], v[3:4]
	v_mul_f64 v[3:4], v[8:9], v[3:4]
	s_delay_alu instid0(VALU_DEP_2) | instskip(NEXT) | instid1(VALU_DEP_2)
	v_fma_f64 v[8:9], v[8:9], v[1:2], v[10:11]
	v_fma_f64 v[1:2], v[6:7], v[1:2], -v[3:4]
	s_delay_alu instid0(VALU_DEP_2) | instskip(NEXT) | instid1(VALU_DEP_2)
	v_add_f64 v[3:4], v[8:9], 0
	v_add_f64 v[1:2], v[1:2], 0
	s_waitcnt lgkmcnt(0)
	s_delay_alu instid0(VALU_DEP_2) | instskip(NEXT) | instid1(VALU_DEP_2)
	v_mul_f64 v[6:7], v[3:4], v[17:18]
	v_mul_f64 v[8:9], v[1:2], v[17:18]
	s_delay_alu instid0(VALU_DEP_2) | instskip(NEXT) | instid1(VALU_DEP_2)
	v_fma_f64 v[1:2], v[1:2], v[15:16], -v[6:7]
	v_fma_f64 v[3:4], v[3:4], v[15:16], v[8:9]
	scratch_store_b128 off, v[1:4], off offset:16
.LBB92_19:
	s_or_b32 exec_lo, exec_lo, s3
	s_waitcnt_vscnt null, 0x0
	s_barrier
	buffer_gl0_inv
	scratch_load_b128 v[1:4], v103, off
	s_mov_b32 s3, exec_lo
	s_waitcnt vmcnt(0)
	ds_store_b128 v5, v[1:4]
	s_waitcnt lgkmcnt(0)
	s_barrier
	buffer_gl0_inv
	v_cmpx_gt_u32_e32 2, v100
	s_cbranch_execz .LBB92_23
; %bb.20:
	scratch_load_b128 v[1:4], v14, off
	ds_load_b128 v[6:9], v5
	s_waitcnt vmcnt(0) lgkmcnt(0)
	v_mul_f64 v[10:11], v[8:9], v[3:4]
	v_mul_f64 v[3:4], v[6:7], v[3:4]
	s_delay_alu instid0(VALU_DEP_2) | instskip(NEXT) | instid1(VALU_DEP_2)
	v_fma_f64 v[6:7], v[6:7], v[1:2], -v[10:11]
	v_fma_f64 v[3:4], v[8:9], v[1:2], v[3:4]
	s_delay_alu instid0(VALU_DEP_2) | instskip(NEXT) | instid1(VALU_DEP_2)
	v_add_f64 v[1:2], v[6:7], 0
	v_add_f64 v[3:4], v[3:4], 0
	s_and_saveexec_b32 s4, s2
	s_cbranch_execz .LBB92_22
; %bb.21:
	scratch_load_b128 v[6:9], off, off offset:16
	v_mov_b32_e32 v10, 0
	ds_load_b128 v[15:18], v10 offset:480
	s_waitcnt vmcnt(0) lgkmcnt(0)
	v_mul_f64 v[10:11], v[15:16], v[8:9]
	v_mul_f64 v[8:9], v[17:18], v[8:9]
	s_delay_alu instid0(VALU_DEP_2) | instskip(NEXT) | instid1(VALU_DEP_2)
	v_fma_f64 v[10:11], v[17:18], v[6:7], v[10:11]
	v_fma_f64 v[6:7], v[15:16], v[6:7], -v[8:9]
	s_delay_alu instid0(VALU_DEP_2) | instskip(NEXT) | instid1(VALU_DEP_2)
	v_add_f64 v[3:4], v[3:4], v[10:11]
	v_add_f64 v[1:2], v[1:2], v[6:7]
.LBB92_22:
	s_or_b32 exec_lo, exec_lo, s4
	v_mov_b32_e32 v6, 0
	ds_load_b128 v[6:9], v6 offset:32
	s_waitcnt lgkmcnt(0)
	v_mul_f64 v[10:11], v[3:4], v[8:9]
	v_mul_f64 v[8:9], v[1:2], v[8:9]
	s_delay_alu instid0(VALU_DEP_2) | instskip(NEXT) | instid1(VALU_DEP_2)
	v_fma_f64 v[1:2], v[1:2], v[6:7], -v[10:11]
	v_fma_f64 v[3:4], v[3:4], v[6:7], v[8:9]
	scratch_store_b128 off, v[1:4], off offset:32
.LBB92_23:
	s_or_b32 exec_lo, exec_lo, s3
	s_waitcnt_vscnt null, 0x0
	s_barrier
	buffer_gl0_inv
	scratch_load_b128 v[1:4], v102, off
	v_add_nc_u32_e32 v6, -1, v100
	s_mov_b32 s2, exec_lo
	s_waitcnt vmcnt(0)
	ds_store_b128 v5, v[1:4]
	s_waitcnt lgkmcnt(0)
	s_barrier
	buffer_gl0_inv
	v_cmpx_gt_u32_e32 3, v100
	s_cbranch_execz .LBB92_27
; %bb.24:
	v_dual_mov_b32 v1, 0 :: v_dual_add_nc_u32 v8, 0x1d0, v13
	v_dual_mov_b32 v2, 0 :: v_dual_add_nc_u32 v7, -1, v100
	v_or_b32_e32 v9, 8, v14
	s_mov_b32 s3, 0
	s_delay_alu instid0(VALU_DEP_2)
	v_dual_mov_b32 v4, v2 :: v_dual_mov_b32 v3, v1
	.p2align	6
.LBB92_25:                              ; =>This Inner Loop Header: Depth=1
	scratch_load_b128 v[15:18], v9, off offset:-8
	ds_load_b128 v[19:22], v8
	v_add_nc_u32_e32 v7, 1, v7
	v_add_nc_u32_e32 v8, 16, v8
	;; [unrolled: 1-line block ×3, first 2 shown]
	s_delay_alu instid0(VALU_DEP_3) | instskip(SKIP_4) | instid1(VALU_DEP_2)
	v_cmp_lt_u32_e32 vcc_lo, 1, v7
	s_or_b32 s3, vcc_lo, s3
	s_waitcnt vmcnt(0) lgkmcnt(0)
	v_mul_f64 v[10:11], v[21:22], v[17:18]
	v_mul_f64 v[17:18], v[19:20], v[17:18]
	v_fma_f64 v[10:11], v[19:20], v[15:16], -v[10:11]
	s_delay_alu instid0(VALU_DEP_2) | instskip(NEXT) | instid1(VALU_DEP_2)
	v_fma_f64 v[15:16], v[21:22], v[15:16], v[17:18]
	v_add_f64 v[3:4], v[3:4], v[10:11]
	s_delay_alu instid0(VALU_DEP_2)
	v_add_f64 v[1:2], v[1:2], v[15:16]
	s_and_not1_b32 exec_lo, exec_lo, s3
	s_cbranch_execnz .LBB92_25
; %bb.26:
	s_or_b32 exec_lo, exec_lo, s3
	v_mov_b32_e32 v7, 0
	ds_load_b128 v[7:10], v7 offset:48
	s_waitcnt lgkmcnt(0)
	v_mul_f64 v[11:12], v[1:2], v[9:10]
	v_mul_f64 v[15:16], v[3:4], v[9:10]
	s_delay_alu instid0(VALU_DEP_2) | instskip(NEXT) | instid1(VALU_DEP_2)
	v_fma_f64 v[9:10], v[3:4], v[7:8], -v[11:12]
	v_fma_f64 v[11:12], v[1:2], v[7:8], v[15:16]
	scratch_store_b128 off, v[9:12], off offset:48
.LBB92_27:
	s_or_b32 exec_lo, exec_lo, s2
	s_waitcnt_vscnt null, 0x0
	s_barrier
	buffer_gl0_inv
	scratch_load_b128 v[1:4], v101, off
	s_mov_b32 s2, exec_lo
	s_waitcnt vmcnt(0)
	ds_store_b128 v5, v[1:4]
	s_waitcnt lgkmcnt(0)
	s_barrier
	buffer_gl0_inv
	v_cmpx_gt_u32_e32 4, v100
	s_cbranch_execz .LBB92_31
; %bb.28:
	v_dual_mov_b32 v1, 0 :: v_dual_add_nc_u32 v8, 0x1d0, v13
	v_dual_mov_b32 v2, 0 :: v_dual_add_nc_u32 v7, -1, v100
	v_or_b32_e32 v9, 8, v14
	s_mov_b32 s3, 0
	s_delay_alu instid0(VALU_DEP_2)
	v_dual_mov_b32 v4, v2 :: v_dual_mov_b32 v3, v1
	.p2align	6
.LBB92_29:                              ; =>This Inner Loop Header: Depth=1
	scratch_load_b128 v[15:18], v9, off offset:-8
	ds_load_b128 v[19:22], v8
	v_add_nc_u32_e32 v7, 1, v7
	v_add_nc_u32_e32 v8, 16, v8
	;; [unrolled: 1-line block ×3, first 2 shown]
	s_delay_alu instid0(VALU_DEP_3) | instskip(SKIP_4) | instid1(VALU_DEP_2)
	v_cmp_lt_u32_e32 vcc_lo, 2, v7
	s_or_b32 s3, vcc_lo, s3
	s_waitcnt vmcnt(0) lgkmcnt(0)
	v_mul_f64 v[10:11], v[21:22], v[17:18]
	v_mul_f64 v[17:18], v[19:20], v[17:18]
	v_fma_f64 v[10:11], v[19:20], v[15:16], -v[10:11]
	s_delay_alu instid0(VALU_DEP_2) | instskip(NEXT) | instid1(VALU_DEP_2)
	v_fma_f64 v[15:16], v[21:22], v[15:16], v[17:18]
	v_add_f64 v[3:4], v[3:4], v[10:11]
	s_delay_alu instid0(VALU_DEP_2)
	v_add_f64 v[1:2], v[1:2], v[15:16]
	s_and_not1_b32 exec_lo, exec_lo, s3
	s_cbranch_execnz .LBB92_29
; %bb.30:
	s_or_b32 exec_lo, exec_lo, s3
	v_mov_b32_e32 v7, 0
	ds_load_b128 v[7:10], v7 offset:64
	s_waitcnt lgkmcnt(0)
	v_mul_f64 v[11:12], v[1:2], v[9:10]
	v_mul_f64 v[15:16], v[3:4], v[9:10]
	s_delay_alu instid0(VALU_DEP_2) | instskip(NEXT) | instid1(VALU_DEP_2)
	v_fma_f64 v[9:10], v[3:4], v[7:8], -v[11:12]
	v_fma_f64 v[11:12], v[1:2], v[7:8], v[15:16]
	scratch_store_b128 off, v[9:12], off offset:64
.LBB92_31:
	s_or_b32 exec_lo, exec_lo, s2
	s_waitcnt_vscnt null, 0x0
	s_barrier
	buffer_gl0_inv
	scratch_load_b128 v[1:4], v117, off
	s_mov_b32 s2, exec_lo
	s_waitcnt vmcnt(0)
	ds_store_b128 v5, v[1:4]
	s_waitcnt lgkmcnt(0)
	s_barrier
	buffer_gl0_inv
	v_cmpx_gt_u32_e32 5, v100
	s_cbranch_execz .LBB92_35
; %bb.32:
	v_dual_mov_b32 v1, 0 :: v_dual_add_nc_u32 v8, 0x1d0, v13
	v_dual_mov_b32 v2, 0 :: v_dual_add_nc_u32 v7, -1, v100
	v_or_b32_e32 v9, 8, v14
	s_mov_b32 s3, 0
	s_delay_alu instid0(VALU_DEP_2)
	v_dual_mov_b32 v4, v2 :: v_dual_mov_b32 v3, v1
	.p2align	6
.LBB92_33:                              ; =>This Inner Loop Header: Depth=1
	scratch_load_b128 v[15:18], v9, off offset:-8
	ds_load_b128 v[19:22], v8
	v_add_nc_u32_e32 v7, 1, v7
	v_add_nc_u32_e32 v8, 16, v8
	;; [unrolled: 1-line block ×3, first 2 shown]
	s_delay_alu instid0(VALU_DEP_3) | instskip(SKIP_4) | instid1(VALU_DEP_2)
	v_cmp_lt_u32_e32 vcc_lo, 3, v7
	s_or_b32 s3, vcc_lo, s3
	s_waitcnt vmcnt(0) lgkmcnt(0)
	v_mul_f64 v[10:11], v[21:22], v[17:18]
	v_mul_f64 v[17:18], v[19:20], v[17:18]
	v_fma_f64 v[10:11], v[19:20], v[15:16], -v[10:11]
	s_delay_alu instid0(VALU_DEP_2) | instskip(NEXT) | instid1(VALU_DEP_2)
	v_fma_f64 v[15:16], v[21:22], v[15:16], v[17:18]
	v_add_f64 v[3:4], v[3:4], v[10:11]
	s_delay_alu instid0(VALU_DEP_2)
	v_add_f64 v[1:2], v[1:2], v[15:16]
	s_and_not1_b32 exec_lo, exec_lo, s3
	s_cbranch_execnz .LBB92_33
; %bb.34:
	s_or_b32 exec_lo, exec_lo, s3
	v_mov_b32_e32 v7, 0
	ds_load_b128 v[7:10], v7 offset:80
	s_waitcnt lgkmcnt(0)
	v_mul_f64 v[11:12], v[1:2], v[9:10]
	v_mul_f64 v[15:16], v[3:4], v[9:10]
	s_delay_alu instid0(VALU_DEP_2) | instskip(NEXT) | instid1(VALU_DEP_2)
	v_fma_f64 v[9:10], v[3:4], v[7:8], -v[11:12]
	v_fma_f64 v[11:12], v[1:2], v[7:8], v[15:16]
	scratch_store_b128 off, v[9:12], off offset:80
.LBB92_35:
	s_or_b32 exec_lo, exec_lo, s2
	s_waitcnt_vscnt null, 0x0
	s_barrier
	buffer_gl0_inv
	scratch_load_b128 v[1:4], v116, off
	s_mov_b32 s2, exec_lo
	s_waitcnt vmcnt(0)
	ds_store_b128 v5, v[1:4]
	s_waitcnt lgkmcnt(0)
	s_barrier
	buffer_gl0_inv
	v_cmpx_gt_u32_e32 6, v100
	s_cbranch_execz .LBB92_39
; %bb.36:
	v_dual_mov_b32 v1, 0 :: v_dual_add_nc_u32 v8, 0x1d0, v13
	v_dual_mov_b32 v2, 0 :: v_dual_add_nc_u32 v7, -1, v100
	v_or_b32_e32 v9, 8, v14
	s_mov_b32 s3, 0
	s_delay_alu instid0(VALU_DEP_2)
	v_dual_mov_b32 v4, v2 :: v_dual_mov_b32 v3, v1
	.p2align	6
.LBB92_37:                              ; =>This Inner Loop Header: Depth=1
	scratch_load_b128 v[15:18], v9, off offset:-8
	ds_load_b128 v[19:22], v8
	v_add_nc_u32_e32 v7, 1, v7
	v_add_nc_u32_e32 v8, 16, v8
	;; [unrolled: 1-line block ×3, first 2 shown]
	s_delay_alu instid0(VALU_DEP_3) | instskip(SKIP_4) | instid1(VALU_DEP_2)
	v_cmp_lt_u32_e32 vcc_lo, 4, v7
	s_or_b32 s3, vcc_lo, s3
	s_waitcnt vmcnt(0) lgkmcnt(0)
	v_mul_f64 v[10:11], v[21:22], v[17:18]
	v_mul_f64 v[17:18], v[19:20], v[17:18]
	v_fma_f64 v[10:11], v[19:20], v[15:16], -v[10:11]
	s_delay_alu instid0(VALU_DEP_2) | instskip(NEXT) | instid1(VALU_DEP_2)
	v_fma_f64 v[15:16], v[21:22], v[15:16], v[17:18]
	v_add_f64 v[3:4], v[3:4], v[10:11]
	s_delay_alu instid0(VALU_DEP_2)
	v_add_f64 v[1:2], v[1:2], v[15:16]
	s_and_not1_b32 exec_lo, exec_lo, s3
	s_cbranch_execnz .LBB92_37
; %bb.38:
	s_or_b32 exec_lo, exec_lo, s3
	v_mov_b32_e32 v7, 0
	ds_load_b128 v[7:10], v7 offset:96
	s_waitcnt lgkmcnt(0)
	v_mul_f64 v[11:12], v[1:2], v[9:10]
	v_mul_f64 v[15:16], v[3:4], v[9:10]
	s_delay_alu instid0(VALU_DEP_2) | instskip(NEXT) | instid1(VALU_DEP_2)
	v_fma_f64 v[9:10], v[3:4], v[7:8], -v[11:12]
	v_fma_f64 v[11:12], v[1:2], v[7:8], v[15:16]
	scratch_store_b128 off, v[9:12], off offset:96
.LBB92_39:
	s_or_b32 exec_lo, exec_lo, s2
	s_waitcnt_vscnt null, 0x0
	s_barrier
	buffer_gl0_inv
	scratch_load_b128 v[1:4], v115, off
	s_mov_b32 s2, exec_lo
	s_waitcnt vmcnt(0)
	ds_store_b128 v5, v[1:4]
	s_waitcnt lgkmcnt(0)
	s_barrier
	buffer_gl0_inv
	v_cmpx_gt_u32_e32 7, v100
	s_cbranch_execz .LBB92_43
; %bb.40:
	v_dual_mov_b32 v1, 0 :: v_dual_add_nc_u32 v8, 0x1d0, v13
	v_dual_mov_b32 v2, 0 :: v_dual_add_nc_u32 v7, -1, v100
	v_or_b32_e32 v9, 8, v14
	s_mov_b32 s3, 0
	s_delay_alu instid0(VALU_DEP_2)
	v_dual_mov_b32 v4, v2 :: v_dual_mov_b32 v3, v1
	.p2align	6
.LBB92_41:                              ; =>This Inner Loop Header: Depth=1
	scratch_load_b128 v[15:18], v9, off offset:-8
	ds_load_b128 v[19:22], v8
	v_add_nc_u32_e32 v7, 1, v7
	v_add_nc_u32_e32 v8, 16, v8
	;; [unrolled: 1-line block ×3, first 2 shown]
	s_delay_alu instid0(VALU_DEP_3) | instskip(SKIP_4) | instid1(VALU_DEP_2)
	v_cmp_lt_u32_e32 vcc_lo, 5, v7
	s_or_b32 s3, vcc_lo, s3
	s_waitcnt vmcnt(0) lgkmcnt(0)
	v_mul_f64 v[10:11], v[21:22], v[17:18]
	v_mul_f64 v[17:18], v[19:20], v[17:18]
	v_fma_f64 v[10:11], v[19:20], v[15:16], -v[10:11]
	s_delay_alu instid0(VALU_DEP_2) | instskip(NEXT) | instid1(VALU_DEP_2)
	v_fma_f64 v[15:16], v[21:22], v[15:16], v[17:18]
	v_add_f64 v[3:4], v[3:4], v[10:11]
	s_delay_alu instid0(VALU_DEP_2)
	v_add_f64 v[1:2], v[1:2], v[15:16]
	s_and_not1_b32 exec_lo, exec_lo, s3
	s_cbranch_execnz .LBB92_41
; %bb.42:
	s_or_b32 exec_lo, exec_lo, s3
	v_mov_b32_e32 v7, 0
	ds_load_b128 v[7:10], v7 offset:112
	s_waitcnt lgkmcnt(0)
	v_mul_f64 v[11:12], v[1:2], v[9:10]
	v_mul_f64 v[15:16], v[3:4], v[9:10]
	s_delay_alu instid0(VALU_DEP_2) | instskip(NEXT) | instid1(VALU_DEP_2)
	v_fma_f64 v[9:10], v[3:4], v[7:8], -v[11:12]
	v_fma_f64 v[11:12], v[1:2], v[7:8], v[15:16]
	scratch_store_b128 off, v[9:12], off offset:112
.LBB92_43:
	s_or_b32 exec_lo, exec_lo, s2
	s_waitcnt_vscnt null, 0x0
	s_barrier
	buffer_gl0_inv
	scratch_load_b128 v[1:4], v113, off
	s_mov_b32 s2, exec_lo
	s_waitcnt vmcnt(0)
	ds_store_b128 v5, v[1:4]
	s_waitcnt lgkmcnt(0)
	s_barrier
	buffer_gl0_inv
	v_cmpx_gt_u32_e32 8, v100
	s_cbranch_execz .LBB92_47
; %bb.44:
	v_dual_mov_b32 v1, 0 :: v_dual_add_nc_u32 v8, 0x1d0, v13
	v_dual_mov_b32 v2, 0 :: v_dual_add_nc_u32 v7, -1, v100
	v_or_b32_e32 v9, 8, v14
	s_mov_b32 s3, 0
	s_delay_alu instid0(VALU_DEP_2)
	v_dual_mov_b32 v4, v2 :: v_dual_mov_b32 v3, v1
	.p2align	6
.LBB92_45:                              ; =>This Inner Loop Header: Depth=1
	scratch_load_b128 v[15:18], v9, off offset:-8
	ds_load_b128 v[19:22], v8
	v_add_nc_u32_e32 v7, 1, v7
	v_add_nc_u32_e32 v8, 16, v8
	;; [unrolled: 1-line block ×3, first 2 shown]
	s_delay_alu instid0(VALU_DEP_3) | instskip(SKIP_4) | instid1(VALU_DEP_2)
	v_cmp_lt_u32_e32 vcc_lo, 6, v7
	s_or_b32 s3, vcc_lo, s3
	s_waitcnt vmcnt(0) lgkmcnt(0)
	v_mul_f64 v[10:11], v[21:22], v[17:18]
	v_mul_f64 v[17:18], v[19:20], v[17:18]
	v_fma_f64 v[10:11], v[19:20], v[15:16], -v[10:11]
	s_delay_alu instid0(VALU_DEP_2) | instskip(NEXT) | instid1(VALU_DEP_2)
	v_fma_f64 v[15:16], v[21:22], v[15:16], v[17:18]
	v_add_f64 v[3:4], v[3:4], v[10:11]
	s_delay_alu instid0(VALU_DEP_2)
	v_add_f64 v[1:2], v[1:2], v[15:16]
	s_and_not1_b32 exec_lo, exec_lo, s3
	s_cbranch_execnz .LBB92_45
; %bb.46:
	s_or_b32 exec_lo, exec_lo, s3
	v_mov_b32_e32 v7, 0
	ds_load_b128 v[7:10], v7 offset:128
	s_waitcnt lgkmcnt(0)
	v_mul_f64 v[11:12], v[1:2], v[9:10]
	v_mul_f64 v[15:16], v[3:4], v[9:10]
	s_delay_alu instid0(VALU_DEP_2) | instskip(NEXT) | instid1(VALU_DEP_2)
	v_fma_f64 v[9:10], v[3:4], v[7:8], -v[11:12]
	v_fma_f64 v[11:12], v[1:2], v[7:8], v[15:16]
	scratch_store_b128 off, v[9:12], off offset:128
.LBB92_47:
	s_or_b32 exec_lo, exec_lo, s2
	s_waitcnt_vscnt null, 0x0
	s_barrier
	buffer_gl0_inv
	scratch_load_b128 v[1:4], v114, off
	s_mov_b32 s2, exec_lo
	s_waitcnt vmcnt(0)
	ds_store_b128 v5, v[1:4]
	s_waitcnt lgkmcnt(0)
	s_barrier
	buffer_gl0_inv
	v_cmpx_gt_u32_e32 9, v100
	s_cbranch_execz .LBB92_51
; %bb.48:
	v_dual_mov_b32 v1, 0 :: v_dual_add_nc_u32 v8, 0x1d0, v13
	v_dual_mov_b32 v2, 0 :: v_dual_add_nc_u32 v7, -1, v100
	v_or_b32_e32 v9, 8, v14
	s_mov_b32 s3, 0
	s_delay_alu instid0(VALU_DEP_2)
	v_dual_mov_b32 v4, v2 :: v_dual_mov_b32 v3, v1
	.p2align	6
.LBB92_49:                              ; =>This Inner Loop Header: Depth=1
	scratch_load_b128 v[15:18], v9, off offset:-8
	ds_load_b128 v[19:22], v8
	v_add_nc_u32_e32 v7, 1, v7
	v_add_nc_u32_e32 v8, 16, v8
	;; [unrolled: 1-line block ×3, first 2 shown]
	s_delay_alu instid0(VALU_DEP_3) | instskip(SKIP_4) | instid1(VALU_DEP_2)
	v_cmp_lt_u32_e32 vcc_lo, 7, v7
	s_or_b32 s3, vcc_lo, s3
	s_waitcnt vmcnt(0) lgkmcnt(0)
	v_mul_f64 v[10:11], v[21:22], v[17:18]
	v_mul_f64 v[17:18], v[19:20], v[17:18]
	v_fma_f64 v[10:11], v[19:20], v[15:16], -v[10:11]
	s_delay_alu instid0(VALU_DEP_2) | instskip(NEXT) | instid1(VALU_DEP_2)
	v_fma_f64 v[15:16], v[21:22], v[15:16], v[17:18]
	v_add_f64 v[3:4], v[3:4], v[10:11]
	s_delay_alu instid0(VALU_DEP_2)
	v_add_f64 v[1:2], v[1:2], v[15:16]
	s_and_not1_b32 exec_lo, exec_lo, s3
	s_cbranch_execnz .LBB92_49
; %bb.50:
	s_or_b32 exec_lo, exec_lo, s3
	v_mov_b32_e32 v7, 0
	ds_load_b128 v[7:10], v7 offset:144
	s_waitcnt lgkmcnt(0)
	v_mul_f64 v[11:12], v[1:2], v[9:10]
	v_mul_f64 v[15:16], v[3:4], v[9:10]
	s_delay_alu instid0(VALU_DEP_2) | instskip(NEXT) | instid1(VALU_DEP_2)
	v_fma_f64 v[9:10], v[3:4], v[7:8], -v[11:12]
	v_fma_f64 v[11:12], v[1:2], v[7:8], v[15:16]
	scratch_store_b128 off, v[9:12], off offset:144
.LBB92_51:
	s_or_b32 exec_lo, exec_lo, s2
	s_waitcnt_vscnt null, 0x0
	s_barrier
	buffer_gl0_inv
	scratch_load_b128 v[1:4], v112, off
	s_mov_b32 s2, exec_lo
	s_waitcnt vmcnt(0)
	ds_store_b128 v5, v[1:4]
	s_waitcnt lgkmcnt(0)
	s_barrier
	buffer_gl0_inv
	v_cmpx_gt_u32_e32 10, v100
	s_cbranch_execz .LBB92_55
; %bb.52:
	v_dual_mov_b32 v1, 0 :: v_dual_add_nc_u32 v8, 0x1d0, v13
	v_dual_mov_b32 v2, 0 :: v_dual_add_nc_u32 v7, -1, v100
	v_or_b32_e32 v9, 8, v14
	s_mov_b32 s3, 0
	s_delay_alu instid0(VALU_DEP_2)
	v_dual_mov_b32 v4, v2 :: v_dual_mov_b32 v3, v1
	.p2align	6
.LBB92_53:                              ; =>This Inner Loop Header: Depth=1
	scratch_load_b128 v[15:18], v9, off offset:-8
	ds_load_b128 v[19:22], v8
	v_add_nc_u32_e32 v7, 1, v7
	v_add_nc_u32_e32 v8, 16, v8
	;; [unrolled: 1-line block ×3, first 2 shown]
	s_delay_alu instid0(VALU_DEP_3) | instskip(SKIP_4) | instid1(VALU_DEP_2)
	v_cmp_lt_u32_e32 vcc_lo, 8, v7
	s_or_b32 s3, vcc_lo, s3
	s_waitcnt vmcnt(0) lgkmcnt(0)
	v_mul_f64 v[10:11], v[21:22], v[17:18]
	v_mul_f64 v[17:18], v[19:20], v[17:18]
	v_fma_f64 v[10:11], v[19:20], v[15:16], -v[10:11]
	s_delay_alu instid0(VALU_DEP_2) | instskip(NEXT) | instid1(VALU_DEP_2)
	v_fma_f64 v[15:16], v[21:22], v[15:16], v[17:18]
	v_add_f64 v[3:4], v[3:4], v[10:11]
	s_delay_alu instid0(VALU_DEP_2)
	v_add_f64 v[1:2], v[1:2], v[15:16]
	s_and_not1_b32 exec_lo, exec_lo, s3
	s_cbranch_execnz .LBB92_53
; %bb.54:
	s_or_b32 exec_lo, exec_lo, s3
	v_mov_b32_e32 v7, 0
	ds_load_b128 v[7:10], v7 offset:160
	s_waitcnt lgkmcnt(0)
	v_mul_f64 v[11:12], v[1:2], v[9:10]
	v_mul_f64 v[15:16], v[3:4], v[9:10]
	s_delay_alu instid0(VALU_DEP_2) | instskip(NEXT) | instid1(VALU_DEP_2)
	v_fma_f64 v[9:10], v[3:4], v[7:8], -v[11:12]
	v_fma_f64 v[11:12], v[1:2], v[7:8], v[15:16]
	scratch_store_b128 off, v[9:12], off offset:160
.LBB92_55:
	s_or_b32 exec_lo, exec_lo, s2
	s_waitcnt_vscnt null, 0x0
	s_barrier
	buffer_gl0_inv
	scratch_load_b128 v[1:4], v111, off
	s_mov_b32 s2, exec_lo
	s_waitcnt vmcnt(0)
	ds_store_b128 v5, v[1:4]
	s_waitcnt lgkmcnt(0)
	s_barrier
	buffer_gl0_inv
	v_cmpx_gt_u32_e32 11, v100
	s_cbranch_execz .LBB92_59
; %bb.56:
	v_dual_mov_b32 v1, 0 :: v_dual_add_nc_u32 v8, 0x1d0, v13
	v_dual_mov_b32 v2, 0 :: v_dual_add_nc_u32 v7, -1, v100
	v_or_b32_e32 v9, 8, v14
	s_mov_b32 s3, 0
	s_delay_alu instid0(VALU_DEP_2)
	v_dual_mov_b32 v4, v2 :: v_dual_mov_b32 v3, v1
	.p2align	6
.LBB92_57:                              ; =>This Inner Loop Header: Depth=1
	scratch_load_b128 v[15:18], v9, off offset:-8
	ds_load_b128 v[19:22], v8
	v_add_nc_u32_e32 v7, 1, v7
	v_add_nc_u32_e32 v8, 16, v8
	v_add_nc_u32_e32 v9, 16, v9
	s_delay_alu instid0(VALU_DEP_3) | instskip(SKIP_4) | instid1(VALU_DEP_2)
	v_cmp_lt_u32_e32 vcc_lo, 9, v7
	s_or_b32 s3, vcc_lo, s3
	s_waitcnt vmcnt(0) lgkmcnt(0)
	v_mul_f64 v[10:11], v[21:22], v[17:18]
	v_mul_f64 v[17:18], v[19:20], v[17:18]
	v_fma_f64 v[10:11], v[19:20], v[15:16], -v[10:11]
	s_delay_alu instid0(VALU_DEP_2) | instskip(NEXT) | instid1(VALU_DEP_2)
	v_fma_f64 v[15:16], v[21:22], v[15:16], v[17:18]
	v_add_f64 v[3:4], v[3:4], v[10:11]
	s_delay_alu instid0(VALU_DEP_2)
	v_add_f64 v[1:2], v[1:2], v[15:16]
	s_and_not1_b32 exec_lo, exec_lo, s3
	s_cbranch_execnz .LBB92_57
; %bb.58:
	s_or_b32 exec_lo, exec_lo, s3
	v_mov_b32_e32 v7, 0
	ds_load_b128 v[7:10], v7 offset:176
	s_waitcnt lgkmcnt(0)
	v_mul_f64 v[11:12], v[1:2], v[9:10]
	v_mul_f64 v[15:16], v[3:4], v[9:10]
	s_delay_alu instid0(VALU_DEP_2) | instskip(NEXT) | instid1(VALU_DEP_2)
	v_fma_f64 v[9:10], v[3:4], v[7:8], -v[11:12]
	v_fma_f64 v[11:12], v[1:2], v[7:8], v[15:16]
	scratch_store_b128 off, v[9:12], off offset:176
.LBB92_59:
	s_or_b32 exec_lo, exec_lo, s2
	s_waitcnt_vscnt null, 0x0
	s_barrier
	buffer_gl0_inv
	scratch_load_b128 v[1:4], v109, off
	s_mov_b32 s2, exec_lo
	s_waitcnt vmcnt(0)
	ds_store_b128 v5, v[1:4]
	s_waitcnt lgkmcnt(0)
	s_barrier
	buffer_gl0_inv
	v_cmpx_gt_u32_e32 12, v100
	s_cbranch_execz .LBB92_63
; %bb.60:
	v_dual_mov_b32 v1, 0 :: v_dual_add_nc_u32 v8, 0x1d0, v13
	v_dual_mov_b32 v2, 0 :: v_dual_add_nc_u32 v7, -1, v100
	v_or_b32_e32 v9, 8, v14
	s_mov_b32 s3, 0
	s_delay_alu instid0(VALU_DEP_2)
	v_dual_mov_b32 v4, v2 :: v_dual_mov_b32 v3, v1
	.p2align	6
.LBB92_61:                              ; =>This Inner Loop Header: Depth=1
	scratch_load_b128 v[15:18], v9, off offset:-8
	ds_load_b128 v[19:22], v8
	v_add_nc_u32_e32 v7, 1, v7
	v_add_nc_u32_e32 v8, 16, v8
	;; [unrolled: 1-line block ×3, first 2 shown]
	s_delay_alu instid0(VALU_DEP_3) | instskip(SKIP_4) | instid1(VALU_DEP_2)
	v_cmp_lt_u32_e32 vcc_lo, 10, v7
	s_or_b32 s3, vcc_lo, s3
	s_waitcnt vmcnt(0) lgkmcnt(0)
	v_mul_f64 v[10:11], v[21:22], v[17:18]
	v_mul_f64 v[17:18], v[19:20], v[17:18]
	v_fma_f64 v[10:11], v[19:20], v[15:16], -v[10:11]
	s_delay_alu instid0(VALU_DEP_2) | instskip(NEXT) | instid1(VALU_DEP_2)
	v_fma_f64 v[15:16], v[21:22], v[15:16], v[17:18]
	v_add_f64 v[3:4], v[3:4], v[10:11]
	s_delay_alu instid0(VALU_DEP_2)
	v_add_f64 v[1:2], v[1:2], v[15:16]
	s_and_not1_b32 exec_lo, exec_lo, s3
	s_cbranch_execnz .LBB92_61
; %bb.62:
	s_or_b32 exec_lo, exec_lo, s3
	v_mov_b32_e32 v7, 0
	ds_load_b128 v[7:10], v7 offset:192
	s_waitcnt lgkmcnt(0)
	v_mul_f64 v[11:12], v[1:2], v[9:10]
	v_mul_f64 v[15:16], v[3:4], v[9:10]
	s_delay_alu instid0(VALU_DEP_2) | instskip(NEXT) | instid1(VALU_DEP_2)
	v_fma_f64 v[9:10], v[3:4], v[7:8], -v[11:12]
	v_fma_f64 v[11:12], v[1:2], v[7:8], v[15:16]
	scratch_store_b128 off, v[9:12], off offset:192
.LBB92_63:
	s_or_b32 exec_lo, exec_lo, s2
	s_waitcnt_vscnt null, 0x0
	s_barrier
	buffer_gl0_inv
	scratch_load_b128 v[1:4], v110, off
	s_mov_b32 s2, exec_lo
	s_waitcnt vmcnt(0)
	ds_store_b128 v5, v[1:4]
	s_waitcnt lgkmcnt(0)
	s_barrier
	buffer_gl0_inv
	v_cmpx_gt_u32_e32 13, v100
	s_cbranch_execz .LBB92_67
; %bb.64:
	v_dual_mov_b32 v1, 0 :: v_dual_add_nc_u32 v8, 0x1d0, v13
	v_dual_mov_b32 v2, 0 :: v_dual_add_nc_u32 v7, -1, v100
	v_or_b32_e32 v9, 8, v14
	s_mov_b32 s3, 0
	s_delay_alu instid0(VALU_DEP_2)
	v_dual_mov_b32 v4, v2 :: v_dual_mov_b32 v3, v1
	.p2align	6
.LBB92_65:                              ; =>This Inner Loop Header: Depth=1
	scratch_load_b128 v[15:18], v9, off offset:-8
	ds_load_b128 v[19:22], v8
	v_add_nc_u32_e32 v7, 1, v7
	v_add_nc_u32_e32 v8, 16, v8
	;; [unrolled: 1-line block ×3, first 2 shown]
	s_delay_alu instid0(VALU_DEP_3) | instskip(SKIP_4) | instid1(VALU_DEP_2)
	v_cmp_lt_u32_e32 vcc_lo, 11, v7
	s_or_b32 s3, vcc_lo, s3
	s_waitcnt vmcnt(0) lgkmcnt(0)
	v_mul_f64 v[10:11], v[21:22], v[17:18]
	v_mul_f64 v[17:18], v[19:20], v[17:18]
	v_fma_f64 v[10:11], v[19:20], v[15:16], -v[10:11]
	s_delay_alu instid0(VALU_DEP_2) | instskip(NEXT) | instid1(VALU_DEP_2)
	v_fma_f64 v[15:16], v[21:22], v[15:16], v[17:18]
	v_add_f64 v[3:4], v[3:4], v[10:11]
	s_delay_alu instid0(VALU_DEP_2)
	v_add_f64 v[1:2], v[1:2], v[15:16]
	s_and_not1_b32 exec_lo, exec_lo, s3
	s_cbranch_execnz .LBB92_65
; %bb.66:
	s_or_b32 exec_lo, exec_lo, s3
	v_mov_b32_e32 v7, 0
	ds_load_b128 v[7:10], v7 offset:208
	s_waitcnt lgkmcnt(0)
	v_mul_f64 v[11:12], v[1:2], v[9:10]
	v_mul_f64 v[15:16], v[3:4], v[9:10]
	s_delay_alu instid0(VALU_DEP_2) | instskip(NEXT) | instid1(VALU_DEP_2)
	v_fma_f64 v[9:10], v[3:4], v[7:8], -v[11:12]
	v_fma_f64 v[11:12], v[1:2], v[7:8], v[15:16]
	scratch_store_b128 off, v[9:12], off offset:208
.LBB92_67:
	s_or_b32 exec_lo, exec_lo, s2
	s_waitcnt_vscnt null, 0x0
	s_barrier
	buffer_gl0_inv
	scratch_load_b128 v[1:4], v108, off
	s_mov_b32 s2, exec_lo
	s_waitcnt vmcnt(0)
	ds_store_b128 v5, v[1:4]
	s_waitcnt lgkmcnt(0)
	s_barrier
	buffer_gl0_inv
	v_cmpx_gt_u32_e32 14, v100
	s_cbranch_execz .LBB92_71
; %bb.68:
	v_dual_mov_b32 v1, 0 :: v_dual_add_nc_u32 v8, 0x1d0, v13
	v_dual_mov_b32 v2, 0 :: v_dual_add_nc_u32 v7, -1, v100
	v_or_b32_e32 v9, 8, v14
	s_mov_b32 s3, 0
	s_delay_alu instid0(VALU_DEP_2)
	v_dual_mov_b32 v4, v2 :: v_dual_mov_b32 v3, v1
	.p2align	6
.LBB92_69:                              ; =>This Inner Loop Header: Depth=1
	scratch_load_b128 v[15:18], v9, off offset:-8
	ds_load_b128 v[19:22], v8
	v_add_nc_u32_e32 v7, 1, v7
	v_add_nc_u32_e32 v8, 16, v8
	;; [unrolled: 1-line block ×3, first 2 shown]
	s_delay_alu instid0(VALU_DEP_3) | instskip(SKIP_4) | instid1(VALU_DEP_2)
	v_cmp_lt_u32_e32 vcc_lo, 12, v7
	s_or_b32 s3, vcc_lo, s3
	s_waitcnt vmcnt(0) lgkmcnt(0)
	v_mul_f64 v[10:11], v[21:22], v[17:18]
	v_mul_f64 v[17:18], v[19:20], v[17:18]
	v_fma_f64 v[10:11], v[19:20], v[15:16], -v[10:11]
	s_delay_alu instid0(VALU_DEP_2) | instskip(NEXT) | instid1(VALU_DEP_2)
	v_fma_f64 v[15:16], v[21:22], v[15:16], v[17:18]
	v_add_f64 v[3:4], v[3:4], v[10:11]
	s_delay_alu instid0(VALU_DEP_2)
	v_add_f64 v[1:2], v[1:2], v[15:16]
	s_and_not1_b32 exec_lo, exec_lo, s3
	s_cbranch_execnz .LBB92_69
; %bb.70:
	s_or_b32 exec_lo, exec_lo, s3
	v_mov_b32_e32 v7, 0
	ds_load_b128 v[7:10], v7 offset:224
	s_waitcnt lgkmcnt(0)
	v_mul_f64 v[11:12], v[1:2], v[9:10]
	v_mul_f64 v[15:16], v[3:4], v[9:10]
	s_delay_alu instid0(VALU_DEP_2) | instskip(NEXT) | instid1(VALU_DEP_2)
	v_fma_f64 v[9:10], v[3:4], v[7:8], -v[11:12]
	v_fma_f64 v[11:12], v[1:2], v[7:8], v[15:16]
	scratch_store_b128 off, v[9:12], off offset:224
.LBB92_71:
	s_or_b32 exec_lo, exec_lo, s2
	s_waitcnt_vscnt null, 0x0
	s_barrier
	buffer_gl0_inv
	scratch_load_b128 v[1:4], v107, off
	s_mov_b32 s2, exec_lo
	s_waitcnt vmcnt(0)
	ds_store_b128 v5, v[1:4]
	s_waitcnt lgkmcnt(0)
	s_barrier
	buffer_gl0_inv
	v_cmpx_gt_u32_e32 15, v100
	s_cbranch_execz .LBB92_75
; %bb.72:
	v_dual_mov_b32 v1, 0 :: v_dual_add_nc_u32 v8, 0x1d0, v13
	v_dual_mov_b32 v2, 0 :: v_dual_add_nc_u32 v7, -1, v100
	v_or_b32_e32 v9, 8, v14
	s_mov_b32 s3, 0
	s_delay_alu instid0(VALU_DEP_2)
	v_dual_mov_b32 v4, v2 :: v_dual_mov_b32 v3, v1
	.p2align	6
.LBB92_73:                              ; =>This Inner Loop Header: Depth=1
	scratch_load_b128 v[15:18], v9, off offset:-8
	ds_load_b128 v[19:22], v8
	v_add_nc_u32_e32 v7, 1, v7
	v_add_nc_u32_e32 v8, 16, v8
	;; [unrolled: 1-line block ×3, first 2 shown]
	s_delay_alu instid0(VALU_DEP_3) | instskip(SKIP_4) | instid1(VALU_DEP_2)
	v_cmp_lt_u32_e32 vcc_lo, 13, v7
	s_or_b32 s3, vcc_lo, s3
	s_waitcnt vmcnt(0) lgkmcnt(0)
	v_mul_f64 v[10:11], v[21:22], v[17:18]
	v_mul_f64 v[17:18], v[19:20], v[17:18]
	v_fma_f64 v[10:11], v[19:20], v[15:16], -v[10:11]
	s_delay_alu instid0(VALU_DEP_2) | instskip(NEXT) | instid1(VALU_DEP_2)
	v_fma_f64 v[15:16], v[21:22], v[15:16], v[17:18]
	v_add_f64 v[3:4], v[3:4], v[10:11]
	s_delay_alu instid0(VALU_DEP_2)
	v_add_f64 v[1:2], v[1:2], v[15:16]
	s_and_not1_b32 exec_lo, exec_lo, s3
	s_cbranch_execnz .LBB92_73
; %bb.74:
	s_or_b32 exec_lo, exec_lo, s3
	v_mov_b32_e32 v7, 0
	ds_load_b128 v[7:10], v7 offset:240
	s_waitcnt lgkmcnt(0)
	v_mul_f64 v[11:12], v[1:2], v[9:10]
	v_mul_f64 v[15:16], v[3:4], v[9:10]
	s_delay_alu instid0(VALU_DEP_2) | instskip(NEXT) | instid1(VALU_DEP_2)
	v_fma_f64 v[9:10], v[3:4], v[7:8], -v[11:12]
	v_fma_f64 v[11:12], v[1:2], v[7:8], v[15:16]
	scratch_store_b128 off, v[9:12], off offset:240
.LBB92_75:
	s_or_b32 exec_lo, exec_lo, s2
	s_waitcnt_vscnt null, 0x0
	s_barrier
	buffer_gl0_inv
	scratch_load_b128 v[1:4], v105, off
	s_mov_b32 s2, exec_lo
	s_waitcnt vmcnt(0)
	ds_store_b128 v5, v[1:4]
	s_waitcnt lgkmcnt(0)
	s_barrier
	buffer_gl0_inv
	v_cmpx_gt_u32_e32 16, v100
	s_cbranch_execz .LBB92_79
; %bb.76:
	v_dual_mov_b32 v1, 0 :: v_dual_add_nc_u32 v8, 0x1d0, v13
	v_dual_mov_b32 v2, 0 :: v_dual_add_nc_u32 v7, -1, v100
	v_or_b32_e32 v9, 8, v14
	s_mov_b32 s3, 0
	s_delay_alu instid0(VALU_DEP_2)
	v_dual_mov_b32 v4, v2 :: v_dual_mov_b32 v3, v1
	.p2align	6
.LBB92_77:                              ; =>This Inner Loop Header: Depth=1
	scratch_load_b128 v[15:18], v9, off offset:-8
	ds_load_b128 v[19:22], v8
	v_add_nc_u32_e32 v7, 1, v7
	v_add_nc_u32_e32 v8, 16, v8
	;; [unrolled: 1-line block ×3, first 2 shown]
	s_delay_alu instid0(VALU_DEP_3) | instskip(SKIP_4) | instid1(VALU_DEP_2)
	v_cmp_lt_u32_e32 vcc_lo, 14, v7
	s_or_b32 s3, vcc_lo, s3
	s_waitcnt vmcnt(0) lgkmcnt(0)
	v_mul_f64 v[10:11], v[21:22], v[17:18]
	v_mul_f64 v[17:18], v[19:20], v[17:18]
	v_fma_f64 v[10:11], v[19:20], v[15:16], -v[10:11]
	s_delay_alu instid0(VALU_DEP_2) | instskip(NEXT) | instid1(VALU_DEP_2)
	v_fma_f64 v[15:16], v[21:22], v[15:16], v[17:18]
	v_add_f64 v[3:4], v[3:4], v[10:11]
	s_delay_alu instid0(VALU_DEP_2)
	v_add_f64 v[1:2], v[1:2], v[15:16]
	s_and_not1_b32 exec_lo, exec_lo, s3
	s_cbranch_execnz .LBB92_77
; %bb.78:
	s_or_b32 exec_lo, exec_lo, s3
	v_mov_b32_e32 v7, 0
	ds_load_b128 v[7:10], v7 offset:256
	s_waitcnt lgkmcnt(0)
	v_mul_f64 v[11:12], v[1:2], v[9:10]
	v_mul_f64 v[15:16], v[3:4], v[9:10]
	s_delay_alu instid0(VALU_DEP_2) | instskip(NEXT) | instid1(VALU_DEP_2)
	v_fma_f64 v[9:10], v[3:4], v[7:8], -v[11:12]
	v_fma_f64 v[11:12], v[1:2], v[7:8], v[15:16]
	scratch_store_b128 off, v[9:12], off offset:256
.LBB92_79:
	s_or_b32 exec_lo, exec_lo, s2
	s_waitcnt_vscnt null, 0x0
	s_barrier
	buffer_gl0_inv
	scratch_load_b128 v[1:4], v106, off
	s_mov_b32 s2, exec_lo
	s_waitcnt vmcnt(0)
	ds_store_b128 v5, v[1:4]
	s_waitcnt lgkmcnt(0)
	s_barrier
	buffer_gl0_inv
	v_cmpx_gt_u32_e32 17, v100
	s_cbranch_execz .LBB92_83
; %bb.80:
	v_dual_mov_b32 v1, 0 :: v_dual_add_nc_u32 v8, 0x1d0, v13
	v_dual_mov_b32 v2, 0 :: v_dual_add_nc_u32 v7, -1, v100
	v_or_b32_e32 v9, 8, v14
	s_mov_b32 s3, 0
	s_delay_alu instid0(VALU_DEP_2)
	v_dual_mov_b32 v4, v2 :: v_dual_mov_b32 v3, v1
	.p2align	6
.LBB92_81:                              ; =>This Inner Loop Header: Depth=1
	scratch_load_b128 v[15:18], v9, off offset:-8
	ds_load_b128 v[19:22], v8
	v_add_nc_u32_e32 v7, 1, v7
	v_add_nc_u32_e32 v8, 16, v8
	;; [unrolled: 1-line block ×3, first 2 shown]
	s_delay_alu instid0(VALU_DEP_3) | instskip(SKIP_4) | instid1(VALU_DEP_2)
	v_cmp_lt_u32_e32 vcc_lo, 15, v7
	s_or_b32 s3, vcc_lo, s3
	s_waitcnt vmcnt(0) lgkmcnt(0)
	v_mul_f64 v[10:11], v[21:22], v[17:18]
	v_mul_f64 v[17:18], v[19:20], v[17:18]
	v_fma_f64 v[10:11], v[19:20], v[15:16], -v[10:11]
	s_delay_alu instid0(VALU_DEP_2) | instskip(NEXT) | instid1(VALU_DEP_2)
	v_fma_f64 v[15:16], v[21:22], v[15:16], v[17:18]
	v_add_f64 v[3:4], v[3:4], v[10:11]
	s_delay_alu instid0(VALU_DEP_2)
	v_add_f64 v[1:2], v[1:2], v[15:16]
	s_and_not1_b32 exec_lo, exec_lo, s3
	s_cbranch_execnz .LBB92_81
; %bb.82:
	s_or_b32 exec_lo, exec_lo, s3
	v_mov_b32_e32 v7, 0
	ds_load_b128 v[7:10], v7 offset:272
	s_waitcnt lgkmcnt(0)
	v_mul_f64 v[11:12], v[1:2], v[9:10]
	v_mul_f64 v[15:16], v[3:4], v[9:10]
	s_delay_alu instid0(VALU_DEP_2) | instskip(NEXT) | instid1(VALU_DEP_2)
	v_fma_f64 v[9:10], v[3:4], v[7:8], -v[11:12]
	v_fma_f64 v[11:12], v[1:2], v[7:8], v[15:16]
	scratch_store_b128 off, v[9:12], off offset:272
.LBB92_83:
	s_or_b32 exec_lo, exec_lo, s2
	s_waitcnt_vscnt null, 0x0
	s_barrier
	buffer_gl0_inv
	scratch_load_b128 v[1:4], v128, off
	s_mov_b32 s2, exec_lo
	s_waitcnt vmcnt(0)
	ds_store_b128 v5, v[1:4]
	s_waitcnt lgkmcnt(0)
	s_barrier
	buffer_gl0_inv
	v_cmpx_gt_u32_e32 18, v100
	s_cbranch_execz .LBB92_87
; %bb.84:
	v_dual_mov_b32 v1, 0 :: v_dual_add_nc_u32 v8, 0x1d0, v13
	v_dual_mov_b32 v2, 0 :: v_dual_add_nc_u32 v7, -1, v100
	v_or_b32_e32 v9, 8, v14
	s_mov_b32 s3, 0
	s_delay_alu instid0(VALU_DEP_2)
	v_dual_mov_b32 v4, v2 :: v_dual_mov_b32 v3, v1
	.p2align	6
.LBB92_85:                              ; =>This Inner Loop Header: Depth=1
	scratch_load_b128 v[15:18], v9, off offset:-8
	ds_load_b128 v[19:22], v8
	v_add_nc_u32_e32 v7, 1, v7
	v_add_nc_u32_e32 v8, 16, v8
	v_add_nc_u32_e32 v9, 16, v9
	s_delay_alu instid0(VALU_DEP_3) | instskip(SKIP_4) | instid1(VALU_DEP_2)
	v_cmp_lt_u32_e32 vcc_lo, 16, v7
	s_or_b32 s3, vcc_lo, s3
	s_waitcnt vmcnt(0) lgkmcnt(0)
	v_mul_f64 v[10:11], v[21:22], v[17:18]
	v_mul_f64 v[17:18], v[19:20], v[17:18]
	v_fma_f64 v[10:11], v[19:20], v[15:16], -v[10:11]
	s_delay_alu instid0(VALU_DEP_2) | instskip(NEXT) | instid1(VALU_DEP_2)
	v_fma_f64 v[15:16], v[21:22], v[15:16], v[17:18]
	v_add_f64 v[3:4], v[3:4], v[10:11]
	s_delay_alu instid0(VALU_DEP_2)
	v_add_f64 v[1:2], v[1:2], v[15:16]
	s_and_not1_b32 exec_lo, exec_lo, s3
	s_cbranch_execnz .LBB92_85
; %bb.86:
	s_or_b32 exec_lo, exec_lo, s3
	v_mov_b32_e32 v7, 0
	ds_load_b128 v[7:10], v7 offset:288
	s_waitcnt lgkmcnt(0)
	v_mul_f64 v[11:12], v[1:2], v[9:10]
	v_mul_f64 v[15:16], v[3:4], v[9:10]
	s_delay_alu instid0(VALU_DEP_2) | instskip(NEXT) | instid1(VALU_DEP_2)
	v_fma_f64 v[9:10], v[3:4], v[7:8], -v[11:12]
	v_fma_f64 v[11:12], v[1:2], v[7:8], v[15:16]
	scratch_store_b128 off, v[9:12], off offset:288
.LBB92_87:
	s_or_b32 exec_lo, exec_lo, s2
	s_waitcnt_vscnt null, 0x0
	s_barrier
	buffer_gl0_inv
	scratch_load_b128 v[1:4], v127, off
	s_mov_b32 s2, exec_lo
	s_waitcnt vmcnt(0)
	ds_store_b128 v5, v[1:4]
	s_waitcnt lgkmcnt(0)
	s_barrier
	buffer_gl0_inv
	v_cmpx_gt_u32_e32 19, v100
	s_cbranch_execz .LBB92_91
; %bb.88:
	v_dual_mov_b32 v1, 0 :: v_dual_add_nc_u32 v8, 0x1d0, v13
	v_dual_mov_b32 v2, 0 :: v_dual_add_nc_u32 v7, -1, v100
	v_or_b32_e32 v9, 8, v14
	s_mov_b32 s3, 0
	s_delay_alu instid0(VALU_DEP_2)
	v_dual_mov_b32 v4, v2 :: v_dual_mov_b32 v3, v1
	.p2align	6
.LBB92_89:                              ; =>This Inner Loop Header: Depth=1
	scratch_load_b128 v[15:18], v9, off offset:-8
	ds_load_b128 v[19:22], v8
	v_add_nc_u32_e32 v7, 1, v7
	v_add_nc_u32_e32 v8, 16, v8
	v_add_nc_u32_e32 v9, 16, v9
	s_delay_alu instid0(VALU_DEP_3) | instskip(SKIP_4) | instid1(VALU_DEP_2)
	v_cmp_lt_u32_e32 vcc_lo, 17, v7
	s_or_b32 s3, vcc_lo, s3
	s_waitcnt vmcnt(0) lgkmcnt(0)
	v_mul_f64 v[10:11], v[21:22], v[17:18]
	v_mul_f64 v[17:18], v[19:20], v[17:18]
	v_fma_f64 v[10:11], v[19:20], v[15:16], -v[10:11]
	s_delay_alu instid0(VALU_DEP_2) | instskip(NEXT) | instid1(VALU_DEP_2)
	v_fma_f64 v[15:16], v[21:22], v[15:16], v[17:18]
	v_add_f64 v[3:4], v[3:4], v[10:11]
	s_delay_alu instid0(VALU_DEP_2)
	v_add_f64 v[1:2], v[1:2], v[15:16]
	s_and_not1_b32 exec_lo, exec_lo, s3
	s_cbranch_execnz .LBB92_89
; %bb.90:
	s_or_b32 exec_lo, exec_lo, s3
	v_mov_b32_e32 v7, 0
	ds_load_b128 v[7:10], v7 offset:304
	s_waitcnt lgkmcnt(0)
	v_mul_f64 v[11:12], v[1:2], v[9:10]
	v_mul_f64 v[15:16], v[3:4], v[9:10]
	s_delay_alu instid0(VALU_DEP_2) | instskip(NEXT) | instid1(VALU_DEP_2)
	v_fma_f64 v[9:10], v[3:4], v[7:8], -v[11:12]
	v_fma_f64 v[11:12], v[1:2], v[7:8], v[15:16]
	scratch_store_b128 off, v[9:12], off offset:304
.LBB92_91:
	s_or_b32 exec_lo, exec_lo, s2
	s_waitcnt_vscnt null, 0x0
	s_barrier
	buffer_gl0_inv
	scratch_load_b128 v[1:4], v126, off
	s_mov_b32 s2, exec_lo
	s_waitcnt vmcnt(0)
	ds_store_b128 v5, v[1:4]
	s_waitcnt lgkmcnt(0)
	s_barrier
	buffer_gl0_inv
	v_cmpx_gt_u32_e32 20, v100
	s_cbranch_execz .LBB92_95
; %bb.92:
	v_dual_mov_b32 v1, 0 :: v_dual_add_nc_u32 v8, 0x1d0, v13
	v_dual_mov_b32 v2, 0 :: v_dual_add_nc_u32 v7, -1, v100
	v_or_b32_e32 v9, 8, v14
	s_mov_b32 s3, 0
	s_delay_alu instid0(VALU_DEP_2)
	v_dual_mov_b32 v4, v2 :: v_dual_mov_b32 v3, v1
	.p2align	6
.LBB92_93:                              ; =>This Inner Loop Header: Depth=1
	scratch_load_b128 v[15:18], v9, off offset:-8
	ds_load_b128 v[19:22], v8
	v_add_nc_u32_e32 v7, 1, v7
	v_add_nc_u32_e32 v8, 16, v8
	;; [unrolled: 1-line block ×3, first 2 shown]
	s_delay_alu instid0(VALU_DEP_3) | instskip(SKIP_4) | instid1(VALU_DEP_2)
	v_cmp_lt_u32_e32 vcc_lo, 18, v7
	s_or_b32 s3, vcc_lo, s3
	s_waitcnt vmcnt(0) lgkmcnt(0)
	v_mul_f64 v[10:11], v[21:22], v[17:18]
	v_mul_f64 v[17:18], v[19:20], v[17:18]
	v_fma_f64 v[10:11], v[19:20], v[15:16], -v[10:11]
	s_delay_alu instid0(VALU_DEP_2) | instskip(NEXT) | instid1(VALU_DEP_2)
	v_fma_f64 v[15:16], v[21:22], v[15:16], v[17:18]
	v_add_f64 v[3:4], v[3:4], v[10:11]
	s_delay_alu instid0(VALU_DEP_2)
	v_add_f64 v[1:2], v[1:2], v[15:16]
	s_and_not1_b32 exec_lo, exec_lo, s3
	s_cbranch_execnz .LBB92_93
; %bb.94:
	s_or_b32 exec_lo, exec_lo, s3
	v_mov_b32_e32 v7, 0
	ds_load_b128 v[7:10], v7 offset:320
	s_waitcnt lgkmcnt(0)
	v_mul_f64 v[11:12], v[1:2], v[9:10]
	v_mul_f64 v[15:16], v[3:4], v[9:10]
	s_delay_alu instid0(VALU_DEP_2) | instskip(NEXT) | instid1(VALU_DEP_2)
	v_fma_f64 v[9:10], v[3:4], v[7:8], -v[11:12]
	v_fma_f64 v[11:12], v[1:2], v[7:8], v[15:16]
	scratch_store_b128 off, v[9:12], off offset:320
.LBB92_95:
	s_or_b32 exec_lo, exec_lo, s2
	s_waitcnt_vscnt null, 0x0
	s_barrier
	buffer_gl0_inv
	scratch_load_b128 v[1:4], v125, off
	s_mov_b32 s2, exec_lo
	s_waitcnt vmcnt(0)
	ds_store_b128 v5, v[1:4]
	s_waitcnt lgkmcnt(0)
	s_barrier
	buffer_gl0_inv
	v_cmpx_gt_u32_e32 21, v100
	s_cbranch_execz .LBB92_99
; %bb.96:
	v_dual_mov_b32 v1, 0 :: v_dual_add_nc_u32 v8, 0x1d0, v13
	v_dual_mov_b32 v2, 0 :: v_dual_add_nc_u32 v7, -1, v100
	v_or_b32_e32 v9, 8, v14
	s_mov_b32 s3, 0
	s_delay_alu instid0(VALU_DEP_2)
	v_dual_mov_b32 v4, v2 :: v_dual_mov_b32 v3, v1
	.p2align	6
.LBB92_97:                              ; =>This Inner Loop Header: Depth=1
	scratch_load_b128 v[15:18], v9, off offset:-8
	ds_load_b128 v[19:22], v8
	v_add_nc_u32_e32 v7, 1, v7
	v_add_nc_u32_e32 v8, 16, v8
	;; [unrolled: 1-line block ×3, first 2 shown]
	s_delay_alu instid0(VALU_DEP_3) | instskip(SKIP_4) | instid1(VALU_DEP_2)
	v_cmp_lt_u32_e32 vcc_lo, 19, v7
	s_or_b32 s3, vcc_lo, s3
	s_waitcnt vmcnt(0) lgkmcnt(0)
	v_mul_f64 v[10:11], v[21:22], v[17:18]
	v_mul_f64 v[17:18], v[19:20], v[17:18]
	v_fma_f64 v[10:11], v[19:20], v[15:16], -v[10:11]
	s_delay_alu instid0(VALU_DEP_2) | instskip(NEXT) | instid1(VALU_DEP_2)
	v_fma_f64 v[15:16], v[21:22], v[15:16], v[17:18]
	v_add_f64 v[3:4], v[3:4], v[10:11]
	s_delay_alu instid0(VALU_DEP_2)
	v_add_f64 v[1:2], v[1:2], v[15:16]
	s_and_not1_b32 exec_lo, exec_lo, s3
	s_cbranch_execnz .LBB92_97
; %bb.98:
	s_or_b32 exec_lo, exec_lo, s3
	v_mov_b32_e32 v7, 0
	ds_load_b128 v[7:10], v7 offset:336
	s_waitcnt lgkmcnt(0)
	v_mul_f64 v[11:12], v[1:2], v[9:10]
	v_mul_f64 v[15:16], v[3:4], v[9:10]
	s_delay_alu instid0(VALU_DEP_2) | instskip(NEXT) | instid1(VALU_DEP_2)
	v_fma_f64 v[9:10], v[3:4], v[7:8], -v[11:12]
	v_fma_f64 v[11:12], v[1:2], v[7:8], v[15:16]
	scratch_store_b128 off, v[9:12], off offset:336
.LBB92_99:
	s_or_b32 exec_lo, exec_lo, s2
	s_waitcnt_vscnt null, 0x0
	s_barrier
	buffer_gl0_inv
	scratch_load_b128 v[1:4], v124, off
	s_mov_b32 s2, exec_lo
	s_waitcnt vmcnt(0)
	ds_store_b128 v5, v[1:4]
	s_waitcnt lgkmcnt(0)
	s_barrier
	buffer_gl0_inv
	v_cmpx_gt_u32_e32 22, v100
	s_cbranch_execz .LBB92_103
; %bb.100:
	v_dual_mov_b32 v1, 0 :: v_dual_add_nc_u32 v8, 0x1d0, v13
	v_dual_mov_b32 v2, 0 :: v_dual_add_nc_u32 v7, -1, v100
	v_or_b32_e32 v9, 8, v14
	s_mov_b32 s3, 0
	s_delay_alu instid0(VALU_DEP_2)
	v_dual_mov_b32 v4, v2 :: v_dual_mov_b32 v3, v1
	.p2align	6
.LBB92_101:                             ; =>This Inner Loop Header: Depth=1
	scratch_load_b128 v[15:18], v9, off offset:-8
	ds_load_b128 v[19:22], v8
	v_add_nc_u32_e32 v7, 1, v7
	v_add_nc_u32_e32 v8, 16, v8
	;; [unrolled: 1-line block ×3, first 2 shown]
	s_delay_alu instid0(VALU_DEP_3) | instskip(SKIP_4) | instid1(VALU_DEP_2)
	v_cmp_lt_u32_e32 vcc_lo, 20, v7
	s_or_b32 s3, vcc_lo, s3
	s_waitcnt vmcnt(0) lgkmcnt(0)
	v_mul_f64 v[10:11], v[21:22], v[17:18]
	v_mul_f64 v[17:18], v[19:20], v[17:18]
	v_fma_f64 v[10:11], v[19:20], v[15:16], -v[10:11]
	s_delay_alu instid0(VALU_DEP_2) | instskip(NEXT) | instid1(VALU_DEP_2)
	v_fma_f64 v[15:16], v[21:22], v[15:16], v[17:18]
	v_add_f64 v[3:4], v[3:4], v[10:11]
	s_delay_alu instid0(VALU_DEP_2)
	v_add_f64 v[1:2], v[1:2], v[15:16]
	s_and_not1_b32 exec_lo, exec_lo, s3
	s_cbranch_execnz .LBB92_101
; %bb.102:
	s_or_b32 exec_lo, exec_lo, s3
	v_mov_b32_e32 v7, 0
	ds_load_b128 v[7:10], v7 offset:352
	s_waitcnt lgkmcnt(0)
	v_mul_f64 v[11:12], v[1:2], v[9:10]
	v_mul_f64 v[15:16], v[3:4], v[9:10]
	s_delay_alu instid0(VALU_DEP_2) | instskip(NEXT) | instid1(VALU_DEP_2)
	v_fma_f64 v[9:10], v[3:4], v[7:8], -v[11:12]
	v_fma_f64 v[11:12], v[1:2], v[7:8], v[15:16]
	scratch_store_b128 off, v[9:12], off offset:352
.LBB92_103:
	s_or_b32 exec_lo, exec_lo, s2
	s_waitcnt_vscnt null, 0x0
	s_barrier
	buffer_gl0_inv
	scratch_load_b128 v[1:4], v123, off
	s_mov_b32 s2, exec_lo
	s_waitcnt vmcnt(0)
	ds_store_b128 v5, v[1:4]
	s_waitcnt lgkmcnt(0)
	s_barrier
	buffer_gl0_inv
	v_cmpx_gt_u32_e32 23, v100
	s_cbranch_execz .LBB92_107
; %bb.104:
	v_dual_mov_b32 v1, 0 :: v_dual_add_nc_u32 v8, 0x1d0, v13
	v_dual_mov_b32 v2, 0 :: v_dual_add_nc_u32 v7, -1, v100
	v_or_b32_e32 v9, 8, v14
	s_mov_b32 s3, 0
	s_delay_alu instid0(VALU_DEP_2)
	v_dual_mov_b32 v4, v2 :: v_dual_mov_b32 v3, v1
	.p2align	6
.LBB92_105:                             ; =>This Inner Loop Header: Depth=1
	scratch_load_b128 v[15:18], v9, off offset:-8
	ds_load_b128 v[19:22], v8
	v_add_nc_u32_e32 v7, 1, v7
	v_add_nc_u32_e32 v8, 16, v8
	;; [unrolled: 1-line block ×3, first 2 shown]
	s_delay_alu instid0(VALU_DEP_3) | instskip(SKIP_4) | instid1(VALU_DEP_2)
	v_cmp_lt_u32_e32 vcc_lo, 21, v7
	s_or_b32 s3, vcc_lo, s3
	s_waitcnt vmcnt(0) lgkmcnt(0)
	v_mul_f64 v[10:11], v[21:22], v[17:18]
	v_mul_f64 v[17:18], v[19:20], v[17:18]
	v_fma_f64 v[10:11], v[19:20], v[15:16], -v[10:11]
	s_delay_alu instid0(VALU_DEP_2) | instskip(NEXT) | instid1(VALU_DEP_2)
	v_fma_f64 v[15:16], v[21:22], v[15:16], v[17:18]
	v_add_f64 v[3:4], v[3:4], v[10:11]
	s_delay_alu instid0(VALU_DEP_2)
	v_add_f64 v[1:2], v[1:2], v[15:16]
	s_and_not1_b32 exec_lo, exec_lo, s3
	s_cbranch_execnz .LBB92_105
; %bb.106:
	s_or_b32 exec_lo, exec_lo, s3
	v_mov_b32_e32 v7, 0
	ds_load_b128 v[7:10], v7 offset:368
	s_waitcnt lgkmcnt(0)
	v_mul_f64 v[11:12], v[1:2], v[9:10]
	v_mul_f64 v[15:16], v[3:4], v[9:10]
	s_delay_alu instid0(VALU_DEP_2) | instskip(NEXT) | instid1(VALU_DEP_2)
	v_fma_f64 v[9:10], v[3:4], v[7:8], -v[11:12]
	v_fma_f64 v[11:12], v[1:2], v[7:8], v[15:16]
	scratch_store_b128 off, v[9:12], off offset:368
.LBB92_107:
	s_or_b32 exec_lo, exec_lo, s2
	s_waitcnt_vscnt null, 0x0
	s_barrier
	buffer_gl0_inv
	scratch_load_b128 v[1:4], v122, off
	s_mov_b32 s2, exec_lo
	s_waitcnt vmcnt(0)
	ds_store_b128 v5, v[1:4]
	s_waitcnt lgkmcnt(0)
	s_barrier
	buffer_gl0_inv
	v_cmpx_gt_u32_e32 24, v100
	s_cbranch_execz .LBB92_111
; %bb.108:
	v_dual_mov_b32 v1, 0 :: v_dual_add_nc_u32 v8, 0x1d0, v13
	v_dual_mov_b32 v2, 0 :: v_dual_add_nc_u32 v7, -1, v100
	v_or_b32_e32 v9, 8, v14
	s_mov_b32 s3, 0
	s_delay_alu instid0(VALU_DEP_2)
	v_dual_mov_b32 v4, v2 :: v_dual_mov_b32 v3, v1
	.p2align	6
.LBB92_109:                             ; =>This Inner Loop Header: Depth=1
	scratch_load_b128 v[15:18], v9, off offset:-8
	ds_load_b128 v[19:22], v8
	v_add_nc_u32_e32 v7, 1, v7
	v_add_nc_u32_e32 v8, 16, v8
	v_add_nc_u32_e32 v9, 16, v9
	s_delay_alu instid0(VALU_DEP_3) | instskip(SKIP_4) | instid1(VALU_DEP_2)
	v_cmp_lt_u32_e32 vcc_lo, 22, v7
	s_or_b32 s3, vcc_lo, s3
	s_waitcnt vmcnt(0) lgkmcnt(0)
	v_mul_f64 v[10:11], v[21:22], v[17:18]
	v_mul_f64 v[17:18], v[19:20], v[17:18]
	v_fma_f64 v[10:11], v[19:20], v[15:16], -v[10:11]
	s_delay_alu instid0(VALU_DEP_2) | instskip(NEXT) | instid1(VALU_DEP_2)
	v_fma_f64 v[15:16], v[21:22], v[15:16], v[17:18]
	v_add_f64 v[3:4], v[3:4], v[10:11]
	s_delay_alu instid0(VALU_DEP_2)
	v_add_f64 v[1:2], v[1:2], v[15:16]
	s_and_not1_b32 exec_lo, exec_lo, s3
	s_cbranch_execnz .LBB92_109
; %bb.110:
	s_or_b32 exec_lo, exec_lo, s3
	v_mov_b32_e32 v7, 0
	ds_load_b128 v[7:10], v7 offset:384
	s_waitcnt lgkmcnt(0)
	v_mul_f64 v[11:12], v[1:2], v[9:10]
	v_mul_f64 v[15:16], v[3:4], v[9:10]
	s_delay_alu instid0(VALU_DEP_2) | instskip(NEXT) | instid1(VALU_DEP_2)
	v_fma_f64 v[9:10], v[3:4], v[7:8], -v[11:12]
	v_fma_f64 v[11:12], v[1:2], v[7:8], v[15:16]
	scratch_store_b128 off, v[9:12], off offset:384
.LBB92_111:
	s_or_b32 exec_lo, exec_lo, s2
	s_waitcnt_vscnt null, 0x0
	s_barrier
	buffer_gl0_inv
	scratch_load_b128 v[1:4], v121, off
	s_mov_b32 s2, exec_lo
	s_waitcnt vmcnt(0)
	ds_store_b128 v5, v[1:4]
	s_waitcnt lgkmcnt(0)
	s_barrier
	buffer_gl0_inv
	v_cmpx_gt_u32_e32 25, v100
	s_cbranch_execz .LBB92_115
; %bb.112:
	v_dual_mov_b32 v1, 0 :: v_dual_add_nc_u32 v8, 0x1d0, v13
	v_dual_mov_b32 v2, 0 :: v_dual_add_nc_u32 v7, -1, v100
	v_or_b32_e32 v9, 8, v14
	s_mov_b32 s3, 0
	s_delay_alu instid0(VALU_DEP_2)
	v_dual_mov_b32 v4, v2 :: v_dual_mov_b32 v3, v1
	.p2align	6
.LBB92_113:                             ; =>This Inner Loop Header: Depth=1
	scratch_load_b128 v[15:18], v9, off offset:-8
	ds_load_b128 v[19:22], v8
	v_add_nc_u32_e32 v7, 1, v7
	v_add_nc_u32_e32 v8, 16, v8
	;; [unrolled: 1-line block ×3, first 2 shown]
	s_delay_alu instid0(VALU_DEP_3) | instskip(SKIP_4) | instid1(VALU_DEP_2)
	v_cmp_lt_u32_e32 vcc_lo, 23, v7
	s_or_b32 s3, vcc_lo, s3
	s_waitcnt vmcnt(0) lgkmcnt(0)
	v_mul_f64 v[10:11], v[21:22], v[17:18]
	v_mul_f64 v[17:18], v[19:20], v[17:18]
	v_fma_f64 v[10:11], v[19:20], v[15:16], -v[10:11]
	s_delay_alu instid0(VALU_DEP_2) | instskip(NEXT) | instid1(VALU_DEP_2)
	v_fma_f64 v[15:16], v[21:22], v[15:16], v[17:18]
	v_add_f64 v[3:4], v[3:4], v[10:11]
	s_delay_alu instid0(VALU_DEP_2)
	v_add_f64 v[1:2], v[1:2], v[15:16]
	s_and_not1_b32 exec_lo, exec_lo, s3
	s_cbranch_execnz .LBB92_113
; %bb.114:
	s_or_b32 exec_lo, exec_lo, s3
	v_mov_b32_e32 v7, 0
	ds_load_b128 v[7:10], v7 offset:400
	s_waitcnt lgkmcnt(0)
	v_mul_f64 v[11:12], v[1:2], v[9:10]
	v_mul_f64 v[15:16], v[3:4], v[9:10]
	s_delay_alu instid0(VALU_DEP_2) | instskip(NEXT) | instid1(VALU_DEP_2)
	v_fma_f64 v[9:10], v[3:4], v[7:8], -v[11:12]
	v_fma_f64 v[11:12], v[1:2], v[7:8], v[15:16]
	scratch_store_b128 off, v[9:12], off offset:400
.LBB92_115:
	s_or_b32 exec_lo, exec_lo, s2
	s_waitcnt_vscnt null, 0x0
	s_barrier
	buffer_gl0_inv
	scratch_load_b128 v[1:4], v120, off
	s_mov_b32 s2, exec_lo
	s_waitcnt vmcnt(0)
	ds_store_b128 v5, v[1:4]
	s_waitcnt lgkmcnt(0)
	s_barrier
	buffer_gl0_inv
	v_cmpx_gt_u32_e32 26, v100
	s_cbranch_execz .LBB92_119
; %bb.116:
	v_dual_mov_b32 v1, 0 :: v_dual_add_nc_u32 v8, 0x1d0, v13
	v_dual_mov_b32 v2, 0 :: v_dual_add_nc_u32 v7, -1, v100
	v_or_b32_e32 v9, 8, v14
	s_mov_b32 s3, 0
	s_delay_alu instid0(VALU_DEP_2)
	v_dual_mov_b32 v4, v2 :: v_dual_mov_b32 v3, v1
	.p2align	6
.LBB92_117:                             ; =>This Inner Loop Header: Depth=1
	scratch_load_b128 v[15:18], v9, off offset:-8
	ds_load_b128 v[19:22], v8
	v_add_nc_u32_e32 v7, 1, v7
	v_add_nc_u32_e32 v8, 16, v8
	;; [unrolled: 1-line block ×3, first 2 shown]
	s_delay_alu instid0(VALU_DEP_3) | instskip(SKIP_4) | instid1(VALU_DEP_2)
	v_cmp_lt_u32_e32 vcc_lo, 24, v7
	s_or_b32 s3, vcc_lo, s3
	s_waitcnt vmcnt(0) lgkmcnt(0)
	v_mul_f64 v[10:11], v[21:22], v[17:18]
	v_mul_f64 v[17:18], v[19:20], v[17:18]
	v_fma_f64 v[10:11], v[19:20], v[15:16], -v[10:11]
	s_delay_alu instid0(VALU_DEP_2) | instskip(NEXT) | instid1(VALU_DEP_2)
	v_fma_f64 v[15:16], v[21:22], v[15:16], v[17:18]
	v_add_f64 v[3:4], v[3:4], v[10:11]
	s_delay_alu instid0(VALU_DEP_2)
	v_add_f64 v[1:2], v[1:2], v[15:16]
	s_and_not1_b32 exec_lo, exec_lo, s3
	s_cbranch_execnz .LBB92_117
; %bb.118:
	s_or_b32 exec_lo, exec_lo, s3
	v_mov_b32_e32 v7, 0
	ds_load_b128 v[7:10], v7 offset:416
	s_waitcnt lgkmcnt(0)
	v_mul_f64 v[11:12], v[1:2], v[9:10]
	v_mul_f64 v[15:16], v[3:4], v[9:10]
	s_delay_alu instid0(VALU_DEP_2) | instskip(NEXT) | instid1(VALU_DEP_2)
	v_fma_f64 v[9:10], v[3:4], v[7:8], -v[11:12]
	v_fma_f64 v[11:12], v[1:2], v[7:8], v[15:16]
	scratch_store_b128 off, v[9:12], off offset:416
.LBB92_119:
	s_or_b32 exec_lo, exec_lo, s2
	s_waitcnt_vscnt null, 0x0
	s_barrier
	buffer_gl0_inv
	scratch_load_b128 v[1:4], v119, off
	s_mov_b32 s2, exec_lo
	s_waitcnt vmcnt(0)
	ds_store_b128 v5, v[1:4]
	s_waitcnt lgkmcnt(0)
	s_barrier
	buffer_gl0_inv
	v_cmpx_gt_u32_e32 27, v100
	s_cbranch_execz .LBB92_123
; %bb.120:
	v_dual_mov_b32 v1, 0 :: v_dual_add_nc_u32 v8, 0x1d0, v13
	v_dual_mov_b32 v2, 0 :: v_dual_add_nc_u32 v7, -1, v100
	v_or_b32_e32 v9, 8, v14
	s_mov_b32 s3, 0
	s_delay_alu instid0(VALU_DEP_2)
	v_dual_mov_b32 v4, v2 :: v_dual_mov_b32 v3, v1
	.p2align	6
.LBB92_121:                             ; =>This Inner Loop Header: Depth=1
	scratch_load_b128 v[10:13], v9, off offset:-8
	ds_load_b128 v[15:18], v8
	v_add_nc_u32_e32 v7, 1, v7
	v_add_nc_u32_e32 v8, 16, v8
	;; [unrolled: 1-line block ×3, first 2 shown]
	s_delay_alu instid0(VALU_DEP_3) | instskip(SKIP_4) | instid1(VALU_DEP_2)
	v_cmp_lt_u32_e32 vcc_lo, 25, v7
	s_or_b32 s3, vcc_lo, s3
	s_waitcnt vmcnt(0) lgkmcnt(0)
	v_mul_f64 v[19:20], v[17:18], v[12:13]
	v_mul_f64 v[12:13], v[15:16], v[12:13]
	v_fma_f64 v[15:16], v[15:16], v[10:11], -v[19:20]
	s_delay_alu instid0(VALU_DEP_2) | instskip(NEXT) | instid1(VALU_DEP_2)
	v_fma_f64 v[10:11], v[17:18], v[10:11], v[12:13]
	v_add_f64 v[3:4], v[3:4], v[15:16]
	s_delay_alu instid0(VALU_DEP_2)
	v_add_f64 v[1:2], v[1:2], v[10:11]
	s_and_not1_b32 exec_lo, exec_lo, s3
	s_cbranch_execnz .LBB92_121
; %bb.122:
	s_or_b32 exec_lo, exec_lo, s3
	v_mov_b32_e32 v7, 0
	ds_load_b128 v[7:10], v7 offset:432
	s_waitcnt lgkmcnt(0)
	v_mul_f64 v[11:12], v[1:2], v[9:10]
	v_mul_f64 v[15:16], v[3:4], v[9:10]
	s_delay_alu instid0(VALU_DEP_2) | instskip(NEXT) | instid1(VALU_DEP_2)
	v_fma_f64 v[9:10], v[3:4], v[7:8], -v[11:12]
	v_fma_f64 v[11:12], v[1:2], v[7:8], v[15:16]
	scratch_store_b128 off, v[9:12], off offset:432
.LBB92_123:
	s_or_b32 exec_lo, exec_lo, s2
	s_waitcnt_vscnt null, 0x0
	s_barrier
	buffer_gl0_inv
	scratch_load_b128 v[1:4], v118, off
	s_mov_b32 s2, exec_lo
	s_waitcnt vmcnt(0)
	ds_store_b128 v5, v[1:4]
	s_waitcnt lgkmcnt(0)
	s_barrier
	buffer_gl0_inv
	v_cmpx_ne_u32_e32 28, v100
	s_cbranch_execz .LBB92_127
; %bb.124:
	v_mov_b32_e32 v1, 0
	v_mov_b32_e32 v2, 0
	v_or_b32_e32 v7, 8, v14
	s_mov_b32 s3, 0
	s_delay_alu instid0(VALU_DEP_2)
	v_dual_mov_b32 v4, v2 :: v_dual_mov_b32 v3, v1
	.p2align	6
.LBB92_125:                             ; =>This Inner Loop Header: Depth=1
	scratch_load_b128 v[8:11], v7, off offset:-8
	ds_load_b128 v[12:15], v5
	v_add_nc_u32_e32 v6, 1, v6
	v_add_nc_u32_e32 v5, 16, v5
	;; [unrolled: 1-line block ×3, first 2 shown]
	s_delay_alu instid0(VALU_DEP_3) | instskip(SKIP_4) | instid1(VALU_DEP_2)
	v_cmp_lt_u32_e32 vcc_lo, 26, v6
	s_or_b32 s3, vcc_lo, s3
	s_waitcnt vmcnt(0) lgkmcnt(0)
	v_mul_f64 v[16:17], v[14:15], v[10:11]
	v_mul_f64 v[10:11], v[12:13], v[10:11]
	v_fma_f64 v[12:13], v[12:13], v[8:9], -v[16:17]
	s_delay_alu instid0(VALU_DEP_2) | instskip(NEXT) | instid1(VALU_DEP_2)
	v_fma_f64 v[8:9], v[14:15], v[8:9], v[10:11]
	v_add_f64 v[3:4], v[3:4], v[12:13]
	s_delay_alu instid0(VALU_DEP_2)
	v_add_f64 v[1:2], v[1:2], v[8:9]
	s_and_not1_b32 exec_lo, exec_lo, s3
	s_cbranch_execnz .LBB92_125
; %bb.126:
	s_or_b32 exec_lo, exec_lo, s3
	v_mov_b32_e32 v5, 0
	ds_load_b128 v[5:8], v5 offset:448
	s_waitcnt lgkmcnt(0)
	v_mul_f64 v[9:10], v[1:2], v[7:8]
	v_mul_f64 v[7:8], v[3:4], v[7:8]
	s_delay_alu instid0(VALU_DEP_2) | instskip(NEXT) | instid1(VALU_DEP_2)
	v_fma_f64 v[3:4], v[3:4], v[5:6], -v[9:10]
	v_fma_f64 v[5:6], v[1:2], v[5:6], v[7:8]
	scratch_store_b128 off, v[3:6], off offset:448
.LBB92_127:
	s_or_b32 exec_lo, exec_lo, s2
	s_mov_b32 s3, -1
	s_waitcnt_vscnt null, 0x0
	s_barrier
	buffer_gl0_inv
.LBB92_128:
	s_and_b32 vcc_lo, exec_lo, s3
	s_cbranch_vccz .LBB92_130
; %bb.129:
	s_lshl_b64 s[2:3], s[10:11], 2
	v_mov_b32_e32 v1, 0
	s_add_u32 s2, s6, s2
	s_addc_u32 s3, s7, s3
	global_load_b32 v1, v1, s[2:3]
	s_waitcnt vmcnt(0)
	v_cmp_ne_u32_e32 vcc_lo, 0, v1
	s_cbranch_vccz .LBB92_131
.LBB92_130:
	s_endpgm
.LBB92_131:
	v_lshl_add_u32 v38, v100, 4, 0x1d0
	s_mov_b32 s2, exec_lo
	v_cmpx_eq_u32_e32 28, v100
	s_cbranch_execz .LBB92_133
; %bb.132:
	scratch_load_b128 v[1:4], v119, off
	v_mov_b32_e32 v5, 0
	s_delay_alu instid0(VALU_DEP_1)
	v_mov_b32_e32 v6, v5
	v_mov_b32_e32 v7, v5
	;; [unrolled: 1-line block ×3, first 2 shown]
	scratch_store_b128 off, v[5:8], off offset:432
	s_waitcnt vmcnt(0)
	ds_store_b128 v38, v[1:4]
.LBB92_133:
	s_or_b32 exec_lo, exec_lo, s2
	s_waitcnt lgkmcnt(0)
	s_waitcnt_vscnt null, 0x0
	s_barrier
	buffer_gl0_inv
	s_clause 0x1
	scratch_load_b128 v[2:5], off, off offset:448
	scratch_load_b128 v[6:9], off, off offset:432
	v_mov_b32_e32 v1, 0
	s_mov_b32 s2, exec_lo
	ds_load_b128 v[10:13], v1 offset:912
	s_waitcnt vmcnt(1) lgkmcnt(0)
	v_mul_f64 v[14:15], v[12:13], v[4:5]
	v_mul_f64 v[4:5], v[10:11], v[4:5]
	s_delay_alu instid0(VALU_DEP_2) | instskip(NEXT) | instid1(VALU_DEP_2)
	v_fma_f64 v[10:11], v[10:11], v[2:3], -v[14:15]
	v_fma_f64 v[2:3], v[12:13], v[2:3], v[4:5]
	s_delay_alu instid0(VALU_DEP_2) | instskip(NEXT) | instid1(VALU_DEP_2)
	v_add_f64 v[4:5], v[10:11], 0
	v_add_f64 v[10:11], v[2:3], 0
	s_waitcnt vmcnt(0)
	s_delay_alu instid0(VALU_DEP_2) | instskip(NEXT) | instid1(VALU_DEP_2)
	v_add_f64 v[2:3], v[6:7], -v[4:5]
	v_add_f64 v[4:5], v[8:9], -v[10:11]
	scratch_store_b128 off, v[2:5], off offset:432
	v_cmpx_lt_u32_e32 26, v100
	s_cbranch_execz .LBB92_135
; %bb.134:
	scratch_load_b128 v[5:8], v120, off
	v_mov_b32_e32 v2, v1
	v_mov_b32_e32 v3, v1
	;; [unrolled: 1-line block ×3, first 2 shown]
	scratch_store_b128 off, v[1:4], off offset:416
	s_waitcnt vmcnt(0)
	ds_store_b128 v38, v[5:8]
.LBB92_135:
	s_or_b32 exec_lo, exec_lo, s2
	s_waitcnt lgkmcnt(0)
	s_waitcnt_vscnt null, 0x0
	s_barrier
	buffer_gl0_inv
	s_clause 0x2
	scratch_load_b128 v[2:5], off, off offset:432
	scratch_load_b128 v[6:9], off, off offset:448
	;; [unrolled: 1-line block ×3, first 2 shown]
	ds_load_b128 v[14:17], v1 offset:896
	ds_load_b128 v[18:21], v1 offset:912
	s_mov_b32 s2, exec_lo
	s_waitcnt vmcnt(2) lgkmcnt(1)
	v_mul_f64 v[22:23], v[16:17], v[4:5]
	v_mul_f64 v[4:5], v[14:15], v[4:5]
	s_waitcnt vmcnt(1) lgkmcnt(0)
	v_mul_f64 v[24:25], v[18:19], v[8:9]
	v_mul_f64 v[8:9], v[20:21], v[8:9]
	s_delay_alu instid0(VALU_DEP_4) | instskip(NEXT) | instid1(VALU_DEP_4)
	v_fma_f64 v[14:15], v[14:15], v[2:3], -v[22:23]
	v_fma_f64 v[1:2], v[16:17], v[2:3], v[4:5]
	s_delay_alu instid0(VALU_DEP_4) | instskip(NEXT) | instid1(VALU_DEP_4)
	v_fma_f64 v[3:4], v[20:21], v[6:7], v[24:25]
	v_fma_f64 v[5:6], v[18:19], v[6:7], -v[8:9]
	s_delay_alu instid0(VALU_DEP_4) | instskip(NEXT) | instid1(VALU_DEP_4)
	v_add_f64 v[7:8], v[14:15], 0
	v_add_f64 v[1:2], v[1:2], 0
	s_delay_alu instid0(VALU_DEP_2) | instskip(NEXT) | instid1(VALU_DEP_2)
	v_add_f64 v[5:6], v[7:8], v[5:6]
	v_add_f64 v[3:4], v[1:2], v[3:4]
	s_waitcnt vmcnt(0)
	s_delay_alu instid0(VALU_DEP_2) | instskip(NEXT) | instid1(VALU_DEP_2)
	v_add_f64 v[1:2], v[10:11], -v[5:6]
	v_add_f64 v[3:4], v[12:13], -v[3:4]
	scratch_store_b128 off, v[1:4], off offset:416
	v_cmpx_lt_u32_e32 25, v100
	s_cbranch_execz .LBB92_137
; %bb.136:
	scratch_load_b128 v[1:4], v121, off
	v_mov_b32_e32 v5, 0
	s_delay_alu instid0(VALU_DEP_1)
	v_mov_b32_e32 v6, v5
	v_mov_b32_e32 v7, v5
	;; [unrolled: 1-line block ×3, first 2 shown]
	scratch_store_b128 off, v[5:8], off offset:400
	s_waitcnt vmcnt(0)
	ds_store_b128 v38, v[1:4]
.LBB92_137:
	s_or_b32 exec_lo, exec_lo, s2
	s_waitcnt lgkmcnt(0)
	s_waitcnt_vscnt null, 0x0
	s_barrier
	buffer_gl0_inv
	s_clause 0x3
	scratch_load_b128 v[2:5], off, off offset:416
	scratch_load_b128 v[6:9], off, off offset:432
	;; [unrolled: 1-line block ×4, first 2 shown]
	v_mov_b32_e32 v1, 0
	ds_load_b128 v[18:21], v1 offset:880
	ds_load_b128 v[22:25], v1 offset:896
	s_mov_b32 s2, exec_lo
	s_waitcnt vmcnt(3) lgkmcnt(1)
	v_mul_f64 v[26:27], v[20:21], v[4:5]
	v_mul_f64 v[4:5], v[18:19], v[4:5]
	s_waitcnt vmcnt(2) lgkmcnt(0)
	v_mul_f64 v[28:29], v[22:23], v[8:9]
	v_mul_f64 v[8:9], v[24:25], v[8:9]
	s_delay_alu instid0(VALU_DEP_4) | instskip(NEXT) | instid1(VALU_DEP_4)
	v_fma_f64 v[18:19], v[18:19], v[2:3], -v[26:27]
	v_fma_f64 v[20:21], v[20:21], v[2:3], v[4:5]
	ds_load_b128 v[2:5], v1 offset:912
	v_fma_f64 v[24:25], v[24:25], v[6:7], v[28:29]
	v_fma_f64 v[6:7], v[22:23], v[6:7], -v[8:9]
	s_waitcnt vmcnt(1) lgkmcnt(0)
	v_mul_f64 v[26:27], v[2:3], v[12:13]
	v_mul_f64 v[12:13], v[4:5], v[12:13]
	v_add_f64 v[8:9], v[18:19], 0
	v_add_f64 v[18:19], v[20:21], 0
	s_delay_alu instid0(VALU_DEP_4) | instskip(NEXT) | instid1(VALU_DEP_4)
	v_fma_f64 v[4:5], v[4:5], v[10:11], v[26:27]
	v_fma_f64 v[2:3], v[2:3], v[10:11], -v[12:13]
	s_delay_alu instid0(VALU_DEP_4) | instskip(NEXT) | instid1(VALU_DEP_4)
	v_add_f64 v[6:7], v[8:9], v[6:7]
	v_add_f64 v[8:9], v[18:19], v[24:25]
	s_delay_alu instid0(VALU_DEP_2) | instskip(NEXT) | instid1(VALU_DEP_2)
	v_add_f64 v[2:3], v[6:7], v[2:3]
	v_add_f64 v[4:5], v[8:9], v[4:5]
	s_waitcnt vmcnt(0)
	s_delay_alu instid0(VALU_DEP_2) | instskip(NEXT) | instid1(VALU_DEP_2)
	v_add_f64 v[2:3], v[14:15], -v[2:3]
	v_add_f64 v[4:5], v[16:17], -v[4:5]
	scratch_store_b128 off, v[2:5], off offset:400
	v_cmpx_lt_u32_e32 24, v100
	s_cbranch_execz .LBB92_139
; %bb.138:
	scratch_load_b128 v[5:8], v122, off
	v_mov_b32_e32 v2, v1
	v_mov_b32_e32 v3, v1
	;; [unrolled: 1-line block ×3, first 2 shown]
	scratch_store_b128 off, v[1:4], off offset:384
	s_waitcnt vmcnt(0)
	ds_store_b128 v38, v[5:8]
.LBB92_139:
	s_or_b32 exec_lo, exec_lo, s2
	s_waitcnt lgkmcnt(0)
	s_waitcnt_vscnt null, 0x0
	s_barrier
	buffer_gl0_inv
	s_clause 0x4
	scratch_load_b128 v[2:5], off, off offset:400
	scratch_load_b128 v[6:9], off, off offset:416
	;; [unrolled: 1-line block ×5, first 2 shown]
	ds_load_b128 v[22:25], v1 offset:864
	ds_load_b128 v[26:29], v1 offset:880
	s_mov_b32 s2, exec_lo
	s_waitcnt vmcnt(4) lgkmcnt(1)
	v_mul_f64 v[30:31], v[24:25], v[4:5]
	v_mul_f64 v[4:5], v[22:23], v[4:5]
	s_waitcnt vmcnt(3) lgkmcnt(0)
	v_mul_f64 v[32:33], v[26:27], v[8:9]
	v_mul_f64 v[8:9], v[28:29], v[8:9]
	s_delay_alu instid0(VALU_DEP_4) | instskip(NEXT) | instid1(VALU_DEP_4)
	v_fma_f64 v[30:31], v[22:23], v[2:3], -v[30:31]
	v_fma_f64 v[34:35], v[24:25], v[2:3], v[4:5]
	ds_load_b128 v[2:5], v1 offset:896
	ds_load_b128 v[22:25], v1 offset:912
	v_fma_f64 v[28:29], v[28:29], v[6:7], v[32:33]
	v_fma_f64 v[6:7], v[26:27], v[6:7], -v[8:9]
	s_waitcnt vmcnt(2) lgkmcnt(1)
	v_mul_f64 v[36:37], v[2:3], v[12:13]
	v_mul_f64 v[12:13], v[4:5], v[12:13]
	v_add_f64 v[8:9], v[30:31], 0
	v_add_f64 v[26:27], v[34:35], 0
	s_waitcnt vmcnt(1) lgkmcnt(0)
	v_mul_f64 v[30:31], v[22:23], v[16:17]
	v_mul_f64 v[16:17], v[24:25], v[16:17]
	v_fma_f64 v[4:5], v[4:5], v[10:11], v[36:37]
	v_fma_f64 v[1:2], v[2:3], v[10:11], -v[12:13]
	v_add_f64 v[6:7], v[8:9], v[6:7]
	v_add_f64 v[8:9], v[26:27], v[28:29]
	v_fma_f64 v[10:11], v[24:25], v[14:15], v[30:31]
	v_fma_f64 v[12:13], v[22:23], v[14:15], -v[16:17]
	s_delay_alu instid0(VALU_DEP_4) | instskip(NEXT) | instid1(VALU_DEP_4)
	v_add_f64 v[1:2], v[6:7], v[1:2]
	v_add_f64 v[3:4], v[8:9], v[4:5]
	s_delay_alu instid0(VALU_DEP_2) | instskip(NEXT) | instid1(VALU_DEP_2)
	v_add_f64 v[1:2], v[1:2], v[12:13]
	v_add_f64 v[3:4], v[3:4], v[10:11]
	s_waitcnt vmcnt(0)
	s_delay_alu instid0(VALU_DEP_2) | instskip(NEXT) | instid1(VALU_DEP_2)
	v_add_f64 v[1:2], v[18:19], -v[1:2]
	v_add_f64 v[3:4], v[20:21], -v[3:4]
	scratch_store_b128 off, v[1:4], off offset:384
	v_cmpx_lt_u32_e32 23, v100
	s_cbranch_execz .LBB92_141
; %bb.140:
	scratch_load_b128 v[1:4], v123, off
	v_mov_b32_e32 v5, 0
	s_delay_alu instid0(VALU_DEP_1)
	v_mov_b32_e32 v6, v5
	v_mov_b32_e32 v7, v5
	;; [unrolled: 1-line block ×3, first 2 shown]
	scratch_store_b128 off, v[5:8], off offset:368
	s_waitcnt vmcnt(0)
	ds_store_b128 v38, v[1:4]
.LBB92_141:
	s_or_b32 exec_lo, exec_lo, s2
	s_waitcnt lgkmcnt(0)
	s_waitcnt_vscnt null, 0x0
	s_barrier
	buffer_gl0_inv
	s_clause 0x5
	scratch_load_b128 v[2:5], off, off offset:384
	scratch_load_b128 v[6:9], off, off offset:400
	;; [unrolled: 1-line block ×6, first 2 shown]
	v_mov_b32_e32 v1, 0
	ds_load_b128 v[26:29], v1 offset:848
	ds_load_b128 v[30:33], v1 offset:864
	s_mov_b32 s2, exec_lo
	s_waitcnt vmcnt(5) lgkmcnt(1)
	v_mul_f64 v[34:35], v[28:29], v[4:5]
	v_mul_f64 v[4:5], v[26:27], v[4:5]
	s_waitcnt vmcnt(4) lgkmcnt(0)
	v_mul_f64 v[36:37], v[30:31], v[8:9]
	v_mul_f64 v[8:9], v[32:33], v[8:9]
	s_delay_alu instid0(VALU_DEP_4) | instskip(NEXT) | instid1(VALU_DEP_4)
	v_fma_f64 v[34:35], v[26:27], v[2:3], -v[34:35]
	v_fma_f64 v[39:40], v[28:29], v[2:3], v[4:5]
	ds_load_b128 v[2:5], v1 offset:880
	ds_load_b128 v[26:29], v1 offset:896
	v_fma_f64 v[32:33], v[32:33], v[6:7], v[36:37]
	v_fma_f64 v[6:7], v[30:31], v[6:7], -v[8:9]
	s_waitcnt vmcnt(3) lgkmcnt(1)
	v_mul_f64 v[129:130], v[2:3], v[12:13]
	v_mul_f64 v[12:13], v[4:5], v[12:13]
	v_add_f64 v[8:9], v[34:35], 0
	v_add_f64 v[30:31], v[39:40], 0
	s_waitcnt vmcnt(2) lgkmcnt(0)
	v_mul_f64 v[34:35], v[26:27], v[16:17]
	v_mul_f64 v[16:17], v[28:29], v[16:17]
	v_fma_f64 v[36:37], v[4:5], v[10:11], v[129:130]
	v_fma_f64 v[10:11], v[2:3], v[10:11], -v[12:13]
	ds_load_b128 v[2:5], v1 offset:912
	v_add_f64 v[6:7], v[8:9], v[6:7]
	v_add_f64 v[8:9], v[30:31], v[32:33]
	v_fma_f64 v[28:29], v[28:29], v[14:15], v[34:35]
	v_fma_f64 v[14:15], v[26:27], v[14:15], -v[16:17]
	s_waitcnt vmcnt(1) lgkmcnt(0)
	v_mul_f64 v[12:13], v[2:3], v[20:21]
	v_mul_f64 v[20:21], v[4:5], v[20:21]
	v_add_f64 v[6:7], v[6:7], v[10:11]
	v_add_f64 v[8:9], v[8:9], v[36:37]
	s_delay_alu instid0(VALU_DEP_4) | instskip(NEXT) | instid1(VALU_DEP_4)
	v_fma_f64 v[4:5], v[4:5], v[18:19], v[12:13]
	v_fma_f64 v[2:3], v[2:3], v[18:19], -v[20:21]
	s_delay_alu instid0(VALU_DEP_4) | instskip(NEXT) | instid1(VALU_DEP_4)
	v_add_f64 v[6:7], v[6:7], v[14:15]
	v_add_f64 v[8:9], v[8:9], v[28:29]
	s_delay_alu instid0(VALU_DEP_2) | instskip(NEXT) | instid1(VALU_DEP_2)
	v_add_f64 v[2:3], v[6:7], v[2:3]
	v_add_f64 v[4:5], v[8:9], v[4:5]
	s_waitcnt vmcnt(0)
	s_delay_alu instid0(VALU_DEP_2) | instskip(NEXT) | instid1(VALU_DEP_2)
	v_add_f64 v[2:3], v[22:23], -v[2:3]
	v_add_f64 v[4:5], v[24:25], -v[4:5]
	scratch_store_b128 off, v[2:5], off offset:368
	v_cmpx_lt_u32_e32 22, v100
	s_cbranch_execz .LBB92_143
; %bb.142:
	scratch_load_b128 v[5:8], v124, off
	v_mov_b32_e32 v2, v1
	v_mov_b32_e32 v3, v1
	;; [unrolled: 1-line block ×3, first 2 shown]
	scratch_store_b128 off, v[1:4], off offset:352
	s_waitcnt vmcnt(0)
	ds_store_b128 v38, v[5:8]
.LBB92_143:
	s_or_b32 exec_lo, exec_lo, s2
	s_waitcnt lgkmcnt(0)
	s_waitcnt_vscnt null, 0x0
	s_barrier
	buffer_gl0_inv
	s_clause 0x5
	scratch_load_b128 v[2:5], off, off offset:368
	scratch_load_b128 v[6:9], off, off offset:384
	;; [unrolled: 1-line block ×6, first 2 shown]
	ds_load_b128 v[26:29], v1 offset:832
	ds_load_b128 v[34:37], v1 offset:848
	scratch_load_b128 v[30:33], off, off offset:352
	s_mov_b32 s2, exec_lo
	s_waitcnt vmcnt(6) lgkmcnt(1)
	v_mul_f64 v[39:40], v[28:29], v[4:5]
	v_mul_f64 v[4:5], v[26:27], v[4:5]
	s_waitcnt vmcnt(5) lgkmcnt(0)
	v_mul_f64 v[129:130], v[34:35], v[8:9]
	v_mul_f64 v[8:9], v[36:37], v[8:9]
	s_delay_alu instid0(VALU_DEP_4) | instskip(NEXT) | instid1(VALU_DEP_4)
	v_fma_f64 v[39:40], v[26:27], v[2:3], -v[39:40]
	v_fma_f64 v[131:132], v[28:29], v[2:3], v[4:5]
	ds_load_b128 v[2:5], v1 offset:864
	ds_load_b128 v[26:29], v1 offset:880
	v_fma_f64 v[36:37], v[36:37], v[6:7], v[129:130]
	v_fma_f64 v[6:7], v[34:35], v[6:7], -v[8:9]
	s_waitcnt vmcnt(4) lgkmcnt(1)
	v_mul_f64 v[133:134], v[2:3], v[12:13]
	v_mul_f64 v[12:13], v[4:5], v[12:13]
	v_add_f64 v[8:9], v[39:40], 0
	v_add_f64 v[34:35], v[131:132], 0
	s_waitcnt vmcnt(3) lgkmcnt(0)
	v_mul_f64 v[39:40], v[26:27], v[16:17]
	v_mul_f64 v[16:17], v[28:29], v[16:17]
	v_fma_f64 v[129:130], v[4:5], v[10:11], v[133:134]
	v_fma_f64 v[10:11], v[2:3], v[10:11], -v[12:13]
	v_add_f64 v[12:13], v[8:9], v[6:7]
	v_add_f64 v[34:35], v[34:35], v[36:37]
	ds_load_b128 v[2:5], v1 offset:896
	ds_load_b128 v[6:9], v1 offset:912
	v_fma_f64 v[28:29], v[28:29], v[14:15], v[39:40]
	v_fma_f64 v[14:15], v[26:27], v[14:15], -v[16:17]
	s_waitcnt vmcnt(2) lgkmcnt(1)
	v_mul_f64 v[36:37], v[2:3], v[20:21]
	v_mul_f64 v[20:21], v[4:5], v[20:21]
	s_waitcnt vmcnt(1) lgkmcnt(0)
	v_mul_f64 v[16:17], v[6:7], v[24:25]
	v_mul_f64 v[24:25], v[8:9], v[24:25]
	v_add_f64 v[10:11], v[12:13], v[10:11]
	v_add_f64 v[12:13], v[34:35], v[129:130]
	v_fma_f64 v[4:5], v[4:5], v[18:19], v[36:37]
	v_fma_f64 v[1:2], v[2:3], v[18:19], -v[20:21]
	v_fma_f64 v[8:9], v[8:9], v[22:23], v[16:17]
	v_fma_f64 v[6:7], v[6:7], v[22:23], -v[24:25]
	v_add_f64 v[10:11], v[10:11], v[14:15]
	v_add_f64 v[12:13], v[12:13], v[28:29]
	s_delay_alu instid0(VALU_DEP_2) | instskip(NEXT) | instid1(VALU_DEP_2)
	v_add_f64 v[1:2], v[10:11], v[1:2]
	v_add_f64 v[3:4], v[12:13], v[4:5]
	s_delay_alu instid0(VALU_DEP_2) | instskip(NEXT) | instid1(VALU_DEP_2)
	v_add_f64 v[1:2], v[1:2], v[6:7]
	v_add_f64 v[3:4], v[3:4], v[8:9]
	s_waitcnt vmcnt(0)
	s_delay_alu instid0(VALU_DEP_2) | instskip(NEXT) | instid1(VALU_DEP_2)
	v_add_f64 v[1:2], v[30:31], -v[1:2]
	v_add_f64 v[3:4], v[32:33], -v[3:4]
	scratch_store_b128 off, v[1:4], off offset:352
	v_cmpx_lt_u32_e32 21, v100
	s_cbranch_execz .LBB92_145
; %bb.144:
	scratch_load_b128 v[1:4], v125, off
	v_mov_b32_e32 v5, 0
	s_delay_alu instid0(VALU_DEP_1)
	v_mov_b32_e32 v6, v5
	v_mov_b32_e32 v7, v5
	v_mov_b32_e32 v8, v5
	scratch_store_b128 off, v[5:8], off offset:336
	s_waitcnt vmcnt(0)
	ds_store_b128 v38, v[1:4]
.LBB92_145:
	s_or_b32 exec_lo, exec_lo, s2
	s_waitcnt lgkmcnt(0)
	s_waitcnt_vscnt null, 0x0
	s_barrier
	buffer_gl0_inv
	s_clause 0x6
	scratch_load_b128 v[2:5], off, off offset:352
	scratch_load_b128 v[6:9], off, off offset:368
	;; [unrolled: 1-line block ×7, first 2 shown]
	v_mov_b32_e32 v1, 0
	scratch_load_b128 v[34:37], off, off offset:336
	s_mov_b32 s2, exec_lo
	ds_load_b128 v[30:33], v1 offset:816
	ds_load_b128 v[129:132], v1 offset:832
	s_waitcnt vmcnt(7) lgkmcnt(1)
	v_mul_f64 v[39:40], v[32:33], v[4:5]
	v_mul_f64 v[4:5], v[30:31], v[4:5]
	s_waitcnt vmcnt(6) lgkmcnt(0)
	v_mul_f64 v[133:134], v[129:130], v[8:9]
	v_mul_f64 v[8:9], v[131:132], v[8:9]
	s_delay_alu instid0(VALU_DEP_4) | instskip(NEXT) | instid1(VALU_DEP_4)
	v_fma_f64 v[39:40], v[30:31], v[2:3], -v[39:40]
	v_fma_f64 v[135:136], v[32:33], v[2:3], v[4:5]
	ds_load_b128 v[2:5], v1 offset:848
	ds_load_b128 v[30:33], v1 offset:864
	v_fma_f64 v[131:132], v[131:132], v[6:7], v[133:134]
	v_fma_f64 v[6:7], v[129:130], v[6:7], -v[8:9]
	s_waitcnt vmcnt(5) lgkmcnt(1)
	v_mul_f64 v[137:138], v[2:3], v[12:13]
	v_mul_f64 v[12:13], v[4:5], v[12:13]
	s_waitcnt vmcnt(4) lgkmcnt(0)
	v_mul_f64 v[129:130], v[30:31], v[16:17]
	v_mul_f64 v[16:17], v[32:33], v[16:17]
	v_add_f64 v[8:9], v[39:40], 0
	v_add_f64 v[39:40], v[135:136], 0
	v_fma_f64 v[133:134], v[4:5], v[10:11], v[137:138]
	v_fma_f64 v[10:11], v[2:3], v[10:11], -v[12:13]
	v_fma_f64 v[32:33], v[32:33], v[14:15], v[129:130]
	v_fma_f64 v[14:15], v[30:31], v[14:15], -v[16:17]
	v_add_f64 v[12:13], v[8:9], v[6:7]
	v_add_f64 v[39:40], v[39:40], v[131:132]
	ds_load_b128 v[2:5], v1 offset:880
	ds_load_b128 v[6:9], v1 offset:896
	s_waitcnt vmcnt(3) lgkmcnt(1)
	v_mul_f64 v[131:132], v[2:3], v[20:21]
	v_mul_f64 v[20:21], v[4:5], v[20:21]
	s_waitcnt vmcnt(2) lgkmcnt(0)
	v_mul_f64 v[16:17], v[6:7], v[24:25]
	v_mul_f64 v[24:25], v[8:9], v[24:25]
	v_add_f64 v[10:11], v[12:13], v[10:11]
	v_add_f64 v[12:13], v[39:40], v[133:134]
	v_fma_f64 v[30:31], v[4:5], v[18:19], v[131:132]
	v_fma_f64 v[18:19], v[2:3], v[18:19], -v[20:21]
	ds_load_b128 v[2:5], v1 offset:912
	v_fma_f64 v[8:9], v[8:9], v[22:23], v[16:17]
	v_fma_f64 v[6:7], v[6:7], v[22:23], -v[24:25]
	v_add_f64 v[10:11], v[10:11], v[14:15]
	v_add_f64 v[12:13], v[12:13], v[32:33]
	s_waitcnt vmcnt(1) lgkmcnt(0)
	v_mul_f64 v[14:15], v[2:3], v[28:29]
	v_mul_f64 v[20:21], v[4:5], v[28:29]
	s_delay_alu instid0(VALU_DEP_4) | instskip(NEXT) | instid1(VALU_DEP_4)
	v_add_f64 v[10:11], v[10:11], v[18:19]
	v_add_f64 v[12:13], v[12:13], v[30:31]
	s_delay_alu instid0(VALU_DEP_4) | instskip(NEXT) | instid1(VALU_DEP_4)
	v_fma_f64 v[4:5], v[4:5], v[26:27], v[14:15]
	v_fma_f64 v[2:3], v[2:3], v[26:27], -v[20:21]
	s_delay_alu instid0(VALU_DEP_4) | instskip(NEXT) | instid1(VALU_DEP_4)
	v_add_f64 v[6:7], v[10:11], v[6:7]
	v_add_f64 v[8:9], v[12:13], v[8:9]
	s_delay_alu instid0(VALU_DEP_2) | instskip(NEXT) | instid1(VALU_DEP_2)
	v_add_f64 v[2:3], v[6:7], v[2:3]
	v_add_f64 v[4:5], v[8:9], v[4:5]
	s_waitcnt vmcnt(0)
	s_delay_alu instid0(VALU_DEP_2) | instskip(NEXT) | instid1(VALU_DEP_2)
	v_add_f64 v[2:3], v[34:35], -v[2:3]
	v_add_f64 v[4:5], v[36:37], -v[4:5]
	scratch_store_b128 off, v[2:5], off offset:336
	v_cmpx_lt_u32_e32 20, v100
	s_cbranch_execz .LBB92_147
; %bb.146:
	scratch_load_b128 v[5:8], v126, off
	v_mov_b32_e32 v2, v1
	v_mov_b32_e32 v3, v1
	;; [unrolled: 1-line block ×3, first 2 shown]
	scratch_store_b128 off, v[1:4], off offset:320
	s_waitcnt vmcnt(0)
	ds_store_b128 v38, v[5:8]
.LBB92_147:
	s_or_b32 exec_lo, exec_lo, s2
	s_waitcnt lgkmcnt(0)
	s_waitcnt_vscnt null, 0x0
	s_barrier
	buffer_gl0_inv
	s_clause 0x7
	scratch_load_b128 v[2:5], off, off offset:336
	scratch_load_b128 v[6:9], off, off offset:352
	;; [unrolled: 1-line block ×8, first 2 shown]
	ds_load_b128 v[34:37], v1 offset:800
	ds_load_b128 v[129:132], v1 offset:816
	scratch_load_b128 v[133:136], off, off offset:320
	s_mov_b32 s2, exec_lo
	s_waitcnt vmcnt(8) lgkmcnt(1)
	v_mul_f64 v[39:40], v[36:37], v[4:5]
	v_mul_f64 v[4:5], v[34:35], v[4:5]
	s_waitcnt vmcnt(7) lgkmcnt(0)
	v_mul_f64 v[137:138], v[129:130], v[8:9]
	v_mul_f64 v[8:9], v[131:132], v[8:9]
	s_delay_alu instid0(VALU_DEP_4) | instskip(NEXT) | instid1(VALU_DEP_4)
	v_fma_f64 v[39:40], v[34:35], v[2:3], -v[39:40]
	v_fma_f64 v[139:140], v[36:37], v[2:3], v[4:5]
	ds_load_b128 v[2:5], v1 offset:832
	ds_load_b128 v[34:37], v1 offset:848
	v_fma_f64 v[131:132], v[131:132], v[6:7], v[137:138]
	v_fma_f64 v[6:7], v[129:130], v[6:7], -v[8:9]
	s_waitcnt vmcnt(6) lgkmcnt(1)
	v_mul_f64 v[141:142], v[2:3], v[12:13]
	v_mul_f64 v[12:13], v[4:5], v[12:13]
	s_waitcnt vmcnt(5) lgkmcnt(0)
	v_mul_f64 v[129:130], v[34:35], v[16:17]
	v_mul_f64 v[16:17], v[36:37], v[16:17]
	v_add_f64 v[8:9], v[39:40], 0
	v_add_f64 v[39:40], v[139:140], 0
	v_fma_f64 v[137:138], v[4:5], v[10:11], v[141:142]
	v_fma_f64 v[10:11], v[2:3], v[10:11], -v[12:13]
	v_fma_f64 v[36:37], v[36:37], v[14:15], v[129:130]
	v_fma_f64 v[14:15], v[34:35], v[14:15], -v[16:17]
	v_add_f64 v[12:13], v[8:9], v[6:7]
	v_add_f64 v[39:40], v[39:40], v[131:132]
	ds_load_b128 v[2:5], v1 offset:864
	ds_load_b128 v[6:9], v1 offset:880
	s_waitcnt vmcnt(4) lgkmcnt(1)
	v_mul_f64 v[131:132], v[2:3], v[20:21]
	v_mul_f64 v[20:21], v[4:5], v[20:21]
	s_waitcnt vmcnt(3) lgkmcnt(0)
	v_mul_f64 v[16:17], v[6:7], v[24:25]
	v_mul_f64 v[24:25], v[8:9], v[24:25]
	v_add_f64 v[10:11], v[12:13], v[10:11]
	v_add_f64 v[12:13], v[39:40], v[137:138]
	v_fma_f64 v[34:35], v[4:5], v[18:19], v[131:132]
	v_fma_f64 v[18:19], v[2:3], v[18:19], -v[20:21]
	v_fma_f64 v[8:9], v[8:9], v[22:23], v[16:17]
	v_fma_f64 v[6:7], v[6:7], v[22:23], -v[24:25]
	v_add_f64 v[14:15], v[10:11], v[14:15]
	v_add_f64 v[20:21], v[12:13], v[36:37]
	ds_load_b128 v[2:5], v1 offset:896
	ds_load_b128 v[10:13], v1 offset:912
	s_waitcnt vmcnt(2) lgkmcnt(1)
	v_mul_f64 v[36:37], v[2:3], v[28:29]
	v_mul_f64 v[28:29], v[4:5], v[28:29]
	v_add_f64 v[14:15], v[14:15], v[18:19]
	v_add_f64 v[16:17], v[20:21], v[34:35]
	s_waitcnt vmcnt(1) lgkmcnt(0)
	v_mul_f64 v[18:19], v[10:11], v[32:33]
	v_mul_f64 v[20:21], v[12:13], v[32:33]
	v_fma_f64 v[4:5], v[4:5], v[26:27], v[36:37]
	v_fma_f64 v[1:2], v[2:3], v[26:27], -v[28:29]
	v_add_f64 v[6:7], v[14:15], v[6:7]
	v_add_f64 v[8:9], v[16:17], v[8:9]
	v_fma_f64 v[12:13], v[12:13], v[30:31], v[18:19]
	v_fma_f64 v[10:11], v[10:11], v[30:31], -v[20:21]
	s_delay_alu instid0(VALU_DEP_4) | instskip(NEXT) | instid1(VALU_DEP_4)
	v_add_f64 v[1:2], v[6:7], v[1:2]
	v_add_f64 v[3:4], v[8:9], v[4:5]
	s_delay_alu instid0(VALU_DEP_2) | instskip(NEXT) | instid1(VALU_DEP_2)
	v_add_f64 v[1:2], v[1:2], v[10:11]
	v_add_f64 v[3:4], v[3:4], v[12:13]
	s_waitcnt vmcnt(0)
	s_delay_alu instid0(VALU_DEP_2) | instskip(NEXT) | instid1(VALU_DEP_2)
	v_add_f64 v[1:2], v[133:134], -v[1:2]
	v_add_f64 v[3:4], v[135:136], -v[3:4]
	scratch_store_b128 off, v[1:4], off offset:320
	v_cmpx_lt_u32_e32 19, v100
	s_cbranch_execz .LBB92_149
; %bb.148:
	scratch_load_b128 v[1:4], v127, off
	v_mov_b32_e32 v5, 0
	s_delay_alu instid0(VALU_DEP_1)
	v_mov_b32_e32 v6, v5
	v_mov_b32_e32 v7, v5
	;; [unrolled: 1-line block ×3, first 2 shown]
	scratch_store_b128 off, v[5:8], off offset:304
	s_waitcnt vmcnt(0)
	ds_store_b128 v38, v[1:4]
.LBB92_149:
	s_or_b32 exec_lo, exec_lo, s2
	s_waitcnt lgkmcnt(0)
	s_waitcnt_vscnt null, 0x0
	s_barrier
	buffer_gl0_inv
	s_clause 0x7
	scratch_load_b128 v[2:5], off, off offset:320
	scratch_load_b128 v[6:9], off, off offset:336
	;; [unrolled: 1-line block ×8, first 2 shown]
	v_mov_b32_e32 v1, 0
	scratch_load_b128 v[129:132], off, off offset:448
	s_mov_b32 s2, exec_lo
	ds_load_b128 v[34:37], v1 offset:784
	ds_load_b128 v[133:136], v1 offset:800
	s_waitcnt vmcnt(8) lgkmcnt(1)
	v_mul_f64 v[39:40], v[36:37], v[4:5]
	v_mul_f64 v[4:5], v[34:35], v[4:5]
	s_waitcnt vmcnt(7) lgkmcnt(0)
	v_mul_f64 v[137:138], v[133:134], v[8:9]
	v_mul_f64 v[8:9], v[135:136], v[8:9]
	s_delay_alu instid0(VALU_DEP_4) | instskip(NEXT) | instid1(VALU_DEP_4)
	v_fma_f64 v[34:35], v[34:35], v[2:3], -v[39:40]
	v_fma_f64 v[36:37], v[36:37], v[2:3], v[4:5]
	ds_load_b128 v[2:5], v1 offset:816
	v_fma_f64 v[135:136], v[135:136], v[6:7], v[137:138]
	v_fma_f64 v[133:134], v[133:134], v[6:7], -v[8:9]
	ds_load_b128 v[6:9], v1 offset:832
	s_waitcnt vmcnt(6) lgkmcnt(1)
	v_mul_f64 v[39:40], v[2:3], v[12:13]
	v_mul_f64 v[12:13], v[4:5], v[12:13]
	s_waitcnt vmcnt(5) lgkmcnt(0)
	v_mul_f64 v[141:142], v[6:7], v[16:17]
	v_mul_f64 v[16:17], v[8:9], v[16:17]
	v_add_f64 v[137:138], v[34:35], 0
	v_add_f64 v[139:140], v[36:37], 0
	scratch_load_b128 v[34:37], off, off offset:304
	v_fma_f64 v[39:40], v[4:5], v[10:11], v[39:40]
	v_fma_f64 v[10:11], v[2:3], v[10:11], -v[12:13]
	ds_load_b128 v[2:5], v1 offset:848
	v_add_f64 v[12:13], v[137:138], v[133:134]
	v_add_f64 v[133:134], v[139:140], v[135:136]
	v_fma_f64 v[137:138], v[8:9], v[14:15], v[141:142]
	v_fma_f64 v[14:15], v[6:7], v[14:15], -v[16:17]
	ds_load_b128 v[6:9], v1 offset:864
	s_waitcnt vmcnt(5) lgkmcnt(1)
	v_mul_f64 v[135:136], v[2:3], v[20:21]
	v_mul_f64 v[20:21], v[4:5], v[20:21]
	s_waitcnt vmcnt(4) lgkmcnt(0)
	v_mul_f64 v[16:17], v[6:7], v[24:25]
	v_mul_f64 v[24:25], v[8:9], v[24:25]
	v_add_f64 v[10:11], v[12:13], v[10:11]
	v_add_f64 v[12:13], v[133:134], v[39:40]
	v_fma_f64 v[39:40], v[4:5], v[18:19], v[135:136]
	v_fma_f64 v[18:19], v[2:3], v[18:19], -v[20:21]
	ds_load_b128 v[2:5], v1 offset:880
	v_fma_f64 v[16:17], v[8:9], v[22:23], v[16:17]
	v_fma_f64 v[22:23], v[6:7], v[22:23], -v[24:25]
	ds_load_b128 v[6:9], v1 offset:896
	s_waitcnt vmcnt(3) lgkmcnt(1)
	v_mul_f64 v[20:21], v[4:5], v[28:29]
	v_add_f64 v[10:11], v[10:11], v[14:15]
	v_add_f64 v[12:13], v[12:13], v[137:138]
	v_mul_f64 v[14:15], v[2:3], v[28:29]
	s_waitcnt vmcnt(2) lgkmcnt(0)
	v_mul_f64 v[24:25], v[8:9], v[32:33]
	v_fma_f64 v[20:21], v[2:3], v[26:27], -v[20:21]
	v_add_f64 v[10:11], v[10:11], v[18:19]
	v_add_f64 v[12:13], v[12:13], v[39:40]
	v_mul_f64 v[18:19], v[6:7], v[32:33]
	v_fma_f64 v[14:15], v[4:5], v[26:27], v[14:15]
	ds_load_b128 v[2:5], v1 offset:912
	v_fma_f64 v[6:7], v[6:7], v[30:31], -v[24:25]
	v_add_f64 v[10:11], v[10:11], v[22:23]
	v_add_f64 v[12:13], v[12:13], v[16:17]
	s_waitcnt vmcnt(1) lgkmcnt(0)
	v_mul_f64 v[16:17], v[2:3], v[131:132]
	v_mul_f64 v[22:23], v[4:5], v[131:132]
	v_fma_f64 v[8:9], v[8:9], v[30:31], v[18:19]
	v_add_f64 v[10:11], v[10:11], v[20:21]
	v_add_f64 v[12:13], v[12:13], v[14:15]
	v_fma_f64 v[4:5], v[4:5], v[129:130], v[16:17]
	v_fma_f64 v[2:3], v[2:3], v[129:130], -v[22:23]
	s_delay_alu instid0(VALU_DEP_4) | instskip(NEXT) | instid1(VALU_DEP_4)
	v_add_f64 v[6:7], v[10:11], v[6:7]
	v_add_f64 v[8:9], v[12:13], v[8:9]
	s_delay_alu instid0(VALU_DEP_2) | instskip(NEXT) | instid1(VALU_DEP_2)
	v_add_f64 v[2:3], v[6:7], v[2:3]
	v_add_f64 v[4:5], v[8:9], v[4:5]
	s_waitcnt vmcnt(0)
	s_delay_alu instid0(VALU_DEP_2) | instskip(NEXT) | instid1(VALU_DEP_2)
	v_add_f64 v[2:3], v[34:35], -v[2:3]
	v_add_f64 v[4:5], v[36:37], -v[4:5]
	scratch_store_b128 off, v[2:5], off offset:304
	v_cmpx_lt_u32_e32 18, v100
	s_cbranch_execz .LBB92_151
; %bb.150:
	scratch_load_b128 v[5:8], v128, off
	v_mov_b32_e32 v2, v1
	v_mov_b32_e32 v3, v1
	;; [unrolled: 1-line block ×3, first 2 shown]
	scratch_store_b128 off, v[1:4], off offset:288
	s_waitcnt vmcnt(0)
	ds_store_b128 v38, v[5:8]
.LBB92_151:
	s_or_b32 exec_lo, exec_lo, s2
	s_waitcnt lgkmcnt(0)
	s_waitcnt_vscnt null, 0x0
	s_barrier
	buffer_gl0_inv
	s_clause 0x7
	scratch_load_b128 v[2:5], off, off offset:304
	scratch_load_b128 v[6:9], off, off offset:320
	scratch_load_b128 v[10:13], off, off offset:336
	scratch_load_b128 v[14:17], off, off offset:352
	scratch_load_b128 v[18:21], off, off offset:368
	scratch_load_b128 v[22:25], off, off offset:384
	scratch_load_b128 v[26:29], off, off offset:400
	scratch_load_b128 v[30:33], off, off offset:416
	ds_load_b128 v[34:37], v1 offset:768
	ds_load_b128 v[133:136], v1 offset:784
	s_clause 0x1
	scratch_load_b128 v[129:132], off, off offset:432
	scratch_load_b128 v[137:140], off, off offset:448
	s_mov_b32 s2, exec_lo
	s_waitcnt vmcnt(9) lgkmcnt(1)
	v_mul_f64 v[39:40], v[36:37], v[4:5]
	v_mul_f64 v[4:5], v[34:35], v[4:5]
	s_waitcnt vmcnt(8) lgkmcnt(0)
	v_mul_f64 v[141:142], v[133:134], v[8:9]
	v_mul_f64 v[8:9], v[135:136], v[8:9]
	s_delay_alu instid0(VALU_DEP_4) | instskip(NEXT) | instid1(VALU_DEP_4)
	v_fma_f64 v[34:35], v[34:35], v[2:3], -v[39:40]
	v_fma_f64 v[36:37], v[36:37], v[2:3], v[4:5]
	ds_load_b128 v[2:5], v1 offset:800
	v_fma_f64 v[135:136], v[135:136], v[6:7], v[141:142]
	v_fma_f64 v[133:134], v[133:134], v[6:7], -v[8:9]
	ds_load_b128 v[6:9], v1 offset:816
	s_waitcnt vmcnt(7) lgkmcnt(1)
	v_mul_f64 v[39:40], v[2:3], v[12:13]
	v_mul_f64 v[12:13], v[4:5], v[12:13]
	s_waitcnt vmcnt(6) lgkmcnt(0)
	v_mul_f64 v[141:142], v[6:7], v[16:17]
	v_mul_f64 v[16:17], v[8:9], v[16:17]
	v_add_f64 v[34:35], v[34:35], 0
	v_add_f64 v[36:37], v[36:37], 0
	v_fma_f64 v[39:40], v[4:5], v[10:11], v[39:40]
	v_fma_f64 v[143:144], v[2:3], v[10:11], -v[12:13]
	ds_load_b128 v[2:5], v1 offset:832
	scratch_load_b128 v[10:13], off, off offset:288
	v_add_f64 v[34:35], v[34:35], v[133:134]
	v_add_f64 v[36:37], v[36:37], v[135:136]
	v_fma_f64 v[135:136], v[8:9], v[14:15], v[141:142]
	v_fma_f64 v[14:15], v[6:7], v[14:15], -v[16:17]
	ds_load_b128 v[6:9], v1 offset:848
	s_waitcnt vmcnt(6) lgkmcnt(1)
	v_mul_f64 v[133:134], v[2:3], v[20:21]
	v_mul_f64 v[20:21], v[4:5], v[20:21]
	v_add_f64 v[16:17], v[34:35], v[143:144]
	v_add_f64 v[34:35], v[36:37], v[39:40]
	s_waitcnt vmcnt(5) lgkmcnt(0)
	v_mul_f64 v[36:37], v[6:7], v[24:25]
	v_mul_f64 v[24:25], v[8:9], v[24:25]
	v_fma_f64 v[39:40], v[4:5], v[18:19], v[133:134]
	v_fma_f64 v[18:19], v[2:3], v[18:19], -v[20:21]
	ds_load_b128 v[2:5], v1 offset:864
	v_add_f64 v[14:15], v[16:17], v[14:15]
	v_add_f64 v[16:17], v[34:35], v[135:136]
	v_fma_f64 v[34:35], v[8:9], v[22:23], v[36:37]
	v_fma_f64 v[22:23], v[6:7], v[22:23], -v[24:25]
	ds_load_b128 v[6:9], v1 offset:880
	s_waitcnt vmcnt(4) lgkmcnt(1)
	v_mul_f64 v[20:21], v[2:3], v[28:29]
	v_mul_f64 v[28:29], v[4:5], v[28:29]
	s_waitcnt vmcnt(3) lgkmcnt(0)
	v_mul_f64 v[24:25], v[8:9], v[32:33]
	v_add_f64 v[14:15], v[14:15], v[18:19]
	v_add_f64 v[16:17], v[16:17], v[39:40]
	v_mul_f64 v[18:19], v[6:7], v[32:33]
	v_fma_f64 v[20:21], v[4:5], v[26:27], v[20:21]
	v_fma_f64 v[26:27], v[2:3], v[26:27], -v[28:29]
	ds_load_b128 v[2:5], v1 offset:896
	v_fma_f64 v[24:25], v[6:7], v[30:31], -v[24:25]
	v_add_f64 v[14:15], v[14:15], v[22:23]
	v_add_f64 v[16:17], v[16:17], v[34:35]
	v_fma_f64 v[18:19], v[8:9], v[30:31], v[18:19]
	ds_load_b128 v[6:9], v1 offset:912
	s_waitcnt vmcnt(2) lgkmcnt(1)
	v_mul_f64 v[22:23], v[2:3], v[131:132]
	v_mul_f64 v[28:29], v[4:5], v[131:132]
	v_add_f64 v[14:15], v[14:15], v[26:27]
	v_add_f64 v[16:17], v[16:17], v[20:21]
	s_waitcnt vmcnt(1) lgkmcnt(0)
	v_mul_f64 v[20:21], v[6:7], v[139:140]
	v_mul_f64 v[26:27], v[8:9], v[139:140]
	v_fma_f64 v[4:5], v[4:5], v[129:130], v[22:23]
	v_fma_f64 v[1:2], v[2:3], v[129:130], -v[28:29]
	v_add_f64 v[14:15], v[14:15], v[24:25]
	v_add_f64 v[16:17], v[16:17], v[18:19]
	v_fma_f64 v[8:9], v[8:9], v[137:138], v[20:21]
	v_fma_f64 v[6:7], v[6:7], v[137:138], -v[26:27]
	s_delay_alu instid0(VALU_DEP_4) | instskip(NEXT) | instid1(VALU_DEP_4)
	v_add_f64 v[1:2], v[14:15], v[1:2]
	v_add_f64 v[3:4], v[16:17], v[4:5]
	s_delay_alu instid0(VALU_DEP_2) | instskip(NEXT) | instid1(VALU_DEP_2)
	v_add_f64 v[1:2], v[1:2], v[6:7]
	v_add_f64 v[3:4], v[3:4], v[8:9]
	s_waitcnt vmcnt(0)
	s_delay_alu instid0(VALU_DEP_2) | instskip(NEXT) | instid1(VALU_DEP_2)
	v_add_f64 v[1:2], v[10:11], -v[1:2]
	v_add_f64 v[3:4], v[12:13], -v[3:4]
	scratch_store_b128 off, v[1:4], off offset:288
	v_cmpx_lt_u32_e32 17, v100
	s_cbranch_execz .LBB92_153
; %bb.152:
	scratch_load_b128 v[1:4], v106, off
	v_mov_b32_e32 v5, 0
	s_delay_alu instid0(VALU_DEP_1)
	v_mov_b32_e32 v6, v5
	v_mov_b32_e32 v7, v5
	;; [unrolled: 1-line block ×3, first 2 shown]
	scratch_store_b128 off, v[5:8], off offset:272
	s_waitcnt vmcnt(0)
	ds_store_b128 v38, v[1:4]
.LBB92_153:
	s_or_b32 exec_lo, exec_lo, s2
	s_waitcnt lgkmcnt(0)
	s_waitcnt_vscnt null, 0x0
	s_barrier
	buffer_gl0_inv
	s_clause 0x7
	scratch_load_b128 v[2:5], off, off offset:288
	scratch_load_b128 v[6:9], off, off offset:304
	;; [unrolled: 1-line block ×8, first 2 shown]
	v_mov_b32_e32 v1, 0
	s_clause 0x1
	scratch_load_b128 v[129:132], off, off offset:416
	scratch_load_b128 v[137:140], off, off offset:432
	s_mov_b32 s2, exec_lo
	ds_load_b128 v[34:37], v1 offset:752
	ds_load_b128 v[133:136], v1 offset:768
	s_waitcnt vmcnt(9) lgkmcnt(1)
	v_mul_f64 v[39:40], v[36:37], v[4:5]
	v_mul_f64 v[4:5], v[34:35], v[4:5]
	s_waitcnt vmcnt(8) lgkmcnt(0)
	v_mul_f64 v[141:142], v[133:134], v[8:9]
	v_mul_f64 v[8:9], v[135:136], v[8:9]
	s_delay_alu instid0(VALU_DEP_4) | instskip(NEXT) | instid1(VALU_DEP_4)
	v_fma_f64 v[39:40], v[34:35], v[2:3], -v[39:40]
	v_fma_f64 v[143:144], v[36:37], v[2:3], v[4:5]
	ds_load_b128 v[2:5], v1 offset:784
	scratch_load_b128 v[34:37], off, off offset:448
	v_fma_f64 v[135:136], v[135:136], v[6:7], v[141:142]
	v_fma_f64 v[133:134], v[133:134], v[6:7], -v[8:9]
	ds_load_b128 v[6:9], v1 offset:800
	s_waitcnt vmcnt(8) lgkmcnt(1)
	v_mul_f64 v[145:146], v[2:3], v[12:13]
	v_mul_f64 v[12:13], v[4:5], v[12:13]
	v_add_f64 v[39:40], v[39:40], 0
	v_add_f64 v[141:142], v[143:144], 0
	s_waitcnt vmcnt(7) lgkmcnt(0)
	v_mul_f64 v[143:144], v[6:7], v[16:17]
	v_mul_f64 v[16:17], v[8:9], v[16:17]
	v_fma_f64 v[145:146], v[4:5], v[10:11], v[145:146]
	v_fma_f64 v[10:11], v[2:3], v[10:11], -v[12:13]
	ds_load_b128 v[2:5], v1 offset:816
	v_add_f64 v[12:13], v[39:40], v[133:134]
	v_add_f64 v[39:40], v[141:142], v[135:136]
	v_fma_f64 v[135:136], v[8:9], v[14:15], v[143:144]
	v_fma_f64 v[14:15], v[6:7], v[14:15], -v[16:17]
	ds_load_b128 v[6:9], v1 offset:832
	s_waitcnt vmcnt(6) lgkmcnt(1)
	v_mul_f64 v[133:134], v[2:3], v[20:21]
	v_mul_f64 v[20:21], v[4:5], v[20:21]
	s_waitcnt vmcnt(5) lgkmcnt(0)
	v_mul_f64 v[141:142], v[6:7], v[24:25]
	v_mul_f64 v[24:25], v[8:9], v[24:25]
	v_add_f64 v[16:17], v[12:13], v[10:11]
	v_add_f64 v[39:40], v[39:40], v[145:146]
	scratch_load_b128 v[10:13], off, off offset:272
	v_fma_f64 v[133:134], v[4:5], v[18:19], v[133:134]
	v_fma_f64 v[18:19], v[2:3], v[18:19], -v[20:21]
	ds_load_b128 v[2:5], v1 offset:848
	v_add_f64 v[14:15], v[16:17], v[14:15]
	v_add_f64 v[16:17], v[39:40], v[135:136]
	v_fma_f64 v[39:40], v[8:9], v[22:23], v[141:142]
	v_fma_f64 v[22:23], v[6:7], v[22:23], -v[24:25]
	ds_load_b128 v[6:9], v1 offset:864
	s_waitcnt vmcnt(5) lgkmcnt(1)
	v_mul_f64 v[20:21], v[2:3], v[28:29]
	v_mul_f64 v[28:29], v[4:5], v[28:29]
	s_waitcnt vmcnt(4) lgkmcnt(0)
	v_mul_f64 v[24:25], v[8:9], v[32:33]
	v_add_f64 v[14:15], v[14:15], v[18:19]
	v_add_f64 v[16:17], v[16:17], v[133:134]
	v_mul_f64 v[18:19], v[6:7], v[32:33]
	v_fma_f64 v[20:21], v[4:5], v[26:27], v[20:21]
	v_fma_f64 v[26:27], v[2:3], v[26:27], -v[28:29]
	ds_load_b128 v[2:5], v1 offset:880
	v_fma_f64 v[24:25], v[6:7], v[30:31], -v[24:25]
	v_add_f64 v[14:15], v[14:15], v[22:23]
	v_add_f64 v[16:17], v[16:17], v[39:40]
	v_fma_f64 v[18:19], v[8:9], v[30:31], v[18:19]
	ds_load_b128 v[6:9], v1 offset:896
	s_waitcnt vmcnt(3) lgkmcnt(1)
	v_mul_f64 v[22:23], v[2:3], v[131:132]
	v_mul_f64 v[28:29], v[4:5], v[131:132]
	v_add_f64 v[14:15], v[14:15], v[26:27]
	v_add_f64 v[16:17], v[16:17], v[20:21]
	s_waitcnt vmcnt(2) lgkmcnt(0)
	v_mul_f64 v[20:21], v[6:7], v[139:140]
	v_mul_f64 v[26:27], v[8:9], v[139:140]
	v_fma_f64 v[22:23], v[4:5], v[129:130], v[22:23]
	v_fma_f64 v[28:29], v[2:3], v[129:130], -v[28:29]
	ds_load_b128 v[2:5], v1 offset:912
	v_add_f64 v[14:15], v[14:15], v[24:25]
	v_add_f64 v[16:17], v[16:17], v[18:19]
	v_fma_f64 v[8:9], v[8:9], v[137:138], v[20:21]
	v_fma_f64 v[6:7], v[6:7], v[137:138], -v[26:27]
	s_waitcnt vmcnt(1) lgkmcnt(0)
	v_mul_f64 v[18:19], v[2:3], v[36:37]
	v_mul_f64 v[24:25], v[4:5], v[36:37]
	v_add_f64 v[14:15], v[14:15], v[28:29]
	v_add_f64 v[16:17], v[16:17], v[22:23]
	s_delay_alu instid0(VALU_DEP_4) | instskip(NEXT) | instid1(VALU_DEP_4)
	v_fma_f64 v[4:5], v[4:5], v[34:35], v[18:19]
	v_fma_f64 v[2:3], v[2:3], v[34:35], -v[24:25]
	s_delay_alu instid0(VALU_DEP_4) | instskip(NEXT) | instid1(VALU_DEP_4)
	v_add_f64 v[6:7], v[14:15], v[6:7]
	v_add_f64 v[8:9], v[16:17], v[8:9]
	s_delay_alu instid0(VALU_DEP_2) | instskip(NEXT) | instid1(VALU_DEP_2)
	v_add_f64 v[2:3], v[6:7], v[2:3]
	v_add_f64 v[4:5], v[8:9], v[4:5]
	s_waitcnt vmcnt(0)
	s_delay_alu instid0(VALU_DEP_2) | instskip(NEXT) | instid1(VALU_DEP_2)
	v_add_f64 v[2:3], v[10:11], -v[2:3]
	v_add_f64 v[4:5], v[12:13], -v[4:5]
	scratch_store_b128 off, v[2:5], off offset:272
	v_cmpx_lt_u32_e32 16, v100
	s_cbranch_execz .LBB92_155
; %bb.154:
	scratch_load_b128 v[5:8], v105, off
	v_mov_b32_e32 v2, v1
	v_mov_b32_e32 v3, v1
	;; [unrolled: 1-line block ×3, first 2 shown]
	scratch_store_b128 off, v[1:4], off offset:256
	s_waitcnt vmcnt(0)
	ds_store_b128 v38, v[5:8]
.LBB92_155:
	s_or_b32 exec_lo, exec_lo, s2
	s_waitcnt lgkmcnt(0)
	s_waitcnt_vscnt null, 0x0
	s_barrier
	buffer_gl0_inv
	s_clause 0x8
	scratch_load_b128 v[2:5], off, off offset:272
	scratch_load_b128 v[6:9], off, off offset:288
	;; [unrolled: 1-line block ×9, first 2 shown]
	ds_load_b128 v[129:132], v1 offset:736
	ds_load_b128 v[133:136], v1 offset:752
	s_clause 0x1
	scratch_load_b128 v[137:140], off, off offset:256
	scratch_load_b128 v[141:144], off, off offset:416
	s_mov_b32 s2, exec_lo
	ds_load_b128 v[145:148], v1 offset:784
	s_waitcnt vmcnt(10) lgkmcnt(2)
	v_mul_f64 v[39:40], v[131:132], v[4:5]
	v_mul_f64 v[4:5], v[129:130], v[4:5]
	s_waitcnt vmcnt(9) lgkmcnt(1)
	v_mul_f64 v[149:150], v[133:134], v[8:9]
	v_mul_f64 v[8:9], v[135:136], v[8:9]
	s_delay_alu instid0(VALU_DEP_4) | instskip(NEXT) | instid1(VALU_DEP_4)
	v_fma_f64 v[39:40], v[129:130], v[2:3], -v[39:40]
	v_fma_f64 v[151:152], v[131:132], v[2:3], v[4:5]
	ds_load_b128 v[2:5], v1 offset:768
	scratch_load_b128 v[129:132], off, off offset:432
	v_fma_f64 v[135:136], v[135:136], v[6:7], v[149:150]
	v_fma_f64 v[133:134], v[133:134], v[6:7], -v[8:9]
	scratch_load_b128 v[6:9], off, off offset:448
	s_waitcnt vmcnt(10) lgkmcnt(0)
	v_mul_f64 v[153:154], v[2:3], v[12:13]
	v_mul_f64 v[12:13], v[4:5], v[12:13]
	v_add_f64 v[39:40], v[39:40], 0
	v_add_f64 v[149:150], v[151:152], 0
	s_waitcnt vmcnt(9)
	v_mul_f64 v[151:152], v[145:146], v[16:17]
	v_mul_f64 v[16:17], v[147:148], v[16:17]
	v_fma_f64 v[153:154], v[4:5], v[10:11], v[153:154]
	v_fma_f64 v[155:156], v[2:3], v[10:11], -v[12:13]
	ds_load_b128 v[2:5], v1 offset:800
	ds_load_b128 v[10:13], v1 offset:816
	v_add_f64 v[39:40], v[39:40], v[133:134]
	v_add_f64 v[133:134], v[149:150], v[135:136]
	v_fma_f64 v[147:148], v[147:148], v[14:15], v[151:152]
	v_fma_f64 v[14:15], v[145:146], v[14:15], -v[16:17]
	s_waitcnt vmcnt(8) lgkmcnt(1)
	v_mul_f64 v[135:136], v[2:3], v[20:21]
	v_mul_f64 v[20:21], v[4:5], v[20:21]
	v_add_f64 v[16:17], v[39:40], v[155:156]
	v_add_f64 v[39:40], v[133:134], v[153:154]
	s_waitcnt vmcnt(7) lgkmcnt(0)
	v_mul_f64 v[133:134], v[10:11], v[24:25]
	v_mul_f64 v[24:25], v[12:13], v[24:25]
	v_fma_f64 v[135:136], v[4:5], v[18:19], v[135:136]
	v_fma_f64 v[18:19], v[2:3], v[18:19], -v[20:21]
	v_add_f64 v[20:21], v[16:17], v[14:15]
	v_add_f64 v[39:40], v[39:40], v[147:148]
	ds_load_b128 v[2:5], v1 offset:832
	ds_load_b128 v[14:17], v1 offset:848
	v_fma_f64 v[12:13], v[12:13], v[22:23], v[133:134]
	v_fma_f64 v[10:11], v[10:11], v[22:23], -v[24:25]
	s_waitcnt vmcnt(6) lgkmcnt(1)
	v_mul_f64 v[145:146], v[2:3], v[28:29]
	v_mul_f64 v[28:29], v[4:5], v[28:29]
	s_waitcnt vmcnt(5) lgkmcnt(0)
	v_mul_f64 v[22:23], v[14:15], v[32:33]
	v_mul_f64 v[24:25], v[16:17], v[32:33]
	v_add_f64 v[18:19], v[20:21], v[18:19]
	v_add_f64 v[20:21], v[39:40], v[135:136]
	v_fma_f64 v[32:33], v[4:5], v[26:27], v[145:146]
	v_fma_f64 v[26:27], v[2:3], v[26:27], -v[28:29]
	v_fma_f64 v[16:17], v[16:17], v[30:31], v[22:23]
	v_fma_f64 v[14:15], v[14:15], v[30:31], -v[24:25]
	v_add_f64 v[18:19], v[18:19], v[10:11]
	v_add_f64 v[20:21], v[20:21], v[12:13]
	ds_load_b128 v[2:5], v1 offset:864
	ds_load_b128 v[10:13], v1 offset:880
	s_waitcnt vmcnt(4) lgkmcnt(1)
	v_mul_f64 v[28:29], v[2:3], v[36:37]
	v_mul_f64 v[36:37], v[4:5], v[36:37]
	s_waitcnt vmcnt(2) lgkmcnt(0)
	v_mul_f64 v[22:23], v[10:11], v[143:144]
	v_mul_f64 v[24:25], v[12:13], v[143:144]
	v_add_f64 v[18:19], v[18:19], v[26:27]
	v_add_f64 v[20:21], v[20:21], v[32:33]
	v_fma_f64 v[26:27], v[4:5], v[34:35], v[28:29]
	v_fma_f64 v[28:29], v[2:3], v[34:35], -v[36:37]
	v_fma_f64 v[12:13], v[12:13], v[141:142], v[22:23]
	v_fma_f64 v[10:11], v[10:11], v[141:142], -v[24:25]
	v_add_f64 v[18:19], v[18:19], v[14:15]
	v_add_f64 v[20:21], v[20:21], v[16:17]
	ds_load_b128 v[2:5], v1 offset:896
	ds_load_b128 v[14:17], v1 offset:912
	s_waitcnt vmcnt(1) lgkmcnt(1)
	v_mul_f64 v[30:31], v[2:3], v[131:132]
	v_mul_f64 v[32:33], v[4:5], v[131:132]
	s_waitcnt vmcnt(0) lgkmcnt(0)
	v_mul_f64 v[22:23], v[14:15], v[8:9]
	v_mul_f64 v[8:9], v[16:17], v[8:9]
	v_add_f64 v[18:19], v[18:19], v[28:29]
	v_add_f64 v[20:21], v[20:21], v[26:27]
	v_fma_f64 v[4:5], v[4:5], v[129:130], v[30:31]
	v_fma_f64 v[1:2], v[2:3], v[129:130], -v[32:33]
	v_fma_f64 v[16:17], v[16:17], v[6:7], v[22:23]
	v_fma_f64 v[6:7], v[14:15], v[6:7], -v[8:9]
	v_add_f64 v[10:11], v[18:19], v[10:11]
	v_add_f64 v[12:13], v[20:21], v[12:13]
	s_delay_alu instid0(VALU_DEP_2) | instskip(NEXT) | instid1(VALU_DEP_2)
	v_add_f64 v[1:2], v[10:11], v[1:2]
	v_add_f64 v[3:4], v[12:13], v[4:5]
	s_delay_alu instid0(VALU_DEP_2) | instskip(NEXT) | instid1(VALU_DEP_2)
	;; [unrolled: 3-line block ×3, first 2 shown]
	v_add_f64 v[1:2], v[137:138], -v[1:2]
	v_add_f64 v[3:4], v[139:140], -v[3:4]
	scratch_store_b128 off, v[1:4], off offset:256
	v_cmpx_lt_u32_e32 15, v100
	s_cbranch_execz .LBB92_157
; %bb.156:
	scratch_load_b128 v[1:4], v107, off
	v_mov_b32_e32 v5, 0
	s_delay_alu instid0(VALU_DEP_1)
	v_mov_b32_e32 v6, v5
	v_mov_b32_e32 v7, v5
	v_mov_b32_e32 v8, v5
	scratch_store_b128 off, v[5:8], off offset:240
	s_waitcnt vmcnt(0)
	ds_store_b128 v38, v[1:4]
.LBB92_157:
	s_or_b32 exec_lo, exec_lo, s2
	s_waitcnt lgkmcnt(0)
	s_waitcnt_vscnt null, 0x0
	s_barrier
	buffer_gl0_inv
	s_clause 0x7
	scratch_load_b128 v[2:5], off, off offset:256
	scratch_load_b128 v[6:9], off, off offset:272
	;; [unrolled: 1-line block ×8, first 2 shown]
	v_mov_b32_e32 v1, 0
	s_mov_b32 s2, exec_lo
	ds_load_b128 v[34:37], v1 offset:720
	s_clause 0x1
	scratch_load_b128 v[129:132], off, off offset:384
	scratch_load_b128 v[133:136], off, off offset:240
	ds_load_b128 v[137:140], v1 offset:736
	scratch_load_b128 v[141:144], off, off offset:400
	ds_load_b128 v[145:148], v1 offset:768
	s_waitcnt vmcnt(10) lgkmcnt(2)
	v_mul_f64 v[39:40], v[36:37], v[4:5]
	v_mul_f64 v[4:5], v[34:35], v[4:5]
	s_delay_alu instid0(VALU_DEP_2) | instskip(NEXT) | instid1(VALU_DEP_2)
	v_fma_f64 v[39:40], v[34:35], v[2:3], -v[39:40]
	v_fma_f64 v[151:152], v[36:37], v[2:3], v[4:5]
	ds_load_b128 v[2:5], v1 offset:752
	s_waitcnt vmcnt(9) lgkmcnt(2)
	v_mul_f64 v[149:150], v[137:138], v[8:9]
	v_mul_f64 v[8:9], v[139:140], v[8:9]
	scratch_load_b128 v[34:37], off, off offset:416
	s_waitcnt vmcnt(9) lgkmcnt(0)
	v_mul_f64 v[153:154], v[2:3], v[12:13]
	v_mul_f64 v[12:13], v[4:5], v[12:13]
	v_add_f64 v[39:40], v[39:40], 0
	v_fma_f64 v[139:140], v[139:140], v[6:7], v[149:150]
	v_fma_f64 v[137:138], v[137:138], v[6:7], -v[8:9]
	v_add_f64 v[149:150], v[151:152], 0
	scratch_load_b128 v[6:9], off, off offset:432
	v_fma_f64 v[153:154], v[4:5], v[10:11], v[153:154]
	v_fma_f64 v[155:156], v[2:3], v[10:11], -v[12:13]
	scratch_load_b128 v[10:13], off, off offset:448
	ds_load_b128 v[2:5], v1 offset:784
	s_waitcnt vmcnt(10)
	v_mul_f64 v[151:152], v[145:146], v[16:17]
	v_mul_f64 v[16:17], v[147:148], v[16:17]
	v_add_f64 v[39:40], v[39:40], v[137:138]
	v_add_f64 v[149:150], v[149:150], v[139:140]
	ds_load_b128 v[137:140], v1 offset:800
	s_waitcnt vmcnt(9) lgkmcnt(1)
	v_mul_f64 v[157:158], v[2:3], v[20:21]
	v_mul_f64 v[20:21], v[4:5], v[20:21]
	v_fma_f64 v[147:148], v[147:148], v[14:15], v[151:152]
	v_fma_f64 v[14:15], v[145:146], v[14:15], -v[16:17]
	s_waitcnt vmcnt(8) lgkmcnt(0)
	v_mul_f64 v[145:146], v[137:138], v[24:25]
	v_mul_f64 v[24:25], v[139:140], v[24:25]
	v_add_f64 v[16:17], v[39:40], v[155:156]
	v_add_f64 v[39:40], v[149:150], v[153:154]
	v_fma_f64 v[149:150], v[4:5], v[18:19], v[157:158]
	v_fma_f64 v[18:19], v[2:3], v[18:19], -v[20:21]
	v_fma_f64 v[139:140], v[139:140], v[22:23], v[145:146]
	v_fma_f64 v[22:23], v[137:138], v[22:23], -v[24:25]
	v_add_f64 v[20:21], v[16:17], v[14:15]
	v_add_f64 v[39:40], v[39:40], v[147:148]
	ds_load_b128 v[2:5], v1 offset:816
	ds_load_b128 v[14:17], v1 offset:832
	s_waitcnt vmcnt(7) lgkmcnt(1)
	v_mul_f64 v[147:148], v[2:3], v[28:29]
	v_mul_f64 v[28:29], v[4:5], v[28:29]
	s_waitcnt vmcnt(6) lgkmcnt(0)
	v_mul_f64 v[24:25], v[14:15], v[32:33]
	v_mul_f64 v[32:33], v[16:17], v[32:33]
	v_add_f64 v[18:19], v[20:21], v[18:19]
	v_add_f64 v[20:21], v[39:40], v[149:150]
	v_fma_f64 v[39:40], v[4:5], v[26:27], v[147:148]
	v_fma_f64 v[26:27], v[2:3], v[26:27], -v[28:29]
	v_fma_f64 v[16:17], v[16:17], v[30:31], v[24:25]
	v_fma_f64 v[14:15], v[14:15], v[30:31], -v[32:33]
	v_add_f64 v[22:23], v[18:19], v[22:23]
	v_add_f64 v[28:29], v[20:21], v[139:140]
	ds_load_b128 v[2:5], v1 offset:848
	ds_load_b128 v[18:21], v1 offset:864
	s_waitcnt vmcnt(5) lgkmcnt(1)
	v_mul_f64 v[137:138], v[2:3], v[131:132]
	v_mul_f64 v[131:132], v[4:5], v[131:132]
	v_add_f64 v[22:23], v[22:23], v[26:27]
	v_add_f64 v[24:25], v[28:29], v[39:40]
	s_waitcnt vmcnt(3) lgkmcnt(0)
	v_mul_f64 v[26:27], v[18:19], v[143:144]
	v_mul_f64 v[28:29], v[20:21], v[143:144]
	v_fma_f64 v[30:31], v[4:5], v[129:130], v[137:138]
	v_fma_f64 v[32:33], v[2:3], v[129:130], -v[131:132]
	v_add_f64 v[22:23], v[22:23], v[14:15]
	v_add_f64 v[24:25], v[24:25], v[16:17]
	ds_load_b128 v[2:5], v1 offset:880
	ds_load_b128 v[14:17], v1 offset:896
	v_fma_f64 v[20:21], v[20:21], v[141:142], v[26:27]
	v_fma_f64 v[18:19], v[18:19], v[141:142], -v[28:29]
	s_waitcnt vmcnt(2) lgkmcnt(1)
	v_mul_f64 v[39:40], v[2:3], v[36:37]
	v_mul_f64 v[36:37], v[4:5], v[36:37]
	v_add_f64 v[22:23], v[22:23], v[32:33]
	v_add_f64 v[24:25], v[24:25], v[30:31]
	s_waitcnt vmcnt(1) lgkmcnt(0)
	v_mul_f64 v[26:27], v[14:15], v[8:9]
	v_mul_f64 v[8:9], v[16:17], v[8:9]
	v_fma_f64 v[28:29], v[4:5], v[34:35], v[39:40]
	v_fma_f64 v[30:31], v[2:3], v[34:35], -v[36:37]
	ds_load_b128 v[2:5], v1 offset:912
	v_add_f64 v[18:19], v[22:23], v[18:19]
	v_add_f64 v[20:21], v[24:25], v[20:21]
	s_waitcnt vmcnt(0) lgkmcnt(0)
	v_mul_f64 v[22:23], v[2:3], v[12:13]
	v_mul_f64 v[12:13], v[4:5], v[12:13]
	v_fma_f64 v[16:17], v[16:17], v[6:7], v[26:27]
	v_fma_f64 v[6:7], v[14:15], v[6:7], -v[8:9]
	v_add_f64 v[8:9], v[18:19], v[30:31]
	v_add_f64 v[14:15], v[20:21], v[28:29]
	v_fma_f64 v[4:5], v[4:5], v[10:11], v[22:23]
	v_fma_f64 v[2:3], v[2:3], v[10:11], -v[12:13]
	s_delay_alu instid0(VALU_DEP_4) | instskip(NEXT) | instid1(VALU_DEP_4)
	v_add_f64 v[6:7], v[8:9], v[6:7]
	v_add_f64 v[8:9], v[14:15], v[16:17]
	s_delay_alu instid0(VALU_DEP_2) | instskip(NEXT) | instid1(VALU_DEP_2)
	v_add_f64 v[2:3], v[6:7], v[2:3]
	v_add_f64 v[4:5], v[8:9], v[4:5]
	s_delay_alu instid0(VALU_DEP_2) | instskip(NEXT) | instid1(VALU_DEP_2)
	v_add_f64 v[2:3], v[133:134], -v[2:3]
	v_add_f64 v[4:5], v[135:136], -v[4:5]
	scratch_store_b128 off, v[2:5], off offset:240
	v_cmpx_lt_u32_e32 14, v100
	s_cbranch_execz .LBB92_159
; %bb.158:
	scratch_load_b128 v[5:8], v108, off
	v_mov_b32_e32 v2, v1
	v_mov_b32_e32 v3, v1
	v_mov_b32_e32 v4, v1
	scratch_store_b128 off, v[1:4], off offset:224
	s_waitcnt vmcnt(0)
	ds_store_b128 v38, v[5:8]
.LBB92_159:
	s_or_b32 exec_lo, exec_lo, s2
	s_waitcnt lgkmcnt(0)
	s_waitcnt_vscnt null, 0x0
	s_barrier
	buffer_gl0_inv
	s_clause 0x8
	scratch_load_b128 v[2:5], off, off offset:240
	scratch_load_b128 v[6:9], off, off offset:256
	;; [unrolled: 1-line block ×9, first 2 shown]
	ds_load_b128 v[129:132], v1 offset:704
	ds_load_b128 v[133:136], v1 offset:720
	s_clause 0x1
	scratch_load_b128 v[137:140], off, off offset:224
	scratch_load_b128 v[141:144], off, off offset:384
	s_mov_b32 s2, exec_lo
	ds_load_b128 v[145:148], v1 offset:752
	s_waitcnt vmcnt(10) lgkmcnt(2)
	v_mul_f64 v[39:40], v[131:132], v[4:5]
	v_mul_f64 v[4:5], v[129:130], v[4:5]
	s_waitcnt vmcnt(9) lgkmcnt(1)
	v_mul_f64 v[149:150], v[133:134], v[8:9]
	v_mul_f64 v[8:9], v[135:136], v[8:9]
	s_delay_alu instid0(VALU_DEP_4) | instskip(NEXT) | instid1(VALU_DEP_4)
	v_fma_f64 v[39:40], v[129:130], v[2:3], -v[39:40]
	v_fma_f64 v[151:152], v[131:132], v[2:3], v[4:5]
	ds_load_b128 v[2:5], v1 offset:736
	scratch_load_b128 v[129:132], off, off offset:400
	v_fma_f64 v[135:136], v[135:136], v[6:7], v[149:150]
	v_fma_f64 v[133:134], v[133:134], v[6:7], -v[8:9]
	scratch_load_b128 v[6:9], off, off offset:416
	s_waitcnt vmcnt(10) lgkmcnt(0)
	v_mul_f64 v[153:154], v[2:3], v[12:13]
	v_mul_f64 v[12:13], v[4:5], v[12:13]
	v_add_f64 v[39:40], v[39:40], 0
	v_add_f64 v[149:150], v[151:152], 0
	s_waitcnt vmcnt(9)
	v_mul_f64 v[151:152], v[145:146], v[16:17]
	v_mul_f64 v[16:17], v[147:148], v[16:17]
	v_fma_f64 v[153:154], v[4:5], v[10:11], v[153:154]
	v_fma_f64 v[155:156], v[2:3], v[10:11], -v[12:13]
	ds_load_b128 v[2:5], v1 offset:768
	scratch_load_b128 v[10:13], off, off offset:432
	v_add_f64 v[39:40], v[39:40], v[133:134]
	v_add_f64 v[149:150], v[149:150], v[135:136]
	ds_load_b128 v[133:136], v1 offset:784
	v_fma_f64 v[147:148], v[147:148], v[14:15], v[151:152]
	v_fma_f64 v[145:146], v[145:146], v[14:15], -v[16:17]
	scratch_load_b128 v[14:17], off, off offset:448
	s_waitcnt vmcnt(10) lgkmcnt(1)
	v_mul_f64 v[157:158], v[2:3], v[20:21]
	v_mul_f64 v[20:21], v[4:5], v[20:21]
	s_waitcnt vmcnt(9) lgkmcnt(0)
	v_mul_f64 v[151:152], v[133:134], v[24:25]
	v_mul_f64 v[24:25], v[135:136], v[24:25]
	v_add_f64 v[39:40], v[39:40], v[155:156]
	v_add_f64 v[149:150], v[149:150], v[153:154]
	v_fma_f64 v[153:154], v[4:5], v[18:19], v[157:158]
	v_fma_f64 v[155:156], v[2:3], v[18:19], -v[20:21]
	ds_load_b128 v[2:5], v1 offset:800
	ds_load_b128 v[18:21], v1 offset:816
	v_fma_f64 v[135:136], v[135:136], v[22:23], v[151:152]
	v_fma_f64 v[22:23], v[133:134], v[22:23], -v[24:25]
	s_waitcnt vmcnt(7) lgkmcnt(0)
	v_mul_f64 v[133:134], v[18:19], v[32:33]
	v_mul_f64 v[32:33], v[20:21], v[32:33]
	v_add_f64 v[39:40], v[39:40], v[145:146]
	v_add_f64 v[145:146], v[149:150], v[147:148]
	v_mul_f64 v[147:148], v[2:3], v[28:29]
	v_mul_f64 v[28:29], v[4:5], v[28:29]
	v_fma_f64 v[20:21], v[20:21], v[30:31], v[133:134]
	v_fma_f64 v[18:19], v[18:19], v[30:31], -v[32:33]
	v_add_f64 v[24:25], v[39:40], v[155:156]
	v_add_f64 v[39:40], v[145:146], v[153:154]
	v_fma_f64 v[145:146], v[4:5], v[26:27], v[147:148]
	v_fma_f64 v[26:27], v[2:3], v[26:27], -v[28:29]
	s_delay_alu instid0(VALU_DEP_4) | instskip(NEXT) | instid1(VALU_DEP_4)
	v_add_f64 v[28:29], v[24:25], v[22:23]
	v_add_f64 v[39:40], v[39:40], v[135:136]
	ds_load_b128 v[2:5], v1 offset:832
	ds_load_b128 v[22:25], v1 offset:848
	s_waitcnt vmcnt(6) lgkmcnt(1)
	v_mul_f64 v[135:136], v[2:3], v[36:37]
	v_mul_f64 v[36:37], v[4:5], v[36:37]
	s_waitcnt vmcnt(4) lgkmcnt(0)
	v_mul_f64 v[30:31], v[22:23], v[143:144]
	v_mul_f64 v[32:33], v[24:25], v[143:144]
	v_add_f64 v[26:27], v[28:29], v[26:27]
	v_add_f64 v[28:29], v[39:40], v[145:146]
	v_fma_f64 v[39:40], v[4:5], v[34:35], v[135:136]
	v_fma_f64 v[34:35], v[2:3], v[34:35], -v[36:37]
	v_fma_f64 v[24:25], v[24:25], v[141:142], v[30:31]
	v_fma_f64 v[22:23], v[22:23], v[141:142], -v[32:33]
	v_add_f64 v[26:27], v[26:27], v[18:19]
	v_add_f64 v[28:29], v[28:29], v[20:21]
	ds_load_b128 v[2:5], v1 offset:864
	ds_load_b128 v[18:21], v1 offset:880
	s_waitcnt vmcnt(3) lgkmcnt(1)
	v_mul_f64 v[36:37], v[2:3], v[131:132]
	v_mul_f64 v[131:132], v[4:5], v[131:132]
	s_waitcnt vmcnt(2) lgkmcnt(0)
	v_mul_f64 v[30:31], v[18:19], v[8:9]
	v_mul_f64 v[8:9], v[20:21], v[8:9]
	v_add_f64 v[26:27], v[26:27], v[34:35]
	v_add_f64 v[28:29], v[28:29], v[39:40]
	v_fma_f64 v[32:33], v[4:5], v[129:130], v[36:37]
	v_fma_f64 v[34:35], v[2:3], v[129:130], -v[131:132]
	v_fma_f64 v[20:21], v[20:21], v[6:7], v[30:31]
	v_fma_f64 v[6:7], v[18:19], v[6:7], -v[8:9]
	v_add_f64 v[26:27], v[26:27], v[22:23]
	v_add_f64 v[28:29], v[28:29], v[24:25]
	ds_load_b128 v[2:5], v1 offset:896
	ds_load_b128 v[22:25], v1 offset:912
	s_waitcnt vmcnt(1) lgkmcnt(1)
	v_mul_f64 v[36:37], v[2:3], v[12:13]
	v_mul_f64 v[12:13], v[4:5], v[12:13]
	v_add_f64 v[8:9], v[26:27], v[34:35]
	v_add_f64 v[18:19], v[28:29], v[32:33]
	s_waitcnt vmcnt(0) lgkmcnt(0)
	v_mul_f64 v[26:27], v[22:23], v[16:17]
	v_mul_f64 v[16:17], v[24:25], v[16:17]
	v_fma_f64 v[4:5], v[4:5], v[10:11], v[36:37]
	v_fma_f64 v[1:2], v[2:3], v[10:11], -v[12:13]
	v_add_f64 v[6:7], v[8:9], v[6:7]
	v_add_f64 v[8:9], v[18:19], v[20:21]
	v_fma_f64 v[10:11], v[24:25], v[14:15], v[26:27]
	v_fma_f64 v[12:13], v[22:23], v[14:15], -v[16:17]
	s_delay_alu instid0(VALU_DEP_4) | instskip(NEXT) | instid1(VALU_DEP_4)
	v_add_f64 v[1:2], v[6:7], v[1:2]
	v_add_f64 v[3:4], v[8:9], v[4:5]
	s_delay_alu instid0(VALU_DEP_2) | instskip(NEXT) | instid1(VALU_DEP_2)
	v_add_f64 v[1:2], v[1:2], v[12:13]
	v_add_f64 v[3:4], v[3:4], v[10:11]
	s_delay_alu instid0(VALU_DEP_2) | instskip(NEXT) | instid1(VALU_DEP_2)
	v_add_f64 v[1:2], v[137:138], -v[1:2]
	v_add_f64 v[3:4], v[139:140], -v[3:4]
	scratch_store_b128 off, v[1:4], off offset:224
	v_cmpx_lt_u32_e32 13, v100
	s_cbranch_execz .LBB92_161
; %bb.160:
	scratch_load_b128 v[1:4], v110, off
	v_mov_b32_e32 v5, 0
	s_delay_alu instid0(VALU_DEP_1)
	v_mov_b32_e32 v6, v5
	v_mov_b32_e32 v7, v5
	;; [unrolled: 1-line block ×3, first 2 shown]
	scratch_store_b128 off, v[5:8], off offset:208
	s_waitcnt vmcnt(0)
	ds_store_b128 v38, v[1:4]
.LBB92_161:
	s_or_b32 exec_lo, exec_lo, s2
	s_waitcnt lgkmcnt(0)
	s_waitcnt_vscnt null, 0x0
	s_barrier
	buffer_gl0_inv
	s_clause 0x7
	scratch_load_b128 v[2:5], off, off offset:224
	scratch_load_b128 v[6:9], off, off offset:240
	;; [unrolled: 1-line block ×8, first 2 shown]
	v_mov_b32_e32 v1, 0
	s_mov_b32 s2, exec_lo
	ds_load_b128 v[34:37], v1 offset:688
	s_clause 0x1
	scratch_load_b128 v[129:132], off, off offset:352
	scratch_load_b128 v[133:136], off, off offset:208
	ds_load_b128 v[137:140], v1 offset:704
	scratch_load_b128 v[141:144], off, off offset:368
	ds_load_b128 v[145:148], v1 offset:736
	s_waitcnt vmcnt(10) lgkmcnt(2)
	v_mul_f64 v[39:40], v[36:37], v[4:5]
	v_mul_f64 v[4:5], v[34:35], v[4:5]
	s_delay_alu instid0(VALU_DEP_2) | instskip(NEXT) | instid1(VALU_DEP_2)
	v_fma_f64 v[39:40], v[34:35], v[2:3], -v[39:40]
	v_fma_f64 v[151:152], v[36:37], v[2:3], v[4:5]
	ds_load_b128 v[2:5], v1 offset:720
	s_waitcnt vmcnt(9) lgkmcnt(2)
	v_mul_f64 v[149:150], v[137:138], v[8:9]
	v_mul_f64 v[8:9], v[139:140], v[8:9]
	scratch_load_b128 v[34:37], off, off offset:384
	s_waitcnt vmcnt(9) lgkmcnt(0)
	v_mul_f64 v[153:154], v[2:3], v[12:13]
	v_mul_f64 v[12:13], v[4:5], v[12:13]
	v_add_f64 v[39:40], v[39:40], 0
	v_fma_f64 v[139:140], v[139:140], v[6:7], v[149:150]
	v_fma_f64 v[137:138], v[137:138], v[6:7], -v[8:9]
	v_add_f64 v[149:150], v[151:152], 0
	scratch_load_b128 v[6:9], off, off offset:400
	v_fma_f64 v[153:154], v[4:5], v[10:11], v[153:154]
	v_fma_f64 v[155:156], v[2:3], v[10:11], -v[12:13]
	scratch_load_b128 v[10:13], off, off offset:416
	ds_load_b128 v[2:5], v1 offset:752
	s_waitcnt vmcnt(10)
	v_mul_f64 v[151:152], v[145:146], v[16:17]
	v_mul_f64 v[16:17], v[147:148], v[16:17]
	v_add_f64 v[39:40], v[39:40], v[137:138]
	v_add_f64 v[149:150], v[149:150], v[139:140]
	ds_load_b128 v[137:140], v1 offset:768
	s_waitcnt vmcnt(9) lgkmcnt(1)
	v_mul_f64 v[157:158], v[2:3], v[20:21]
	v_mul_f64 v[20:21], v[4:5], v[20:21]
	v_fma_f64 v[147:148], v[147:148], v[14:15], v[151:152]
	v_fma_f64 v[145:146], v[145:146], v[14:15], -v[16:17]
	scratch_load_b128 v[14:17], off, off offset:432
	v_add_f64 v[39:40], v[39:40], v[155:156]
	v_add_f64 v[149:150], v[149:150], v[153:154]
	v_fma_f64 v[153:154], v[4:5], v[18:19], v[157:158]
	v_fma_f64 v[155:156], v[2:3], v[18:19], -v[20:21]
	scratch_load_b128 v[18:21], off, off offset:448
	ds_load_b128 v[2:5], v1 offset:784
	s_waitcnt vmcnt(10) lgkmcnt(1)
	v_mul_f64 v[151:152], v[137:138], v[24:25]
	v_mul_f64 v[24:25], v[139:140], v[24:25]
	s_waitcnt vmcnt(9) lgkmcnt(0)
	v_mul_f64 v[157:158], v[2:3], v[28:29]
	v_mul_f64 v[28:29], v[4:5], v[28:29]
	v_add_f64 v[39:40], v[39:40], v[145:146]
	v_add_f64 v[149:150], v[149:150], v[147:148]
	ds_load_b128 v[145:148], v1 offset:800
	v_fma_f64 v[139:140], v[139:140], v[22:23], v[151:152]
	v_fma_f64 v[22:23], v[137:138], v[22:23], -v[24:25]
	s_waitcnt vmcnt(8) lgkmcnt(0)
	v_mul_f64 v[137:138], v[145:146], v[32:33]
	v_mul_f64 v[32:33], v[147:148], v[32:33]
	v_add_f64 v[24:25], v[39:40], v[155:156]
	v_add_f64 v[39:40], v[149:150], v[153:154]
	v_fma_f64 v[149:150], v[4:5], v[26:27], v[157:158]
	v_fma_f64 v[26:27], v[2:3], v[26:27], -v[28:29]
	v_fma_f64 v[137:138], v[147:148], v[30:31], v[137:138]
	v_fma_f64 v[30:31], v[145:146], v[30:31], -v[32:33]
	v_add_f64 v[28:29], v[24:25], v[22:23]
	v_add_f64 v[39:40], v[39:40], v[139:140]
	ds_load_b128 v[2:5], v1 offset:816
	ds_load_b128 v[22:25], v1 offset:832
	s_waitcnt vmcnt(7) lgkmcnt(1)
	v_mul_f64 v[139:140], v[2:3], v[131:132]
	v_mul_f64 v[131:132], v[4:5], v[131:132]
	s_waitcnt vmcnt(5) lgkmcnt(0)
	v_mul_f64 v[32:33], v[22:23], v[143:144]
	v_add_f64 v[26:27], v[28:29], v[26:27]
	v_add_f64 v[28:29], v[39:40], v[149:150]
	v_mul_f64 v[39:40], v[24:25], v[143:144]
	v_fma_f64 v[139:140], v[4:5], v[129:130], v[139:140]
	v_fma_f64 v[129:130], v[2:3], v[129:130], -v[131:132]
	v_fma_f64 v[24:25], v[24:25], v[141:142], v[32:33]
	v_add_f64 v[30:31], v[26:27], v[30:31]
	v_add_f64 v[131:132], v[28:29], v[137:138]
	ds_load_b128 v[2:5], v1 offset:848
	ds_load_b128 v[26:29], v1 offset:864
	v_fma_f64 v[22:23], v[22:23], v[141:142], -v[39:40]
	s_waitcnt vmcnt(4) lgkmcnt(1)
	v_mul_f64 v[137:138], v[2:3], v[36:37]
	v_mul_f64 v[36:37], v[4:5], v[36:37]
	v_add_f64 v[30:31], v[30:31], v[129:130]
	v_add_f64 v[32:33], v[131:132], v[139:140]
	s_waitcnt vmcnt(3) lgkmcnt(0)
	v_mul_f64 v[39:40], v[26:27], v[8:9]
	v_mul_f64 v[8:9], v[28:29], v[8:9]
	v_fma_f64 v[129:130], v[4:5], v[34:35], v[137:138]
	v_fma_f64 v[34:35], v[2:3], v[34:35], -v[36:37]
	v_add_f64 v[30:31], v[30:31], v[22:23]
	v_add_f64 v[32:33], v[32:33], v[24:25]
	ds_load_b128 v[2:5], v1 offset:880
	ds_load_b128 v[22:25], v1 offset:896
	v_fma_f64 v[28:29], v[28:29], v[6:7], v[39:40]
	v_fma_f64 v[6:7], v[26:27], v[6:7], -v[8:9]
	s_waitcnt vmcnt(2) lgkmcnt(1)
	v_mul_f64 v[36:37], v[2:3], v[12:13]
	v_mul_f64 v[12:13], v[4:5], v[12:13]
	v_add_f64 v[8:9], v[30:31], v[34:35]
	v_add_f64 v[26:27], v[32:33], v[129:130]
	s_waitcnt vmcnt(1) lgkmcnt(0)
	v_mul_f64 v[30:31], v[22:23], v[16:17]
	v_mul_f64 v[16:17], v[24:25], v[16:17]
	v_fma_f64 v[32:33], v[4:5], v[10:11], v[36:37]
	v_fma_f64 v[10:11], v[2:3], v[10:11], -v[12:13]
	ds_load_b128 v[2:5], v1 offset:912
	v_add_f64 v[6:7], v[8:9], v[6:7]
	v_add_f64 v[8:9], v[26:27], v[28:29]
	v_fma_f64 v[24:25], v[24:25], v[14:15], v[30:31]
	v_fma_f64 v[14:15], v[22:23], v[14:15], -v[16:17]
	s_waitcnt vmcnt(0) lgkmcnt(0)
	v_mul_f64 v[12:13], v[2:3], v[20:21]
	v_mul_f64 v[20:21], v[4:5], v[20:21]
	v_add_f64 v[6:7], v[6:7], v[10:11]
	v_add_f64 v[8:9], v[8:9], v[32:33]
	s_delay_alu instid0(VALU_DEP_4) | instskip(NEXT) | instid1(VALU_DEP_4)
	v_fma_f64 v[4:5], v[4:5], v[18:19], v[12:13]
	v_fma_f64 v[2:3], v[2:3], v[18:19], -v[20:21]
	s_delay_alu instid0(VALU_DEP_4) | instskip(NEXT) | instid1(VALU_DEP_4)
	v_add_f64 v[6:7], v[6:7], v[14:15]
	v_add_f64 v[8:9], v[8:9], v[24:25]
	s_delay_alu instid0(VALU_DEP_2) | instskip(NEXT) | instid1(VALU_DEP_2)
	v_add_f64 v[2:3], v[6:7], v[2:3]
	v_add_f64 v[4:5], v[8:9], v[4:5]
	s_delay_alu instid0(VALU_DEP_2) | instskip(NEXT) | instid1(VALU_DEP_2)
	v_add_f64 v[2:3], v[133:134], -v[2:3]
	v_add_f64 v[4:5], v[135:136], -v[4:5]
	scratch_store_b128 off, v[2:5], off offset:208
	v_cmpx_lt_u32_e32 12, v100
	s_cbranch_execz .LBB92_163
; %bb.162:
	scratch_load_b128 v[5:8], v109, off
	v_mov_b32_e32 v2, v1
	v_mov_b32_e32 v3, v1
	;; [unrolled: 1-line block ×3, first 2 shown]
	scratch_store_b128 off, v[1:4], off offset:192
	s_waitcnt vmcnt(0)
	ds_store_b128 v38, v[5:8]
.LBB92_163:
	s_or_b32 exec_lo, exec_lo, s2
	s_waitcnt lgkmcnt(0)
	s_waitcnt_vscnt null, 0x0
	s_barrier
	buffer_gl0_inv
	s_clause 0x8
	scratch_load_b128 v[2:5], off, off offset:208
	scratch_load_b128 v[6:9], off, off offset:224
	;; [unrolled: 1-line block ×9, first 2 shown]
	ds_load_b128 v[129:132], v1 offset:672
	ds_load_b128 v[133:136], v1 offset:688
	s_clause 0x1
	scratch_load_b128 v[137:140], off, off offset:192
	scratch_load_b128 v[141:144], off, off offset:352
	s_mov_b32 s2, exec_lo
	ds_load_b128 v[145:148], v1 offset:720
	s_waitcnt vmcnt(10) lgkmcnt(2)
	v_mul_f64 v[39:40], v[131:132], v[4:5]
	v_mul_f64 v[4:5], v[129:130], v[4:5]
	s_waitcnt vmcnt(9) lgkmcnt(1)
	v_mul_f64 v[149:150], v[133:134], v[8:9]
	v_mul_f64 v[8:9], v[135:136], v[8:9]
	s_delay_alu instid0(VALU_DEP_4) | instskip(NEXT) | instid1(VALU_DEP_4)
	v_fma_f64 v[39:40], v[129:130], v[2:3], -v[39:40]
	v_fma_f64 v[151:152], v[131:132], v[2:3], v[4:5]
	ds_load_b128 v[2:5], v1 offset:704
	scratch_load_b128 v[129:132], off, off offset:368
	v_fma_f64 v[135:136], v[135:136], v[6:7], v[149:150]
	v_fma_f64 v[133:134], v[133:134], v[6:7], -v[8:9]
	scratch_load_b128 v[6:9], off, off offset:384
	s_waitcnt vmcnt(10) lgkmcnt(0)
	v_mul_f64 v[153:154], v[2:3], v[12:13]
	v_mul_f64 v[12:13], v[4:5], v[12:13]
	v_add_f64 v[39:40], v[39:40], 0
	v_add_f64 v[149:150], v[151:152], 0
	s_waitcnt vmcnt(9)
	v_mul_f64 v[151:152], v[145:146], v[16:17]
	v_mul_f64 v[16:17], v[147:148], v[16:17]
	v_fma_f64 v[153:154], v[4:5], v[10:11], v[153:154]
	v_fma_f64 v[155:156], v[2:3], v[10:11], -v[12:13]
	ds_load_b128 v[2:5], v1 offset:736
	scratch_load_b128 v[10:13], off, off offset:400
	v_add_f64 v[39:40], v[39:40], v[133:134]
	v_add_f64 v[149:150], v[149:150], v[135:136]
	ds_load_b128 v[133:136], v1 offset:752
	v_fma_f64 v[147:148], v[147:148], v[14:15], v[151:152]
	v_fma_f64 v[145:146], v[145:146], v[14:15], -v[16:17]
	scratch_load_b128 v[14:17], off, off offset:416
	s_waitcnt vmcnt(10) lgkmcnt(1)
	v_mul_f64 v[157:158], v[2:3], v[20:21]
	v_mul_f64 v[20:21], v[4:5], v[20:21]
	s_waitcnt vmcnt(9) lgkmcnt(0)
	v_mul_f64 v[151:152], v[133:134], v[24:25]
	v_mul_f64 v[24:25], v[135:136], v[24:25]
	v_add_f64 v[39:40], v[39:40], v[155:156]
	v_add_f64 v[149:150], v[149:150], v[153:154]
	v_fma_f64 v[153:154], v[4:5], v[18:19], v[157:158]
	v_fma_f64 v[155:156], v[2:3], v[18:19], -v[20:21]
	ds_load_b128 v[2:5], v1 offset:768
	scratch_load_b128 v[18:21], off, off offset:432
	v_fma_f64 v[135:136], v[135:136], v[22:23], v[151:152]
	v_fma_f64 v[133:134], v[133:134], v[22:23], -v[24:25]
	scratch_load_b128 v[22:25], off, off offset:448
	v_add_f64 v[39:40], v[39:40], v[145:146]
	v_add_f64 v[149:150], v[149:150], v[147:148]
	ds_load_b128 v[145:148], v1 offset:784
	s_waitcnt vmcnt(10) lgkmcnt(1)
	v_mul_f64 v[157:158], v[2:3], v[28:29]
	v_mul_f64 v[28:29], v[4:5], v[28:29]
	s_waitcnt vmcnt(9) lgkmcnt(0)
	v_mul_f64 v[151:152], v[145:146], v[32:33]
	v_mul_f64 v[32:33], v[147:148], v[32:33]
	v_add_f64 v[39:40], v[39:40], v[155:156]
	v_add_f64 v[149:150], v[149:150], v[153:154]
	v_fma_f64 v[153:154], v[4:5], v[26:27], v[157:158]
	v_fma_f64 v[155:156], v[2:3], v[26:27], -v[28:29]
	ds_load_b128 v[2:5], v1 offset:800
	ds_load_b128 v[26:29], v1 offset:816
	v_fma_f64 v[147:148], v[147:148], v[30:31], v[151:152]
	v_fma_f64 v[30:31], v[145:146], v[30:31], -v[32:33]
	v_add_f64 v[39:40], v[39:40], v[133:134]
	v_add_f64 v[133:134], v[149:150], v[135:136]
	s_waitcnt vmcnt(8) lgkmcnt(1)
	v_mul_f64 v[135:136], v[2:3], v[36:37]
	v_mul_f64 v[36:37], v[4:5], v[36:37]
	s_delay_alu instid0(VALU_DEP_4) | instskip(NEXT) | instid1(VALU_DEP_4)
	v_add_f64 v[32:33], v[39:40], v[155:156]
	v_add_f64 v[39:40], v[133:134], v[153:154]
	s_waitcnt vmcnt(6) lgkmcnt(0)
	v_mul_f64 v[133:134], v[26:27], v[143:144]
	v_mul_f64 v[143:144], v[28:29], v[143:144]
	v_fma_f64 v[135:136], v[4:5], v[34:35], v[135:136]
	v_fma_f64 v[34:35], v[2:3], v[34:35], -v[36:37]
	v_add_f64 v[36:37], v[32:33], v[30:31]
	v_add_f64 v[39:40], v[39:40], v[147:148]
	ds_load_b128 v[2:5], v1 offset:832
	ds_load_b128 v[30:33], v1 offset:848
	v_fma_f64 v[28:29], v[28:29], v[141:142], v[133:134]
	v_fma_f64 v[26:27], v[26:27], v[141:142], -v[143:144]
	s_waitcnt vmcnt(5) lgkmcnt(1)
	v_mul_f64 v[145:146], v[2:3], v[131:132]
	v_mul_f64 v[131:132], v[4:5], v[131:132]
	v_add_f64 v[34:35], v[36:37], v[34:35]
	v_add_f64 v[36:37], v[39:40], v[135:136]
	s_waitcnt vmcnt(4) lgkmcnt(0)
	v_mul_f64 v[39:40], v[30:31], v[8:9]
	v_mul_f64 v[8:9], v[32:33], v[8:9]
	v_fma_f64 v[133:134], v[4:5], v[129:130], v[145:146]
	v_fma_f64 v[129:130], v[2:3], v[129:130], -v[131:132]
	v_add_f64 v[34:35], v[34:35], v[26:27]
	v_add_f64 v[36:37], v[36:37], v[28:29]
	ds_load_b128 v[2:5], v1 offset:864
	ds_load_b128 v[26:29], v1 offset:880
	v_fma_f64 v[32:33], v[32:33], v[6:7], v[39:40]
	v_fma_f64 v[6:7], v[30:31], v[6:7], -v[8:9]
	s_waitcnt vmcnt(3) lgkmcnt(1)
	v_mul_f64 v[131:132], v[2:3], v[12:13]
	v_mul_f64 v[12:13], v[4:5], v[12:13]
	;; [unrolled: 16-line block ×3, first 2 shown]
	s_waitcnt vmcnt(0) lgkmcnt(0)
	v_mul_f64 v[16:17], v[6:7], v[24:25]
	v_mul_f64 v[24:25], v[8:9], v[24:25]
	v_add_f64 v[10:11], v[12:13], v[10:11]
	v_add_f64 v[12:13], v[30:31], v[36:37]
	v_fma_f64 v[4:5], v[4:5], v[18:19], v[32:33]
	v_fma_f64 v[1:2], v[2:3], v[18:19], -v[20:21]
	v_fma_f64 v[8:9], v[8:9], v[22:23], v[16:17]
	v_fma_f64 v[6:7], v[6:7], v[22:23], -v[24:25]
	v_add_f64 v[10:11], v[10:11], v[14:15]
	v_add_f64 v[12:13], v[12:13], v[28:29]
	s_delay_alu instid0(VALU_DEP_2) | instskip(NEXT) | instid1(VALU_DEP_2)
	v_add_f64 v[1:2], v[10:11], v[1:2]
	v_add_f64 v[3:4], v[12:13], v[4:5]
	s_delay_alu instid0(VALU_DEP_2) | instskip(NEXT) | instid1(VALU_DEP_2)
	;; [unrolled: 3-line block ×3, first 2 shown]
	v_add_f64 v[1:2], v[137:138], -v[1:2]
	v_add_f64 v[3:4], v[139:140], -v[3:4]
	scratch_store_b128 off, v[1:4], off offset:192
	v_cmpx_lt_u32_e32 11, v100
	s_cbranch_execz .LBB92_165
; %bb.164:
	scratch_load_b128 v[1:4], v111, off
	v_mov_b32_e32 v5, 0
	s_delay_alu instid0(VALU_DEP_1)
	v_mov_b32_e32 v6, v5
	v_mov_b32_e32 v7, v5
	;; [unrolled: 1-line block ×3, first 2 shown]
	scratch_store_b128 off, v[5:8], off offset:176
	s_waitcnt vmcnt(0)
	ds_store_b128 v38, v[1:4]
.LBB92_165:
	s_or_b32 exec_lo, exec_lo, s2
	s_waitcnt lgkmcnt(0)
	s_waitcnt_vscnt null, 0x0
	s_barrier
	buffer_gl0_inv
	s_clause 0x7
	scratch_load_b128 v[2:5], off, off offset:192
	scratch_load_b128 v[6:9], off, off offset:208
	;; [unrolled: 1-line block ×8, first 2 shown]
	v_mov_b32_e32 v1, 0
	s_mov_b32 s2, exec_lo
	ds_load_b128 v[34:37], v1 offset:656
	s_clause 0x1
	scratch_load_b128 v[129:132], off, off offset:320
	scratch_load_b128 v[133:136], off, off offset:176
	ds_load_b128 v[137:140], v1 offset:672
	scratch_load_b128 v[141:144], off, off offset:336
	ds_load_b128 v[145:148], v1 offset:704
	s_waitcnt vmcnt(10) lgkmcnt(2)
	v_mul_f64 v[39:40], v[36:37], v[4:5]
	v_mul_f64 v[4:5], v[34:35], v[4:5]
	s_delay_alu instid0(VALU_DEP_2) | instskip(NEXT) | instid1(VALU_DEP_2)
	v_fma_f64 v[39:40], v[34:35], v[2:3], -v[39:40]
	v_fma_f64 v[151:152], v[36:37], v[2:3], v[4:5]
	ds_load_b128 v[2:5], v1 offset:688
	s_waitcnt vmcnt(9) lgkmcnt(2)
	v_mul_f64 v[149:150], v[137:138], v[8:9]
	v_mul_f64 v[8:9], v[139:140], v[8:9]
	scratch_load_b128 v[34:37], off, off offset:352
	s_waitcnt vmcnt(9) lgkmcnt(0)
	v_mul_f64 v[153:154], v[2:3], v[12:13]
	v_mul_f64 v[12:13], v[4:5], v[12:13]
	v_add_f64 v[39:40], v[39:40], 0
	v_fma_f64 v[139:140], v[139:140], v[6:7], v[149:150]
	v_fma_f64 v[137:138], v[137:138], v[6:7], -v[8:9]
	v_add_f64 v[149:150], v[151:152], 0
	scratch_load_b128 v[6:9], off, off offset:368
	v_fma_f64 v[153:154], v[4:5], v[10:11], v[153:154]
	v_fma_f64 v[155:156], v[2:3], v[10:11], -v[12:13]
	scratch_load_b128 v[10:13], off, off offset:384
	ds_load_b128 v[2:5], v1 offset:720
	s_waitcnt vmcnt(10)
	v_mul_f64 v[151:152], v[145:146], v[16:17]
	v_mul_f64 v[16:17], v[147:148], v[16:17]
	v_add_f64 v[39:40], v[39:40], v[137:138]
	v_add_f64 v[149:150], v[149:150], v[139:140]
	ds_load_b128 v[137:140], v1 offset:736
	s_waitcnt vmcnt(9) lgkmcnt(1)
	v_mul_f64 v[157:158], v[2:3], v[20:21]
	v_mul_f64 v[20:21], v[4:5], v[20:21]
	v_fma_f64 v[147:148], v[147:148], v[14:15], v[151:152]
	v_fma_f64 v[145:146], v[145:146], v[14:15], -v[16:17]
	scratch_load_b128 v[14:17], off, off offset:400
	v_add_f64 v[39:40], v[39:40], v[155:156]
	v_add_f64 v[149:150], v[149:150], v[153:154]
	v_fma_f64 v[153:154], v[4:5], v[18:19], v[157:158]
	v_fma_f64 v[155:156], v[2:3], v[18:19], -v[20:21]
	scratch_load_b128 v[18:21], off, off offset:416
	ds_load_b128 v[2:5], v1 offset:752
	s_waitcnt vmcnt(10) lgkmcnt(1)
	v_mul_f64 v[151:152], v[137:138], v[24:25]
	v_mul_f64 v[24:25], v[139:140], v[24:25]
	s_waitcnt vmcnt(9) lgkmcnt(0)
	v_mul_f64 v[157:158], v[2:3], v[28:29]
	v_mul_f64 v[28:29], v[4:5], v[28:29]
	v_add_f64 v[39:40], v[39:40], v[145:146]
	v_add_f64 v[149:150], v[149:150], v[147:148]
	ds_load_b128 v[145:148], v1 offset:768
	v_fma_f64 v[139:140], v[139:140], v[22:23], v[151:152]
	v_fma_f64 v[137:138], v[137:138], v[22:23], -v[24:25]
	scratch_load_b128 v[22:25], off, off offset:432
	v_add_f64 v[39:40], v[39:40], v[155:156]
	v_add_f64 v[149:150], v[149:150], v[153:154]
	v_fma_f64 v[153:154], v[4:5], v[26:27], v[157:158]
	v_fma_f64 v[155:156], v[2:3], v[26:27], -v[28:29]
	scratch_load_b128 v[26:29], off, off offset:448
	ds_load_b128 v[2:5], v1 offset:784
	s_waitcnt vmcnt(10) lgkmcnt(1)
	v_mul_f64 v[151:152], v[145:146], v[32:33]
	v_mul_f64 v[32:33], v[147:148], v[32:33]
	s_waitcnt vmcnt(9) lgkmcnt(0)
	v_mul_f64 v[157:158], v[2:3], v[131:132]
	v_mul_f64 v[131:132], v[4:5], v[131:132]
	v_add_f64 v[39:40], v[39:40], v[137:138]
	v_add_f64 v[149:150], v[149:150], v[139:140]
	ds_load_b128 v[137:140], v1 offset:800
	v_fma_f64 v[147:148], v[147:148], v[30:31], v[151:152]
	v_fma_f64 v[30:31], v[145:146], v[30:31], -v[32:33]
	s_waitcnt vmcnt(7) lgkmcnt(0)
	v_mul_f64 v[145:146], v[137:138], v[143:144]
	v_mul_f64 v[143:144], v[139:140], v[143:144]
	v_add_f64 v[32:33], v[39:40], v[155:156]
	v_add_f64 v[39:40], v[149:150], v[153:154]
	v_fma_f64 v[149:150], v[4:5], v[129:130], v[157:158]
	v_fma_f64 v[129:130], v[2:3], v[129:130], -v[131:132]
	v_fma_f64 v[139:140], v[139:140], v[141:142], v[145:146]
	v_fma_f64 v[137:138], v[137:138], v[141:142], -v[143:144]
	v_add_f64 v[131:132], v[32:33], v[30:31]
	v_add_f64 v[39:40], v[39:40], v[147:148]
	ds_load_b128 v[2:5], v1 offset:816
	ds_load_b128 v[30:33], v1 offset:832
	s_waitcnt vmcnt(6) lgkmcnt(1)
	v_mul_f64 v[147:148], v[2:3], v[36:37]
	v_mul_f64 v[36:37], v[4:5], v[36:37]
	v_add_f64 v[129:130], v[131:132], v[129:130]
	v_add_f64 v[39:40], v[39:40], v[149:150]
	s_waitcnt vmcnt(5) lgkmcnt(0)
	v_mul_f64 v[131:132], v[30:31], v[8:9]
	v_mul_f64 v[8:9], v[32:33], v[8:9]
	v_fma_f64 v[141:142], v[4:5], v[34:35], v[147:148]
	v_fma_f64 v[143:144], v[2:3], v[34:35], -v[36:37]
	ds_load_b128 v[2:5], v1 offset:848
	ds_load_b128 v[34:37], v1 offset:864
	v_add_f64 v[129:130], v[129:130], v[137:138]
	v_add_f64 v[39:40], v[39:40], v[139:140]
	s_waitcnt vmcnt(4) lgkmcnt(1)
	v_mul_f64 v[137:138], v[2:3], v[12:13]
	v_mul_f64 v[12:13], v[4:5], v[12:13]
	v_fma_f64 v[32:33], v[32:33], v[6:7], v[131:132]
	v_fma_f64 v[6:7], v[30:31], v[6:7], -v[8:9]
	v_add_f64 v[8:9], v[129:130], v[143:144]
	v_add_f64 v[30:31], v[39:40], v[141:142]
	s_waitcnt vmcnt(3) lgkmcnt(0)
	v_mul_f64 v[39:40], v[34:35], v[16:17]
	v_mul_f64 v[16:17], v[36:37], v[16:17]
	v_fma_f64 v[129:130], v[4:5], v[10:11], v[137:138]
	v_fma_f64 v[10:11], v[2:3], v[10:11], -v[12:13]
	v_add_f64 v[12:13], v[8:9], v[6:7]
	v_add_f64 v[30:31], v[30:31], v[32:33]
	ds_load_b128 v[2:5], v1 offset:880
	ds_load_b128 v[6:9], v1 offset:896
	v_fma_f64 v[36:37], v[36:37], v[14:15], v[39:40]
	v_fma_f64 v[14:15], v[34:35], v[14:15], -v[16:17]
	s_waitcnt vmcnt(2) lgkmcnt(1)
	v_mul_f64 v[32:33], v[2:3], v[20:21]
	v_mul_f64 v[20:21], v[4:5], v[20:21]
	s_waitcnt vmcnt(1) lgkmcnt(0)
	v_mul_f64 v[16:17], v[6:7], v[24:25]
	v_mul_f64 v[24:25], v[8:9], v[24:25]
	v_add_f64 v[10:11], v[12:13], v[10:11]
	v_add_f64 v[12:13], v[30:31], v[129:130]
	v_fma_f64 v[30:31], v[4:5], v[18:19], v[32:33]
	v_fma_f64 v[18:19], v[2:3], v[18:19], -v[20:21]
	ds_load_b128 v[2:5], v1 offset:912
	v_fma_f64 v[8:9], v[8:9], v[22:23], v[16:17]
	v_fma_f64 v[6:7], v[6:7], v[22:23], -v[24:25]
	v_add_f64 v[10:11], v[10:11], v[14:15]
	v_add_f64 v[12:13], v[12:13], v[36:37]
	s_waitcnt vmcnt(0) lgkmcnt(0)
	v_mul_f64 v[14:15], v[2:3], v[28:29]
	v_mul_f64 v[20:21], v[4:5], v[28:29]
	s_delay_alu instid0(VALU_DEP_4) | instskip(NEXT) | instid1(VALU_DEP_4)
	v_add_f64 v[10:11], v[10:11], v[18:19]
	v_add_f64 v[12:13], v[12:13], v[30:31]
	s_delay_alu instid0(VALU_DEP_4) | instskip(NEXT) | instid1(VALU_DEP_4)
	v_fma_f64 v[4:5], v[4:5], v[26:27], v[14:15]
	v_fma_f64 v[2:3], v[2:3], v[26:27], -v[20:21]
	s_delay_alu instid0(VALU_DEP_4) | instskip(NEXT) | instid1(VALU_DEP_4)
	v_add_f64 v[6:7], v[10:11], v[6:7]
	v_add_f64 v[8:9], v[12:13], v[8:9]
	s_delay_alu instid0(VALU_DEP_2) | instskip(NEXT) | instid1(VALU_DEP_2)
	v_add_f64 v[2:3], v[6:7], v[2:3]
	v_add_f64 v[4:5], v[8:9], v[4:5]
	s_delay_alu instid0(VALU_DEP_2) | instskip(NEXT) | instid1(VALU_DEP_2)
	v_add_f64 v[2:3], v[133:134], -v[2:3]
	v_add_f64 v[4:5], v[135:136], -v[4:5]
	scratch_store_b128 off, v[2:5], off offset:176
	v_cmpx_lt_u32_e32 10, v100
	s_cbranch_execz .LBB92_167
; %bb.166:
	scratch_load_b128 v[5:8], v112, off
	v_mov_b32_e32 v2, v1
	v_mov_b32_e32 v3, v1
	;; [unrolled: 1-line block ×3, first 2 shown]
	scratch_store_b128 off, v[1:4], off offset:160
	s_waitcnt vmcnt(0)
	ds_store_b128 v38, v[5:8]
.LBB92_167:
	s_or_b32 exec_lo, exec_lo, s2
	s_waitcnt lgkmcnt(0)
	s_waitcnt_vscnt null, 0x0
	s_barrier
	buffer_gl0_inv
	s_clause 0x8
	scratch_load_b128 v[2:5], off, off offset:176
	scratch_load_b128 v[6:9], off, off offset:192
	;; [unrolled: 1-line block ×9, first 2 shown]
	ds_load_b128 v[129:132], v1 offset:640
	ds_load_b128 v[133:136], v1 offset:656
	s_clause 0x1
	scratch_load_b128 v[137:140], off, off offset:160
	scratch_load_b128 v[141:144], off, off offset:320
	s_mov_b32 s2, exec_lo
	ds_load_b128 v[145:148], v1 offset:688
	s_waitcnt vmcnt(10) lgkmcnt(2)
	v_mul_f64 v[39:40], v[131:132], v[4:5]
	v_mul_f64 v[4:5], v[129:130], v[4:5]
	s_waitcnt vmcnt(9) lgkmcnt(1)
	v_mul_f64 v[149:150], v[133:134], v[8:9]
	v_mul_f64 v[8:9], v[135:136], v[8:9]
	s_delay_alu instid0(VALU_DEP_4) | instskip(NEXT) | instid1(VALU_DEP_4)
	v_fma_f64 v[39:40], v[129:130], v[2:3], -v[39:40]
	v_fma_f64 v[151:152], v[131:132], v[2:3], v[4:5]
	ds_load_b128 v[2:5], v1 offset:672
	scratch_load_b128 v[129:132], off, off offset:336
	v_fma_f64 v[135:136], v[135:136], v[6:7], v[149:150]
	v_fma_f64 v[133:134], v[133:134], v[6:7], -v[8:9]
	scratch_load_b128 v[6:9], off, off offset:352
	s_waitcnt vmcnt(10) lgkmcnt(0)
	v_mul_f64 v[153:154], v[2:3], v[12:13]
	v_mul_f64 v[12:13], v[4:5], v[12:13]
	v_add_f64 v[39:40], v[39:40], 0
	v_add_f64 v[149:150], v[151:152], 0
	s_waitcnt vmcnt(9)
	v_mul_f64 v[151:152], v[145:146], v[16:17]
	v_mul_f64 v[16:17], v[147:148], v[16:17]
	v_fma_f64 v[153:154], v[4:5], v[10:11], v[153:154]
	v_fma_f64 v[155:156], v[2:3], v[10:11], -v[12:13]
	ds_load_b128 v[2:5], v1 offset:704
	scratch_load_b128 v[10:13], off, off offset:368
	v_add_f64 v[39:40], v[39:40], v[133:134]
	v_add_f64 v[149:150], v[149:150], v[135:136]
	ds_load_b128 v[133:136], v1 offset:720
	v_fma_f64 v[147:148], v[147:148], v[14:15], v[151:152]
	v_fma_f64 v[145:146], v[145:146], v[14:15], -v[16:17]
	scratch_load_b128 v[14:17], off, off offset:384
	s_waitcnt vmcnt(10) lgkmcnt(1)
	v_mul_f64 v[157:158], v[2:3], v[20:21]
	v_mul_f64 v[20:21], v[4:5], v[20:21]
	s_waitcnt vmcnt(9) lgkmcnt(0)
	v_mul_f64 v[151:152], v[133:134], v[24:25]
	v_mul_f64 v[24:25], v[135:136], v[24:25]
	v_add_f64 v[39:40], v[39:40], v[155:156]
	v_add_f64 v[149:150], v[149:150], v[153:154]
	v_fma_f64 v[153:154], v[4:5], v[18:19], v[157:158]
	v_fma_f64 v[155:156], v[2:3], v[18:19], -v[20:21]
	ds_load_b128 v[2:5], v1 offset:736
	scratch_load_b128 v[18:21], off, off offset:400
	v_fma_f64 v[135:136], v[135:136], v[22:23], v[151:152]
	v_fma_f64 v[133:134], v[133:134], v[22:23], -v[24:25]
	scratch_load_b128 v[22:25], off, off offset:416
	v_add_f64 v[39:40], v[39:40], v[145:146]
	v_add_f64 v[149:150], v[149:150], v[147:148]
	ds_load_b128 v[145:148], v1 offset:752
	s_waitcnt vmcnt(10) lgkmcnt(1)
	v_mul_f64 v[157:158], v[2:3], v[28:29]
	v_mul_f64 v[28:29], v[4:5], v[28:29]
	s_waitcnt vmcnt(9) lgkmcnt(0)
	v_mul_f64 v[151:152], v[145:146], v[32:33]
	v_mul_f64 v[32:33], v[147:148], v[32:33]
	v_add_f64 v[39:40], v[39:40], v[155:156]
	v_add_f64 v[149:150], v[149:150], v[153:154]
	v_fma_f64 v[153:154], v[4:5], v[26:27], v[157:158]
	v_fma_f64 v[155:156], v[2:3], v[26:27], -v[28:29]
	ds_load_b128 v[2:5], v1 offset:768
	scratch_load_b128 v[26:29], off, off offset:432
	v_fma_f64 v[147:148], v[147:148], v[30:31], v[151:152]
	v_fma_f64 v[145:146], v[145:146], v[30:31], -v[32:33]
	scratch_load_b128 v[30:33], off, off offset:448
	v_add_f64 v[39:40], v[39:40], v[133:134]
	v_add_f64 v[149:150], v[149:150], v[135:136]
	ds_load_b128 v[133:136], v1 offset:784
	s_waitcnt vmcnt(10) lgkmcnt(1)
	v_mul_f64 v[157:158], v[2:3], v[36:37]
	v_mul_f64 v[36:37], v[4:5], v[36:37]
	s_waitcnt vmcnt(8) lgkmcnt(0)
	v_mul_f64 v[151:152], v[133:134], v[143:144]
	v_mul_f64 v[143:144], v[135:136], v[143:144]
	v_add_f64 v[39:40], v[39:40], v[155:156]
	v_add_f64 v[149:150], v[149:150], v[153:154]
	v_fma_f64 v[153:154], v[4:5], v[34:35], v[157:158]
	v_fma_f64 v[155:156], v[2:3], v[34:35], -v[36:37]
	ds_load_b128 v[2:5], v1 offset:800
	ds_load_b128 v[34:37], v1 offset:816
	v_fma_f64 v[135:136], v[135:136], v[141:142], v[151:152]
	v_fma_f64 v[133:134], v[133:134], v[141:142], -v[143:144]
	v_add_f64 v[39:40], v[39:40], v[145:146]
	v_add_f64 v[145:146], v[149:150], v[147:148]
	s_waitcnt vmcnt(7) lgkmcnt(1)
	v_mul_f64 v[147:148], v[2:3], v[131:132]
	v_mul_f64 v[131:132], v[4:5], v[131:132]
	s_waitcnt vmcnt(6) lgkmcnt(0)
	v_mul_f64 v[143:144], v[34:35], v[8:9]
	v_mul_f64 v[8:9], v[36:37], v[8:9]
	v_add_f64 v[39:40], v[39:40], v[155:156]
	v_add_f64 v[141:142], v[145:146], v[153:154]
	v_fma_f64 v[145:146], v[4:5], v[129:130], v[147:148]
	v_fma_f64 v[147:148], v[2:3], v[129:130], -v[131:132]
	ds_load_b128 v[2:5], v1 offset:832
	ds_load_b128 v[129:132], v1 offset:848
	v_fma_f64 v[36:37], v[36:37], v[6:7], v[143:144]
	v_fma_f64 v[6:7], v[34:35], v[6:7], -v[8:9]
	v_add_f64 v[39:40], v[39:40], v[133:134]
	v_add_f64 v[133:134], v[141:142], v[135:136]
	s_waitcnt vmcnt(5) lgkmcnt(1)
	v_mul_f64 v[135:136], v[2:3], v[12:13]
	v_mul_f64 v[12:13], v[4:5], v[12:13]
	s_delay_alu instid0(VALU_DEP_4) | instskip(NEXT) | instid1(VALU_DEP_4)
	v_add_f64 v[8:9], v[39:40], v[147:148]
	v_add_f64 v[34:35], v[133:134], v[145:146]
	s_waitcnt vmcnt(4) lgkmcnt(0)
	v_mul_f64 v[39:40], v[129:130], v[16:17]
	v_mul_f64 v[16:17], v[131:132], v[16:17]
	v_fma_f64 v[133:134], v[4:5], v[10:11], v[135:136]
	v_fma_f64 v[10:11], v[2:3], v[10:11], -v[12:13]
	v_add_f64 v[12:13], v[8:9], v[6:7]
	v_add_f64 v[34:35], v[34:35], v[36:37]
	ds_load_b128 v[2:5], v1 offset:864
	ds_load_b128 v[6:9], v1 offset:880
	v_fma_f64 v[39:40], v[131:132], v[14:15], v[39:40]
	v_fma_f64 v[14:15], v[129:130], v[14:15], -v[16:17]
	s_waitcnt vmcnt(3) lgkmcnt(1)
	v_mul_f64 v[36:37], v[2:3], v[20:21]
	v_mul_f64 v[20:21], v[4:5], v[20:21]
	s_waitcnt vmcnt(2) lgkmcnt(0)
	v_mul_f64 v[16:17], v[6:7], v[24:25]
	v_mul_f64 v[24:25], v[8:9], v[24:25]
	v_add_f64 v[10:11], v[12:13], v[10:11]
	v_add_f64 v[12:13], v[34:35], v[133:134]
	v_fma_f64 v[34:35], v[4:5], v[18:19], v[36:37]
	v_fma_f64 v[18:19], v[2:3], v[18:19], -v[20:21]
	v_fma_f64 v[8:9], v[8:9], v[22:23], v[16:17]
	v_fma_f64 v[6:7], v[6:7], v[22:23], -v[24:25]
	v_add_f64 v[14:15], v[10:11], v[14:15]
	v_add_f64 v[20:21], v[12:13], v[39:40]
	ds_load_b128 v[2:5], v1 offset:896
	ds_load_b128 v[10:13], v1 offset:912
	s_waitcnt vmcnt(1) lgkmcnt(1)
	v_mul_f64 v[36:37], v[2:3], v[28:29]
	v_mul_f64 v[28:29], v[4:5], v[28:29]
	v_add_f64 v[14:15], v[14:15], v[18:19]
	v_add_f64 v[16:17], v[20:21], v[34:35]
	s_waitcnt vmcnt(0) lgkmcnt(0)
	v_mul_f64 v[18:19], v[10:11], v[32:33]
	v_mul_f64 v[20:21], v[12:13], v[32:33]
	v_fma_f64 v[4:5], v[4:5], v[26:27], v[36:37]
	v_fma_f64 v[1:2], v[2:3], v[26:27], -v[28:29]
	v_add_f64 v[6:7], v[14:15], v[6:7]
	v_add_f64 v[8:9], v[16:17], v[8:9]
	v_fma_f64 v[12:13], v[12:13], v[30:31], v[18:19]
	v_fma_f64 v[10:11], v[10:11], v[30:31], -v[20:21]
	s_delay_alu instid0(VALU_DEP_4) | instskip(NEXT) | instid1(VALU_DEP_4)
	v_add_f64 v[1:2], v[6:7], v[1:2]
	v_add_f64 v[3:4], v[8:9], v[4:5]
	s_delay_alu instid0(VALU_DEP_2) | instskip(NEXT) | instid1(VALU_DEP_2)
	v_add_f64 v[1:2], v[1:2], v[10:11]
	v_add_f64 v[3:4], v[3:4], v[12:13]
	s_delay_alu instid0(VALU_DEP_2) | instskip(NEXT) | instid1(VALU_DEP_2)
	v_add_f64 v[1:2], v[137:138], -v[1:2]
	v_add_f64 v[3:4], v[139:140], -v[3:4]
	scratch_store_b128 off, v[1:4], off offset:160
	v_cmpx_lt_u32_e32 9, v100
	s_cbranch_execz .LBB92_169
; %bb.168:
	scratch_load_b128 v[1:4], v114, off
	v_mov_b32_e32 v5, 0
	s_delay_alu instid0(VALU_DEP_1)
	v_mov_b32_e32 v6, v5
	v_mov_b32_e32 v7, v5
	;; [unrolled: 1-line block ×3, first 2 shown]
	scratch_store_b128 off, v[5:8], off offset:144
	s_waitcnt vmcnt(0)
	ds_store_b128 v38, v[1:4]
.LBB92_169:
	s_or_b32 exec_lo, exec_lo, s2
	s_waitcnt lgkmcnt(0)
	s_waitcnt_vscnt null, 0x0
	s_barrier
	buffer_gl0_inv
	s_clause 0x7
	scratch_load_b128 v[2:5], off, off offset:160
	scratch_load_b128 v[6:9], off, off offset:176
	scratch_load_b128 v[10:13], off, off offset:192
	scratch_load_b128 v[14:17], off, off offset:208
	scratch_load_b128 v[18:21], off, off offset:224
	scratch_load_b128 v[22:25], off, off offset:240
	scratch_load_b128 v[26:29], off, off offset:256
	scratch_load_b128 v[30:33], off, off offset:272
	v_mov_b32_e32 v1, 0
	s_mov_b32 s2, exec_lo
	ds_load_b128 v[34:37], v1 offset:624
	s_clause 0x1
	scratch_load_b128 v[129:132], off, off offset:288
	scratch_load_b128 v[133:136], off, off offset:144
	ds_load_b128 v[137:140], v1 offset:640
	scratch_load_b128 v[141:144], off, off offset:304
	ds_load_b128 v[145:148], v1 offset:672
	s_waitcnt vmcnt(10) lgkmcnt(2)
	v_mul_f64 v[39:40], v[36:37], v[4:5]
	v_mul_f64 v[4:5], v[34:35], v[4:5]
	s_delay_alu instid0(VALU_DEP_2) | instskip(NEXT) | instid1(VALU_DEP_2)
	v_fma_f64 v[39:40], v[34:35], v[2:3], -v[39:40]
	v_fma_f64 v[151:152], v[36:37], v[2:3], v[4:5]
	ds_load_b128 v[2:5], v1 offset:656
	s_waitcnt vmcnt(9) lgkmcnt(2)
	v_mul_f64 v[149:150], v[137:138], v[8:9]
	v_mul_f64 v[8:9], v[139:140], v[8:9]
	scratch_load_b128 v[34:37], off, off offset:320
	s_waitcnt vmcnt(9) lgkmcnt(0)
	v_mul_f64 v[153:154], v[2:3], v[12:13]
	v_mul_f64 v[12:13], v[4:5], v[12:13]
	v_add_f64 v[39:40], v[39:40], 0
	v_fma_f64 v[139:140], v[139:140], v[6:7], v[149:150]
	v_fma_f64 v[137:138], v[137:138], v[6:7], -v[8:9]
	v_add_f64 v[149:150], v[151:152], 0
	scratch_load_b128 v[6:9], off, off offset:336
	v_fma_f64 v[153:154], v[4:5], v[10:11], v[153:154]
	v_fma_f64 v[155:156], v[2:3], v[10:11], -v[12:13]
	scratch_load_b128 v[10:13], off, off offset:352
	ds_load_b128 v[2:5], v1 offset:688
	s_waitcnt vmcnt(10)
	v_mul_f64 v[151:152], v[145:146], v[16:17]
	v_mul_f64 v[16:17], v[147:148], v[16:17]
	v_add_f64 v[39:40], v[39:40], v[137:138]
	v_add_f64 v[149:150], v[149:150], v[139:140]
	ds_load_b128 v[137:140], v1 offset:704
	s_waitcnt vmcnt(9) lgkmcnt(1)
	v_mul_f64 v[157:158], v[2:3], v[20:21]
	v_mul_f64 v[20:21], v[4:5], v[20:21]
	v_fma_f64 v[147:148], v[147:148], v[14:15], v[151:152]
	v_fma_f64 v[145:146], v[145:146], v[14:15], -v[16:17]
	scratch_load_b128 v[14:17], off, off offset:368
	v_add_f64 v[39:40], v[39:40], v[155:156]
	v_add_f64 v[149:150], v[149:150], v[153:154]
	v_fma_f64 v[153:154], v[4:5], v[18:19], v[157:158]
	v_fma_f64 v[155:156], v[2:3], v[18:19], -v[20:21]
	scratch_load_b128 v[18:21], off, off offset:384
	ds_load_b128 v[2:5], v1 offset:720
	s_waitcnt vmcnt(10) lgkmcnt(1)
	v_mul_f64 v[151:152], v[137:138], v[24:25]
	v_mul_f64 v[24:25], v[139:140], v[24:25]
	s_waitcnt vmcnt(9) lgkmcnt(0)
	v_mul_f64 v[157:158], v[2:3], v[28:29]
	v_mul_f64 v[28:29], v[4:5], v[28:29]
	v_add_f64 v[39:40], v[39:40], v[145:146]
	v_add_f64 v[149:150], v[149:150], v[147:148]
	ds_load_b128 v[145:148], v1 offset:736
	v_fma_f64 v[139:140], v[139:140], v[22:23], v[151:152]
	v_fma_f64 v[137:138], v[137:138], v[22:23], -v[24:25]
	scratch_load_b128 v[22:25], off, off offset:400
	v_add_f64 v[39:40], v[39:40], v[155:156]
	v_add_f64 v[149:150], v[149:150], v[153:154]
	v_fma_f64 v[153:154], v[4:5], v[26:27], v[157:158]
	v_fma_f64 v[155:156], v[2:3], v[26:27], -v[28:29]
	scratch_load_b128 v[26:29], off, off offset:416
	ds_load_b128 v[2:5], v1 offset:752
	s_waitcnt vmcnt(10) lgkmcnt(1)
	v_mul_f64 v[151:152], v[145:146], v[32:33]
	v_mul_f64 v[32:33], v[147:148], v[32:33]
	s_waitcnt vmcnt(9) lgkmcnt(0)
	v_mul_f64 v[157:158], v[2:3], v[131:132]
	v_mul_f64 v[131:132], v[4:5], v[131:132]
	v_add_f64 v[39:40], v[39:40], v[137:138]
	v_add_f64 v[149:150], v[149:150], v[139:140]
	ds_load_b128 v[137:140], v1 offset:768
	v_fma_f64 v[147:148], v[147:148], v[30:31], v[151:152]
	v_fma_f64 v[145:146], v[145:146], v[30:31], -v[32:33]
	scratch_load_b128 v[30:33], off, off offset:432
	v_add_f64 v[39:40], v[39:40], v[155:156]
	v_add_f64 v[149:150], v[149:150], v[153:154]
	v_fma_f64 v[155:156], v[4:5], v[129:130], v[157:158]
	v_fma_f64 v[157:158], v[2:3], v[129:130], -v[131:132]
	scratch_load_b128 v[129:132], off, off offset:448
	ds_load_b128 v[2:5], v1 offset:784
	s_waitcnt vmcnt(9) lgkmcnt(1)
	v_mul_f64 v[151:152], v[137:138], v[143:144]
	v_mul_f64 v[153:154], v[139:140], v[143:144]
	v_add_f64 v[39:40], v[39:40], v[145:146]
	v_add_f64 v[147:148], v[149:150], v[147:148]
	ds_load_b128 v[143:146], v1 offset:800
	v_fma_f64 v[139:140], v[139:140], v[141:142], v[151:152]
	v_fma_f64 v[137:138], v[137:138], v[141:142], -v[153:154]
	s_waitcnt vmcnt(8) lgkmcnt(1)
	v_mul_f64 v[149:150], v[2:3], v[36:37]
	v_mul_f64 v[36:37], v[4:5], v[36:37]
	v_add_f64 v[39:40], v[39:40], v[157:158]
	v_add_f64 v[141:142], v[147:148], v[155:156]
	s_delay_alu instid0(VALU_DEP_4)
	v_fma_f64 v[149:150], v[4:5], v[34:35], v[149:150]
	s_waitcnt vmcnt(7) lgkmcnt(0)
	v_mul_f64 v[147:148], v[143:144], v[8:9]
	v_mul_f64 v[8:9], v[145:146], v[8:9]
	v_fma_f64 v[151:152], v[2:3], v[34:35], -v[36:37]
	ds_load_b128 v[2:5], v1 offset:816
	ds_load_b128 v[34:37], v1 offset:832
	v_add_f64 v[39:40], v[39:40], v[137:138]
	v_add_f64 v[137:138], v[141:142], v[139:140]
	s_waitcnt vmcnt(6) lgkmcnt(1)
	v_mul_f64 v[139:140], v[2:3], v[12:13]
	v_mul_f64 v[12:13], v[4:5], v[12:13]
	v_fma_f64 v[141:142], v[145:146], v[6:7], v[147:148]
	v_fma_f64 v[6:7], v[143:144], v[6:7], -v[8:9]
	v_add_f64 v[8:9], v[39:40], v[151:152]
	v_add_f64 v[39:40], v[137:138], v[149:150]
	s_waitcnt vmcnt(5) lgkmcnt(0)
	v_mul_f64 v[137:138], v[34:35], v[16:17]
	v_mul_f64 v[16:17], v[36:37], v[16:17]
	v_fma_f64 v[139:140], v[4:5], v[10:11], v[139:140]
	v_fma_f64 v[10:11], v[2:3], v[10:11], -v[12:13]
	v_add_f64 v[12:13], v[8:9], v[6:7]
	v_add_f64 v[39:40], v[39:40], v[141:142]
	ds_load_b128 v[2:5], v1 offset:848
	ds_load_b128 v[6:9], v1 offset:864
	v_fma_f64 v[36:37], v[36:37], v[14:15], v[137:138]
	v_fma_f64 v[14:15], v[34:35], v[14:15], -v[16:17]
	s_waitcnt vmcnt(4) lgkmcnt(1)
	v_mul_f64 v[141:142], v[2:3], v[20:21]
	v_mul_f64 v[20:21], v[4:5], v[20:21]
	s_waitcnt vmcnt(3) lgkmcnt(0)
	v_mul_f64 v[16:17], v[6:7], v[24:25]
	v_mul_f64 v[24:25], v[8:9], v[24:25]
	v_add_f64 v[10:11], v[12:13], v[10:11]
	v_add_f64 v[12:13], v[39:40], v[139:140]
	v_fma_f64 v[34:35], v[4:5], v[18:19], v[141:142]
	v_fma_f64 v[18:19], v[2:3], v[18:19], -v[20:21]
	v_fma_f64 v[8:9], v[8:9], v[22:23], v[16:17]
	v_fma_f64 v[6:7], v[6:7], v[22:23], -v[24:25]
	v_add_f64 v[14:15], v[10:11], v[14:15]
	v_add_f64 v[20:21], v[12:13], v[36:37]
	ds_load_b128 v[2:5], v1 offset:880
	ds_load_b128 v[10:13], v1 offset:896
	s_waitcnt vmcnt(2) lgkmcnt(1)
	v_mul_f64 v[36:37], v[2:3], v[28:29]
	v_mul_f64 v[28:29], v[4:5], v[28:29]
	v_add_f64 v[14:15], v[14:15], v[18:19]
	v_add_f64 v[16:17], v[20:21], v[34:35]
	s_waitcnt vmcnt(1) lgkmcnt(0)
	v_mul_f64 v[18:19], v[10:11], v[32:33]
	v_mul_f64 v[20:21], v[12:13], v[32:33]
	v_fma_f64 v[22:23], v[4:5], v[26:27], v[36:37]
	v_fma_f64 v[24:25], v[2:3], v[26:27], -v[28:29]
	ds_load_b128 v[2:5], v1 offset:912
	v_add_f64 v[6:7], v[14:15], v[6:7]
	v_add_f64 v[8:9], v[16:17], v[8:9]
	v_fma_f64 v[12:13], v[12:13], v[30:31], v[18:19]
	v_fma_f64 v[10:11], v[10:11], v[30:31], -v[20:21]
	s_waitcnt vmcnt(0) lgkmcnt(0)
	v_mul_f64 v[14:15], v[2:3], v[131:132]
	v_mul_f64 v[16:17], v[4:5], v[131:132]
	v_add_f64 v[6:7], v[6:7], v[24:25]
	v_add_f64 v[8:9], v[8:9], v[22:23]
	s_delay_alu instid0(VALU_DEP_4) | instskip(NEXT) | instid1(VALU_DEP_4)
	v_fma_f64 v[4:5], v[4:5], v[129:130], v[14:15]
	v_fma_f64 v[2:3], v[2:3], v[129:130], -v[16:17]
	s_delay_alu instid0(VALU_DEP_4) | instskip(NEXT) | instid1(VALU_DEP_4)
	v_add_f64 v[6:7], v[6:7], v[10:11]
	v_add_f64 v[8:9], v[8:9], v[12:13]
	s_delay_alu instid0(VALU_DEP_2) | instskip(NEXT) | instid1(VALU_DEP_2)
	v_add_f64 v[2:3], v[6:7], v[2:3]
	v_add_f64 v[4:5], v[8:9], v[4:5]
	s_delay_alu instid0(VALU_DEP_2) | instskip(NEXT) | instid1(VALU_DEP_2)
	v_add_f64 v[2:3], v[133:134], -v[2:3]
	v_add_f64 v[4:5], v[135:136], -v[4:5]
	scratch_store_b128 off, v[2:5], off offset:144
	v_cmpx_lt_u32_e32 8, v100
	s_cbranch_execz .LBB92_171
; %bb.170:
	scratch_load_b128 v[5:8], v113, off
	v_mov_b32_e32 v2, v1
	v_mov_b32_e32 v3, v1
	;; [unrolled: 1-line block ×3, first 2 shown]
	scratch_store_b128 off, v[1:4], off offset:128
	s_waitcnt vmcnt(0)
	ds_store_b128 v38, v[5:8]
.LBB92_171:
	s_or_b32 exec_lo, exec_lo, s2
	s_waitcnt lgkmcnt(0)
	s_waitcnt_vscnt null, 0x0
	s_barrier
	buffer_gl0_inv
	s_clause 0x8
	scratch_load_b128 v[2:5], off, off offset:144
	scratch_load_b128 v[6:9], off, off offset:160
	;; [unrolled: 1-line block ×9, first 2 shown]
	ds_load_b128 v[129:132], v1 offset:608
	ds_load_b128 v[133:136], v1 offset:624
	s_clause 0x1
	scratch_load_b128 v[137:140], off, off offset:128
	scratch_load_b128 v[141:144], off, off offset:288
	s_mov_b32 s2, exec_lo
	ds_load_b128 v[145:148], v1 offset:656
	s_waitcnt vmcnt(10) lgkmcnt(2)
	v_mul_f64 v[39:40], v[131:132], v[4:5]
	v_mul_f64 v[4:5], v[129:130], v[4:5]
	s_waitcnt vmcnt(9) lgkmcnt(1)
	v_mul_f64 v[149:150], v[133:134], v[8:9]
	v_mul_f64 v[8:9], v[135:136], v[8:9]
	s_delay_alu instid0(VALU_DEP_4) | instskip(NEXT) | instid1(VALU_DEP_4)
	v_fma_f64 v[39:40], v[129:130], v[2:3], -v[39:40]
	v_fma_f64 v[151:152], v[131:132], v[2:3], v[4:5]
	ds_load_b128 v[2:5], v1 offset:640
	scratch_load_b128 v[129:132], off, off offset:304
	v_fma_f64 v[135:136], v[135:136], v[6:7], v[149:150]
	v_fma_f64 v[133:134], v[133:134], v[6:7], -v[8:9]
	scratch_load_b128 v[6:9], off, off offset:320
	s_waitcnt vmcnt(10) lgkmcnt(0)
	v_mul_f64 v[153:154], v[2:3], v[12:13]
	v_mul_f64 v[12:13], v[4:5], v[12:13]
	v_add_f64 v[39:40], v[39:40], 0
	v_add_f64 v[149:150], v[151:152], 0
	s_waitcnt vmcnt(9)
	v_mul_f64 v[151:152], v[145:146], v[16:17]
	v_mul_f64 v[16:17], v[147:148], v[16:17]
	v_fma_f64 v[153:154], v[4:5], v[10:11], v[153:154]
	v_fma_f64 v[155:156], v[2:3], v[10:11], -v[12:13]
	ds_load_b128 v[2:5], v1 offset:672
	scratch_load_b128 v[10:13], off, off offset:336
	v_add_f64 v[39:40], v[39:40], v[133:134]
	v_add_f64 v[149:150], v[149:150], v[135:136]
	ds_load_b128 v[133:136], v1 offset:688
	v_fma_f64 v[147:148], v[147:148], v[14:15], v[151:152]
	v_fma_f64 v[145:146], v[145:146], v[14:15], -v[16:17]
	scratch_load_b128 v[14:17], off, off offset:352
	s_waitcnt vmcnt(10) lgkmcnt(1)
	v_mul_f64 v[157:158], v[2:3], v[20:21]
	v_mul_f64 v[20:21], v[4:5], v[20:21]
	s_waitcnt vmcnt(9) lgkmcnt(0)
	v_mul_f64 v[151:152], v[133:134], v[24:25]
	v_mul_f64 v[24:25], v[135:136], v[24:25]
	v_add_f64 v[39:40], v[39:40], v[155:156]
	v_add_f64 v[149:150], v[149:150], v[153:154]
	v_fma_f64 v[153:154], v[4:5], v[18:19], v[157:158]
	v_fma_f64 v[155:156], v[2:3], v[18:19], -v[20:21]
	ds_load_b128 v[2:5], v1 offset:704
	scratch_load_b128 v[18:21], off, off offset:368
	v_fma_f64 v[135:136], v[135:136], v[22:23], v[151:152]
	v_fma_f64 v[133:134], v[133:134], v[22:23], -v[24:25]
	scratch_load_b128 v[22:25], off, off offset:384
	v_add_f64 v[39:40], v[39:40], v[145:146]
	v_add_f64 v[149:150], v[149:150], v[147:148]
	ds_load_b128 v[145:148], v1 offset:720
	s_waitcnt vmcnt(10) lgkmcnt(1)
	v_mul_f64 v[157:158], v[2:3], v[28:29]
	v_mul_f64 v[28:29], v[4:5], v[28:29]
	s_waitcnt vmcnt(9) lgkmcnt(0)
	v_mul_f64 v[151:152], v[145:146], v[32:33]
	v_mul_f64 v[32:33], v[147:148], v[32:33]
	v_add_f64 v[39:40], v[39:40], v[155:156]
	v_add_f64 v[149:150], v[149:150], v[153:154]
	v_fma_f64 v[153:154], v[4:5], v[26:27], v[157:158]
	v_fma_f64 v[155:156], v[2:3], v[26:27], -v[28:29]
	ds_load_b128 v[2:5], v1 offset:736
	scratch_load_b128 v[26:29], off, off offset:400
	v_fma_f64 v[147:148], v[147:148], v[30:31], v[151:152]
	v_fma_f64 v[145:146], v[145:146], v[30:31], -v[32:33]
	scratch_load_b128 v[30:33], off, off offset:416
	v_add_f64 v[39:40], v[39:40], v[133:134]
	v_add_f64 v[149:150], v[149:150], v[135:136]
	ds_load_b128 v[133:136], v1 offset:752
	s_waitcnt vmcnt(10) lgkmcnt(1)
	v_mul_f64 v[157:158], v[2:3], v[36:37]
	v_mul_f64 v[36:37], v[4:5], v[36:37]
	s_waitcnt vmcnt(8) lgkmcnt(0)
	v_mul_f64 v[151:152], v[133:134], v[143:144]
	v_add_f64 v[39:40], v[39:40], v[155:156]
	v_add_f64 v[149:150], v[149:150], v[153:154]
	v_mul_f64 v[153:154], v[135:136], v[143:144]
	v_fma_f64 v[155:156], v[4:5], v[34:35], v[157:158]
	v_fma_f64 v[157:158], v[2:3], v[34:35], -v[36:37]
	ds_load_b128 v[2:5], v1 offset:768
	scratch_load_b128 v[34:37], off, off offset:432
	v_fma_f64 v[135:136], v[135:136], v[141:142], v[151:152]
	v_add_f64 v[39:40], v[39:40], v[145:146]
	v_add_f64 v[147:148], v[149:150], v[147:148]
	ds_load_b128 v[143:146], v1 offset:784
	v_fma_f64 v[141:142], v[133:134], v[141:142], -v[153:154]
	s_waitcnt vmcnt(8) lgkmcnt(1)
	v_mul_f64 v[149:150], v[2:3], v[131:132]
	v_mul_f64 v[159:160], v[4:5], v[131:132]
	scratch_load_b128 v[131:134], off, off offset:448
	s_waitcnt vmcnt(8) lgkmcnt(0)
	v_mul_f64 v[151:152], v[143:144], v[8:9]
	v_mul_f64 v[8:9], v[145:146], v[8:9]
	v_add_f64 v[39:40], v[39:40], v[157:158]
	v_add_f64 v[147:148], v[147:148], v[155:156]
	v_fma_f64 v[153:154], v[4:5], v[129:130], v[149:150]
	v_fma_f64 v[129:130], v[2:3], v[129:130], -v[159:160]
	v_fma_f64 v[145:146], v[145:146], v[6:7], v[151:152]
	v_fma_f64 v[6:7], v[143:144], v[6:7], -v[8:9]
	v_add_f64 v[39:40], v[39:40], v[141:142]
	v_add_f64 v[135:136], v[147:148], v[135:136]
	ds_load_b128 v[2:5], v1 offset:800
	ds_load_b128 v[147:150], v1 offset:816
	s_waitcnt vmcnt(7) lgkmcnt(1)
	v_mul_f64 v[141:142], v[2:3], v[12:13]
	v_mul_f64 v[12:13], v[4:5], v[12:13]
	v_add_f64 v[8:9], v[39:40], v[129:130]
	v_add_f64 v[39:40], v[135:136], v[153:154]
	s_waitcnt vmcnt(6) lgkmcnt(0)
	v_mul_f64 v[129:130], v[147:148], v[16:17]
	v_mul_f64 v[16:17], v[149:150], v[16:17]
	v_fma_f64 v[135:136], v[4:5], v[10:11], v[141:142]
	v_fma_f64 v[10:11], v[2:3], v[10:11], -v[12:13]
	v_add_f64 v[12:13], v[8:9], v[6:7]
	v_add_f64 v[39:40], v[39:40], v[145:146]
	ds_load_b128 v[2:5], v1 offset:832
	ds_load_b128 v[6:9], v1 offset:848
	v_fma_f64 v[129:130], v[149:150], v[14:15], v[129:130]
	v_fma_f64 v[14:15], v[147:148], v[14:15], -v[16:17]
	s_waitcnt vmcnt(5) lgkmcnt(1)
	v_mul_f64 v[141:142], v[2:3], v[20:21]
	v_mul_f64 v[20:21], v[4:5], v[20:21]
	s_waitcnt vmcnt(4) lgkmcnt(0)
	v_mul_f64 v[16:17], v[6:7], v[24:25]
	v_mul_f64 v[24:25], v[8:9], v[24:25]
	v_add_f64 v[10:11], v[12:13], v[10:11]
	v_add_f64 v[12:13], v[39:40], v[135:136]
	v_fma_f64 v[39:40], v[4:5], v[18:19], v[141:142]
	v_fma_f64 v[18:19], v[2:3], v[18:19], -v[20:21]
	v_fma_f64 v[8:9], v[8:9], v[22:23], v[16:17]
	v_fma_f64 v[6:7], v[6:7], v[22:23], -v[24:25]
	v_add_f64 v[14:15], v[10:11], v[14:15]
	v_add_f64 v[20:21], v[12:13], v[129:130]
	ds_load_b128 v[2:5], v1 offset:864
	ds_load_b128 v[10:13], v1 offset:880
	s_waitcnt vmcnt(3) lgkmcnt(1)
	v_mul_f64 v[129:130], v[2:3], v[28:29]
	v_mul_f64 v[28:29], v[4:5], v[28:29]
	v_add_f64 v[14:15], v[14:15], v[18:19]
	v_add_f64 v[16:17], v[20:21], v[39:40]
	s_waitcnt vmcnt(2) lgkmcnt(0)
	v_mul_f64 v[18:19], v[10:11], v[32:33]
	v_mul_f64 v[20:21], v[12:13], v[32:33]
	v_fma_f64 v[22:23], v[4:5], v[26:27], v[129:130]
	v_fma_f64 v[24:25], v[2:3], v[26:27], -v[28:29]
	v_add_f64 v[14:15], v[14:15], v[6:7]
	v_add_f64 v[16:17], v[16:17], v[8:9]
	ds_load_b128 v[2:5], v1 offset:896
	ds_load_b128 v[6:9], v1 offset:912
	v_fma_f64 v[12:13], v[12:13], v[30:31], v[18:19]
	v_fma_f64 v[10:11], v[10:11], v[30:31], -v[20:21]
	s_waitcnt vmcnt(1) lgkmcnt(1)
	v_mul_f64 v[26:27], v[2:3], v[36:37]
	v_mul_f64 v[28:29], v[4:5], v[36:37]
	s_waitcnt vmcnt(0) lgkmcnt(0)
	v_mul_f64 v[18:19], v[6:7], v[133:134]
	v_add_f64 v[14:15], v[14:15], v[24:25]
	v_add_f64 v[16:17], v[16:17], v[22:23]
	v_mul_f64 v[20:21], v[8:9], v[133:134]
	v_fma_f64 v[4:5], v[4:5], v[34:35], v[26:27]
	v_fma_f64 v[1:2], v[2:3], v[34:35], -v[28:29]
	v_fma_f64 v[8:9], v[8:9], v[131:132], v[18:19]
	v_add_f64 v[10:11], v[14:15], v[10:11]
	v_add_f64 v[12:13], v[16:17], v[12:13]
	v_fma_f64 v[6:7], v[6:7], v[131:132], -v[20:21]
	s_delay_alu instid0(VALU_DEP_3) | instskip(NEXT) | instid1(VALU_DEP_3)
	v_add_f64 v[1:2], v[10:11], v[1:2]
	v_add_f64 v[3:4], v[12:13], v[4:5]
	s_delay_alu instid0(VALU_DEP_2) | instskip(NEXT) | instid1(VALU_DEP_2)
	v_add_f64 v[1:2], v[1:2], v[6:7]
	v_add_f64 v[3:4], v[3:4], v[8:9]
	s_delay_alu instid0(VALU_DEP_2) | instskip(NEXT) | instid1(VALU_DEP_2)
	v_add_f64 v[1:2], v[137:138], -v[1:2]
	v_add_f64 v[3:4], v[139:140], -v[3:4]
	scratch_store_b128 off, v[1:4], off offset:128
	v_cmpx_lt_u32_e32 7, v100
	s_cbranch_execz .LBB92_173
; %bb.172:
	scratch_load_b128 v[1:4], v115, off
	v_mov_b32_e32 v5, 0
	s_delay_alu instid0(VALU_DEP_1)
	v_mov_b32_e32 v6, v5
	v_mov_b32_e32 v7, v5
	;; [unrolled: 1-line block ×3, first 2 shown]
	scratch_store_b128 off, v[5:8], off offset:112
	s_waitcnt vmcnt(0)
	ds_store_b128 v38, v[1:4]
.LBB92_173:
	s_or_b32 exec_lo, exec_lo, s2
	s_waitcnt lgkmcnt(0)
	s_waitcnt_vscnt null, 0x0
	s_barrier
	buffer_gl0_inv
	s_clause 0x7
	scratch_load_b128 v[2:5], off, off offset:128
	scratch_load_b128 v[6:9], off, off offset:144
	scratch_load_b128 v[10:13], off, off offset:160
	scratch_load_b128 v[14:17], off, off offset:176
	scratch_load_b128 v[18:21], off, off offset:192
	scratch_load_b128 v[22:25], off, off offset:208
	scratch_load_b128 v[26:29], off, off offset:224
	scratch_load_b128 v[30:33], off, off offset:240
	v_mov_b32_e32 v1, 0
	s_mov_b32 s2, exec_lo
	ds_load_b128 v[34:37], v1 offset:592
	s_clause 0x1
	scratch_load_b128 v[129:132], off, off offset:256
	scratch_load_b128 v[133:136], off, off offset:112
	ds_load_b128 v[137:140], v1 offset:608
	scratch_load_b128 v[141:144], off, off offset:272
	ds_load_b128 v[145:148], v1 offset:640
	s_waitcnt vmcnt(10) lgkmcnt(2)
	v_mul_f64 v[39:40], v[36:37], v[4:5]
	v_mul_f64 v[4:5], v[34:35], v[4:5]
	s_delay_alu instid0(VALU_DEP_2) | instskip(NEXT) | instid1(VALU_DEP_2)
	v_fma_f64 v[39:40], v[34:35], v[2:3], -v[39:40]
	v_fma_f64 v[151:152], v[36:37], v[2:3], v[4:5]
	ds_load_b128 v[2:5], v1 offset:624
	s_waitcnt vmcnt(9) lgkmcnt(2)
	v_mul_f64 v[149:150], v[137:138], v[8:9]
	v_mul_f64 v[8:9], v[139:140], v[8:9]
	scratch_load_b128 v[34:37], off, off offset:288
	s_waitcnt vmcnt(9) lgkmcnt(0)
	v_mul_f64 v[153:154], v[2:3], v[12:13]
	v_mul_f64 v[12:13], v[4:5], v[12:13]
	v_add_f64 v[39:40], v[39:40], 0
	v_fma_f64 v[139:140], v[139:140], v[6:7], v[149:150]
	v_fma_f64 v[137:138], v[137:138], v[6:7], -v[8:9]
	v_add_f64 v[149:150], v[151:152], 0
	scratch_load_b128 v[6:9], off, off offset:304
	v_fma_f64 v[153:154], v[4:5], v[10:11], v[153:154]
	v_fma_f64 v[155:156], v[2:3], v[10:11], -v[12:13]
	scratch_load_b128 v[10:13], off, off offset:320
	ds_load_b128 v[2:5], v1 offset:656
	s_waitcnt vmcnt(10)
	v_mul_f64 v[151:152], v[145:146], v[16:17]
	v_mul_f64 v[16:17], v[147:148], v[16:17]
	v_add_f64 v[39:40], v[39:40], v[137:138]
	v_add_f64 v[149:150], v[149:150], v[139:140]
	ds_load_b128 v[137:140], v1 offset:672
	s_waitcnt vmcnt(9) lgkmcnt(1)
	v_mul_f64 v[157:158], v[2:3], v[20:21]
	v_mul_f64 v[20:21], v[4:5], v[20:21]
	v_fma_f64 v[147:148], v[147:148], v[14:15], v[151:152]
	v_fma_f64 v[145:146], v[145:146], v[14:15], -v[16:17]
	scratch_load_b128 v[14:17], off, off offset:336
	v_add_f64 v[39:40], v[39:40], v[155:156]
	v_add_f64 v[149:150], v[149:150], v[153:154]
	v_fma_f64 v[153:154], v[4:5], v[18:19], v[157:158]
	v_fma_f64 v[155:156], v[2:3], v[18:19], -v[20:21]
	scratch_load_b128 v[18:21], off, off offset:352
	ds_load_b128 v[2:5], v1 offset:688
	s_waitcnt vmcnt(10) lgkmcnt(1)
	v_mul_f64 v[151:152], v[137:138], v[24:25]
	v_mul_f64 v[24:25], v[139:140], v[24:25]
	s_waitcnt vmcnt(9) lgkmcnt(0)
	v_mul_f64 v[157:158], v[2:3], v[28:29]
	v_mul_f64 v[28:29], v[4:5], v[28:29]
	v_add_f64 v[39:40], v[39:40], v[145:146]
	v_add_f64 v[149:150], v[149:150], v[147:148]
	ds_load_b128 v[145:148], v1 offset:704
	v_fma_f64 v[139:140], v[139:140], v[22:23], v[151:152]
	v_fma_f64 v[137:138], v[137:138], v[22:23], -v[24:25]
	scratch_load_b128 v[22:25], off, off offset:368
	v_add_f64 v[39:40], v[39:40], v[155:156]
	v_add_f64 v[149:150], v[149:150], v[153:154]
	v_fma_f64 v[153:154], v[4:5], v[26:27], v[157:158]
	v_fma_f64 v[155:156], v[2:3], v[26:27], -v[28:29]
	scratch_load_b128 v[26:29], off, off offset:384
	ds_load_b128 v[2:5], v1 offset:720
	s_waitcnt vmcnt(10) lgkmcnt(1)
	v_mul_f64 v[151:152], v[145:146], v[32:33]
	v_mul_f64 v[32:33], v[147:148], v[32:33]
	s_waitcnt vmcnt(9) lgkmcnt(0)
	v_mul_f64 v[157:158], v[2:3], v[131:132]
	v_mul_f64 v[131:132], v[4:5], v[131:132]
	v_add_f64 v[39:40], v[39:40], v[137:138]
	v_add_f64 v[149:150], v[149:150], v[139:140]
	ds_load_b128 v[137:140], v1 offset:736
	v_fma_f64 v[147:148], v[147:148], v[30:31], v[151:152]
	v_fma_f64 v[145:146], v[145:146], v[30:31], -v[32:33]
	scratch_load_b128 v[30:33], off, off offset:400
	v_add_f64 v[39:40], v[39:40], v[155:156]
	v_add_f64 v[149:150], v[149:150], v[153:154]
	v_fma_f64 v[155:156], v[4:5], v[129:130], v[157:158]
	v_fma_f64 v[157:158], v[2:3], v[129:130], -v[131:132]
	scratch_load_b128 v[129:132], off, off offset:416
	ds_load_b128 v[2:5], v1 offset:752
	s_waitcnt vmcnt(9) lgkmcnt(1)
	v_mul_f64 v[151:152], v[137:138], v[143:144]
	v_mul_f64 v[153:154], v[139:140], v[143:144]
	v_add_f64 v[39:40], v[39:40], v[145:146]
	v_add_f64 v[147:148], v[149:150], v[147:148]
	ds_load_b128 v[143:146], v1 offset:768
	v_fma_f64 v[151:152], v[139:140], v[141:142], v[151:152]
	v_fma_f64 v[141:142], v[137:138], v[141:142], -v[153:154]
	scratch_load_b128 v[137:140], off, off offset:432
	s_waitcnt vmcnt(9) lgkmcnt(1)
	v_mul_f64 v[149:150], v[2:3], v[36:37]
	v_mul_f64 v[36:37], v[4:5], v[36:37]
	v_add_f64 v[39:40], v[39:40], v[157:158]
	v_add_f64 v[147:148], v[147:148], v[155:156]
	s_delay_alu instid0(VALU_DEP_4) | instskip(NEXT) | instid1(VALU_DEP_4)
	v_fma_f64 v[155:156], v[4:5], v[34:35], v[149:150]
	v_fma_f64 v[157:158], v[2:3], v[34:35], -v[36:37]
	scratch_load_b128 v[34:37], off, off offset:448
	ds_load_b128 v[2:5], v1 offset:784
	s_waitcnt vmcnt(9) lgkmcnt(1)
	v_mul_f64 v[153:154], v[143:144], v[8:9]
	v_mul_f64 v[8:9], v[145:146], v[8:9]
	v_add_f64 v[39:40], v[39:40], v[141:142]
	v_add_f64 v[141:142], v[147:148], v[151:152]
	s_waitcnt vmcnt(8) lgkmcnt(0)
	v_mul_f64 v[151:152], v[2:3], v[12:13]
	v_mul_f64 v[12:13], v[4:5], v[12:13]
	ds_load_b128 v[147:150], v1 offset:800
	v_fma_f64 v[145:146], v[145:146], v[6:7], v[153:154]
	v_fma_f64 v[6:7], v[143:144], v[6:7], -v[8:9]
	v_add_f64 v[8:9], v[39:40], v[157:158]
	v_add_f64 v[39:40], v[141:142], v[155:156]
	s_waitcnt vmcnt(7) lgkmcnt(0)
	v_mul_f64 v[141:142], v[147:148], v[16:17]
	v_mul_f64 v[16:17], v[149:150], v[16:17]
	v_fma_f64 v[143:144], v[4:5], v[10:11], v[151:152]
	v_fma_f64 v[10:11], v[2:3], v[10:11], -v[12:13]
	v_add_f64 v[12:13], v[8:9], v[6:7]
	v_add_f64 v[39:40], v[39:40], v[145:146]
	ds_load_b128 v[2:5], v1 offset:816
	ds_load_b128 v[6:9], v1 offset:832
	v_fma_f64 v[141:142], v[149:150], v[14:15], v[141:142]
	v_fma_f64 v[14:15], v[147:148], v[14:15], -v[16:17]
	s_waitcnt vmcnt(6) lgkmcnt(1)
	v_mul_f64 v[145:146], v[2:3], v[20:21]
	v_mul_f64 v[20:21], v[4:5], v[20:21]
	s_waitcnt vmcnt(5) lgkmcnt(0)
	v_mul_f64 v[16:17], v[6:7], v[24:25]
	v_mul_f64 v[24:25], v[8:9], v[24:25]
	v_add_f64 v[10:11], v[12:13], v[10:11]
	v_add_f64 v[12:13], v[39:40], v[143:144]
	v_fma_f64 v[39:40], v[4:5], v[18:19], v[145:146]
	v_fma_f64 v[18:19], v[2:3], v[18:19], -v[20:21]
	v_fma_f64 v[8:9], v[8:9], v[22:23], v[16:17]
	v_fma_f64 v[6:7], v[6:7], v[22:23], -v[24:25]
	v_add_f64 v[14:15], v[10:11], v[14:15]
	v_add_f64 v[20:21], v[12:13], v[141:142]
	ds_load_b128 v[2:5], v1 offset:848
	ds_load_b128 v[10:13], v1 offset:864
	s_waitcnt vmcnt(4) lgkmcnt(1)
	v_mul_f64 v[141:142], v[2:3], v[28:29]
	v_mul_f64 v[28:29], v[4:5], v[28:29]
	v_add_f64 v[14:15], v[14:15], v[18:19]
	v_add_f64 v[16:17], v[20:21], v[39:40]
	s_waitcnt vmcnt(3) lgkmcnt(0)
	v_mul_f64 v[18:19], v[10:11], v[32:33]
	v_mul_f64 v[20:21], v[12:13], v[32:33]
	v_fma_f64 v[22:23], v[4:5], v[26:27], v[141:142]
	v_fma_f64 v[24:25], v[2:3], v[26:27], -v[28:29]
	v_add_f64 v[14:15], v[14:15], v[6:7]
	v_add_f64 v[16:17], v[16:17], v[8:9]
	ds_load_b128 v[2:5], v1 offset:880
	ds_load_b128 v[6:9], v1 offset:896
	v_fma_f64 v[12:13], v[12:13], v[30:31], v[18:19]
	v_fma_f64 v[10:11], v[10:11], v[30:31], -v[20:21]
	s_waitcnt vmcnt(2) lgkmcnt(1)
	v_mul_f64 v[26:27], v[2:3], v[131:132]
	v_mul_f64 v[28:29], v[4:5], v[131:132]
	s_waitcnt vmcnt(1) lgkmcnt(0)
	v_mul_f64 v[18:19], v[6:7], v[139:140]
	v_mul_f64 v[20:21], v[8:9], v[139:140]
	v_add_f64 v[14:15], v[14:15], v[24:25]
	v_add_f64 v[16:17], v[16:17], v[22:23]
	v_fma_f64 v[22:23], v[4:5], v[129:130], v[26:27]
	v_fma_f64 v[24:25], v[2:3], v[129:130], -v[28:29]
	ds_load_b128 v[2:5], v1 offset:912
	v_fma_f64 v[8:9], v[8:9], v[137:138], v[18:19]
	v_fma_f64 v[6:7], v[6:7], v[137:138], -v[20:21]
	v_add_f64 v[10:11], v[14:15], v[10:11]
	v_add_f64 v[12:13], v[16:17], v[12:13]
	s_waitcnt vmcnt(0) lgkmcnt(0)
	v_mul_f64 v[14:15], v[2:3], v[36:37]
	v_mul_f64 v[16:17], v[4:5], v[36:37]
	s_delay_alu instid0(VALU_DEP_4) | instskip(NEXT) | instid1(VALU_DEP_4)
	v_add_f64 v[10:11], v[10:11], v[24:25]
	v_add_f64 v[12:13], v[12:13], v[22:23]
	s_delay_alu instid0(VALU_DEP_4) | instskip(NEXT) | instid1(VALU_DEP_4)
	v_fma_f64 v[4:5], v[4:5], v[34:35], v[14:15]
	v_fma_f64 v[2:3], v[2:3], v[34:35], -v[16:17]
	s_delay_alu instid0(VALU_DEP_4) | instskip(NEXT) | instid1(VALU_DEP_4)
	v_add_f64 v[6:7], v[10:11], v[6:7]
	v_add_f64 v[8:9], v[12:13], v[8:9]
	s_delay_alu instid0(VALU_DEP_2) | instskip(NEXT) | instid1(VALU_DEP_2)
	v_add_f64 v[2:3], v[6:7], v[2:3]
	v_add_f64 v[4:5], v[8:9], v[4:5]
	s_delay_alu instid0(VALU_DEP_2) | instskip(NEXT) | instid1(VALU_DEP_2)
	v_add_f64 v[2:3], v[133:134], -v[2:3]
	v_add_f64 v[4:5], v[135:136], -v[4:5]
	scratch_store_b128 off, v[2:5], off offset:112
	v_cmpx_lt_u32_e32 6, v100
	s_cbranch_execz .LBB92_175
; %bb.174:
	scratch_load_b128 v[5:8], v116, off
	v_mov_b32_e32 v2, v1
	v_mov_b32_e32 v3, v1
	;; [unrolled: 1-line block ×3, first 2 shown]
	scratch_store_b128 off, v[1:4], off offset:96
	s_waitcnt vmcnt(0)
	ds_store_b128 v38, v[5:8]
.LBB92_175:
	s_or_b32 exec_lo, exec_lo, s2
	s_waitcnt lgkmcnt(0)
	s_waitcnt_vscnt null, 0x0
	s_barrier
	buffer_gl0_inv
	s_clause 0x8
	scratch_load_b128 v[2:5], off, off offset:112
	scratch_load_b128 v[6:9], off, off offset:128
	;; [unrolled: 1-line block ×9, first 2 shown]
	ds_load_b128 v[129:132], v1 offset:576
	ds_load_b128 v[133:136], v1 offset:592
	s_clause 0x1
	scratch_load_b128 v[137:140], off, off offset:96
	scratch_load_b128 v[141:144], off, off offset:256
	s_mov_b32 s2, exec_lo
	ds_load_b128 v[145:148], v1 offset:624
	s_waitcnt vmcnt(10) lgkmcnt(2)
	v_mul_f64 v[39:40], v[131:132], v[4:5]
	v_mul_f64 v[4:5], v[129:130], v[4:5]
	s_waitcnt vmcnt(9) lgkmcnt(1)
	v_mul_f64 v[149:150], v[133:134], v[8:9]
	v_mul_f64 v[8:9], v[135:136], v[8:9]
	s_delay_alu instid0(VALU_DEP_4) | instskip(NEXT) | instid1(VALU_DEP_4)
	v_fma_f64 v[39:40], v[129:130], v[2:3], -v[39:40]
	v_fma_f64 v[151:152], v[131:132], v[2:3], v[4:5]
	ds_load_b128 v[2:5], v1 offset:608
	scratch_load_b128 v[129:132], off, off offset:272
	v_fma_f64 v[135:136], v[135:136], v[6:7], v[149:150]
	v_fma_f64 v[133:134], v[133:134], v[6:7], -v[8:9]
	scratch_load_b128 v[6:9], off, off offset:288
	s_waitcnt vmcnt(10) lgkmcnt(0)
	v_mul_f64 v[153:154], v[2:3], v[12:13]
	v_mul_f64 v[12:13], v[4:5], v[12:13]
	v_add_f64 v[39:40], v[39:40], 0
	v_add_f64 v[149:150], v[151:152], 0
	s_waitcnt vmcnt(9)
	v_mul_f64 v[151:152], v[145:146], v[16:17]
	v_mul_f64 v[16:17], v[147:148], v[16:17]
	v_fma_f64 v[153:154], v[4:5], v[10:11], v[153:154]
	v_fma_f64 v[155:156], v[2:3], v[10:11], -v[12:13]
	ds_load_b128 v[2:5], v1 offset:640
	scratch_load_b128 v[10:13], off, off offset:304
	v_add_f64 v[39:40], v[39:40], v[133:134]
	v_add_f64 v[149:150], v[149:150], v[135:136]
	ds_load_b128 v[133:136], v1 offset:656
	v_fma_f64 v[147:148], v[147:148], v[14:15], v[151:152]
	v_fma_f64 v[145:146], v[145:146], v[14:15], -v[16:17]
	scratch_load_b128 v[14:17], off, off offset:320
	s_waitcnt vmcnt(10) lgkmcnt(1)
	v_mul_f64 v[157:158], v[2:3], v[20:21]
	v_mul_f64 v[20:21], v[4:5], v[20:21]
	s_waitcnt vmcnt(9) lgkmcnt(0)
	v_mul_f64 v[151:152], v[133:134], v[24:25]
	v_mul_f64 v[24:25], v[135:136], v[24:25]
	v_add_f64 v[39:40], v[39:40], v[155:156]
	v_add_f64 v[149:150], v[149:150], v[153:154]
	v_fma_f64 v[153:154], v[4:5], v[18:19], v[157:158]
	v_fma_f64 v[155:156], v[2:3], v[18:19], -v[20:21]
	ds_load_b128 v[2:5], v1 offset:672
	scratch_load_b128 v[18:21], off, off offset:336
	v_fma_f64 v[135:136], v[135:136], v[22:23], v[151:152]
	v_fma_f64 v[133:134], v[133:134], v[22:23], -v[24:25]
	scratch_load_b128 v[22:25], off, off offset:352
	v_add_f64 v[39:40], v[39:40], v[145:146]
	v_add_f64 v[149:150], v[149:150], v[147:148]
	ds_load_b128 v[145:148], v1 offset:688
	s_waitcnt vmcnt(10) lgkmcnt(1)
	v_mul_f64 v[157:158], v[2:3], v[28:29]
	v_mul_f64 v[28:29], v[4:5], v[28:29]
	s_waitcnt vmcnt(9) lgkmcnt(0)
	v_mul_f64 v[151:152], v[145:146], v[32:33]
	v_mul_f64 v[32:33], v[147:148], v[32:33]
	v_add_f64 v[39:40], v[39:40], v[155:156]
	v_add_f64 v[149:150], v[149:150], v[153:154]
	v_fma_f64 v[153:154], v[4:5], v[26:27], v[157:158]
	v_fma_f64 v[155:156], v[2:3], v[26:27], -v[28:29]
	ds_load_b128 v[2:5], v1 offset:704
	scratch_load_b128 v[26:29], off, off offset:368
	v_fma_f64 v[147:148], v[147:148], v[30:31], v[151:152]
	v_fma_f64 v[145:146], v[145:146], v[30:31], -v[32:33]
	scratch_load_b128 v[30:33], off, off offset:384
	v_add_f64 v[39:40], v[39:40], v[133:134]
	v_add_f64 v[149:150], v[149:150], v[135:136]
	ds_load_b128 v[133:136], v1 offset:720
	s_waitcnt vmcnt(10) lgkmcnt(1)
	v_mul_f64 v[157:158], v[2:3], v[36:37]
	v_mul_f64 v[36:37], v[4:5], v[36:37]
	s_waitcnt vmcnt(8) lgkmcnt(0)
	v_mul_f64 v[151:152], v[133:134], v[143:144]
	v_add_f64 v[39:40], v[39:40], v[155:156]
	v_add_f64 v[149:150], v[149:150], v[153:154]
	v_mul_f64 v[153:154], v[135:136], v[143:144]
	v_fma_f64 v[155:156], v[4:5], v[34:35], v[157:158]
	v_fma_f64 v[157:158], v[2:3], v[34:35], -v[36:37]
	ds_load_b128 v[2:5], v1 offset:736
	scratch_load_b128 v[34:37], off, off offset:400
	v_fma_f64 v[135:136], v[135:136], v[141:142], v[151:152]
	v_add_f64 v[39:40], v[39:40], v[145:146]
	v_add_f64 v[147:148], v[149:150], v[147:148]
	ds_load_b128 v[143:146], v1 offset:752
	v_fma_f64 v[141:142], v[133:134], v[141:142], -v[153:154]
	ds_load_b128 v[151:154], v1 offset:784
	s_waitcnt vmcnt(8) lgkmcnt(2)
	v_mul_f64 v[149:150], v[2:3], v[131:132]
	v_mul_f64 v[159:160], v[4:5], v[131:132]
	scratch_load_b128 v[131:134], off, off offset:416
	v_add_f64 v[39:40], v[39:40], v[157:158]
	v_add_f64 v[147:148], v[147:148], v[155:156]
	s_waitcnt vmcnt(8) lgkmcnt(1)
	v_mul_f64 v[155:156], v[143:144], v[8:9]
	v_mul_f64 v[8:9], v[145:146], v[8:9]
	v_fma_f64 v[157:158], v[4:5], v[129:130], v[149:150]
	v_fma_f64 v[129:130], v[2:3], v[129:130], -v[159:160]
	ds_load_b128 v[2:5], v1 offset:768
	v_add_f64 v[39:40], v[39:40], v[141:142]
	v_add_f64 v[135:136], v[147:148], v[135:136]
	scratch_load_b128 v[147:150], off, off offset:432
	s_waitcnt vmcnt(8) lgkmcnt(0)
	v_mul_f64 v[141:142], v[2:3], v[12:13]
	v_mul_f64 v[12:13], v[4:5], v[12:13]
	v_fma_f64 v[145:146], v[145:146], v[6:7], v[155:156]
	v_fma_f64 v[143:144], v[143:144], v[6:7], -v[8:9]
	scratch_load_b128 v[6:9], off, off offset:448
	v_add_f64 v[39:40], v[39:40], v[129:130]
	v_add_f64 v[129:130], v[135:136], v[157:158]
	s_waitcnt vmcnt(8)
	v_mul_f64 v[135:136], v[151:152], v[16:17]
	v_mul_f64 v[16:17], v[153:154], v[16:17]
	v_fma_f64 v[141:142], v[4:5], v[10:11], v[141:142]
	v_fma_f64 v[155:156], v[2:3], v[10:11], -v[12:13]
	ds_load_b128 v[2:5], v1 offset:800
	ds_load_b128 v[10:13], v1 offset:816
	v_add_f64 v[39:40], v[39:40], v[143:144]
	v_add_f64 v[129:130], v[129:130], v[145:146]
	s_waitcnt vmcnt(7) lgkmcnt(1)
	v_mul_f64 v[143:144], v[2:3], v[20:21]
	v_mul_f64 v[20:21], v[4:5], v[20:21]
	v_fma_f64 v[135:136], v[153:154], v[14:15], v[135:136]
	v_fma_f64 v[14:15], v[151:152], v[14:15], -v[16:17]
	v_add_f64 v[16:17], v[39:40], v[155:156]
	v_add_f64 v[39:40], v[129:130], v[141:142]
	s_waitcnt vmcnt(6) lgkmcnt(0)
	v_mul_f64 v[129:130], v[10:11], v[24:25]
	v_mul_f64 v[24:25], v[12:13], v[24:25]
	v_fma_f64 v[141:142], v[4:5], v[18:19], v[143:144]
	v_fma_f64 v[18:19], v[2:3], v[18:19], -v[20:21]
	v_add_f64 v[20:21], v[16:17], v[14:15]
	v_add_f64 v[39:40], v[39:40], v[135:136]
	ds_load_b128 v[2:5], v1 offset:832
	ds_load_b128 v[14:17], v1 offset:848
	v_fma_f64 v[12:13], v[12:13], v[22:23], v[129:130]
	v_fma_f64 v[10:11], v[10:11], v[22:23], -v[24:25]
	s_waitcnt vmcnt(5) lgkmcnt(1)
	v_mul_f64 v[135:136], v[2:3], v[28:29]
	v_mul_f64 v[28:29], v[4:5], v[28:29]
	s_waitcnt vmcnt(4) lgkmcnt(0)
	v_mul_f64 v[22:23], v[14:15], v[32:33]
	v_mul_f64 v[24:25], v[16:17], v[32:33]
	v_add_f64 v[18:19], v[20:21], v[18:19]
	v_add_f64 v[20:21], v[39:40], v[141:142]
	v_fma_f64 v[32:33], v[4:5], v[26:27], v[135:136]
	v_fma_f64 v[26:27], v[2:3], v[26:27], -v[28:29]
	v_fma_f64 v[16:17], v[16:17], v[30:31], v[22:23]
	v_fma_f64 v[14:15], v[14:15], v[30:31], -v[24:25]
	v_add_f64 v[18:19], v[18:19], v[10:11]
	v_add_f64 v[20:21], v[20:21], v[12:13]
	ds_load_b128 v[2:5], v1 offset:864
	ds_load_b128 v[10:13], v1 offset:880
	s_waitcnt vmcnt(3) lgkmcnt(1)
	v_mul_f64 v[28:29], v[2:3], v[36:37]
	v_mul_f64 v[36:37], v[4:5], v[36:37]
	s_waitcnt vmcnt(2) lgkmcnt(0)
	v_mul_f64 v[22:23], v[10:11], v[133:134]
	v_add_f64 v[18:19], v[18:19], v[26:27]
	v_add_f64 v[20:21], v[20:21], v[32:33]
	v_mul_f64 v[24:25], v[12:13], v[133:134]
	v_fma_f64 v[26:27], v[4:5], v[34:35], v[28:29]
	v_fma_f64 v[28:29], v[2:3], v[34:35], -v[36:37]
	v_fma_f64 v[12:13], v[12:13], v[131:132], v[22:23]
	v_add_f64 v[18:19], v[18:19], v[14:15]
	v_add_f64 v[20:21], v[20:21], v[16:17]
	ds_load_b128 v[2:5], v1 offset:896
	ds_load_b128 v[14:17], v1 offset:912
	v_fma_f64 v[10:11], v[10:11], v[131:132], -v[24:25]
	s_waitcnt vmcnt(1) lgkmcnt(1)
	v_mul_f64 v[30:31], v[2:3], v[149:150]
	v_mul_f64 v[32:33], v[4:5], v[149:150]
	s_waitcnt vmcnt(0) lgkmcnt(0)
	v_mul_f64 v[22:23], v[14:15], v[8:9]
	v_mul_f64 v[8:9], v[16:17], v[8:9]
	v_add_f64 v[18:19], v[18:19], v[28:29]
	v_add_f64 v[20:21], v[20:21], v[26:27]
	v_fma_f64 v[4:5], v[4:5], v[147:148], v[30:31]
	v_fma_f64 v[1:2], v[2:3], v[147:148], -v[32:33]
	v_fma_f64 v[16:17], v[16:17], v[6:7], v[22:23]
	v_fma_f64 v[6:7], v[14:15], v[6:7], -v[8:9]
	v_add_f64 v[10:11], v[18:19], v[10:11]
	v_add_f64 v[12:13], v[20:21], v[12:13]
	s_delay_alu instid0(VALU_DEP_2) | instskip(NEXT) | instid1(VALU_DEP_2)
	v_add_f64 v[1:2], v[10:11], v[1:2]
	v_add_f64 v[3:4], v[12:13], v[4:5]
	s_delay_alu instid0(VALU_DEP_2) | instskip(NEXT) | instid1(VALU_DEP_2)
	;; [unrolled: 3-line block ×3, first 2 shown]
	v_add_f64 v[1:2], v[137:138], -v[1:2]
	v_add_f64 v[3:4], v[139:140], -v[3:4]
	scratch_store_b128 off, v[1:4], off offset:96
	v_cmpx_lt_u32_e32 5, v100
	s_cbranch_execz .LBB92_177
; %bb.176:
	scratch_load_b128 v[1:4], v117, off
	v_mov_b32_e32 v5, 0
	s_delay_alu instid0(VALU_DEP_1)
	v_mov_b32_e32 v6, v5
	v_mov_b32_e32 v7, v5
	;; [unrolled: 1-line block ×3, first 2 shown]
	scratch_store_b128 off, v[5:8], off offset:80
	s_waitcnt vmcnt(0)
	ds_store_b128 v38, v[1:4]
.LBB92_177:
	s_or_b32 exec_lo, exec_lo, s2
	s_waitcnt lgkmcnt(0)
	s_waitcnt_vscnt null, 0x0
	s_barrier
	buffer_gl0_inv
	s_clause 0x7
	scratch_load_b128 v[2:5], off, off offset:96
	scratch_load_b128 v[6:9], off, off offset:112
	;; [unrolled: 1-line block ×8, first 2 shown]
	v_mov_b32_e32 v1, 0
	s_mov_b32 s2, exec_lo
	ds_load_b128 v[34:37], v1 offset:560
	s_clause 0x1
	scratch_load_b128 v[129:132], off, off offset:224
	scratch_load_b128 v[133:136], off, off offset:80
	ds_load_b128 v[137:140], v1 offset:576
	scratch_load_b128 v[141:144], off, off offset:240
	ds_load_b128 v[145:148], v1 offset:608
	s_waitcnt vmcnt(10) lgkmcnt(2)
	v_mul_f64 v[39:40], v[36:37], v[4:5]
	v_mul_f64 v[4:5], v[34:35], v[4:5]
	s_delay_alu instid0(VALU_DEP_2) | instskip(NEXT) | instid1(VALU_DEP_2)
	v_fma_f64 v[39:40], v[34:35], v[2:3], -v[39:40]
	v_fma_f64 v[151:152], v[36:37], v[2:3], v[4:5]
	ds_load_b128 v[2:5], v1 offset:592
	s_waitcnt vmcnt(9) lgkmcnt(2)
	v_mul_f64 v[149:150], v[137:138], v[8:9]
	v_mul_f64 v[8:9], v[139:140], v[8:9]
	scratch_load_b128 v[34:37], off, off offset:256
	s_waitcnt vmcnt(9) lgkmcnt(0)
	v_mul_f64 v[153:154], v[2:3], v[12:13]
	v_mul_f64 v[12:13], v[4:5], v[12:13]
	v_add_f64 v[39:40], v[39:40], 0
	v_fma_f64 v[139:140], v[139:140], v[6:7], v[149:150]
	v_fma_f64 v[137:138], v[137:138], v[6:7], -v[8:9]
	v_add_f64 v[149:150], v[151:152], 0
	scratch_load_b128 v[6:9], off, off offset:272
	v_fma_f64 v[153:154], v[4:5], v[10:11], v[153:154]
	v_fma_f64 v[155:156], v[2:3], v[10:11], -v[12:13]
	scratch_load_b128 v[10:13], off, off offset:288
	ds_load_b128 v[2:5], v1 offset:624
	s_waitcnt vmcnt(10)
	v_mul_f64 v[151:152], v[145:146], v[16:17]
	v_mul_f64 v[16:17], v[147:148], v[16:17]
	v_add_f64 v[39:40], v[39:40], v[137:138]
	v_add_f64 v[149:150], v[149:150], v[139:140]
	ds_load_b128 v[137:140], v1 offset:640
	s_waitcnt vmcnt(9) lgkmcnt(1)
	v_mul_f64 v[157:158], v[2:3], v[20:21]
	v_mul_f64 v[20:21], v[4:5], v[20:21]
	v_fma_f64 v[147:148], v[147:148], v[14:15], v[151:152]
	v_fma_f64 v[145:146], v[145:146], v[14:15], -v[16:17]
	scratch_load_b128 v[14:17], off, off offset:304
	v_add_f64 v[39:40], v[39:40], v[155:156]
	v_add_f64 v[149:150], v[149:150], v[153:154]
	v_fma_f64 v[153:154], v[4:5], v[18:19], v[157:158]
	v_fma_f64 v[155:156], v[2:3], v[18:19], -v[20:21]
	scratch_load_b128 v[18:21], off, off offset:320
	ds_load_b128 v[2:5], v1 offset:656
	s_waitcnt vmcnt(10) lgkmcnt(1)
	v_mul_f64 v[151:152], v[137:138], v[24:25]
	v_mul_f64 v[24:25], v[139:140], v[24:25]
	s_waitcnt vmcnt(9) lgkmcnt(0)
	v_mul_f64 v[157:158], v[2:3], v[28:29]
	v_mul_f64 v[28:29], v[4:5], v[28:29]
	v_add_f64 v[39:40], v[39:40], v[145:146]
	v_add_f64 v[149:150], v[149:150], v[147:148]
	ds_load_b128 v[145:148], v1 offset:672
	v_fma_f64 v[139:140], v[139:140], v[22:23], v[151:152]
	v_fma_f64 v[137:138], v[137:138], v[22:23], -v[24:25]
	scratch_load_b128 v[22:25], off, off offset:336
	v_add_f64 v[39:40], v[39:40], v[155:156]
	v_add_f64 v[149:150], v[149:150], v[153:154]
	v_fma_f64 v[153:154], v[4:5], v[26:27], v[157:158]
	v_fma_f64 v[155:156], v[2:3], v[26:27], -v[28:29]
	scratch_load_b128 v[26:29], off, off offset:352
	ds_load_b128 v[2:5], v1 offset:688
	s_waitcnt vmcnt(10) lgkmcnt(1)
	v_mul_f64 v[151:152], v[145:146], v[32:33]
	v_mul_f64 v[32:33], v[147:148], v[32:33]
	s_waitcnt vmcnt(9) lgkmcnt(0)
	v_mul_f64 v[157:158], v[2:3], v[131:132]
	v_mul_f64 v[131:132], v[4:5], v[131:132]
	v_add_f64 v[39:40], v[39:40], v[137:138]
	v_add_f64 v[149:150], v[149:150], v[139:140]
	ds_load_b128 v[137:140], v1 offset:704
	v_fma_f64 v[147:148], v[147:148], v[30:31], v[151:152]
	v_fma_f64 v[145:146], v[145:146], v[30:31], -v[32:33]
	scratch_load_b128 v[30:33], off, off offset:368
	v_add_f64 v[39:40], v[39:40], v[155:156]
	v_add_f64 v[149:150], v[149:150], v[153:154]
	v_fma_f64 v[155:156], v[4:5], v[129:130], v[157:158]
	v_fma_f64 v[157:158], v[2:3], v[129:130], -v[131:132]
	scratch_load_b128 v[129:132], off, off offset:384
	ds_load_b128 v[2:5], v1 offset:720
	s_waitcnt vmcnt(9) lgkmcnt(1)
	v_mul_f64 v[151:152], v[137:138], v[143:144]
	v_mul_f64 v[153:154], v[139:140], v[143:144]
	v_add_f64 v[39:40], v[39:40], v[145:146]
	v_add_f64 v[147:148], v[149:150], v[147:148]
	ds_load_b128 v[143:146], v1 offset:736
	v_fma_f64 v[151:152], v[139:140], v[141:142], v[151:152]
	v_fma_f64 v[141:142], v[137:138], v[141:142], -v[153:154]
	scratch_load_b128 v[137:140], off, off offset:400
	s_waitcnt vmcnt(9) lgkmcnt(1)
	v_mul_f64 v[149:150], v[2:3], v[36:37]
	v_mul_f64 v[36:37], v[4:5], v[36:37]
	v_add_f64 v[39:40], v[39:40], v[157:158]
	v_add_f64 v[147:148], v[147:148], v[155:156]
	s_delay_alu instid0(VALU_DEP_4) | instskip(NEXT) | instid1(VALU_DEP_4)
	v_fma_f64 v[155:156], v[4:5], v[34:35], v[149:150]
	v_fma_f64 v[157:158], v[2:3], v[34:35], -v[36:37]
	scratch_load_b128 v[34:37], off, off offset:416
	ds_load_b128 v[2:5], v1 offset:752
	s_waitcnt vmcnt(9) lgkmcnt(1)
	v_mul_f64 v[153:154], v[143:144], v[8:9]
	v_mul_f64 v[8:9], v[145:146], v[8:9]
	v_add_f64 v[39:40], v[39:40], v[141:142]
	v_add_f64 v[141:142], v[147:148], v[151:152]
	s_waitcnt vmcnt(8) lgkmcnt(0)
	v_mul_f64 v[151:152], v[2:3], v[12:13]
	v_mul_f64 v[12:13], v[4:5], v[12:13]
	ds_load_b128 v[147:150], v1 offset:768
	v_fma_f64 v[145:146], v[145:146], v[6:7], v[153:154]
	v_fma_f64 v[143:144], v[143:144], v[6:7], -v[8:9]
	scratch_load_b128 v[6:9], off, off offset:432
	v_add_f64 v[39:40], v[39:40], v[157:158]
	v_add_f64 v[141:142], v[141:142], v[155:156]
	v_fma_f64 v[151:152], v[4:5], v[10:11], v[151:152]
	v_fma_f64 v[155:156], v[2:3], v[10:11], -v[12:13]
	scratch_load_b128 v[10:13], off, off offset:448
	ds_load_b128 v[2:5], v1 offset:784
	s_waitcnt vmcnt(9) lgkmcnt(1)
	v_mul_f64 v[153:154], v[147:148], v[16:17]
	v_mul_f64 v[16:17], v[149:150], v[16:17]
	s_waitcnt vmcnt(8) lgkmcnt(0)
	v_mul_f64 v[157:158], v[2:3], v[20:21]
	v_mul_f64 v[20:21], v[4:5], v[20:21]
	v_add_f64 v[39:40], v[39:40], v[143:144]
	v_add_f64 v[145:146], v[141:142], v[145:146]
	ds_load_b128 v[141:144], v1 offset:800
	v_fma_f64 v[149:150], v[149:150], v[14:15], v[153:154]
	v_fma_f64 v[14:15], v[147:148], v[14:15], -v[16:17]
	v_fma_f64 v[147:148], v[4:5], v[18:19], v[157:158]
	v_fma_f64 v[18:19], v[2:3], v[18:19], -v[20:21]
	v_add_f64 v[16:17], v[39:40], v[155:156]
	v_add_f64 v[39:40], v[145:146], v[151:152]
	s_waitcnt vmcnt(7) lgkmcnt(0)
	v_mul_f64 v[145:146], v[141:142], v[24:25]
	v_mul_f64 v[24:25], v[143:144], v[24:25]
	s_delay_alu instid0(VALU_DEP_4) | instskip(NEXT) | instid1(VALU_DEP_4)
	v_add_f64 v[20:21], v[16:17], v[14:15]
	v_add_f64 v[39:40], v[39:40], v[149:150]
	ds_load_b128 v[2:5], v1 offset:816
	ds_load_b128 v[14:17], v1 offset:832
	v_fma_f64 v[143:144], v[143:144], v[22:23], v[145:146]
	v_fma_f64 v[22:23], v[141:142], v[22:23], -v[24:25]
	s_waitcnt vmcnt(6) lgkmcnt(1)
	v_mul_f64 v[149:150], v[2:3], v[28:29]
	v_mul_f64 v[28:29], v[4:5], v[28:29]
	s_waitcnt vmcnt(5) lgkmcnt(0)
	v_mul_f64 v[24:25], v[14:15], v[32:33]
	v_mul_f64 v[32:33], v[16:17], v[32:33]
	v_add_f64 v[18:19], v[20:21], v[18:19]
	v_add_f64 v[20:21], v[39:40], v[147:148]
	v_fma_f64 v[39:40], v[4:5], v[26:27], v[149:150]
	v_fma_f64 v[26:27], v[2:3], v[26:27], -v[28:29]
	v_fma_f64 v[16:17], v[16:17], v[30:31], v[24:25]
	v_fma_f64 v[14:15], v[14:15], v[30:31], -v[32:33]
	v_add_f64 v[22:23], v[18:19], v[22:23]
	v_add_f64 v[28:29], v[20:21], v[143:144]
	ds_load_b128 v[2:5], v1 offset:848
	ds_load_b128 v[18:21], v1 offset:864
	s_waitcnt vmcnt(4) lgkmcnt(1)
	v_mul_f64 v[141:142], v[2:3], v[131:132]
	v_mul_f64 v[131:132], v[4:5], v[131:132]
	v_add_f64 v[22:23], v[22:23], v[26:27]
	v_add_f64 v[24:25], v[28:29], v[39:40]
	s_waitcnt vmcnt(3) lgkmcnt(0)
	v_mul_f64 v[26:27], v[18:19], v[139:140]
	v_mul_f64 v[28:29], v[20:21], v[139:140]
	v_fma_f64 v[30:31], v[4:5], v[129:130], v[141:142]
	v_fma_f64 v[32:33], v[2:3], v[129:130], -v[131:132]
	v_add_f64 v[22:23], v[22:23], v[14:15]
	v_add_f64 v[24:25], v[24:25], v[16:17]
	ds_load_b128 v[2:5], v1 offset:880
	ds_load_b128 v[14:17], v1 offset:896
	v_fma_f64 v[20:21], v[20:21], v[137:138], v[26:27]
	v_fma_f64 v[18:19], v[18:19], v[137:138], -v[28:29]
	s_waitcnt vmcnt(2) lgkmcnt(1)
	v_mul_f64 v[39:40], v[2:3], v[36:37]
	v_mul_f64 v[36:37], v[4:5], v[36:37]
	v_add_f64 v[22:23], v[22:23], v[32:33]
	v_add_f64 v[24:25], v[24:25], v[30:31]
	s_waitcnt vmcnt(1) lgkmcnt(0)
	v_mul_f64 v[26:27], v[14:15], v[8:9]
	v_mul_f64 v[8:9], v[16:17], v[8:9]
	v_fma_f64 v[28:29], v[4:5], v[34:35], v[39:40]
	v_fma_f64 v[30:31], v[2:3], v[34:35], -v[36:37]
	ds_load_b128 v[2:5], v1 offset:912
	v_add_f64 v[18:19], v[22:23], v[18:19]
	v_add_f64 v[20:21], v[24:25], v[20:21]
	v_fma_f64 v[16:17], v[16:17], v[6:7], v[26:27]
	v_fma_f64 v[6:7], v[14:15], v[6:7], -v[8:9]
	s_waitcnt vmcnt(0) lgkmcnt(0)
	v_mul_f64 v[22:23], v[2:3], v[12:13]
	v_mul_f64 v[12:13], v[4:5], v[12:13]
	v_add_f64 v[8:9], v[18:19], v[30:31]
	v_add_f64 v[14:15], v[20:21], v[28:29]
	s_delay_alu instid0(VALU_DEP_4) | instskip(NEXT) | instid1(VALU_DEP_4)
	v_fma_f64 v[4:5], v[4:5], v[10:11], v[22:23]
	v_fma_f64 v[2:3], v[2:3], v[10:11], -v[12:13]
	s_delay_alu instid0(VALU_DEP_4) | instskip(NEXT) | instid1(VALU_DEP_4)
	v_add_f64 v[6:7], v[8:9], v[6:7]
	v_add_f64 v[8:9], v[14:15], v[16:17]
	s_delay_alu instid0(VALU_DEP_2) | instskip(NEXT) | instid1(VALU_DEP_2)
	v_add_f64 v[2:3], v[6:7], v[2:3]
	v_add_f64 v[4:5], v[8:9], v[4:5]
	s_delay_alu instid0(VALU_DEP_2) | instskip(NEXT) | instid1(VALU_DEP_2)
	v_add_f64 v[2:3], v[133:134], -v[2:3]
	v_add_f64 v[4:5], v[135:136], -v[4:5]
	scratch_store_b128 off, v[2:5], off offset:80
	v_cmpx_lt_u32_e32 4, v100
	s_cbranch_execz .LBB92_179
; %bb.178:
	scratch_load_b128 v[5:8], v101, off
	v_mov_b32_e32 v2, v1
	v_mov_b32_e32 v3, v1
	;; [unrolled: 1-line block ×3, first 2 shown]
	scratch_store_b128 off, v[1:4], off offset:64
	s_waitcnt vmcnt(0)
	ds_store_b128 v38, v[5:8]
.LBB92_179:
	s_or_b32 exec_lo, exec_lo, s2
	s_waitcnt lgkmcnt(0)
	s_waitcnt_vscnt null, 0x0
	s_barrier
	buffer_gl0_inv
	s_clause 0x8
	scratch_load_b128 v[2:5], off, off offset:80
	scratch_load_b128 v[6:9], off, off offset:96
	;; [unrolled: 1-line block ×9, first 2 shown]
	ds_load_b128 v[129:132], v1 offset:544
	ds_load_b128 v[133:136], v1 offset:560
	s_clause 0x1
	scratch_load_b128 v[137:140], off, off offset:64
	scratch_load_b128 v[141:144], off, off offset:224
	s_mov_b32 s2, exec_lo
	ds_load_b128 v[145:148], v1 offset:592
	s_waitcnt vmcnt(10) lgkmcnt(2)
	v_mul_f64 v[39:40], v[131:132], v[4:5]
	v_mul_f64 v[4:5], v[129:130], v[4:5]
	s_waitcnt vmcnt(9) lgkmcnt(1)
	v_mul_f64 v[149:150], v[133:134], v[8:9]
	v_mul_f64 v[8:9], v[135:136], v[8:9]
	s_delay_alu instid0(VALU_DEP_4) | instskip(NEXT) | instid1(VALU_DEP_4)
	v_fma_f64 v[39:40], v[129:130], v[2:3], -v[39:40]
	v_fma_f64 v[151:152], v[131:132], v[2:3], v[4:5]
	ds_load_b128 v[2:5], v1 offset:576
	scratch_load_b128 v[129:132], off, off offset:240
	v_fma_f64 v[135:136], v[135:136], v[6:7], v[149:150]
	v_fma_f64 v[133:134], v[133:134], v[6:7], -v[8:9]
	scratch_load_b128 v[6:9], off, off offset:256
	s_waitcnt vmcnt(10) lgkmcnt(0)
	v_mul_f64 v[153:154], v[2:3], v[12:13]
	v_mul_f64 v[12:13], v[4:5], v[12:13]
	v_add_f64 v[39:40], v[39:40], 0
	v_add_f64 v[149:150], v[151:152], 0
	s_waitcnt vmcnt(9)
	v_mul_f64 v[151:152], v[145:146], v[16:17]
	v_mul_f64 v[16:17], v[147:148], v[16:17]
	v_fma_f64 v[153:154], v[4:5], v[10:11], v[153:154]
	v_fma_f64 v[155:156], v[2:3], v[10:11], -v[12:13]
	ds_load_b128 v[2:5], v1 offset:608
	scratch_load_b128 v[10:13], off, off offset:272
	v_add_f64 v[39:40], v[39:40], v[133:134]
	v_add_f64 v[149:150], v[149:150], v[135:136]
	ds_load_b128 v[133:136], v1 offset:624
	v_fma_f64 v[147:148], v[147:148], v[14:15], v[151:152]
	v_fma_f64 v[145:146], v[145:146], v[14:15], -v[16:17]
	scratch_load_b128 v[14:17], off, off offset:288
	s_waitcnt vmcnt(10) lgkmcnt(1)
	v_mul_f64 v[157:158], v[2:3], v[20:21]
	v_mul_f64 v[20:21], v[4:5], v[20:21]
	s_waitcnt vmcnt(9) lgkmcnt(0)
	v_mul_f64 v[151:152], v[133:134], v[24:25]
	v_mul_f64 v[24:25], v[135:136], v[24:25]
	v_add_f64 v[39:40], v[39:40], v[155:156]
	v_add_f64 v[149:150], v[149:150], v[153:154]
	v_fma_f64 v[153:154], v[4:5], v[18:19], v[157:158]
	v_fma_f64 v[155:156], v[2:3], v[18:19], -v[20:21]
	ds_load_b128 v[2:5], v1 offset:640
	scratch_load_b128 v[18:21], off, off offset:304
	v_fma_f64 v[135:136], v[135:136], v[22:23], v[151:152]
	v_fma_f64 v[133:134], v[133:134], v[22:23], -v[24:25]
	scratch_load_b128 v[22:25], off, off offset:320
	v_add_f64 v[39:40], v[39:40], v[145:146]
	v_add_f64 v[149:150], v[149:150], v[147:148]
	ds_load_b128 v[145:148], v1 offset:656
	s_waitcnt vmcnt(10) lgkmcnt(1)
	v_mul_f64 v[157:158], v[2:3], v[28:29]
	v_mul_f64 v[28:29], v[4:5], v[28:29]
	s_waitcnt vmcnt(9) lgkmcnt(0)
	v_mul_f64 v[151:152], v[145:146], v[32:33]
	v_mul_f64 v[32:33], v[147:148], v[32:33]
	v_add_f64 v[39:40], v[39:40], v[155:156]
	v_add_f64 v[149:150], v[149:150], v[153:154]
	v_fma_f64 v[153:154], v[4:5], v[26:27], v[157:158]
	v_fma_f64 v[155:156], v[2:3], v[26:27], -v[28:29]
	ds_load_b128 v[2:5], v1 offset:672
	scratch_load_b128 v[26:29], off, off offset:336
	v_fma_f64 v[147:148], v[147:148], v[30:31], v[151:152]
	v_fma_f64 v[145:146], v[145:146], v[30:31], -v[32:33]
	scratch_load_b128 v[30:33], off, off offset:352
	v_add_f64 v[39:40], v[39:40], v[133:134]
	v_add_f64 v[149:150], v[149:150], v[135:136]
	ds_load_b128 v[133:136], v1 offset:688
	s_waitcnt vmcnt(10) lgkmcnt(1)
	v_mul_f64 v[157:158], v[2:3], v[36:37]
	v_mul_f64 v[36:37], v[4:5], v[36:37]
	s_waitcnt vmcnt(8) lgkmcnt(0)
	v_mul_f64 v[151:152], v[133:134], v[143:144]
	v_add_f64 v[39:40], v[39:40], v[155:156]
	v_add_f64 v[149:150], v[149:150], v[153:154]
	v_mul_f64 v[153:154], v[135:136], v[143:144]
	v_fma_f64 v[155:156], v[4:5], v[34:35], v[157:158]
	v_fma_f64 v[157:158], v[2:3], v[34:35], -v[36:37]
	ds_load_b128 v[2:5], v1 offset:704
	scratch_load_b128 v[34:37], off, off offset:368
	v_fma_f64 v[135:136], v[135:136], v[141:142], v[151:152]
	v_add_f64 v[39:40], v[39:40], v[145:146]
	v_add_f64 v[147:148], v[149:150], v[147:148]
	ds_load_b128 v[143:146], v1 offset:720
	v_fma_f64 v[141:142], v[133:134], v[141:142], -v[153:154]
	ds_load_b128 v[151:154], v1 offset:752
	s_waitcnt vmcnt(8) lgkmcnt(2)
	v_mul_f64 v[149:150], v[2:3], v[131:132]
	v_mul_f64 v[159:160], v[4:5], v[131:132]
	scratch_load_b128 v[131:134], off, off offset:384
	v_add_f64 v[39:40], v[39:40], v[157:158]
	v_add_f64 v[147:148], v[147:148], v[155:156]
	s_waitcnt vmcnt(8) lgkmcnt(1)
	v_mul_f64 v[155:156], v[143:144], v[8:9]
	v_mul_f64 v[8:9], v[145:146], v[8:9]
	v_fma_f64 v[157:158], v[4:5], v[129:130], v[149:150]
	v_fma_f64 v[129:130], v[2:3], v[129:130], -v[159:160]
	ds_load_b128 v[2:5], v1 offset:736
	v_add_f64 v[39:40], v[39:40], v[141:142]
	v_add_f64 v[135:136], v[147:148], v[135:136]
	scratch_load_b128 v[147:150], off, off offset:400
	s_waitcnt vmcnt(8) lgkmcnt(0)
	v_mul_f64 v[141:142], v[2:3], v[12:13]
	v_mul_f64 v[12:13], v[4:5], v[12:13]
	v_fma_f64 v[145:146], v[145:146], v[6:7], v[155:156]
	v_fma_f64 v[143:144], v[143:144], v[6:7], -v[8:9]
	scratch_load_b128 v[6:9], off, off offset:416
	v_add_f64 v[39:40], v[39:40], v[129:130]
	v_add_f64 v[129:130], v[135:136], v[157:158]
	s_waitcnt vmcnt(8)
	v_mul_f64 v[135:136], v[151:152], v[16:17]
	v_mul_f64 v[16:17], v[153:154], v[16:17]
	v_fma_f64 v[155:156], v[4:5], v[10:11], v[141:142]
	v_fma_f64 v[157:158], v[2:3], v[10:11], -v[12:13]
	ds_load_b128 v[2:5], v1 offset:768
	scratch_load_b128 v[10:13], off, off offset:432
	v_add_f64 v[39:40], v[39:40], v[143:144]
	v_add_f64 v[129:130], v[129:130], v[145:146]
	ds_load_b128 v[141:144], v1 offset:784
	s_waitcnt vmcnt(8) lgkmcnt(1)
	v_mul_f64 v[145:146], v[2:3], v[20:21]
	v_mul_f64 v[20:21], v[4:5], v[20:21]
	v_fma_f64 v[135:136], v[153:154], v[14:15], v[135:136]
	v_fma_f64 v[151:152], v[151:152], v[14:15], -v[16:17]
	scratch_load_b128 v[14:17], off, off offset:448
	s_waitcnt vmcnt(8) lgkmcnt(0)
	v_mul_f64 v[153:154], v[141:142], v[24:25]
	v_mul_f64 v[24:25], v[143:144], v[24:25]
	v_add_f64 v[39:40], v[39:40], v[157:158]
	v_add_f64 v[129:130], v[129:130], v[155:156]
	v_fma_f64 v[145:146], v[4:5], v[18:19], v[145:146]
	v_fma_f64 v[155:156], v[2:3], v[18:19], -v[20:21]
	ds_load_b128 v[2:5], v1 offset:800
	ds_load_b128 v[18:21], v1 offset:816
	v_fma_f64 v[143:144], v[143:144], v[22:23], v[153:154]
	v_fma_f64 v[22:23], v[141:142], v[22:23], -v[24:25]
	v_add_f64 v[39:40], v[39:40], v[151:152]
	v_add_f64 v[129:130], v[129:130], v[135:136]
	s_waitcnt vmcnt(7) lgkmcnt(1)
	v_mul_f64 v[135:136], v[2:3], v[28:29]
	v_mul_f64 v[28:29], v[4:5], v[28:29]
	s_delay_alu instid0(VALU_DEP_4) | instskip(NEXT) | instid1(VALU_DEP_4)
	v_add_f64 v[24:25], v[39:40], v[155:156]
	v_add_f64 v[39:40], v[129:130], v[145:146]
	s_waitcnt vmcnt(6) lgkmcnt(0)
	v_mul_f64 v[129:130], v[18:19], v[32:33]
	v_mul_f64 v[32:33], v[20:21], v[32:33]
	v_fma_f64 v[135:136], v[4:5], v[26:27], v[135:136]
	v_fma_f64 v[26:27], v[2:3], v[26:27], -v[28:29]
	v_add_f64 v[28:29], v[24:25], v[22:23]
	v_add_f64 v[39:40], v[39:40], v[143:144]
	ds_load_b128 v[2:5], v1 offset:832
	ds_load_b128 v[22:25], v1 offset:848
	v_fma_f64 v[20:21], v[20:21], v[30:31], v[129:130]
	v_fma_f64 v[18:19], v[18:19], v[30:31], -v[32:33]
	s_waitcnt vmcnt(5) lgkmcnt(1)
	v_mul_f64 v[141:142], v[2:3], v[36:37]
	v_mul_f64 v[36:37], v[4:5], v[36:37]
	s_waitcnt vmcnt(4) lgkmcnt(0)
	v_mul_f64 v[30:31], v[22:23], v[133:134]
	v_add_f64 v[26:27], v[28:29], v[26:27]
	v_add_f64 v[28:29], v[39:40], v[135:136]
	v_mul_f64 v[32:33], v[24:25], v[133:134]
	v_fma_f64 v[39:40], v[4:5], v[34:35], v[141:142]
	v_fma_f64 v[34:35], v[2:3], v[34:35], -v[36:37]
	v_fma_f64 v[24:25], v[24:25], v[131:132], v[30:31]
	v_add_f64 v[26:27], v[26:27], v[18:19]
	v_add_f64 v[28:29], v[28:29], v[20:21]
	ds_load_b128 v[2:5], v1 offset:864
	ds_load_b128 v[18:21], v1 offset:880
	v_fma_f64 v[22:23], v[22:23], v[131:132], -v[32:33]
	s_waitcnt vmcnt(3) lgkmcnt(1)
	v_mul_f64 v[36:37], v[2:3], v[149:150]
	v_mul_f64 v[129:130], v[4:5], v[149:150]
	s_waitcnt vmcnt(2) lgkmcnt(0)
	v_mul_f64 v[30:31], v[18:19], v[8:9]
	v_mul_f64 v[8:9], v[20:21], v[8:9]
	v_add_f64 v[26:27], v[26:27], v[34:35]
	v_add_f64 v[28:29], v[28:29], v[39:40]
	v_fma_f64 v[32:33], v[4:5], v[147:148], v[36:37]
	v_fma_f64 v[34:35], v[2:3], v[147:148], -v[129:130]
	v_fma_f64 v[20:21], v[20:21], v[6:7], v[30:31]
	v_fma_f64 v[6:7], v[18:19], v[6:7], -v[8:9]
	v_add_f64 v[26:27], v[26:27], v[22:23]
	v_add_f64 v[28:29], v[28:29], v[24:25]
	ds_load_b128 v[2:5], v1 offset:896
	ds_load_b128 v[22:25], v1 offset:912
	s_waitcnt vmcnt(1) lgkmcnt(1)
	v_mul_f64 v[36:37], v[2:3], v[12:13]
	v_mul_f64 v[12:13], v[4:5], v[12:13]
	v_add_f64 v[8:9], v[26:27], v[34:35]
	v_add_f64 v[18:19], v[28:29], v[32:33]
	s_waitcnt vmcnt(0) lgkmcnt(0)
	v_mul_f64 v[26:27], v[22:23], v[16:17]
	v_mul_f64 v[16:17], v[24:25], v[16:17]
	v_fma_f64 v[4:5], v[4:5], v[10:11], v[36:37]
	v_fma_f64 v[1:2], v[2:3], v[10:11], -v[12:13]
	v_add_f64 v[6:7], v[8:9], v[6:7]
	v_add_f64 v[8:9], v[18:19], v[20:21]
	v_fma_f64 v[10:11], v[24:25], v[14:15], v[26:27]
	v_fma_f64 v[12:13], v[22:23], v[14:15], -v[16:17]
	s_delay_alu instid0(VALU_DEP_4) | instskip(NEXT) | instid1(VALU_DEP_4)
	v_add_f64 v[1:2], v[6:7], v[1:2]
	v_add_f64 v[3:4], v[8:9], v[4:5]
	s_delay_alu instid0(VALU_DEP_2) | instskip(NEXT) | instid1(VALU_DEP_2)
	v_add_f64 v[1:2], v[1:2], v[12:13]
	v_add_f64 v[3:4], v[3:4], v[10:11]
	s_delay_alu instid0(VALU_DEP_2) | instskip(NEXT) | instid1(VALU_DEP_2)
	v_add_f64 v[1:2], v[137:138], -v[1:2]
	v_add_f64 v[3:4], v[139:140], -v[3:4]
	scratch_store_b128 off, v[1:4], off offset:64
	v_cmpx_lt_u32_e32 3, v100
	s_cbranch_execz .LBB92_181
; %bb.180:
	scratch_load_b128 v[1:4], v102, off
	v_mov_b32_e32 v5, 0
	s_delay_alu instid0(VALU_DEP_1)
	v_mov_b32_e32 v6, v5
	v_mov_b32_e32 v7, v5
	;; [unrolled: 1-line block ×3, first 2 shown]
	scratch_store_b128 off, v[5:8], off offset:48
	s_waitcnt vmcnt(0)
	ds_store_b128 v38, v[1:4]
.LBB92_181:
	s_or_b32 exec_lo, exec_lo, s2
	s_waitcnt lgkmcnt(0)
	s_waitcnt_vscnt null, 0x0
	s_barrier
	buffer_gl0_inv
	s_clause 0x7
	scratch_load_b128 v[2:5], off, off offset:64
	scratch_load_b128 v[6:9], off, off offset:80
	;; [unrolled: 1-line block ×8, first 2 shown]
	v_mov_b32_e32 v1, 0
	s_mov_b32 s2, exec_lo
	ds_load_b128 v[34:37], v1 offset:528
	s_clause 0x1
	scratch_load_b128 v[129:132], off, off offset:192
	scratch_load_b128 v[133:136], off, off offset:48
	ds_load_b128 v[137:140], v1 offset:544
	scratch_load_b128 v[141:144], off, off offset:208
	ds_load_b128 v[145:148], v1 offset:576
	s_waitcnt vmcnt(10) lgkmcnt(2)
	v_mul_f64 v[39:40], v[36:37], v[4:5]
	v_mul_f64 v[4:5], v[34:35], v[4:5]
	s_delay_alu instid0(VALU_DEP_2) | instskip(NEXT) | instid1(VALU_DEP_2)
	v_fma_f64 v[39:40], v[34:35], v[2:3], -v[39:40]
	v_fma_f64 v[151:152], v[36:37], v[2:3], v[4:5]
	ds_load_b128 v[2:5], v1 offset:560
	s_waitcnt vmcnt(9) lgkmcnt(2)
	v_mul_f64 v[149:150], v[137:138], v[8:9]
	v_mul_f64 v[8:9], v[139:140], v[8:9]
	scratch_load_b128 v[34:37], off, off offset:224
	s_waitcnt vmcnt(9) lgkmcnt(0)
	v_mul_f64 v[153:154], v[2:3], v[12:13]
	v_mul_f64 v[12:13], v[4:5], v[12:13]
	v_add_f64 v[39:40], v[39:40], 0
	v_fma_f64 v[139:140], v[139:140], v[6:7], v[149:150]
	v_fma_f64 v[137:138], v[137:138], v[6:7], -v[8:9]
	v_add_f64 v[149:150], v[151:152], 0
	scratch_load_b128 v[6:9], off, off offset:240
	v_fma_f64 v[153:154], v[4:5], v[10:11], v[153:154]
	v_fma_f64 v[155:156], v[2:3], v[10:11], -v[12:13]
	scratch_load_b128 v[10:13], off, off offset:256
	ds_load_b128 v[2:5], v1 offset:592
	s_waitcnt vmcnt(10)
	v_mul_f64 v[151:152], v[145:146], v[16:17]
	v_mul_f64 v[16:17], v[147:148], v[16:17]
	v_add_f64 v[39:40], v[39:40], v[137:138]
	v_add_f64 v[149:150], v[149:150], v[139:140]
	ds_load_b128 v[137:140], v1 offset:608
	s_waitcnt vmcnt(9) lgkmcnt(1)
	v_mul_f64 v[157:158], v[2:3], v[20:21]
	v_mul_f64 v[20:21], v[4:5], v[20:21]
	v_fma_f64 v[147:148], v[147:148], v[14:15], v[151:152]
	v_fma_f64 v[145:146], v[145:146], v[14:15], -v[16:17]
	scratch_load_b128 v[14:17], off, off offset:272
	v_add_f64 v[39:40], v[39:40], v[155:156]
	v_add_f64 v[149:150], v[149:150], v[153:154]
	v_fma_f64 v[153:154], v[4:5], v[18:19], v[157:158]
	v_fma_f64 v[155:156], v[2:3], v[18:19], -v[20:21]
	scratch_load_b128 v[18:21], off, off offset:288
	ds_load_b128 v[2:5], v1 offset:624
	s_waitcnt vmcnt(10) lgkmcnt(1)
	v_mul_f64 v[151:152], v[137:138], v[24:25]
	v_mul_f64 v[24:25], v[139:140], v[24:25]
	s_waitcnt vmcnt(9) lgkmcnt(0)
	v_mul_f64 v[157:158], v[2:3], v[28:29]
	v_mul_f64 v[28:29], v[4:5], v[28:29]
	v_add_f64 v[39:40], v[39:40], v[145:146]
	v_add_f64 v[149:150], v[149:150], v[147:148]
	ds_load_b128 v[145:148], v1 offset:640
	v_fma_f64 v[139:140], v[139:140], v[22:23], v[151:152]
	v_fma_f64 v[137:138], v[137:138], v[22:23], -v[24:25]
	scratch_load_b128 v[22:25], off, off offset:304
	v_add_f64 v[39:40], v[39:40], v[155:156]
	v_add_f64 v[149:150], v[149:150], v[153:154]
	v_fma_f64 v[153:154], v[4:5], v[26:27], v[157:158]
	v_fma_f64 v[155:156], v[2:3], v[26:27], -v[28:29]
	scratch_load_b128 v[26:29], off, off offset:320
	ds_load_b128 v[2:5], v1 offset:656
	s_waitcnt vmcnt(10) lgkmcnt(1)
	v_mul_f64 v[151:152], v[145:146], v[32:33]
	v_mul_f64 v[32:33], v[147:148], v[32:33]
	s_waitcnt vmcnt(9) lgkmcnt(0)
	v_mul_f64 v[157:158], v[2:3], v[131:132]
	v_mul_f64 v[131:132], v[4:5], v[131:132]
	v_add_f64 v[39:40], v[39:40], v[137:138]
	v_add_f64 v[149:150], v[149:150], v[139:140]
	ds_load_b128 v[137:140], v1 offset:672
	v_fma_f64 v[147:148], v[147:148], v[30:31], v[151:152]
	v_fma_f64 v[145:146], v[145:146], v[30:31], -v[32:33]
	scratch_load_b128 v[30:33], off, off offset:336
	v_add_f64 v[39:40], v[39:40], v[155:156]
	v_add_f64 v[149:150], v[149:150], v[153:154]
	v_fma_f64 v[155:156], v[4:5], v[129:130], v[157:158]
	v_fma_f64 v[157:158], v[2:3], v[129:130], -v[131:132]
	scratch_load_b128 v[129:132], off, off offset:352
	ds_load_b128 v[2:5], v1 offset:688
	s_waitcnt vmcnt(9) lgkmcnt(1)
	v_mul_f64 v[151:152], v[137:138], v[143:144]
	v_mul_f64 v[153:154], v[139:140], v[143:144]
	v_add_f64 v[39:40], v[39:40], v[145:146]
	v_add_f64 v[147:148], v[149:150], v[147:148]
	ds_load_b128 v[143:146], v1 offset:704
	v_fma_f64 v[151:152], v[139:140], v[141:142], v[151:152]
	v_fma_f64 v[141:142], v[137:138], v[141:142], -v[153:154]
	scratch_load_b128 v[137:140], off, off offset:368
	s_waitcnt vmcnt(9) lgkmcnt(1)
	v_mul_f64 v[149:150], v[2:3], v[36:37]
	v_mul_f64 v[36:37], v[4:5], v[36:37]
	v_add_f64 v[39:40], v[39:40], v[157:158]
	v_add_f64 v[147:148], v[147:148], v[155:156]
	s_delay_alu instid0(VALU_DEP_4) | instskip(NEXT) | instid1(VALU_DEP_4)
	v_fma_f64 v[155:156], v[4:5], v[34:35], v[149:150]
	v_fma_f64 v[157:158], v[2:3], v[34:35], -v[36:37]
	scratch_load_b128 v[34:37], off, off offset:384
	ds_load_b128 v[2:5], v1 offset:720
	s_waitcnt vmcnt(9) lgkmcnt(1)
	v_mul_f64 v[153:154], v[143:144], v[8:9]
	v_mul_f64 v[8:9], v[145:146], v[8:9]
	v_add_f64 v[39:40], v[39:40], v[141:142]
	v_add_f64 v[141:142], v[147:148], v[151:152]
	s_waitcnt vmcnt(8) lgkmcnt(0)
	v_mul_f64 v[151:152], v[2:3], v[12:13]
	v_mul_f64 v[12:13], v[4:5], v[12:13]
	ds_load_b128 v[147:150], v1 offset:736
	v_fma_f64 v[145:146], v[145:146], v[6:7], v[153:154]
	v_fma_f64 v[143:144], v[143:144], v[6:7], -v[8:9]
	scratch_load_b128 v[6:9], off, off offset:400
	v_add_f64 v[39:40], v[39:40], v[157:158]
	v_add_f64 v[141:142], v[141:142], v[155:156]
	v_fma_f64 v[151:152], v[4:5], v[10:11], v[151:152]
	v_fma_f64 v[155:156], v[2:3], v[10:11], -v[12:13]
	scratch_load_b128 v[10:13], off, off offset:416
	ds_load_b128 v[2:5], v1 offset:752
	s_waitcnt vmcnt(9) lgkmcnt(1)
	v_mul_f64 v[153:154], v[147:148], v[16:17]
	v_mul_f64 v[16:17], v[149:150], v[16:17]
	s_waitcnt vmcnt(8) lgkmcnt(0)
	v_mul_f64 v[157:158], v[2:3], v[20:21]
	v_mul_f64 v[20:21], v[4:5], v[20:21]
	v_add_f64 v[39:40], v[39:40], v[143:144]
	v_add_f64 v[145:146], v[141:142], v[145:146]
	ds_load_b128 v[141:144], v1 offset:768
	v_fma_f64 v[149:150], v[149:150], v[14:15], v[153:154]
	v_fma_f64 v[147:148], v[147:148], v[14:15], -v[16:17]
	scratch_load_b128 v[14:17], off, off offset:432
	v_fma_f64 v[153:154], v[4:5], v[18:19], v[157:158]
	v_add_f64 v[39:40], v[39:40], v[155:156]
	v_add_f64 v[145:146], v[145:146], v[151:152]
	v_fma_f64 v[155:156], v[2:3], v[18:19], -v[20:21]
	scratch_load_b128 v[18:21], off, off offset:448
	ds_load_b128 v[2:5], v1 offset:784
	s_waitcnt vmcnt(9) lgkmcnt(1)
	v_mul_f64 v[151:152], v[141:142], v[24:25]
	v_mul_f64 v[24:25], v[143:144], v[24:25]
	s_waitcnt vmcnt(8) lgkmcnt(0)
	v_mul_f64 v[157:158], v[2:3], v[28:29]
	v_mul_f64 v[28:29], v[4:5], v[28:29]
	v_add_f64 v[39:40], v[39:40], v[147:148]
	v_add_f64 v[149:150], v[145:146], v[149:150]
	ds_load_b128 v[145:148], v1 offset:800
	v_fma_f64 v[143:144], v[143:144], v[22:23], v[151:152]
	v_fma_f64 v[22:23], v[141:142], v[22:23], -v[24:25]
	s_waitcnt vmcnt(7) lgkmcnt(0)
	v_mul_f64 v[141:142], v[145:146], v[32:33]
	v_mul_f64 v[32:33], v[147:148], v[32:33]
	v_add_f64 v[24:25], v[39:40], v[155:156]
	v_add_f64 v[39:40], v[149:150], v[153:154]
	v_fma_f64 v[149:150], v[4:5], v[26:27], v[157:158]
	v_fma_f64 v[26:27], v[2:3], v[26:27], -v[28:29]
	v_fma_f64 v[141:142], v[147:148], v[30:31], v[141:142]
	v_fma_f64 v[30:31], v[145:146], v[30:31], -v[32:33]
	v_add_f64 v[28:29], v[24:25], v[22:23]
	v_add_f64 v[39:40], v[39:40], v[143:144]
	ds_load_b128 v[2:5], v1 offset:816
	ds_load_b128 v[22:25], v1 offset:832
	s_waitcnt vmcnt(6) lgkmcnt(1)
	v_mul_f64 v[143:144], v[2:3], v[131:132]
	v_mul_f64 v[131:132], v[4:5], v[131:132]
	s_waitcnt vmcnt(5) lgkmcnt(0)
	v_mul_f64 v[32:33], v[22:23], v[139:140]
	v_add_f64 v[26:27], v[28:29], v[26:27]
	v_add_f64 v[28:29], v[39:40], v[149:150]
	v_mul_f64 v[39:40], v[24:25], v[139:140]
	v_fma_f64 v[139:140], v[4:5], v[129:130], v[143:144]
	v_fma_f64 v[129:130], v[2:3], v[129:130], -v[131:132]
	v_fma_f64 v[24:25], v[24:25], v[137:138], v[32:33]
	v_add_f64 v[30:31], v[26:27], v[30:31]
	v_add_f64 v[131:132], v[28:29], v[141:142]
	ds_load_b128 v[2:5], v1 offset:848
	ds_load_b128 v[26:29], v1 offset:864
	v_fma_f64 v[22:23], v[22:23], v[137:138], -v[39:40]
	s_waitcnt vmcnt(4) lgkmcnt(1)
	v_mul_f64 v[141:142], v[2:3], v[36:37]
	v_mul_f64 v[36:37], v[4:5], v[36:37]
	v_add_f64 v[30:31], v[30:31], v[129:130]
	v_add_f64 v[32:33], v[131:132], v[139:140]
	s_waitcnt vmcnt(3) lgkmcnt(0)
	v_mul_f64 v[39:40], v[26:27], v[8:9]
	v_mul_f64 v[8:9], v[28:29], v[8:9]
	v_fma_f64 v[129:130], v[4:5], v[34:35], v[141:142]
	v_fma_f64 v[34:35], v[2:3], v[34:35], -v[36:37]
	v_add_f64 v[30:31], v[30:31], v[22:23]
	v_add_f64 v[32:33], v[32:33], v[24:25]
	ds_load_b128 v[2:5], v1 offset:880
	ds_load_b128 v[22:25], v1 offset:896
	v_fma_f64 v[28:29], v[28:29], v[6:7], v[39:40]
	v_fma_f64 v[6:7], v[26:27], v[6:7], -v[8:9]
	s_waitcnt vmcnt(2) lgkmcnt(1)
	v_mul_f64 v[36:37], v[2:3], v[12:13]
	v_mul_f64 v[12:13], v[4:5], v[12:13]
	v_add_f64 v[8:9], v[30:31], v[34:35]
	v_add_f64 v[26:27], v[32:33], v[129:130]
	s_waitcnt vmcnt(1) lgkmcnt(0)
	v_mul_f64 v[30:31], v[22:23], v[16:17]
	v_mul_f64 v[16:17], v[24:25], v[16:17]
	v_fma_f64 v[32:33], v[4:5], v[10:11], v[36:37]
	v_fma_f64 v[10:11], v[2:3], v[10:11], -v[12:13]
	ds_load_b128 v[2:5], v1 offset:912
	v_add_f64 v[6:7], v[8:9], v[6:7]
	v_add_f64 v[8:9], v[26:27], v[28:29]
	v_fma_f64 v[24:25], v[24:25], v[14:15], v[30:31]
	v_fma_f64 v[14:15], v[22:23], v[14:15], -v[16:17]
	s_waitcnt vmcnt(0) lgkmcnt(0)
	v_mul_f64 v[12:13], v[2:3], v[20:21]
	v_mul_f64 v[20:21], v[4:5], v[20:21]
	v_add_f64 v[6:7], v[6:7], v[10:11]
	v_add_f64 v[8:9], v[8:9], v[32:33]
	s_delay_alu instid0(VALU_DEP_4) | instskip(NEXT) | instid1(VALU_DEP_4)
	v_fma_f64 v[4:5], v[4:5], v[18:19], v[12:13]
	v_fma_f64 v[2:3], v[2:3], v[18:19], -v[20:21]
	s_delay_alu instid0(VALU_DEP_4) | instskip(NEXT) | instid1(VALU_DEP_4)
	v_add_f64 v[6:7], v[6:7], v[14:15]
	v_add_f64 v[8:9], v[8:9], v[24:25]
	s_delay_alu instid0(VALU_DEP_2) | instskip(NEXT) | instid1(VALU_DEP_2)
	v_add_f64 v[2:3], v[6:7], v[2:3]
	v_add_f64 v[4:5], v[8:9], v[4:5]
	s_delay_alu instid0(VALU_DEP_2) | instskip(NEXT) | instid1(VALU_DEP_2)
	v_add_f64 v[2:3], v[133:134], -v[2:3]
	v_add_f64 v[4:5], v[135:136], -v[4:5]
	scratch_store_b128 off, v[2:5], off offset:48
	v_cmpx_lt_u32_e32 2, v100
	s_cbranch_execz .LBB92_183
; %bb.182:
	scratch_load_b128 v[5:8], v103, off
	v_mov_b32_e32 v2, v1
	v_mov_b32_e32 v3, v1
	;; [unrolled: 1-line block ×3, first 2 shown]
	scratch_store_b128 off, v[1:4], off offset:32
	s_waitcnt vmcnt(0)
	ds_store_b128 v38, v[5:8]
.LBB92_183:
	s_or_b32 exec_lo, exec_lo, s2
	s_waitcnt lgkmcnt(0)
	s_waitcnt_vscnt null, 0x0
	s_barrier
	buffer_gl0_inv
	s_clause 0x8
	scratch_load_b128 v[2:5], off, off offset:48
	scratch_load_b128 v[6:9], off, off offset:64
	;; [unrolled: 1-line block ×9, first 2 shown]
	ds_load_b128 v[129:132], v1 offset:512
	ds_load_b128 v[133:136], v1 offset:528
	s_clause 0x1
	scratch_load_b128 v[137:140], off, off offset:32
	scratch_load_b128 v[141:144], off, off offset:192
	s_mov_b32 s2, exec_lo
	ds_load_b128 v[145:148], v1 offset:560
	s_waitcnt vmcnt(10) lgkmcnt(2)
	v_mul_f64 v[39:40], v[131:132], v[4:5]
	v_mul_f64 v[4:5], v[129:130], v[4:5]
	s_waitcnt vmcnt(9) lgkmcnt(1)
	v_mul_f64 v[149:150], v[133:134], v[8:9]
	v_mul_f64 v[8:9], v[135:136], v[8:9]
	s_delay_alu instid0(VALU_DEP_4) | instskip(NEXT) | instid1(VALU_DEP_4)
	v_fma_f64 v[39:40], v[129:130], v[2:3], -v[39:40]
	v_fma_f64 v[151:152], v[131:132], v[2:3], v[4:5]
	ds_load_b128 v[2:5], v1 offset:544
	scratch_load_b128 v[129:132], off, off offset:208
	v_fma_f64 v[135:136], v[135:136], v[6:7], v[149:150]
	v_fma_f64 v[133:134], v[133:134], v[6:7], -v[8:9]
	scratch_load_b128 v[6:9], off, off offset:224
	s_waitcnt vmcnt(10) lgkmcnt(0)
	v_mul_f64 v[153:154], v[2:3], v[12:13]
	v_mul_f64 v[12:13], v[4:5], v[12:13]
	v_add_f64 v[39:40], v[39:40], 0
	v_add_f64 v[149:150], v[151:152], 0
	s_waitcnt vmcnt(9)
	v_mul_f64 v[151:152], v[145:146], v[16:17]
	v_mul_f64 v[16:17], v[147:148], v[16:17]
	v_fma_f64 v[153:154], v[4:5], v[10:11], v[153:154]
	v_fma_f64 v[155:156], v[2:3], v[10:11], -v[12:13]
	ds_load_b128 v[2:5], v1 offset:576
	scratch_load_b128 v[10:13], off, off offset:240
	v_add_f64 v[39:40], v[39:40], v[133:134]
	v_add_f64 v[149:150], v[149:150], v[135:136]
	ds_load_b128 v[133:136], v1 offset:592
	v_fma_f64 v[147:148], v[147:148], v[14:15], v[151:152]
	v_fma_f64 v[145:146], v[145:146], v[14:15], -v[16:17]
	scratch_load_b128 v[14:17], off, off offset:256
	s_waitcnt vmcnt(10) lgkmcnt(1)
	v_mul_f64 v[157:158], v[2:3], v[20:21]
	v_mul_f64 v[20:21], v[4:5], v[20:21]
	s_waitcnt vmcnt(9) lgkmcnt(0)
	v_mul_f64 v[151:152], v[133:134], v[24:25]
	v_mul_f64 v[24:25], v[135:136], v[24:25]
	v_add_f64 v[39:40], v[39:40], v[155:156]
	v_add_f64 v[149:150], v[149:150], v[153:154]
	v_fma_f64 v[153:154], v[4:5], v[18:19], v[157:158]
	v_fma_f64 v[155:156], v[2:3], v[18:19], -v[20:21]
	ds_load_b128 v[2:5], v1 offset:608
	scratch_load_b128 v[18:21], off, off offset:272
	v_fma_f64 v[135:136], v[135:136], v[22:23], v[151:152]
	v_fma_f64 v[133:134], v[133:134], v[22:23], -v[24:25]
	scratch_load_b128 v[22:25], off, off offset:288
	v_add_f64 v[39:40], v[39:40], v[145:146]
	v_add_f64 v[149:150], v[149:150], v[147:148]
	ds_load_b128 v[145:148], v1 offset:624
	s_waitcnt vmcnt(10) lgkmcnt(1)
	v_mul_f64 v[157:158], v[2:3], v[28:29]
	v_mul_f64 v[28:29], v[4:5], v[28:29]
	s_waitcnt vmcnt(9) lgkmcnt(0)
	v_mul_f64 v[151:152], v[145:146], v[32:33]
	v_mul_f64 v[32:33], v[147:148], v[32:33]
	v_add_f64 v[39:40], v[39:40], v[155:156]
	v_add_f64 v[149:150], v[149:150], v[153:154]
	v_fma_f64 v[153:154], v[4:5], v[26:27], v[157:158]
	v_fma_f64 v[155:156], v[2:3], v[26:27], -v[28:29]
	ds_load_b128 v[2:5], v1 offset:640
	scratch_load_b128 v[26:29], off, off offset:304
	v_fma_f64 v[147:148], v[147:148], v[30:31], v[151:152]
	v_fma_f64 v[145:146], v[145:146], v[30:31], -v[32:33]
	scratch_load_b128 v[30:33], off, off offset:320
	v_add_f64 v[39:40], v[39:40], v[133:134]
	v_add_f64 v[149:150], v[149:150], v[135:136]
	ds_load_b128 v[133:136], v1 offset:656
	s_waitcnt vmcnt(10) lgkmcnt(1)
	v_mul_f64 v[157:158], v[2:3], v[36:37]
	v_mul_f64 v[36:37], v[4:5], v[36:37]
	s_waitcnt vmcnt(8) lgkmcnt(0)
	v_mul_f64 v[151:152], v[133:134], v[143:144]
	v_add_f64 v[39:40], v[39:40], v[155:156]
	v_add_f64 v[149:150], v[149:150], v[153:154]
	v_mul_f64 v[153:154], v[135:136], v[143:144]
	v_fma_f64 v[155:156], v[4:5], v[34:35], v[157:158]
	v_fma_f64 v[157:158], v[2:3], v[34:35], -v[36:37]
	ds_load_b128 v[2:5], v1 offset:672
	scratch_load_b128 v[34:37], off, off offset:336
	v_fma_f64 v[135:136], v[135:136], v[141:142], v[151:152]
	v_add_f64 v[39:40], v[39:40], v[145:146]
	v_add_f64 v[147:148], v[149:150], v[147:148]
	ds_load_b128 v[143:146], v1 offset:688
	v_fma_f64 v[141:142], v[133:134], v[141:142], -v[153:154]
	ds_load_b128 v[151:154], v1 offset:720
	s_waitcnt vmcnt(8) lgkmcnt(2)
	v_mul_f64 v[149:150], v[2:3], v[131:132]
	v_mul_f64 v[159:160], v[4:5], v[131:132]
	scratch_load_b128 v[131:134], off, off offset:352
	v_add_f64 v[39:40], v[39:40], v[157:158]
	v_add_f64 v[147:148], v[147:148], v[155:156]
	s_waitcnt vmcnt(8) lgkmcnt(1)
	v_mul_f64 v[155:156], v[143:144], v[8:9]
	v_mul_f64 v[8:9], v[145:146], v[8:9]
	v_fma_f64 v[157:158], v[4:5], v[129:130], v[149:150]
	v_fma_f64 v[129:130], v[2:3], v[129:130], -v[159:160]
	ds_load_b128 v[2:5], v1 offset:704
	v_add_f64 v[39:40], v[39:40], v[141:142]
	v_add_f64 v[135:136], v[147:148], v[135:136]
	scratch_load_b128 v[147:150], off, off offset:368
	s_waitcnt vmcnt(8) lgkmcnt(0)
	v_mul_f64 v[141:142], v[2:3], v[12:13]
	v_mul_f64 v[12:13], v[4:5], v[12:13]
	v_fma_f64 v[145:146], v[145:146], v[6:7], v[155:156]
	v_fma_f64 v[143:144], v[143:144], v[6:7], -v[8:9]
	scratch_load_b128 v[6:9], off, off offset:384
	v_add_f64 v[39:40], v[39:40], v[129:130]
	v_add_f64 v[129:130], v[135:136], v[157:158]
	s_waitcnt vmcnt(8)
	v_mul_f64 v[135:136], v[151:152], v[16:17]
	v_mul_f64 v[16:17], v[153:154], v[16:17]
	v_fma_f64 v[155:156], v[4:5], v[10:11], v[141:142]
	v_fma_f64 v[157:158], v[2:3], v[10:11], -v[12:13]
	ds_load_b128 v[2:5], v1 offset:736
	scratch_load_b128 v[10:13], off, off offset:400
	v_add_f64 v[39:40], v[39:40], v[143:144]
	v_add_f64 v[129:130], v[129:130], v[145:146]
	ds_load_b128 v[141:144], v1 offset:752
	s_waitcnt vmcnt(8) lgkmcnt(1)
	v_mul_f64 v[145:146], v[2:3], v[20:21]
	v_mul_f64 v[20:21], v[4:5], v[20:21]
	v_fma_f64 v[135:136], v[153:154], v[14:15], v[135:136]
	v_fma_f64 v[151:152], v[151:152], v[14:15], -v[16:17]
	scratch_load_b128 v[14:17], off, off offset:416
	v_add_f64 v[39:40], v[39:40], v[157:158]
	v_add_f64 v[129:130], v[129:130], v[155:156]
	s_waitcnt vmcnt(8) lgkmcnt(0)
	v_mul_f64 v[155:156], v[141:142], v[24:25]
	v_mul_f64 v[24:25], v[143:144], v[24:25]
	v_fma_f64 v[145:146], v[4:5], v[18:19], v[145:146]
	v_fma_f64 v[157:158], v[2:3], v[18:19], -v[20:21]
	ds_load_b128 v[2:5], v1 offset:768
	scratch_load_b128 v[18:21], off, off offset:432
	v_add_f64 v[39:40], v[39:40], v[151:152]
	v_add_f64 v[129:130], v[129:130], v[135:136]
	ds_load_b128 v[151:154], v1 offset:784
	s_waitcnt vmcnt(8) lgkmcnt(1)
	v_mul_f64 v[135:136], v[2:3], v[28:29]
	v_mul_f64 v[28:29], v[4:5], v[28:29]
	v_fma_f64 v[143:144], v[143:144], v[22:23], v[155:156]
	v_fma_f64 v[141:142], v[141:142], v[22:23], -v[24:25]
	scratch_load_b128 v[22:25], off, off offset:448
	v_add_f64 v[39:40], v[39:40], v[157:158]
	v_add_f64 v[129:130], v[129:130], v[145:146]
	s_waitcnt vmcnt(8) lgkmcnt(0)
	v_mul_f64 v[145:146], v[151:152], v[32:33]
	v_mul_f64 v[32:33], v[153:154], v[32:33]
	v_fma_f64 v[135:136], v[4:5], v[26:27], v[135:136]
	v_fma_f64 v[155:156], v[2:3], v[26:27], -v[28:29]
	ds_load_b128 v[2:5], v1 offset:800
	ds_load_b128 v[26:29], v1 offset:816
	v_add_f64 v[39:40], v[39:40], v[141:142]
	v_add_f64 v[129:130], v[129:130], v[143:144]
	s_waitcnt vmcnt(7) lgkmcnt(1)
	v_mul_f64 v[141:142], v[2:3], v[36:37]
	v_mul_f64 v[36:37], v[4:5], v[36:37]
	v_fma_f64 v[143:144], v[153:154], v[30:31], v[145:146]
	v_fma_f64 v[30:31], v[151:152], v[30:31], -v[32:33]
	v_add_f64 v[32:33], v[39:40], v[155:156]
	v_add_f64 v[39:40], v[129:130], v[135:136]
	s_waitcnt vmcnt(6) lgkmcnt(0)
	v_mul_f64 v[129:130], v[26:27], v[133:134]
	v_mul_f64 v[133:134], v[28:29], v[133:134]
	v_fma_f64 v[135:136], v[4:5], v[34:35], v[141:142]
	v_fma_f64 v[34:35], v[2:3], v[34:35], -v[36:37]
	v_add_f64 v[36:37], v[32:33], v[30:31]
	v_add_f64 v[39:40], v[39:40], v[143:144]
	ds_load_b128 v[2:5], v1 offset:832
	ds_load_b128 v[30:33], v1 offset:848
	v_fma_f64 v[28:29], v[28:29], v[131:132], v[129:130]
	v_fma_f64 v[26:27], v[26:27], v[131:132], -v[133:134]
	s_waitcnt vmcnt(5) lgkmcnt(1)
	v_mul_f64 v[141:142], v[2:3], v[149:150]
	v_mul_f64 v[143:144], v[4:5], v[149:150]
	v_add_f64 v[34:35], v[36:37], v[34:35]
	v_add_f64 v[36:37], v[39:40], v[135:136]
	s_waitcnt vmcnt(4) lgkmcnt(0)
	v_mul_f64 v[39:40], v[30:31], v[8:9]
	v_mul_f64 v[8:9], v[32:33], v[8:9]
	v_fma_f64 v[129:130], v[4:5], v[147:148], v[141:142]
	v_fma_f64 v[131:132], v[2:3], v[147:148], -v[143:144]
	v_add_f64 v[34:35], v[34:35], v[26:27]
	v_add_f64 v[36:37], v[36:37], v[28:29]
	ds_load_b128 v[2:5], v1 offset:864
	ds_load_b128 v[26:29], v1 offset:880
	v_fma_f64 v[32:33], v[32:33], v[6:7], v[39:40]
	v_fma_f64 v[6:7], v[30:31], v[6:7], -v[8:9]
	s_waitcnt vmcnt(3) lgkmcnt(1)
	v_mul_f64 v[133:134], v[2:3], v[12:13]
	v_mul_f64 v[12:13], v[4:5], v[12:13]
	;; [unrolled: 16-line block ×3, first 2 shown]
	s_waitcnt vmcnt(0) lgkmcnt(0)
	v_mul_f64 v[16:17], v[6:7], v[24:25]
	v_mul_f64 v[24:25], v[8:9], v[24:25]
	v_add_f64 v[10:11], v[12:13], v[10:11]
	v_add_f64 v[12:13], v[30:31], v[36:37]
	v_fma_f64 v[4:5], v[4:5], v[18:19], v[32:33]
	v_fma_f64 v[1:2], v[2:3], v[18:19], -v[20:21]
	v_fma_f64 v[8:9], v[8:9], v[22:23], v[16:17]
	v_fma_f64 v[6:7], v[6:7], v[22:23], -v[24:25]
	v_add_f64 v[10:11], v[10:11], v[14:15]
	v_add_f64 v[12:13], v[12:13], v[28:29]
	s_delay_alu instid0(VALU_DEP_2) | instskip(NEXT) | instid1(VALU_DEP_2)
	v_add_f64 v[1:2], v[10:11], v[1:2]
	v_add_f64 v[3:4], v[12:13], v[4:5]
	s_delay_alu instid0(VALU_DEP_2) | instskip(NEXT) | instid1(VALU_DEP_2)
	;; [unrolled: 3-line block ×3, first 2 shown]
	v_add_f64 v[1:2], v[137:138], -v[1:2]
	v_add_f64 v[3:4], v[139:140], -v[3:4]
	scratch_store_b128 off, v[1:4], off offset:32
	v_cmpx_lt_u32_e32 1, v100
	s_cbranch_execz .LBB92_185
; %bb.184:
	scratch_load_b128 v[1:4], v104, off
	v_mov_b32_e32 v5, 0
	s_delay_alu instid0(VALU_DEP_1)
	v_mov_b32_e32 v6, v5
	v_mov_b32_e32 v7, v5
	;; [unrolled: 1-line block ×3, first 2 shown]
	scratch_store_b128 off, v[5:8], off offset:16
	s_waitcnt vmcnt(0)
	ds_store_b128 v38, v[1:4]
.LBB92_185:
	s_or_b32 exec_lo, exec_lo, s2
	s_waitcnt lgkmcnt(0)
	s_waitcnt_vscnt null, 0x0
	s_barrier
	buffer_gl0_inv
	s_clause 0x7
	scratch_load_b128 v[2:5], off, off offset:32
	scratch_load_b128 v[6:9], off, off offset:48
	;; [unrolled: 1-line block ×8, first 2 shown]
	v_mov_b32_e32 v1, 0
	s_mov_b32 s2, exec_lo
	ds_load_b128 v[129:132], v1 offset:496
	s_clause 0x1
	scratch_load_b128 v[34:37], off, off offset:160
	scratch_load_b128 v[133:136], off, off offset:16
	ds_load_b128 v[137:140], v1 offset:512
	scratch_load_b128 v[141:144], off, off offset:176
	ds_load_b128 v[145:148], v1 offset:544
	s_waitcnt vmcnt(10) lgkmcnt(2)
	v_mul_f64 v[39:40], v[131:132], v[4:5]
	v_mul_f64 v[4:5], v[129:130], v[4:5]
	s_delay_alu instid0(VALU_DEP_2) | instskip(NEXT) | instid1(VALU_DEP_2)
	v_fma_f64 v[39:40], v[129:130], v[2:3], -v[39:40]
	v_fma_f64 v[151:152], v[131:132], v[2:3], v[4:5]
	ds_load_b128 v[2:5], v1 offset:528
	s_waitcnt vmcnt(9) lgkmcnt(2)
	v_mul_f64 v[149:150], v[137:138], v[8:9]
	v_mul_f64 v[8:9], v[139:140], v[8:9]
	scratch_load_b128 v[129:132], off, off offset:192
	s_waitcnt vmcnt(9) lgkmcnt(0)
	v_mul_f64 v[153:154], v[2:3], v[12:13]
	v_mul_f64 v[12:13], v[4:5], v[12:13]
	v_add_f64 v[39:40], v[39:40], 0
	v_fma_f64 v[139:140], v[139:140], v[6:7], v[149:150]
	v_fma_f64 v[137:138], v[137:138], v[6:7], -v[8:9]
	v_add_f64 v[149:150], v[151:152], 0
	scratch_load_b128 v[6:9], off, off offset:208
	v_fma_f64 v[153:154], v[4:5], v[10:11], v[153:154]
	v_fma_f64 v[155:156], v[2:3], v[10:11], -v[12:13]
	scratch_load_b128 v[10:13], off, off offset:224
	ds_load_b128 v[2:5], v1 offset:560
	s_waitcnt vmcnt(10)
	v_mul_f64 v[151:152], v[145:146], v[16:17]
	v_mul_f64 v[16:17], v[147:148], v[16:17]
	v_add_f64 v[39:40], v[39:40], v[137:138]
	v_add_f64 v[149:150], v[149:150], v[139:140]
	ds_load_b128 v[137:140], v1 offset:576
	s_waitcnt vmcnt(9) lgkmcnt(1)
	v_mul_f64 v[157:158], v[2:3], v[20:21]
	v_mul_f64 v[20:21], v[4:5], v[20:21]
	v_fma_f64 v[147:148], v[147:148], v[14:15], v[151:152]
	v_fma_f64 v[145:146], v[145:146], v[14:15], -v[16:17]
	scratch_load_b128 v[14:17], off, off offset:240
	v_add_f64 v[39:40], v[39:40], v[155:156]
	v_add_f64 v[149:150], v[149:150], v[153:154]
	v_fma_f64 v[153:154], v[4:5], v[18:19], v[157:158]
	v_fma_f64 v[155:156], v[2:3], v[18:19], -v[20:21]
	scratch_load_b128 v[18:21], off, off offset:256
	ds_load_b128 v[2:5], v1 offset:592
	s_waitcnt vmcnt(10) lgkmcnt(1)
	v_mul_f64 v[151:152], v[137:138], v[24:25]
	v_mul_f64 v[24:25], v[139:140], v[24:25]
	s_waitcnt vmcnt(9) lgkmcnt(0)
	v_mul_f64 v[157:158], v[2:3], v[28:29]
	v_mul_f64 v[28:29], v[4:5], v[28:29]
	v_add_f64 v[39:40], v[39:40], v[145:146]
	v_add_f64 v[149:150], v[149:150], v[147:148]
	ds_load_b128 v[145:148], v1 offset:608
	v_fma_f64 v[139:140], v[139:140], v[22:23], v[151:152]
	v_fma_f64 v[137:138], v[137:138], v[22:23], -v[24:25]
	scratch_load_b128 v[22:25], off, off offset:272
	v_add_f64 v[39:40], v[39:40], v[155:156]
	v_add_f64 v[149:150], v[149:150], v[153:154]
	v_fma_f64 v[153:154], v[4:5], v[26:27], v[157:158]
	v_fma_f64 v[155:156], v[2:3], v[26:27], -v[28:29]
	scratch_load_b128 v[26:29], off, off offset:288
	ds_load_b128 v[2:5], v1 offset:624
	s_waitcnt vmcnt(10) lgkmcnt(1)
	v_mul_f64 v[151:152], v[145:146], v[32:33]
	v_mul_f64 v[32:33], v[147:148], v[32:33]
	s_waitcnt vmcnt(9) lgkmcnt(0)
	v_mul_f64 v[157:158], v[2:3], v[36:37]
	v_mul_f64 v[36:37], v[4:5], v[36:37]
	v_add_f64 v[39:40], v[39:40], v[137:138]
	v_add_f64 v[149:150], v[149:150], v[139:140]
	ds_load_b128 v[137:140], v1 offset:640
	v_fma_f64 v[147:148], v[147:148], v[30:31], v[151:152]
	v_fma_f64 v[145:146], v[145:146], v[30:31], -v[32:33]
	scratch_load_b128 v[30:33], off, off offset:304
	v_add_f64 v[39:40], v[39:40], v[155:156]
	v_add_f64 v[149:150], v[149:150], v[153:154]
	v_fma_f64 v[155:156], v[4:5], v[34:35], v[157:158]
	v_fma_f64 v[157:158], v[2:3], v[34:35], -v[36:37]
	scratch_load_b128 v[34:37], off, off offset:320
	ds_load_b128 v[2:5], v1 offset:656
	s_waitcnt vmcnt(9) lgkmcnt(1)
	v_mul_f64 v[151:152], v[137:138], v[143:144]
	v_mul_f64 v[153:154], v[139:140], v[143:144]
	v_add_f64 v[39:40], v[39:40], v[145:146]
	v_add_f64 v[147:148], v[149:150], v[147:148]
	ds_load_b128 v[143:146], v1 offset:672
	v_fma_f64 v[151:152], v[139:140], v[141:142], v[151:152]
	v_fma_f64 v[141:142], v[137:138], v[141:142], -v[153:154]
	scratch_load_b128 v[137:140], off, off offset:336
	s_waitcnt vmcnt(9) lgkmcnt(1)
	v_mul_f64 v[149:150], v[2:3], v[131:132]
	v_mul_f64 v[131:132], v[4:5], v[131:132]
	v_add_f64 v[39:40], v[39:40], v[157:158]
	v_add_f64 v[147:148], v[147:148], v[155:156]
	s_delay_alu instid0(VALU_DEP_4) | instskip(NEXT) | instid1(VALU_DEP_4)
	v_fma_f64 v[155:156], v[4:5], v[129:130], v[149:150]
	v_fma_f64 v[157:158], v[2:3], v[129:130], -v[131:132]
	scratch_load_b128 v[129:132], off, off offset:352
	ds_load_b128 v[2:5], v1 offset:688
	s_waitcnt vmcnt(9) lgkmcnt(1)
	v_mul_f64 v[153:154], v[143:144], v[8:9]
	v_mul_f64 v[8:9], v[145:146], v[8:9]
	v_add_f64 v[39:40], v[39:40], v[141:142]
	v_add_f64 v[141:142], v[147:148], v[151:152]
	s_waitcnt vmcnt(8) lgkmcnt(0)
	v_mul_f64 v[151:152], v[2:3], v[12:13]
	v_mul_f64 v[12:13], v[4:5], v[12:13]
	ds_load_b128 v[147:150], v1 offset:704
	v_fma_f64 v[145:146], v[145:146], v[6:7], v[153:154]
	v_fma_f64 v[143:144], v[143:144], v[6:7], -v[8:9]
	scratch_load_b128 v[6:9], off, off offset:368
	v_add_f64 v[39:40], v[39:40], v[157:158]
	v_add_f64 v[141:142], v[141:142], v[155:156]
	v_fma_f64 v[151:152], v[4:5], v[10:11], v[151:152]
	v_fma_f64 v[155:156], v[2:3], v[10:11], -v[12:13]
	scratch_load_b128 v[10:13], off, off offset:384
	ds_load_b128 v[2:5], v1 offset:720
	s_waitcnt vmcnt(9) lgkmcnt(1)
	v_mul_f64 v[153:154], v[147:148], v[16:17]
	v_mul_f64 v[16:17], v[149:150], v[16:17]
	s_waitcnt vmcnt(8) lgkmcnt(0)
	v_mul_f64 v[157:158], v[2:3], v[20:21]
	v_mul_f64 v[20:21], v[4:5], v[20:21]
	v_add_f64 v[39:40], v[39:40], v[143:144]
	v_add_f64 v[145:146], v[141:142], v[145:146]
	ds_load_b128 v[141:144], v1 offset:736
	v_fma_f64 v[149:150], v[149:150], v[14:15], v[153:154]
	v_fma_f64 v[147:148], v[147:148], v[14:15], -v[16:17]
	scratch_load_b128 v[14:17], off, off offset:400
	v_fma_f64 v[153:154], v[4:5], v[18:19], v[157:158]
	v_add_f64 v[39:40], v[39:40], v[155:156]
	v_add_f64 v[145:146], v[145:146], v[151:152]
	v_fma_f64 v[155:156], v[2:3], v[18:19], -v[20:21]
	scratch_load_b128 v[18:21], off, off offset:416
	ds_load_b128 v[2:5], v1 offset:752
	s_waitcnt vmcnt(9) lgkmcnt(1)
	v_mul_f64 v[151:152], v[141:142], v[24:25]
	v_mul_f64 v[24:25], v[143:144], v[24:25]
	s_waitcnt vmcnt(8) lgkmcnt(0)
	v_mul_f64 v[157:158], v[2:3], v[28:29]
	v_mul_f64 v[28:29], v[4:5], v[28:29]
	v_add_f64 v[39:40], v[39:40], v[147:148]
	v_add_f64 v[149:150], v[145:146], v[149:150]
	ds_load_b128 v[145:148], v1 offset:768
	v_fma_f64 v[143:144], v[143:144], v[22:23], v[151:152]
	v_fma_f64 v[141:142], v[141:142], v[22:23], -v[24:25]
	scratch_load_b128 v[22:25], off, off offset:432
	v_add_f64 v[39:40], v[39:40], v[155:156]
	v_add_f64 v[149:150], v[149:150], v[153:154]
	v_fma_f64 v[153:154], v[4:5], v[26:27], v[157:158]
	v_fma_f64 v[155:156], v[2:3], v[26:27], -v[28:29]
	scratch_load_b128 v[26:29], off, off offset:448
	ds_load_b128 v[2:5], v1 offset:784
	s_waitcnt vmcnt(9) lgkmcnt(1)
	v_mul_f64 v[151:152], v[145:146], v[32:33]
	v_mul_f64 v[32:33], v[147:148], v[32:33]
	s_waitcnt vmcnt(8) lgkmcnt(0)
	v_mul_f64 v[157:158], v[2:3], v[36:37]
	v_mul_f64 v[36:37], v[4:5], v[36:37]
	v_add_f64 v[39:40], v[39:40], v[141:142]
	v_add_f64 v[149:150], v[149:150], v[143:144]
	ds_load_b128 v[141:144], v1 offset:800
	v_fma_f64 v[147:148], v[147:148], v[30:31], v[151:152]
	v_fma_f64 v[30:31], v[145:146], v[30:31], -v[32:33]
	s_waitcnt vmcnt(7) lgkmcnt(0)
	v_mul_f64 v[145:146], v[141:142], v[139:140]
	v_mul_f64 v[139:140], v[143:144], v[139:140]
	v_add_f64 v[32:33], v[39:40], v[155:156]
	v_add_f64 v[39:40], v[149:150], v[153:154]
	v_fma_f64 v[149:150], v[4:5], v[34:35], v[157:158]
	v_fma_f64 v[34:35], v[2:3], v[34:35], -v[36:37]
	v_fma_f64 v[143:144], v[143:144], v[137:138], v[145:146]
	v_fma_f64 v[137:138], v[141:142], v[137:138], -v[139:140]
	v_add_f64 v[36:37], v[32:33], v[30:31]
	v_add_f64 v[39:40], v[39:40], v[147:148]
	ds_load_b128 v[2:5], v1 offset:816
	ds_load_b128 v[30:33], v1 offset:832
	s_waitcnt vmcnt(6) lgkmcnt(1)
	v_mul_f64 v[147:148], v[2:3], v[131:132]
	v_mul_f64 v[131:132], v[4:5], v[131:132]
	v_add_f64 v[34:35], v[36:37], v[34:35]
	v_add_f64 v[36:37], v[39:40], v[149:150]
	s_waitcnt vmcnt(5) lgkmcnt(0)
	v_mul_f64 v[39:40], v[30:31], v[8:9]
	v_mul_f64 v[8:9], v[32:33], v[8:9]
	v_fma_f64 v[139:140], v[4:5], v[129:130], v[147:148]
	v_fma_f64 v[129:130], v[2:3], v[129:130], -v[131:132]
	v_add_f64 v[131:132], v[34:35], v[137:138]
	v_add_f64 v[137:138], v[36:37], v[143:144]
	ds_load_b128 v[2:5], v1 offset:848
	ds_load_b128 v[34:37], v1 offset:864
	v_fma_f64 v[32:33], v[32:33], v[6:7], v[39:40]
	v_fma_f64 v[6:7], v[30:31], v[6:7], -v[8:9]
	s_waitcnt vmcnt(4) lgkmcnt(1)
	v_mul_f64 v[141:142], v[2:3], v[12:13]
	v_mul_f64 v[12:13], v[4:5], v[12:13]
	s_waitcnt vmcnt(3) lgkmcnt(0)
	v_mul_f64 v[39:40], v[34:35], v[16:17]
	v_mul_f64 v[16:17], v[36:37], v[16:17]
	v_add_f64 v[8:9], v[131:132], v[129:130]
	v_add_f64 v[30:31], v[137:138], v[139:140]
	v_fma_f64 v[129:130], v[4:5], v[10:11], v[141:142]
	v_fma_f64 v[10:11], v[2:3], v[10:11], -v[12:13]
	v_fma_f64 v[36:37], v[36:37], v[14:15], v[39:40]
	v_fma_f64 v[14:15], v[34:35], v[14:15], -v[16:17]
	v_add_f64 v[12:13], v[8:9], v[6:7]
	v_add_f64 v[30:31], v[30:31], v[32:33]
	ds_load_b128 v[2:5], v1 offset:880
	ds_load_b128 v[6:9], v1 offset:896
	s_waitcnt vmcnt(2) lgkmcnt(1)
	v_mul_f64 v[32:33], v[2:3], v[20:21]
	v_mul_f64 v[20:21], v[4:5], v[20:21]
	s_waitcnt vmcnt(1) lgkmcnt(0)
	v_mul_f64 v[16:17], v[6:7], v[24:25]
	v_mul_f64 v[24:25], v[8:9], v[24:25]
	v_add_f64 v[10:11], v[12:13], v[10:11]
	v_add_f64 v[12:13], v[30:31], v[129:130]
	v_fma_f64 v[30:31], v[4:5], v[18:19], v[32:33]
	v_fma_f64 v[18:19], v[2:3], v[18:19], -v[20:21]
	ds_load_b128 v[2:5], v1 offset:912
	v_fma_f64 v[8:9], v[8:9], v[22:23], v[16:17]
	v_fma_f64 v[6:7], v[6:7], v[22:23], -v[24:25]
	v_add_f64 v[10:11], v[10:11], v[14:15]
	v_add_f64 v[12:13], v[12:13], v[36:37]
	s_waitcnt vmcnt(0) lgkmcnt(0)
	v_mul_f64 v[14:15], v[2:3], v[28:29]
	v_mul_f64 v[20:21], v[4:5], v[28:29]
	s_delay_alu instid0(VALU_DEP_4) | instskip(NEXT) | instid1(VALU_DEP_4)
	v_add_f64 v[10:11], v[10:11], v[18:19]
	v_add_f64 v[12:13], v[12:13], v[30:31]
	s_delay_alu instid0(VALU_DEP_4) | instskip(NEXT) | instid1(VALU_DEP_4)
	v_fma_f64 v[4:5], v[4:5], v[26:27], v[14:15]
	v_fma_f64 v[2:3], v[2:3], v[26:27], -v[20:21]
	s_delay_alu instid0(VALU_DEP_4) | instskip(NEXT) | instid1(VALU_DEP_4)
	v_add_f64 v[6:7], v[10:11], v[6:7]
	v_add_f64 v[8:9], v[12:13], v[8:9]
	s_delay_alu instid0(VALU_DEP_2) | instskip(NEXT) | instid1(VALU_DEP_2)
	v_add_f64 v[2:3], v[6:7], v[2:3]
	v_add_f64 v[4:5], v[8:9], v[4:5]
	s_delay_alu instid0(VALU_DEP_2) | instskip(NEXT) | instid1(VALU_DEP_2)
	v_add_f64 v[2:3], v[133:134], -v[2:3]
	v_add_f64 v[4:5], v[135:136], -v[4:5]
	scratch_store_b128 off, v[2:5], off offset:16
	v_cmpx_ne_u32_e32 0, v100
	s_cbranch_execz .LBB92_187
; %bb.186:
	scratch_load_b128 v[5:8], off, off
	v_mov_b32_e32 v2, v1
	v_mov_b32_e32 v3, v1
	;; [unrolled: 1-line block ×3, first 2 shown]
	scratch_store_b128 off, v[1:4], off
	s_waitcnt vmcnt(0)
	ds_store_b128 v38, v[5:8]
.LBB92_187:
	s_or_b32 exec_lo, exec_lo, s2
	s_waitcnt lgkmcnt(0)
	s_waitcnt_vscnt null, 0x0
	s_barrier
	buffer_gl0_inv
	s_clause 0x8
	scratch_load_b128 v[2:5], off, off offset:16
	scratch_load_b128 v[6:9], off, off offset:32
	;; [unrolled: 1-line block ×9, first 2 shown]
	ds_load_b128 v[129:132], v1 offset:480
	ds_load_b128 v[38:41], v1 offset:496
	s_clause 0x1
	scratch_load_b128 v[133:136], off, off
	scratch_load_b128 v[137:140], off, off offset:160
	s_and_b32 vcc_lo, exec_lo, s14
	s_waitcnt vmcnt(10) lgkmcnt(1)
	v_mul_f64 v[141:142], v[131:132], v[4:5]
	v_mul_f64 v[4:5], v[129:130], v[4:5]
	s_waitcnt vmcnt(9) lgkmcnt(0)
	v_mul_f64 v[145:146], v[38:39], v[8:9]
	v_mul_f64 v[8:9], v[40:41], v[8:9]
	s_delay_alu instid0(VALU_DEP_4) | instskip(NEXT) | instid1(VALU_DEP_4)
	v_fma_f64 v[147:148], v[129:130], v[2:3], -v[141:142]
	v_fma_f64 v[149:150], v[131:132], v[2:3], v[4:5]
	ds_load_b128 v[2:5], v1 offset:512
	ds_load_b128 v[141:144], v1 offset:528
	scratch_load_b128 v[129:132], off, off offset:176
	v_fma_f64 v[40:41], v[40:41], v[6:7], v[145:146]
	v_fma_f64 v[38:39], v[38:39], v[6:7], -v[8:9]
	scratch_load_b128 v[6:9], off, off offset:192
	s_waitcnt vmcnt(10) lgkmcnt(1)
	v_mul_f64 v[151:152], v[2:3], v[12:13]
	v_mul_f64 v[12:13], v[4:5], v[12:13]
	v_add_f64 v[145:146], v[147:148], 0
	v_add_f64 v[147:148], v[149:150], 0
	s_waitcnt vmcnt(9) lgkmcnt(0)
	v_mul_f64 v[149:150], v[141:142], v[16:17]
	v_mul_f64 v[16:17], v[143:144], v[16:17]
	v_fma_f64 v[151:152], v[4:5], v[10:11], v[151:152]
	v_fma_f64 v[153:154], v[2:3], v[10:11], -v[12:13]
	ds_load_b128 v[2:5], v1 offset:544
	scratch_load_b128 v[10:13], off, off offset:208
	v_add_f64 v[145:146], v[145:146], v[38:39]
	v_add_f64 v[147:148], v[147:148], v[40:41]
	ds_load_b128 v[38:41], v1 offset:560
	v_fma_f64 v[143:144], v[143:144], v[14:15], v[149:150]
	v_fma_f64 v[141:142], v[141:142], v[14:15], -v[16:17]
	scratch_load_b128 v[14:17], off, off offset:224
	s_waitcnt vmcnt(10) lgkmcnt(1)
	v_mul_f64 v[155:156], v[2:3], v[20:21]
	v_mul_f64 v[20:21], v[4:5], v[20:21]
	s_waitcnt vmcnt(9) lgkmcnt(0)
	v_mul_f64 v[149:150], v[38:39], v[24:25]
	v_mul_f64 v[24:25], v[40:41], v[24:25]
	v_add_f64 v[145:146], v[145:146], v[153:154]
	v_add_f64 v[147:148], v[147:148], v[151:152]
	v_fma_f64 v[151:152], v[4:5], v[18:19], v[155:156]
	v_fma_f64 v[153:154], v[2:3], v[18:19], -v[20:21]
	ds_load_b128 v[2:5], v1 offset:576
	scratch_load_b128 v[18:21], off, off offset:240
	v_fma_f64 v[40:41], v[40:41], v[22:23], v[149:150]
	v_fma_f64 v[38:39], v[38:39], v[22:23], -v[24:25]
	scratch_load_b128 v[22:25], off, off offset:256
	v_add_f64 v[145:146], v[145:146], v[141:142]
	v_add_f64 v[147:148], v[147:148], v[143:144]
	ds_load_b128 v[141:144], v1 offset:592
	s_waitcnt vmcnt(10) lgkmcnt(1)
	v_mul_f64 v[155:156], v[2:3], v[28:29]
	v_mul_f64 v[28:29], v[4:5], v[28:29]
	s_waitcnt vmcnt(9) lgkmcnt(0)
	v_mul_f64 v[149:150], v[141:142], v[32:33]
	v_mul_f64 v[32:33], v[143:144], v[32:33]
	v_add_f64 v[145:146], v[145:146], v[153:154]
	v_add_f64 v[147:148], v[147:148], v[151:152]
	v_fma_f64 v[151:152], v[4:5], v[26:27], v[155:156]
	v_fma_f64 v[153:154], v[2:3], v[26:27], -v[28:29]
	ds_load_b128 v[2:5], v1 offset:608
	scratch_load_b128 v[26:29], off, off offset:272
	v_fma_f64 v[143:144], v[143:144], v[30:31], v[149:150]
	v_fma_f64 v[141:142], v[141:142], v[30:31], -v[32:33]
	scratch_load_b128 v[30:33], off, off offset:288
	v_add_f64 v[145:146], v[145:146], v[38:39]
	v_add_f64 v[147:148], v[147:148], v[40:41]
	ds_load_b128 v[38:41], v1 offset:624
	s_waitcnt vmcnt(10) lgkmcnt(1)
	v_mul_f64 v[155:156], v[2:3], v[36:37]
	v_mul_f64 v[36:37], v[4:5], v[36:37]
	s_waitcnt vmcnt(8) lgkmcnt(0)
	v_mul_f64 v[149:150], v[38:39], v[139:140]
	v_add_f64 v[145:146], v[145:146], v[153:154]
	v_add_f64 v[147:148], v[147:148], v[151:152]
	v_mul_f64 v[151:152], v[40:41], v[139:140]
	v_fma_f64 v[153:154], v[4:5], v[34:35], v[155:156]
	v_fma_f64 v[155:156], v[2:3], v[34:35], -v[36:37]
	ds_load_b128 v[2:5], v1 offset:640
	scratch_load_b128 v[34:37], off, off offset:304
	v_fma_f64 v[149:150], v[40:41], v[137:138], v[149:150]
	v_add_f64 v[145:146], v[145:146], v[141:142]
	v_add_f64 v[143:144], v[147:148], v[143:144]
	ds_load_b128 v[139:142], v1 offset:656
	v_fma_f64 v[137:138], v[38:39], v[137:138], -v[151:152]
	scratch_load_b128 v[38:41], off, off offset:320
	s_waitcnt vmcnt(9) lgkmcnt(1)
	v_mul_f64 v[147:148], v[2:3], v[131:132]
	v_mul_f64 v[131:132], v[4:5], v[131:132]
	s_waitcnt vmcnt(8) lgkmcnt(0)
	v_mul_f64 v[151:152], v[139:140], v[8:9]
	v_mul_f64 v[8:9], v[141:142], v[8:9]
	v_add_f64 v[145:146], v[145:146], v[155:156]
	v_add_f64 v[143:144], v[143:144], v[153:154]
	v_fma_f64 v[147:148], v[4:5], v[129:130], v[147:148]
	v_fma_f64 v[153:154], v[2:3], v[129:130], -v[131:132]
	ds_load_b128 v[2:5], v1 offset:672
	scratch_load_b128 v[129:132], off, off offset:336
	v_fma_f64 v[141:142], v[141:142], v[6:7], v[151:152]
	v_fma_f64 v[139:140], v[139:140], v[6:7], -v[8:9]
	scratch_load_b128 v[6:9], off, off offset:352
	v_add_f64 v[137:138], v[145:146], v[137:138]
	v_add_f64 v[149:150], v[143:144], v[149:150]
	ds_load_b128 v[143:146], v1 offset:688
	s_waitcnt vmcnt(9) lgkmcnt(1)
	v_mul_f64 v[155:156], v[2:3], v[12:13]
	v_mul_f64 v[12:13], v[4:5], v[12:13]
	v_add_f64 v[137:138], v[137:138], v[153:154]
	v_add_f64 v[147:148], v[149:150], v[147:148]
	s_waitcnt vmcnt(8) lgkmcnt(0)
	v_mul_f64 v[149:150], v[143:144], v[16:17]
	v_mul_f64 v[16:17], v[145:146], v[16:17]
	v_fma_f64 v[151:152], v[4:5], v[10:11], v[155:156]
	v_fma_f64 v[153:154], v[2:3], v[10:11], -v[12:13]
	ds_load_b128 v[2:5], v1 offset:704
	scratch_load_b128 v[10:13], off, off offset:368
	v_add_f64 v[155:156], v[137:138], v[139:140]
	v_add_f64 v[141:142], v[147:148], v[141:142]
	ds_load_b128 v[137:140], v1 offset:720
	s_waitcnt vmcnt(8) lgkmcnt(1)
	v_mul_f64 v[147:148], v[2:3], v[20:21]
	v_mul_f64 v[20:21], v[4:5], v[20:21]
	v_fma_f64 v[145:146], v[145:146], v[14:15], v[149:150]
	v_fma_f64 v[143:144], v[143:144], v[14:15], -v[16:17]
	scratch_load_b128 v[14:17], off, off offset:384
	v_add_f64 v[149:150], v[155:156], v[153:154]
	v_add_f64 v[141:142], v[141:142], v[151:152]
	s_waitcnt vmcnt(8) lgkmcnt(0)
	v_mul_f64 v[151:152], v[137:138], v[24:25]
	v_mul_f64 v[24:25], v[139:140], v[24:25]
	v_fma_f64 v[147:148], v[4:5], v[18:19], v[147:148]
	v_fma_f64 v[153:154], v[2:3], v[18:19], -v[20:21]
	ds_load_b128 v[2:5], v1 offset:736
	scratch_load_b128 v[18:21], off, off offset:400
	v_add_f64 v[149:150], v[149:150], v[143:144]
	v_add_f64 v[145:146], v[141:142], v[145:146]
	ds_load_b128 v[141:144], v1 offset:752
	s_waitcnt vmcnt(8) lgkmcnt(1)
	v_mul_f64 v[155:156], v[2:3], v[28:29]
	v_mul_f64 v[28:29], v[4:5], v[28:29]
	v_fma_f64 v[139:140], v[139:140], v[22:23], v[151:152]
	v_fma_f64 v[137:138], v[137:138], v[22:23], -v[24:25]
	scratch_load_b128 v[22:25], off, off offset:416
	;; [unrolled: 18-line block ×3, first 2 shown]
	v_add_f64 v[147:148], v[149:150], v[153:154]
	v_add_f64 v[145:146], v[145:146], v[151:152]
	s_waitcnt vmcnt(8) lgkmcnt(0)
	v_mul_f64 v[149:150], v[137:138], v[40:41]
	v_mul_f64 v[40:41], v[139:140], v[40:41]
	v_fma_f64 v[151:152], v[4:5], v[34:35], v[155:156]
	v_fma_f64 v[153:154], v[2:3], v[34:35], -v[36:37]
	ds_load_b128 v[2:5], v1 offset:800
	ds_load_b128 v[34:37], v1 offset:816
	v_add_f64 v[141:142], v[147:148], v[141:142]
	v_add_f64 v[143:144], v[145:146], v[143:144]
	s_waitcnt vmcnt(7) lgkmcnt(1)
	v_mul_f64 v[145:146], v[2:3], v[131:132]
	v_mul_f64 v[131:132], v[4:5], v[131:132]
	v_fma_f64 v[139:140], v[139:140], v[38:39], v[149:150]
	v_fma_f64 v[38:39], v[137:138], v[38:39], -v[40:41]
	v_add_f64 v[40:41], v[141:142], v[153:154]
	v_add_f64 v[137:138], v[143:144], v[151:152]
	s_waitcnt vmcnt(6) lgkmcnt(0)
	v_mul_f64 v[141:142], v[34:35], v[8:9]
	v_mul_f64 v[8:9], v[36:37], v[8:9]
	v_fma_f64 v[143:144], v[4:5], v[129:130], v[145:146]
	v_fma_f64 v[129:130], v[2:3], v[129:130], -v[131:132]
	v_add_f64 v[131:132], v[40:41], v[38:39]
	v_add_f64 v[137:138], v[137:138], v[139:140]
	ds_load_b128 v[2:5], v1 offset:832
	ds_load_b128 v[38:41], v1 offset:848
	v_fma_f64 v[36:37], v[36:37], v[6:7], v[141:142]
	v_fma_f64 v[6:7], v[34:35], v[6:7], -v[8:9]
	s_waitcnt vmcnt(5) lgkmcnt(1)
	v_mul_f64 v[139:140], v[2:3], v[12:13]
	v_mul_f64 v[12:13], v[4:5], v[12:13]
	v_add_f64 v[8:9], v[131:132], v[129:130]
	v_add_f64 v[34:35], v[137:138], v[143:144]
	s_waitcnt vmcnt(4) lgkmcnt(0)
	v_mul_f64 v[129:130], v[38:39], v[16:17]
	v_mul_f64 v[16:17], v[40:41], v[16:17]
	v_fma_f64 v[131:132], v[4:5], v[10:11], v[139:140]
	v_fma_f64 v[10:11], v[2:3], v[10:11], -v[12:13]
	v_add_f64 v[12:13], v[8:9], v[6:7]
	v_add_f64 v[34:35], v[34:35], v[36:37]
	ds_load_b128 v[2:5], v1 offset:864
	ds_load_b128 v[6:9], v1 offset:880
	v_fma_f64 v[40:41], v[40:41], v[14:15], v[129:130]
	v_fma_f64 v[14:15], v[38:39], v[14:15], -v[16:17]
	s_waitcnt vmcnt(3) lgkmcnt(1)
	v_mul_f64 v[36:37], v[2:3], v[20:21]
	v_mul_f64 v[20:21], v[4:5], v[20:21]
	s_waitcnt vmcnt(2) lgkmcnt(0)
	v_mul_f64 v[16:17], v[6:7], v[24:25]
	v_mul_f64 v[24:25], v[8:9], v[24:25]
	v_add_f64 v[10:11], v[12:13], v[10:11]
	v_add_f64 v[12:13], v[34:35], v[131:132]
	v_fma_f64 v[34:35], v[4:5], v[18:19], v[36:37]
	v_fma_f64 v[18:19], v[2:3], v[18:19], -v[20:21]
	v_fma_f64 v[8:9], v[8:9], v[22:23], v[16:17]
	v_fma_f64 v[6:7], v[6:7], v[22:23], -v[24:25]
	v_add_f64 v[14:15], v[10:11], v[14:15]
	v_add_f64 v[20:21], v[12:13], v[40:41]
	ds_load_b128 v[2:5], v1 offset:896
	ds_load_b128 v[10:13], v1 offset:912
	s_waitcnt vmcnt(1) lgkmcnt(1)
	v_mul_f64 v[36:37], v[2:3], v[28:29]
	v_mul_f64 v[28:29], v[4:5], v[28:29]
	v_add_f64 v[14:15], v[14:15], v[18:19]
	v_add_f64 v[16:17], v[20:21], v[34:35]
	s_waitcnt vmcnt(0) lgkmcnt(0)
	v_mul_f64 v[18:19], v[10:11], v[32:33]
	v_mul_f64 v[20:21], v[12:13], v[32:33]
	v_fma_f64 v[4:5], v[4:5], v[26:27], v[36:37]
	v_fma_f64 v[1:2], v[2:3], v[26:27], -v[28:29]
	v_add_f64 v[6:7], v[14:15], v[6:7]
	v_add_f64 v[8:9], v[16:17], v[8:9]
	v_fma_f64 v[12:13], v[12:13], v[30:31], v[18:19]
	v_fma_f64 v[10:11], v[10:11], v[30:31], -v[20:21]
	s_delay_alu instid0(VALU_DEP_4) | instskip(NEXT) | instid1(VALU_DEP_4)
	v_add_f64 v[1:2], v[6:7], v[1:2]
	v_add_f64 v[3:4], v[8:9], v[4:5]
	s_delay_alu instid0(VALU_DEP_2) | instskip(NEXT) | instid1(VALU_DEP_2)
	v_add_f64 v[1:2], v[1:2], v[10:11]
	v_add_f64 v[3:4], v[3:4], v[12:13]
	s_delay_alu instid0(VALU_DEP_2) | instskip(NEXT) | instid1(VALU_DEP_2)
	v_add_f64 v[1:2], v[133:134], -v[1:2]
	v_add_f64 v[3:4], v[135:136], -v[3:4]
	scratch_store_b128 off, v[1:4], off
	s_cbranch_vccz .LBB92_245
; %bb.188:
	v_dual_mov_b32 v1, s8 :: v_dual_mov_b32 v2, s9
	s_load_b64 s[0:1], s[0:1], 0x4
	flat_load_b32 v1, v[1:2] offset:108
	v_bfe_u32 v2, v0, 10, 10
	v_bfe_u32 v0, v0, 20, 10
	s_waitcnt lgkmcnt(0)
	s_lshr_b32 s0, s0, 16
	s_delay_alu instid0(VALU_DEP_2) | instskip(SKIP_1) | instid1(SALU_CYCLE_1)
	v_mul_u32_u24_e32 v2, s1, v2
	s_mul_i32 s0, s0, s1
	v_mul_u32_u24_e32 v3, s0, v100
	s_mov_b32 s0, exec_lo
	s_delay_alu instid0(VALU_DEP_1) | instskip(NEXT) | instid1(VALU_DEP_1)
	v_add3_u32 v0, v3, v2, v0
	v_lshl_add_u32 v0, v0, 4, 0x3a8
	s_waitcnt vmcnt(0)
	v_cmpx_ne_u32_e32 28, v1
	s_cbranch_execz .LBB92_190
; %bb.189:
	v_lshl_add_u32 v9, v1, 4, 0
	s_clause 0x1
	scratch_load_b128 v[1:4], v119, off
	scratch_load_b128 v[5:8], v9, off offset:-16
	s_waitcnt vmcnt(1)
	ds_store_2addr_b64 v0, v[1:2], v[3:4] offset1:1
	s_waitcnt vmcnt(0)
	s_clause 0x1
	scratch_store_b128 v119, v[5:8], off
	scratch_store_b128 v9, v[1:4], off offset:-16
.LBB92_190:
	s_or_b32 exec_lo, exec_lo, s0
	v_dual_mov_b32 v1, s8 :: v_dual_mov_b32 v2, s9
	s_mov_b32 s0, exec_lo
	flat_load_b32 v1, v[1:2] offset:104
	s_waitcnt vmcnt(0) lgkmcnt(0)
	v_cmpx_ne_u32_e32 27, v1
	s_cbranch_execz .LBB92_192
; %bb.191:
	v_lshl_add_u32 v9, v1, 4, 0
	s_clause 0x1
	scratch_load_b128 v[1:4], v120, off
	scratch_load_b128 v[5:8], v9, off offset:-16
	s_waitcnt vmcnt(1)
	ds_store_2addr_b64 v0, v[1:2], v[3:4] offset1:1
	s_waitcnt vmcnt(0)
	s_clause 0x1
	scratch_store_b128 v120, v[5:8], off
	scratch_store_b128 v9, v[1:4], off offset:-16
.LBB92_192:
	s_or_b32 exec_lo, exec_lo, s0
	v_dual_mov_b32 v1, s8 :: v_dual_mov_b32 v2, s9
	s_mov_b32 s0, exec_lo
	flat_load_b32 v1, v[1:2] offset:100
	s_waitcnt vmcnt(0) lgkmcnt(0)
	;; [unrolled: 19-line block ×26, first 2 shown]
	v_cmpx_ne_u32_e32 2, v1
	s_cbranch_execz .LBB92_242
; %bb.241:
	v_lshl_add_u32 v9, v1, 4, 0
	s_clause 0x1
	scratch_load_b128 v[1:4], v104, off
	scratch_load_b128 v[5:8], v9, off offset:-16
	s_waitcnt vmcnt(1)
	ds_store_2addr_b64 v0, v[1:2], v[3:4] offset1:1
	s_waitcnt vmcnt(0)
	s_clause 0x1
	scratch_store_b128 v104, v[5:8], off
	scratch_store_b128 v9, v[1:4], off offset:-16
.LBB92_242:
	s_or_b32 exec_lo, exec_lo, s0
	v_dual_mov_b32 v1, s8 :: v_dual_mov_b32 v2, s9
	s_mov_b32 s0, exec_lo
	flat_load_b32 v1, v[1:2]
	s_waitcnt vmcnt(0) lgkmcnt(0)
	v_cmpx_ne_u32_e32 1, v1
	s_cbranch_execz .LBB92_244
; %bb.243:
	v_lshl_add_u32 v9, v1, 4, 0
	scratch_load_b128 v[1:4], off, off
	scratch_load_b128 v[5:8], v9, off offset:-16
	s_waitcnt vmcnt(1)
	ds_store_2addr_b64 v0, v[1:2], v[3:4] offset1:1
	s_waitcnt vmcnt(0)
	scratch_store_b128 off, v[5:8], off
	scratch_store_b128 v9, v[1:4], off offset:-16
.LBB92_244:
	s_or_b32 exec_lo, exec_lo, s0
.LBB92_245:
	scratch_load_b128 v[0:3], off, off
	s_clause 0x17
	scratch_load_b128 v[4:7], v104, off
	scratch_load_b128 v[8:11], v103, off
	;; [unrolled: 1-line block ×24, first 2 shown]
	s_waitcnt vmcnt(24)
	global_store_b128 v[42:43], v[0:3], off
	s_clause 0x1
	scratch_load_b128 v[0:3], v121, off
	scratch_load_b128 v[40:43], v120, off
	s_waitcnt vmcnt(25)
	global_store_b128 v[46:47], v[4:7], off
	s_clause 0x1
	scratch_load_b128 v[4:7], v119, off
	scratch_load_b128 v[115:118], v118, off
	s_waitcnt vmcnt(26)
	global_store_b128 v[44:45], v[8:11], off
	s_waitcnt vmcnt(25)
	global_store_b128 v[48:49], v[12:15], off
	;; [unrolled: 2-line block ×27, first 2 shown]
	s_endpgm
	.section	.rodata,"a",@progbits
	.p2align	6, 0x0
	.amdhsa_kernel _ZN9rocsolver6v33100L18getri_kernel_smallILi29E19rocblas_complex_numIdEPKPS3_EEvT1_iilPiilS8_bb
		.amdhsa_group_segment_fixed_size 1960
		.amdhsa_private_segment_fixed_size 480
		.amdhsa_kernarg_size 60
		.amdhsa_user_sgpr_count 15
		.amdhsa_user_sgpr_dispatch_ptr 1
		.amdhsa_user_sgpr_queue_ptr 0
		.amdhsa_user_sgpr_kernarg_segment_ptr 1
		.amdhsa_user_sgpr_dispatch_id 0
		.amdhsa_user_sgpr_private_segment_size 0
		.amdhsa_wavefront_size32 1
		.amdhsa_uses_dynamic_stack 0
		.amdhsa_enable_private_segment 1
		.amdhsa_system_sgpr_workgroup_id_x 1
		.amdhsa_system_sgpr_workgroup_id_y 0
		.amdhsa_system_sgpr_workgroup_id_z 0
		.amdhsa_system_sgpr_workgroup_info 0
		.amdhsa_system_vgpr_workitem_id 2
		.amdhsa_next_free_vgpr 182
		.amdhsa_next_free_sgpr 35
		.amdhsa_reserve_vcc 1
		.amdhsa_float_round_mode_32 0
		.amdhsa_float_round_mode_16_64 0
		.amdhsa_float_denorm_mode_32 3
		.amdhsa_float_denorm_mode_16_64 3
		.amdhsa_dx10_clamp 1
		.amdhsa_ieee_mode 1
		.amdhsa_fp16_overflow 0
		.amdhsa_workgroup_processor_mode 1
		.amdhsa_memory_ordered 1
		.amdhsa_forward_progress 0
		.amdhsa_shared_vgpr_count 0
		.amdhsa_exception_fp_ieee_invalid_op 0
		.amdhsa_exception_fp_denorm_src 0
		.amdhsa_exception_fp_ieee_div_zero 0
		.amdhsa_exception_fp_ieee_overflow 0
		.amdhsa_exception_fp_ieee_underflow 0
		.amdhsa_exception_fp_ieee_inexact 0
		.amdhsa_exception_int_div_zero 0
	.end_amdhsa_kernel
	.section	.text._ZN9rocsolver6v33100L18getri_kernel_smallILi29E19rocblas_complex_numIdEPKPS3_EEvT1_iilPiilS8_bb,"axG",@progbits,_ZN9rocsolver6v33100L18getri_kernel_smallILi29E19rocblas_complex_numIdEPKPS3_EEvT1_iilPiilS8_bb,comdat
.Lfunc_end92:
	.size	_ZN9rocsolver6v33100L18getri_kernel_smallILi29E19rocblas_complex_numIdEPKPS3_EEvT1_iilPiilS8_bb, .Lfunc_end92-_ZN9rocsolver6v33100L18getri_kernel_smallILi29E19rocblas_complex_numIdEPKPS3_EEvT1_iilPiilS8_bb
                                        ; -- End function
	.section	.AMDGPU.csdata,"",@progbits
; Kernel info:
; codeLenInByte = 45812
; NumSgprs: 37
; NumVgprs: 182
; ScratchSize: 480
; MemoryBound: 0
; FloatMode: 240
; IeeeMode: 1
; LDSByteSize: 1960 bytes/workgroup (compile time only)
; SGPRBlocks: 4
; VGPRBlocks: 22
; NumSGPRsForWavesPerEU: 37
; NumVGPRsForWavesPerEU: 182
; Occupancy: 8
; WaveLimiterHint : 1
; COMPUTE_PGM_RSRC2:SCRATCH_EN: 1
; COMPUTE_PGM_RSRC2:USER_SGPR: 15
; COMPUTE_PGM_RSRC2:TRAP_HANDLER: 0
; COMPUTE_PGM_RSRC2:TGID_X_EN: 1
; COMPUTE_PGM_RSRC2:TGID_Y_EN: 0
; COMPUTE_PGM_RSRC2:TGID_Z_EN: 0
; COMPUTE_PGM_RSRC2:TIDIG_COMP_CNT: 2
	.section	.text._ZN9rocsolver6v33100L18getri_kernel_smallILi30E19rocblas_complex_numIdEPKPS3_EEvT1_iilPiilS8_bb,"axG",@progbits,_ZN9rocsolver6v33100L18getri_kernel_smallILi30E19rocblas_complex_numIdEPKPS3_EEvT1_iilPiilS8_bb,comdat
	.globl	_ZN9rocsolver6v33100L18getri_kernel_smallILi30E19rocblas_complex_numIdEPKPS3_EEvT1_iilPiilS8_bb ; -- Begin function _ZN9rocsolver6v33100L18getri_kernel_smallILi30E19rocblas_complex_numIdEPKPS3_EEvT1_iilPiilS8_bb
	.p2align	8
	.type	_ZN9rocsolver6v33100L18getri_kernel_smallILi30E19rocblas_complex_numIdEPKPS3_EEvT1_iilPiilS8_bb,@function
_ZN9rocsolver6v33100L18getri_kernel_smallILi30E19rocblas_complex_numIdEPKPS3_EEvT1_iilPiilS8_bb: ; @_ZN9rocsolver6v33100L18getri_kernel_smallILi30E19rocblas_complex_numIdEPKPS3_EEvT1_iilPiilS8_bb
; %bb.0:
	v_and_b32_e32 v102, 0x3ff, v0
	s_mov_b32 s4, exec_lo
	s_delay_alu instid0(VALU_DEP_1)
	v_cmpx_gt_u32_e32 30, v102
	s_cbranch_execz .LBB93_134
; %bb.1:
	s_mov_b32 s10, s15
	s_clause 0x2
	s_load_b32 s15, s[2:3], 0x38
	s_load_b64 s[8:9], s[2:3], 0x0
	s_load_b128 s[4:7], s[2:3], 0x28
	s_waitcnt lgkmcnt(0)
	s_bitcmp1_b32 s15, 8
	s_cselect_b32 s14, -1, 0
	s_ashr_i32 s11, s10, 31
	s_delay_alu instid0(SALU_CYCLE_1) | instskip(NEXT) | instid1(SALU_CYCLE_1)
	s_lshl_b64 s[12:13], s[10:11], 3
	s_add_u32 s8, s8, s12
	s_addc_u32 s9, s9, s13
	s_load_b64 s[12:13], s[8:9], 0x0
	s_bfe_u32 s8, s15, 0x10008
	s_delay_alu instid0(SALU_CYCLE_1)
	s_cmp_eq_u32 s8, 0
                                        ; implicit-def: $sgpr8_sgpr9
	s_cbranch_scc1 .LBB93_3
; %bb.2:
	s_clause 0x1
	s_load_b32 s8, s[2:3], 0x20
	s_load_b64 s[16:17], s[2:3], 0x18
	s_mul_i32 s5, s10, s5
	s_mul_hi_u32 s9, s10, s4
	s_mul_i32 s18, s11, s4
	s_add_i32 s5, s9, s5
	s_mul_i32 s4, s10, s4
	s_add_i32 s5, s5, s18
	s_delay_alu instid0(SALU_CYCLE_1)
	s_lshl_b64 s[4:5], s[4:5], 2
	s_waitcnt lgkmcnt(0)
	s_ashr_i32 s9, s8, 31
	s_add_u32 s16, s16, s4
	s_addc_u32 s17, s17, s5
	s_lshl_b64 s[4:5], s[8:9], 2
	s_delay_alu instid0(SALU_CYCLE_1)
	s_add_u32 s8, s16, s4
	s_addc_u32 s9, s17, s5
.LBB93_3:
	s_load_b64 s[4:5], s[2:3], 0x8
	v_lshlrev_b32_e32 v21, 4, v102
	s_movk_i32 s18, 0xd0
	s_movk_i32 s19, 0xe0
	;; [unrolled: 1-line block ×17, first 2 shown]
	v_add_nc_u32_e64 v106, 0, 16
	s_waitcnt lgkmcnt(0)
	v_add3_u32 v5, s5, s5, v102
	s_ashr_i32 s3, s4, 31
	s_mov_b32 s2, s4
	s_mov_b32 s16, s5
	s_lshl_b64 s[2:3], s[2:3], 4
	v_add_nc_u32_e32 v7, s5, v5
	v_ashrrev_i32_e32 v6, 31, v5
	s_add_u32 s2, s12, s2
	s_addc_u32 s3, s13, s3
	v_add_co_u32 v42, s4, s2, v21
	v_add_nc_u32_e32 v22, s5, v7
	s_ashr_i32 s17, s5, 31
	v_add_co_ci_u32_e64 v43, null, s3, 0, s4
	v_lshlrev_b64 v[5:6], 4, v[5:6]
	v_ashrrev_i32_e32 v8, 31, v7
	s_lshl_b64 s[12:13], s[16:17], 4
	v_ashrrev_i32_e32 v23, 31, v22
	v_add_co_u32 v44, vcc_lo, v42, s12
	v_add_co_ci_u32_e32 v45, vcc_lo, s13, v43, vcc_lo
	v_lshlrev_b64 v[7:8], 4, v[7:8]
	v_add_co_u32 v46, vcc_lo, s2, v5
	v_add_co_ci_u32_e32 v47, vcc_lo, s3, v6, vcc_lo
	v_lshlrev_b64 v[5:6], 4, v[22:23]
	s_delay_alu instid0(VALU_DEP_4)
	v_add_co_u32 v48, vcc_lo, s2, v7
	v_add_co_ci_u32_e32 v49, vcc_lo, s3, v8, vcc_lo
	global_load_b128 v[1:4], v21, s[2:3]
	v_add_co_u32 v50, vcc_lo, s2, v5
	s_clause 0x2
	global_load_b128 v[9:12], v[44:45], off
	global_load_b128 v[13:16], v[46:47], off
	;; [unrolled: 1-line block ×3, first 2 shown]
	v_add_co_ci_u32_e32 v51, vcc_lo, s3, v6, vcc_lo
	v_add_nc_u32_e32 v22, s5, v22
	s_movk_i32 s4, 0x70
	s_movk_i32 s12, 0x90
	global_load_b128 v[5:8], v[50:51], off
	s_movk_i32 s13, 0xa0
	v_add_nc_u32_e32 v24, s5, v22
	v_ashrrev_i32_e32 v23, 31, v22
	s_movk_i32 s16, 0xb0
	s_movk_i32 s17, 0xc0
	v_add_nc_u32_e64 v104, 0, 32
	v_add_nc_u32_e32 v26, s5, v24
	v_ashrrev_i32_e32 v25, 31, v24
	v_lshlrev_b64 v[22:23], 4, v[22:23]
	v_add_nc_u32_e64 v105, 0, 48
	v_add_nc_u32_e64 v103, 0, 64
	v_add_nc_u32_e32 v28, s5, v26
	v_ashrrev_i32_e32 v27, 31, v26
	v_lshlrev_b64 v[24:25], 4, v[24:25]
	v_add_co_u32 v52, vcc_lo, s2, v22
	s_delay_alu instid0(VALU_DEP_4) | instskip(SKIP_3) | instid1(VALU_DEP_4)
	v_add_nc_u32_e32 v30, s5, v28
	v_ashrrev_i32_e32 v29, 31, v28
	v_lshlrev_b64 v[32:33], 4, v[26:27]
	v_add_co_ci_u32_e32 v53, vcc_lo, s3, v23, vcc_lo
	v_add_nc_u32_e32 v34, s5, v30
	v_ashrrev_i32_e32 v31, 31, v30
	v_add_co_u32 v54, vcc_lo, s2, v24
	v_lshlrev_b64 v[36:37], 4, v[28:29]
	s_delay_alu instid0(VALU_DEP_4) | instskip(SKIP_3) | instid1(VALU_DEP_4)
	v_add_nc_u32_e32 v38, s5, v34
	v_ashrrev_i32_e32 v35, 31, v34
	v_add_co_ci_u32_e32 v55, vcc_lo, s3, v25, vcc_lo
	v_add_co_u32 v56, vcc_lo, s2, v32
	v_add_nc_u32_e32 v64, s5, v38
	v_lshlrev_b64 v[40:41], 4, v[30:31]
	v_ashrrev_i32_e32 v39, 31, v38
	v_add_co_ci_u32_e32 v57, vcc_lo, s3, v33, vcc_lo
	s_delay_alu instid0(VALU_DEP_4)
	v_add_nc_u32_e32 v66, s5, v64
	v_add_co_u32 v58, vcc_lo, s2, v36
	v_lshlrev_b64 v[62:63], 4, v[34:35]
	v_ashrrev_i32_e32 v65, 31, v64
	v_add_co_ci_u32_e32 v59, vcc_lo, s3, v37, vcc_lo
	v_add_nc_u32_e32 v70, s5, v66
	v_add_co_u32 v60, vcc_lo, s2, v40
	v_lshlrev_b64 v[68:69], 4, v[38:39]
	v_add_co_ci_u32_e32 v61, vcc_lo, s3, v41, vcc_lo
	v_add_co_u32 v62, vcc_lo, s2, v62
	v_lshlrev_b64 v[72:73], 4, v[64:65]
	v_ashrrev_i32_e32 v67, 31, v66
	v_add_nc_u32_e32 v74, s5, v70
	v_add_co_ci_u32_e32 v63, vcc_lo, s3, v63, vcc_lo
	v_add_co_u32 v64, vcc_lo, s2, v68
	v_add_co_ci_u32_e32 v65, vcc_lo, s3, v69, vcc_lo
	v_lshlrev_b64 v[68:69], 4, v[66:67]
	v_add_co_u32 v66, vcc_lo, s2, v72
	v_add_nc_u32_e32 v72, s5, v74
	v_ashrrev_i32_e32 v71, 31, v70
	v_ashrrev_i32_e32 v75, 31, v74
	v_add_co_ci_u32_e32 v67, vcc_lo, s3, v73, vcc_lo
	s_delay_alu instid0(VALU_DEP_4) | instskip(NEXT) | instid1(VALU_DEP_4)
	v_add_nc_u32_e32 v76, s5, v72
	v_lshlrev_b64 v[70:71], 4, v[70:71]
	v_ashrrev_i32_e32 v73, 31, v72
	v_add_co_u32 v68, vcc_lo, s2, v68
	s_delay_alu instid0(VALU_DEP_4) | instskip(SKIP_3) | instid1(VALU_DEP_4)
	v_add_nc_u32_e32 v78, s5, v76
	v_lshlrev_b64 v[74:75], 4, v[74:75]
	v_ashrrev_i32_e32 v77, 31, v76
	v_add_co_ci_u32_e32 v69, vcc_lo, s3, v69, vcc_lo
	v_add_nc_u32_e32 v82, s5, v78
	v_add_co_u32 v70, vcc_lo, s2, v70
	v_lshlrev_b64 v[80:81], 4, v[72:73]
	v_ashrrev_i32_e32 v79, 31, v78
	s_delay_alu instid0(VALU_DEP_4) | instskip(SKIP_2) | instid1(VALU_DEP_3)
	v_add_nc_u32_e32 v84, s5, v82
	v_add_co_ci_u32_e32 v71, vcc_lo, s3, v71, vcc_lo
	v_add_co_u32 v72, vcc_lo, s2, v74
	v_add_nc_u32_e32 v86, s5, v84
	v_lshlrev_b64 v[76:77], 4, v[76:77]
	v_ashrrev_i32_e32 v83, 31, v82
	v_add_co_ci_u32_e32 v73, vcc_lo, s3, v75, vcc_lo
	s_delay_alu instid0(VALU_DEP_4) | instskip(SKIP_3) | instid1(VALU_DEP_4)
	v_add_nc_u32_e32 v88, s5, v86
	v_add_co_u32 v74, vcc_lo, s2, v80
	v_lshlrev_b64 v[78:79], 4, v[78:79]
	v_ashrrev_i32_e32 v85, 31, v84
	v_add_nc_u32_e32 v90, s5, v88
	v_add_co_ci_u32_e32 v75, vcc_lo, s3, v81, vcc_lo
	v_add_co_u32 v76, vcc_lo, s2, v76
	s_delay_alu instid0(VALU_DEP_3)
	v_add_nc_u32_e32 v92, s5, v90
	v_lshlrev_b64 v[80:81], 4, v[82:83]
	v_ashrrev_i32_e32 v87, 31, v86
	v_ashrrev_i32_e32 v89, 31, v88
	;; [unrolled: 1-line block ×3, first 2 shown]
	v_add_nc_u32_e32 v94, s5, v92
	v_add_co_ci_u32_e32 v77, vcc_lo, s3, v77, vcc_lo
	v_add_co_u32 v78, vcc_lo, s2, v78
	s_delay_alu instid0(VALU_DEP_3) | instskip(SKIP_3) | instid1(VALU_DEP_4)
	v_add_nc_u32_e32 v96, s5, v94
	v_lshlrev_b64 v[82:83], 4, v[84:85]
	v_add_co_ci_u32_e32 v79, vcc_lo, s3, v79, vcc_lo
	v_lshlrev_b64 v[84:85], 4, v[86:87]
	v_add_nc_u32_e32 v98, s5, v96
	v_lshlrev_b64 v[86:87], 4, v[88:89]
	v_lshlrev_b64 v[88:89], 4, v[90:91]
	v_add_co_u32 v80, vcc_lo, s2, v80
	s_delay_alu instid0(VALU_DEP_4) | instskip(SKIP_2) | instid1(VALU_DEP_3)
	v_add_nc_u32_e32 v100, s5, v98
	v_add_co_ci_u32_e32 v81, vcc_lo, s3, v81, vcc_lo
	v_add_co_u32 v82, vcc_lo, s2, v82
	v_add_nc_u32_e32 v90, s5, v100
	v_add_co_ci_u32_e32 v83, vcc_lo, s3, v83, vcc_lo
	v_add_co_u32 v84, vcc_lo, s2, v84
	s_delay_alu instid0(VALU_DEP_3) | instskip(SKIP_3) | instid1(VALU_DEP_4)
	v_ashrrev_i32_e32 v91, 31, v90
	v_ashrrev_i32_e32 v93, 31, v92
	v_add_co_ci_u32_e32 v85, vcc_lo, s3, v85, vcc_lo
	v_add_co_u32 v86, vcc_lo, s2, v86
	v_lshlrev_b64 v[90:91], 4, v[90:91]
	v_ashrrev_i32_e32 v95, 31, v94
	v_add_co_ci_u32_e32 v87, vcc_lo, s3, v87, vcc_lo
	v_lshlrev_b64 v[92:93], 4, v[92:93]
	v_add_co_u32 v88, vcc_lo, s2, v88
	v_ashrrev_i32_e32 v97, 31, v96
	v_add_co_ci_u32_e32 v89, vcc_lo, s3, v89, vcc_lo
	v_lshlrev_b64 v[94:95], 4, v[94:95]
	v_add_co_u32 v90, vcc_lo, s2, v90
	v_ashrrev_i32_e32 v99, 31, v98
	v_add_co_ci_u32_e32 v91, vcc_lo, s3, v91, vcc_lo
	v_add_co_u32 v92, vcc_lo, s2, v92
	v_lshlrev_b64 v[96:97], 4, v[96:97]
	v_ashrrev_i32_e32 v101, 31, v100
	v_add_co_ci_u32_e32 v93, vcc_lo, s3, v93, vcc_lo
	v_add_co_u32 v94, vcc_lo, s2, v94
	v_lshlrev_b64 v[98:99], 4, v[98:99]
	v_add_co_ci_u32_e32 v95, vcc_lo, s3, v95, vcc_lo
	v_add_co_u32 v96, vcc_lo, s2, v96
	v_lshlrev_b64 v[100:101], 4, v[100:101]
	v_add_co_ci_u32_e32 v97, vcc_lo, s3, v97, vcc_lo
	v_add_co_u32 v98, vcc_lo, s2, v98
	v_add_co_ci_u32_e32 v99, vcc_lo, s3, v99, vcc_lo
	s_clause 0x11
	global_load_b128 v[22:25], v[52:53], off
	global_load_b128 v[26:29], v[54:55], off
	;; [unrolled: 1-line block ×18, first 2 shown]
	v_add_co_u32 v100, vcc_lo, s2, v100
	global_load_b128 v[177:180], v[90:91], off
	v_add_co_ci_u32_e32 v101, vcc_lo, s3, v101, vcc_lo
	s_movk_i32 s2, 0x50
	s_movk_i32 s3, 0x60
	s_movk_i32 s5, 0x80
	v_add_nc_u32_e64 v124, s2, 0
	v_add_nc_u32_e64 v122, s3, 0
	v_add_nc_u32_e64 v123, s4, 0
	v_add_nc_u32_e64 v121, s5, 0
	v_add_nc_u32_e64 v120, s12, 0
	v_add_nc_u32_e64 v118, s13, 0
	v_add_nc_u32_e64 v119, s16, 0
	v_add_nc_u32_e64 v117, s17, 0
	v_add_nc_u32_e64 v116, s18, 0
	v_add_nc_u32_e64 v114, s19, 0
	v_add_nc_u32_e64 v115, s20, 0
	v_add_nc_u32_e64 v113, s21, 0
	v_add_nc_u32_e64 v112, s22, 0
	v_add_nc_u32_e64 v110, s23, 0
	v_add_nc_u32_e64 v111, s24, 0
	v_add_nc_u32_e64 v109, s25, 0
	v_add_nc_u32_e64 v108, s26, 0
	v_add_nc_u32_e64 v107, s27, 0
	s_bitcmp0_b32 s15, 0
	s_mov_b32 s3, -1
	s_waitcnt vmcnt(23)
	scratch_store_b128 off, v[1:4], off
	s_clause 0x1
	global_load_b128 v[1:4], v[88:89], off
	global_load_b128 v[181:184], v[92:93], off
	s_waitcnt vmcnt(24)
	scratch_store_b128 off, v[9:12], off offset:16
	s_waitcnt vmcnt(23)
	scratch_store_b128 off, v[13:16], off offset:32
	s_clause 0x1
	global_load_b128 v[9:12], v[94:95], off
	global_load_b128 v[13:16], v[96:97], off
	s_waitcnt vmcnt(24)
	scratch_store_b128 off, v[17:20], off offset:48
	global_load_b128 v[17:20], v[98:99], off
	s_waitcnt vmcnt(24)
	scratch_store_b128 off, v[5:8], off offset:64
	;; [unrolled: 3-line block ×3, first 2 shown]
	s_waitcnt vmcnt(23)
	scratch_store_b128 off, v[26:29], off offset:96
	s_waitcnt vmcnt(22)
	scratch_store_b128 off, v[30:33], off offset:112
	;; [unrolled: 2-line block ×22, first 2 shown]
	v_add_nc_u32_e64 v131, s28, 0
	v_add_nc_u32_e64 v130, s29, 0
	;; [unrolled: 1-line block ×7, first 2 shown]
	s_waitcnt vmcnt(0)
	s_clause 0x1
	scratch_store_b128 off, v[5:8], off offset:448
	scratch_store_b128 off, v[177:180], off offset:464
	s_cbranch_scc1 .LBB93_132
; %bb.4:
	v_cmp_eq_u32_e64 s2, 0, v102
	s_delay_alu instid0(VALU_DEP_1)
	s_and_saveexec_b32 s3, s2
	s_cbranch_execz .LBB93_6
; %bb.5:
	v_mov_b32_e32 v1, 0
	ds_store_b32 v1, v1 offset:960
.LBB93_6:
	s_or_b32 exec_lo, exec_lo, s3
	s_waitcnt lgkmcnt(0)
	s_waitcnt_vscnt null, 0x0
	s_barrier
	buffer_gl0_inv
	scratch_load_b128 v[1:4], v21, off
	s_waitcnt vmcnt(0)
	v_cmp_eq_f64_e32 vcc_lo, 0, v[1:2]
	v_cmp_eq_f64_e64 s3, 0, v[3:4]
	s_delay_alu instid0(VALU_DEP_1) | instskip(NEXT) | instid1(SALU_CYCLE_1)
	s_and_b32 s3, vcc_lo, s3
	s_and_saveexec_b32 s4, s3
	s_cbranch_execz .LBB93_10
; %bb.7:
	v_mov_b32_e32 v1, 0
	s_mov_b32 s5, 0
	ds_load_b32 v2, v1 offset:960
	s_waitcnt lgkmcnt(0)
	v_readfirstlane_b32 s3, v2
	v_add_nc_u32_e32 v2, 1, v102
	s_delay_alu instid0(VALU_DEP_2) | instskip(NEXT) | instid1(VALU_DEP_1)
	s_cmp_eq_u32 s3, 0
	v_cmp_gt_i32_e32 vcc_lo, s3, v2
	s_cselect_b32 s12, -1, 0
	s_delay_alu instid0(SALU_CYCLE_1) | instskip(NEXT) | instid1(SALU_CYCLE_1)
	s_or_b32 s12, s12, vcc_lo
	s_and_b32 exec_lo, exec_lo, s12
	s_cbranch_execz .LBB93_10
; %bb.8:
	v_mov_b32_e32 v3, s3
.LBB93_9:                               ; =>This Inner Loop Header: Depth=1
	ds_cmpstore_rtn_b32 v3, v1, v2, v3 offset:960
	s_waitcnt lgkmcnt(0)
	v_cmp_ne_u32_e32 vcc_lo, 0, v3
	v_cmp_le_i32_e64 s3, v3, v2
	s_delay_alu instid0(VALU_DEP_1) | instskip(NEXT) | instid1(SALU_CYCLE_1)
	s_and_b32 s3, vcc_lo, s3
	s_and_b32 s3, exec_lo, s3
	s_delay_alu instid0(SALU_CYCLE_1) | instskip(NEXT) | instid1(SALU_CYCLE_1)
	s_or_b32 s5, s3, s5
	s_and_not1_b32 exec_lo, exec_lo, s5
	s_cbranch_execnz .LBB93_9
.LBB93_10:
	s_or_b32 exec_lo, exec_lo, s4
	v_mov_b32_e32 v1, 0
	s_barrier
	buffer_gl0_inv
	ds_load_b32 v2, v1 offset:960
	s_and_saveexec_b32 s3, s2
	s_cbranch_execz .LBB93_12
; %bb.11:
	s_lshl_b64 s[4:5], s[10:11], 2
	s_delay_alu instid0(SALU_CYCLE_1)
	s_add_u32 s4, s6, s4
	s_addc_u32 s5, s7, s5
	s_waitcnt lgkmcnt(0)
	global_store_b32 v1, v2, s[4:5]
.LBB93_12:
	s_or_b32 exec_lo, exec_lo, s3
	s_waitcnt lgkmcnt(0)
	v_cmp_ne_u32_e32 vcc_lo, 0, v2
	s_mov_b32 s3, 0
	s_cbranch_vccnz .LBB93_132
; %bb.13:
	v_add_nc_u32_e32 v13, 0, v21
                                        ; implicit-def: $vgpr9_vgpr10
	scratch_load_b128 v[1:4], v13, off
	s_waitcnt vmcnt(0)
	v_cmp_gt_f64_e32 vcc_lo, 0, v[1:2]
	v_xor_b32_e32 v6, 0x80000000, v2
	v_xor_b32_e32 v7, 0x80000000, v4
	s_delay_alu instid0(VALU_DEP_2) | instskip(SKIP_1) | instid1(VALU_DEP_3)
	v_cndmask_b32_e32 v6, v2, v6, vcc_lo
	v_cmp_gt_f64_e32 vcc_lo, 0, v[3:4]
	v_dual_mov_b32 v5, v1 :: v_dual_cndmask_b32 v8, v4, v7
	v_mov_b32_e32 v7, v3
	s_delay_alu instid0(VALU_DEP_1) | instskip(SKIP_1) | instid1(SALU_CYCLE_1)
	v_cmp_ngt_f64_e32 vcc_lo, v[5:6], v[7:8]
                                        ; implicit-def: $vgpr5_vgpr6
	s_and_saveexec_b32 s3, vcc_lo
	s_xor_b32 s3, exec_lo, s3
	s_cbranch_execz .LBB93_15
; %bb.14:
	v_div_scale_f64 v[5:6], null, v[3:4], v[3:4], v[1:2]
	v_div_scale_f64 v[11:12], vcc_lo, v[1:2], v[3:4], v[1:2]
	s_delay_alu instid0(VALU_DEP_2) | instskip(SKIP_2) | instid1(VALU_DEP_1)
	v_rcp_f64_e32 v[7:8], v[5:6]
	s_waitcnt_depctr 0xfff
	v_fma_f64 v[9:10], -v[5:6], v[7:8], 1.0
	v_fma_f64 v[7:8], v[7:8], v[9:10], v[7:8]
	s_delay_alu instid0(VALU_DEP_1) | instskip(NEXT) | instid1(VALU_DEP_1)
	v_fma_f64 v[9:10], -v[5:6], v[7:8], 1.0
	v_fma_f64 v[7:8], v[7:8], v[9:10], v[7:8]
	s_delay_alu instid0(VALU_DEP_1) | instskip(NEXT) | instid1(VALU_DEP_1)
	v_mul_f64 v[9:10], v[11:12], v[7:8]
	v_fma_f64 v[5:6], -v[5:6], v[9:10], v[11:12]
	s_delay_alu instid0(VALU_DEP_1) | instskip(NEXT) | instid1(VALU_DEP_1)
	v_div_fmas_f64 v[5:6], v[5:6], v[7:8], v[9:10]
	v_div_fixup_f64 v[5:6], v[5:6], v[3:4], v[1:2]
	s_delay_alu instid0(VALU_DEP_1) | instskip(NEXT) | instid1(VALU_DEP_1)
	v_fma_f64 v[1:2], v[1:2], v[5:6], v[3:4]
	v_div_scale_f64 v[3:4], null, v[1:2], v[1:2], 1.0
	v_div_scale_f64 v[11:12], vcc_lo, 1.0, v[1:2], 1.0
	s_delay_alu instid0(VALU_DEP_2) | instskip(SKIP_2) | instid1(VALU_DEP_1)
	v_rcp_f64_e32 v[7:8], v[3:4]
	s_waitcnt_depctr 0xfff
	v_fma_f64 v[9:10], -v[3:4], v[7:8], 1.0
	v_fma_f64 v[7:8], v[7:8], v[9:10], v[7:8]
	s_delay_alu instid0(VALU_DEP_1) | instskip(NEXT) | instid1(VALU_DEP_1)
	v_fma_f64 v[9:10], -v[3:4], v[7:8], 1.0
	v_fma_f64 v[7:8], v[7:8], v[9:10], v[7:8]
	s_delay_alu instid0(VALU_DEP_1) | instskip(NEXT) | instid1(VALU_DEP_1)
	v_mul_f64 v[9:10], v[11:12], v[7:8]
	v_fma_f64 v[3:4], -v[3:4], v[9:10], v[11:12]
	s_delay_alu instid0(VALU_DEP_1) | instskip(NEXT) | instid1(VALU_DEP_1)
	v_div_fmas_f64 v[3:4], v[3:4], v[7:8], v[9:10]
	v_div_fixup_f64 v[7:8], v[3:4], v[1:2], 1.0
                                        ; implicit-def: $vgpr1_vgpr2
	s_delay_alu instid0(VALU_DEP_1) | instskip(SKIP_1) | instid1(VALU_DEP_2)
	v_mul_f64 v[5:6], v[5:6], v[7:8]
	v_xor_b32_e32 v8, 0x80000000, v8
	v_xor_b32_e32 v10, 0x80000000, v6
	s_delay_alu instid0(VALU_DEP_3)
	v_mov_b32_e32 v9, v5
.LBB93_15:
	s_and_not1_saveexec_b32 s3, s3
	s_cbranch_execz .LBB93_17
; %bb.16:
	v_div_scale_f64 v[5:6], null, v[1:2], v[1:2], v[3:4]
	v_div_scale_f64 v[11:12], vcc_lo, v[3:4], v[1:2], v[3:4]
	s_delay_alu instid0(VALU_DEP_2) | instskip(SKIP_2) | instid1(VALU_DEP_1)
	v_rcp_f64_e32 v[7:8], v[5:6]
	s_waitcnt_depctr 0xfff
	v_fma_f64 v[9:10], -v[5:6], v[7:8], 1.0
	v_fma_f64 v[7:8], v[7:8], v[9:10], v[7:8]
	s_delay_alu instid0(VALU_DEP_1) | instskip(NEXT) | instid1(VALU_DEP_1)
	v_fma_f64 v[9:10], -v[5:6], v[7:8], 1.0
	v_fma_f64 v[7:8], v[7:8], v[9:10], v[7:8]
	s_delay_alu instid0(VALU_DEP_1) | instskip(NEXT) | instid1(VALU_DEP_1)
	v_mul_f64 v[9:10], v[11:12], v[7:8]
	v_fma_f64 v[5:6], -v[5:6], v[9:10], v[11:12]
	s_delay_alu instid0(VALU_DEP_1) | instskip(NEXT) | instid1(VALU_DEP_1)
	v_div_fmas_f64 v[5:6], v[5:6], v[7:8], v[9:10]
	v_div_fixup_f64 v[7:8], v[5:6], v[1:2], v[3:4]
	s_delay_alu instid0(VALU_DEP_1) | instskip(NEXT) | instid1(VALU_DEP_1)
	v_fma_f64 v[1:2], v[3:4], v[7:8], v[1:2]
	v_div_scale_f64 v[3:4], null, v[1:2], v[1:2], 1.0
	s_delay_alu instid0(VALU_DEP_1) | instskip(SKIP_2) | instid1(VALU_DEP_1)
	v_rcp_f64_e32 v[5:6], v[3:4]
	s_waitcnt_depctr 0xfff
	v_fma_f64 v[9:10], -v[3:4], v[5:6], 1.0
	v_fma_f64 v[5:6], v[5:6], v[9:10], v[5:6]
	s_delay_alu instid0(VALU_DEP_1) | instskip(NEXT) | instid1(VALU_DEP_1)
	v_fma_f64 v[9:10], -v[3:4], v[5:6], 1.0
	v_fma_f64 v[5:6], v[5:6], v[9:10], v[5:6]
	v_div_scale_f64 v[9:10], vcc_lo, 1.0, v[1:2], 1.0
	s_delay_alu instid0(VALU_DEP_1) | instskip(NEXT) | instid1(VALU_DEP_1)
	v_mul_f64 v[11:12], v[9:10], v[5:6]
	v_fma_f64 v[3:4], -v[3:4], v[11:12], v[9:10]
	s_delay_alu instid0(VALU_DEP_1) | instskip(NEXT) | instid1(VALU_DEP_1)
	v_div_fmas_f64 v[3:4], v[3:4], v[5:6], v[11:12]
	v_div_fixup_f64 v[5:6], v[3:4], v[1:2], 1.0
	s_delay_alu instid0(VALU_DEP_1)
	v_mul_f64 v[7:8], v[7:8], -v[5:6]
	v_xor_b32_e32 v10, 0x80000000, v6
	v_mov_b32_e32 v9, v5
.LBB93_17:
	s_or_b32 exec_lo, exec_lo, s3
	scratch_store_b128 v13, v[5:8], off
	scratch_load_b128 v[1:4], v106, off
	v_xor_b32_e32 v12, 0x80000000, v8
	v_mov_b32_e32 v11, v7
	v_add_nc_u32_e32 v5, 0x1e0, v21
	ds_store_b128 v21, v[9:12]
	s_waitcnt vmcnt(0)
	ds_store_b128 v21, v[1:4] offset:480
	s_waitcnt lgkmcnt(0)
	s_waitcnt_vscnt null, 0x0
	s_barrier
	buffer_gl0_inv
	s_and_saveexec_b32 s3, s2
	s_cbranch_execz .LBB93_19
; %bb.18:
	scratch_load_b128 v[1:4], v13, off
	ds_load_b128 v[6:9], v5
	v_mov_b32_e32 v10, 0
	ds_load_b128 v[14:17], v10 offset:16
	s_waitcnt vmcnt(0) lgkmcnt(1)
	v_mul_f64 v[10:11], v[6:7], v[3:4]
	v_mul_f64 v[3:4], v[8:9], v[3:4]
	s_delay_alu instid0(VALU_DEP_2) | instskip(NEXT) | instid1(VALU_DEP_2)
	v_fma_f64 v[8:9], v[8:9], v[1:2], v[10:11]
	v_fma_f64 v[1:2], v[6:7], v[1:2], -v[3:4]
	s_delay_alu instid0(VALU_DEP_2) | instskip(NEXT) | instid1(VALU_DEP_2)
	v_add_f64 v[3:4], v[8:9], 0
	v_add_f64 v[1:2], v[1:2], 0
	s_waitcnt lgkmcnt(0)
	s_delay_alu instid0(VALU_DEP_2) | instskip(NEXT) | instid1(VALU_DEP_2)
	v_mul_f64 v[6:7], v[3:4], v[16:17]
	v_mul_f64 v[8:9], v[1:2], v[16:17]
	s_delay_alu instid0(VALU_DEP_2) | instskip(NEXT) | instid1(VALU_DEP_2)
	v_fma_f64 v[1:2], v[1:2], v[14:15], -v[6:7]
	v_fma_f64 v[3:4], v[3:4], v[14:15], v[8:9]
	scratch_store_b128 off, v[1:4], off offset:16
.LBB93_19:
	s_or_b32 exec_lo, exec_lo, s3
	s_waitcnt_vscnt null, 0x0
	s_barrier
	buffer_gl0_inv
	scratch_load_b128 v[1:4], v104, off
	s_mov_b32 s3, exec_lo
	s_waitcnt vmcnt(0)
	ds_store_b128 v5, v[1:4]
	s_waitcnt lgkmcnt(0)
	s_barrier
	buffer_gl0_inv
	v_cmpx_gt_u32_e32 2, v102
	s_cbranch_execz .LBB93_23
; %bb.20:
	scratch_load_b128 v[1:4], v13, off
	ds_load_b128 v[6:9], v5
	s_waitcnt vmcnt(0) lgkmcnt(0)
	v_mul_f64 v[10:11], v[8:9], v[3:4]
	v_mul_f64 v[3:4], v[6:7], v[3:4]
	s_delay_alu instid0(VALU_DEP_2) | instskip(NEXT) | instid1(VALU_DEP_2)
	v_fma_f64 v[6:7], v[6:7], v[1:2], -v[10:11]
	v_fma_f64 v[3:4], v[8:9], v[1:2], v[3:4]
	s_delay_alu instid0(VALU_DEP_2) | instskip(NEXT) | instid1(VALU_DEP_2)
	v_add_f64 v[1:2], v[6:7], 0
	v_add_f64 v[3:4], v[3:4], 0
	s_and_saveexec_b32 s4, s2
	s_cbranch_execz .LBB93_22
; %bb.21:
	scratch_load_b128 v[6:9], off, off offset:16
	v_mov_b32_e32 v10, 0
	ds_load_b128 v[14:17], v10 offset:496
	s_waitcnt vmcnt(0) lgkmcnt(0)
	v_mul_f64 v[10:11], v[14:15], v[8:9]
	v_mul_f64 v[8:9], v[16:17], v[8:9]
	s_delay_alu instid0(VALU_DEP_2) | instskip(NEXT) | instid1(VALU_DEP_2)
	v_fma_f64 v[10:11], v[16:17], v[6:7], v[10:11]
	v_fma_f64 v[6:7], v[14:15], v[6:7], -v[8:9]
	s_delay_alu instid0(VALU_DEP_2) | instskip(NEXT) | instid1(VALU_DEP_2)
	v_add_f64 v[3:4], v[3:4], v[10:11]
	v_add_f64 v[1:2], v[1:2], v[6:7]
.LBB93_22:
	s_or_b32 exec_lo, exec_lo, s4
	v_mov_b32_e32 v6, 0
	ds_load_b128 v[6:9], v6 offset:32
	s_waitcnt lgkmcnt(0)
	v_mul_f64 v[10:11], v[3:4], v[8:9]
	v_mul_f64 v[8:9], v[1:2], v[8:9]
	s_delay_alu instid0(VALU_DEP_2) | instskip(NEXT) | instid1(VALU_DEP_2)
	v_fma_f64 v[1:2], v[1:2], v[6:7], -v[10:11]
	v_fma_f64 v[3:4], v[3:4], v[6:7], v[8:9]
	scratch_store_b128 off, v[1:4], off offset:32
.LBB93_23:
	s_or_b32 exec_lo, exec_lo, s3
	s_waitcnt_vscnt null, 0x0
	s_barrier
	buffer_gl0_inv
	scratch_load_b128 v[1:4], v105, off
	v_add_nc_u32_e32 v6, -1, v102
	s_mov_b32 s2, exec_lo
	s_waitcnt vmcnt(0)
	ds_store_b128 v5, v[1:4]
	s_waitcnt lgkmcnt(0)
	s_barrier
	buffer_gl0_inv
	v_cmpx_gt_u32_e32 3, v102
	s_cbranch_execz .LBB93_27
; %bb.24:
	v_dual_mov_b32 v1, 0 :: v_dual_add_nc_u32 v8, 0x1e0, v21
	v_dual_mov_b32 v2, 0 :: v_dual_add_nc_u32 v7, -1, v102
	v_or_b32_e32 v9, 8, v13
	s_mov_b32 s3, 0
	s_delay_alu instid0(VALU_DEP_2)
	v_dual_mov_b32 v4, v2 :: v_dual_mov_b32 v3, v1
	.p2align	6
.LBB93_25:                              ; =>This Inner Loop Header: Depth=1
	scratch_load_b128 v[14:17], v9, off offset:-8
	ds_load_b128 v[22:25], v8
	v_add_nc_u32_e32 v7, 1, v7
	v_add_nc_u32_e32 v8, 16, v8
	;; [unrolled: 1-line block ×3, first 2 shown]
	s_delay_alu instid0(VALU_DEP_3) | instskip(SKIP_4) | instid1(VALU_DEP_2)
	v_cmp_lt_u32_e32 vcc_lo, 1, v7
	s_or_b32 s3, vcc_lo, s3
	s_waitcnt vmcnt(0) lgkmcnt(0)
	v_mul_f64 v[10:11], v[24:25], v[16:17]
	v_mul_f64 v[16:17], v[22:23], v[16:17]
	v_fma_f64 v[10:11], v[22:23], v[14:15], -v[10:11]
	s_delay_alu instid0(VALU_DEP_2) | instskip(NEXT) | instid1(VALU_DEP_2)
	v_fma_f64 v[14:15], v[24:25], v[14:15], v[16:17]
	v_add_f64 v[3:4], v[3:4], v[10:11]
	s_delay_alu instid0(VALU_DEP_2)
	v_add_f64 v[1:2], v[1:2], v[14:15]
	s_and_not1_b32 exec_lo, exec_lo, s3
	s_cbranch_execnz .LBB93_25
; %bb.26:
	s_or_b32 exec_lo, exec_lo, s3
	v_mov_b32_e32 v7, 0
	ds_load_b128 v[7:10], v7 offset:48
	s_waitcnt lgkmcnt(0)
	v_mul_f64 v[11:12], v[1:2], v[9:10]
	v_mul_f64 v[14:15], v[3:4], v[9:10]
	s_delay_alu instid0(VALU_DEP_2) | instskip(NEXT) | instid1(VALU_DEP_2)
	v_fma_f64 v[9:10], v[3:4], v[7:8], -v[11:12]
	v_fma_f64 v[11:12], v[1:2], v[7:8], v[14:15]
	scratch_store_b128 off, v[9:12], off offset:48
.LBB93_27:
	s_or_b32 exec_lo, exec_lo, s2
	s_waitcnt_vscnt null, 0x0
	s_barrier
	buffer_gl0_inv
	scratch_load_b128 v[1:4], v103, off
	s_mov_b32 s2, exec_lo
	s_waitcnt vmcnt(0)
	ds_store_b128 v5, v[1:4]
	s_waitcnt lgkmcnt(0)
	s_barrier
	buffer_gl0_inv
	v_cmpx_gt_u32_e32 4, v102
	s_cbranch_execz .LBB93_31
; %bb.28:
	v_dual_mov_b32 v1, 0 :: v_dual_add_nc_u32 v8, 0x1e0, v21
	v_dual_mov_b32 v2, 0 :: v_dual_add_nc_u32 v7, -1, v102
	v_or_b32_e32 v9, 8, v13
	s_mov_b32 s3, 0
	s_delay_alu instid0(VALU_DEP_2)
	v_dual_mov_b32 v4, v2 :: v_dual_mov_b32 v3, v1
	.p2align	6
.LBB93_29:                              ; =>This Inner Loop Header: Depth=1
	scratch_load_b128 v[14:17], v9, off offset:-8
	ds_load_b128 v[22:25], v8
	v_add_nc_u32_e32 v7, 1, v7
	v_add_nc_u32_e32 v8, 16, v8
	;; [unrolled: 1-line block ×3, first 2 shown]
	s_delay_alu instid0(VALU_DEP_3) | instskip(SKIP_4) | instid1(VALU_DEP_2)
	v_cmp_lt_u32_e32 vcc_lo, 2, v7
	s_or_b32 s3, vcc_lo, s3
	s_waitcnt vmcnt(0) lgkmcnt(0)
	v_mul_f64 v[10:11], v[24:25], v[16:17]
	v_mul_f64 v[16:17], v[22:23], v[16:17]
	v_fma_f64 v[10:11], v[22:23], v[14:15], -v[10:11]
	s_delay_alu instid0(VALU_DEP_2) | instskip(NEXT) | instid1(VALU_DEP_2)
	v_fma_f64 v[14:15], v[24:25], v[14:15], v[16:17]
	v_add_f64 v[3:4], v[3:4], v[10:11]
	s_delay_alu instid0(VALU_DEP_2)
	v_add_f64 v[1:2], v[1:2], v[14:15]
	s_and_not1_b32 exec_lo, exec_lo, s3
	s_cbranch_execnz .LBB93_29
; %bb.30:
	s_or_b32 exec_lo, exec_lo, s3
	v_mov_b32_e32 v7, 0
	ds_load_b128 v[7:10], v7 offset:64
	s_waitcnt lgkmcnt(0)
	v_mul_f64 v[11:12], v[1:2], v[9:10]
	v_mul_f64 v[14:15], v[3:4], v[9:10]
	s_delay_alu instid0(VALU_DEP_2) | instskip(NEXT) | instid1(VALU_DEP_2)
	v_fma_f64 v[9:10], v[3:4], v[7:8], -v[11:12]
	v_fma_f64 v[11:12], v[1:2], v[7:8], v[14:15]
	scratch_store_b128 off, v[9:12], off offset:64
.LBB93_31:
	s_or_b32 exec_lo, exec_lo, s2
	s_waitcnt_vscnt null, 0x0
	s_barrier
	buffer_gl0_inv
	scratch_load_b128 v[1:4], v124, off
	s_mov_b32 s2, exec_lo
	s_waitcnt vmcnt(0)
	ds_store_b128 v5, v[1:4]
	s_waitcnt lgkmcnt(0)
	s_barrier
	buffer_gl0_inv
	v_cmpx_gt_u32_e32 5, v102
	s_cbranch_execz .LBB93_35
; %bb.32:
	v_dual_mov_b32 v1, 0 :: v_dual_add_nc_u32 v8, 0x1e0, v21
	v_dual_mov_b32 v2, 0 :: v_dual_add_nc_u32 v7, -1, v102
	v_or_b32_e32 v9, 8, v13
	s_mov_b32 s3, 0
	s_delay_alu instid0(VALU_DEP_2)
	v_dual_mov_b32 v4, v2 :: v_dual_mov_b32 v3, v1
	.p2align	6
.LBB93_33:                              ; =>This Inner Loop Header: Depth=1
	scratch_load_b128 v[14:17], v9, off offset:-8
	ds_load_b128 v[22:25], v8
	v_add_nc_u32_e32 v7, 1, v7
	v_add_nc_u32_e32 v8, 16, v8
	;; [unrolled: 1-line block ×3, first 2 shown]
	s_delay_alu instid0(VALU_DEP_3) | instskip(SKIP_4) | instid1(VALU_DEP_2)
	v_cmp_lt_u32_e32 vcc_lo, 3, v7
	s_or_b32 s3, vcc_lo, s3
	s_waitcnt vmcnt(0) lgkmcnt(0)
	v_mul_f64 v[10:11], v[24:25], v[16:17]
	v_mul_f64 v[16:17], v[22:23], v[16:17]
	v_fma_f64 v[10:11], v[22:23], v[14:15], -v[10:11]
	s_delay_alu instid0(VALU_DEP_2) | instskip(NEXT) | instid1(VALU_DEP_2)
	v_fma_f64 v[14:15], v[24:25], v[14:15], v[16:17]
	v_add_f64 v[3:4], v[3:4], v[10:11]
	s_delay_alu instid0(VALU_DEP_2)
	v_add_f64 v[1:2], v[1:2], v[14:15]
	s_and_not1_b32 exec_lo, exec_lo, s3
	s_cbranch_execnz .LBB93_33
; %bb.34:
	s_or_b32 exec_lo, exec_lo, s3
	v_mov_b32_e32 v7, 0
	ds_load_b128 v[7:10], v7 offset:80
	s_waitcnt lgkmcnt(0)
	v_mul_f64 v[11:12], v[1:2], v[9:10]
	v_mul_f64 v[14:15], v[3:4], v[9:10]
	s_delay_alu instid0(VALU_DEP_2) | instskip(NEXT) | instid1(VALU_DEP_2)
	v_fma_f64 v[9:10], v[3:4], v[7:8], -v[11:12]
	v_fma_f64 v[11:12], v[1:2], v[7:8], v[14:15]
	scratch_store_b128 off, v[9:12], off offset:80
.LBB93_35:
	s_or_b32 exec_lo, exec_lo, s2
	s_waitcnt_vscnt null, 0x0
	s_barrier
	buffer_gl0_inv
	scratch_load_b128 v[1:4], v122, off
	s_mov_b32 s2, exec_lo
	s_waitcnt vmcnt(0)
	ds_store_b128 v5, v[1:4]
	s_waitcnt lgkmcnt(0)
	s_barrier
	buffer_gl0_inv
	v_cmpx_gt_u32_e32 6, v102
	s_cbranch_execz .LBB93_39
; %bb.36:
	v_dual_mov_b32 v1, 0 :: v_dual_add_nc_u32 v8, 0x1e0, v21
	v_dual_mov_b32 v2, 0 :: v_dual_add_nc_u32 v7, -1, v102
	v_or_b32_e32 v9, 8, v13
	s_mov_b32 s3, 0
	s_delay_alu instid0(VALU_DEP_2)
	v_dual_mov_b32 v4, v2 :: v_dual_mov_b32 v3, v1
	.p2align	6
.LBB93_37:                              ; =>This Inner Loop Header: Depth=1
	scratch_load_b128 v[14:17], v9, off offset:-8
	ds_load_b128 v[22:25], v8
	v_add_nc_u32_e32 v7, 1, v7
	v_add_nc_u32_e32 v8, 16, v8
	;; [unrolled: 1-line block ×3, first 2 shown]
	s_delay_alu instid0(VALU_DEP_3) | instskip(SKIP_4) | instid1(VALU_DEP_2)
	v_cmp_lt_u32_e32 vcc_lo, 4, v7
	s_or_b32 s3, vcc_lo, s3
	s_waitcnt vmcnt(0) lgkmcnt(0)
	v_mul_f64 v[10:11], v[24:25], v[16:17]
	v_mul_f64 v[16:17], v[22:23], v[16:17]
	v_fma_f64 v[10:11], v[22:23], v[14:15], -v[10:11]
	s_delay_alu instid0(VALU_DEP_2) | instskip(NEXT) | instid1(VALU_DEP_2)
	v_fma_f64 v[14:15], v[24:25], v[14:15], v[16:17]
	v_add_f64 v[3:4], v[3:4], v[10:11]
	s_delay_alu instid0(VALU_DEP_2)
	v_add_f64 v[1:2], v[1:2], v[14:15]
	s_and_not1_b32 exec_lo, exec_lo, s3
	s_cbranch_execnz .LBB93_37
; %bb.38:
	s_or_b32 exec_lo, exec_lo, s3
	v_mov_b32_e32 v7, 0
	ds_load_b128 v[7:10], v7 offset:96
	s_waitcnt lgkmcnt(0)
	v_mul_f64 v[11:12], v[1:2], v[9:10]
	v_mul_f64 v[14:15], v[3:4], v[9:10]
	s_delay_alu instid0(VALU_DEP_2) | instskip(NEXT) | instid1(VALU_DEP_2)
	v_fma_f64 v[9:10], v[3:4], v[7:8], -v[11:12]
	v_fma_f64 v[11:12], v[1:2], v[7:8], v[14:15]
	scratch_store_b128 off, v[9:12], off offset:96
.LBB93_39:
	s_or_b32 exec_lo, exec_lo, s2
	s_waitcnt_vscnt null, 0x0
	s_barrier
	buffer_gl0_inv
	scratch_load_b128 v[1:4], v123, off
	s_mov_b32 s2, exec_lo
	s_waitcnt vmcnt(0)
	ds_store_b128 v5, v[1:4]
	s_waitcnt lgkmcnt(0)
	s_barrier
	buffer_gl0_inv
	v_cmpx_gt_u32_e32 7, v102
	s_cbranch_execz .LBB93_43
; %bb.40:
	v_dual_mov_b32 v1, 0 :: v_dual_add_nc_u32 v8, 0x1e0, v21
	v_dual_mov_b32 v2, 0 :: v_dual_add_nc_u32 v7, -1, v102
	v_or_b32_e32 v9, 8, v13
	s_mov_b32 s3, 0
	s_delay_alu instid0(VALU_DEP_2)
	v_dual_mov_b32 v4, v2 :: v_dual_mov_b32 v3, v1
	.p2align	6
.LBB93_41:                              ; =>This Inner Loop Header: Depth=1
	scratch_load_b128 v[14:17], v9, off offset:-8
	ds_load_b128 v[22:25], v8
	v_add_nc_u32_e32 v7, 1, v7
	v_add_nc_u32_e32 v8, 16, v8
	;; [unrolled: 1-line block ×3, first 2 shown]
	s_delay_alu instid0(VALU_DEP_3) | instskip(SKIP_4) | instid1(VALU_DEP_2)
	v_cmp_lt_u32_e32 vcc_lo, 5, v7
	s_or_b32 s3, vcc_lo, s3
	s_waitcnt vmcnt(0) lgkmcnt(0)
	v_mul_f64 v[10:11], v[24:25], v[16:17]
	v_mul_f64 v[16:17], v[22:23], v[16:17]
	v_fma_f64 v[10:11], v[22:23], v[14:15], -v[10:11]
	s_delay_alu instid0(VALU_DEP_2) | instskip(NEXT) | instid1(VALU_DEP_2)
	v_fma_f64 v[14:15], v[24:25], v[14:15], v[16:17]
	v_add_f64 v[3:4], v[3:4], v[10:11]
	s_delay_alu instid0(VALU_DEP_2)
	v_add_f64 v[1:2], v[1:2], v[14:15]
	s_and_not1_b32 exec_lo, exec_lo, s3
	s_cbranch_execnz .LBB93_41
; %bb.42:
	s_or_b32 exec_lo, exec_lo, s3
	v_mov_b32_e32 v7, 0
	ds_load_b128 v[7:10], v7 offset:112
	s_waitcnt lgkmcnt(0)
	v_mul_f64 v[11:12], v[1:2], v[9:10]
	v_mul_f64 v[14:15], v[3:4], v[9:10]
	s_delay_alu instid0(VALU_DEP_2) | instskip(NEXT) | instid1(VALU_DEP_2)
	v_fma_f64 v[9:10], v[3:4], v[7:8], -v[11:12]
	v_fma_f64 v[11:12], v[1:2], v[7:8], v[14:15]
	scratch_store_b128 off, v[9:12], off offset:112
.LBB93_43:
	s_or_b32 exec_lo, exec_lo, s2
	s_waitcnt_vscnt null, 0x0
	s_barrier
	buffer_gl0_inv
	scratch_load_b128 v[1:4], v121, off
	s_mov_b32 s2, exec_lo
	s_waitcnt vmcnt(0)
	ds_store_b128 v5, v[1:4]
	s_waitcnt lgkmcnt(0)
	s_barrier
	buffer_gl0_inv
	v_cmpx_gt_u32_e32 8, v102
	s_cbranch_execz .LBB93_47
; %bb.44:
	v_dual_mov_b32 v1, 0 :: v_dual_add_nc_u32 v8, 0x1e0, v21
	v_dual_mov_b32 v2, 0 :: v_dual_add_nc_u32 v7, -1, v102
	v_or_b32_e32 v9, 8, v13
	s_mov_b32 s3, 0
	s_delay_alu instid0(VALU_DEP_2)
	v_dual_mov_b32 v4, v2 :: v_dual_mov_b32 v3, v1
	.p2align	6
.LBB93_45:                              ; =>This Inner Loop Header: Depth=1
	scratch_load_b128 v[14:17], v9, off offset:-8
	ds_load_b128 v[22:25], v8
	v_add_nc_u32_e32 v7, 1, v7
	v_add_nc_u32_e32 v8, 16, v8
	;; [unrolled: 1-line block ×3, first 2 shown]
	s_delay_alu instid0(VALU_DEP_3) | instskip(SKIP_4) | instid1(VALU_DEP_2)
	v_cmp_lt_u32_e32 vcc_lo, 6, v7
	s_or_b32 s3, vcc_lo, s3
	s_waitcnt vmcnt(0) lgkmcnt(0)
	v_mul_f64 v[10:11], v[24:25], v[16:17]
	v_mul_f64 v[16:17], v[22:23], v[16:17]
	v_fma_f64 v[10:11], v[22:23], v[14:15], -v[10:11]
	s_delay_alu instid0(VALU_DEP_2) | instskip(NEXT) | instid1(VALU_DEP_2)
	v_fma_f64 v[14:15], v[24:25], v[14:15], v[16:17]
	v_add_f64 v[3:4], v[3:4], v[10:11]
	s_delay_alu instid0(VALU_DEP_2)
	v_add_f64 v[1:2], v[1:2], v[14:15]
	s_and_not1_b32 exec_lo, exec_lo, s3
	s_cbranch_execnz .LBB93_45
; %bb.46:
	s_or_b32 exec_lo, exec_lo, s3
	v_mov_b32_e32 v7, 0
	ds_load_b128 v[7:10], v7 offset:128
	s_waitcnt lgkmcnt(0)
	v_mul_f64 v[11:12], v[1:2], v[9:10]
	v_mul_f64 v[14:15], v[3:4], v[9:10]
	s_delay_alu instid0(VALU_DEP_2) | instskip(NEXT) | instid1(VALU_DEP_2)
	v_fma_f64 v[9:10], v[3:4], v[7:8], -v[11:12]
	v_fma_f64 v[11:12], v[1:2], v[7:8], v[14:15]
	scratch_store_b128 off, v[9:12], off offset:128
.LBB93_47:
	s_or_b32 exec_lo, exec_lo, s2
	s_waitcnt_vscnt null, 0x0
	s_barrier
	buffer_gl0_inv
	scratch_load_b128 v[1:4], v120, off
	s_mov_b32 s2, exec_lo
	s_waitcnt vmcnt(0)
	ds_store_b128 v5, v[1:4]
	s_waitcnt lgkmcnt(0)
	s_barrier
	buffer_gl0_inv
	v_cmpx_gt_u32_e32 9, v102
	s_cbranch_execz .LBB93_51
; %bb.48:
	v_dual_mov_b32 v1, 0 :: v_dual_add_nc_u32 v8, 0x1e0, v21
	v_dual_mov_b32 v2, 0 :: v_dual_add_nc_u32 v7, -1, v102
	v_or_b32_e32 v9, 8, v13
	s_mov_b32 s3, 0
	s_delay_alu instid0(VALU_DEP_2)
	v_dual_mov_b32 v4, v2 :: v_dual_mov_b32 v3, v1
	.p2align	6
.LBB93_49:                              ; =>This Inner Loop Header: Depth=1
	scratch_load_b128 v[14:17], v9, off offset:-8
	ds_load_b128 v[22:25], v8
	v_add_nc_u32_e32 v7, 1, v7
	v_add_nc_u32_e32 v8, 16, v8
	;; [unrolled: 1-line block ×3, first 2 shown]
	s_delay_alu instid0(VALU_DEP_3) | instskip(SKIP_4) | instid1(VALU_DEP_2)
	v_cmp_lt_u32_e32 vcc_lo, 7, v7
	s_or_b32 s3, vcc_lo, s3
	s_waitcnt vmcnt(0) lgkmcnt(0)
	v_mul_f64 v[10:11], v[24:25], v[16:17]
	v_mul_f64 v[16:17], v[22:23], v[16:17]
	v_fma_f64 v[10:11], v[22:23], v[14:15], -v[10:11]
	s_delay_alu instid0(VALU_DEP_2) | instskip(NEXT) | instid1(VALU_DEP_2)
	v_fma_f64 v[14:15], v[24:25], v[14:15], v[16:17]
	v_add_f64 v[3:4], v[3:4], v[10:11]
	s_delay_alu instid0(VALU_DEP_2)
	v_add_f64 v[1:2], v[1:2], v[14:15]
	s_and_not1_b32 exec_lo, exec_lo, s3
	s_cbranch_execnz .LBB93_49
; %bb.50:
	s_or_b32 exec_lo, exec_lo, s3
	v_mov_b32_e32 v7, 0
	ds_load_b128 v[7:10], v7 offset:144
	s_waitcnt lgkmcnt(0)
	v_mul_f64 v[11:12], v[1:2], v[9:10]
	v_mul_f64 v[14:15], v[3:4], v[9:10]
	s_delay_alu instid0(VALU_DEP_2) | instskip(NEXT) | instid1(VALU_DEP_2)
	v_fma_f64 v[9:10], v[3:4], v[7:8], -v[11:12]
	v_fma_f64 v[11:12], v[1:2], v[7:8], v[14:15]
	scratch_store_b128 off, v[9:12], off offset:144
.LBB93_51:
	s_or_b32 exec_lo, exec_lo, s2
	s_waitcnt_vscnt null, 0x0
	s_barrier
	buffer_gl0_inv
	scratch_load_b128 v[1:4], v118, off
	s_mov_b32 s2, exec_lo
	s_waitcnt vmcnt(0)
	ds_store_b128 v5, v[1:4]
	s_waitcnt lgkmcnt(0)
	s_barrier
	buffer_gl0_inv
	v_cmpx_gt_u32_e32 10, v102
	s_cbranch_execz .LBB93_55
; %bb.52:
	v_dual_mov_b32 v1, 0 :: v_dual_add_nc_u32 v8, 0x1e0, v21
	v_dual_mov_b32 v2, 0 :: v_dual_add_nc_u32 v7, -1, v102
	v_or_b32_e32 v9, 8, v13
	s_mov_b32 s3, 0
	s_delay_alu instid0(VALU_DEP_2)
	v_dual_mov_b32 v4, v2 :: v_dual_mov_b32 v3, v1
	.p2align	6
.LBB93_53:                              ; =>This Inner Loop Header: Depth=1
	scratch_load_b128 v[14:17], v9, off offset:-8
	ds_load_b128 v[22:25], v8
	v_add_nc_u32_e32 v7, 1, v7
	v_add_nc_u32_e32 v8, 16, v8
	;; [unrolled: 1-line block ×3, first 2 shown]
	s_delay_alu instid0(VALU_DEP_3) | instskip(SKIP_4) | instid1(VALU_DEP_2)
	v_cmp_lt_u32_e32 vcc_lo, 8, v7
	s_or_b32 s3, vcc_lo, s3
	s_waitcnt vmcnt(0) lgkmcnt(0)
	v_mul_f64 v[10:11], v[24:25], v[16:17]
	v_mul_f64 v[16:17], v[22:23], v[16:17]
	v_fma_f64 v[10:11], v[22:23], v[14:15], -v[10:11]
	s_delay_alu instid0(VALU_DEP_2) | instskip(NEXT) | instid1(VALU_DEP_2)
	v_fma_f64 v[14:15], v[24:25], v[14:15], v[16:17]
	v_add_f64 v[3:4], v[3:4], v[10:11]
	s_delay_alu instid0(VALU_DEP_2)
	v_add_f64 v[1:2], v[1:2], v[14:15]
	s_and_not1_b32 exec_lo, exec_lo, s3
	s_cbranch_execnz .LBB93_53
; %bb.54:
	s_or_b32 exec_lo, exec_lo, s3
	v_mov_b32_e32 v7, 0
	ds_load_b128 v[7:10], v7 offset:160
	s_waitcnt lgkmcnt(0)
	v_mul_f64 v[11:12], v[1:2], v[9:10]
	v_mul_f64 v[14:15], v[3:4], v[9:10]
	s_delay_alu instid0(VALU_DEP_2) | instskip(NEXT) | instid1(VALU_DEP_2)
	v_fma_f64 v[9:10], v[3:4], v[7:8], -v[11:12]
	v_fma_f64 v[11:12], v[1:2], v[7:8], v[14:15]
	scratch_store_b128 off, v[9:12], off offset:160
.LBB93_55:
	s_or_b32 exec_lo, exec_lo, s2
	s_waitcnt_vscnt null, 0x0
	s_barrier
	buffer_gl0_inv
	scratch_load_b128 v[1:4], v119, off
	s_mov_b32 s2, exec_lo
	s_waitcnt vmcnt(0)
	ds_store_b128 v5, v[1:4]
	s_waitcnt lgkmcnt(0)
	s_barrier
	buffer_gl0_inv
	v_cmpx_gt_u32_e32 11, v102
	s_cbranch_execz .LBB93_59
; %bb.56:
	v_dual_mov_b32 v1, 0 :: v_dual_add_nc_u32 v8, 0x1e0, v21
	v_dual_mov_b32 v2, 0 :: v_dual_add_nc_u32 v7, -1, v102
	v_or_b32_e32 v9, 8, v13
	s_mov_b32 s3, 0
	s_delay_alu instid0(VALU_DEP_2)
	v_dual_mov_b32 v4, v2 :: v_dual_mov_b32 v3, v1
	.p2align	6
.LBB93_57:                              ; =>This Inner Loop Header: Depth=1
	scratch_load_b128 v[14:17], v9, off offset:-8
	ds_load_b128 v[22:25], v8
	v_add_nc_u32_e32 v7, 1, v7
	v_add_nc_u32_e32 v8, 16, v8
	;; [unrolled: 1-line block ×3, first 2 shown]
	s_delay_alu instid0(VALU_DEP_3) | instskip(SKIP_4) | instid1(VALU_DEP_2)
	v_cmp_lt_u32_e32 vcc_lo, 9, v7
	s_or_b32 s3, vcc_lo, s3
	s_waitcnt vmcnt(0) lgkmcnt(0)
	v_mul_f64 v[10:11], v[24:25], v[16:17]
	v_mul_f64 v[16:17], v[22:23], v[16:17]
	v_fma_f64 v[10:11], v[22:23], v[14:15], -v[10:11]
	s_delay_alu instid0(VALU_DEP_2) | instskip(NEXT) | instid1(VALU_DEP_2)
	v_fma_f64 v[14:15], v[24:25], v[14:15], v[16:17]
	v_add_f64 v[3:4], v[3:4], v[10:11]
	s_delay_alu instid0(VALU_DEP_2)
	v_add_f64 v[1:2], v[1:2], v[14:15]
	s_and_not1_b32 exec_lo, exec_lo, s3
	s_cbranch_execnz .LBB93_57
; %bb.58:
	s_or_b32 exec_lo, exec_lo, s3
	v_mov_b32_e32 v7, 0
	ds_load_b128 v[7:10], v7 offset:176
	s_waitcnt lgkmcnt(0)
	v_mul_f64 v[11:12], v[1:2], v[9:10]
	v_mul_f64 v[14:15], v[3:4], v[9:10]
	s_delay_alu instid0(VALU_DEP_2) | instskip(NEXT) | instid1(VALU_DEP_2)
	v_fma_f64 v[9:10], v[3:4], v[7:8], -v[11:12]
	v_fma_f64 v[11:12], v[1:2], v[7:8], v[14:15]
	scratch_store_b128 off, v[9:12], off offset:176
.LBB93_59:
	s_or_b32 exec_lo, exec_lo, s2
	s_waitcnt_vscnt null, 0x0
	s_barrier
	buffer_gl0_inv
	scratch_load_b128 v[1:4], v117, off
	s_mov_b32 s2, exec_lo
	s_waitcnt vmcnt(0)
	ds_store_b128 v5, v[1:4]
	s_waitcnt lgkmcnt(0)
	s_barrier
	buffer_gl0_inv
	v_cmpx_gt_u32_e32 12, v102
	s_cbranch_execz .LBB93_63
; %bb.60:
	v_dual_mov_b32 v1, 0 :: v_dual_add_nc_u32 v8, 0x1e0, v21
	v_dual_mov_b32 v2, 0 :: v_dual_add_nc_u32 v7, -1, v102
	v_or_b32_e32 v9, 8, v13
	s_mov_b32 s3, 0
	s_delay_alu instid0(VALU_DEP_2)
	v_dual_mov_b32 v4, v2 :: v_dual_mov_b32 v3, v1
	.p2align	6
.LBB93_61:                              ; =>This Inner Loop Header: Depth=1
	scratch_load_b128 v[14:17], v9, off offset:-8
	ds_load_b128 v[22:25], v8
	v_add_nc_u32_e32 v7, 1, v7
	v_add_nc_u32_e32 v8, 16, v8
	;; [unrolled: 1-line block ×3, first 2 shown]
	s_delay_alu instid0(VALU_DEP_3) | instskip(SKIP_4) | instid1(VALU_DEP_2)
	v_cmp_lt_u32_e32 vcc_lo, 10, v7
	s_or_b32 s3, vcc_lo, s3
	s_waitcnt vmcnt(0) lgkmcnt(0)
	v_mul_f64 v[10:11], v[24:25], v[16:17]
	v_mul_f64 v[16:17], v[22:23], v[16:17]
	v_fma_f64 v[10:11], v[22:23], v[14:15], -v[10:11]
	s_delay_alu instid0(VALU_DEP_2) | instskip(NEXT) | instid1(VALU_DEP_2)
	v_fma_f64 v[14:15], v[24:25], v[14:15], v[16:17]
	v_add_f64 v[3:4], v[3:4], v[10:11]
	s_delay_alu instid0(VALU_DEP_2)
	v_add_f64 v[1:2], v[1:2], v[14:15]
	s_and_not1_b32 exec_lo, exec_lo, s3
	s_cbranch_execnz .LBB93_61
; %bb.62:
	s_or_b32 exec_lo, exec_lo, s3
	v_mov_b32_e32 v7, 0
	ds_load_b128 v[7:10], v7 offset:192
	s_waitcnt lgkmcnt(0)
	v_mul_f64 v[11:12], v[1:2], v[9:10]
	v_mul_f64 v[14:15], v[3:4], v[9:10]
	s_delay_alu instid0(VALU_DEP_2) | instskip(NEXT) | instid1(VALU_DEP_2)
	v_fma_f64 v[9:10], v[3:4], v[7:8], -v[11:12]
	v_fma_f64 v[11:12], v[1:2], v[7:8], v[14:15]
	scratch_store_b128 off, v[9:12], off offset:192
.LBB93_63:
	s_or_b32 exec_lo, exec_lo, s2
	s_waitcnt_vscnt null, 0x0
	s_barrier
	buffer_gl0_inv
	scratch_load_b128 v[1:4], v116, off
	s_mov_b32 s2, exec_lo
	s_waitcnt vmcnt(0)
	ds_store_b128 v5, v[1:4]
	s_waitcnt lgkmcnt(0)
	s_barrier
	buffer_gl0_inv
	v_cmpx_gt_u32_e32 13, v102
	s_cbranch_execz .LBB93_67
; %bb.64:
	v_dual_mov_b32 v1, 0 :: v_dual_add_nc_u32 v8, 0x1e0, v21
	v_dual_mov_b32 v2, 0 :: v_dual_add_nc_u32 v7, -1, v102
	v_or_b32_e32 v9, 8, v13
	s_mov_b32 s3, 0
	s_delay_alu instid0(VALU_DEP_2)
	v_dual_mov_b32 v4, v2 :: v_dual_mov_b32 v3, v1
	.p2align	6
.LBB93_65:                              ; =>This Inner Loop Header: Depth=1
	scratch_load_b128 v[14:17], v9, off offset:-8
	ds_load_b128 v[22:25], v8
	v_add_nc_u32_e32 v7, 1, v7
	v_add_nc_u32_e32 v8, 16, v8
	;; [unrolled: 1-line block ×3, first 2 shown]
	s_delay_alu instid0(VALU_DEP_3) | instskip(SKIP_4) | instid1(VALU_DEP_2)
	v_cmp_lt_u32_e32 vcc_lo, 11, v7
	s_or_b32 s3, vcc_lo, s3
	s_waitcnt vmcnt(0) lgkmcnt(0)
	v_mul_f64 v[10:11], v[24:25], v[16:17]
	v_mul_f64 v[16:17], v[22:23], v[16:17]
	v_fma_f64 v[10:11], v[22:23], v[14:15], -v[10:11]
	s_delay_alu instid0(VALU_DEP_2) | instskip(NEXT) | instid1(VALU_DEP_2)
	v_fma_f64 v[14:15], v[24:25], v[14:15], v[16:17]
	v_add_f64 v[3:4], v[3:4], v[10:11]
	s_delay_alu instid0(VALU_DEP_2)
	v_add_f64 v[1:2], v[1:2], v[14:15]
	s_and_not1_b32 exec_lo, exec_lo, s3
	s_cbranch_execnz .LBB93_65
; %bb.66:
	s_or_b32 exec_lo, exec_lo, s3
	v_mov_b32_e32 v7, 0
	ds_load_b128 v[7:10], v7 offset:208
	s_waitcnt lgkmcnt(0)
	v_mul_f64 v[11:12], v[1:2], v[9:10]
	v_mul_f64 v[14:15], v[3:4], v[9:10]
	s_delay_alu instid0(VALU_DEP_2) | instskip(NEXT) | instid1(VALU_DEP_2)
	v_fma_f64 v[9:10], v[3:4], v[7:8], -v[11:12]
	v_fma_f64 v[11:12], v[1:2], v[7:8], v[14:15]
	scratch_store_b128 off, v[9:12], off offset:208
.LBB93_67:
	s_or_b32 exec_lo, exec_lo, s2
	s_waitcnt_vscnt null, 0x0
	s_barrier
	buffer_gl0_inv
	scratch_load_b128 v[1:4], v114, off
	s_mov_b32 s2, exec_lo
	s_waitcnt vmcnt(0)
	ds_store_b128 v5, v[1:4]
	s_waitcnt lgkmcnt(0)
	s_barrier
	buffer_gl0_inv
	v_cmpx_gt_u32_e32 14, v102
	s_cbranch_execz .LBB93_71
; %bb.68:
	v_dual_mov_b32 v1, 0 :: v_dual_add_nc_u32 v8, 0x1e0, v21
	v_dual_mov_b32 v2, 0 :: v_dual_add_nc_u32 v7, -1, v102
	v_or_b32_e32 v9, 8, v13
	s_mov_b32 s3, 0
	s_delay_alu instid0(VALU_DEP_2)
	v_dual_mov_b32 v4, v2 :: v_dual_mov_b32 v3, v1
	.p2align	6
.LBB93_69:                              ; =>This Inner Loop Header: Depth=1
	scratch_load_b128 v[14:17], v9, off offset:-8
	ds_load_b128 v[22:25], v8
	v_add_nc_u32_e32 v7, 1, v7
	v_add_nc_u32_e32 v8, 16, v8
	;; [unrolled: 1-line block ×3, first 2 shown]
	s_delay_alu instid0(VALU_DEP_3) | instskip(SKIP_4) | instid1(VALU_DEP_2)
	v_cmp_lt_u32_e32 vcc_lo, 12, v7
	s_or_b32 s3, vcc_lo, s3
	s_waitcnt vmcnt(0) lgkmcnt(0)
	v_mul_f64 v[10:11], v[24:25], v[16:17]
	v_mul_f64 v[16:17], v[22:23], v[16:17]
	v_fma_f64 v[10:11], v[22:23], v[14:15], -v[10:11]
	s_delay_alu instid0(VALU_DEP_2) | instskip(NEXT) | instid1(VALU_DEP_2)
	v_fma_f64 v[14:15], v[24:25], v[14:15], v[16:17]
	v_add_f64 v[3:4], v[3:4], v[10:11]
	s_delay_alu instid0(VALU_DEP_2)
	v_add_f64 v[1:2], v[1:2], v[14:15]
	s_and_not1_b32 exec_lo, exec_lo, s3
	s_cbranch_execnz .LBB93_69
; %bb.70:
	s_or_b32 exec_lo, exec_lo, s3
	v_mov_b32_e32 v7, 0
	ds_load_b128 v[7:10], v7 offset:224
	s_waitcnt lgkmcnt(0)
	v_mul_f64 v[11:12], v[1:2], v[9:10]
	v_mul_f64 v[14:15], v[3:4], v[9:10]
	s_delay_alu instid0(VALU_DEP_2) | instskip(NEXT) | instid1(VALU_DEP_2)
	v_fma_f64 v[9:10], v[3:4], v[7:8], -v[11:12]
	v_fma_f64 v[11:12], v[1:2], v[7:8], v[14:15]
	scratch_store_b128 off, v[9:12], off offset:224
.LBB93_71:
	s_or_b32 exec_lo, exec_lo, s2
	s_waitcnt_vscnt null, 0x0
	s_barrier
	buffer_gl0_inv
	scratch_load_b128 v[1:4], v115, off
	s_mov_b32 s2, exec_lo
	s_waitcnt vmcnt(0)
	ds_store_b128 v5, v[1:4]
	s_waitcnt lgkmcnt(0)
	s_barrier
	buffer_gl0_inv
	v_cmpx_gt_u32_e32 15, v102
	s_cbranch_execz .LBB93_75
; %bb.72:
	v_dual_mov_b32 v1, 0 :: v_dual_add_nc_u32 v8, 0x1e0, v21
	v_dual_mov_b32 v2, 0 :: v_dual_add_nc_u32 v7, -1, v102
	v_or_b32_e32 v9, 8, v13
	s_mov_b32 s3, 0
	s_delay_alu instid0(VALU_DEP_2)
	v_dual_mov_b32 v4, v2 :: v_dual_mov_b32 v3, v1
	.p2align	6
.LBB93_73:                              ; =>This Inner Loop Header: Depth=1
	scratch_load_b128 v[14:17], v9, off offset:-8
	ds_load_b128 v[22:25], v8
	v_add_nc_u32_e32 v7, 1, v7
	v_add_nc_u32_e32 v8, 16, v8
	;; [unrolled: 1-line block ×3, first 2 shown]
	s_delay_alu instid0(VALU_DEP_3) | instskip(SKIP_4) | instid1(VALU_DEP_2)
	v_cmp_lt_u32_e32 vcc_lo, 13, v7
	s_or_b32 s3, vcc_lo, s3
	s_waitcnt vmcnt(0) lgkmcnt(0)
	v_mul_f64 v[10:11], v[24:25], v[16:17]
	v_mul_f64 v[16:17], v[22:23], v[16:17]
	v_fma_f64 v[10:11], v[22:23], v[14:15], -v[10:11]
	s_delay_alu instid0(VALU_DEP_2) | instskip(NEXT) | instid1(VALU_DEP_2)
	v_fma_f64 v[14:15], v[24:25], v[14:15], v[16:17]
	v_add_f64 v[3:4], v[3:4], v[10:11]
	s_delay_alu instid0(VALU_DEP_2)
	v_add_f64 v[1:2], v[1:2], v[14:15]
	s_and_not1_b32 exec_lo, exec_lo, s3
	s_cbranch_execnz .LBB93_73
; %bb.74:
	s_or_b32 exec_lo, exec_lo, s3
	v_mov_b32_e32 v7, 0
	ds_load_b128 v[7:10], v7 offset:240
	s_waitcnt lgkmcnt(0)
	v_mul_f64 v[11:12], v[1:2], v[9:10]
	v_mul_f64 v[14:15], v[3:4], v[9:10]
	s_delay_alu instid0(VALU_DEP_2) | instskip(NEXT) | instid1(VALU_DEP_2)
	v_fma_f64 v[9:10], v[3:4], v[7:8], -v[11:12]
	v_fma_f64 v[11:12], v[1:2], v[7:8], v[14:15]
	scratch_store_b128 off, v[9:12], off offset:240
.LBB93_75:
	s_or_b32 exec_lo, exec_lo, s2
	s_waitcnt_vscnt null, 0x0
	s_barrier
	buffer_gl0_inv
	scratch_load_b128 v[1:4], v113, off
	s_mov_b32 s2, exec_lo
	s_waitcnt vmcnt(0)
	ds_store_b128 v5, v[1:4]
	s_waitcnt lgkmcnt(0)
	s_barrier
	buffer_gl0_inv
	v_cmpx_gt_u32_e32 16, v102
	s_cbranch_execz .LBB93_79
; %bb.76:
	v_dual_mov_b32 v1, 0 :: v_dual_add_nc_u32 v8, 0x1e0, v21
	v_dual_mov_b32 v2, 0 :: v_dual_add_nc_u32 v7, -1, v102
	v_or_b32_e32 v9, 8, v13
	s_mov_b32 s3, 0
	s_delay_alu instid0(VALU_DEP_2)
	v_dual_mov_b32 v4, v2 :: v_dual_mov_b32 v3, v1
	.p2align	6
.LBB93_77:                              ; =>This Inner Loop Header: Depth=1
	scratch_load_b128 v[14:17], v9, off offset:-8
	ds_load_b128 v[22:25], v8
	v_add_nc_u32_e32 v7, 1, v7
	v_add_nc_u32_e32 v8, 16, v8
	;; [unrolled: 1-line block ×3, first 2 shown]
	s_delay_alu instid0(VALU_DEP_3) | instskip(SKIP_4) | instid1(VALU_DEP_2)
	v_cmp_lt_u32_e32 vcc_lo, 14, v7
	s_or_b32 s3, vcc_lo, s3
	s_waitcnt vmcnt(0) lgkmcnt(0)
	v_mul_f64 v[10:11], v[24:25], v[16:17]
	v_mul_f64 v[16:17], v[22:23], v[16:17]
	v_fma_f64 v[10:11], v[22:23], v[14:15], -v[10:11]
	s_delay_alu instid0(VALU_DEP_2) | instskip(NEXT) | instid1(VALU_DEP_2)
	v_fma_f64 v[14:15], v[24:25], v[14:15], v[16:17]
	v_add_f64 v[3:4], v[3:4], v[10:11]
	s_delay_alu instid0(VALU_DEP_2)
	v_add_f64 v[1:2], v[1:2], v[14:15]
	s_and_not1_b32 exec_lo, exec_lo, s3
	s_cbranch_execnz .LBB93_77
; %bb.78:
	s_or_b32 exec_lo, exec_lo, s3
	v_mov_b32_e32 v7, 0
	ds_load_b128 v[7:10], v7 offset:256
	s_waitcnt lgkmcnt(0)
	v_mul_f64 v[11:12], v[1:2], v[9:10]
	v_mul_f64 v[14:15], v[3:4], v[9:10]
	s_delay_alu instid0(VALU_DEP_2) | instskip(NEXT) | instid1(VALU_DEP_2)
	v_fma_f64 v[9:10], v[3:4], v[7:8], -v[11:12]
	v_fma_f64 v[11:12], v[1:2], v[7:8], v[14:15]
	scratch_store_b128 off, v[9:12], off offset:256
.LBB93_79:
	s_or_b32 exec_lo, exec_lo, s2
	s_waitcnt_vscnt null, 0x0
	s_barrier
	buffer_gl0_inv
	scratch_load_b128 v[1:4], v112, off
	s_mov_b32 s2, exec_lo
	s_waitcnt vmcnt(0)
	ds_store_b128 v5, v[1:4]
	s_waitcnt lgkmcnt(0)
	s_barrier
	buffer_gl0_inv
	v_cmpx_gt_u32_e32 17, v102
	s_cbranch_execz .LBB93_83
; %bb.80:
	v_dual_mov_b32 v1, 0 :: v_dual_add_nc_u32 v8, 0x1e0, v21
	v_dual_mov_b32 v2, 0 :: v_dual_add_nc_u32 v7, -1, v102
	v_or_b32_e32 v9, 8, v13
	s_mov_b32 s3, 0
	s_delay_alu instid0(VALU_DEP_2)
	v_dual_mov_b32 v4, v2 :: v_dual_mov_b32 v3, v1
	.p2align	6
.LBB93_81:                              ; =>This Inner Loop Header: Depth=1
	scratch_load_b128 v[14:17], v9, off offset:-8
	ds_load_b128 v[22:25], v8
	v_add_nc_u32_e32 v7, 1, v7
	v_add_nc_u32_e32 v8, 16, v8
	;; [unrolled: 1-line block ×3, first 2 shown]
	s_delay_alu instid0(VALU_DEP_3) | instskip(SKIP_4) | instid1(VALU_DEP_2)
	v_cmp_lt_u32_e32 vcc_lo, 15, v7
	s_or_b32 s3, vcc_lo, s3
	s_waitcnt vmcnt(0) lgkmcnt(0)
	v_mul_f64 v[10:11], v[24:25], v[16:17]
	v_mul_f64 v[16:17], v[22:23], v[16:17]
	v_fma_f64 v[10:11], v[22:23], v[14:15], -v[10:11]
	s_delay_alu instid0(VALU_DEP_2) | instskip(NEXT) | instid1(VALU_DEP_2)
	v_fma_f64 v[14:15], v[24:25], v[14:15], v[16:17]
	v_add_f64 v[3:4], v[3:4], v[10:11]
	s_delay_alu instid0(VALU_DEP_2)
	v_add_f64 v[1:2], v[1:2], v[14:15]
	s_and_not1_b32 exec_lo, exec_lo, s3
	s_cbranch_execnz .LBB93_81
; %bb.82:
	s_or_b32 exec_lo, exec_lo, s3
	v_mov_b32_e32 v7, 0
	ds_load_b128 v[7:10], v7 offset:272
	s_waitcnt lgkmcnt(0)
	v_mul_f64 v[11:12], v[1:2], v[9:10]
	v_mul_f64 v[14:15], v[3:4], v[9:10]
	s_delay_alu instid0(VALU_DEP_2) | instskip(NEXT) | instid1(VALU_DEP_2)
	v_fma_f64 v[9:10], v[3:4], v[7:8], -v[11:12]
	v_fma_f64 v[11:12], v[1:2], v[7:8], v[14:15]
	scratch_store_b128 off, v[9:12], off offset:272
.LBB93_83:
	s_or_b32 exec_lo, exec_lo, s2
	s_waitcnt_vscnt null, 0x0
	s_barrier
	buffer_gl0_inv
	scratch_load_b128 v[1:4], v110, off
	s_mov_b32 s2, exec_lo
	s_waitcnt vmcnt(0)
	ds_store_b128 v5, v[1:4]
	s_waitcnt lgkmcnt(0)
	s_barrier
	buffer_gl0_inv
	v_cmpx_gt_u32_e32 18, v102
	s_cbranch_execz .LBB93_87
; %bb.84:
	v_dual_mov_b32 v1, 0 :: v_dual_add_nc_u32 v8, 0x1e0, v21
	v_dual_mov_b32 v2, 0 :: v_dual_add_nc_u32 v7, -1, v102
	v_or_b32_e32 v9, 8, v13
	s_mov_b32 s3, 0
	s_delay_alu instid0(VALU_DEP_2)
	v_dual_mov_b32 v4, v2 :: v_dual_mov_b32 v3, v1
	.p2align	6
.LBB93_85:                              ; =>This Inner Loop Header: Depth=1
	scratch_load_b128 v[14:17], v9, off offset:-8
	ds_load_b128 v[22:25], v8
	v_add_nc_u32_e32 v7, 1, v7
	v_add_nc_u32_e32 v8, 16, v8
	;; [unrolled: 1-line block ×3, first 2 shown]
	s_delay_alu instid0(VALU_DEP_3) | instskip(SKIP_4) | instid1(VALU_DEP_2)
	v_cmp_lt_u32_e32 vcc_lo, 16, v7
	s_or_b32 s3, vcc_lo, s3
	s_waitcnt vmcnt(0) lgkmcnt(0)
	v_mul_f64 v[10:11], v[24:25], v[16:17]
	v_mul_f64 v[16:17], v[22:23], v[16:17]
	v_fma_f64 v[10:11], v[22:23], v[14:15], -v[10:11]
	s_delay_alu instid0(VALU_DEP_2) | instskip(NEXT) | instid1(VALU_DEP_2)
	v_fma_f64 v[14:15], v[24:25], v[14:15], v[16:17]
	v_add_f64 v[3:4], v[3:4], v[10:11]
	s_delay_alu instid0(VALU_DEP_2)
	v_add_f64 v[1:2], v[1:2], v[14:15]
	s_and_not1_b32 exec_lo, exec_lo, s3
	s_cbranch_execnz .LBB93_85
; %bb.86:
	s_or_b32 exec_lo, exec_lo, s3
	v_mov_b32_e32 v7, 0
	ds_load_b128 v[7:10], v7 offset:288
	s_waitcnt lgkmcnt(0)
	v_mul_f64 v[11:12], v[1:2], v[9:10]
	v_mul_f64 v[14:15], v[3:4], v[9:10]
	s_delay_alu instid0(VALU_DEP_2) | instskip(NEXT) | instid1(VALU_DEP_2)
	v_fma_f64 v[9:10], v[3:4], v[7:8], -v[11:12]
	v_fma_f64 v[11:12], v[1:2], v[7:8], v[14:15]
	scratch_store_b128 off, v[9:12], off offset:288
.LBB93_87:
	s_or_b32 exec_lo, exec_lo, s2
	s_waitcnt_vscnt null, 0x0
	s_barrier
	buffer_gl0_inv
	scratch_load_b128 v[1:4], v111, off
	s_mov_b32 s2, exec_lo
	s_waitcnt vmcnt(0)
	ds_store_b128 v5, v[1:4]
	s_waitcnt lgkmcnt(0)
	s_barrier
	buffer_gl0_inv
	v_cmpx_gt_u32_e32 19, v102
	s_cbranch_execz .LBB93_91
; %bb.88:
	v_dual_mov_b32 v1, 0 :: v_dual_add_nc_u32 v8, 0x1e0, v21
	v_dual_mov_b32 v2, 0 :: v_dual_add_nc_u32 v7, -1, v102
	v_or_b32_e32 v9, 8, v13
	s_mov_b32 s3, 0
	s_delay_alu instid0(VALU_DEP_2)
	v_dual_mov_b32 v4, v2 :: v_dual_mov_b32 v3, v1
	.p2align	6
.LBB93_89:                              ; =>This Inner Loop Header: Depth=1
	scratch_load_b128 v[14:17], v9, off offset:-8
	ds_load_b128 v[22:25], v8
	v_add_nc_u32_e32 v7, 1, v7
	v_add_nc_u32_e32 v8, 16, v8
	;; [unrolled: 1-line block ×3, first 2 shown]
	s_delay_alu instid0(VALU_DEP_3) | instskip(SKIP_4) | instid1(VALU_DEP_2)
	v_cmp_lt_u32_e32 vcc_lo, 17, v7
	s_or_b32 s3, vcc_lo, s3
	s_waitcnt vmcnt(0) lgkmcnt(0)
	v_mul_f64 v[10:11], v[24:25], v[16:17]
	v_mul_f64 v[16:17], v[22:23], v[16:17]
	v_fma_f64 v[10:11], v[22:23], v[14:15], -v[10:11]
	s_delay_alu instid0(VALU_DEP_2) | instskip(NEXT) | instid1(VALU_DEP_2)
	v_fma_f64 v[14:15], v[24:25], v[14:15], v[16:17]
	v_add_f64 v[3:4], v[3:4], v[10:11]
	s_delay_alu instid0(VALU_DEP_2)
	v_add_f64 v[1:2], v[1:2], v[14:15]
	s_and_not1_b32 exec_lo, exec_lo, s3
	s_cbranch_execnz .LBB93_89
; %bb.90:
	s_or_b32 exec_lo, exec_lo, s3
	v_mov_b32_e32 v7, 0
	ds_load_b128 v[7:10], v7 offset:304
	s_waitcnt lgkmcnt(0)
	v_mul_f64 v[11:12], v[1:2], v[9:10]
	v_mul_f64 v[14:15], v[3:4], v[9:10]
	s_delay_alu instid0(VALU_DEP_2) | instskip(NEXT) | instid1(VALU_DEP_2)
	v_fma_f64 v[9:10], v[3:4], v[7:8], -v[11:12]
	v_fma_f64 v[11:12], v[1:2], v[7:8], v[14:15]
	scratch_store_b128 off, v[9:12], off offset:304
.LBB93_91:
	s_or_b32 exec_lo, exec_lo, s2
	s_waitcnt_vscnt null, 0x0
	s_barrier
	buffer_gl0_inv
	scratch_load_b128 v[1:4], v109, off
	s_mov_b32 s2, exec_lo
	s_waitcnt vmcnt(0)
	ds_store_b128 v5, v[1:4]
	s_waitcnt lgkmcnt(0)
	s_barrier
	buffer_gl0_inv
	v_cmpx_gt_u32_e32 20, v102
	s_cbranch_execz .LBB93_95
; %bb.92:
	v_dual_mov_b32 v1, 0 :: v_dual_add_nc_u32 v8, 0x1e0, v21
	v_dual_mov_b32 v2, 0 :: v_dual_add_nc_u32 v7, -1, v102
	v_or_b32_e32 v9, 8, v13
	s_mov_b32 s3, 0
	s_delay_alu instid0(VALU_DEP_2)
	v_dual_mov_b32 v4, v2 :: v_dual_mov_b32 v3, v1
	.p2align	6
.LBB93_93:                              ; =>This Inner Loop Header: Depth=1
	scratch_load_b128 v[14:17], v9, off offset:-8
	ds_load_b128 v[22:25], v8
	v_add_nc_u32_e32 v7, 1, v7
	v_add_nc_u32_e32 v8, 16, v8
	;; [unrolled: 1-line block ×3, first 2 shown]
	s_delay_alu instid0(VALU_DEP_3) | instskip(SKIP_4) | instid1(VALU_DEP_2)
	v_cmp_lt_u32_e32 vcc_lo, 18, v7
	s_or_b32 s3, vcc_lo, s3
	s_waitcnt vmcnt(0) lgkmcnt(0)
	v_mul_f64 v[10:11], v[24:25], v[16:17]
	v_mul_f64 v[16:17], v[22:23], v[16:17]
	v_fma_f64 v[10:11], v[22:23], v[14:15], -v[10:11]
	s_delay_alu instid0(VALU_DEP_2) | instskip(NEXT) | instid1(VALU_DEP_2)
	v_fma_f64 v[14:15], v[24:25], v[14:15], v[16:17]
	v_add_f64 v[3:4], v[3:4], v[10:11]
	s_delay_alu instid0(VALU_DEP_2)
	v_add_f64 v[1:2], v[1:2], v[14:15]
	s_and_not1_b32 exec_lo, exec_lo, s3
	s_cbranch_execnz .LBB93_93
; %bb.94:
	s_or_b32 exec_lo, exec_lo, s3
	v_mov_b32_e32 v7, 0
	ds_load_b128 v[7:10], v7 offset:320
	s_waitcnt lgkmcnt(0)
	v_mul_f64 v[11:12], v[1:2], v[9:10]
	v_mul_f64 v[14:15], v[3:4], v[9:10]
	s_delay_alu instid0(VALU_DEP_2) | instskip(NEXT) | instid1(VALU_DEP_2)
	v_fma_f64 v[9:10], v[3:4], v[7:8], -v[11:12]
	v_fma_f64 v[11:12], v[1:2], v[7:8], v[14:15]
	scratch_store_b128 off, v[9:12], off offset:320
.LBB93_95:
	s_or_b32 exec_lo, exec_lo, s2
	s_waitcnt_vscnt null, 0x0
	s_barrier
	buffer_gl0_inv
	scratch_load_b128 v[1:4], v108, off
	s_mov_b32 s2, exec_lo
	s_waitcnt vmcnt(0)
	ds_store_b128 v5, v[1:4]
	s_waitcnt lgkmcnt(0)
	s_barrier
	buffer_gl0_inv
	v_cmpx_gt_u32_e32 21, v102
	s_cbranch_execz .LBB93_99
; %bb.96:
	v_dual_mov_b32 v1, 0 :: v_dual_add_nc_u32 v8, 0x1e0, v21
	v_dual_mov_b32 v2, 0 :: v_dual_add_nc_u32 v7, -1, v102
	v_or_b32_e32 v9, 8, v13
	s_mov_b32 s3, 0
	s_delay_alu instid0(VALU_DEP_2)
	v_dual_mov_b32 v4, v2 :: v_dual_mov_b32 v3, v1
	.p2align	6
.LBB93_97:                              ; =>This Inner Loop Header: Depth=1
	scratch_load_b128 v[14:17], v9, off offset:-8
	ds_load_b128 v[22:25], v8
	v_add_nc_u32_e32 v7, 1, v7
	v_add_nc_u32_e32 v8, 16, v8
	v_add_nc_u32_e32 v9, 16, v9
	s_delay_alu instid0(VALU_DEP_3) | instskip(SKIP_4) | instid1(VALU_DEP_2)
	v_cmp_lt_u32_e32 vcc_lo, 19, v7
	s_or_b32 s3, vcc_lo, s3
	s_waitcnt vmcnt(0) lgkmcnt(0)
	v_mul_f64 v[10:11], v[24:25], v[16:17]
	v_mul_f64 v[16:17], v[22:23], v[16:17]
	v_fma_f64 v[10:11], v[22:23], v[14:15], -v[10:11]
	s_delay_alu instid0(VALU_DEP_2) | instskip(NEXT) | instid1(VALU_DEP_2)
	v_fma_f64 v[14:15], v[24:25], v[14:15], v[16:17]
	v_add_f64 v[3:4], v[3:4], v[10:11]
	s_delay_alu instid0(VALU_DEP_2)
	v_add_f64 v[1:2], v[1:2], v[14:15]
	s_and_not1_b32 exec_lo, exec_lo, s3
	s_cbranch_execnz .LBB93_97
; %bb.98:
	s_or_b32 exec_lo, exec_lo, s3
	v_mov_b32_e32 v7, 0
	ds_load_b128 v[7:10], v7 offset:336
	s_waitcnt lgkmcnt(0)
	v_mul_f64 v[11:12], v[1:2], v[9:10]
	v_mul_f64 v[14:15], v[3:4], v[9:10]
	s_delay_alu instid0(VALU_DEP_2) | instskip(NEXT) | instid1(VALU_DEP_2)
	v_fma_f64 v[9:10], v[3:4], v[7:8], -v[11:12]
	v_fma_f64 v[11:12], v[1:2], v[7:8], v[14:15]
	scratch_store_b128 off, v[9:12], off offset:336
.LBB93_99:
	s_or_b32 exec_lo, exec_lo, s2
	s_waitcnt_vscnt null, 0x0
	s_barrier
	buffer_gl0_inv
	scratch_load_b128 v[1:4], v107, off
	s_mov_b32 s2, exec_lo
	s_waitcnt vmcnt(0)
	ds_store_b128 v5, v[1:4]
	s_waitcnt lgkmcnt(0)
	s_barrier
	buffer_gl0_inv
	v_cmpx_gt_u32_e32 22, v102
	s_cbranch_execz .LBB93_103
; %bb.100:
	v_dual_mov_b32 v1, 0 :: v_dual_add_nc_u32 v8, 0x1e0, v21
	v_dual_mov_b32 v2, 0 :: v_dual_add_nc_u32 v7, -1, v102
	v_or_b32_e32 v9, 8, v13
	s_mov_b32 s3, 0
	s_delay_alu instid0(VALU_DEP_2)
	v_dual_mov_b32 v4, v2 :: v_dual_mov_b32 v3, v1
	.p2align	6
.LBB93_101:                             ; =>This Inner Loop Header: Depth=1
	scratch_load_b128 v[14:17], v9, off offset:-8
	ds_load_b128 v[22:25], v8
	v_add_nc_u32_e32 v7, 1, v7
	v_add_nc_u32_e32 v8, 16, v8
	;; [unrolled: 1-line block ×3, first 2 shown]
	s_delay_alu instid0(VALU_DEP_3) | instskip(SKIP_4) | instid1(VALU_DEP_2)
	v_cmp_lt_u32_e32 vcc_lo, 20, v7
	s_or_b32 s3, vcc_lo, s3
	s_waitcnt vmcnt(0) lgkmcnt(0)
	v_mul_f64 v[10:11], v[24:25], v[16:17]
	v_mul_f64 v[16:17], v[22:23], v[16:17]
	v_fma_f64 v[10:11], v[22:23], v[14:15], -v[10:11]
	s_delay_alu instid0(VALU_DEP_2) | instskip(NEXT) | instid1(VALU_DEP_2)
	v_fma_f64 v[14:15], v[24:25], v[14:15], v[16:17]
	v_add_f64 v[3:4], v[3:4], v[10:11]
	s_delay_alu instid0(VALU_DEP_2)
	v_add_f64 v[1:2], v[1:2], v[14:15]
	s_and_not1_b32 exec_lo, exec_lo, s3
	s_cbranch_execnz .LBB93_101
; %bb.102:
	s_or_b32 exec_lo, exec_lo, s3
	v_mov_b32_e32 v7, 0
	ds_load_b128 v[7:10], v7 offset:352
	s_waitcnt lgkmcnt(0)
	v_mul_f64 v[11:12], v[1:2], v[9:10]
	v_mul_f64 v[14:15], v[3:4], v[9:10]
	s_delay_alu instid0(VALU_DEP_2) | instskip(NEXT) | instid1(VALU_DEP_2)
	v_fma_f64 v[9:10], v[3:4], v[7:8], -v[11:12]
	v_fma_f64 v[11:12], v[1:2], v[7:8], v[14:15]
	scratch_store_b128 off, v[9:12], off offset:352
.LBB93_103:
	s_or_b32 exec_lo, exec_lo, s2
	s_waitcnt_vscnt null, 0x0
	s_barrier
	buffer_gl0_inv
	scratch_load_b128 v[1:4], v131, off
	s_mov_b32 s2, exec_lo
	s_waitcnt vmcnt(0)
	ds_store_b128 v5, v[1:4]
	s_waitcnt lgkmcnt(0)
	s_barrier
	buffer_gl0_inv
	v_cmpx_gt_u32_e32 23, v102
	s_cbranch_execz .LBB93_107
; %bb.104:
	v_dual_mov_b32 v1, 0 :: v_dual_add_nc_u32 v8, 0x1e0, v21
	v_dual_mov_b32 v2, 0 :: v_dual_add_nc_u32 v7, -1, v102
	v_or_b32_e32 v9, 8, v13
	s_mov_b32 s3, 0
	s_delay_alu instid0(VALU_DEP_2)
	v_dual_mov_b32 v4, v2 :: v_dual_mov_b32 v3, v1
	.p2align	6
.LBB93_105:                             ; =>This Inner Loop Header: Depth=1
	scratch_load_b128 v[14:17], v9, off offset:-8
	ds_load_b128 v[22:25], v8
	v_add_nc_u32_e32 v7, 1, v7
	v_add_nc_u32_e32 v8, 16, v8
	;; [unrolled: 1-line block ×3, first 2 shown]
	s_delay_alu instid0(VALU_DEP_3) | instskip(SKIP_4) | instid1(VALU_DEP_2)
	v_cmp_lt_u32_e32 vcc_lo, 21, v7
	s_or_b32 s3, vcc_lo, s3
	s_waitcnt vmcnt(0) lgkmcnt(0)
	v_mul_f64 v[10:11], v[24:25], v[16:17]
	v_mul_f64 v[16:17], v[22:23], v[16:17]
	v_fma_f64 v[10:11], v[22:23], v[14:15], -v[10:11]
	s_delay_alu instid0(VALU_DEP_2) | instskip(NEXT) | instid1(VALU_DEP_2)
	v_fma_f64 v[14:15], v[24:25], v[14:15], v[16:17]
	v_add_f64 v[3:4], v[3:4], v[10:11]
	s_delay_alu instid0(VALU_DEP_2)
	v_add_f64 v[1:2], v[1:2], v[14:15]
	s_and_not1_b32 exec_lo, exec_lo, s3
	s_cbranch_execnz .LBB93_105
; %bb.106:
	s_or_b32 exec_lo, exec_lo, s3
	v_mov_b32_e32 v7, 0
	ds_load_b128 v[7:10], v7 offset:368
	s_waitcnt lgkmcnt(0)
	v_mul_f64 v[11:12], v[1:2], v[9:10]
	v_mul_f64 v[14:15], v[3:4], v[9:10]
	s_delay_alu instid0(VALU_DEP_2) | instskip(NEXT) | instid1(VALU_DEP_2)
	v_fma_f64 v[9:10], v[3:4], v[7:8], -v[11:12]
	v_fma_f64 v[11:12], v[1:2], v[7:8], v[14:15]
	scratch_store_b128 off, v[9:12], off offset:368
.LBB93_107:
	s_or_b32 exec_lo, exec_lo, s2
	s_waitcnt_vscnt null, 0x0
	s_barrier
	buffer_gl0_inv
	scratch_load_b128 v[1:4], v130, off
	s_mov_b32 s2, exec_lo
	s_waitcnt vmcnt(0)
	ds_store_b128 v5, v[1:4]
	s_waitcnt lgkmcnt(0)
	s_barrier
	buffer_gl0_inv
	v_cmpx_gt_u32_e32 24, v102
	s_cbranch_execz .LBB93_111
; %bb.108:
	v_dual_mov_b32 v1, 0 :: v_dual_add_nc_u32 v8, 0x1e0, v21
	v_dual_mov_b32 v2, 0 :: v_dual_add_nc_u32 v7, -1, v102
	v_or_b32_e32 v9, 8, v13
	s_mov_b32 s3, 0
	s_delay_alu instid0(VALU_DEP_2)
	v_dual_mov_b32 v4, v2 :: v_dual_mov_b32 v3, v1
	.p2align	6
.LBB93_109:                             ; =>This Inner Loop Header: Depth=1
	scratch_load_b128 v[14:17], v9, off offset:-8
	ds_load_b128 v[22:25], v8
	v_add_nc_u32_e32 v7, 1, v7
	v_add_nc_u32_e32 v8, 16, v8
	;; [unrolled: 1-line block ×3, first 2 shown]
	s_delay_alu instid0(VALU_DEP_3) | instskip(SKIP_4) | instid1(VALU_DEP_2)
	v_cmp_lt_u32_e32 vcc_lo, 22, v7
	s_or_b32 s3, vcc_lo, s3
	s_waitcnt vmcnt(0) lgkmcnt(0)
	v_mul_f64 v[10:11], v[24:25], v[16:17]
	v_mul_f64 v[16:17], v[22:23], v[16:17]
	v_fma_f64 v[10:11], v[22:23], v[14:15], -v[10:11]
	s_delay_alu instid0(VALU_DEP_2) | instskip(NEXT) | instid1(VALU_DEP_2)
	v_fma_f64 v[14:15], v[24:25], v[14:15], v[16:17]
	v_add_f64 v[3:4], v[3:4], v[10:11]
	s_delay_alu instid0(VALU_DEP_2)
	v_add_f64 v[1:2], v[1:2], v[14:15]
	s_and_not1_b32 exec_lo, exec_lo, s3
	s_cbranch_execnz .LBB93_109
; %bb.110:
	s_or_b32 exec_lo, exec_lo, s3
	v_mov_b32_e32 v7, 0
	ds_load_b128 v[7:10], v7 offset:384
	s_waitcnt lgkmcnt(0)
	v_mul_f64 v[11:12], v[1:2], v[9:10]
	v_mul_f64 v[14:15], v[3:4], v[9:10]
	s_delay_alu instid0(VALU_DEP_2) | instskip(NEXT) | instid1(VALU_DEP_2)
	v_fma_f64 v[9:10], v[3:4], v[7:8], -v[11:12]
	v_fma_f64 v[11:12], v[1:2], v[7:8], v[14:15]
	scratch_store_b128 off, v[9:12], off offset:384
.LBB93_111:
	s_or_b32 exec_lo, exec_lo, s2
	s_waitcnt_vscnt null, 0x0
	s_barrier
	buffer_gl0_inv
	scratch_load_b128 v[1:4], v129, off
	s_mov_b32 s2, exec_lo
	s_waitcnt vmcnt(0)
	ds_store_b128 v5, v[1:4]
	s_waitcnt lgkmcnt(0)
	s_barrier
	buffer_gl0_inv
	v_cmpx_gt_u32_e32 25, v102
	s_cbranch_execz .LBB93_115
; %bb.112:
	v_dual_mov_b32 v1, 0 :: v_dual_add_nc_u32 v8, 0x1e0, v21
	v_dual_mov_b32 v2, 0 :: v_dual_add_nc_u32 v7, -1, v102
	v_or_b32_e32 v9, 8, v13
	s_mov_b32 s3, 0
	s_delay_alu instid0(VALU_DEP_2)
	v_dual_mov_b32 v4, v2 :: v_dual_mov_b32 v3, v1
	.p2align	6
.LBB93_113:                             ; =>This Inner Loop Header: Depth=1
	scratch_load_b128 v[14:17], v9, off offset:-8
	ds_load_b128 v[22:25], v8
	v_add_nc_u32_e32 v7, 1, v7
	v_add_nc_u32_e32 v8, 16, v8
	;; [unrolled: 1-line block ×3, first 2 shown]
	s_delay_alu instid0(VALU_DEP_3) | instskip(SKIP_4) | instid1(VALU_DEP_2)
	v_cmp_lt_u32_e32 vcc_lo, 23, v7
	s_or_b32 s3, vcc_lo, s3
	s_waitcnt vmcnt(0) lgkmcnt(0)
	v_mul_f64 v[10:11], v[24:25], v[16:17]
	v_mul_f64 v[16:17], v[22:23], v[16:17]
	v_fma_f64 v[10:11], v[22:23], v[14:15], -v[10:11]
	s_delay_alu instid0(VALU_DEP_2) | instskip(NEXT) | instid1(VALU_DEP_2)
	v_fma_f64 v[14:15], v[24:25], v[14:15], v[16:17]
	v_add_f64 v[3:4], v[3:4], v[10:11]
	s_delay_alu instid0(VALU_DEP_2)
	v_add_f64 v[1:2], v[1:2], v[14:15]
	s_and_not1_b32 exec_lo, exec_lo, s3
	s_cbranch_execnz .LBB93_113
; %bb.114:
	s_or_b32 exec_lo, exec_lo, s3
	v_mov_b32_e32 v7, 0
	ds_load_b128 v[7:10], v7 offset:400
	s_waitcnt lgkmcnt(0)
	v_mul_f64 v[11:12], v[1:2], v[9:10]
	v_mul_f64 v[14:15], v[3:4], v[9:10]
	s_delay_alu instid0(VALU_DEP_2) | instskip(NEXT) | instid1(VALU_DEP_2)
	v_fma_f64 v[9:10], v[3:4], v[7:8], -v[11:12]
	v_fma_f64 v[11:12], v[1:2], v[7:8], v[14:15]
	scratch_store_b128 off, v[9:12], off offset:400
.LBB93_115:
	s_or_b32 exec_lo, exec_lo, s2
	s_waitcnt_vscnt null, 0x0
	s_barrier
	buffer_gl0_inv
	scratch_load_b128 v[1:4], v128, off
	s_mov_b32 s2, exec_lo
	s_waitcnt vmcnt(0)
	ds_store_b128 v5, v[1:4]
	s_waitcnt lgkmcnt(0)
	s_barrier
	buffer_gl0_inv
	v_cmpx_gt_u32_e32 26, v102
	s_cbranch_execz .LBB93_119
; %bb.116:
	v_dual_mov_b32 v1, 0 :: v_dual_add_nc_u32 v8, 0x1e0, v21
	v_dual_mov_b32 v2, 0 :: v_dual_add_nc_u32 v7, -1, v102
	v_or_b32_e32 v9, 8, v13
	s_mov_b32 s3, 0
	s_delay_alu instid0(VALU_DEP_2)
	v_dual_mov_b32 v4, v2 :: v_dual_mov_b32 v3, v1
	.p2align	6
.LBB93_117:                             ; =>This Inner Loop Header: Depth=1
	scratch_load_b128 v[14:17], v9, off offset:-8
	ds_load_b128 v[22:25], v8
	v_add_nc_u32_e32 v7, 1, v7
	v_add_nc_u32_e32 v8, 16, v8
	;; [unrolled: 1-line block ×3, first 2 shown]
	s_delay_alu instid0(VALU_DEP_3) | instskip(SKIP_4) | instid1(VALU_DEP_2)
	v_cmp_lt_u32_e32 vcc_lo, 24, v7
	s_or_b32 s3, vcc_lo, s3
	s_waitcnt vmcnt(0) lgkmcnt(0)
	v_mul_f64 v[10:11], v[24:25], v[16:17]
	v_mul_f64 v[16:17], v[22:23], v[16:17]
	v_fma_f64 v[10:11], v[22:23], v[14:15], -v[10:11]
	s_delay_alu instid0(VALU_DEP_2) | instskip(NEXT) | instid1(VALU_DEP_2)
	v_fma_f64 v[14:15], v[24:25], v[14:15], v[16:17]
	v_add_f64 v[3:4], v[3:4], v[10:11]
	s_delay_alu instid0(VALU_DEP_2)
	v_add_f64 v[1:2], v[1:2], v[14:15]
	s_and_not1_b32 exec_lo, exec_lo, s3
	s_cbranch_execnz .LBB93_117
; %bb.118:
	s_or_b32 exec_lo, exec_lo, s3
	v_mov_b32_e32 v7, 0
	ds_load_b128 v[7:10], v7 offset:416
	s_waitcnt lgkmcnt(0)
	v_mul_f64 v[11:12], v[1:2], v[9:10]
	v_mul_f64 v[14:15], v[3:4], v[9:10]
	s_delay_alu instid0(VALU_DEP_2) | instskip(NEXT) | instid1(VALU_DEP_2)
	v_fma_f64 v[9:10], v[3:4], v[7:8], -v[11:12]
	v_fma_f64 v[11:12], v[1:2], v[7:8], v[14:15]
	scratch_store_b128 off, v[9:12], off offset:416
.LBB93_119:
	s_or_b32 exec_lo, exec_lo, s2
	s_waitcnt_vscnt null, 0x0
	s_barrier
	buffer_gl0_inv
	scratch_load_b128 v[1:4], v127, off
	s_mov_b32 s2, exec_lo
	s_waitcnt vmcnt(0)
	ds_store_b128 v5, v[1:4]
	s_waitcnt lgkmcnt(0)
	s_barrier
	buffer_gl0_inv
	v_cmpx_gt_u32_e32 27, v102
	s_cbranch_execz .LBB93_123
; %bb.120:
	v_dual_mov_b32 v1, 0 :: v_dual_add_nc_u32 v8, 0x1e0, v21
	v_dual_mov_b32 v2, 0 :: v_dual_add_nc_u32 v7, -1, v102
	v_or_b32_e32 v9, 8, v13
	s_mov_b32 s3, 0
	s_delay_alu instid0(VALU_DEP_2)
	v_dual_mov_b32 v4, v2 :: v_dual_mov_b32 v3, v1
	.p2align	6
.LBB93_121:                             ; =>This Inner Loop Header: Depth=1
	scratch_load_b128 v[14:17], v9, off offset:-8
	ds_load_b128 v[22:25], v8
	v_add_nc_u32_e32 v7, 1, v7
	v_add_nc_u32_e32 v8, 16, v8
	;; [unrolled: 1-line block ×3, first 2 shown]
	s_delay_alu instid0(VALU_DEP_3) | instskip(SKIP_4) | instid1(VALU_DEP_2)
	v_cmp_lt_u32_e32 vcc_lo, 25, v7
	s_or_b32 s3, vcc_lo, s3
	s_waitcnt vmcnt(0) lgkmcnt(0)
	v_mul_f64 v[10:11], v[24:25], v[16:17]
	v_mul_f64 v[16:17], v[22:23], v[16:17]
	v_fma_f64 v[10:11], v[22:23], v[14:15], -v[10:11]
	s_delay_alu instid0(VALU_DEP_2) | instskip(NEXT) | instid1(VALU_DEP_2)
	v_fma_f64 v[14:15], v[24:25], v[14:15], v[16:17]
	v_add_f64 v[3:4], v[3:4], v[10:11]
	s_delay_alu instid0(VALU_DEP_2)
	v_add_f64 v[1:2], v[1:2], v[14:15]
	s_and_not1_b32 exec_lo, exec_lo, s3
	s_cbranch_execnz .LBB93_121
; %bb.122:
	s_or_b32 exec_lo, exec_lo, s3
	v_mov_b32_e32 v7, 0
	ds_load_b128 v[7:10], v7 offset:432
	s_waitcnt lgkmcnt(0)
	v_mul_f64 v[11:12], v[1:2], v[9:10]
	v_mul_f64 v[14:15], v[3:4], v[9:10]
	s_delay_alu instid0(VALU_DEP_2) | instskip(NEXT) | instid1(VALU_DEP_2)
	v_fma_f64 v[9:10], v[3:4], v[7:8], -v[11:12]
	v_fma_f64 v[11:12], v[1:2], v[7:8], v[14:15]
	scratch_store_b128 off, v[9:12], off offset:432
.LBB93_123:
	s_or_b32 exec_lo, exec_lo, s2
	s_waitcnt_vscnt null, 0x0
	s_barrier
	buffer_gl0_inv
	scratch_load_b128 v[1:4], v126, off
	s_mov_b32 s2, exec_lo
	s_waitcnt vmcnt(0)
	ds_store_b128 v5, v[1:4]
	s_waitcnt lgkmcnt(0)
	s_barrier
	buffer_gl0_inv
	v_cmpx_gt_u32_e32 28, v102
	s_cbranch_execz .LBB93_127
; %bb.124:
	v_dual_mov_b32 v1, 0 :: v_dual_add_nc_u32 v8, 0x1e0, v21
	v_dual_mov_b32 v2, 0 :: v_dual_add_nc_u32 v7, -1, v102
	v_or_b32_e32 v9, 8, v13
	s_mov_b32 s3, 0
	s_delay_alu instid0(VALU_DEP_2)
	v_dual_mov_b32 v4, v2 :: v_dual_mov_b32 v3, v1
	.p2align	6
.LBB93_125:                             ; =>This Inner Loop Header: Depth=1
	scratch_load_b128 v[14:17], v9, off offset:-8
	ds_load_b128 v[18:21], v8
	v_add_nc_u32_e32 v7, 1, v7
	v_add_nc_u32_e32 v8, 16, v8
	;; [unrolled: 1-line block ×3, first 2 shown]
	s_delay_alu instid0(VALU_DEP_3) | instskip(SKIP_4) | instid1(VALU_DEP_2)
	v_cmp_lt_u32_e32 vcc_lo, 26, v7
	s_or_b32 s3, vcc_lo, s3
	s_waitcnt vmcnt(0) lgkmcnt(0)
	v_mul_f64 v[10:11], v[20:21], v[16:17]
	v_mul_f64 v[16:17], v[18:19], v[16:17]
	v_fma_f64 v[10:11], v[18:19], v[14:15], -v[10:11]
	s_delay_alu instid0(VALU_DEP_2) | instskip(NEXT) | instid1(VALU_DEP_2)
	v_fma_f64 v[14:15], v[20:21], v[14:15], v[16:17]
	v_add_f64 v[3:4], v[3:4], v[10:11]
	s_delay_alu instid0(VALU_DEP_2)
	v_add_f64 v[1:2], v[1:2], v[14:15]
	s_and_not1_b32 exec_lo, exec_lo, s3
	s_cbranch_execnz .LBB93_125
; %bb.126:
	s_or_b32 exec_lo, exec_lo, s3
	v_mov_b32_e32 v7, 0
	ds_load_b128 v[7:10], v7 offset:448
	s_waitcnt lgkmcnt(0)
	v_mul_f64 v[11:12], v[1:2], v[9:10]
	v_mul_f64 v[14:15], v[3:4], v[9:10]
	s_delay_alu instid0(VALU_DEP_2) | instskip(NEXT) | instid1(VALU_DEP_2)
	v_fma_f64 v[9:10], v[3:4], v[7:8], -v[11:12]
	v_fma_f64 v[11:12], v[1:2], v[7:8], v[14:15]
	scratch_store_b128 off, v[9:12], off offset:448
.LBB93_127:
	s_or_b32 exec_lo, exec_lo, s2
	s_waitcnt_vscnt null, 0x0
	s_barrier
	buffer_gl0_inv
	scratch_load_b128 v[1:4], v125, off
	s_mov_b32 s2, exec_lo
	s_waitcnt vmcnt(0)
	ds_store_b128 v5, v[1:4]
	s_waitcnt lgkmcnt(0)
	s_barrier
	buffer_gl0_inv
	v_cmpx_ne_u32_e32 29, v102
	s_cbranch_execz .LBB93_131
; %bb.128:
	v_mov_b32_e32 v1, 0
	v_mov_b32_e32 v2, 0
	v_or_b32_e32 v7, 8, v13
	s_mov_b32 s3, 0
	s_delay_alu instid0(VALU_DEP_2)
	v_dual_mov_b32 v4, v2 :: v_dual_mov_b32 v3, v1
	.p2align	6
.LBB93_129:                             ; =>This Inner Loop Header: Depth=1
	scratch_load_b128 v[8:11], v7, off offset:-8
	ds_load_b128 v[12:15], v5
	v_add_nc_u32_e32 v6, 1, v6
	v_add_nc_u32_e32 v5, 16, v5
	v_add_nc_u32_e32 v7, 16, v7
	s_delay_alu instid0(VALU_DEP_3) | instskip(SKIP_4) | instid1(VALU_DEP_2)
	v_cmp_lt_u32_e32 vcc_lo, 27, v6
	s_or_b32 s3, vcc_lo, s3
	s_waitcnt vmcnt(0) lgkmcnt(0)
	v_mul_f64 v[16:17], v[14:15], v[10:11]
	v_mul_f64 v[10:11], v[12:13], v[10:11]
	v_fma_f64 v[12:13], v[12:13], v[8:9], -v[16:17]
	s_delay_alu instid0(VALU_DEP_2) | instskip(NEXT) | instid1(VALU_DEP_2)
	v_fma_f64 v[8:9], v[14:15], v[8:9], v[10:11]
	v_add_f64 v[3:4], v[3:4], v[12:13]
	s_delay_alu instid0(VALU_DEP_2)
	v_add_f64 v[1:2], v[1:2], v[8:9]
	s_and_not1_b32 exec_lo, exec_lo, s3
	s_cbranch_execnz .LBB93_129
; %bb.130:
	s_or_b32 exec_lo, exec_lo, s3
	v_mov_b32_e32 v5, 0
	ds_load_b128 v[5:8], v5 offset:464
	s_waitcnt lgkmcnt(0)
	v_mul_f64 v[9:10], v[1:2], v[7:8]
	v_mul_f64 v[7:8], v[3:4], v[7:8]
	s_delay_alu instid0(VALU_DEP_2) | instskip(NEXT) | instid1(VALU_DEP_2)
	v_fma_f64 v[3:4], v[3:4], v[5:6], -v[9:10]
	v_fma_f64 v[5:6], v[1:2], v[5:6], v[7:8]
	scratch_store_b128 off, v[3:6], off offset:464
.LBB93_131:
	s_or_b32 exec_lo, exec_lo, s2
	s_mov_b32 s3, -1
	s_waitcnt_vscnt null, 0x0
	s_barrier
	buffer_gl0_inv
.LBB93_132:
	s_and_b32 vcc_lo, exec_lo, s3
	s_cbranch_vccz .LBB93_134
; %bb.133:
	s_lshl_b64 s[2:3], s[10:11], 2
	v_mov_b32_e32 v1, 0
	s_add_u32 s2, s6, s2
	s_addc_u32 s3, s7, s3
	global_load_b32 v1, v1, s[2:3]
	s_waitcnt vmcnt(0)
	v_cmp_ne_u32_e32 vcc_lo, 0, v1
	s_cbranch_vccz .LBB93_135
.LBB93_134:
	s_endpgm
.LBB93_135:
	v_lshl_add_u32 v132, v102, 4, 0x1e0
	s_mov_b32 s2, exec_lo
	v_cmpx_eq_u32_e32 29, v102
	s_cbranch_execz .LBB93_137
; %bb.136:
	scratch_load_b128 v[1:4], v126, off
	v_mov_b32_e32 v5, 0
	s_delay_alu instid0(VALU_DEP_1)
	v_mov_b32_e32 v6, v5
	v_mov_b32_e32 v7, v5
	;; [unrolled: 1-line block ×3, first 2 shown]
	scratch_store_b128 off, v[5:8], off offset:448
	s_waitcnt vmcnt(0)
	ds_store_b128 v132, v[1:4]
.LBB93_137:
	s_or_b32 exec_lo, exec_lo, s2
	s_waitcnt lgkmcnt(0)
	s_waitcnt_vscnt null, 0x0
	s_barrier
	buffer_gl0_inv
	s_clause 0x1
	scratch_load_b128 v[2:5], off, off offset:464
	scratch_load_b128 v[6:9], off, off offset:448
	v_mov_b32_e32 v1, 0
	s_mov_b32 s2, exec_lo
	ds_load_b128 v[10:13], v1 offset:944
	s_waitcnt vmcnt(1) lgkmcnt(0)
	v_mul_f64 v[14:15], v[12:13], v[4:5]
	v_mul_f64 v[4:5], v[10:11], v[4:5]
	s_delay_alu instid0(VALU_DEP_2) | instskip(NEXT) | instid1(VALU_DEP_2)
	v_fma_f64 v[10:11], v[10:11], v[2:3], -v[14:15]
	v_fma_f64 v[2:3], v[12:13], v[2:3], v[4:5]
	s_delay_alu instid0(VALU_DEP_2) | instskip(NEXT) | instid1(VALU_DEP_2)
	v_add_f64 v[4:5], v[10:11], 0
	v_add_f64 v[10:11], v[2:3], 0
	s_waitcnt vmcnt(0)
	s_delay_alu instid0(VALU_DEP_2) | instskip(NEXT) | instid1(VALU_DEP_2)
	v_add_f64 v[2:3], v[6:7], -v[4:5]
	v_add_f64 v[4:5], v[8:9], -v[10:11]
	scratch_store_b128 off, v[2:5], off offset:448
	v_cmpx_lt_u32_e32 27, v102
	s_cbranch_execz .LBB93_139
; %bb.138:
	scratch_load_b128 v[5:8], v127, off
	v_mov_b32_e32 v2, v1
	v_mov_b32_e32 v3, v1
	;; [unrolled: 1-line block ×3, first 2 shown]
	scratch_store_b128 off, v[1:4], off offset:432
	s_waitcnt vmcnt(0)
	ds_store_b128 v132, v[5:8]
.LBB93_139:
	s_or_b32 exec_lo, exec_lo, s2
	s_waitcnt lgkmcnt(0)
	s_waitcnt_vscnt null, 0x0
	s_barrier
	buffer_gl0_inv
	s_clause 0x2
	scratch_load_b128 v[2:5], off, off offset:448
	scratch_load_b128 v[6:9], off, off offset:464
	;; [unrolled: 1-line block ×3, first 2 shown]
	ds_load_b128 v[14:17], v1 offset:928
	ds_load_b128 v[18:21], v1 offset:944
	s_mov_b32 s2, exec_lo
	s_waitcnt vmcnt(2) lgkmcnt(1)
	v_mul_f64 v[22:23], v[16:17], v[4:5]
	v_mul_f64 v[4:5], v[14:15], v[4:5]
	s_waitcnt vmcnt(1) lgkmcnt(0)
	v_mul_f64 v[24:25], v[18:19], v[8:9]
	v_mul_f64 v[8:9], v[20:21], v[8:9]
	s_delay_alu instid0(VALU_DEP_4) | instskip(NEXT) | instid1(VALU_DEP_4)
	v_fma_f64 v[14:15], v[14:15], v[2:3], -v[22:23]
	v_fma_f64 v[1:2], v[16:17], v[2:3], v[4:5]
	s_delay_alu instid0(VALU_DEP_4) | instskip(NEXT) | instid1(VALU_DEP_4)
	v_fma_f64 v[3:4], v[20:21], v[6:7], v[24:25]
	v_fma_f64 v[5:6], v[18:19], v[6:7], -v[8:9]
	s_delay_alu instid0(VALU_DEP_4) | instskip(NEXT) | instid1(VALU_DEP_4)
	v_add_f64 v[7:8], v[14:15], 0
	v_add_f64 v[1:2], v[1:2], 0
	s_delay_alu instid0(VALU_DEP_2) | instskip(NEXT) | instid1(VALU_DEP_2)
	v_add_f64 v[5:6], v[7:8], v[5:6]
	v_add_f64 v[3:4], v[1:2], v[3:4]
	s_waitcnt vmcnt(0)
	s_delay_alu instid0(VALU_DEP_2) | instskip(NEXT) | instid1(VALU_DEP_2)
	v_add_f64 v[1:2], v[10:11], -v[5:6]
	v_add_f64 v[3:4], v[12:13], -v[3:4]
	scratch_store_b128 off, v[1:4], off offset:432
	v_cmpx_lt_u32_e32 26, v102
	s_cbranch_execz .LBB93_141
; %bb.140:
	scratch_load_b128 v[1:4], v128, off
	v_mov_b32_e32 v5, 0
	s_delay_alu instid0(VALU_DEP_1)
	v_mov_b32_e32 v6, v5
	v_mov_b32_e32 v7, v5
	;; [unrolled: 1-line block ×3, first 2 shown]
	scratch_store_b128 off, v[5:8], off offset:416
	s_waitcnt vmcnt(0)
	ds_store_b128 v132, v[1:4]
.LBB93_141:
	s_or_b32 exec_lo, exec_lo, s2
	s_waitcnt lgkmcnt(0)
	s_waitcnt_vscnt null, 0x0
	s_barrier
	buffer_gl0_inv
	s_clause 0x3
	scratch_load_b128 v[2:5], off, off offset:432
	scratch_load_b128 v[6:9], off, off offset:448
	scratch_load_b128 v[10:13], off, off offset:464
	scratch_load_b128 v[14:17], off, off offset:416
	v_mov_b32_e32 v1, 0
	ds_load_b128 v[18:21], v1 offset:912
	ds_load_b128 v[22:25], v1 offset:928
	s_mov_b32 s2, exec_lo
	s_waitcnt vmcnt(3) lgkmcnt(1)
	v_mul_f64 v[26:27], v[20:21], v[4:5]
	v_mul_f64 v[4:5], v[18:19], v[4:5]
	s_waitcnt vmcnt(2) lgkmcnt(0)
	v_mul_f64 v[28:29], v[22:23], v[8:9]
	v_mul_f64 v[8:9], v[24:25], v[8:9]
	s_delay_alu instid0(VALU_DEP_4) | instskip(NEXT) | instid1(VALU_DEP_4)
	v_fma_f64 v[18:19], v[18:19], v[2:3], -v[26:27]
	v_fma_f64 v[20:21], v[20:21], v[2:3], v[4:5]
	ds_load_b128 v[2:5], v1 offset:944
	v_fma_f64 v[24:25], v[24:25], v[6:7], v[28:29]
	v_fma_f64 v[6:7], v[22:23], v[6:7], -v[8:9]
	s_waitcnt vmcnt(1) lgkmcnt(0)
	v_mul_f64 v[26:27], v[2:3], v[12:13]
	v_mul_f64 v[12:13], v[4:5], v[12:13]
	v_add_f64 v[8:9], v[18:19], 0
	v_add_f64 v[18:19], v[20:21], 0
	s_delay_alu instid0(VALU_DEP_4) | instskip(NEXT) | instid1(VALU_DEP_4)
	v_fma_f64 v[4:5], v[4:5], v[10:11], v[26:27]
	v_fma_f64 v[2:3], v[2:3], v[10:11], -v[12:13]
	s_delay_alu instid0(VALU_DEP_4) | instskip(NEXT) | instid1(VALU_DEP_4)
	v_add_f64 v[6:7], v[8:9], v[6:7]
	v_add_f64 v[8:9], v[18:19], v[24:25]
	s_delay_alu instid0(VALU_DEP_2) | instskip(NEXT) | instid1(VALU_DEP_2)
	v_add_f64 v[2:3], v[6:7], v[2:3]
	v_add_f64 v[4:5], v[8:9], v[4:5]
	s_waitcnt vmcnt(0)
	s_delay_alu instid0(VALU_DEP_2) | instskip(NEXT) | instid1(VALU_DEP_2)
	v_add_f64 v[2:3], v[14:15], -v[2:3]
	v_add_f64 v[4:5], v[16:17], -v[4:5]
	scratch_store_b128 off, v[2:5], off offset:416
	v_cmpx_lt_u32_e32 25, v102
	s_cbranch_execz .LBB93_143
; %bb.142:
	scratch_load_b128 v[5:8], v129, off
	v_mov_b32_e32 v2, v1
	v_mov_b32_e32 v3, v1
	;; [unrolled: 1-line block ×3, first 2 shown]
	scratch_store_b128 off, v[1:4], off offset:400
	s_waitcnt vmcnt(0)
	ds_store_b128 v132, v[5:8]
.LBB93_143:
	s_or_b32 exec_lo, exec_lo, s2
	s_waitcnt lgkmcnt(0)
	s_waitcnt_vscnt null, 0x0
	s_barrier
	buffer_gl0_inv
	s_clause 0x4
	scratch_load_b128 v[2:5], off, off offset:416
	scratch_load_b128 v[6:9], off, off offset:432
	;; [unrolled: 1-line block ×5, first 2 shown]
	ds_load_b128 v[22:25], v1 offset:896
	ds_load_b128 v[26:29], v1 offset:912
	s_mov_b32 s2, exec_lo
	s_waitcnt vmcnt(4) lgkmcnt(1)
	v_mul_f64 v[30:31], v[24:25], v[4:5]
	v_mul_f64 v[4:5], v[22:23], v[4:5]
	s_waitcnt vmcnt(3) lgkmcnt(0)
	v_mul_f64 v[32:33], v[26:27], v[8:9]
	v_mul_f64 v[8:9], v[28:29], v[8:9]
	s_delay_alu instid0(VALU_DEP_4) | instskip(NEXT) | instid1(VALU_DEP_4)
	v_fma_f64 v[30:31], v[22:23], v[2:3], -v[30:31]
	v_fma_f64 v[34:35], v[24:25], v[2:3], v[4:5]
	ds_load_b128 v[2:5], v1 offset:928
	ds_load_b128 v[22:25], v1 offset:944
	v_fma_f64 v[28:29], v[28:29], v[6:7], v[32:33]
	v_fma_f64 v[6:7], v[26:27], v[6:7], -v[8:9]
	s_waitcnt vmcnt(2) lgkmcnt(1)
	v_mul_f64 v[36:37], v[2:3], v[12:13]
	v_mul_f64 v[12:13], v[4:5], v[12:13]
	v_add_f64 v[8:9], v[30:31], 0
	v_add_f64 v[26:27], v[34:35], 0
	s_waitcnt vmcnt(1) lgkmcnt(0)
	v_mul_f64 v[30:31], v[22:23], v[16:17]
	v_mul_f64 v[16:17], v[24:25], v[16:17]
	v_fma_f64 v[4:5], v[4:5], v[10:11], v[36:37]
	v_fma_f64 v[1:2], v[2:3], v[10:11], -v[12:13]
	v_add_f64 v[6:7], v[8:9], v[6:7]
	v_add_f64 v[8:9], v[26:27], v[28:29]
	v_fma_f64 v[10:11], v[24:25], v[14:15], v[30:31]
	v_fma_f64 v[12:13], v[22:23], v[14:15], -v[16:17]
	s_delay_alu instid0(VALU_DEP_4) | instskip(NEXT) | instid1(VALU_DEP_4)
	v_add_f64 v[1:2], v[6:7], v[1:2]
	v_add_f64 v[3:4], v[8:9], v[4:5]
	s_delay_alu instid0(VALU_DEP_2) | instskip(NEXT) | instid1(VALU_DEP_2)
	v_add_f64 v[1:2], v[1:2], v[12:13]
	v_add_f64 v[3:4], v[3:4], v[10:11]
	s_waitcnt vmcnt(0)
	s_delay_alu instid0(VALU_DEP_2) | instskip(NEXT) | instid1(VALU_DEP_2)
	v_add_f64 v[1:2], v[18:19], -v[1:2]
	v_add_f64 v[3:4], v[20:21], -v[3:4]
	scratch_store_b128 off, v[1:4], off offset:400
	v_cmpx_lt_u32_e32 24, v102
	s_cbranch_execz .LBB93_145
; %bb.144:
	scratch_load_b128 v[1:4], v130, off
	v_mov_b32_e32 v5, 0
	s_delay_alu instid0(VALU_DEP_1)
	v_mov_b32_e32 v6, v5
	v_mov_b32_e32 v7, v5
	;; [unrolled: 1-line block ×3, first 2 shown]
	scratch_store_b128 off, v[5:8], off offset:384
	s_waitcnt vmcnt(0)
	ds_store_b128 v132, v[1:4]
.LBB93_145:
	s_or_b32 exec_lo, exec_lo, s2
	s_waitcnt lgkmcnt(0)
	s_waitcnt_vscnt null, 0x0
	s_barrier
	buffer_gl0_inv
	s_clause 0x5
	scratch_load_b128 v[2:5], off, off offset:400
	scratch_load_b128 v[6:9], off, off offset:416
	;; [unrolled: 1-line block ×6, first 2 shown]
	v_mov_b32_e32 v1, 0
	ds_load_b128 v[26:29], v1 offset:880
	ds_load_b128 v[30:33], v1 offset:896
	s_mov_b32 s2, exec_lo
	s_waitcnt vmcnt(5) lgkmcnt(1)
	v_mul_f64 v[34:35], v[28:29], v[4:5]
	v_mul_f64 v[4:5], v[26:27], v[4:5]
	s_waitcnt vmcnt(4) lgkmcnt(0)
	v_mul_f64 v[36:37], v[30:31], v[8:9]
	v_mul_f64 v[8:9], v[32:33], v[8:9]
	s_delay_alu instid0(VALU_DEP_4) | instskip(NEXT) | instid1(VALU_DEP_4)
	v_fma_f64 v[34:35], v[26:27], v[2:3], -v[34:35]
	v_fma_f64 v[38:39], v[28:29], v[2:3], v[4:5]
	ds_load_b128 v[2:5], v1 offset:912
	ds_load_b128 v[26:29], v1 offset:928
	v_fma_f64 v[32:33], v[32:33], v[6:7], v[36:37]
	v_fma_f64 v[6:7], v[30:31], v[6:7], -v[8:9]
	s_waitcnt vmcnt(3) lgkmcnt(1)
	v_mul_f64 v[40:41], v[2:3], v[12:13]
	v_mul_f64 v[12:13], v[4:5], v[12:13]
	v_add_f64 v[8:9], v[34:35], 0
	v_add_f64 v[30:31], v[38:39], 0
	s_waitcnt vmcnt(2) lgkmcnt(0)
	v_mul_f64 v[34:35], v[26:27], v[16:17]
	v_mul_f64 v[16:17], v[28:29], v[16:17]
	v_fma_f64 v[36:37], v[4:5], v[10:11], v[40:41]
	v_fma_f64 v[10:11], v[2:3], v[10:11], -v[12:13]
	ds_load_b128 v[2:5], v1 offset:944
	v_add_f64 v[6:7], v[8:9], v[6:7]
	v_add_f64 v[8:9], v[30:31], v[32:33]
	v_fma_f64 v[28:29], v[28:29], v[14:15], v[34:35]
	v_fma_f64 v[14:15], v[26:27], v[14:15], -v[16:17]
	s_waitcnt vmcnt(1) lgkmcnt(0)
	v_mul_f64 v[12:13], v[2:3], v[20:21]
	v_mul_f64 v[20:21], v[4:5], v[20:21]
	v_add_f64 v[6:7], v[6:7], v[10:11]
	v_add_f64 v[8:9], v[8:9], v[36:37]
	s_delay_alu instid0(VALU_DEP_4) | instskip(NEXT) | instid1(VALU_DEP_4)
	v_fma_f64 v[4:5], v[4:5], v[18:19], v[12:13]
	v_fma_f64 v[2:3], v[2:3], v[18:19], -v[20:21]
	s_delay_alu instid0(VALU_DEP_4) | instskip(NEXT) | instid1(VALU_DEP_4)
	v_add_f64 v[6:7], v[6:7], v[14:15]
	v_add_f64 v[8:9], v[8:9], v[28:29]
	s_delay_alu instid0(VALU_DEP_2) | instskip(NEXT) | instid1(VALU_DEP_2)
	v_add_f64 v[2:3], v[6:7], v[2:3]
	v_add_f64 v[4:5], v[8:9], v[4:5]
	s_waitcnt vmcnt(0)
	s_delay_alu instid0(VALU_DEP_2) | instskip(NEXT) | instid1(VALU_DEP_2)
	v_add_f64 v[2:3], v[22:23], -v[2:3]
	v_add_f64 v[4:5], v[24:25], -v[4:5]
	scratch_store_b128 off, v[2:5], off offset:384
	v_cmpx_lt_u32_e32 23, v102
	s_cbranch_execz .LBB93_147
; %bb.146:
	scratch_load_b128 v[5:8], v131, off
	v_mov_b32_e32 v2, v1
	v_mov_b32_e32 v3, v1
	;; [unrolled: 1-line block ×3, first 2 shown]
	scratch_store_b128 off, v[1:4], off offset:368
	s_waitcnt vmcnt(0)
	ds_store_b128 v132, v[5:8]
.LBB93_147:
	s_or_b32 exec_lo, exec_lo, s2
	s_waitcnt lgkmcnt(0)
	s_waitcnt_vscnt null, 0x0
	s_barrier
	buffer_gl0_inv
	s_clause 0x5
	scratch_load_b128 v[2:5], off, off offset:384
	scratch_load_b128 v[6:9], off, off offset:400
	;; [unrolled: 1-line block ×6, first 2 shown]
	ds_load_b128 v[26:29], v1 offset:864
	ds_load_b128 v[34:37], v1 offset:880
	scratch_load_b128 v[30:33], off, off offset:368
	s_mov_b32 s2, exec_lo
	s_waitcnt vmcnt(6) lgkmcnt(1)
	v_mul_f64 v[38:39], v[28:29], v[4:5]
	v_mul_f64 v[4:5], v[26:27], v[4:5]
	s_waitcnt vmcnt(5) lgkmcnt(0)
	v_mul_f64 v[40:41], v[34:35], v[8:9]
	v_mul_f64 v[8:9], v[36:37], v[8:9]
	s_delay_alu instid0(VALU_DEP_4) | instskip(NEXT) | instid1(VALU_DEP_4)
	v_fma_f64 v[38:39], v[26:27], v[2:3], -v[38:39]
	v_fma_f64 v[133:134], v[28:29], v[2:3], v[4:5]
	ds_load_b128 v[2:5], v1 offset:896
	ds_load_b128 v[26:29], v1 offset:912
	v_fma_f64 v[36:37], v[36:37], v[6:7], v[40:41]
	v_fma_f64 v[6:7], v[34:35], v[6:7], -v[8:9]
	s_waitcnt vmcnt(4) lgkmcnt(1)
	v_mul_f64 v[135:136], v[2:3], v[12:13]
	v_mul_f64 v[12:13], v[4:5], v[12:13]
	v_add_f64 v[8:9], v[38:39], 0
	v_add_f64 v[34:35], v[133:134], 0
	s_waitcnt vmcnt(3) lgkmcnt(0)
	v_mul_f64 v[38:39], v[26:27], v[16:17]
	v_mul_f64 v[16:17], v[28:29], v[16:17]
	v_fma_f64 v[40:41], v[4:5], v[10:11], v[135:136]
	v_fma_f64 v[10:11], v[2:3], v[10:11], -v[12:13]
	v_add_f64 v[12:13], v[8:9], v[6:7]
	v_add_f64 v[34:35], v[34:35], v[36:37]
	ds_load_b128 v[2:5], v1 offset:928
	ds_load_b128 v[6:9], v1 offset:944
	v_fma_f64 v[28:29], v[28:29], v[14:15], v[38:39]
	v_fma_f64 v[14:15], v[26:27], v[14:15], -v[16:17]
	s_waitcnt vmcnt(2) lgkmcnt(1)
	v_mul_f64 v[36:37], v[2:3], v[20:21]
	v_mul_f64 v[20:21], v[4:5], v[20:21]
	s_waitcnt vmcnt(1) lgkmcnt(0)
	v_mul_f64 v[16:17], v[6:7], v[24:25]
	v_mul_f64 v[24:25], v[8:9], v[24:25]
	v_add_f64 v[10:11], v[12:13], v[10:11]
	v_add_f64 v[12:13], v[34:35], v[40:41]
	v_fma_f64 v[4:5], v[4:5], v[18:19], v[36:37]
	v_fma_f64 v[1:2], v[2:3], v[18:19], -v[20:21]
	v_fma_f64 v[8:9], v[8:9], v[22:23], v[16:17]
	v_fma_f64 v[6:7], v[6:7], v[22:23], -v[24:25]
	v_add_f64 v[10:11], v[10:11], v[14:15]
	v_add_f64 v[12:13], v[12:13], v[28:29]
	s_delay_alu instid0(VALU_DEP_2) | instskip(NEXT) | instid1(VALU_DEP_2)
	v_add_f64 v[1:2], v[10:11], v[1:2]
	v_add_f64 v[3:4], v[12:13], v[4:5]
	s_delay_alu instid0(VALU_DEP_2) | instskip(NEXT) | instid1(VALU_DEP_2)
	v_add_f64 v[1:2], v[1:2], v[6:7]
	v_add_f64 v[3:4], v[3:4], v[8:9]
	s_waitcnt vmcnt(0)
	s_delay_alu instid0(VALU_DEP_2) | instskip(NEXT) | instid1(VALU_DEP_2)
	v_add_f64 v[1:2], v[30:31], -v[1:2]
	v_add_f64 v[3:4], v[32:33], -v[3:4]
	scratch_store_b128 off, v[1:4], off offset:368
	v_cmpx_lt_u32_e32 22, v102
	s_cbranch_execz .LBB93_149
; %bb.148:
	scratch_load_b128 v[1:4], v107, off
	v_mov_b32_e32 v5, 0
	s_delay_alu instid0(VALU_DEP_1)
	v_mov_b32_e32 v6, v5
	v_mov_b32_e32 v7, v5
	;; [unrolled: 1-line block ×3, first 2 shown]
	scratch_store_b128 off, v[5:8], off offset:352
	s_waitcnt vmcnt(0)
	ds_store_b128 v132, v[1:4]
.LBB93_149:
	s_or_b32 exec_lo, exec_lo, s2
	s_waitcnt lgkmcnt(0)
	s_waitcnt_vscnt null, 0x0
	s_barrier
	buffer_gl0_inv
	s_clause 0x6
	scratch_load_b128 v[2:5], off, off offset:368
	scratch_load_b128 v[6:9], off, off offset:384
	;; [unrolled: 1-line block ×7, first 2 shown]
	v_mov_b32_e32 v1, 0
	scratch_load_b128 v[34:37], off, off offset:352
	s_mov_b32 s2, exec_lo
	ds_load_b128 v[30:33], v1 offset:848
	ds_load_b128 v[38:41], v1 offset:864
	s_waitcnt vmcnt(7) lgkmcnt(1)
	v_mul_f64 v[133:134], v[32:33], v[4:5]
	v_mul_f64 v[4:5], v[30:31], v[4:5]
	s_waitcnt vmcnt(6) lgkmcnt(0)
	v_mul_f64 v[135:136], v[38:39], v[8:9]
	v_mul_f64 v[8:9], v[40:41], v[8:9]
	s_delay_alu instid0(VALU_DEP_4) | instskip(NEXT) | instid1(VALU_DEP_4)
	v_fma_f64 v[133:134], v[30:31], v[2:3], -v[133:134]
	v_fma_f64 v[137:138], v[32:33], v[2:3], v[4:5]
	ds_load_b128 v[2:5], v1 offset:880
	ds_load_b128 v[30:33], v1 offset:896
	v_fma_f64 v[40:41], v[40:41], v[6:7], v[135:136]
	v_fma_f64 v[6:7], v[38:39], v[6:7], -v[8:9]
	s_waitcnt vmcnt(5) lgkmcnt(1)
	v_mul_f64 v[139:140], v[2:3], v[12:13]
	v_mul_f64 v[12:13], v[4:5], v[12:13]
	v_add_f64 v[8:9], v[133:134], 0
	v_add_f64 v[38:39], v[137:138], 0
	s_waitcnt vmcnt(4) lgkmcnt(0)
	v_mul_f64 v[133:134], v[30:31], v[16:17]
	v_mul_f64 v[16:17], v[32:33], v[16:17]
	v_fma_f64 v[135:136], v[4:5], v[10:11], v[139:140]
	v_fma_f64 v[10:11], v[2:3], v[10:11], -v[12:13]
	v_add_f64 v[12:13], v[8:9], v[6:7]
	v_add_f64 v[38:39], v[38:39], v[40:41]
	ds_load_b128 v[2:5], v1 offset:912
	ds_load_b128 v[6:9], v1 offset:928
	v_fma_f64 v[32:33], v[32:33], v[14:15], v[133:134]
	v_fma_f64 v[14:15], v[30:31], v[14:15], -v[16:17]
	s_waitcnt vmcnt(3) lgkmcnt(1)
	v_mul_f64 v[40:41], v[2:3], v[20:21]
	v_mul_f64 v[20:21], v[4:5], v[20:21]
	s_waitcnt vmcnt(2) lgkmcnt(0)
	v_mul_f64 v[16:17], v[6:7], v[24:25]
	v_mul_f64 v[24:25], v[8:9], v[24:25]
	v_add_f64 v[10:11], v[12:13], v[10:11]
	v_add_f64 v[12:13], v[38:39], v[135:136]
	v_fma_f64 v[30:31], v[4:5], v[18:19], v[40:41]
	v_fma_f64 v[18:19], v[2:3], v[18:19], -v[20:21]
	ds_load_b128 v[2:5], v1 offset:944
	v_fma_f64 v[8:9], v[8:9], v[22:23], v[16:17]
	v_fma_f64 v[6:7], v[6:7], v[22:23], -v[24:25]
	v_add_f64 v[10:11], v[10:11], v[14:15]
	v_add_f64 v[12:13], v[12:13], v[32:33]
	s_waitcnt vmcnt(1) lgkmcnt(0)
	v_mul_f64 v[14:15], v[2:3], v[28:29]
	v_mul_f64 v[20:21], v[4:5], v[28:29]
	s_delay_alu instid0(VALU_DEP_4) | instskip(NEXT) | instid1(VALU_DEP_4)
	v_add_f64 v[10:11], v[10:11], v[18:19]
	v_add_f64 v[12:13], v[12:13], v[30:31]
	s_delay_alu instid0(VALU_DEP_4) | instskip(NEXT) | instid1(VALU_DEP_4)
	v_fma_f64 v[4:5], v[4:5], v[26:27], v[14:15]
	v_fma_f64 v[2:3], v[2:3], v[26:27], -v[20:21]
	s_delay_alu instid0(VALU_DEP_4) | instskip(NEXT) | instid1(VALU_DEP_4)
	v_add_f64 v[6:7], v[10:11], v[6:7]
	v_add_f64 v[8:9], v[12:13], v[8:9]
	s_delay_alu instid0(VALU_DEP_2) | instskip(NEXT) | instid1(VALU_DEP_2)
	v_add_f64 v[2:3], v[6:7], v[2:3]
	v_add_f64 v[4:5], v[8:9], v[4:5]
	s_waitcnt vmcnt(0)
	s_delay_alu instid0(VALU_DEP_2) | instskip(NEXT) | instid1(VALU_DEP_2)
	v_add_f64 v[2:3], v[34:35], -v[2:3]
	v_add_f64 v[4:5], v[36:37], -v[4:5]
	scratch_store_b128 off, v[2:5], off offset:352
	v_cmpx_lt_u32_e32 21, v102
	s_cbranch_execz .LBB93_151
; %bb.150:
	scratch_load_b128 v[5:8], v108, off
	v_mov_b32_e32 v2, v1
	v_mov_b32_e32 v3, v1
	;; [unrolled: 1-line block ×3, first 2 shown]
	scratch_store_b128 off, v[1:4], off offset:336
	s_waitcnt vmcnt(0)
	ds_store_b128 v132, v[5:8]
.LBB93_151:
	s_or_b32 exec_lo, exec_lo, s2
	s_waitcnt lgkmcnt(0)
	s_waitcnt_vscnt null, 0x0
	s_barrier
	buffer_gl0_inv
	s_clause 0x7
	scratch_load_b128 v[2:5], off, off offset:352
	scratch_load_b128 v[6:9], off, off offset:368
	;; [unrolled: 1-line block ×8, first 2 shown]
	ds_load_b128 v[34:37], v1 offset:832
	ds_load_b128 v[38:41], v1 offset:848
	s_mov_b32 s2, exec_lo
	s_waitcnt vmcnt(7) lgkmcnt(1)
	v_mul_f64 v[133:134], v[36:37], v[4:5]
	v_mul_f64 v[4:5], v[34:35], v[4:5]
	s_waitcnt vmcnt(6) lgkmcnt(0)
	v_mul_f64 v[135:136], v[38:39], v[8:9]
	v_mul_f64 v[8:9], v[40:41], v[8:9]
	s_delay_alu instid0(VALU_DEP_4) | instskip(NEXT) | instid1(VALU_DEP_4)
	v_fma_f64 v[133:134], v[34:35], v[2:3], -v[133:134]
	v_fma_f64 v[137:138], v[36:37], v[2:3], v[4:5]
	ds_load_b128 v[2:5], v1 offset:864
	scratch_load_b128 v[34:37], off, off offset:336
	v_fma_f64 v[40:41], v[40:41], v[6:7], v[135:136]
	v_fma_f64 v[38:39], v[38:39], v[6:7], -v[8:9]
	ds_load_b128 v[6:9], v1 offset:880
	s_waitcnt vmcnt(6) lgkmcnt(1)
	v_mul_f64 v[139:140], v[2:3], v[12:13]
	v_mul_f64 v[12:13], v[4:5], v[12:13]
	v_add_f64 v[133:134], v[133:134], 0
	v_add_f64 v[135:136], v[137:138], 0
	s_waitcnt vmcnt(5) lgkmcnt(0)
	v_mul_f64 v[137:138], v[6:7], v[16:17]
	v_mul_f64 v[16:17], v[8:9], v[16:17]
	v_fma_f64 v[139:140], v[4:5], v[10:11], v[139:140]
	v_fma_f64 v[10:11], v[2:3], v[10:11], -v[12:13]
	ds_load_b128 v[2:5], v1 offset:896
	v_add_f64 v[12:13], v[133:134], v[38:39]
	v_add_f64 v[38:39], v[135:136], v[40:41]
	v_fma_f64 v[133:134], v[8:9], v[14:15], v[137:138]
	v_fma_f64 v[14:15], v[6:7], v[14:15], -v[16:17]
	ds_load_b128 v[6:9], v1 offset:912
	s_waitcnt vmcnt(4) lgkmcnt(1)
	v_mul_f64 v[40:41], v[2:3], v[20:21]
	v_mul_f64 v[20:21], v[4:5], v[20:21]
	s_waitcnt vmcnt(3) lgkmcnt(0)
	v_mul_f64 v[16:17], v[6:7], v[24:25]
	v_mul_f64 v[24:25], v[8:9], v[24:25]
	v_add_f64 v[10:11], v[12:13], v[10:11]
	v_add_f64 v[12:13], v[38:39], v[139:140]
	v_fma_f64 v[38:39], v[4:5], v[18:19], v[40:41]
	v_fma_f64 v[18:19], v[2:3], v[18:19], -v[20:21]
	ds_load_b128 v[2:5], v1 offset:928
	v_fma_f64 v[16:17], v[8:9], v[22:23], v[16:17]
	v_fma_f64 v[22:23], v[6:7], v[22:23], -v[24:25]
	ds_load_b128 v[6:9], v1 offset:944
	s_waitcnt vmcnt(2) lgkmcnt(1)
	v_mul_f64 v[20:21], v[4:5], v[28:29]
	v_add_f64 v[10:11], v[10:11], v[14:15]
	v_add_f64 v[12:13], v[12:13], v[133:134]
	v_mul_f64 v[14:15], v[2:3], v[28:29]
	s_waitcnt vmcnt(1) lgkmcnt(0)
	v_mul_f64 v[24:25], v[8:9], v[32:33]
	v_fma_f64 v[1:2], v[2:3], v[26:27], -v[20:21]
	v_add_f64 v[10:11], v[10:11], v[18:19]
	v_add_f64 v[12:13], v[12:13], v[38:39]
	v_mul_f64 v[18:19], v[6:7], v[32:33]
	v_fma_f64 v[4:5], v[4:5], v[26:27], v[14:15]
	v_fma_f64 v[6:7], v[6:7], v[30:31], -v[24:25]
	v_add_f64 v[10:11], v[10:11], v[22:23]
	v_add_f64 v[12:13], v[12:13], v[16:17]
	v_fma_f64 v[8:9], v[8:9], v[30:31], v[18:19]
	s_delay_alu instid0(VALU_DEP_3) | instskip(NEXT) | instid1(VALU_DEP_3)
	v_add_f64 v[1:2], v[10:11], v[1:2]
	v_add_f64 v[3:4], v[12:13], v[4:5]
	s_delay_alu instid0(VALU_DEP_2) | instskip(NEXT) | instid1(VALU_DEP_2)
	v_add_f64 v[1:2], v[1:2], v[6:7]
	v_add_f64 v[3:4], v[3:4], v[8:9]
	s_waitcnt vmcnt(0)
	s_delay_alu instid0(VALU_DEP_2) | instskip(NEXT) | instid1(VALU_DEP_2)
	v_add_f64 v[1:2], v[34:35], -v[1:2]
	v_add_f64 v[3:4], v[36:37], -v[3:4]
	scratch_store_b128 off, v[1:4], off offset:336
	v_cmpx_lt_u32_e32 20, v102
	s_cbranch_execz .LBB93_153
; %bb.152:
	scratch_load_b128 v[1:4], v109, off
	v_mov_b32_e32 v5, 0
	s_delay_alu instid0(VALU_DEP_1)
	v_mov_b32_e32 v6, v5
	v_mov_b32_e32 v7, v5
	;; [unrolled: 1-line block ×3, first 2 shown]
	scratch_store_b128 off, v[5:8], off offset:320
	s_waitcnt vmcnt(0)
	ds_store_b128 v132, v[1:4]
.LBB93_153:
	s_or_b32 exec_lo, exec_lo, s2
	s_waitcnt lgkmcnt(0)
	s_waitcnt_vscnt null, 0x0
	s_barrier
	buffer_gl0_inv
	s_clause 0x7
	scratch_load_b128 v[2:5], off, off offset:336
	scratch_load_b128 v[6:9], off, off offset:352
	;; [unrolled: 1-line block ×8, first 2 shown]
	v_mov_b32_e32 v1, 0
	scratch_load_b128 v[38:41], off, off offset:464
	s_mov_b32 s2, exec_lo
	ds_load_b128 v[34:37], v1 offset:816
	ds_load_b128 v[133:136], v1 offset:832
	s_waitcnt vmcnt(8) lgkmcnt(1)
	v_mul_f64 v[137:138], v[36:37], v[4:5]
	v_mul_f64 v[4:5], v[34:35], v[4:5]
	s_waitcnt vmcnt(7) lgkmcnt(0)
	v_mul_f64 v[139:140], v[133:134], v[8:9]
	v_mul_f64 v[8:9], v[135:136], v[8:9]
	s_delay_alu instid0(VALU_DEP_4) | instskip(NEXT) | instid1(VALU_DEP_4)
	v_fma_f64 v[34:35], v[34:35], v[2:3], -v[137:138]
	v_fma_f64 v[36:37], v[36:37], v[2:3], v[4:5]
	ds_load_b128 v[2:5], v1 offset:848
	v_fma_f64 v[135:136], v[135:136], v[6:7], v[139:140]
	v_fma_f64 v[133:134], v[133:134], v[6:7], -v[8:9]
	ds_load_b128 v[6:9], v1 offset:864
	s_waitcnt vmcnt(6) lgkmcnt(1)
	v_mul_f64 v[137:138], v[2:3], v[12:13]
	v_mul_f64 v[12:13], v[4:5], v[12:13]
	s_waitcnt vmcnt(5) lgkmcnt(0)
	v_mul_f64 v[143:144], v[6:7], v[16:17]
	v_mul_f64 v[16:17], v[8:9], v[16:17]
	v_add_f64 v[139:140], v[34:35], 0
	v_add_f64 v[141:142], v[36:37], 0
	scratch_load_b128 v[34:37], off, off offset:320
	v_fma_f64 v[137:138], v[4:5], v[10:11], v[137:138]
	v_fma_f64 v[10:11], v[2:3], v[10:11], -v[12:13]
	ds_load_b128 v[2:5], v1 offset:880
	v_add_f64 v[12:13], v[139:140], v[133:134]
	v_add_f64 v[133:134], v[141:142], v[135:136]
	v_fma_f64 v[139:140], v[8:9], v[14:15], v[143:144]
	v_fma_f64 v[14:15], v[6:7], v[14:15], -v[16:17]
	ds_load_b128 v[6:9], v1 offset:896
	s_waitcnt vmcnt(5) lgkmcnt(1)
	v_mul_f64 v[135:136], v[2:3], v[20:21]
	v_mul_f64 v[20:21], v[4:5], v[20:21]
	s_waitcnt vmcnt(4) lgkmcnt(0)
	v_mul_f64 v[16:17], v[6:7], v[24:25]
	v_mul_f64 v[24:25], v[8:9], v[24:25]
	v_add_f64 v[10:11], v[12:13], v[10:11]
	v_add_f64 v[12:13], v[133:134], v[137:138]
	v_fma_f64 v[133:134], v[4:5], v[18:19], v[135:136]
	v_fma_f64 v[18:19], v[2:3], v[18:19], -v[20:21]
	ds_load_b128 v[2:5], v1 offset:912
	v_fma_f64 v[16:17], v[8:9], v[22:23], v[16:17]
	v_fma_f64 v[22:23], v[6:7], v[22:23], -v[24:25]
	ds_load_b128 v[6:9], v1 offset:928
	s_waitcnt vmcnt(3) lgkmcnt(1)
	v_mul_f64 v[20:21], v[4:5], v[28:29]
	v_add_f64 v[10:11], v[10:11], v[14:15]
	v_add_f64 v[12:13], v[12:13], v[139:140]
	v_mul_f64 v[14:15], v[2:3], v[28:29]
	s_waitcnt vmcnt(2) lgkmcnt(0)
	v_mul_f64 v[24:25], v[8:9], v[32:33]
	v_fma_f64 v[20:21], v[2:3], v[26:27], -v[20:21]
	v_add_f64 v[10:11], v[10:11], v[18:19]
	v_add_f64 v[12:13], v[12:13], v[133:134]
	v_mul_f64 v[18:19], v[6:7], v[32:33]
	v_fma_f64 v[14:15], v[4:5], v[26:27], v[14:15]
	ds_load_b128 v[2:5], v1 offset:944
	v_fma_f64 v[6:7], v[6:7], v[30:31], -v[24:25]
	v_add_f64 v[10:11], v[10:11], v[22:23]
	v_add_f64 v[12:13], v[12:13], v[16:17]
	s_waitcnt vmcnt(1) lgkmcnt(0)
	v_mul_f64 v[16:17], v[2:3], v[40:41]
	v_mul_f64 v[22:23], v[4:5], v[40:41]
	v_fma_f64 v[8:9], v[8:9], v[30:31], v[18:19]
	v_add_f64 v[10:11], v[10:11], v[20:21]
	v_add_f64 v[12:13], v[12:13], v[14:15]
	v_fma_f64 v[4:5], v[4:5], v[38:39], v[16:17]
	v_fma_f64 v[2:3], v[2:3], v[38:39], -v[22:23]
	s_delay_alu instid0(VALU_DEP_4) | instskip(NEXT) | instid1(VALU_DEP_4)
	v_add_f64 v[6:7], v[10:11], v[6:7]
	v_add_f64 v[8:9], v[12:13], v[8:9]
	s_delay_alu instid0(VALU_DEP_2) | instskip(NEXT) | instid1(VALU_DEP_2)
	v_add_f64 v[2:3], v[6:7], v[2:3]
	v_add_f64 v[4:5], v[8:9], v[4:5]
	s_waitcnt vmcnt(0)
	s_delay_alu instid0(VALU_DEP_2) | instskip(NEXT) | instid1(VALU_DEP_2)
	v_add_f64 v[2:3], v[34:35], -v[2:3]
	v_add_f64 v[4:5], v[36:37], -v[4:5]
	scratch_store_b128 off, v[2:5], off offset:320
	v_cmpx_lt_u32_e32 19, v102
	s_cbranch_execz .LBB93_155
; %bb.154:
	scratch_load_b128 v[5:8], v111, off
	v_mov_b32_e32 v2, v1
	v_mov_b32_e32 v3, v1
	;; [unrolled: 1-line block ×3, first 2 shown]
	scratch_store_b128 off, v[1:4], off offset:304
	s_waitcnt vmcnt(0)
	ds_store_b128 v132, v[5:8]
.LBB93_155:
	s_or_b32 exec_lo, exec_lo, s2
	s_waitcnt lgkmcnt(0)
	s_waitcnt_vscnt null, 0x0
	s_barrier
	buffer_gl0_inv
	s_clause 0x8
	scratch_load_b128 v[2:5], off, off offset:320
	scratch_load_b128 v[6:9], off, off offset:336
	;; [unrolled: 1-line block ×9, first 2 shown]
	ds_load_b128 v[38:41], v1 offset:800
	ds_load_b128 v[133:136], v1 offset:816
	s_clause 0x1
	scratch_load_b128 v[137:140], off, off offset:304
	scratch_load_b128 v[141:144], off, off offset:464
	s_mov_b32 s2, exec_lo
	s_waitcnt vmcnt(10) lgkmcnt(1)
	v_mul_f64 v[145:146], v[40:41], v[4:5]
	v_mul_f64 v[4:5], v[38:39], v[4:5]
	s_waitcnt vmcnt(9) lgkmcnt(0)
	v_mul_f64 v[147:148], v[133:134], v[8:9]
	v_mul_f64 v[8:9], v[135:136], v[8:9]
	s_delay_alu instid0(VALU_DEP_4) | instskip(NEXT) | instid1(VALU_DEP_4)
	v_fma_f64 v[145:146], v[38:39], v[2:3], -v[145:146]
	v_fma_f64 v[149:150], v[40:41], v[2:3], v[4:5]
	ds_load_b128 v[2:5], v1 offset:832
	ds_load_b128 v[38:41], v1 offset:848
	v_fma_f64 v[135:136], v[135:136], v[6:7], v[147:148]
	v_fma_f64 v[6:7], v[133:134], v[6:7], -v[8:9]
	s_waitcnt vmcnt(8) lgkmcnt(1)
	v_mul_f64 v[151:152], v[2:3], v[12:13]
	v_mul_f64 v[12:13], v[4:5], v[12:13]
	v_add_f64 v[8:9], v[145:146], 0
	v_add_f64 v[133:134], v[149:150], 0
	s_waitcnt vmcnt(7) lgkmcnt(0)
	v_mul_f64 v[145:146], v[38:39], v[16:17]
	v_mul_f64 v[16:17], v[40:41], v[16:17]
	v_fma_f64 v[147:148], v[4:5], v[10:11], v[151:152]
	v_fma_f64 v[10:11], v[2:3], v[10:11], -v[12:13]
	v_add_f64 v[12:13], v[8:9], v[6:7]
	v_add_f64 v[133:134], v[133:134], v[135:136]
	ds_load_b128 v[2:5], v1 offset:864
	ds_load_b128 v[6:9], v1 offset:880
	v_fma_f64 v[40:41], v[40:41], v[14:15], v[145:146]
	v_fma_f64 v[14:15], v[38:39], v[14:15], -v[16:17]
	s_waitcnt vmcnt(6) lgkmcnt(1)
	v_mul_f64 v[135:136], v[2:3], v[20:21]
	v_mul_f64 v[20:21], v[4:5], v[20:21]
	s_waitcnt vmcnt(5) lgkmcnt(0)
	v_mul_f64 v[16:17], v[6:7], v[24:25]
	v_mul_f64 v[24:25], v[8:9], v[24:25]
	v_add_f64 v[10:11], v[12:13], v[10:11]
	v_add_f64 v[12:13], v[133:134], v[147:148]
	v_fma_f64 v[38:39], v[4:5], v[18:19], v[135:136]
	v_fma_f64 v[18:19], v[2:3], v[18:19], -v[20:21]
	v_fma_f64 v[8:9], v[8:9], v[22:23], v[16:17]
	v_fma_f64 v[6:7], v[6:7], v[22:23], -v[24:25]
	v_add_f64 v[14:15], v[10:11], v[14:15]
	v_add_f64 v[20:21], v[12:13], v[40:41]
	ds_load_b128 v[2:5], v1 offset:896
	ds_load_b128 v[10:13], v1 offset:912
	s_waitcnt vmcnt(4) lgkmcnt(1)
	v_mul_f64 v[40:41], v[2:3], v[28:29]
	v_mul_f64 v[28:29], v[4:5], v[28:29]
	v_add_f64 v[14:15], v[14:15], v[18:19]
	v_add_f64 v[16:17], v[20:21], v[38:39]
	s_waitcnt vmcnt(3) lgkmcnt(0)
	v_mul_f64 v[18:19], v[10:11], v[32:33]
	v_mul_f64 v[20:21], v[12:13], v[32:33]
	v_fma_f64 v[22:23], v[4:5], v[26:27], v[40:41]
	v_fma_f64 v[24:25], v[2:3], v[26:27], -v[28:29]
	v_add_f64 v[14:15], v[14:15], v[6:7]
	v_add_f64 v[16:17], v[16:17], v[8:9]
	ds_load_b128 v[2:5], v1 offset:928
	ds_load_b128 v[6:9], v1 offset:944
	v_fma_f64 v[12:13], v[12:13], v[30:31], v[18:19]
	v_fma_f64 v[10:11], v[10:11], v[30:31], -v[20:21]
	s_waitcnt vmcnt(2) lgkmcnt(1)
	v_mul_f64 v[26:27], v[2:3], v[36:37]
	v_mul_f64 v[28:29], v[4:5], v[36:37]
	s_waitcnt vmcnt(0) lgkmcnt(0)
	v_mul_f64 v[18:19], v[6:7], v[143:144]
	v_mul_f64 v[20:21], v[8:9], v[143:144]
	v_add_f64 v[14:15], v[14:15], v[24:25]
	v_add_f64 v[16:17], v[16:17], v[22:23]
	v_fma_f64 v[4:5], v[4:5], v[34:35], v[26:27]
	v_fma_f64 v[1:2], v[2:3], v[34:35], -v[28:29]
	v_fma_f64 v[8:9], v[8:9], v[141:142], v[18:19]
	v_fma_f64 v[6:7], v[6:7], v[141:142], -v[20:21]
	v_add_f64 v[10:11], v[14:15], v[10:11]
	v_add_f64 v[12:13], v[16:17], v[12:13]
	s_delay_alu instid0(VALU_DEP_2) | instskip(NEXT) | instid1(VALU_DEP_2)
	v_add_f64 v[1:2], v[10:11], v[1:2]
	v_add_f64 v[3:4], v[12:13], v[4:5]
	s_delay_alu instid0(VALU_DEP_2) | instskip(NEXT) | instid1(VALU_DEP_2)
	;; [unrolled: 3-line block ×3, first 2 shown]
	v_add_f64 v[1:2], v[137:138], -v[1:2]
	v_add_f64 v[3:4], v[139:140], -v[3:4]
	scratch_store_b128 off, v[1:4], off offset:304
	v_cmpx_lt_u32_e32 18, v102
	s_cbranch_execz .LBB93_157
; %bb.156:
	scratch_load_b128 v[1:4], v110, off
	v_mov_b32_e32 v5, 0
	s_delay_alu instid0(VALU_DEP_1)
	v_mov_b32_e32 v6, v5
	v_mov_b32_e32 v7, v5
	;; [unrolled: 1-line block ×3, first 2 shown]
	scratch_store_b128 off, v[5:8], off offset:288
	s_waitcnt vmcnt(0)
	ds_store_b128 v132, v[1:4]
.LBB93_157:
	s_or_b32 exec_lo, exec_lo, s2
	s_waitcnt lgkmcnt(0)
	s_waitcnt_vscnt null, 0x0
	s_barrier
	buffer_gl0_inv
	s_clause 0x7
	scratch_load_b128 v[2:5], off, off offset:304
	scratch_load_b128 v[6:9], off, off offset:320
	;; [unrolled: 1-line block ×8, first 2 shown]
	v_mov_b32_e32 v1, 0
	s_mov_b32 s2, exec_lo
	ds_load_b128 v[34:37], v1 offset:784
	s_clause 0x1
	scratch_load_b128 v[38:41], off, off offset:432
	scratch_load_b128 v[133:136], off, off offset:288
	ds_load_b128 v[137:140], v1 offset:800
	scratch_load_b128 v[141:144], off, off offset:448
	s_waitcnt vmcnt(10) lgkmcnt(1)
	v_mul_f64 v[145:146], v[36:37], v[4:5]
	v_mul_f64 v[4:5], v[34:35], v[4:5]
	s_delay_alu instid0(VALU_DEP_2) | instskip(NEXT) | instid1(VALU_DEP_2)
	v_fma_f64 v[151:152], v[34:35], v[2:3], -v[145:146]
	v_fma_f64 v[153:154], v[36:37], v[2:3], v[4:5]
	scratch_load_b128 v[34:37], off, off offset:464
	ds_load_b128 v[2:5], v1 offset:816
	s_waitcnt vmcnt(10) lgkmcnt(1)
	v_mul_f64 v[149:150], v[137:138], v[8:9]
	v_mul_f64 v[8:9], v[139:140], v[8:9]
	ds_load_b128 v[145:148], v1 offset:832
	s_waitcnt vmcnt(9) lgkmcnt(1)
	v_mul_f64 v[155:156], v[2:3], v[12:13]
	v_mul_f64 v[12:13], v[4:5], v[12:13]
	v_fma_f64 v[139:140], v[139:140], v[6:7], v[149:150]
	v_fma_f64 v[6:7], v[137:138], v[6:7], -v[8:9]
	v_add_f64 v[8:9], v[151:152], 0
	v_add_f64 v[137:138], v[153:154], 0
	s_waitcnt vmcnt(8) lgkmcnt(0)
	v_mul_f64 v[149:150], v[145:146], v[16:17]
	v_mul_f64 v[16:17], v[147:148], v[16:17]
	v_fma_f64 v[151:152], v[4:5], v[10:11], v[155:156]
	v_fma_f64 v[10:11], v[2:3], v[10:11], -v[12:13]
	v_add_f64 v[12:13], v[8:9], v[6:7]
	v_add_f64 v[137:138], v[137:138], v[139:140]
	ds_load_b128 v[2:5], v1 offset:848
	ds_load_b128 v[6:9], v1 offset:864
	v_fma_f64 v[147:148], v[147:148], v[14:15], v[149:150]
	v_fma_f64 v[14:15], v[145:146], v[14:15], -v[16:17]
	s_waitcnt vmcnt(7) lgkmcnt(1)
	v_mul_f64 v[139:140], v[2:3], v[20:21]
	v_mul_f64 v[20:21], v[4:5], v[20:21]
	s_waitcnt vmcnt(6) lgkmcnt(0)
	v_mul_f64 v[16:17], v[6:7], v[24:25]
	v_mul_f64 v[24:25], v[8:9], v[24:25]
	v_add_f64 v[10:11], v[12:13], v[10:11]
	v_add_f64 v[12:13], v[137:138], v[151:152]
	v_fma_f64 v[137:138], v[4:5], v[18:19], v[139:140]
	v_fma_f64 v[18:19], v[2:3], v[18:19], -v[20:21]
	v_fma_f64 v[8:9], v[8:9], v[22:23], v[16:17]
	v_fma_f64 v[6:7], v[6:7], v[22:23], -v[24:25]
	v_add_f64 v[14:15], v[10:11], v[14:15]
	v_add_f64 v[20:21], v[12:13], v[147:148]
	ds_load_b128 v[2:5], v1 offset:880
	ds_load_b128 v[10:13], v1 offset:896
	s_waitcnt vmcnt(5) lgkmcnt(1)
	v_mul_f64 v[139:140], v[2:3], v[28:29]
	v_mul_f64 v[28:29], v[4:5], v[28:29]
	v_add_f64 v[14:15], v[14:15], v[18:19]
	v_add_f64 v[16:17], v[20:21], v[137:138]
	s_waitcnt vmcnt(4) lgkmcnt(0)
	v_mul_f64 v[18:19], v[10:11], v[32:33]
	v_mul_f64 v[20:21], v[12:13], v[32:33]
	v_fma_f64 v[22:23], v[4:5], v[26:27], v[139:140]
	v_fma_f64 v[24:25], v[2:3], v[26:27], -v[28:29]
	v_add_f64 v[14:15], v[14:15], v[6:7]
	v_add_f64 v[16:17], v[16:17], v[8:9]
	ds_load_b128 v[2:5], v1 offset:912
	ds_load_b128 v[6:9], v1 offset:928
	v_fma_f64 v[12:13], v[12:13], v[30:31], v[18:19]
	v_fma_f64 v[10:11], v[10:11], v[30:31], -v[20:21]
	s_waitcnt vmcnt(3) lgkmcnt(1)
	v_mul_f64 v[26:27], v[2:3], v[40:41]
	v_mul_f64 v[28:29], v[4:5], v[40:41]
	s_waitcnt vmcnt(1) lgkmcnt(0)
	v_mul_f64 v[18:19], v[6:7], v[143:144]
	v_mul_f64 v[20:21], v[8:9], v[143:144]
	v_add_f64 v[14:15], v[14:15], v[24:25]
	v_add_f64 v[16:17], v[16:17], v[22:23]
	v_fma_f64 v[22:23], v[4:5], v[38:39], v[26:27]
	v_fma_f64 v[24:25], v[2:3], v[38:39], -v[28:29]
	ds_load_b128 v[2:5], v1 offset:944
	v_fma_f64 v[8:9], v[8:9], v[141:142], v[18:19]
	v_fma_f64 v[6:7], v[6:7], v[141:142], -v[20:21]
	v_add_f64 v[10:11], v[14:15], v[10:11]
	v_add_f64 v[12:13], v[16:17], v[12:13]
	s_waitcnt vmcnt(0) lgkmcnt(0)
	v_mul_f64 v[14:15], v[2:3], v[36:37]
	v_mul_f64 v[16:17], v[4:5], v[36:37]
	s_delay_alu instid0(VALU_DEP_4) | instskip(NEXT) | instid1(VALU_DEP_4)
	v_add_f64 v[10:11], v[10:11], v[24:25]
	v_add_f64 v[12:13], v[12:13], v[22:23]
	s_delay_alu instid0(VALU_DEP_4) | instskip(NEXT) | instid1(VALU_DEP_4)
	v_fma_f64 v[4:5], v[4:5], v[34:35], v[14:15]
	v_fma_f64 v[2:3], v[2:3], v[34:35], -v[16:17]
	s_delay_alu instid0(VALU_DEP_4) | instskip(NEXT) | instid1(VALU_DEP_4)
	v_add_f64 v[6:7], v[10:11], v[6:7]
	v_add_f64 v[8:9], v[12:13], v[8:9]
	s_delay_alu instid0(VALU_DEP_2) | instskip(NEXT) | instid1(VALU_DEP_2)
	v_add_f64 v[2:3], v[6:7], v[2:3]
	v_add_f64 v[4:5], v[8:9], v[4:5]
	s_delay_alu instid0(VALU_DEP_2) | instskip(NEXT) | instid1(VALU_DEP_2)
	v_add_f64 v[2:3], v[133:134], -v[2:3]
	v_add_f64 v[4:5], v[135:136], -v[4:5]
	scratch_store_b128 off, v[2:5], off offset:288
	v_cmpx_lt_u32_e32 17, v102
	s_cbranch_execz .LBB93_159
; %bb.158:
	scratch_load_b128 v[5:8], v112, off
	v_mov_b32_e32 v2, v1
	v_mov_b32_e32 v3, v1
	;; [unrolled: 1-line block ×3, first 2 shown]
	scratch_store_b128 off, v[1:4], off offset:272
	s_waitcnt vmcnt(0)
	ds_store_b128 v132, v[5:8]
.LBB93_159:
	s_or_b32 exec_lo, exec_lo, s2
	s_waitcnt lgkmcnt(0)
	s_waitcnt_vscnt null, 0x0
	s_barrier
	buffer_gl0_inv
	s_clause 0x8
	scratch_load_b128 v[2:5], off, off offset:288
	scratch_load_b128 v[6:9], off, off offset:304
	;; [unrolled: 1-line block ×9, first 2 shown]
	ds_load_b128 v[38:41], v1 offset:768
	ds_load_b128 v[133:136], v1 offset:784
	s_clause 0x1
	scratch_load_b128 v[137:140], off, off offset:272
	scratch_load_b128 v[141:144], off, off offset:432
	s_mov_b32 s2, exec_lo
	s_waitcnt vmcnt(10) lgkmcnt(1)
	v_mul_f64 v[145:146], v[40:41], v[4:5]
	v_mul_f64 v[4:5], v[38:39], v[4:5]
	s_waitcnt vmcnt(9) lgkmcnt(0)
	v_mul_f64 v[149:150], v[133:134], v[8:9]
	v_mul_f64 v[8:9], v[135:136], v[8:9]
	s_delay_alu instid0(VALU_DEP_4) | instskip(NEXT) | instid1(VALU_DEP_4)
	v_fma_f64 v[151:152], v[38:39], v[2:3], -v[145:146]
	v_fma_f64 v[153:154], v[40:41], v[2:3], v[4:5]
	ds_load_b128 v[2:5], v1 offset:800
	ds_load_b128 v[145:148], v1 offset:816
	scratch_load_b128 v[38:41], off, off offset:448
	v_fma_f64 v[135:136], v[135:136], v[6:7], v[149:150]
	v_fma_f64 v[133:134], v[133:134], v[6:7], -v[8:9]
	scratch_load_b128 v[6:9], off, off offset:464
	s_waitcnt vmcnt(10) lgkmcnt(1)
	v_mul_f64 v[155:156], v[2:3], v[12:13]
	v_mul_f64 v[12:13], v[4:5], v[12:13]
	v_add_f64 v[149:150], v[151:152], 0
	v_add_f64 v[151:152], v[153:154], 0
	s_waitcnt vmcnt(9) lgkmcnt(0)
	v_mul_f64 v[153:154], v[145:146], v[16:17]
	v_mul_f64 v[16:17], v[147:148], v[16:17]
	v_fma_f64 v[155:156], v[4:5], v[10:11], v[155:156]
	v_fma_f64 v[157:158], v[2:3], v[10:11], -v[12:13]
	ds_load_b128 v[2:5], v1 offset:832
	ds_load_b128 v[10:13], v1 offset:848
	v_add_f64 v[133:134], v[149:150], v[133:134]
	v_add_f64 v[135:136], v[151:152], v[135:136]
	v_fma_f64 v[147:148], v[147:148], v[14:15], v[153:154]
	v_fma_f64 v[14:15], v[145:146], v[14:15], -v[16:17]
	s_waitcnt vmcnt(8) lgkmcnt(1)
	v_mul_f64 v[149:150], v[2:3], v[20:21]
	v_mul_f64 v[20:21], v[4:5], v[20:21]
	v_add_f64 v[16:17], v[133:134], v[157:158]
	v_add_f64 v[133:134], v[135:136], v[155:156]
	s_waitcnt vmcnt(7) lgkmcnt(0)
	v_mul_f64 v[135:136], v[10:11], v[24:25]
	v_mul_f64 v[24:25], v[12:13], v[24:25]
	v_fma_f64 v[145:146], v[4:5], v[18:19], v[149:150]
	v_fma_f64 v[18:19], v[2:3], v[18:19], -v[20:21]
	v_add_f64 v[20:21], v[16:17], v[14:15]
	v_add_f64 v[133:134], v[133:134], v[147:148]
	ds_load_b128 v[2:5], v1 offset:864
	ds_load_b128 v[14:17], v1 offset:880
	v_fma_f64 v[12:13], v[12:13], v[22:23], v[135:136]
	v_fma_f64 v[10:11], v[10:11], v[22:23], -v[24:25]
	s_waitcnt vmcnt(6) lgkmcnt(1)
	v_mul_f64 v[147:148], v[2:3], v[28:29]
	v_mul_f64 v[28:29], v[4:5], v[28:29]
	s_waitcnt vmcnt(5) lgkmcnt(0)
	v_mul_f64 v[22:23], v[14:15], v[32:33]
	v_mul_f64 v[24:25], v[16:17], v[32:33]
	v_add_f64 v[18:19], v[20:21], v[18:19]
	v_add_f64 v[20:21], v[133:134], v[145:146]
	v_fma_f64 v[32:33], v[4:5], v[26:27], v[147:148]
	v_fma_f64 v[26:27], v[2:3], v[26:27], -v[28:29]
	v_fma_f64 v[16:17], v[16:17], v[30:31], v[22:23]
	v_fma_f64 v[14:15], v[14:15], v[30:31], -v[24:25]
	v_add_f64 v[18:19], v[18:19], v[10:11]
	v_add_f64 v[20:21], v[20:21], v[12:13]
	ds_load_b128 v[2:5], v1 offset:896
	ds_load_b128 v[10:13], v1 offset:912
	s_waitcnt vmcnt(4) lgkmcnt(1)
	v_mul_f64 v[28:29], v[2:3], v[36:37]
	v_mul_f64 v[36:37], v[4:5], v[36:37]
	s_waitcnt vmcnt(2) lgkmcnt(0)
	v_mul_f64 v[22:23], v[10:11], v[143:144]
	v_mul_f64 v[24:25], v[12:13], v[143:144]
	v_add_f64 v[18:19], v[18:19], v[26:27]
	v_add_f64 v[20:21], v[20:21], v[32:33]
	v_fma_f64 v[26:27], v[4:5], v[34:35], v[28:29]
	v_fma_f64 v[28:29], v[2:3], v[34:35], -v[36:37]
	v_fma_f64 v[12:13], v[12:13], v[141:142], v[22:23]
	v_fma_f64 v[10:11], v[10:11], v[141:142], -v[24:25]
	v_add_f64 v[18:19], v[18:19], v[14:15]
	v_add_f64 v[20:21], v[20:21], v[16:17]
	ds_load_b128 v[2:5], v1 offset:928
	ds_load_b128 v[14:17], v1 offset:944
	s_waitcnt vmcnt(1) lgkmcnt(1)
	v_mul_f64 v[30:31], v[2:3], v[40:41]
	v_mul_f64 v[32:33], v[4:5], v[40:41]
	s_waitcnt vmcnt(0) lgkmcnt(0)
	v_mul_f64 v[22:23], v[14:15], v[8:9]
	v_mul_f64 v[8:9], v[16:17], v[8:9]
	v_add_f64 v[18:19], v[18:19], v[28:29]
	v_add_f64 v[20:21], v[20:21], v[26:27]
	v_fma_f64 v[4:5], v[4:5], v[38:39], v[30:31]
	v_fma_f64 v[1:2], v[2:3], v[38:39], -v[32:33]
	v_fma_f64 v[16:17], v[16:17], v[6:7], v[22:23]
	v_fma_f64 v[6:7], v[14:15], v[6:7], -v[8:9]
	v_add_f64 v[10:11], v[18:19], v[10:11]
	v_add_f64 v[12:13], v[20:21], v[12:13]
	s_delay_alu instid0(VALU_DEP_2) | instskip(NEXT) | instid1(VALU_DEP_2)
	v_add_f64 v[1:2], v[10:11], v[1:2]
	v_add_f64 v[3:4], v[12:13], v[4:5]
	s_delay_alu instid0(VALU_DEP_2) | instskip(NEXT) | instid1(VALU_DEP_2)
	;; [unrolled: 3-line block ×3, first 2 shown]
	v_add_f64 v[1:2], v[137:138], -v[1:2]
	v_add_f64 v[3:4], v[139:140], -v[3:4]
	scratch_store_b128 off, v[1:4], off offset:272
	v_cmpx_lt_u32_e32 16, v102
	s_cbranch_execz .LBB93_161
; %bb.160:
	scratch_load_b128 v[1:4], v113, off
	v_mov_b32_e32 v5, 0
	s_delay_alu instid0(VALU_DEP_1)
	v_mov_b32_e32 v6, v5
	v_mov_b32_e32 v7, v5
	;; [unrolled: 1-line block ×3, first 2 shown]
	scratch_store_b128 off, v[5:8], off offset:256
	s_waitcnt vmcnt(0)
	ds_store_b128 v132, v[1:4]
.LBB93_161:
	s_or_b32 exec_lo, exec_lo, s2
	s_waitcnt lgkmcnt(0)
	s_waitcnt_vscnt null, 0x0
	s_barrier
	buffer_gl0_inv
	s_clause 0x7
	scratch_load_b128 v[2:5], off, off offset:272
	scratch_load_b128 v[6:9], off, off offset:288
	;; [unrolled: 1-line block ×8, first 2 shown]
	v_mov_b32_e32 v1, 0
	s_mov_b32 s2, exec_lo
	ds_load_b128 v[34:37], v1 offset:752
	s_clause 0x1
	scratch_load_b128 v[38:41], off, off offset:400
	scratch_load_b128 v[133:136], off, off offset:256
	ds_load_b128 v[137:140], v1 offset:768
	scratch_load_b128 v[141:144], off, off offset:416
	s_waitcnt vmcnt(10) lgkmcnt(1)
	v_mul_f64 v[145:146], v[36:37], v[4:5]
	v_mul_f64 v[4:5], v[34:35], v[4:5]
	s_delay_alu instid0(VALU_DEP_2) | instskip(NEXT) | instid1(VALU_DEP_2)
	v_fma_f64 v[151:152], v[34:35], v[2:3], -v[145:146]
	v_fma_f64 v[153:154], v[36:37], v[2:3], v[4:5]
	scratch_load_b128 v[34:37], off, off offset:432
	ds_load_b128 v[2:5], v1 offset:784
	s_waitcnt vmcnt(10) lgkmcnt(1)
	v_mul_f64 v[149:150], v[137:138], v[8:9]
	v_mul_f64 v[8:9], v[139:140], v[8:9]
	ds_load_b128 v[145:148], v1 offset:800
	s_waitcnt vmcnt(9) lgkmcnt(1)
	v_mul_f64 v[155:156], v[2:3], v[12:13]
	v_mul_f64 v[12:13], v[4:5], v[12:13]
	v_fma_f64 v[139:140], v[139:140], v[6:7], v[149:150]
	v_fma_f64 v[137:138], v[137:138], v[6:7], -v[8:9]
	v_add_f64 v[149:150], v[151:152], 0
	v_add_f64 v[151:152], v[153:154], 0
	scratch_load_b128 v[6:9], off, off offset:448
	v_fma_f64 v[155:156], v[4:5], v[10:11], v[155:156]
	v_fma_f64 v[157:158], v[2:3], v[10:11], -v[12:13]
	scratch_load_b128 v[10:13], off, off offset:464
	ds_load_b128 v[2:5], v1 offset:816
	s_waitcnt vmcnt(10) lgkmcnt(1)
	v_mul_f64 v[153:154], v[145:146], v[16:17]
	v_mul_f64 v[16:17], v[147:148], v[16:17]
	v_add_f64 v[149:150], v[149:150], v[137:138]
	v_add_f64 v[151:152], v[151:152], v[139:140]
	s_waitcnt vmcnt(9) lgkmcnt(0)
	v_mul_f64 v[159:160], v[2:3], v[20:21]
	v_mul_f64 v[20:21], v[4:5], v[20:21]
	ds_load_b128 v[137:140], v1 offset:832
	v_fma_f64 v[147:148], v[147:148], v[14:15], v[153:154]
	v_fma_f64 v[14:15], v[145:146], v[14:15], -v[16:17]
	v_add_f64 v[16:17], v[149:150], v[157:158]
	v_add_f64 v[145:146], v[151:152], v[155:156]
	s_waitcnt vmcnt(8) lgkmcnt(0)
	v_mul_f64 v[149:150], v[137:138], v[24:25]
	v_mul_f64 v[24:25], v[139:140], v[24:25]
	v_fma_f64 v[151:152], v[4:5], v[18:19], v[159:160]
	v_fma_f64 v[18:19], v[2:3], v[18:19], -v[20:21]
	v_add_f64 v[20:21], v[16:17], v[14:15]
	v_add_f64 v[145:146], v[145:146], v[147:148]
	ds_load_b128 v[2:5], v1 offset:848
	ds_load_b128 v[14:17], v1 offset:864
	v_fma_f64 v[139:140], v[139:140], v[22:23], v[149:150]
	v_fma_f64 v[22:23], v[137:138], v[22:23], -v[24:25]
	s_waitcnt vmcnt(7) lgkmcnt(1)
	v_mul_f64 v[147:148], v[2:3], v[28:29]
	v_mul_f64 v[28:29], v[4:5], v[28:29]
	s_waitcnt vmcnt(6) lgkmcnt(0)
	v_mul_f64 v[24:25], v[14:15], v[32:33]
	v_mul_f64 v[32:33], v[16:17], v[32:33]
	v_add_f64 v[18:19], v[20:21], v[18:19]
	v_add_f64 v[20:21], v[145:146], v[151:152]
	v_fma_f64 v[137:138], v[4:5], v[26:27], v[147:148]
	v_fma_f64 v[26:27], v[2:3], v[26:27], -v[28:29]
	v_fma_f64 v[16:17], v[16:17], v[30:31], v[24:25]
	v_fma_f64 v[14:15], v[14:15], v[30:31], -v[32:33]
	v_add_f64 v[22:23], v[18:19], v[22:23]
	v_add_f64 v[28:29], v[20:21], v[139:140]
	ds_load_b128 v[2:5], v1 offset:880
	ds_load_b128 v[18:21], v1 offset:896
	s_waitcnt vmcnt(5) lgkmcnt(1)
	v_mul_f64 v[139:140], v[2:3], v[40:41]
	v_mul_f64 v[40:41], v[4:5], v[40:41]
	v_add_f64 v[22:23], v[22:23], v[26:27]
	v_add_f64 v[24:25], v[28:29], v[137:138]
	s_waitcnt vmcnt(3) lgkmcnt(0)
	v_mul_f64 v[26:27], v[18:19], v[143:144]
	v_mul_f64 v[28:29], v[20:21], v[143:144]
	v_fma_f64 v[30:31], v[4:5], v[38:39], v[139:140]
	v_fma_f64 v[32:33], v[2:3], v[38:39], -v[40:41]
	v_add_f64 v[22:23], v[22:23], v[14:15]
	v_add_f64 v[24:25], v[24:25], v[16:17]
	ds_load_b128 v[2:5], v1 offset:912
	ds_load_b128 v[14:17], v1 offset:928
	v_fma_f64 v[20:21], v[20:21], v[141:142], v[26:27]
	v_fma_f64 v[18:19], v[18:19], v[141:142], -v[28:29]
	s_waitcnt vmcnt(2) lgkmcnt(1)
	v_mul_f64 v[38:39], v[2:3], v[36:37]
	v_mul_f64 v[36:37], v[4:5], v[36:37]
	v_add_f64 v[22:23], v[22:23], v[32:33]
	v_add_f64 v[24:25], v[24:25], v[30:31]
	s_waitcnt vmcnt(1) lgkmcnt(0)
	v_mul_f64 v[26:27], v[14:15], v[8:9]
	v_mul_f64 v[8:9], v[16:17], v[8:9]
	v_fma_f64 v[28:29], v[4:5], v[34:35], v[38:39]
	v_fma_f64 v[30:31], v[2:3], v[34:35], -v[36:37]
	ds_load_b128 v[2:5], v1 offset:944
	v_add_f64 v[18:19], v[22:23], v[18:19]
	v_add_f64 v[20:21], v[24:25], v[20:21]
	s_waitcnt vmcnt(0) lgkmcnt(0)
	v_mul_f64 v[22:23], v[2:3], v[12:13]
	v_mul_f64 v[12:13], v[4:5], v[12:13]
	v_fma_f64 v[16:17], v[16:17], v[6:7], v[26:27]
	v_fma_f64 v[6:7], v[14:15], v[6:7], -v[8:9]
	v_add_f64 v[8:9], v[18:19], v[30:31]
	v_add_f64 v[14:15], v[20:21], v[28:29]
	v_fma_f64 v[4:5], v[4:5], v[10:11], v[22:23]
	v_fma_f64 v[2:3], v[2:3], v[10:11], -v[12:13]
	s_delay_alu instid0(VALU_DEP_4) | instskip(NEXT) | instid1(VALU_DEP_4)
	v_add_f64 v[6:7], v[8:9], v[6:7]
	v_add_f64 v[8:9], v[14:15], v[16:17]
	s_delay_alu instid0(VALU_DEP_2) | instskip(NEXT) | instid1(VALU_DEP_2)
	v_add_f64 v[2:3], v[6:7], v[2:3]
	v_add_f64 v[4:5], v[8:9], v[4:5]
	s_delay_alu instid0(VALU_DEP_2) | instskip(NEXT) | instid1(VALU_DEP_2)
	v_add_f64 v[2:3], v[133:134], -v[2:3]
	v_add_f64 v[4:5], v[135:136], -v[4:5]
	scratch_store_b128 off, v[2:5], off offset:256
	v_cmpx_lt_u32_e32 15, v102
	s_cbranch_execz .LBB93_163
; %bb.162:
	scratch_load_b128 v[5:8], v115, off
	v_mov_b32_e32 v2, v1
	v_mov_b32_e32 v3, v1
	;; [unrolled: 1-line block ×3, first 2 shown]
	scratch_store_b128 off, v[1:4], off offset:240
	s_waitcnt vmcnt(0)
	ds_store_b128 v132, v[5:8]
.LBB93_163:
	s_or_b32 exec_lo, exec_lo, s2
	s_waitcnt lgkmcnt(0)
	s_waitcnt_vscnt null, 0x0
	s_barrier
	buffer_gl0_inv
	s_clause 0x8
	scratch_load_b128 v[2:5], off, off offset:256
	scratch_load_b128 v[6:9], off, off offset:272
	;; [unrolled: 1-line block ×9, first 2 shown]
	ds_load_b128 v[38:41], v1 offset:736
	ds_load_b128 v[133:136], v1 offset:752
	s_clause 0x1
	scratch_load_b128 v[137:140], off, off offset:240
	scratch_load_b128 v[141:144], off, off offset:400
	s_mov_b32 s2, exec_lo
	s_waitcnt vmcnt(10) lgkmcnt(1)
	v_mul_f64 v[145:146], v[40:41], v[4:5]
	v_mul_f64 v[4:5], v[38:39], v[4:5]
	s_waitcnt vmcnt(9) lgkmcnt(0)
	v_mul_f64 v[149:150], v[133:134], v[8:9]
	v_mul_f64 v[8:9], v[135:136], v[8:9]
	s_delay_alu instid0(VALU_DEP_4) | instskip(NEXT) | instid1(VALU_DEP_4)
	v_fma_f64 v[151:152], v[38:39], v[2:3], -v[145:146]
	v_fma_f64 v[153:154], v[40:41], v[2:3], v[4:5]
	ds_load_b128 v[2:5], v1 offset:768
	ds_load_b128 v[145:148], v1 offset:784
	scratch_load_b128 v[38:41], off, off offset:416
	v_fma_f64 v[135:136], v[135:136], v[6:7], v[149:150]
	v_fma_f64 v[133:134], v[133:134], v[6:7], -v[8:9]
	scratch_load_b128 v[6:9], off, off offset:432
	s_waitcnt vmcnt(10) lgkmcnt(1)
	v_mul_f64 v[155:156], v[2:3], v[12:13]
	v_mul_f64 v[12:13], v[4:5], v[12:13]
	v_add_f64 v[149:150], v[151:152], 0
	v_add_f64 v[151:152], v[153:154], 0
	s_waitcnt vmcnt(9) lgkmcnt(0)
	v_mul_f64 v[153:154], v[145:146], v[16:17]
	v_mul_f64 v[16:17], v[147:148], v[16:17]
	v_fma_f64 v[155:156], v[4:5], v[10:11], v[155:156]
	v_fma_f64 v[157:158], v[2:3], v[10:11], -v[12:13]
	ds_load_b128 v[2:5], v1 offset:800
	scratch_load_b128 v[10:13], off, off offset:448
	v_add_f64 v[149:150], v[149:150], v[133:134]
	v_add_f64 v[151:152], v[151:152], v[135:136]
	ds_load_b128 v[133:136], v1 offset:816
	v_fma_f64 v[147:148], v[147:148], v[14:15], v[153:154]
	v_fma_f64 v[145:146], v[145:146], v[14:15], -v[16:17]
	scratch_load_b128 v[14:17], off, off offset:464
	s_waitcnt vmcnt(10) lgkmcnt(1)
	v_mul_f64 v[159:160], v[2:3], v[20:21]
	v_mul_f64 v[20:21], v[4:5], v[20:21]
	s_waitcnt vmcnt(9) lgkmcnt(0)
	v_mul_f64 v[153:154], v[133:134], v[24:25]
	v_mul_f64 v[24:25], v[135:136], v[24:25]
	v_add_f64 v[149:150], v[149:150], v[157:158]
	v_add_f64 v[151:152], v[151:152], v[155:156]
	v_fma_f64 v[155:156], v[4:5], v[18:19], v[159:160]
	v_fma_f64 v[157:158], v[2:3], v[18:19], -v[20:21]
	ds_load_b128 v[2:5], v1 offset:832
	ds_load_b128 v[18:21], v1 offset:848
	v_fma_f64 v[135:136], v[135:136], v[22:23], v[153:154]
	v_fma_f64 v[22:23], v[133:134], v[22:23], -v[24:25]
	v_add_f64 v[145:146], v[149:150], v[145:146]
	v_add_f64 v[147:148], v[151:152], v[147:148]
	s_waitcnt vmcnt(8) lgkmcnt(1)
	v_mul_f64 v[149:150], v[2:3], v[28:29]
	v_mul_f64 v[28:29], v[4:5], v[28:29]
	s_delay_alu instid0(VALU_DEP_4) | instskip(NEXT) | instid1(VALU_DEP_4)
	v_add_f64 v[24:25], v[145:146], v[157:158]
	v_add_f64 v[133:134], v[147:148], v[155:156]
	s_waitcnt vmcnt(7) lgkmcnt(0)
	v_mul_f64 v[145:146], v[18:19], v[32:33]
	v_mul_f64 v[32:33], v[20:21], v[32:33]
	v_fma_f64 v[147:148], v[4:5], v[26:27], v[149:150]
	v_fma_f64 v[26:27], v[2:3], v[26:27], -v[28:29]
	v_add_f64 v[28:29], v[24:25], v[22:23]
	v_add_f64 v[133:134], v[133:134], v[135:136]
	ds_load_b128 v[2:5], v1 offset:864
	ds_load_b128 v[22:25], v1 offset:880
	v_fma_f64 v[20:21], v[20:21], v[30:31], v[145:146]
	v_fma_f64 v[18:19], v[18:19], v[30:31], -v[32:33]
	s_waitcnt vmcnt(6) lgkmcnt(1)
	v_mul_f64 v[135:136], v[2:3], v[36:37]
	v_mul_f64 v[36:37], v[4:5], v[36:37]
	s_waitcnt vmcnt(4) lgkmcnt(0)
	v_mul_f64 v[30:31], v[22:23], v[143:144]
	v_mul_f64 v[32:33], v[24:25], v[143:144]
	v_add_f64 v[26:27], v[28:29], v[26:27]
	v_add_f64 v[28:29], v[133:134], v[147:148]
	v_fma_f64 v[133:134], v[4:5], v[34:35], v[135:136]
	v_fma_f64 v[34:35], v[2:3], v[34:35], -v[36:37]
	v_fma_f64 v[24:25], v[24:25], v[141:142], v[30:31]
	v_fma_f64 v[22:23], v[22:23], v[141:142], -v[32:33]
	v_add_f64 v[26:27], v[26:27], v[18:19]
	v_add_f64 v[28:29], v[28:29], v[20:21]
	ds_load_b128 v[2:5], v1 offset:896
	ds_load_b128 v[18:21], v1 offset:912
	s_waitcnt vmcnt(3) lgkmcnt(1)
	v_mul_f64 v[36:37], v[2:3], v[40:41]
	v_mul_f64 v[40:41], v[4:5], v[40:41]
	s_waitcnt vmcnt(2) lgkmcnt(0)
	v_mul_f64 v[30:31], v[18:19], v[8:9]
	v_mul_f64 v[8:9], v[20:21], v[8:9]
	v_add_f64 v[26:27], v[26:27], v[34:35]
	v_add_f64 v[28:29], v[28:29], v[133:134]
	v_fma_f64 v[32:33], v[4:5], v[38:39], v[36:37]
	v_fma_f64 v[34:35], v[2:3], v[38:39], -v[40:41]
	v_fma_f64 v[20:21], v[20:21], v[6:7], v[30:31]
	v_fma_f64 v[6:7], v[18:19], v[6:7], -v[8:9]
	v_add_f64 v[26:27], v[26:27], v[22:23]
	v_add_f64 v[28:29], v[28:29], v[24:25]
	ds_load_b128 v[2:5], v1 offset:928
	ds_load_b128 v[22:25], v1 offset:944
	s_waitcnt vmcnt(1) lgkmcnt(1)
	v_mul_f64 v[36:37], v[2:3], v[12:13]
	v_mul_f64 v[12:13], v[4:5], v[12:13]
	v_add_f64 v[8:9], v[26:27], v[34:35]
	v_add_f64 v[18:19], v[28:29], v[32:33]
	s_waitcnt vmcnt(0) lgkmcnt(0)
	v_mul_f64 v[26:27], v[22:23], v[16:17]
	v_mul_f64 v[16:17], v[24:25], v[16:17]
	v_fma_f64 v[4:5], v[4:5], v[10:11], v[36:37]
	v_fma_f64 v[1:2], v[2:3], v[10:11], -v[12:13]
	v_add_f64 v[6:7], v[8:9], v[6:7]
	v_add_f64 v[8:9], v[18:19], v[20:21]
	v_fma_f64 v[10:11], v[24:25], v[14:15], v[26:27]
	v_fma_f64 v[12:13], v[22:23], v[14:15], -v[16:17]
	s_delay_alu instid0(VALU_DEP_4) | instskip(NEXT) | instid1(VALU_DEP_4)
	v_add_f64 v[1:2], v[6:7], v[1:2]
	v_add_f64 v[3:4], v[8:9], v[4:5]
	s_delay_alu instid0(VALU_DEP_2) | instskip(NEXT) | instid1(VALU_DEP_2)
	v_add_f64 v[1:2], v[1:2], v[12:13]
	v_add_f64 v[3:4], v[3:4], v[10:11]
	s_delay_alu instid0(VALU_DEP_2) | instskip(NEXT) | instid1(VALU_DEP_2)
	v_add_f64 v[1:2], v[137:138], -v[1:2]
	v_add_f64 v[3:4], v[139:140], -v[3:4]
	scratch_store_b128 off, v[1:4], off offset:240
	v_cmpx_lt_u32_e32 14, v102
	s_cbranch_execz .LBB93_165
; %bb.164:
	scratch_load_b128 v[1:4], v114, off
	v_mov_b32_e32 v5, 0
	s_delay_alu instid0(VALU_DEP_1)
	v_mov_b32_e32 v6, v5
	v_mov_b32_e32 v7, v5
	;; [unrolled: 1-line block ×3, first 2 shown]
	scratch_store_b128 off, v[5:8], off offset:224
	s_waitcnt vmcnt(0)
	ds_store_b128 v132, v[1:4]
.LBB93_165:
	s_or_b32 exec_lo, exec_lo, s2
	s_waitcnt lgkmcnt(0)
	s_waitcnt_vscnt null, 0x0
	s_barrier
	buffer_gl0_inv
	s_clause 0x7
	scratch_load_b128 v[2:5], off, off offset:240
	scratch_load_b128 v[6:9], off, off offset:256
	;; [unrolled: 1-line block ×8, first 2 shown]
	v_mov_b32_e32 v1, 0
	s_mov_b32 s2, exec_lo
	ds_load_b128 v[34:37], v1 offset:720
	s_clause 0x1
	scratch_load_b128 v[38:41], off, off offset:368
	scratch_load_b128 v[133:136], off, off offset:224
	ds_load_b128 v[137:140], v1 offset:736
	scratch_load_b128 v[141:144], off, off offset:384
	s_waitcnt vmcnt(10) lgkmcnt(1)
	v_mul_f64 v[145:146], v[36:37], v[4:5]
	v_mul_f64 v[4:5], v[34:35], v[4:5]
	s_delay_alu instid0(VALU_DEP_2) | instskip(NEXT) | instid1(VALU_DEP_2)
	v_fma_f64 v[151:152], v[34:35], v[2:3], -v[145:146]
	v_fma_f64 v[153:154], v[36:37], v[2:3], v[4:5]
	scratch_load_b128 v[34:37], off, off offset:400
	ds_load_b128 v[2:5], v1 offset:752
	s_waitcnt vmcnt(10) lgkmcnt(1)
	v_mul_f64 v[149:150], v[137:138], v[8:9]
	v_mul_f64 v[8:9], v[139:140], v[8:9]
	ds_load_b128 v[145:148], v1 offset:768
	s_waitcnt vmcnt(9) lgkmcnt(1)
	v_mul_f64 v[155:156], v[2:3], v[12:13]
	v_mul_f64 v[12:13], v[4:5], v[12:13]
	v_fma_f64 v[139:140], v[139:140], v[6:7], v[149:150]
	v_fma_f64 v[137:138], v[137:138], v[6:7], -v[8:9]
	v_add_f64 v[149:150], v[151:152], 0
	v_add_f64 v[151:152], v[153:154], 0
	scratch_load_b128 v[6:9], off, off offset:416
	v_fma_f64 v[155:156], v[4:5], v[10:11], v[155:156]
	v_fma_f64 v[157:158], v[2:3], v[10:11], -v[12:13]
	scratch_load_b128 v[10:13], off, off offset:432
	ds_load_b128 v[2:5], v1 offset:784
	s_waitcnt vmcnt(10) lgkmcnt(1)
	v_mul_f64 v[153:154], v[145:146], v[16:17]
	v_mul_f64 v[16:17], v[147:148], v[16:17]
	v_add_f64 v[149:150], v[149:150], v[137:138]
	v_add_f64 v[151:152], v[151:152], v[139:140]
	s_waitcnt vmcnt(9) lgkmcnt(0)
	v_mul_f64 v[159:160], v[2:3], v[20:21]
	v_mul_f64 v[20:21], v[4:5], v[20:21]
	ds_load_b128 v[137:140], v1 offset:800
	v_fma_f64 v[147:148], v[147:148], v[14:15], v[153:154]
	v_fma_f64 v[145:146], v[145:146], v[14:15], -v[16:17]
	scratch_load_b128 v[14:17], off, off offset:448
	v_add_f64 v[149:150], v[149:150], v[157:158]
	v_add_f64 v[151:152], v[151:152], v[155:156]
	v_fma_f64 v[155:156], v[4:5], v[18:19], v[159:160]
	v_fma_f64 v[157:158], v[2:3], v[18:19], -v[20:21]
	scratch_load_b128 v[18:21], off, off offset:464
	ds_load_b128 v[2:5], v1 offset:816
	s_waitcnt vmcnt(10) lgkmcnt(1)
	v_mul_f64 v[153:154], v[137:138], v[24:25]
	v_mul_f64 v[24:25], v[139:140], v[24:25]
	s_waitcnt vmcnt(9) lgkmcnt(0)
	v_mul_f64 v[159:160], v[2:3], v[28:29]
	v_mul_f64 v[28:29], v[4:5], v[28:29]
	v_add_f64 v[149:150], v[149:150], v[145:146]
	v_add_f64 v[151:152], v[151:152], v[147:148]
	ds_load_b128 v[145:148], v1 offset:832
	v_fma_f64 v[139:140], v[139:140], v[22:23], v[153:154]
	v_fma_f64 v[22:23], v[137:138], v[22:23], -v[24:25]
	v_add_f64 v[24:25], v[149:150], v[157:158]
	v_add_f64 v[137:138], v[151:152], v[155:156]
	s_waitcnt vmcnt(8) lgkmcnt(0)
	v_mul_f64 v[149:150], v[145:146], v[32:33]
	v_mul_f64 v[32:33], v[147:148], v[32:33]
	v_fma_f64 v[151:152], v[4:5], v[26:27], v[159:160]
	v_fma_f64 v[26:27], v[2:3], v[26:27], -v[28:29]
	v_add_f64 v[28:29], v[24:25], v[22:23]
	v_add_f64 v[137:138], v[137:138], v[139:140]
	ds_load_b128 v[2:5], v1 offset:848
	ds_load_b128 v[22:25], v1 offset:864
	v_fma_f64 v[147:148], v[147:148], v[30:31], v[149:150]
	v_fma_f64 v[30:31], v[145:146], v[30:31], -v[32:33]
	s_waitcnt vmcnt(7) lgkmcnt(1)
	v_mul_f64 v[139:140], v[2:3], v[40:41]
	v_mul_f64 v[40:41], v[4:5], v[40:41]
	s_waitcnt vmcnt(5) lgkmcnt(0)
	v_mul_f64 v[32:33], v[22:23], v[143:144]
	v_add_f64 v[26:27], v[28:29], v[26:27]
	v_add_f64 v[28:29], v[137:138], v[151:152]
	v_mul_f64 v[137:138], v[24:25], v[143:144]
	v_fma_f64 v[139:140], v[4:5], v[38:39], v[139:140]
	v_fma_f64 v[38:39], v[2:3], v[38:39], -v[40:41]
	v_fma_f64 v[24:25], v[24:25], v[141:142], v[32:33]
	v_add_f64 v[30:31], v[26:27], v[30:31]
	v_add_f64 v[40:41], v[28:29], v[147:148]
	ds_load_b128 v[2:5], v1 offset:880
	ds_load_b128 v[26:29], v1 offset:896
	v_fma_f64 v[22:23], v[22:23], v[141:142], -v[137:138]
	s_waitcnt vmcnt(4) lgkmcnt(1)
	v_mul_f64 v[143:144], v[2:3], v[36:37]
	v_mul_f64 v[36:37], v[4:5], v[36:37]
	v_add_f64 v[30:31], v[30:31], v[38:39]
	v_add_f64 v[32:33], v[40:41], v[139:140]
	s_waitcnt vmcnt(3) lgkmcnt(0)
	v_mul_f64 v[38:39], v[26:27], v[8:9]
	v_mul_f64 v[8:9], v[28:29], v[8:9]
	v_fma_f64 v[40:41], v[4:5], v[34:35], v[143:144]
	v_fma_f64 v[34:35], v[2:3], v[34:35], -v[36:37]
	v_add_f64 v[30:31], v[30:31], v[22:23]
	v_add_f64 v[32:33], v[32:33], v[24:25]
	ds_load_b128 v[2:5], v1 offset:912
	ds_load_b128 v[22:25], v1 offset:928
	v_fma_f64 v[28:29], v[28:29], v[6:7], v[38:39]
	v_fma_f64 v[6:7], v[26:27], v[6:7], -v[8:9]
	s_waitcnt vmcnt(2) lgkmcnt(1)
	v_mul_f64 v[36:37], v[2:3], v[12:13]
	v_mul_f64 v[12:13], v[4:5], v[12:13]
	v_add_f64 v[8:9], v[30:31], v[34:35]
	v_add_f64 v[26:27], v[32:33], v[40:41]
	s_waitcnt vmcnt(1) lgkmcnt(0)
	v_mul_f64 v[30:31], v[22:23], v[16:17]
	v_mul_f64 v[16:17], v[24:25], v[16:17]
	v_fma_f64 v[32:33], v[4:5], v[10:11], v[36:37]
	v_fma_f64 v[10:11], v[2:3], v[10:11], -v[12:13]
	ds_load_b128 v[2:5], v1 offset:944
	v_add_f64 v[6:7], v[8:9], v[6:7]
	v_add_f64 v[8:9], v[26:27], v[28:29]
	v_fma_f64 v[24:25], v[24:25], v[14:15], v[30:31]
	v_fma_f64 v[14:15], v[22:23], v[14:15], -v[16:17]
	s_waitcnt vmcnt(0) lgkmcnt(0)
	v_mul_f64 v[12:13], v[2:3], v[20:21]
	v_mul_f64 v[20:21], v[4:5], v[20:21]
	v_add_f64 v[6:7], v[6:7], v[10:11]
	v_add_f64 v[8:9], v[8:9], v[32:33]
	s_delay_alu instid0(VALU_DEP_4) | instskip(NEXT) | instid1(VALU_DEP_4)
	v_fma_f64 v[4:5], v[4:5], v[18:19], v[12:13]
	v_fma_f64 v[2:3], v[2:3], v[18:19], -v[20:21]
	s_delay_alu instid0(VALU_DEP_4) | instskip(NEXT) | instid1(VALU_DEP_4)
	v_add_f64 v[6:7], v[6:7], v[14:15]
	v_add_f64 v[8:9], v[8:9], v[24:25]
	s_delay_alu instid0(VALU_DEP_2) | instskip(NEXT) | instid1(VALU_DEP_2)
	v_add_f64 v[2:3], v[6:7], v[2:3]
	v_add_f64 v[4:5], v[8:9], v[4:5]
	s_delay_alu instid0(VALU_DEP_2) | instskip(NEXT) | instid1(VALU_DEP_2)
	v_add_f64 v[2:3], v[133:134], -v[2:3]
	v_add_f64 v[4:5], v[135:136], -v[4:5]
	scratch_store_b128 off, v[2:5], off offset:224
	v_cmpx_lt_u32_e32 13, v102
	s_cbranch_execz .LBB93_167
; %bb.166:
	scratch_load_b128 v[5:8], v116, off
	v_mov_b32_e32 v2, v1
	v_mov_b32_e32 v3, v1
	;; [unrolled: 1-line block ×3, first 2 shown]
	scratch_store_b128 off, v[1:4], off offset:208
	s_waitcnt vmcnt(0)
	ds_store_b128 v132, v[5:8]
.LBB93_167:
	s_or_b32 exec_lo, exec_lo, s2
	s_waitcnt lgkmcnt(0)
	s_waitcnt_vscnt null, 0x0
	s_barrier
	buffer_gl0_inv
	s_clause 0x8
	scratch_load_b128 v[2:5], off, off offset:224
	scratch_load_b128 v[6:9], off, off offset:240
	scratch_load_b128 v[10:13], off, off offset:256
	scratch_load_b128 v[14:17], off, off offset:272
	scratch_load_b128 v[18:21], off, off offset:288
	scratch_load_b128 v[22:25], off, off offset:304
	scratch_load_b128 v[26:29], off, off offset:320
	scratch_load_b128 v[30:33], off, off offset:336
	scratch_load_b128 v[34:37], off, off offset:352
	ds_load_b128 v[38:41], v1 offset:704
	ds_load_b128 v[133:136], v1 offset:720
	s_clause 0x1
	scratch_load_b128 v[137:140], off, off offset:208
	scratch_load_b128 v[141:144], off, off offset:368
	s_mov_b32 s2, exec_lo
	s_waitcnt vmcnt(10) lgkmcnt(1)
	v_mul_f64 v[145:146], v[40:41], v[4:5]
	v_mul_f64 v[4:5], v[38:39], v[4:5]
	s_waitcnt vmcnt(9) lgkmcnt(0)
	v_mul_f64 v[149:150], v[133:134], v[8:9]
	v_mul_f64 v[8:9], v[135:136], v[8:9]
	s_delay_alu instid0(VALU_DEP_4) | instskip(NEXT) | instid1(VALU_DEP_4)
	v_fma_f64 v[151:152], v[38:39], v[2:3], -v[145:146]
	v_fma_f64 v[153:154], v[40:41], v[2:3], v[4:5]
	ds_load_b128 v[2:5], v1 offset:736
	ds_load_b128 v[145:148], v1 offset:752
	scratch_load_b128 v[38:41], off, off offset:384
	v_fma_f64 v[135:136], v[135:136], v[6:7], v[149:150]
	v_fma_f64 v[133:134], v[133:134], v[6:7], -v[8:9]
	scratch_load_b128 v[6:9], off, off offset:400
	s_waitcnt vmcnt(10) lgkmcnt(1)
	v_mul_f64 v[155:156], v[2:3], v[12:13]
	v_mul_f64 v[12:13], v[4:5], v[12:13]
	v_add_f64 v[149:150], v[151:152], 0
	v_add_f64 v[151:152], v[153:154], 0
	s_waitcnt vmcnt(9) lgkmcnt(0)
	v_mul_f64 v[153:154], v[145:146], v[16:17]
	v_mul_f64 v[16:17], v[147:148], v[16:17]
	v_fma_f64 v[155:156], v[4:5], v[10:11], v[155:156]
	v_fma_f64 v[157:158], v[2:3], v[10:11], -v[12:13]
	ds_load_b128 v[2:5], v1 offset:768
	scratch_load_b128 v[10:13], off, off offset:416
	v_add_f64 v[149:150], v[149:150], v[133:134]
	v_add_f64 v[151:152], v[151:152], v[135:136]
	ds_load_b128 v[133:136], v1 offset:784
	v_fma_f64 v[147:148], v[147:148], v[14:15], v[153:154]
	v_fma_f64 v[145:146], v[145:146], v[14:15], -v[16:17]
	scratch_load_b128 v[14:17], off, off offset:432
	s_waitcnt vmcnt(10) lgkmcnt(1)
	v_mul_f64 v[159:160], v[2:3], v[20:21]
	v_mul_f64 v[20:21], v[4:5], v[20:21]
	s_waitcnt vmcnt(9) lgkmcnt(0)
	v_mul_f64 v[153:154], v[133:134], v[24:25]
	v_mul_f64 v[24:25], v[135:136], v[24:25]
	v_add_f64 v[149:150], v[149:150], v[157:158]
	v_add_f64 v[151:152], v[151:152], v[155:156]
	v_fma_f64 v[155:156], v[4:5], v[18:19], v[159:160]
	v_fma_f64 v[157:158], v[2:3], v[18:19], -v[20:21]
	ds_load_b128 v[2:5], v1 offset:800
	scratch_load_b128 v[18:21], off, off offset:448
	v_fma_f64 v[135:136], v[135:136], v[22:23], v[153:154]
	v_fma_f64 v[133:134], v[133:134], v[22:23], -v[24:25]
	scratch_load_b128 v[22:25], off, off offset:464
	v_add_f64 v[149:150], v[149:150], v[145:146]
	v_add_f64 v[151:152], v[151:152], v[147:148]
	ds_load_b128 v[145:148], v1 offset:816
	s_waitcnt vmcnt(10) lgkmcnt(1)
	v_mul_f64 v[159:160], v[2:3], v[28:29]
	v_mul_f64 v[28:29], v[4:5], v[28:29]
	s_waitcnt vmcnt(9) lgkmcnt(0)
	v_mul_f64 v[153:154], v[145:146], v[32:33]
	v_mul_f64 v[32:33], v[147:148], v[32:33]
	v_add_f64 v[149:150], v[149:150], v[157:158]
	v_add_f64 v[151:152], v[151:152], v[155:156]
	v_fma_f64 v[155:156], v[4:5], v[26:27], v[159:160]
	v_fma_f64 v[157:158], v[2:3], v[26:27], -v[28:29]
	ds_load_b128 v[2:5], v1 offset:832
	ds_load_b128 v[26:29], v1 offset:848
	v_fma_f64 v[147:148], v[147:148], v[30:31], v[153:154]
	v_fma_f64 v[30:31], v[145:146], v[30:31], -v[32:33]
	v_add_f64 v[133:134], v[149:150], v[133:134]
	v_add_f64 v[135:136], v[151:152], v[135:136]
	s_waitcnt vmcnt(8) lgkmcnt(1)
	v_mul_f64 v[149:150], v[2:3], v[36:37]
	v_mul_f64 v[36:37], v[4:5], v[36:37]
	s_delay_alu instid0(VALU_DEP_4) | instskip(NEXT) | instid1(VALU_DEP_4)
	v_add_f64 v[32:33], v[133:134], v[157:158]
	v_add_f64 v[133:134], v[135:136], v[155:156]
	s_waitcnt vmcnt(6) lgkmcnt(0)
	v_mul_f64 v[135:136], v[26:27], v[143:144]
	v_mul_f64 v[143:144], v[28:29], v[143:144]
	v_fma_f64 v[145:146], v[4:5], v[34:35], v[149:150]
	v_fma_f64 v[34:35], v[2:3], v[34:35], -v[36:37]
	v_add_f64 v[36:37], v[32:33], v[30:31]
	v_add_f64 v[133:134], v[133:134], v[147:148]
	ds_load_b128 v[2:5], v1 offset:864
	ds_load_b128 v[30:33], v1 offset:880
	v_fma_f64 v[28:29], v[28:29], v[141:142], v[135:136]
	v_fma_f64 v[26:27], v[26:27], v[141:142], -v[143:144]
	s_waitcnt vmcnt(5) lgkmcnt(1)
	v_mul_f64 v[147:148], v[2:3], v[40:41]
	v_mul_f64 v[40:41], v[4:5], v[40:41]
	v_add_f64 v[34:35], v[36:37], v[34:35]
	v_add_f64 v[36:37], v[133:134], v[145:146]
	s_waitcnt vmcnt(4) lgkmcnt(0)
	v_mul_f64 v[133:134], v[30:31], v[8:9]
	v_mul_f64 v[8:9], v[32:33], v[8:9]
	v_fma_f64 v[135:136], v[4:5], v[38:39], v[147:148]
	v_fma_f64 v[38:39], v[2:3], v[38:39], -v[40:41]
	v_add_f64 v[34:35], v[34:35], v[26:27]
	v_add_f64 v[36:37], v[36:37], v[28:29]
	ds_load_b128 v[2:5], v1 offset:896
	ds_load_b128 v[26:29], v1 offset:912
	v_fma_f64 v[32:33], v[32:33], v[6:7], v[133:134]
	v_fma_f64 v[6:7], v[30:31], v[6:7], -v[8:9]
	s_waitcnt vmcnt(3) lgkmcnt(1)
	v_mul_f64 v[40:41], v[2:3], v[12:13]
	v_mul_f64 v[12:13], v[4:5], v[12:13]
	;; [unrolled: 16-line block ×3, first 2 shown]
	s_waitcnt vmcnt(0) lgkmcnt(0)
	v_mul_f64 v[16:17], v[6:7], v[24:25]
	v_mul_f64 v[24:25], v[8:9], v[24:25]
	v_add_f64 v[10:11], v[12:13], v[10:11]
	v_add_f64 v[12:13], v[30:31], v[36:37]
	v_fma_f64 v[4:5], v[4:5], v[18:19], v[32:33]
	v_fma_f64 v[1:2], v[2:3], v[18:19], -v[20:21]
	v_fma_f64 v[8:9], v[8:9], v[22:23], v[16:17]
	v_fma_f64 v[6:7], v[6:7], v[22:23], -v[24:25]
	v_add_f64 v[10:11], v[10:11], v[14:15]
	v_add_f64 v[12:13], v[12:13], v[28:29]
	s_delay_alu instid0(VALU_DEP_2) | instskip(NEXT) | instid1(VALU_DEP_2)
	v_add_f64 v[1:2], v[10:11], v[1:2]
	v_add_f64 v[3:4], v[12:13], v[4:5]
	s_delay_alu instid0(VALU_DEP_2) | instskip(NEXT) | instid1(VALU_DEP_2)
	;; [unrolled: 3-line block ×3, first 2 shown]
	v_add_f64 v[1:2], v[137:138], -v[1:2]
	v_add_f64 v[3:4], v[139:140], -v[3:4]
	scratch_store_b128 off, v[1:4], off offset:208
	v_cmpx_lt_u32_e32 12, v102
	s_cbranch_execz .LBB93_169
; %bb.168:
	scratch_load_b128 v[1:4], v117, off
	v_mov_b32_e32 v5, 0
	s_delay_alu instid0(VALU_DEP_1)
	v_mov_b32_e32 v6, v5
	v_mov_b32_e32 v7, v5
	;; [unrolled: 1-line block ×3, first 2 shown]
	scratch_store_b128 off, v[5:8], off offset:192
	s_waitcnt vmcnt(0)
	ds_store_b128 v132, v[1:4]
.LBB93_169:
	s_or_b32 exec_lo, exec_lo, s2
	s_waitcnt lgkmcnt(0)
	s_waitcnt_vscnt null, 0x0
	s_barrier
	buffer_gl0_inv
	s_clause 0x7
	scratch_load_b128 v[2:5], off, off offset:208
	scratch_load_b128 v[6:9], off, off offset:224
	;; [unrolled: 1-line block ×8, first 2 shown]
	v_mov_b32_e32 v1, 0
	s_mov_b32 s2, exec_lo
	ds_load_b128 v[34:37], v1 offset:688
	s_clause 0x1
	scratch_load_b128 v[38:41], off, off offset:336
	scratch_load_b128 v[133:136], off, off offset:192
	ds_load_b128 v[137:140], v1 offset:704
	scratch_load_b128 v[141:144], off, off offset:352
	s_waitcnt vmcnt(10) lgkmcnt(1)
	v_mul_f64 v[145:146], v[36:37], v[4:5]
	v_mul_f64 v[4:5], v[34:35], v[4:5]
	s_delay_alu instid0(VALU_DEP_2) | instskip(NEXT) | instid1(VALU_DEP_2)
	v_fma_f64 v[151:152], v[34:35], v[2:3], -v[145:146]
	v_fma_f64 v[153:154], v[36:37], v[2:3], v[4:5]
	scratch_load_b128 v[34:37], off, off offset:368
	ds_load_b128 v[2:5], v1 offset:720
	s_waitcnt vmcnt(10) lgkmcnt(1)
	v_mul_f64 v[149:150], v[137:138], v[8:9]
	v_mul_f64 v[8:9], v[139:140], v[8:9]
	ds_load_b128 v[145:148], v1 offset:736
	s_waitcnt vmcnt(9) lgkmcnt(1)
	v_mul_f64 v[155:156], v[2:3], v[12:13]
	v_mul_f64 v[12:13], v[4:5], v[12:13]
	v_fma_f64 v[139:140], v[139:140], v[6:7], v[149:150]
	v_fma_f64 v[137:138], v[137:138], v[6:7], -v[8:9]
	v_add_f64 v[149:150], v[151:152], 0
	v_add_f64 v[151:152], v[153:154], 0
	scratch_load_b128 v[6:9], off, off offset:384
	v_fma_f64 v[155:156], v[4:5], v[10:11], v[155:156]
	v_fma_f64 v[157:158], v[2:3], v[10:11], -v[12:13]
	scratch_load_b128 v[10:13], off, off offset:400
	ds_load_b128 v[2:5], v1 offset:752
	s_waitcnt vmcnt(10) lgkmcnt(1)
	v_mul_f64 v[153:154], v[145:146], v[16:17]
	v_mul_f64 v[16:17], v[147:148], v[16:17]
	v_add_f64 v[149:150], v[149:150], v[137:138]
	v_add_f64 v[151:152], v[151:152], v[139:140]
	s_waitcnt vmcnt(9) lgkmcnt(0)
	v_mul_f64 v[159:160], v[2:3], v[20:21]
	v_mul_f64 v[20:21], v[4:5], v[20:21]
	ds_load_b128 v[137:140], v1 offset:768
	v_fma_f64 v[147:148], v[147:148], v[14:15], v[153:154]
	v_fma_f64 v[145:146], v[145:146], v[14:15], -v[16:17]
	scratch_load_b128 v[14:17], off, off offset:416
	v_add_f64 v[149:150], v[149:150], v[157:158]
	v_add_f64 v[151:152], v[151:152], v[155:156]
	v_fma_f64 v[155:156], v[4:5], v[18:19], v[159:160]
	v_fma_f64 v[157:158], v[2:3], v[18:19], -v[20:21]
	scratch_load_b128 v[18:21], off, off offset:432
	ds_load_b128 v[2:5], v1 offset:784
	s_waitcnt vmcnt(10) lgkmcnt(1)
	v_mul_f64 v[153:154], v[137:138], v[24:25]
	v_mul_f64 v[24:25], v[139:140], v[24:25]
	s_waitcnt vmcnt(9) lgkmcnt(0)
	v_mul_f64 v[159:160], v[2:3], v[28:29]
	v_mul_f64 v[28:29], v[4:5], v[28:29]
	v_add_f64 v[149:150], v[149:150], v[145:146]
	v_add_f64 v[151:152], v[151:152], v[147:148]
	ds_load_b128 v[145:148], v1 offset:800
	v_fma_f64 v[139:140], v[139:140], v[22:23], v[153:154]
	v_fma_f64 v[137:138], v[137:138], v[22:23], -v[24:25]
	scratch_load_b128 v[22:25], off, off offset:448
	v_add_f64 v[149:150], v[149:150], v[157:158]
	v_add_f64 v[151:152], v[151:152], v[155:156]
	v_fma_f64 v[155:156], v[4:5], v[26:27], v[159:160]
	v_fma_f64 v[157:158], v[2:3], v[26:27], -v[28:29]
	scratch_load_b128 v[26:29], off, off offset:464
	ds_load_b128 v[2:5], v1 offset:816
	s_waitcnt vmcnt(10) lgkmcnt(1)
	v_mul_f64 v[153:154], v[145:146], v[32:33]
	v_mul_f64 v[32:33], v[147:148], v[32:33]
	s_waitcnt vmcnt(9) lgkmcnt(0)
	v_mul_f64 v[159:160], v[2:3], v[40:41]
	v_mul_f64 v[40:41], v[4:5], v[40:41]
	v_add_f64 v[149:150], v[149:150], v[137:138]
	v_add_f64 v[151:152], v[151:152], v[139:140]
	ds_load_b128 v[137:140], v1 offset:832
	v_fma_f64 v[147:148], v[147:148], v[30:31], v[153:154]
	v_fma_f64 v[30:31], v[145:146], v[30:31], -v[32:33]
	v_add_f64 v[32:33], v[149:150], v[157:158]
	v_add_f64 v[145:146], v[151:152], v[155:156]
	s_waitcnt vmcnt(7) lgkmcnt(0)
	v_mul_f64 v[149:150], v[137:138], v[143:144]
	v_mul_f64 v[143:144], v[139:140], v[143:144]
	v_fma_f64 v[151:152], v[4:5], v[38:39], v[159:160]
	v_fma_f64 v[38:39], v[2:3], v[38:39], -v[40:41]
	v_add_f64 v[40:41], v[32:33], v[30:31]
	v_add_f64 v[145:146], v[145:146], v[147:148]
	ds_load_b128 v[2:5], v1 offset:848
	ds_load_b128 v[30:33], v1 offset:864
	v_fma_f64 v[139:140], v[139:140], v[141:142], v[149:150]
	v_fma_f64 v[137:138], v[137:138], v[141:142], -v[143:144]
	s_waitcnt vmcnt(6) lgkmcnt(1)
	v_mul_f64 v[147:148], v[2:3], v[36:37]
	v_mul_f64 v[36:37], v[4:5], v[36:37]
	v_add_f64 v[38:39], v[40:41], v[38:39]
	v_add_f64 v[40:41], v[145:146], v[151:152]
	s_waitcnt vmcnt(5) lgkmcnt(0)
	v_mul_f64 v[141:142], v[30:31], v[8:9]
	v_mul_f64 v[8:9], v[32:33], v[8:9]
	v_fma_f64 v[143:144], v[4:5], v[34:35], v[147:148]
	v_fma_f64 v[145:146], v[2:3], v[34:35], -v[36:37]
	ds_load_b128 v[2:5], v1 offset:880
	ds_load_b128 v[34:37], v1 offset:896
	v_add_f64 v[38:39], v[38:39], v[137:138]
	v_add_f64 v[40:41], v[40:41], v[139:140]
	s_waitcnt vmcnt(4) lgkmcnt(1)
	v_mul_f64 v[137:138], v[2:3], v[12:13]
	v_mul_f64 v[12:13], v[4:5], v[12:13]
	v_fma_f64 v[32:33], v[32:33], v[6:7], v[141:142]
	v_fma_f64 v[6:7], v[30:31], v[6:7], -v[8:9]
	v_add_f64 v[8:9], v[38:39], v[145:146]
	v_add_f64 v[30:31], v[40:41], v[143:144]
	s_waitcnt vmcnt(3) lgkmcnt(0)
	v_mul_f64 v[38:39], v[34:35], v[16:17]
	v_mul_f64 v[16:17], v[36:37], v[16:17]
	v_fma_f64 v[40:41], v[4:5], v[10:11], v[137:138]
	v_fma_f64 v[10:11], v[2:3], v[10:11], -v[12:13]
	v_add_f64 v[12:13], v[8:9], v[6:7]
	v_add_f64 v[30:31], v[30:31], v[32:33]
	ds_load_b128 v[2:5], v1 offset:912
	ds_load_b128 v[6:9], v1 offset:928
	v_fma_f64 v[36:37], v[36:37], v[14:15], v[38:39]
	v_fma_f64 v[14:15], v[34:35], v[14:15], -v[16:17]
	s_waitcnt vmcnt(2) lgkmcnt(1)
	v_mul_f64 v[32:33], v[2:3], v[20:21]
	v_mul_f64 v[20:21], v[4:5], v[20:21]
	s_waitcnt vmcnt(1) lgkmcnt(0)
	v_mul_f64 v[16:17], v[6:7], v[24:25]
	v_mul_f64 v[24:25], v[8:9], v[24:25]
	v_add_f64 v[10:11], v[12:13], v[10:11]
	v_add_f64 v[12:13], v[30:31], v[40:41]
	v_fma_f64 v[30:31], v[4:5], v[18:19], v[32:33]
	v_fma_f64 v[18:19], v[2:3], v[18:19], -v[20:21]
	ds_load_b128 v[2:5], v1 offset:944
	v_fma_f64 v[8:9], v[8:9], v[22:23], v[16:17]
	v_fma_f64 v[6:7], v[6:7], v[22:23], -v[24:25]
	v_add_f64 v[10:11], v[10:11], v[14:15]
	v_add_f64 v[12:13], v[12:13], v[36:37]
	s_waitcnt vmcnt(0) lgkmcnt(0)
	v_mul_f64 v[14:15], v[2:3], v[28:29]
	v_mul_f64 v[20:21], v[4:5], v[28:29]
	s_delay_alu instid0(VALU_DEP_4) | instskip(NEXT) | instid1(VALU_DEP_4)
	v_add_f64 v[10:11], v[10:11], v[18:19]
	v_add_f64 v[12:13], v[12:13], v[30:31]
	s_delay_alu instid0(VALU_DEP_4) | instskip(NEXT) | instid1(VALU_DEP_4)
	v_fma_f64 v[4:5], v[4:5], v[26:27], v[14:15]
	v_fma_f64 v[2:3], v[2:3], v[26:27], -v[20:21]
	s_delay_alu instid0(VALU_DEP_4) | instskip(NEXT) | instid1(VALU_DEP_4)
	v_add_f64 v[6:7], v[10:11], v[6:7]
	v_add_f64 v[8:9], v[12:13], v[8:9]
	s_delay_alu instid0(VALU_DEP_2) | instskip(NEXT) | instid1(VALU_DEP_2)
	v_add_f64 v[2:3], v[6:7], v[2:3]
	v_add_f64 v[4:5], v[8:9], v[4:5]
	s_delay_alu instid0(VALU_DEP_2) | instskip(NEXT) | instid1(VALU_DEP_2)
	v_add_f64 v[2:3], v[133:134], -v[2:3]
	v_add_f64 v[4:5], v[135:136], -v[4:5]
	scratch_store_b128 off, v[2:5], off offset:192
	v_cmpx_lt_u32_e32 11, v102
	s_cbranch_execz .LBB93_171
; %bb.170:
	scratch_load_b128 v[5:8], v119, off
	v_mov_b32_e32 v2, v1
	v_mov_b32_e32 v3, v1
	;; [unrolled: 1-line block ×3, first 2 shown]
	scratch_store_b128 off, v[1:4], off offset:176
	s_waitcnt vmcnt(0)
	ds_store_b128 v132, v[5:8]
.LBB93_171:
	s_or_b32 exec_lo, exec_lo, s2
	s_waitcnt lgkmcnt(0)
	s_waitcnt_vscnt null, 0x0
	s_barrier
	buffer_gl0_inv
	s_clause 0x8
	scratch_load_b128 v[2:5], off, off offset:192
	scratch_load_b128 v[6:9], off, off offset:208
	;; [unrolled: 1-line block ×9, first 2 shown]
	ds_load_b128 v[38:41], v1 offset:672
	ds_load_b128 v[133:136], v1 offset:688
	s_clause 0x1
	scratch_load_b128 v[137:140], off, off offset:176
	scratch_load_b128 v[141:144], off, off offset:336
	s_mov_b32 s2, exec_lo
	s_waitcnt vmcnt(10) lgkmcnt(1)
	v_mul_f64 v[145:146], v[40:41], v[4:5]
	v_mul_f64 v[4:5], v[38:39], v[4:5]
	s_waitcnt vmcnt(9) lgkmcnt(0)
	v_mul_f64 v[149:150], v[133:134], v[8:9]
	v_mul_f64 v[8:9], v[135:136], v[8:9]
	s_delay_alu instid0(VALU_DEP_4) | instskip(NEXT) | instid1(VALU_DEP_4)
	v_fma_f64 v[151:152], v[38:39], v[2:3], -v[145:146]
	v_fma_f64 v[153:154], v[40:41], v[2:3], v[4:5]
	ds_load_b128 v[2:5], v1 offset:704
	ds_load_b128 v[145:148], v1 offset:720
	scratch_load_b128 v[38:41], off, off offset:352
	v_fma_f64 v[135:136], v[135:136], v[6:7], v[149:150]
	v_fma_f64 v[133:134], v[133:134], v[6:7], -v[8:9]
	scratch_load_b128 v[6:9], off, off offset:368
	s_waitcnt vmcnt(10) lgkmcnt(1)
	v_mul_f64 v[155:156], v[2:3], v[12:13]
	v_mul_f64 v[12:13], v[4:5], v[12:13]
	v_add_f64 v[149:150], v[151:152], 0
	v_add_f64 v[151:152], v[153:154], 0
	s_waitcnt vmcnt(9) lgkmcnt(0)
	v_mul_f64 v[153:154], v[145:146], v[16:17]
	v_mul_f64 v[16:17], v[147:148], v[16:17]
	v_fma_f64 v[155:156], v[4:5], v[10:11], v[155:156]
	v_fma_f64 v[157:158], v[2:3], v[10:11], -v[12:13]
	ds_load_b128 v[2:5], v1 offset:736
	scratch_load_b128 v[10:13], off, off offset:384
	v_add_f64 v[149:150], v[149:150], v[133:134]
	v_add_f64 v[151:152], v[151:152], v[135:136]
	ds_load_b128 v[133:136], v1 offset:752
	v_fma_f64 v[147:148], v[147:148], v[14:15], v[153:154]
	v_fma_f64 v[145:146], v[145:146], v[14:15], -v[16:17]
	scratch_load_b128 v[14:17], off, off offset:400
	s_waitcnt vmcnt(10) lgkmcnt(1)
	v_mul_f64 v[159:160], v[2:3], v[20:21]
	v_mul_f64 v[20:21], v[4:5], v[20:21]
	s_waitcnt vmcnt(9) lgkmcnt(0)
	v_mul_f64 v[153:154], v[133:134], v[24:25]
	v_mul_f64 v[24:25], v[135:136], v[24:25]
	v_add_f64 v[149:150], v[149:150], v[157:158]
	v_add_f64 v[151:152], v[151:152], v[155:156]
	v_fma_f64 v[155:156], v[4:5], v[18:19], v[159:160]
	v_fma_f64 v[157:158], v[2:3], v[18:19], -v[20:21]
	ds_load_b128 v[2:5], v1 offset:768
	scratch_load_b128 v[18:21], off, off offset:416
	v_fma_f64 v[135:136], v[135:136], v[22:23], v[153:154]
	v_fma_f64 v[133:134], v[133:134], v[22:23], -v[24:25]
	scratch_load_b128 v[22:25], off, off offset:432
	v_add_f64 v[149:150], v[149:150], v[145:146]
	v_add_f64 v[151:152], v[151:152], v[147:148]
	ds_load_b128 v[145:148], v1 offset:784
	s_waitcnt vmcnt(10) lgkmcnt(1)
	v_mul_f64 v[159:160], v[2:3], v[28:29]
	v_mul_f64 v[28:29], v[4:5], v[28:29]
	s_waitcnt vmcnt(9) lgkmcnt(0)
	v_mul_f64 v[153:154], v[145:146], v[32:33]
	v_mul_f64 v[32:33], v[147:148], v[32:33]
	v_add_f64 v[149:150], v[149:150], v[157:158]
	v_add_f64 v[151:152], v[151:152], v[155:156]
	v_fma_f64 v[155:156], v[4:5], v[26:27], v[159:160]
	v_fma_f64 v[157:158], v[2:3], v[26:27], -v[28:29]
	ds_load_b128 v[2:5], v1 offset:800
	scratch_load_b128 v[26:29], off, off offset:448
	v_fma_f64 v[147:148], v[147:148], v[30:31], v[153:154]
	v_fma_f64 v[145:146], v[145:146], v[30:31], -v[32:33]
	scratch_load_b128 v[30:33], off, off offset:464
	v_add_f64 v[149:150], v[149:150], v[133:134]
	v_add_f64 v[151:152], v[151:152], v[135:136]
	ds_load_b128 v[133:136], v1 offset:816
	s_waitcnt vmcnt(10) lgkmcnt(1)
	v_mul_f64 v[159:160], v[2:3], v[36:37]
	v_mul_f64 v[36:37], v[4:5], v[36:37]
	s_waitcnt vmcnt(8) lgkmcnt(0)
	v_mul_f64 v[153:154], v[133:134], v[143:144]
	v_mul_f64 v[143:144], v[135:136], v[143:144]
	v_add_f64 v[149:150], v[149:150], v[157:158]
	v_add_f64 v[151:152], v[151:152], v[155:156]
	v_fma_f64 v[155:156], v[4:5], v[34:35], v[159:160]
	v_fma_f64 v[157:158], v[2:3], v[34:35], -v[36:37]
	ds_load_b128 v[2:5], v1 offset:832
	ds_load_b128 v[34:37], v1 offset:848
	v_fma_f64 v[135:136], v[135:136], v[141:142], v[153:154]
	v_fma_f64 v[133:134], v[133:134], v[141:142], -v[143:144]
	v_add_f64 v[145:146], v[149:150], v[145:146]
	v_add_f64 v[147:148], v[151:152], v[147:148]
	s_waitcnt vmcnt(7) lgkmcnt(1)
	v_mul_f64 v[149:150], v[2:3], v[40:41]
	v_mul_f64 v[40:41], v[4:5], v[40:41]
	s_delay_alu instid0(VALU_DEP_4) | instskip(NEXT) | instid1(VALU_DEP_4)
	v_add_f64 v[141:142], v[145:146], v[157:158]
	v_add_f64 v[143:144], v[147:148], v[155:156]
	s_waitcnt vmcnt(6) lgkmcnt(0)
	v_mul_f64 v[145:146], v[34:35], v[8:9]
	v_mul_f64 v[8:9], v[36:37], v[8:9]
	v_fma_f64 v[147:148], v[4:5], v[38:39], v[149:150]
	v_fma_f64 v[149:150], v[2:3], v[38:39], -v[40:41]
	ds_load_b128 v[2:5], v1 offset:864
	ds_load_b128 v[38:41], v1 offset:880
	v_add_f64 v[133:134], v[141:142], v[133:134]
	v_add_f64 v[135:136], v[143:144], v[135:136]
	v_fma_f64 v[36:37], v[36:37], v[6:7], v[145:146]
	s_waitcnt vmcnt(5) lgkmcnt(1)
	v_mul_f64 v[141:142], v[2:3], v[12:13]
	v_mul_f64 v[12:13], v[4:5], v[12:13]
	v_fma_f64 v[6:7], v[34:35], v[6:7], -v[8:9]
	v_add_f64 v[8:9], v[133:134], v[149:150]
	v_add_f64 v[34:35], v[135:136], v[147:148]
	s_waitcnt vmcnt(4) lgkmcnt(0)
	v_mul_f64 v[133:134], v[38:39], v[16:17]
	v_mul_f64 v[16:17], v[40:41], v[16:17]
	v_fma_f64 v[135:136], v[4:5], v[10:11], v[141:142]
	v_fma_f64 v[10:11], v[2:3], v[10:11], -v[12:13]
	v_add_f64 v[12:13], v[8:9], v[6:7]
	v_add_f64 v[34:35], v[34:35], v[36:37]
	ds_load_b128 v[2:5], v1 offset:896
	ds_load_b128 v[6:9], v1 offset:912
	v_fma_f64 v[40:41], v[40:41], v[14:15], v[133:134]
	v_fma_f64 v[14:15], v[38:39], v[14:15], -v[16:17]
	s_waitcnt vmcnt(3) lgkmcnt(1)
	v_mul_f64 v[36:37], v[2:3], v[20:21]
	v_mul_f64 v[20:21], v[4:5], v[20:21]
	s_waitcnt vmcnt(2) lgkmcnt(0)
	v_mul_f64 v[16:17], v[6:7], v[24:25]
	v_mul_f64 v[24:25], v[8:9], v[24:25]
	v_add_f64 v[10:11], v[12:13], v[10:11]
	v_add_f64 v[12:13], v[34:35], v[135:136]
	v_fma_f64 v[34:35], v[4:5], v[18:19], v[36:37]
	v_fma_f64 v[18:19], v[2:3], v[18:19], -v[20:21]
	v_fma_f64 v[8:9], v[8:9], v[22:23], v[16:17]
	v_fma_f64 v[6:7], v[6:7], v[22:23], -v[24:25]
	v_add_f64 v[14:15], v[10:11], v[14:15]
	v_add_f64 v[20:21], v[12:13], v[40:41]
	ds_load_b128 v[2:5], v1 offset:928
	ds_load_b128 v[10:13], v1 offset:944
	s_waitcnt vmcnt(1) lgkmcnt(1)
	v_mul_f64 v[36:37], v[2:3], v[28:29]
	v_mul_f64 v[28:29], v[4:5], v[28:29]
	v_add_f64 v[14:15], v[14:15], v[18:19]
	v_add_f64 v[16:17], v[20:21], v[34:35]
	s_waitcnt vmcnt(0) lgkmcnt(0)
	v_mul_f64 v[18:19], v[10:11], v[32:33]
	v_mul_f64 v[20:21], v[12:13], v[32:33]
	v_fma_f64 v[4:5], v[4:5], v[26:27], v[36:37]
	v_fma_f64 v[1:2], v[2:3], v[26:27], -v[28:29]
	v_add_f64 v[6:7], v[14:15], v[6:7]
	v_add_f64 v[8:9], v[16:17], v[8:9]
	v_fma_f64 v[12:13], v[12:13], v[30:31], v[18:19]
	v_fma_f64 v[10:11], v[10:11], v[30:31], -v[20:21]
	s_delay_alu instid0(VALU_DEP_4) | instskip(NEXT) | instid1(VALU_DEP_4)
	v_add_f64 v[1:2], v[6:7], v[1:2]
	v_add_f64 v[3:4], v[8:9], v[4:5]
	s_delay_alu instid0(VALU_DEP_2) | instskip(NEXT) | instid1(VALU_DEP_2)
	v_add_f64 v[1:2], v[1:2], v[10:11]
	v_add_f64 v[3:4], v[3:4], v[12:13]
	s_delay_alu instid0(VALU_DEP_2) | instskip(NEXT) | instid1(VALU_DEP_2)
	v_add_f64 v[1:2], v[137:138], -v[1:2]
	v_add_f64 v[3:4], v[139:140], -v[3:4]
	scratch_store_b128 off, v[1:4], off offset:176
	v_cmpx_lt_u32_e32 10, v102
	s_cbranch_execz .LBB93_173
; %bb.172:
	scratch_load_b128 v[1:4], v118, off
	v_mov_b32_e32 v5, 0
	s_delay_alu instid0(VALU_DEP_1)
	v_mov_b32_e32 v6, v5
	v_mov_b32_e32 v7, v5
	;; [unrolled: 1-line block ×3, first 2 shown]
	scratch_store_b128 off, v[5:8], off offset:160
	s_waitcnt vmcnt(0)
	ds_store_b128 v132, v[1:4]
.LBB93_173:
	s_or_b32 exec_lo, exec_lo, s2
	s_waitcnt lgkmcnt(0)
	s_waitcnt_vscnt null, 0x0
	s_barrier
	buffer_gl0_inv
	s_clause 0x7
	scratch_load_b128 v[2:5], off, off offset:176
	scratch_load_b128 v[6:9], off, off offset:192
	;; [unrolled: 1-line block ×8, first 2 shown]
	v_mov_b32_e32 v1, 0
	s_mov_b32 s2, exec_lo
	ds_load_b128 v[34:37], v1 offset:656
	s_clause 0x1
	scratch_load_b128 v[38:41], off, off offset:304
	scratch_load_b128 v[133:136], off, off offset:160
	ds_load_b128 v[137:140], v1 offset:672
	scratch_load_b128 v[141:144], off, off offset:320
	s_waitcnt vmcnt(10) lgkmcnt(1)
	v_mul_f64 v[145:146], v[36:37], v[4:5]
	v_mul_f64 v[4:5], v[34:35], v[4:5]
	s_delay_alu instid0(VALU_DEP_2) | instskip(NEXT) | instid1(VALU_DEP_2)
	v_fma_f64 v[151:152], v[34:35], v[2:3], -v[145:146]
	v_fma_f64 v[153:154], v[36:37], v[2:3], v[4:5]
	scratch_load_b128 v[34:37], off, off offset:336
	ds_load_b128 v[2:5], v1 offset:688
	s_waitcnt vmcnt(10) lgkmcnt(1)
	v_mul_f64 v[149:150], v[137:138], v[8:9]
	v_mul_f64 v[8:9], v[139:140], v[8:9]
	ds_load_b128 v[145:148], v1 offset:704
	s_waitcnt vmcnt(9) lgkmcnt(1)
	v_mul_f64 v[155:156], v[2:3], v[12:13]
	v_mul_f64 v[12:13], v[4:5], v[12:13]
	v_fma_f64 v[139:140], v[139:140], v[6:7], v[149:150]
	v_fma_f64 v[137:138], v[137:138], v[6:7], -v[8:9]
	v_add_f64 v[149:150], v[151:152], 0
	v_add_f64 v[151:152], v[153:154], 0
	scratch_load_b128 v[6:9], off, off offset:352
	v_fma_f64 v[155:156], v[4:5], v[10:11], v[155:156]
	v_fma_f64 v[157:158], v[2:3], v[10:11], -v[12:13]
	scratch_load_b128 v[10:13], off, off offset:368
	ds_load_b128 v[2:5], v1 offset:720
	s_waitcnt vmcnt(10) lgkmcnt(1)
	v_mul_f64 v[153:154], v[145:146], v[16:17]
	v_mul_f64 v[16:17], v[147:148], v[16:17]
	v_add_f64 v[149:150], v[149:150], v[137:138]
	v_add_f64 v[151:152], v[151:152], v[139:140]
	s_waitcnt vmcnt(9) lgkmcnt(0)
	v_mul_f64 v[159:160], v[2:3], v[20:21]
	v_mul_f64 v[20:21], v[4:5], v[20:21]
	ds_load_b128 v[137:140], v1 offset:736
	v_fma_f64 v[147:148], v[147:148], v[14:15], v[153:154]
	v_fma_f64 v[145:146], v[145:146], v[14:15], -v[16:17]
	scratch_load_b128 v[14:17], off, off offset:384
	v_add_f64 v[149:150], v[149:150], v[157:158]
	v_add_f64 v[151:152], v[151:152], v[155:156]
	v_fma_f64 v[155:156], v[4:5], v[18:19], v[159:160]
	v_fma_f64 v[157:158], v[2:3], v[18:19], -v[20:21]
	scratch_load_b128 v[18:21], off, off offset:400
	ds_load_b128 v[2:5], v1 offset:752
	s_waitcnt vmcnt(10) lgkmcnt(1)
	v_mul_f64 v[153:154], v[137:138], v[24:25]
	v_mul_f64 v[24:25], v[139:140], v[24:25]
	s_waitcnt vmcnt(9) lgkmcnt(0)
	v_mul_f64 v[159:160], v[2:3], v[28:29]
	v_mul_f64 v[28:29], v[4:5], v[28:29]
	v_add_f64 v[149:150], v[149:150], v[145:146]
	v_add_f64 v[151:152], v[151:152], v[147:148]
	ds_load_b128 v[145:148], v1 offset:768
	v_fma_f64 v[139:140], v[139:140], v[22:23], v[153:154]
	v_fma_f64 v[137:138], v[137:138], v[22:23], -v[24:25]
	scratch_load_b128 v[22:25], off, off offset:416
	v_add_f64 v[149:150], v[149:150], v[157:158]
	v_add_f64 v[151:152], v[151:152], v[155:156]
	v_fma_f64 v[155:156], v[4:5], v[26:27], v[159:160]
	v_fma_f64 v[157:158], v[2:3], v[26:27], -v[28:29]
	scratch_load_b128 v[26:29], off, off offset:432
	ds_load_b128 v[2:5], v1 offset:784
	s_waitcnt vmcnt(10) lgkmcnt(1)
	v_mul_f64 v[153:154], v[145:146], v[32:33]
	v_mul_f64 v[32:33], v[147:148], v[32:33]
	s_waitcnt vmcnt(9) lgkmcnt(0)
	v_mul_f64 v[159:160], v[2:3], v[40:41]
	v_mul_f64 v[40:41], v[4:5], v[40:41]
	v_add_f64 v[149:150], v[149:150], v[137:138]
	v_add_f64 v[151:152], v[151:152], v[139:140]
	ds_load_b128 v[137:140], v1 offset:800
	v_fma_f64 v[147:148], v[147:148], v[30:31], v[153:154]
	v_fma_f64 v[145:146], v[145:146], v[30:31], -v[32:33]
	scratch_load_b128 v[30:33], off, off offset:448
	v_add_f64 v[149:150], v[149:150], v[157:158]
	v_add_f64 v[151:152], v[151:152], v[155:156]
	v_fma_f64 v[157:158], v[4:5], v[38:39], v[159:160]
	v_fma_f64 v[159:160], v[2:3], v[38:39], -v[40:41]
	scratch_load_b128 v[38:41], off, off offset:464
	ds_load_b128 v[2:5], v1 offset:816
	s_waitcnt vmcnt(9) lgkmcnt(1)
	v_mul_f64 v[153:154], v[137:138], v[143:144]
	v_mul_f64 v[155:156], v[139:140], v[143:144]
	v_add_f64 v[149:150], v[149:150], v[145:146]
	v_add_f64 v[147:148], v[151:152], v[147:148]
	ds_load_b128 v[143:146], v1 offset:832
	v_fma_f64 v[139:140], v[139:140], v[141:142], v[153:154]
	v_fma_f64 v[137:138], v[137:138], v[141:142], -v[155:156]
	s_waitcnt vmcnt(8) lgkmcnt(1)
	v_mul_f64 v[151:152], v[2:3], v[36:37]
	v_mul_f64 v[36:37], v[4:5], v[36:37]
	v_add_f64 v[141:142], v[149:150], v[159:160]
	v_add_f64 v[147:148], v[147:148], v[157:158]
	s_delay_alu instid0(VALU_DEP_4) | instskip(NEXT) | instid1(VALU_DEP_4)
	v_fma_f64 v[151:152], v[4:5], v[34:35], v[151:152]
	v_fma_f64 v[153:154], v[2:3], v[34:35], -v[36:37]
	ds_load_b128 v[2:5], v1 offset:848
	ds_load_b128 v[34:37], v1 offset:864
	s_waitcnt vmcnt(7) lgkmcnt(2)
	v_mul_f64 v[149:150], v[143:144], v[8:9]
	v_mul_f64 v[8:9], v[145:146], v[8:9]
	v_add_f64 v[137:138], v[141:142], v[137:138]
	v_add_f64 v[139:140], v[147:148], v[139:140]
	s_waitcnt vmcnt(6) lgkmcnt(1)
	v_mul_f64 v[141:142], v[2:3], v[12:13]
	v_mul_f64 v[12:13], v[4:5], v[12:13]
	v_fma_f64 v[145:146], v[145:146], v[6:7], v[149:150]
	v_fma_f64 v[6:7], v[143:144], v[6:7], -v[8:9]
	v_add_f64 v[8:9], v[137:138], v[153:154]
	v_add_f64 v[137:138], v[139:140], v[151:152]
	s_waitcnt vmcnt(5) lgkmcnt(0)
	v_mul_f64 v[139:140], v[34:35], v[16:17]
	v_mul_f64 v[16:17], v[36:37], v[16:17]
	v_fma_f64 v[141:142], v[4:5], v[10:11], v[141:142]
	v_fma_f64 v[10:11], v[2:3], v[10:11], -v[12:13]
	v_add_f64 v[12:13], v[8:9], v[6:7]
	v_add_f64 v[137:138], v[137:138], v[145:146]
	ds_load_b128 v[2:5], v1 offset:880
	ds_load_b128 v[6:9], v1 offset:896
	v_fma_f64 v[36:37], v[36:37], v[14:15], v[139:140]
	v_fma_f64 v[14:15], v[34:35], v[14:15], -v[16:17]
	s_waitcnt vmcnt(4) lgkmcnt(1)
	v_mul_f64 v[143:144], v[2:3], v[20:21]
	v_mul_f64 v[20:21], v[4:5], v[20:21]
	s_waitcnt vmcnt(3) lgkmcnt(0)
	v_mul_f64 v[16:17], v[6:7], v[24:25]
	v_mul_f64 v[24:25], v[8:9], v[24:25]
	v_add_f64 v[10:11], v[12:13], v[10:11]
	v_add_f64 v[12:13], v[137:138], v[141:142]
	v_fma_f64 v[34:35], v[4:5], v[18:19], v[143:144]
	v_fma_f64 v[18:19], v[2:3], v[18:19], -v[20:21]
	v_fma_f64 v[8:9], v[8:9], v[22:23], v[16:17]
	v_fma_f64 v[6:7], v[6:7], v[22:23], -v[24:25]
	v_add_f64 v[14:15], v[10:11], v[14:15]
	v_add_f64 v[20:21], v[12:13], v[36:37]
	ds_load_b128 v[2:5], v1 offset:912
	ds_load_b128 v[10:13], v1 offset:928
	s_waitcnt vmcnt(2) lgkmcnt(1)
	v_mul_f64 v[36:37], v[2:3], v[28:29]
	v_mul_f64 v[28:29], v[4:5], v[28:29]
	v_add_f64 v[14:15], v[14:15], v[18:19]
	v_add_f64 v[16:17], v[20:21], v[34:35]
	s_waitcnt vmcnt(1) lgkmcnt(0)
	v_mul_f64 v[18:19], v[10:11], v[32:33]
	v_mul_f64 v[20:21], v[12:13], v[32:33]
	v_fma_f64 v[22:23], v[4:5], v[26:27], v[36:37]
	v_fma_f64 v[24:25], v[2:3], v[26:27], -v[28:29]
	ds_load_b128 v[2:5], v1 offset:944
	v_add_f64 v[6:7], v[14:15], v[6:7]
	v_add_f64 v[8:9], v[16:17], v[8:9]
	v_fma_f64 v[12:13], v[12:13], v[30:31], v[18:19]
	v_fma_f64 v[10:11], v[10:11], v[30:31], -v[20:21]
	s_waitcnt vmcnt(0) lgkmcnt(0)
	v_mul_f64 v[14:15], v[2:3], v[40:41]
	v_mul_f64 v[16:17], v[4:5], v[40:41]
	v_add_f64 v[6:7], v[6:7], v[24:25]
	v_add_f64 v[8:9], v[8:9], v[22:23]
	s_delay_alu instid0(VALU_DEP_4) | instskip(NEXT) | instid1(VALU_DEP_4)
	v_fma_f64 v[4:5], v[4:5], v[38:39], v[14:15]
	v_fma_f64 v[2:3], v[2:3], v[38:39], -v[16:17]
	s_delay_alu instid0(VALU_DEP_4) | instskip(NEXT) | instid1(VALU_DEP_4)
	v_add_f64 v[6:7], v[6:7], v[10:11]
	v_add_f64 v[8:9], v[8:9], v[12:13]
	s_delay_alu instid0(VALU_DEP_2) | instskip(NEXT) | instid1(VALU_DEP_2)
	v_add_f64 v[2:3], v[6:7], v[2:3]
	v_add_f64 v[4:5], v[8:9], v[4:5]
	s_delay_alu instid0(VALU_DEP_2) | instskip(NEXT) | instid1(VALU_DEP_2)
	v_add_f64 v[2:3], v[133:134], -v[2:3]
	v_add_f64 v[4:5], v[135:136], -v[4:5]
	scratch_store_b128 off, v[2:5], off offset:160
	v_cmpx_lt_u32_e32 9, v102
	s_cbranch_execz .LBB93_175
; %bb.174:
	scratch_load_b128 v[5:8], v120, off
	v_mov_b32_e32 v2, v1
	v_mov_b32_e32 v3, v1
	;; [unrolled: 1-line block ×3, first 2 shown]
	scratch_store_b128 off, v[1:4], off offset:144
	s_waitcnt vmcnt(0)
	ds_store_b128 v132, v[5:8]
.LBB93_175:
	s_or_b32 exec_lo, exec_lo, s2
	s_waitcnt lgkmcnt(0)
	s_waitcnt_vscnt null, 0x0
	s_barrier
	buffer_gl0_inv
	s_clause 0x8
	scratch_load_b128 v[2:5], off, off offset:160
	scratch_load_b128 v[6:9], off, off offset:176
	scratch_load_b128 v[10:13], off, off offset:192
	scratch_load_b128 v[14:17], off, off offset:208
	scratch_load_b128 v[18:21], off, off offset:224
	scratch_load_b128 v[22:25], off, off offset:240
	scratch_load_b128 v[26:29], off, off offset:256
	scratch_load_b128 v[30:33], off, off offset:272
	scratch_load_b128 v[34:37], off, off offset:288
	ds_load_b128 v[38:41], v1 offset:640
	ds_load_b128 v[133:136], v1 offset:656
	s_clause 0x1
	scratch_load_b128 v[137:140], off, off offset:144
	scratch_load_b128 v[141:144], off, off offset:304
	s_mov_b32 s2, exec_lo
	s_waitcnt vmcnt(10) lgkmcnt(1)
	v_mul_f64 v[145:146], v[40:41], v[4:5]
	v_mul_f64 v[4:5], v[38:39], v[4:5]
	s_waitcnt vmcnt(9) lgkmcnt(0)
	v_mul_f64 v[149:150], v[133:134], v[8:9]
	v_mul_f64 v[8:9], v[135:136], v[8:9]
	s_delay_alu instid0(VALU_DEP_4) | instskip(NEXT) | instid1(VALU_DEP_4)
	v_fma_f64 v[151:152], v[38:39], v[2:3], -v[145:146]
	v_fma_f64 v[153:154], v[40:41], v[2:3], v[4:5]
	ds_load_b128 v[2:5], v1 offset:672
	ds_load_b128 v[145:148], v1 offset:688
	scratch_load_b128 v[38:41], off, off offset:320
	v_fma_f64 v[135:136], v[135:136], v[6:7], v[149:150]
	v_fma_f64 v[133:134], v[133:134], v[6:7], -v[8:9]
	scratch_load_b128 v[6:9], off, off offset:336
	s_waitcnt vmcnt(10) lgkmcnt(1)
	v_mul_f64 v[155:156], v[2:3], v[12:13]
	v_mul_f64 v[12:13], v[4:5], v[12:13]
	v_add_f64 v[149:150], v[151:152], 0
	v_add_f64 v[151:152], v[153:154], 0
	s_waitcnt vmcnt(9) lgkmcnt(0)
	v_mul_f64 v[153:154], v[145:146], v[16:17]
	v_mul_f64 v[16:17], v[147:148], v[16:17]
	v_fma_f64 v[155:156], v[4:5], v[10:11], v[155:156]
	v_fma_f64 v[157:158], v[2:3], v[10:11], -v[12:13]
	ds_load_b128 v[2:5], v1 offset:704
	scratch_load_b128 v[10:13], off, off offset:352
	v_add_f64 v[149:150], v[149:150], v[133:134]
	v_add_f64 v[151:152], v[151:152], v[135:136]
	ds_load_b128 v[133:136], v1 offset:720
	v_fma_f64 v[147:148], v[147:148], v[14:15], v[153:154]
	v_fma_f64 v[145:146], v[145:146], v[14:15], -v[16:17]
	scratch_load_b128 v[14:17], off, off offset:368
	s_waitcnt vmcnt(10) lgkmcnt(1)
	v_mul_f64 v[159:160], v[2:3], v[20:21]
	v_mul_f64 v[20:21], v[4:5], v[20:21]
	s_waitcnt vmcnt(9) lgkmcnt(0)
	v_mul_f64 v[153:154], v[133:134], v[24:25]
	v_mul_f64 v[24:25], v[135:136], v[24:25]
	v_add_f64 v[149:150], v[149:150], v[157:158]
	v_add_f64 v[151:152], v[151:152], v[155:156]
	v_fma_f64 v[155:156], v[4:5], v[18:19], v[159:160]
	v_fma_f64 v[157:158], v[2:3], v[18:19], -v[20:21]
	ds_load_b128 v[2:5], v1 offset:736
	scratch_load_b128 v[18:21], off, off offset:384
	v_fma_f64 v[135:136], v[135:136], v[22:23], v[153:154]
	v_fma_f64 v[133:134], v[133:134], v[22:23], -v[24:25]
	scratch_load_b128 v[22:25], off, off offset:400
	v_add_f64 v[149:150], v[149:150], v[145:146]
	v_add_f64 v[151:152], v[151:152], v[147:148]
	ds_load_b128 v[145:148], v1 offset:752
	s_waitcnt vmcnt(10) lgkmcnt(1)
	v_mul_f64 v[159:160], v[2:3], v[28:29]
	v_mul_f64 v[28:29], v[4:5], v[28:29]
	s_waitcnt vmcnt(9) lgkmcnt(0)
	v_mul_f64 v[153:154], v[145:146], v[32:33]
	v_mul_f64 v[32:33], v[147:148], v[32:33]
	v_add_f64 v[149:150], v[149:150], v[157:158]
	v_add_f64 v[151:152], v[151:152], v[155:156]
	v_fma_f64 v[155:156], v[4:5], v[26:27], v[159:160]
	v_fma_f64 v[157:158], v[2:3], v[26:27], -v[28:29]
	ds_load_b128 v[2:5], v1 offset:768
	scratch_load_b128 v[26:29], off, off offset:416
	v_fma_f64 v[147:148], v[147:148], v[30:31], v[153:154]
	v_fma_f64 v[145:146], v[145:146], v[30:31], -v[32:33]
	scratch_load_b128 v[30:33], off, off offset:432
	v_add_f64 v[149:150], v[149:150], v[133:134]
	v_add_f64 v[151:152], v[151:152], v[135:136]
	ds_load_b128 v[133:136], v1 offset:784
	s_waitcnt vmcnt(10) lgkmcnt(1)
	v_mul_f64 v[159:160], v[2:3], v[36:37]
	v_mul_f64 v[36:37], v[4:5], v[36:37]
	s_waitcnt vmcnt(8) lgkmcnt(0)
	v_mul_f64 v[153:154], v[133:134], v[143:144]
	v_add_f64 v[149:150], v[149:150], v[157:158]
	v_add_f64 v[151:152], v[151:152], v[155:156]
	v_mul_f64 v[155:156], v[135:136], v[143:144]
	v_fma_f64 v[157:158], v[4:5], v[34:35], v[159:160]
	v_fma_f64 v[159:160], v[2:3], v[34:35], -v[36:37]
	ds_load_b128 v[2:5], v1 offset:800
	scratch_load_b128 v[34:37], off, off offset:448
	v_fma_f64 v[153:154], v[135:136], v[141:142], v[153:154]
	v_add_f64 v[149:150], v[149:150], v[145:146]
	v_add_f64 v[147:148], v[151:152], v[147:148]
	ds_load_b128 v[143:146], v1 offset:816
	v_fma_f64 v[141:142], v[133:134], v[141:142], -v[155:156]
	scratch_load_b128 v[133:136], off, off offset:464
	s_waitcnt vmcnt(9) lgkmcnt(1)
	v_mul_f64 v[151:152], v[2:3], v[40:41]
	v_mul_f64 v[40:41], v[4:5], v[40:41]
	s_waitcnt vmcnt(8) lgkmcnt(0)
	v_mul_f64 v[155:156], v[143:144], v[8:9]
	v_mul_f64 v[8:9], v[145:146], v[8:9]
	v_add_f64 v[149:150], v[149:150], v[159:160]
	v_add_f64 v[147:148], v[147:148], v[157:158]
	v_fma_f64 v[151:152], v[4:5], v[38:39], v[151:152]
	v_fma_f64 v[157:158], v[2:3], v[38:39], -v[40:41]
	ds_load_b128 v[2:5], v1 offset:832
	ds_load_b128 v[38:41], v1 offset:848
	v_fma_f64 v[145:146], v[145:146], v[6:7], v[155:156]
	v_fma_f64 v[6:7], v[143:144], v[6:7], -v[8:9]
	v_add_f64 v[141:142], v[149:150], v[141:142]
	v_add_f64 v[147:148], v[147:148], v[153:154]
	s_waitcnt vmcnt(7) lgkmcnt(1)
	v_mul_f64 v[149:150], v[2:3], v[12:13]
	v_mul_f64 v[12:13], v[4:5], v[12:13]
	s_waitcnt vmcnt(6) lgkmcnt(0)
	v_mul_f64 v[143:144], v[38:39], v[16:17]
	v_mul_f64 v[16:17], v[40:41], v[16:17]
	v_add_f64 v[8:9], v[141:142], v[157:158]
	v_add_f64 v[141:142], v[147:148], v[151:152]
	v_fma_f64 v[147:148], v[4:5], v[10:11], v[149:150]
	v_fma_f64 v[10:11], v[2:3], v[10:11], -v[12:13]
	v_fma_f64 v[40:41], v[40:41], v[14:15], v[143:144]
	v_fma_f64 v[14:15], v[38:39], v[14:15], -v[16:17]
	v_add_f64 v[12:13], v[8:9], v[6:7]
	v_add_f64 v[141:142], v[141:142], v[145:146]
	ds_load_b128 v[2:5], v1 offset:864
	ds_load_b128 v[6:9], v1 offset:880
	s_waitcnt vmcnt(5) lgkmcnt(1)
	v_mul_f64 v[145:146], v[2:3], v[20:21]
	v_mul_f64 v[20:21], v[4:5], v[20:21]
	s_waitcnt vmcnt(4) lgkmcnt(0)
	v_mul_f64 v[16:17], v[6:7], v[24:25]
	v_mul_f64 v[24:25], v[8:9], v[24:25]
	v_add_f64 v[10:11], v[12:13], v[10:11]
	v_add_f64 v[12:13], v[141:142], v[147:148]
	v_fma_f64 v[38:39], v[4:5], v[18:19], v[145:146]
	v_fma_f64 v[18:19], v[2:3], v[18:19], -v[20:21]
	v_fma_f64 v[8:9], v[8:9], v[22:23], v[16:17]
	v_fma_f64 v[6:7], v[6:7], v[22:23], -v[24:25]
	v_add_f64 v[14:15], v[10:11], v[14:15]
	v_add_f64 v[20:21], v[12:13], v[40:41]
	ds_load_b128 v[2:5], v1 offset:896
	ds_load_b128 v[10:13], v1 offset:912
	s_waitcnt vmcnt(3) lgkmcnt(1)
	v_mul_f64 v[40:41], v[2:3], v[28:29]
	v_mul_f64 v[28:29], v[4:5], v[28:29]
	v_add_f64 v[14:15], v[14:15], v[18:19]
	v_add_f64 v[16:17], v[20:21], v[38:39]
	s_waitcnt vmcnt(2) lgkmcnt(0)
	v_mul_f64 v[18:19], v[10:11], v[32:33]
	v_mul_f64 v[20:21], v[12:13], v[32:33]
	v_fma_f64 v[22:23], v[4:5], v[26:27], v[40:41]
	v_fma_f64 v[24:25], v[2:3], v[26:27], -v[28:29]
	v_add_f64 v[14:15], v[14:15], v[6:7]
	v_add_f64 v[16:17], v[16:17], v[8:9]
	ds_load_b128 v[2:5], v1 offset:928
	ds_load_b128 v[6:9], v1 offset:944
	v_fma_f64 v[12:13], v[12:13], v[30:31], v[18:19]
	v_fma_f64 v[10:11], v[10:11], v[30:31], -v[20:21]
	s_waitcnt vmcnt(1) lgkmcnt(1)
	v_mul_f64 v[26:27], v[2:3], v[36:37]
	v_mul_f64 v[28:29], v[4:5], v[36:37]
	s_waitcnt vmcnt(0) lgkmcnt(0)
	v_mul_f64 v[18:19], v[6:7], v[135:136]
	v_mul_f64 v[20:21], v[8:9], v[135:136]
	v_add_f64 v[14:15], v[14:15], v[24:25]
	v_add_f64 v[16:17], v[16:17], v[22:23]
	v_fma_f64 v[4:5], v[4:5], v[34:35], v[26:27]
	v_fma_f64 v[1:2], v[2:3], v[34:35], -v[28:29]
	v_fma_f64 v[8:9], v[8:9], v[133:134], v[18:19]
	v_fma_f64 v[6:7], v[6:7], v[133:134], -v[20:21]
	v_add_f64 v[10:11], v[14:15], v[10:11]
	v_add_f64 v[12:13], v[16:17], v[12:13]
	s_delay_alu instid0(VALU_DEP_2) | instskip(NEXT) | instid1(VALU_DEP_2)
	v_add_f64 v[1:2], v[10:11], v[1:2]
	v_add_f64 v[3:4], v[12:13], v[4:5]
	s_delay_alu instid0(VALU_DEP_2) | instskip(NEXT) | instid1(VALU_DEP_2)
	;; [unrolled: 3-line block ×3, first 2 shown]
	v_add_f64 v[1:2], v[137:138], -v[1:2]
	v_add_f64 v[3:4], v[139:140], -v[3:4]
	scratch_store_b128 off, v[1:4], off offset:144
	v_cmpx_lt_u32_e32 8, v102
	s_cbranch_execz .LBB93_177
; %bb.176:
	scratch_load_b128 v[1:4], v121, off
	v_mov_b32_e32 v5, 0
	s_delay_alu instid0(VALU_DEP_1)
	v_mov_b32_e32 v6, v5
	v_mov_b32_e32 v7, v5
	;; [unrolled: 1-line block ×3, first 2 shown]
	scratch_store_b128 off, v[5:8], off offset:128
	s_waitcnt vmcnt(0)
	ds_store_b128 v132, v[1:4]
.LBB93_177:
	s_or_b32 exec_lo, exec_lo, s2
	s_waitcnt lgkmcnt(0)
	s_waitcnt_vscnt null, 0x0
	s_barrier
	buffer_gl0_inv
	s_clause 0x7
	scratch_load_b128 v[2:5], off, off offset:144
	scratch_load_b128 v[6:9], off, off offset:160
	;; [unrolled: 1-line block ×8, first 2 shown]
	v_mov_b32_e32 v1, 0
	s_mov_b32 s2, exec_lo
	ds_load_b128 v[34:37], v1 offset:624
	s_clause 0x1
	scratch_load_b128 v[38:41], off, off offset:272
	scratch_load_b128 v[133:136], off, off offset:128
	ds_load_b128 v[137:140], v1 offset:640
	scratch_load_b128 v[141:144], off, off offset:288
	s_waitcnt vmcnt(10) lgkmcnt(1)
	v_mul_f64 v[145:146], v[36:37], v[4:5]
	v_mul_f64 v[4:5], v[34:35], v[4:5]
	s_delay_alu instid0(VALU_DEP_2) | instskip(NEXT) | instid1(VALU_DEP_2)
	v_fma_f64 v[151:152], v[34:35], v[2:3], -v[145:146]
	v_fma_f64 v[153:154], v[36:37], v[2:3], v[4:5]
	scratch_load_b128 v[34:37], off, off offset:304
	ds_load_b128 v[2:5], v1 offset:656
	s_waitcnt vmcnt(10) lgkmcnt(1)
	v_mul_f64 v[149:150], v[137:138], v[8:9]
	v_mul_f64 v[8:9], v[139:140], v[8:9]
	ds_load_b128 v[145:148], v1 offset:672
	s_waitcnt vmcnt(9) lgkmcnt(1)
	v_mul_f64 v[155:156], v[2:3], v[12:13]
	v_mul_f64 v[12:13], v[4:5], v[12:13]
	v_fma_f64 v[139:140], v[139:140], v[6:7], v[149:150]
	v_fma_f64 v[137:138], v[137:138], v[6:7], -v[8:9]
	v_add_f64 v[149:150], v[151:152], 0
	v_add_f64 v[151:152], v[153:154], 0
	scratch_load_b128 v[6:9], off, off offset:320
	v_fma_f64 v[155:156], v[4:5], v[10:11], v[155:156]
	v_fma_f64 v[157:158], v[2:3], v[10:11], -v[12:13]
	scratch_load_b128 v[10:13], off, off offset:336
	ds_load_b128 v[2:5], v1 offset:688
	s_waitcnt vmcnt(10) lgkmcnt(1)
	v_mul_f64 v[153:154], v[145:146], v[16:17]
	v_mul_f64 v[16:17], v[147:148], v[16:17]
	v_add_f64 v[149:150], v[149:150], v[137:138]
	v_add_f64 v[151:152], v[151:152], v[139:140]
	s_waitcnt vmcnt(9) lgkmcnt(0)
	v_mul_f64 v[159:160], v[2:3], v[20:21]
	v_mul_f64 v[20:21], v[4:5], v[20:21]
	ds_load_b128 v[137:140], v1 offset:704
	v_fma_f64 v[147:148], v[147:148], v[14:15], v[153:154]
	v_fma_f64 v[145:146], v[145:146], v[14:15], -v[16:17]
	scratch_load_b128 v[14:17], off, off offset:352
	v_add_f64 v[149:150], v[149:150], v[157:158]
	v_add_f64 v[151:152], v[151:152], v[155:156]
	v_fma_f64 v[155:156], v[4:5], v[18:19], v[159:160]
	v_fma_f64 v[157:158], v[2:3], v[18:19], -v[20:21]
	scratch_load_b128 v[18:21], off, off offset:368
	ds_load_b128 v[2:5], v1 offset:720
	s_waitcnt vmcnt(10) lgkmcnt(1)
	v_mul_f64 v[153:154], v[137:138], v[24:25]
	v_mul_f64 v[24:25], v[139:140], v[24:25]
	s_waitcnt vmcnt(9) lgkmcnt(0)
	v_mul_f64 v[159:160], v[2:3], v[28:29]
	v_mul_f64 v[28:29], v[4:5], v[28:29]
	v_add_f64 v[149:150], v[149:150], v[145:146]
	v_add_f64 v[151:152], v[151:152], v[147:148]
	ds_load_b128 v[145:148], v1 offset:736
	v_fma_f64 v[139:140], v[139:140], v[22:23], v[153:154]
	v_fma_f64 v[137:138], v[137:138], v[22:23], -v[24:25]
	scratch_load_b128 v[22:25], off, off offset:384
	v_add_f64 v[149:150], v[149:150], v[157:158]
	v_add_f64 v[151:152], v[151:152], v[155:156]
	v_fma_f64 v[155:156], v[4:5], v[26:27], v[159:160]
	v_fma_f64 v[157:158], v[2:3], v[26:27], -v[28:29]
	scratch_load_b128 v[26:29], off, off offset:400
	ds_load_b128 v[2:5], v1 offset:752
	s_waitcnt vmcnt(10) lgkmcnt(1)
	v_mul_f64 v[153:154], v[145:146], v[32:33]
	v_mul_f64 v[32:33], v[147:148], v[32:33]
	s_waitcnt vmcnt(9) lgkmcnt(0)
	v_mul_f64 v[159:160], v[2:3], v[40:41]
	v_mul_f64 v[40:41], v[4:5], v[40:41]
	v_add_f64 v[149:150], v[149:150], v[137:138]
	v_add_f64 v[151:152], v[151:152], v[139:140]
	ds_load_b128 v[137:140], v1 offset:768
	v_fma_f64 v[147:148], v[147:148], v[30:31], v[153:154]
	v_fma_f64 v[145:146], v[145:146], v[30:31], -v[32:33]
	scratch_load_b128 v[30:33], off, off offset:416
	v_add_f64 v[149:150], v[149:150], v[157:158]
	v_add_f64 v[151:152], v[151:152], v[155:156]
	v_fma_f64 v[157:158], v[4:5], v[38:39], v[159:160]
	v_fma_f64 v[159:160], v[2:3], v[38:39], -v[40:41]
	scratch_load_b128 v[38:41], off, off offset:432
	ds_load_b128 v[2:5], v1 offset:784
	s_waitcnt vmcnt(9) lgkmcnt(1)
	v_mul_f64 v[153:154], v[137:138], v[143:144]
	v_mul_f64 v[155:156], v[139:140], v[143:144]
	v_add_f64 v[149:150], v[149:150], v[145:146]
	v_add_f64 v[147:148], v[151:152], v[147:148]
	ds_load_b128 v[143:146], v1 offset:800
	v_fma_f64 v[153:154], v[139:140], v[141:142], v[153:154]
	v_fma_f64 v[141:142], v[137:138], v[141:142], -v[155:156]
	scratch_load_b128 v[137:140], off, off offset:448
	s_waitcnt vmcnt(9) lgkmcnt(1)
	v_mul_f64 v[151:152], v[2:3], v[36:37]
	v_mul_f64 v[36:37], v[4:5], v[36:37]
	v_add_f64 v[149:150], v[149:150], v[159:160]
	v_add_f64 v[147:148], v[147:148], v[157:158]
	s_delay_alu instid0(VALU_DEP_4) | instskip(NEXT) | instid1(VALU_DEP_4)
	v_fma_f64 v[151:152], v[4:5], v[34:35], v[151:152]
	v_fma_f64 v[157:158], v[2:3], v[34:35], -v[36:37]
	scratch_load_b128 v[34:37], off, off offset:464
	ds_load_b128 v[2:5], v1 offset:816
	s_waitcnt vmcnt(9) lgkmcnt(1)
	v_mul_f64 v[155:156], v[143:144], v[8:9]
	v_mul_f64 v[8:9], v[145:146], v[8:9]
	s_waitcnt vmcnt(8) lgkmcnt(0)
	v_mul_f64 v[159:160], v[2:3], v[12:13]
	v_mul_f64 v[12:13], v[4:5], v[12:13]
	v_add_f64 v[141:142], v[149:150], v[141:142]
	v_add_f64 v[153:154], v[147:148], v[153:154]
	ds_load_b128 v[147:150], v1 offset:832
	v_fma_f64 v[145:146], v[145:146], v[6:7], v[155:156]
	v_fma_f64 v[6:7], v[143:144], v[6:7], -v[8:9]
	v_add_f64 v[8:9], v[141:142], v[157:158]
	v_add_f64 v[141:142], v[153:154], v[151:152]
	s_waitcnt vmcnt(7) lgkmcnt(0)
	v_mul_f64 v[143:144], v[147:148], v[16:17]
	v_mul_f64 v[16:17], v[149:150], v[16:17]
	v_fma_f64 v[151:152], v[4:5], v[10:11], v[159:160]
	v_fma_f64 v[10:11], v[2:3], v[10:11], -v[12:13]
	v_add_f64 v[12:13], v[8:9], v[6:7]
	v_add_f64 v[141:142], v[141:142], v[145:146]
	ds_load_b128 v[2:5], v1 offset:848
	ds_load_b128 v[6:9], v1 offset:864
	v_fma_f64 v[143:144], v[149:150], v[14:15], v[143:144]
	v_fma_f64 v[14:15], v[147:148], v[14:15], -v[16:17]
	s_waitcnt vmcnt(6) lgkmcnt(1)
	v_mul_f64 v[145:146], v[2:3], v[20:21]
	v_mul_f64 v[20:21], v[4:5], v[20:21]
	s_waitcnt vmcnt(5) lgkmcnt(0)
	v_mul_f64 v[16:17], v[6:7], v[24:25]
	v_mul_f64 v[24:25], v[8:9], v[24:25]
	v_add_f64 v[10:11], v[12:13], v[10:11]
	v_add_f64 v[12:13], v[141:142], v[151:152]
	v_fma_f64 v[141:142], v[4:5], v[18:19], v[145:146]
	v_fma_f64 v[18:19], v[2:3], v[18:19], -v[20:21]
	v_fma_f64 v[8:9], v[8:9], v[22:23], v[16:17]
	v_fma_f64 v[6:7], v[6:7], v[22:23], -v[24:25]
	v_add_f64 v[14:15], v[10:11], v[14:15]
	v_add_f64 v[20:21], v[12:13], v[143:144]
	ds_load_b128 v[2:5], v1 offset:880
	ds_load_b128 v[10:13], v1 offset:896
	s_waitcnt vmcnt(4) lgkmcnt(1)
	v_mul_f64 v[143:144], v[2:3], v[28:29]
	v_mul_f64 v[28:29], v[4:5], v[28:29]
	v_add_f64 v[14:15], v[14:15], v[18:19]
	v_add_f64 v[16:17], v[20:21], v[141:142]
	s_waitcnt vmcnt(3) lgkmcnt(0)
	v_mul_f64 v[18:19], v[10:11], v[32:33]
	v_mul_f64 v[20:21], v[12:13], v[32:33]
	v_fma_f64 v[22:23], v[4:5], v[26:27], v[143:144]
	v_fma_f64 v[24:25], v[2:3], v[26:27], -v[28:29]
	v_add_f64 v[14:15], v[14:15], v[6:7]
	v_add_f64 v[16:17], v[16:17], v[8:9]
	ds_load_b128 v[2:5], v1 offset:912
	ds_load_b128 v[6:9], v1 offset:928
	v_fma_f64 v[12:13], v[12:13], v[30:31], v[18:19]
	v_fma_f64 v[10:11], v[10:11], v[30:31], -v[20:21]
	s_waitcnt vmcnt(2) lgkmcnt(1)
	v_mul_f64 v[26:27], v[2:3], v[40:41]
	v_mul_f64 v[28:29], v[4:5], v[40:41]
	s_waitcnt vmcnt(1) lgkmcnt(0)
	v_mul_f64 v[18:19], v[6:7], v[139:140]
	v_mul_f64 v[20:21], v[8:9], v[139:140]
	v_add_f64 v[14:15], v[14:15], v[24:25]
	v_add_f64 v[16:17], v[16:17], v[22:23]
	v_fma_f64 v[22:23], v[4:5], v[38:39], v[26:27]
	v_fma_f64 v[24:25], v[2:3], v[38:39], -v[28:29]
	ds_load_b128 v[2:5], v1 offset:944
	v_fma_f64 v[8:9], v[8:9], v[137:138], v[18:19]
	v_fma_f64 v[6:7], v[6:7], v[137:138], -v[20:21]
	v_add_f64 v[10:11], v[14:15], v[10:11]
	v_add_f64 v[12:13], v[16:17], v[12:13]
	s_waitcnt vmcnt(0) lgkmcnt(0)
	v_mul_f64 v[14:15], v[2:3], v[36:37]
	v_mul_f64 v[16:17], v[4:5], v[36:37]
	s_delay_alu instid0(VALU_DEP_4) | instskip(NEXT) | instid1(VALU_DEP_4)
	v_add_f64 v[10:11], v[10:11], v[24:25]
	v_add_f64 v[12:13], v[12:13], v[22:23]
	s_delay_alu instid0(VALU_DEP_4) | instskip(NEXT) | instid1(VALU_DEP_4)
	v_fma_f64 v[4:5], v[4:5], v[34:35], v[14:15]
	v_fma_f64 v[2:3], v[2:3], v[34:35], -v[16:17]
	s_delay_alu instid0(VALU_DEP_4) | instskip(NEXT) | instid1(VALU_DEP_4)
	v_add_f64 v[6:7], v[10:11], v[6:7]
	v_add_f64 v[8:9], v[12:13], v[8:9]
	s_delay_alu instid0(VALU_DEP_2) | instskip(NEXT) | instid1(VALU_DEP_2)
	v_add_f64 v[2:3], v[6:7], v[2:3]
	v_add_f64 v[4:5], v[8:9], v[4:5]
	s_delay_alu instid0(VALU_DEP_2) | instskip(NEXT) | instid1(VALU_DEP_2)
	v_add_f64 v[2:3], v[133:134], -v[2:3]
	v_add_f64 v[4:5], v[135:136], -v[4:5]
	scratch_store_b128 off, v[2:5], off offset:128
	v_cmpx_lt_u32_e32 7, v102
	s_cbranch_execz .LBB93_179
; %bb.178:
	scratch_load_b128 v[5:8], v123, off
	v_mov_b32_e32 v2, v1
	v_mov_b32_e32 v3, v1
	;; [unrolled: 1-line block ×3, first 2 shown]
	scratch_store_b128 off, v[1:4], off offset:112
	s_waitcnt vmcnt(0)
	ds_store_b128 v132, v[5:8]
.LBB93_179:
	s_or_b32 exec_lo, exec_lo, s2
	s_waitcnt lgkmcnt(0)
	s_waitcnt_vscnt null, 0x0
	s_barrier
	buffer_gl0_inv
	s_clause 0x8
	scratch_load_b128 v[2:5], off, off offset:128
	scratch_load_b128 v[6:9], off, off offset:144
	;; [unrolled: 1-line block ×9, first 2 shown]
	ds_load_b128 v[38:41], v1 offset:608
	ds_load_b128 v[133:136], v1 offset:624
	s_clause 0x1
	scratch_load_b128 v[137:140], off, off offset:112
	scratch_load_b128 v[141:144], off, off offset:272
	s_mov_b32 s2, exec_lo
	s_waitcnt vmcnt(10) lgkmcnt(1)
	v_mul_f64 v[145:146], v[40:41], v[4:5]
	v_mul_f64 v[4:5], v[38:39], v[4:5]
	s_waitcnt vmcnt(9) lgkmcnt(0)
	v_mul_f64 v[149:150], v[133:134], v[8:9]
	v_mul_f64 v[8:9], v[135:136], v[8:9]
	s_delay_alu instid0(VALU_DEP_4) | instskip(NEXT) | instid1(VALU_DEP_4)
	v_fma_f64 v[151:152], v[38:39], v[2:3], -v[145:146]
	v_fma_f64 v[153:154], v[40:41], v[2:3], v[4:5]
	ds_load_b128 v[2:5], v1 offset:640
	ds_load_b128 v[145:148], v1 offset:656
	scratch_load_b128 v[38:41], off, off offset:288
	v_fma_f64 v[135:136], v[135:136], v[6:7], v[149:150]
	v_fma_f64 v[133:134], v[133:134], v[6:7], -v[8:9]
	scratch_load_b128 v[6:9], off, off offset:304
	s_waitcnt vmcnt(10) lgkmcnt(1)
	v_mul_f64 v[155:156], v[2:3], v[12:13]
	v_mul_f64 v[12:13], v[4:5], v[12:13]
	v_add_f64 v[149:150], v[151:152], 0
	v_add_f64 v[151:152], v[153:154], 0
	s_waitcnt vmcnt(9) lgkmcnt(0)
	v_mul_f64 v[153:154], v[145:146], v[16:17]
	v_mul_f64 v[16:17], v[147:148], v[16:17]
	v_fma_f64 v[155:156], v[4:5], v[10:11], v[155:156]
	v_fma_f64 v[157:158], v[2:3], v[10:11], -v[12:13]
	ds_load_b128 v[2:5], v1 offset:672
	scratch_load_b128 v[10:13], off, off offset:320
	v_add_f64 v[149:150], v[149:150], v[133:134]
	v_add_f64 v[151:152], v[151:152], v[135:136]
	ds_load_b128 v[133:136], v1 offset:688
	v_fma_f64 v[147:148], v[147:148], v[14:15], v[153:154]
	v_fma_f64 v[145:146], v[145:146], v[14:15], -v[16:17]
	scratch_load_b128 v[14:17], off, off offset:336
	s_waitcnt vmcnt(10) lgkmcnt(1)
	v_mul_f64 v[159:160], v[2:3], v[20:21]
	v_mul_f64 v[20:21], v[4:5], v[20:21]
	s_waitcnt vmcnt(9) lgkmcnt(0)
	v_mul_f64 v[153:154], v[133:134], v[24:25]
	v_mul_f64 v[24:25], v[135:136], v[24:25]
	v_add_f64 v[149:150], v[149:150], v[157:158]
	v_add_f64 v[151:152], v[151:152], v[155:156]
	v_fma_f64 v[155:156], v[4:5], v[18:19], v[159:160]
	v_fma_f64 v[157:158], v[2:3], v[18:19], -v[20:21]
	ds_load_b128 v[2:5], v1 offset:704
	scratch_load_b128 v[18:21], off, off offset:352
	v_fma_f64 v[135:136], v[135:136], v[22:23], v[153:154]
	v_fma_f64 v[133:134], v[133:134], v[22:23], -v[24:25]
	scratch_load_b128 v[22:25], off, off offset:368
	v_add_f64 v[149:150], v[149:150], v[145:146]
	v_add_f64 v[151:152], v[151:152], v[147:148]
	ds_load_b128 v[145:148], v1 offset:720
	s_waitcnt vmcnt(10) lgkmcnt(1)
	v_mul_f64 v[159:160], v[2:3], v[28:29]
	v_mul_f64 v[28:29], v[4:5], v[28:29]
	s_waitcnt vmcnt(9) lgkmcnt(0)
	v_mul_f64 v[153:154], v[145:146], v[32:33]
	v_mul_f64 v[32:33], v[147:148], v[32:33]
	v_add_f64 v[149:150], v[149:150], v[157:158]
	v_add_f64 v[151:152], v[151:152], v[155:156]
	v_fma_f64 v[155:156], v[4:5], v[26:27], v[159:160]
	v_fma_f64 v[157:158], v[2:3], v[26:27], -v[28:29]
	ds_load_b128 v[2:5], v1 offset:736
	scratch_load_b128 v[26:29], off, off offset:384
	v_fma_f64 v[147:148], v[147:148], v[30:31], v[153:154]
	v_fma_f64 v[145:146], v[145:146], v[30:31], -v[32:33]
	scratch_load_b128 v[30:33], off, off offset:400
	v_add_f64 v[149:150], v[149:150], v[133:134]
	v_add_f64 v[151:152], v[151:152], v[135:136]
	ds_load_b128 v[133:136], v1 offset:752
	s_waitcnt vmcnt(10) lgkmcnt(1)
	v_mul_f64 v[159:160], v[2:3], v[36:37]
	v_mul_f64 v[36:37], v[4:5], v[36:37]
	s_waitcnt vmcnt(8) lgkmcnt(0)
	v_mul_f64 v[153:154], v[133:134], v[143:144]
	v_add_f64 v[149:150], v[149:150], v[157:158]
	v_add_f64 v[151:152], v[151:152], v[155:156]
	v_mul_f64 v[155:156], v[135:136], v[143:144]
	v_fma_f64 v[157:158], v[4:5], v[34:35], v[159:160]
	v_fma_f64 v[159:160], v[2:3], v[34:35], -v[36:37]
	ds_load_b128 v[2:5], v1 offset:768
	scratch_load_b128 v[34:37], off, off offset:416
	v_fma_f64 v[153:154], v[135:136], v[141:142], v[153:154]
	v_add_f64 v[149:150], v[149:150], v[145:146]
	v_add_f64 v[147:148], v[151:152], v[147:148]
	ds_load_b128 v[143:146], v1 offset:784
	v_fma_f64 v[141:142], v[133:134], v[141:142], -v[155:156]
	scratch_load_b128 v[133:136], off, off offset:432
	s_waitcnt vmcnt(9) lgkmcnt(1)
	v_mul_f64 v[151:152], v[2:3], v[40:41]
	v_mul_f64 v[40:41], v[4:5], v[40:41]
	s_waitcnt vmcnt(8) lgkmcnt(0)
	v_mul_f64 v[155:156], v[143:144], v[8:9]
	v_mul_f64 v[8:9], v[145:146], v[8:9]
	v_add_f64 v[149:150], v[149:150], v[159:160]
	v_add_f64 v[147:148], v[147:148], v[157:158]
	v_fma_f64 v[151:152], v[4:5], v[38:39], v[151:152]
	v_fma_f64 v[157:158], v[2:3], v[38:39], -v[40:41]
	ds_load_b128 v[2:5], v1 offset:800
	scratch_load_b128 v[38:41], off, off offset:448
	v_fma_f64 v[145:146], v[145:146], v[6:7], v[155:156]
	v_fma_f64 v[143:144], v[143:144], v[6:7], -v[8:9]
	scratch_load_b128 v[6:9], off, off offset:464
	v_add_f64 v[141:142], v[149:150], v[141:142]
	v_add_f64 v[153:154], v[147:148], v[153:154]
	ds_load_b128 v[147:150], v1 offset:816
	s_waitcnt vmcnt(9) lgkmcnt(1)
	v_mul_f64 v[159:160], v[2:3], v[12:13]
	v_mul_f64 v[12:13], v[4:5], v[12:13]
	v_add_f64 v[141:142], v[141:142], v[157:158]
	v_add_f64 v[151:152], v[153:154], v[151:152]
	s_waitcnt vmcnt(8) lgkmcnt(0)
	v_mul_f64 v[153:154], v[147:148], v[16:17]
	v_mul_f64 v[16:17], v[149:150], v[16:17]
	v_fma_f64 v[155:156], v[4:5], v[10:11], v[159:160]
	v_fma_f64 v[157:158], v[2:3], v[10:11], -v[12:13]
	ds_load_b128 v[2:5], v1 offset:832
	ds_load_b128 v[10:13], v1 offset:848
	v_add_f64 v[141:142], v[141:142], v[143:144]
	v_add_f64 v[143:144], v[151:152], v[145:146]
	s_waitcnt vmcnt(7) lgkmcnt(1)
	v_mul_f64 v[145:146], v[2:3], v[20:21]
	v_mul_f64 v[20:21], v[4:5], v[20:21]
	v_fma_f64 v[149:150], v[149:150], v[14:15], v[153:154]
	v_fma_f64 v[14:15], v[147:148], v[14:15], -v[16:17]
	v_add_f64 v[16:17], v[141:142], v[157:158]
	v_add_f64 v[141:142], v[143:144], v[155:156]
	s_waitcnt vmcnt(6) lgkmcnt(0)
	v_mul_f64 v[143:144], v[10:11], v[24:25]
	v_mul_f64 v[24:25], v[12:13], v[24:25]
	v_fma_f64 v[145:146], v[4:5], v[18:19], v[145:146]
	v_fma_f64 v[18:19], v[2:3], v[18:19], -v[20:21]
	v_add_f64 v[20:21], v[16:17], v[14:15]
	v_add_f64 v[141:142], v[141:142], v[149:150]
	ds_load_b128 v[2:5], v1 offset:864
	ds_load_b128 v[14:17], v1 offset:880
	v_fma_f64 v[12:13], v[12:13], v[22:23], v[143:144]
	v_fma_f64 v[10:11], v[10:11], v[22:23], -v[24:25]
	s_waitcnt vmcnt(5) lgkmcnt(1)
	v_mul_f64 v[147:148], v[2:3], v[28:29]
	v_mul_f64 v[28:29], v[4:5], v[28:29]
	s_waitcnt vmcnt(4) lgkmcnt(0)
	v_mul_f64 v[22:23], v[14:15], v[32:33]
	v_mul_f64 v[24:25], v[16:17], v[32:33]
	v_add_f64 v[18:19], v[20:21], v[18:19]
	v_add_f64 v[20:21], v[141:142], v[145:146]
	v_fma_f64 v[32:33], v[4:5], v[26:27], v[147:148]
	v_fma_f64 v[26:27], v[2:3], v[26:27], -v[28:29]
	v_fma_f64 v[16:17], v[16:17], v[30:31], v[22:23]
	v_fma_f64 v[14:15], v[14:15], v[30:31], -v[24:25]
	v_add_f64 v[18:19], v[18:19], v[10:11]
	v_add_f64 v[20:21], v[20:21], v[12:13]
	ds_load_b128 v[2:5], v1 offset:896
	ds_load_b128 v[10:13], v1 offset:912
	s_waitcnt vmcnt(3) lgkmcnt(1)
	v_mul_f64 v[28:29], v[2:3], v[36:37]
	v_mul_f64 v[36:37], v[4:5], v[36:37]
	s_waitcnt vmcnt(2) lgkmcnt(0)
	v_mul_f64 v[22:23], v[10:11], v[135:136]
	v_mul_f64 v[24:25], v[12:13], v[135:136]
	v_add_f64 v[18:19], v[18:19], v[26:27]
	v_add_f64 v[20:21], v[20:21], v[32:33]
	v_fma_f64 v[26:27], v[4:5], v[34:35], v[28:29]
	v_fma_f64 v[28:29], v[2:3], v[34:35], -v[36:37]
	v_fma_f64 v[12:13], v[12:13], v[133:134], v[22:23]
	v_fma_f64 v[10:11], v[10:11], v[133:134], -v[24:25]
	v_add_f64 v[18:19], v[18:19], v[14:15]
	v_add_f64 v[20:21], v[20:21], v[16:17]
	ds_load_b128 v[2:5], v1 offset:928
	ds_load_b128 v[14:17], v1 offset:944
	s_waitcnt vmcnt(1) lgkmcnt(1)
	v_mul_f64 v[30:31], v[2:3], v[40:41]
	v_mul_f64 v[32:33], v[4:5], v[40:41]
	s_waitcnt vmcnt(0) lgkmcnt(0)
	v_mul_f64 v[22:23], v[14:15], v[8:9]
	v_mul_f64 v[8:9], v[16:17], v[8:9]
	v_add_f64 v[18:19], v[18:19], v[28:29]
	v_add_f64 v[20:21], v[20:21], v[26:27]
	v_fma_f64 v[4:5], v[4:5], v[38:39], v[30:31]
	v_fma_f64 v[1:2], v[2:3], v[38:39], -v[32:33]
	v_fma_f64 v[16:17], v[16:17], v[6:7], v[22:23]
	v_fma_f64 v[6:7], v[14:15], v[6:7], -v[8:9]
	v_add_f64 v[10:11], v[18:19], v[10:11]
	v_add_f64 v[12:13], v[20:21], v[12:13]
	s_delay_alu instid0(VALU_DEP_2) | instskip(NEXT) | instid1(VALU_DEP_2)
	v_add_f64 v[1:2], v[10:11], v[1:2]
	v_add_f64 v[3:4], v[12:13], v[4:5]
	s_delay_alu instid0(VALU_DEP_2) | instskip(NEXT) | instid1(VALU_DEP_2)
	;; [unrolled: 3-line block ×3, first 2 shown]
	v_add_f64 v[1:2], v[137:138], -v[1:2]
	v_add_f64 v[3:4], v[139:140], -v[3:4]
	scratch_store_b128 off, v[1:4], off offset:112
	v_cmpx_lt_u32_e32 6, v102
	s_cbranch_execz .LBB93_181
; %bb.180:
	scratch_load_b128 v[1:4], v122, off
	v_mov_b32_e32 v5, 0
	s_delay_alu instid0(VALU_DEP_1)
	v_mov_b32_e32 v6, v5
	v_mov_b32_e32 v7, v5
	;; [unrolled: 1-line block ×3, first 2 shown]
	scratch_store_b128 off, v[5:8], off offset:96
	s_waitcnt vmcnt(0)
	ds_store_b128 v132, v[1:4]
.LBB93_181:
	s_or_b32 exec_lo, exec_lo, s2
	s_waitcnt lgkmcnt(0)
	s_waitcnt_vscnt null, 0x0
	s_barrier
	buffer_gl0_inv
	s_clause 0x7
	scratch_load_b128 v[2:5], off, off offset:112
	scratch_load_b128 v[6:9], off, off offset:128
	scratch_load_b128 v[10:13], off, off offset:144
	scratch_load_b128 v[14:17], off, off offset:160
	scratch_load_b128 v[18:21], off, off offset:176
	scratch_load_b128 v[22:25], off, off offset:192
	scratch_load_b128 v[26:29], off, off offset:208
	scratch_load_b128 v[30:33], off, off offset:224
	v_mov_b32_e32 v1, 0
	s_mov_b32 s2, exec_lo
	ds_load_b128 v[34:37], v1 offset:592
	s_clause 0x1
	scratch_load_b128 v[38:41], off, off offset:240
	scratch_load_b128 v[133:136], off, off offset:96
	ds_load_b128 v[137:140], v1 offset:608
	scratch_load_b128 v[141:144], off, off offset:256
	s_waitcnt vmcnt(10) lgkmcnt(1)
	v_mul_f64 v[145:146], v[36:37], v[4:5]
	v_mul_f64 v[4:5], v[34:35], v[4:5]
	s_delay_alu instid0(VALU_DEP_2) | instskip(NEXT) | instid1(VALU_DEP_2)
	v_fma_f64 v[151:152], v[34:35], v[2:3], -v[145:146]
	v_fma_f64 v[153:154], v[36:37], v[2:3], v[4:5]
	scratch_load_b128 v[34:37], off, off offset:272
	ds_load_b128 v[2:5], v1 offset:624
	s_waitcnt vmcnt(10) lgkmcnt(1)
	v_mul_f64 v[149:150], v[137:138], v[8:9]
	v_mul_f64 v[8:9], v[139:140], v[8:9]
	ds_load_b128 v[145:148], v1 offset:640
	s_waitcnt vmcnt(9) lgkmcnt(1)
	v_mul_f64 v[155:156], v[2:3], v[12:13]
	v_mul_f64 v[12:13], v[4:5], v[12:13]
	v_fma_f64 v[139:140], v[139:140], v[6:7], v[149:150]
	v_fma_f64 v[137:138], v[137:138], v[6:7], -v[8:9]
	v_add_f64 v[149:150], v[151:152], 0
	v_add_f64 v[151:152], v[153:154], 0
	scratch_load_b128 v[6:9], off, off offset:288
	v_fma_f64 v[155:156], v[4:5], v[10:11], v[155:156]
	v_fma_f64 v[157:158], v[2:3], v[10:11], -v[12:13]
	scratch_load_b128 v[10:13], off, off offset:304
	ds_load_b128 v[2:5], v1 offset:656
	s_waitcnt vmcnt(10) lgkmcnt(1)
	v_mul_f64 v[153:154], v[145:146], v[16:17]
	v_mul_f64 v[16:17], v[147:148], v[16:17]
	v_add_f64 v[149:150], v[149:150], v[137:138]
	v_add_f64 v[151:152], v[151:152], v[139:140]
	s_waitcnt vmcnt(9) lgkmcnt(0)
	v_mul_f64 v[159:160], v[2:3], v[20:21]
	v_mul_f64 v[20:21], v[4:5], v[20:21]
	ds_load_b128 v[137:140], v1 offset:672
	v_fma_f64 v[147:148], v[147:148], v[14:15], v[153:154]
	v_fma_f64 v[145:146], v[145:146], v[14:15], -v[16:17]
	scratch_load_b128 v[14:17], off, off offset:320
	v_add_f64 v[149:150], v[149:150], v[157:158]
	v_add_f64 v[151:152], v[151:152], v[155:156]
	v_fma_f64 v[155:156], v[4:5], v[18:19], v[159:160]
	v_fma_f64 v[157:158], v[2:3], v[18:19], -v[20:21]
	scratch_load_b128 v[18:21], off, off offset:336
	ds_load_b128 v[2:5], v1 offset:688
	s_waitcnt vmcnt(10) lgkmcnt(1)
	v_mul_f64 v[153:154], v[137:138], v[24:25]
	v_mul_f64 v[24:25], v[139:140], v[24:25]
	s_waitcnt vmcnt(9) lgkmcnt(0)
	v_mul_f64 v[159:160], v[2:3], v[28:29]
	v_mul_f64 v[28:29], v[4:5], v[28:29]
	v_add_f64 v[149:150], v[149:150], v[145:146]
	v_add_f64 v[151:152], v[151:152], v[147:148]
	ds_load_b128 v[145:148], v1 offset:704
	v_fma_f64 v[139:140], v[139:140], v[22:23], v[153:154]
	v_fma_f64 v[137:138], v[137:138], v[22:23], -v[24:25]
	scratch_load_b128 v[22:25], off, off offset:352
	v_add_f64 v[149:150], v[149:150], v[157:158]
	v_add_f64 v[151:152], v[151:152], v[155:156]
	v_fma_f64 v[155:156], v[4:5], v[26:27], v[159:160]
	v_fma_f64 v[157:158], v[2:3], v[26:27], -v[28:29]
	scratch_load_b128 v[26:29], off, off offset:368
	ds_load_b128 v[2:5], v1 offset:720
	s_waitcnt vmcnt(10) lgkmcnt(1)
	v_mul_f64 v[153:154], v[145:146], v[32:33]
	v_mul_f64 v[32:33], v[147:148], v[32:33]
	s_waitcnt vmcnt(9) lgkmcnt(0)
	v_mul_f64 v[159:160], v[2:3], v[40:41]
	v_mul_f64 v[40:41], v[4:5], v[40:41]
	v_add_f64 v[149:150], v[149:150], v[137:138]
	v_add_f64 v[151:152], v[151:152], v[139:140]
	ds_load_b128 v[137:140], v1 offset:736
	v_fma_f64 v[147:148], v[147:148], v[30:31], v[153:154]
	v_fma_f64 v[145:146], v[145:146], v[30:31], -v[32:33]
	scratch_load_b128 v[30:33], off, off offset:384
	v_add_f64 v[149:150], v[149:150], v[157:158]
	v_add_f64 v[151:152], v[151:152], v[155:156]
	v_fma_f64 v[157:158], v[4:5], v[38:39], v[159:160]
	v_fma_f64 v[159:160], v[2:3], v[38:39], -v[40:41]
	scratch_load_b128 v[38:41], off, off offset:400
	ds_load_b128 v[2:5], v1 offset:752
	s_waitcnt vmcnt(9) lgkmcnt(1)
	v_mul_f64 v[153:154], v[137:138], v[143:144]
	v_mul_f64 v[155:156], v[139:140], v[143:144]
	v_add_f64 v[149:150], v[149:150], v[145:146]
	v_add_f64 v[147:148], v[151:152], v[147:148]
	ds_load_b128 v[143:146], v1 offset:768
	v_fma_f64 v[153:154], v[139:140], v[141:142], v[153:154]
	v_fma_f64 v[141:142], v[137:138], v[141:142], -v[155:156]
	scratch_load_b128 v[137:140], off, off offset:416
	s_waitcnt vmcnt(9) lgkmcnt(1)
	v_mul_f64 v[151:152], v[2:3], v[36:37]
	v_mul_f64 v[36:37], v[4:5], v[36:37]
	v_add_f64 v[149:150], v[149:150], v[159:160]
	v_add_f64 v[147:148], v[147:148], v[157:158]
	s_delay_alu instid0(VALU_DEP_4) | instskip(NEXT) | instid1(VALU_DEP_4)
	v_fma_f64 v[151:152], v[4:5], v[34:35], v[151:152]
	v_fma_f64 v[157:158], v[2:3], v[34:35], -v[36:37]
	scratch_load_b128 v[34:37], off, off offset:432
	ds_load_b128 v[2:5], v1 offset:784
	s_waitcnt vmcnt(9) lgkmcnt(1)
	v_mul_f64 v[155:156], v[143:144], v[8:9]
	v_mul_f64 v[8:9], v[145:146], v[8:9]
	s_waitcnt vmcnt(8) lgkmcnt(0)
	v_mul_f64 v[159:160], v[2:3], v[12:13]
	v_mul_f64 v[12:13], v[4:5], v[12:13]
	v_add_f64 v[141:142], v[149:150], v[141:142]
	v_add_f64 v[153:154], v[147:148], v[153:154]
	ds_load_b128 v[147:150], v1 offset:800
	v_fma_f64 v[145:146], v[145:146], v[6:7], v[155:156]
	v_fma_f64 v[143:144], v[143:144], v[6:7], -v[8:9]
	scratch_load_b128 v[6:9], off, off offset:448
	v_fma_f64 v[155:156], v[4:5], v[10:11], v[159:160]
	v_add_f64 v[141:142], v[141:142], v[157:158]
	v_add_f64 v[151:152], v[153:154], v[151:152]
	v_fma_f64 v[157:158], v[2:3], v[10:11], -v[12:13]
	scratch_load_b128 v[10:13], off, off offset:464
	ds_load_b128 v[2:5], v1 offset:816
	s_waitcnt vmcnt(9) lgkmcnt(1)
	v_mul_f64 v[153:154], v[147:148], v[16:17]
	v_mul_f64 v[16:17], v[149:150], v[16:17]
	v_add_f64 v[159:160], v[141:142], v[143:144]
	v_add_f64 v[145:146], v[151:152], v[145:146]
	s_waitcnt vmcnt(8) lgkmcnt(0)
	v_mul_f64 v[151:152], v[2:3], v[20:21]
	v_mul_f64 v[20:21], v[4:5], v[20:21]
	ds_load_b128 v[141:144], v1 offset:832
	v_fma_f64 v[149:150], v[149:150], v[14:15], v[153:154]
	v_fma_f64 v[14:15], v[147:148], v[14:15], -v[16:17]
	s_waitcnt vmcnt(7) lgkmcnt(0)
	v_mul_f64 v[147:148], v[141:142], v[24:25]
	v_mul_f64 v[24:25], v[143:144], v[24:25]
	v_add_f64 v[16:17], v[159:160], v[157:158]
	v_add_f64 v[145:146], v[145:146], v[155:156]
	v_fma_f64 v[151:152], v[4:5], v[18:19], v[151:152]
	v_fma_f64 v[18:19], v[2:3], v[18:19], -v[20:21]
	v_fma_f64 v[143:144], v[143:144], v[22:23], v[147:148]
	v_fma_f64 v[22:23], v[141:142], v[22:23], -v[24:25]
	v_add_f64 v[20:21], v[16:17], v[14:15]
	v_add_f64 v[145:146], v[145:146], v[149:150]
	ds_load_b128 v[2:5], v1 offset:848
	ds_load_b128 v[14:17], v1 offset:864
	s_waitcnt vmcnt(6) lgkmcnt(1)
	v_mul_f64 v[149:150], v[2:3], v[28:29]
	v_mul_f64 v[28:29], v[4:5], v[28:29]
	s_waitcnt vmcnt(5) lgkmcnt(0)
	v_mul_f64 v[24:25], v[14:15], v[32:33]
	v_mul_f64 v[32:33], v[16:17], v[32:33]
	v_add_f64 v[18:19], v[20:21], v[18:19]
	v_add_f64 v[20:21], v[145:146], v[151:152]
	v_fma_f64 v[141:142], v[4:5], v[26:27], v[149:150]
	v_fma_f64 v[26:27], v[2:3], v[26:27], -v[28:29]
	v_fma_f64 v[16:17], v[16:17], v[30:31], v[24:25]
	v_fma_f64 v[14:15], v[14:15], v[30:31], -v[32:33]
	v_add_f64 v[22:23], v[18:19], v[22:23]
	v_add_f64 v[28:29], v[20:21], v[143:144]
	ds_load_b128 v[2:5], v1 offset:880
	ds_load_b128 v[18:21], v1 offset:896
	s_waitcnt vmcnt(4) lgkmcnt(1)
	v_mul_f64 v[143:144], v[2:3], v[40:41]
	v_mul_f64 v[40:41], v[4:5], v[40:41]
	v_add_f64 v[22:23], v[22:23], v[26:27]
	v_add_f64 v[24:25], v[28:29], v[141:142]
	s_waitcnt vmcnt(3) lgkmcnt(0)
	v_mul_f64 v[26:27], v[18:19], v[139:140]
	v_mul_f64 v[28:29], v[20:21], v[139:140]
	v_fma_f64 v[30:31], v[4:5], v[38:39], v[143:144]
	v_fma_f64 v[32:33], v[2:3], v[38:39], -v[40:41]
	v_add_f64 v[22:23], v[22:23], v[14:15]
	v_add_f64 v[24:25], v[24:25], v[16:17]
	ds_load_b128 v[2:5], v1 offset:912
	ds_load_b128 v[14:17], v1 offset:928
	v_fma_f64 v[20:21], v[20:21], v[137:138], v[26:27]
	v_fma_f64 v[18:19], v[18:19], v[137:138], -v[28:29]
	s_waitcnt vmcnt(2) lgkmcnt(1)
	v_mul_f64 v[38:39], v[2:3], v[36:37]
	v_mul_f64 v[36:37], v[4:5], v[36:37]
	s_waitcnt vmcnt(1) lgkmcnt(0)
	v_mul_f64 v[26:27], v[14:15], v[8:9]
	v_mul_f64 v[8:9], v[16:17], v[8:9]
	v_add_f64 v[22:23], v[22:23], v[32:33]
	v_add_f64 v[24:25], v[24:25], v[30:31]
	v_fma_f64 v[28:29], v[4:5], v[34:35], v[38:39]
	v_fma_f64 v[30:31], v[2:3], v[34:35], -v[36:37]
	ds_load_b128 v[2:5], v1 offset:944
	v_fma_f64 v[16:17], v[16:17], v[6:7], v[26:27]
	v_fma_f64 v[6:7], v[14:15], v[6:7], -v[8:9]
	v_add_f64 v[18:19], v[22:23], v[18:19]
	v_add_f64 v[20:21], v[24:25], v[20:21]
	s_waitcnt vmcnt(0) lgkmcnt(0)
	v_mul_f64 v[22:23], v[2:3], v[12:13]
	v_mul_f64 v[12:13], v[4:5], v[12:13]
	s_delay_alu instid0(VALU_DEP_4) | instskip(NEXT) | instid1(VALU_DEP_4)
	v_add_f64 v[8:9], v[18:19], v[30:31]
	v_add_f64 v[14:15], v[20:21], v[28:29]
	s_delay_alu instid0(VALU_DEP_4) | instskip(NEXT) | instid1(VALU_DEP_4)
	v_fma_f64 v[4:5], v[4:5], v[10:11], v[22:23]
	v_fma_f64 v[2:3], v[2:3], v[10:11], -v[12:13]
	s_delay_alu instid0(VALU_DEP_4) | instskip(NEXT) | instid1(VALU_DEP_4)
	v_add_f64 v[6:7], v[8:9], v[6:7]
	v_add_f64 v[8:9], v[14:15], v[16:17]
	s_delay_alu instid0(VALU_DEP_2) | instskip(NEXT) | instid1(VALU_DEP_2)
	v_add_f64 v[2:3], v[6:7], v[2:3]
	v_add_f64 v[4:5], v[8:9], v[4:5]
	s_delay_alu instid0(VALU_DEP_2) | instskip(NEXT) | instid1(VALU_DEP_2)
	v_add_f64 v[2:3], v[133:134], -v[2:3]
	v_add_f64 v[4:5], v[135:136], -v[4:5]
	scratch_store_b128 off, v[2:5], off offset:96
	v_cmpx_lt_u32_e32 5, v102
	s_cbranch_execz .LBB93_183
; %bb.182:
	scratch_load_b128 v[5:8], v124, off
	v_mov_b32_e32 v2, v1
	v_mov_b32_e32 v3, v1
	;; [unrolled: 1-line block ×3, first 2 shown]
	scratch_store_b128 off, v[1:4], off offset:80
	s_waitcnt vmcnt(0)
	ds_store_b128 v132, v[5:8]
.LBB93_183:
	s_or_b32 exec_lo, exec_lo, s2
	s_waitcnt lgkmcnt(0)
	s_waitcnt_vscnt null, 0x0
	s_barrier
	buffer_gl0_inv
	s_clause 0x8
	scratch_load_b128 v[2:5], off, off offset:96
	scratch_load_b128 v[6:9], off, off offset:112
	;; [unrolled: 1-line block ×9, first 2 shown]
	ds_load_b128 v[38:41], v1 offset:576
	ds_load_b128 v[133:136], v1 offset:592
	s_clause 0x1
	scratch_load_b128 v[137:140], off, off offset:80
	scratch_load_b128 v[141:144], off, off offset:240
	s_mov_b32 s2, exec_lo
	s_waitcnt vmcnt(10) lgkmcnt(1)
	v_mul_f64 v[145:146], v[40:41], v[4:5]
	v_mul_f64 v[4:5], v[38:39], v[4:5]
	s_waitcnt vmcnt(9) lgkmcnt(0)
	v_mul_f64 v[149:150], v[133:134], v[8:9]
	v_mul_f64 v[8:9], v[135:136], v[8:9]
	s_delay_alu instid0(VALU_DEP_4) | instskip(NEXT) | instid1(VALU_DEP_4)
	v_fma_f64 v[151:152], v[38:39], v[2:3], -v[145:146]
	v_fma_f64 v[153:154], v[40:41], v[2:3], v[4:5]
	ds_load_b128 v[2:5], v1 offset:608
	ds_load_b128 v[145:148], v1 offset:624
	scratch_load_b128 v[38:41], off, off offset:256
	v_fma_f64 v[135:136], v[135:136], v[6:7], v[149:150]
	v_fma_f64 v[133:134], v[133:134], v[6:7], -v[8:9]
	scratch_load_b128 v[6:9], off, off offset:272
	s_waitcnt vmcnt(10) lgkmcnt(1)
	v_mul_f64 v[155:156], v[2:3], v[12:13]
	v_mul_f64 v[12:13], v[4:5], v[12:13]
	v_add_f64 v[149:150], v[151:152], 0
	v_add_f64 v[151:152], v[153:154], 0
	s_waitcnt vmcnt(9) lgkmcnt(0)
	v_mul_f64 v[153:154], v[145:146], v[16:17]
	v_mul_f64 v[16:17], v[147:148], v[16:17]
	v_fma_f64 v[155:156], v[4:5], v[10:11], v[155:156]
	v_fma_f64 v[157:158], v[2:3], v[10:11], -v[12:13]
	ds_load_b128 v[2:5], v1 offset:640
	scratch_load_b128 v[10:13], off, off offset:288
	v_add_f64 v[149:150], v[149:150], v[133:134]
	v_add_f64 v[151:152], v[151:152], v[135:136]
	ds_load_b128 v[133:136], v1 offset:656
	v_fma_f64 v[147:148], v[147:148], v[14:15], v[153:154]
	v_fma_f64 v[145:146], v[145:146], v[14:15], -v[16:17]
	scratch_load_b128 v[14:17], off, off offset:304
	s_waitcnt vmcnt(10) lgkmcnt(1)
	v_mul_f64 v[159:160], v[2:3], v[20:21]
	v_mul_f64 v[20:21], v[4:5], v[20:21]
	s_waitcnt vmcnt(9) lgkmcnt(0)
	v_mul_f64 v[153:154], v[133:134], v[24:25]
	v_mul_f64 v[24:25], v[135:136], v[24:25]
	v_add_f64 v[149:150], v[149:150], v[157:158]
	v_add_f64 v[151:152], v[151:152], v[155:156]
	v_fma_f64 v[155:156], v[4:5], v[18:19], v[159:160]
	v_fma_f64 v[157:158], v[2:3], v[18:19], -v[20:21]
	ds_load_b128 v[2:5], v1 offset:672
	scratch_load_b128 v[18:21], off, off offset:320
	v_fma_f64 v[135:136], v[135:136], v[22:23], v[153:154]
	v_fma_f64 v[133:134], v[133:134], v[22:23], -v[24:25]
	scratch_load_b128 v[22:25], off, off offset:336
	v_add_f64 v[149:150], v[149:150], v[145:146]
	v_add_f64 v[151:152], v[151:152], v[147:148]
	ds_load_b128 v[145:148], v1 offset:688
	s_waitcnt vmcnt(10) lgkmcnt(1)
	v_mul_f64 v[159:160], v[2:3], v[28:29]
	v_mul_f64 v[28:29], v[4:5], v[28:29]
	s_waitcnt vmcnt(9) lgkmcnt(0)
	v_mul_f64 v[153:154], v[145:146], v[32:33]
	v_mul_f64 v[32:33], v[147:148], v[32:33]
	v_add_f64 v[149:150], v[149:150], v[157:158]
	v_add_f64 v[151:152], v[151:152], v[155:156]
	v_fma_f64 v[155:156], v[4:5], v[26:27], v[159:160]
	v_fma_f64 v[157:158], v[2:3], v[26:27], -v[28:29]
	ds_load_b128 v[2:5], v1 offset:704
	scratch_load_b128 v[26:29], off, off offset:352
	v_fma_f64 v[147:148], v[147:148], v[30:31], v[153:154]
	v_fma_f64 v[145:146], v[145:146], v[30:31], -v[32:33]
	scratch_load_b128 v[30:33], off, off offset:368
	v_add_f64 v[149:150], v[149:150], v[133:134]
	v_add_f64 v[151:152], v[151:152], v[135:136]
	ds_load_b128 v[133:136], v1 offset:720
	s_waitcnt vmcnt(10) lgkmcnt(1)
	v_mul_f64 v[159:160], v[2:3], v[36:37]
	v_mul_f64 v[36:37], v[4:5], v[36:37]
	s_waitcnt vmcnt(8) lgkmcnt(0)
	v_mul_f64 v[153:154], v[133:134], v[143:144]
	v_add_f64 v[149:150], v[149:150], v[157:158]
	v_add_f64 v[151:152], v[151:152], v[155:156]
	v_mul_f64 v[155:156], v[135:136], v[143:144]
	v_fma_f64 v[157:158], v[4:5], v[34:35], v[159:160]
	v_fma_f64 v[159:160], v[2:3], v[34:35], -v[36:37]
	ds_load_b128 v[2:5], v1 offset:736
	scratch_load_b128 v[34:37], off, off offset:384
	v_fma_f64 v[153:154], v[135:136], v[141:142], v[153:154]
	v_add_f64 v[149:150], v[149:150], v[145:146]
	v_add_f64 v[147:148], v[151:152], v[147:148]
	ds_load_b128 v[143:146], v1 offset:752
	v_fma_f64 v[141:142], v[133:134], v[141:142], -v[155:156]
	scratch_load_b128 v[133:136], off, off offset:400
	s_waitcnt vmcnt(9) lgkmcnt(1)
	v_mul_f64 v[151:152], v[2:3], v[40:41]
	v_mul_f64 v[40:41], v[4:5], v[40:41]
	s_waitcnt vmcnt(8) lgkmcnt(0)
	v_mul_f64 v[155:156], v[143:144], v[8:9]
	v_mul_f64 v[8:9], v[145:146], v[8:9]
	v_add_f64 v[149:150], v[149:150], v[159:160]
	v_add_f64 v[147:148], v[147:148], v[157:158]
	v_fma_f64 v[151:152], v[4:5], v[38:39], v[151:152]
	v_fma_f64 v[157:158], v[2:3], v[38:39], -v[40:41]
	ds_load_b128 v[2:5], v1 offset:768
	scratch_load_b128 v[38:41], off, off offset:416
	v_fma_f64 v[145:146], v[145:146], v[6:7], v[155:156]
	v_fma_f64 v[143:144], v[143:144], v[6:7], -v[8:9]
	scratch_load_b128 v[6:9], off, off offset:432
	v_add_f64 v[141:142], v[149:150], v[141:142]
	v_add_f64 v[153:154], v[147:148], v[153:154]
	ds_load_b128 v[147:150], v1 offset:784
	s_waitcnt vmcnt(9) lgkmcnt(1)
	v_mul_f64 v[159:160], v[2:3], v[12:13]
	v_mul_f64 v[12:13], v[4:5], v[12:13]
	v_add_f64 v[141:142], v[141:142], v[157:158]
	v_add_f64 v[151:152], v[153:154], v[151:152]
	s_waitcnt vmcnt(8) lgkmcnt(0)
	v_mul_f64 v[153:154], v[147:148], v[16:17]
	v_mul_f64 v[16:17], v[149:150], v[16:17]
	v_fma_f64 v[155:156], v[4:5], v[10:11], v[159:160]
	v_fma_f64 v[157:158], v[2:3], v[10:11], -v[12:13]
	ds_load_b128 v[2:5], v1 offset:800
	scratch_load_b128 v[10:13], off, off offset:448
	v_add_f64 v[159:160], v[141:142], v[143:144]
	v_add_f64 v[145:146], v[151:152], v[145:146]
	ds_load_b128 v[141:144], v1 offset:816
	s_waitcnt vmcnt(8) lgkmcnt(1)
	v_mul_f64 v[151:152], v[2:3], v[20:21]
	v_mul_f64 v[20:21], v[4:5], v[20:21]
	v_fma_f64 v[149:150], v[149:150], v[14:15], v[153:154]
	v_fma_f64 v[147:148], v[147:148], v[14:15], -v[16:17]
	scratch_load_b128 v[14:17], off, off offset:464
	v_add_f64 v[153:154], v[159:160], v[157:158]
	v_add_f64 v[145:146], v[145:146], v[155:156]
	s_waitcnt vmcnt(8) lgkmcnt(0)
	v_mul_f64 v[155:156], v[141:142], v[24:25]
	v_mul_f64 v[24:25], v[143:144], v[24:25]
	v_fma_f64 v[151:152], v[4:5], v[18:19], v[151:152]
	v_fma_f64 v[157:158], v[2:3], v[18:19], -v[20:21]
	ds_load_b128 v[2:5], v1 offset:832
	ds_load_b128 v[18:21], v1 offset:848
	v_add_f64 v[147:148], v[153:154], v[147:148]
	v_add_f64 v[145:146], v[145:146], v[149:150]
	s_waitcnt vmcnt(7) lgkmcnt(1)
	v_mul_f64 v[149:150], v[2:3], v[28:29]
	v_mul_f64 v[28:29], v[4:5], v[28:29]
	v_fma_f64 v[143:144], v[143:144], v[22:23], v[155:156]
	v_fma_f64 v[22:23], v[141:142], v[22:23], -v[24:25]
	v_add_f64 v[24:25], v[147:148], v[157:158]
	v_add_f64 v[141:142], v[145:146], v[151:152]
	s_waitcnt vmcnt(6) lgkmcnt(0)
	v_mul_f64 v[145:146], v[18:19], v[32:33]
	v_mul_f64 v[32:33], v[20:21], v[32:33]
	v_fma_f64 v[147:148], v[4:5], v[26:27], v[149:150]
	v_fma_f64 v[26:27], v[2:3], v[26:27], -v[28:29]
	v_add_f64 v[28:29], v[24:25], v[22:23]
	v_add_f64 v[141:142], v[141:142], v[143:144]
	ds_load_b128 v[2:5], v1 offset:864
	ds_load_b128 v[22:25], v1 offset:880
	v_fma_f64 v[20:21], v[20:21], v[30:31], v[145:146]
	v_fma_f64 v[18:19], v[18:19], v[30:31], -v[32:33]
	s_waitcnt vmcnt(5) lgkmcnt(1)
	v_mul_f64 v[143:144], v[2:3], v[36:37]
	v_mul_f64 v[36:37], v[4:5], v[36:37]
	s_waitcnt vmcnt(4) lgkmcnt(0)
	v_mul_f64 v[30:31], v[22:23], v[135:136]
	v_mul_f64 v[32:33], v[24:25], v[135:136]
	v_add_f64 v[26:27], v[28:29], v[26:27]
	v_add_f64 v[28:29], v[141:142], v[147:148]
	v_fma_f64 v[135:136], v[4:5], v[34:35], v[143:144]
	v_fma_f64 v[34:35], v[2:3], v[34:35], -v[36:37]
	v_fma_f64 v[24:25], v[24:25], v[133:134], v[30:31]
	v_fma_f64 v[22:23], v[22:23], v[133:134], -v[32:33]
	v_add_f64 v[26:27], v[26:27], v[18:19]
	v_add_f64 v[28:29], v[28:29], v[20:21]
	ds_load_b128 v[2:5], v1 offset:896
	ds_load_b128 v[18:21], v1 offset:912
	s_waitcnt vmcnt(3) lgkmcnt(1)
	v_mul_f64 v[36:37], v[2:3], v[40:41]
	v_mul_f64 v[40:41], v[4:5], v[40:41]
	s_waitcnt vmcnt(2) lgkmcnt(0)
	v_mul_f64 v[30:31], v[18:19], v[8:9]
	v_mul_f64 v[8:9], v[20:21], v[8:9]
	v_add_f64 v[26:27], v[26:27], v[34:35]
	v_add_f64 v[28:29], v[28:29], v[135:136]
	v_fma_f64 v[32:33], v[4:5], v[38:39], v[36:37]
	v_fma_f64 v[34:35], v[2:3], v[38:39], -v[40:41]
	v_fma_f64 v[20:21], v[20:21], v[6:7], v[30:31]
	v_fma_f64 v[6:7], v[18:19], v[6:7], -v[8:9]
	v_add_f64 v[26:27], v[26:27], v[22:23]
	v_add_f64 v[28:29], v[28:29], v[24:25]
	ds_load_b128 v[2:5], v1 offset:928
	ds_load_b128 v[22:25], v1 offset:944
	s_waitcnt vmcnt(1) lgkmcnt(1)
	v_mul_f64 v[36:37], v[2:3], v[12:13]
	v_mul_f64 v[12:13], v[4:5], v[12:13]
	v_add_f64 v[8:9], v[26:27], v[34:35]
	v_add_f64 v[18:19], v[28:29], v[32:33]
	s_waitcnt vmcnt(0) lgkmcnt(0)
	v_mul_f64 v[26:27], v[22:23], v[16:17]
	v_mul_f64 v[16:17], v[24:25], v[16:17]
	v_fma_f64 v[4:5], v[4:5], v[10:11], v[36:37]
	v_fma_f64 v[1:2], v[2:3], v[10:11], -v[12:13]
	v_add_f64 v[6:7], v[8:9], v[6:7]
	v_add_f64 v[8:9], v[18:19], v[20:21]
	v_fma_f64 v[10:11], v[24:25], v[14:15], v[26:27]
	v_fma_f64 v[12:13], v[22:23], v[14:15], -v[16:17]
	s_delay_alu instid0(VALU_DEP_4) | instskip(NEXT) | instid1(VALU_DEP_4)
	v_add_f64 v[1:2], v[6:7], v[1:2]
	v_add_f64 v[3:4], v[8:9], v[4:5]
	s_delay_alu instid0(VALU_DEP_2) | instskip(NEXT) | instid1(VALU_DEP_2)
	v_add_f64 v[1:2], v[1:2], v[12:13]
	v_add_f64 v[3:4], v[3:4], v[10:11]
	s_delay_alu instid0(VALU_DEP_2) | instskip(NEXT) | instid1(VALU_DEP_2)
	v_add_f64 v[1:2], v[137:138], -v[1:2]
	v_add_f64 v[3:4], v[139:140], -v[3:4]
	scratch_store_b128 off, v[1:4], off offset:80
	v_cmpx_lt_u32_e32 4, v102
	s_cbranch_execz .LBB93_185
; %bb.184:
	scratch_load_b128 v[1:4], v103, off
	v_mov_b32_e32 v5, 0
	s_delay_alu instid0(VALU_DEP_1)
	v_mov_b32_e32 v6, v5
	v_mov_b32_e32 v7, v5
	;; [unrolled: 1-line block ×3, first 2 shown]
	scratch_store_b128 off, v[5:8], off offset:64
	s_waitcnt vmcnt(0)
	ds_store_b128 v132, v[1:4]
.LBB93_185:
	s_or_b32 exec_lo, exec_lo, s2
	s_waitcnt lgkmcnt(0)
	s_waitcnt_vscnt null, 0x0
	s_barrier
	buffer_gl0_inv
	s_clause 0x7
	scratch_load_b128 v[2:5], off, off offset:80
	scratch_load_b128 v[6:9], off, off offset:96
	;; [unrolled: 1-line block ×8, first 2 shown]
	v_mov_b32_e32 v1, 0
	s_mov_b32 s2, exec_lo
	ds_load_b128 v[34:37], v1 offset:560
	s_clause 0x1
	scratch_load_b128 v[38:41], off, off offset:208
	scratch_load_b128 v[133:136], off, off offset:64
	ds_load_b128 v[137:140], v1 offset:576
	scratch_load_b128 v[141:144], off, off offset:224
	s_waitcnt vmcnt(10) lgkmcnt(1)
	v_mul_f64 v[145:146], v[36:37], v[4:5]
	v_mul_f64 v[4:5], v[34:35], v[4:5]
	s_delay_alu instid0(VALU_DEP_2) | instskip(NEXT) | instid1(VALU_DEP_2)
	v_fma_f64 v[151:152], v[34:35], v[2:3], -v[145:146]
	v_fma_f64 v[153:154], v[36:37], v[2:3], v[4:5]
	scratch_load_b128 v[34:37], off, off offset:240
	ds_load_b128 v[2:5], v1 offset:592
	s_waitcnt vmcnt(10) lgkmcnt(1)
	v_mul_f64 v[149:150], v[137:138], v[8:9]
	v_mul_f64 v[8:9], v[139:140], v[8:9]
	ds_load_b128 v[145:148], v1 offset:608
	s_waitcnt vmcnt(9) lgkmcnt(1)
	v_mul_f64 v[155:156], v[2:3], v[12:13]
	v_mul_f64 v[12:13], v[4:5], v[12:13]
	v_fma_f64 v[139:140], v[139:140], v[6:7], v[149:150]
	v_fma_f64 v[137:138], v[137:138], v[6:7], -v[8:9]
	v_add_f64 v[149:150], v[151:152], 0
	v_add_f64 v[151:152], v[153:154], 0
	scratch_load_b128 v[6:9], off, off offset:256
	v_fma_f64 v[155:156], v[4:5], v[10:11], v[155:156]
	v_fma_f64 v[157:158], v[2:3], v[10:11], -v[12:13]
	scratch_load_b128 v[10:13], off, off offset:272
	ds_load_b128 v[2:5], v1 offset:624
	s_waitcnt vmcnt(10) lgkmcnt(1)
	v_mul_f64 v[153:154], v[145:146], v[16:17]
	v_mul_f64 v[16:17], v[147:148], v[16:17]
	v_add_f64 v[149:150], v[149:150], v[137:138]
	v_add_f64 v[151:152], v[151:152], v[139:140]
	s_waitcnt vmcnt(9) lgkmcnt(0)
	v_mul_f64 v[159:160], v[2:3], v[20:21]
	v_mul_f64 v[20:21], v[4:5], v[20:21]
	ds_load_b128 v[137:140], v1 offset:640
	v_fma_f64 v[147:148], v[147:148], v[14:15], v[153:154]
	v_fma_f64 v[145:146], v[145:146], v[14:15], -v[16:17]
	scratch_load_b128 v[14:17], off, off offset:288
	v_add_f64 v[149:150], v[149:150], v[157:158]
	v_add_f64 v[151:152], v[151:152], v[155:156]
	v_fma_f64 v[155:156], v[4:5], v[18:19], v[159:160]
	v_fma_f64 v[157:158], v[2:3], v[18:19], -v[20:21]
	scratch_load_b128 v[18:21], off, off offset:304
	ds_load_b128 v[2:5], v1 offset:656
	s_waitcnt vmcnt(10) lgkmcnt(1)
	v_mul_f64 v[153:154], v[137:138], v[24:25]
	v_mul_f64 v[24:25], v[139:140], v[24:25]
	s_waitcnt vmcnt(9) lgkmcnt(0)
	v_mul_f64 v[159:160], v[2:3], v[28:29]
	v_mul_f64 v[28:29], v[4:5], v[28:29]
	v_add_f64 v[149:150], v[149:150], v[145:146]
	v_add_f64 v[151:152], v[151:152], v[147:148]
	ds_load_b128 v[145:148], v1 offset:672
	v_fma_f64 v[139:140], v[139:140], v[22:23], v[153:154]
	v_fma_f64 v[137:138], v[137:138], v[22:23], -v[24:25]
	scratch_load_b128 v[22:25], off, off offset:320
	v_add_f64 v[149:150], v[149:150], v[157:158]
	v_add_f64 v[151:152], v[151:152], v[155:156]
	v_fma_f64 v[155:156], v[4:5], v[26:27], v[159:160]
	v_fma_f64 v[157:158], v[2:3], v[26:27], -v[28:29]
	scratch_load_b128 v[26:29], off, off offset:336
	ds_load_b128 v[2:5], v1 offset:688
	s_waitcnt vmcnt(10) lgkmcnt(1)
	v_mul_f64 v[153:154], v[145:146], v[32:33]
	v_mul_f64 v[32:33], v[147:148], v[32:33]
	s_waitcnt vmcnt(9) lgkmcnt(0)
	v_mul_f64 v[159:160], v[2:3], v[40:41]
	v_mul_f64 v[40:41], v[4:5], v[40:41]
	v_add_f64 v[149:150], v[149:150], v[137:138]
	v_add_f64 v[151:152], v[151:152], v[139:140]
	ds_load_b128 v[137:140], v1 offset:704
	v_fma_f64 v[147:148], v[147:148], v[30:31], v[153:154]
	v_fma_f64 v[145:146], v[145:146], v[30:31], -v[32:33]
	scratch_load_b128 v[30:33], off, off offset:352
	v_add_f64 v[149:150], v[149:150], v[157:158]
	v_add_f64 v[151:152], v[151:152], v[155:156]
	v_fma_f64 v[157:158], v[4:5], v[38:39], v[159:160]
	v_fma_f64 v[159:160], v[2:3], v[38:39], -v[40:41]
	scratch_load_b128 v[38:41], off, off offset:368
	ds_load_b128 v[2:5], v1 offset:720
	s_waitcnt vmcnt(9) lgkmcnt(1)
	v_mul_f64 v[153:154], v[137:138], v[143:144]
	v_mul_f64 v[155:156], v[139:140], v[143:144]
	v_add_f64 v[149:150], v[149:150], v[145:146]
	v_add_f64 v[147:148], v[151:152], v[147:148]
	ds_load_b128 v[143:146], v1 offset:736
	v_fma_f64 v[153:154], v[139:140], v[141:142], v[153:154]
	v_fma_f64 v[141:142], v[137:138], v[141:142], -v[155:156]
	scratch_load_b128 v[137:140], off, off offset:384
	s_waitcnt vmcnt(9) lgkmcnt(1)
	v_mul_f64 v[151:152], v[2:3], v[36:37]
	v_mul_f64 v[36:37], v[4:5], v[36:37]
	v_add_f64 v[149:150], v[149:150], v[159:160]
	v_add_f64 v[147:148], v[147:148], v[157:158]
	s_delay_alu instid0(VALU_DEP_4) | instskip(NEXT) | instid1(VALU_DEP_4)
	v_fma_f64 v[151:152], v[4:5], v[34:35], v[151:152]
	v_fma_f64 v[157:158], v[2:3], v[34:35], -v[36:37]
	scratch_load_b128 v[34:37], off, off offset:400
	ds_load_b128 v[2:5], v1 offset:752
	s_waitcnt vmcnt(9) lgkmcnt(1)
	v_mul_f64 v[155:156], v[143:144], v[8:9]
	v_mul_f64 v[8:9], v[145:146], v[8:9]
	s_waitcnt vmcnt(8) lgkmcnt(0)
	v_mul_f64 v[159:160], v[2:3], v[12:13]
	v_mul_f64 v[12:13], v[4:5], v[12:13]
	v_add_f64 v[141:142], v[149:150], v[141:142]
	v_add_f64 v[153:154], v[147:148], v[153:154]
	ds_load_b128 v[147:150], v1 offset:768
	v_fma_f64 v[145:146], v[145:146], v[6:7], v[155:156]
	v_fma_f64 v[143:144], v[143:144], v[6:7], -v[8:9]
	scratch_load_b128 v[6:9], off, off offset:416
	v_fma_f64 v[155:156], v[4:5], v[10:11], v[159:160]
	v_add_f64 v[141:142], v[141:142], v[157:158]
	v_add_f64 v[151:152], v[153:154], v[151:152]
	v_fma_f64 v[157:158], v[2:3], v[10:11], -v[12:13]
	scratch_load_b128 v[10:13], off, off offset:432
	ds_load_b128 v[2:5], v1 offset:784
	s_waitcnt vmcnt(9) lgkmcnt(1)
	v_mul_f64 v[153:154], v[147:148], v[16:17]
	v_mul_f64 v[16:17], v[149:150], v[16:17]
	v_add_f64 v[159:160], v[141:142], v[143:144]
	v_add_f64 v[145:146], v[151:152], v[145:146]
	s_waitcnt vmcnt(8) lgkmcnt(0)
	v_mul_f64 v[151:152], v[2:3], v[20:21]
	v_mul_f64 v[20:21], v[4:5], v[20:21]
	ds_load_b128 v[141:144], v1 offset:800
	v_fma_f64 v[149:150], v[149:150], v[14:15], v[153:154]
	v_fma_f64 v[147:148], v[147:148], v[14:15], -v[16:17]
	scratch_load_b128 v[14:17], off, off offset:448
	v_add_f64 v[153:154], v[159:160], v[157:158]
	v_add_f64 v[145:146], v[145:146], v[155:156]
	v_fma_f64 v[151:152], v[4:5], v[18:19], v[151:152]
	v_fma_f64 v[157:158], v[2:3], v[18:19], -v[20:21]
	scratch_load_b128 v[18:21], off, off offset:464
	ds_load_b128 v[2:5], v1 offset:816
	s_waitcnt vmcnt(9) lgkmcnt(1)
	v_mul_f64 v[155:156], v[141:142], v[24:25]
	v_mul_f64 v[24:25], v[143:144], v[24:25]
	s_waitcnt vmcnt(8) lgkmcnt(0)
	v_mul_f64 v[159:160], v[2:3], v[28:29]
	v_mul_f64 v[28:29], v[4:5], v[28:29]
	v_add_f64 v[153:154], v[153:154], v[147:148]
	v_add_f64 v[149:150], v[145:146], v[149:150]
	ds_load_b128 v[145:148], v1 offset:832
	v_fma_f64 v[143:144], v[143:144], v[22:23], v[155:156]
	v_fma_f64 v[22:23], v[141:142], v[22:23], -v[24:25]
	v_add_f64 v[24:25], v[153:154], v[157:158]
	v_add_f64 v[141:142], v[149:150], v[151:152]
	s_waitcnt vmcnt(7) lgkmcnt(0)
	v_mul_f64 v[149:150], v[145:146], v[32:33]
	v_mul_f64 v[32:33], v[147:148], v[32:33]
	v_fma_f64 v[151:152], v[4:5], v[26:27], v[159:160]
	v_fma_f64 v[26:27], v[2:3], v[26:27], -v[28:29]
	v_add_f64 v[28:29], v[24:25], v[22:23]
	v_add_f64 v[141:142], v[141:142], v[143:144]
	ds_load_b128 v[2:5], v1 offset:848
	ds_load_b128 v[22:25], v1 offset:864
	v_fma_f64 v[147:148], v[147:148], v[30:31], v[149:150]
	v_fma_f64 v[30:31], v[145:146], v[30:31], -v[32:33]
	s_waitcnt vmcnt(6) lgkmcnt(1)
	v_mul_f64 v[143:144], v[2:3], v[40:41]
	v_mul_f64 v[40:41], v[4:5], v[40:41]
	s_waitcnt vmcnt(5) lgkmcnt(0)
	v_mul_f64 v[32:33], v[22:23], v[139:140]
	v_mul_f64 v[139:140], v[24:25], v[139:140]
	v_add_f64 v[26:27], v[28:29], v[26:27]
	v_add_f64 v[28:29], v[141:142], v[151:152]
	v_fma_f64 v[141:142], v[4:5], v[38:39], v[143:144]
	v_fma_f64 v[38:39], v[2:3], v[38:39], -v[40:41]
	v_fma_f64 v[24:25], v[24:25], v[137:138], v[32:33]
	v_fma_f64 v[22:23], v[22:23], v[137:138], -v[139:140]
	v_add_f64 v[30:31], v[26:27], v[30:31]
	v_add_f64 v[40:41], v[28:29], v[147:148]
	ds_load_b128 v[2:5], v1 offset:880
	ds_load_b128 v[26:29], v1 offset:896
	s_waitcnt vmcnt(4) lgkmcnt(1)
	v_mul_f64 v[143:144], v[2:3], v[36:37]
	v_mul_f64 v[36:37], v[4:5], v[36:37]
	v_add_f64 v[30:31], v[30:31], v[38:39]
	v_add_f64 v[32:33], v[40:41], v[141:142]
	s_waitcnt vmcnt(3) lgkmcnt(0)
	v_mul_f64 v[38:39], v[26:27], v[8:9]
	v_mul_f64 v[8:9], v[28:29], v[8:9]
	v_fma_f64 v[40:41], v[4:5], v[34:35], v[143:144]
	v_fma_f64 v[34:35], v[2:3], v[34:35], -v[36:37]
	v_add_f64 v[30:31], v[30:31], v[22:23]
	v_add_f64 v[32:33], v[32:33], v[24:25]
	ds_load_b128 v[2:5], v1 offset:912
	ds_load_b128 v[22:25], v1 offset:928
	v_fma_f64 v[28:29], v[28:29], v[6:7], v[38:39]
	v_fma_f64 v[6:7], v[26:27], v[6:7], -v[8:9]
	s_waitcnt vmcnt(2) lgkmcnt(1)
	v_mul_f64 v[36:37], v[2:3], v[12:13]
	v_mul_f64 v[12:13], v[4:5], v[12:13]
	v_add_f64 v[8:9], v[30:31], v[34:35]
	v_add_f64 v[26:27], v[32:33], v[40:41]
	s_waitcnt vmcnt(1) lgkmcnt(0)
	v_mul_f64 v[30:31], v[22:23], v[16:17]
	v_mul_f64 v[16:17], v[24:25], v[16:17]
	v_fma_f64 v[32:33], v[4:5], v[10:11], v[36:37]
	v_fma_f64 v[10:11], v[2:3], v[10:11], -v[12:13]
	ds_load_b128 v[2:5], v1 offset:944
	v_add_f64 v[6:7], v[8:9], v[6:7]
	v_add_f64 v[8:9], v[26:27], v[28:29]
	v_fma_f64 v[24:25], v[24:25], v[14:15], v[30:31]
	v_fma_f64 v[14:15], v[22:23], v[14:15], -v[16:17]
	s_waitcnt vmcnt(0) lgkmcnt(0)
	v_mul_f64 v[12:13], v[2:3], v[20:21]
	v_mul_f64 v[20:21], v[4:5], v[20:21]
	v_add_f64 v[6:7], v[6:7], v[10:11]
	v_add_f64 v[8:9], v[8:9], v[32:33]
	s_delay_alu instid0(VALU_DEP_4) | instskip(NEXT) | instid1(VALU_DEP_4)
	v_fma_f64 v[4:5], v[4:5], v[18:19], v[12:13]
	v_fma_f64 v[2:3], v[2:3], v[18:19], -v[20:21]
	s_delay_alu instid0(VALU_DEP_4) | instskip(NEXT) | instid1(VALU_DEP_4)
	v_add_f64 v[6:7], v[6:7], v[14:15]
	v_add_f64 v[8:9], v[8:9], v[24:25]
	s_delay_alu instid0(VALU_DEP_2) | instskip(NEXT) | instid1(VALU_DEP_2)
	v_add_f64 v[2:3], v[6:7], v[2:3]
	v_add_f64 v[4:5], v[8:9], v[4:5]
	s_delay_alu instid0(VALU_DEP_2) | instskip(NEXT) | instid1(VALU_DEP_2)
	v_add_f64 v[2:3], v[133:134], -v[2:3]
	v_add_f64 v[4:5], v[135:136], -v[4:5]
	scratch_store_b128 off, v[2:5], off offset:64
	v_cmpx_lt_u32_e32 3, v102
	s_cbranch_execz .LBB93_187
; %bb.186:
	scratch_load_b128 v[5:8], v105, off
	v_mov_b32_e32 v2, v1
	v_mov_b32_e32 v3, v1
	;; [unrolled: 1-line block ×3, first 2 shown]
	scratch_store_b128 off, v[1:4], off offset:48
	s_waitcnt vmcnt(0)
	ds_store_b128 v132, v[5:8]
.LBB93_187:
	s_or_b32 exec_lo, exec_lo, s2
	s_waitcnt lgkmcnt(0)
	s_waitcnt_vscnt null, 0x0
	s_barrier
	buffer_gl0_inv
	s_clause 0x8
	scratch_load_b128 v[2:5], off, off offset:64
	scratch_load_b128 v[6:9], off, off offset:80
	;; [unrolled: 1-line block ×9, first 2 shown]
	ds_load_b128 v[38:41], v1 offset:544
	ds_load_b128 v[133:136], v1 offset:560
	s_clause 0x1
	scratch_load_b128 v[137:140], off, off offset:48
	scratch_load_b128 v[141:144], off, off offset:208
	s_mov_b32 s2, exec_lo
	s_waitcnt vmcnt(10) lgkmcnt(1)
	v_mul_f64 v[145:146], v[40:41], v[4:5]
	v_mul_f64 v[4:5], v[38:39], v[4:5]
	s_waitcnt vmcnt(9) lgkmcnt(0)
	v_mul_f64 v[149:150], v[133:134], v[8:9]
	v_mul_f64 v[8:9], v[135:136], v[8:9]
	s_delay_alu instid0(VALU_DEP_4) | instskip(NEXT) | instid1(VALU_DEP_4)
	v_fma_f64 v[151:152], v[38:39], v[2:3], -v[145:146]
	v_fma_f64 v[153:154], v[40:41], v[2:3], v[4:5]
	ds_load_b128 v[2:5], v1 offset:576
	ds_load_b128 v[145:148], v1 offset:592
	scratch_load_b128 v[38:41], off, off offset:224
	v_fma_f64 v[135:136], v[135:136], v[6:7], v[149:150]
	v_fma_f64 v[133:134], v[133:134], v[6:7], -v[8:9]
	scratch_load_b128 v[6:9], off, off offset:240
	s_waitcnt vmcnt(10) lgkmcnt(1)
	v_mul_f64 v[155:156], v[2:3], v[12:13]
	v_mul_f64 v[12:13], v[4:5], v[12:13]
	v_add_f64 v[149:150], v[151:152], 0
	v_add_f64 v[151:152], v[153:154], 0
	s_waitcnt vmcnt(9) lgkmcnt(0)
	v_mul_f64 v[153:154], v[145:146], v[16:17]
	v_mul_f64 v[16:17], v[147:148], v[16:17]
	v_fma_f64 v[155:156], v[4:5], v[10:11], v[155:156]
	v_fma_f64 v[157:158], v[2:3], v[10:11], -v[12:13]
	ds_load_b128 v[2:5], v1 offset:608
	scratch_load_b128 v[10:13], off, off offset:256
	v_add_f64 v[149:150], v[149:150], v[133:134]
	v_add_f64 v[151:152], v[151:152], v[135:136]
	ds_load_b128 v[133:136], v1 offset:624
	v_fma_f64 v[147:148], v[147:148], v[14:15], v[153:154]
	v_fma_f64 v[145:146], v[145:146], v[14:15], -v[16:17]
	scratch_load_b128 v[14:17], off, off offset:272
	s_waitcnt vmcnt(10) lgkmcnt(1)
	v_mul_f64 v[159:160], v[2:3], v[20:21]
	v_mul_f64 v[20:21], v[4:5], v[20:21]
	s_waitcnt vmcnt(9) lgkmcnt(0)
	v_mul_f64 v[153:154], v[133:134], v[24:25]
	v_mul_f64 v[24:25], v[135:136], v[24:25]
	v_add_f64 v[149:150], v[149:150], v[157:158]
	v_add_f64 v[151:152], v[151:152], v[155:156]
	v_fma_f64 v[155:156], v[4:5], v[18:19], v[159:160]
	v_fma_f64 v[157:158], v[2:3], v[18:19], -v[20:21]
	ds_load_b128 v[2:5], v1 offset:640
	scratch_load_b128 v[18:21], off, off offset:288
	v_fma_f64 v[135:136], v[135:136], v[22:23], v[153:154]
	v_fma_f64 v[133:134], v[133:134], v[22:23], -v[24:25]
	scratch_load_b128 v[22:25], off, off offset:304
	v_add_f64 v[149:150], v[149:150], v[145:146]
	v_add_f64 v[151:152], v[151:152], v[147:148]
	ds_load_b128 v[145:148], v1 offset:656
	s_waitcnt vmcnt(10) lgkmcnt(1)
	v_mul_f64 v[159:160], v[2:3], v[28:29]
	v_mul_f64 v[28:29], v[4:5], v[28:29]
	s_waitcnt vmcnt(9) lgkmcnt(0)
	v_mul_f64 v[153:154], v[145:146], v[32:33]
	v_mul_f64 v[32:33], v[147:148], v[32:33]
	v_add_f64 v[149:150], v[149:150], v[157:158]
	v_add_f64 v[151:152], v[151:152], v[155:156]
	v_fma_f64 v[155:156], v[4:5], v[26:27], v[159:160]
	v_fma_f64 v[157:158], v[2:3], v[26:27], -v[28:29]
	ds_load_b128 v[2:5], v1 offset:672
	scratch_load_b128 v[26:29], off, off offset:320
	v_fma_f64 v[147:148], v[147:148], v[30:31], v[153:154]
	v_fma_f64 v[145:146], v[145:146], v[30:31], -v[32:33]
	scratch_load_b128 v[30:33], off, off offset:336
	v_add_f64 v[149:150], v[149:150], v[133:134]
	v_add_f64 v[151:152], v[151:152], v[135:136]
	ds_load_b128 v[133:136], v1 offset:688
	s_waitcnt vmcnt(10) lgkmcnt(1)
	v_mul_f64 v[159:160], v[2:3], v[36:37]
	v_mul_f64 v[36:37], v[4:5], v[36:37]
	s_waitcnt vmcnt(8) lgkmcnt(0)
	v_mul_f64 v[153:154], v[133:134], v[143:144]
	v_add_f64 v[149:150], v[149:150], v[157:158]
	v_add_f64 v[151:152], v[151:152], v[155:156]
	v_mul_f64 v[155:156], v[135:136], v[143:144]
	v_fma_f64 v[157:158], v[4:5], v[34:35], v[159:160]
	v_fma_f64 v[159:160], v[2:3], v[34:35], -v[36:37]
	ds_load_b128 v[2:5], v1 offset:704
	scratch_load_b128 v[34:37], off, off offset:352
	v_fma_f64 v[153:154], v[135:136], v[141:142], v[153:154]
	v_add_f64 v[149:150], v[149:150], v[145:146]
	v_add_f64 v[147:148], v[151:152], v[147:148]
	ds_load_b128 v[143:146], v1 offset:720
	v_fma_f64 v[141:142], v[133:134], v[141:142], -v[155:156]
	scratch_load_b128 v[133:136], off, off offset:368
	s_waitcnt vmcnt(9) lgkmcnt(1)
	v_mul_f64 v[151:152], v[2:3], v[40:41]
	v_mul_f64 v[40:41], v[4:5], v[40:41]
	s_waitcnt vmcnt(8) lgkmcnt(0)
	v_mul_f64 v[155:156], v[143:144], v[8:9]
	v_mul_f64 v[8:9], v[145:146], v[8:9]
	v_add_f64 v[149:150], v[149:150], v[159:160]
	v_add_f64 v[147:148], v[147:148], v[157:158]
	v_fma_f64 v[151:152], v[4:5], v[38:39], v[151:152]
	v_fma_f64 v[157:158], v[2:3], v[38:39], -v[40:41]
	ds_load_b128 v[2:5], v1 offset:736
	scratch_load_b128 v[38:41], off, off offset:384
	v_fma_f64 v[145:146], v[145:146], v[6:7], v[155:156]
	v_fma_f64 v[143:144], v[143:144], v[6:7], -v[8:9]
	scratch_load_b128 v[6:9], off, off offset:400
	v_add_f64 v[141:142], v[149:150], v[141:142]
	v_add_f64 v[153:154], v[147:148], v[153:154]
	ds_load_b128 v[147:150], v1 offset:752
	s_waitcnt vmcnt(9) lgkmcnt(1)
	v_mul_f64 v[159:160], v[2:3], v[12:13]
	v_mul_f64 v[12:13], v[4:5], v[12:13]
	v_add_f64 v[141:142], v[141:142], v[157:158]
	v_add_f64 v[151:152], v[153:154], v[151:152]
	s_waitcnt vmcnt(8) lgkmcnt(0)
	v_mul_f64 v[153:154], v[147:148], v[16:17]
	v_mul_f64 v[16:17], v[149:150], v[16:17]
	v_fma_f64 v[155:156], v[4:5], v[10:11], v[159:160]
	v_fma_f64 v[157:158], v[2:3], v[10:11], -v[12:13]
	ds_load_b128 v[2:5], v1 offset:768
	scratch_load_b128 v[10:13], off, off offset:416
	v_add_f64 v[159:160], v[141:142], v[143:144]
	v_add_f64 v[145:146], v[151:152], v[145:146]
	ds_load_b128 v[141:144], v1 offset:784
	s_waitcnt vmcnt(8) lgkmcnt(1)
	v_mul_f64 v[151:152], v[2:3], v[20:21]
	v_mul_f64 v[20:21], v[4:5], v[20:21]
	v_fma_f64 v[149:150], v[149:150], v[14:15], v[153:154]
	v_fma_f64 v[147:148], v[147:148], v[14:15], -v[16:17]
	scratch_load_b128 v[14:17], off, off offset:432
	v_add_f64 v[153:154], v[159:160], v[157:158]
	v_add_f64 v[145:146], v[145:146], v[155:156]
	s_waitcnt vmcnt(8) lgkmcnt(0)
	v_mul_f64 v[155:156], v[141:142], v[24:25]
	v_mul_f64 v[24:25], v[143:144], v[24:25]
	v_fma_f64 v[151:152], v[4:5], v[18:19], v[151:152]
	v_fma_f64 v[157:158], v[2:3], v[18:19], -v[20:21]
	ds_load_b128 v[2:5], v1 offset:800
	scratch_load_b128 v[18:21], off, off offset:448
	v_add_f64 v[153:154], v[153:154], v[147:148]
	v_add_f64 v[149:150], v[145:146], v[149:150]
	ds_load_b128 v[145:148], v1 offset:816
	s_waitcnt vmcnt(8) lgkmcnt(1)
	v_mul_f64 v[159:160], v[2:3], v[28:29]
	v_mul_f64 v[28:29], v[4:5], v[28:29]
	v_fma_f64 v[143:144], v[143:144], v[22:23], v[155:156]
	v_fma_f64 v[141:142], v[141:142], v[22:23], -v[24:25]
	scratch_load_b128 v[22:25], off, off offset:464
	v_add_f64 v[153:154], v[153:154], v[157:158]
	v_add_f64 v[149:150], v[149:150], v[151:152]
	s_waitcnt vmcnt(8) lgkmcnt(0)
	v_mul_f64 v[151:152], v[145:146], v[32:33]
	v_mul_f64 v[32:33], v[147:148], v[32:33]
	v_fma_f64 v[155:156], v[4:5], v[26:27], v[159:160]
	v_fma_f64 v[157:158], v[2:3], v[26:27], -v[28:29]
	ds_load_b128 v[2:5], v1 offset:832
	ds_load_b128 v[26:29], v1 offset:848
	v_add_f64 v[141:142], v[153:154], v[141:142]
	v_add_f64 v[143:144], v[149:150], v[143:144]
	s_waitcnt vmcnt(7) lgkmcnt(1)
	v_mul_f64 v[149:150], v[2:3], v[36:37]
	v_mul_f64 v[36:37], v[4:5], v[36:37]
	v_fma_f64 v[147:148], v[147:148], v[30:31], v[151:152]
	v_fma_f64 v[30:31], v[145:146], v[30:31], -v[32:33]
	v_add_f64 v[32:33], v[141:142], v[157:158]
	v_add_f64 v[141:142], v[143:144], v[155:156]
	s_waitcnt vmcnt(6) lgkmcnt(0)
	v_mul_f64 v[143:144], v[26:27], v[135:136]
	v_mul_f64 v[135:136], v[28:29], v[135:136]
	v_fma_f64 v[145:146], v[4:5], v[34:35], v[149:150]
	v_fma_f64 v[34:35], v[2:3], v[34:35], -v[36:37]
	v_add_f64 v[36:37], v[32:33], v[30:31]
	v_add_f64 v[141:142], v[141:142], v[147:148]
	ds_load_b128 v[2:5], v1 offset:864
	ds_load_b128 v[30:33], v1 offset:880
	v_fma_f64 v[28:29], v[28:29], v[133:134], v[143:144]
	v_fma_f64 v[26:27], v[26:27], v[133:134], -v[135:136]
	s_waitcnt vmcnt(5) lgkmcnt(1)
	v_mul_f64 v[147:148], v[2:3], v[40:41]
	v_mul_f64 v[40:41], v[4:5], v[40:41]
	s_waitcnt vmcnt(4) lgkmcnt(0)
	v_mul_f64 v[133:134], v[30:31], v[8:9]
	v_mul_f64 v[8:9], v[32:33], v[8:9]
	v_add_f64 v[34:35], v[36:37], v[34:35]
	v_add_f64 v[36:37], v[141:142], v[145:146]
	v_fma_f64 v[135:136], v[4:5], v[38:39], v[147:148]
	v_fma_f64 v[38:39], v[2:3], v[38:39], -v[40:41]
	v_fma_f64 v[32:33], v[32:33], v[6:7], v[133:134]
	v_fma_f64 v[6:7], v[30:31], v[6:7], -v[8:9]
	v_add_f64 v[34:35], v[34:35], v[26:27]
	v_add_f64 v[36:37], v[36:37], v[28:29]
	ds_load_b128 v[2:5], v1 offset:896
	ds_load_b128 v[26:29], v1 offset:912
	s_waitcnt vmcnt(3) lgkmcnt(1)
	v_mul_f64 v[40:41], v[2:3], v[12:13]
	v_mul_f64 v[12:13], v[4:5], v[12:13]
	v_add_f64 v[8:9], v[34:35], v[38:39]
	v_add_f64 v[30:31], v[36:37], v[135:136]
	s_waitcnt vmcnt(2) lgkmcnt(0)
	v_mul_f64 v[34:35], v[26:27], v[16:17]
	v_mul_f64 v[16:17], v[28:29], v[16:17]
	v_fma_f64 v[36:37], v[4:5], v[10:11], v[40:41]
	v_fma_f64 v[10:11], v[2:3], v[10:11], -v[12:13]
	v_add_f64 v[12:13], v[8:9], v[6:7]
	v_add_f64 v[30:31], v[30:31], v[32:33]
	ds_load_b128 v[2:5], v1 offset:928
	ds_load_b128 v[6:9], v1 offset:944
	v_fma_f64 v[28:29], v[28:29], v[14:15], v[34:35]
	v_fma_f64 v[14:15], v[26:27], v[14:15], -v[16:17]
	s_waitcnt vmcnt(1) lgkmcnt(1)
	v_mul_f64 v[32:33], v[2:3], v[20:21]
	v_mul_f64 v[20:21], v[4:5], v[20:21]
	s_waitcnt vmcnt(0) lgkmcnt(0)
	v_mul_f64 v[16:17], v[6:7], v[24:25]
	v_mul_f64 v[24:25], v[8:9], v[24:25]
	v_add_f64 v[10:11], v[12:13], v[10:11]
	v_add_f64 v[12:13], v[30:31], v[36:37]
	v_fma_f64 v[4:5], v[4:5], v[18:19], v[32:33]
	v_fma_f64 v[1:2], v[2:3], v[18:19], -v[20:21]
	v_fma_f64 v[8:9], v[8:9], v[22:23], v[16:17]
	v_fma_f64 v[6:7], v[6:7], v[22:23], -v[24:25]
	v_add_f64 v[10:11], v[10:11], v[14:15]
	v_add_f64 v[12:13], v[12:13], v[28:29]
	s_delay_alu instid0(VALU_DEP_2) | instskip(NEXT) | instid1(VALU_DEP_2)
	v_add_f64 v[1:2], v[10:11], v[1:2]
	v_add_f64 v[3:4], v[12:13], v[4:5]
	s_delay_alu instid0(VALU_DEP_2) | instskip(NEXT) | instid1(VALU_DEP_2)
	;; [unrolled: 3-line block ×3, first 2 shown]
	v_add_f64 v[1:2], v[137:138], -v[1:2]
	v_add_f64 v[3:4], v[139:140], -v[3:4]
	scratch_store_b128 off, v[1:4], off offset:48
	v_cmpx_lt_u32_e32 2, v102
	s_cbranch_execz .LBB93_189
; %bb.188:
	scratch_load_b128 v[1:4], v104, off
	v_mov_b32_e32 v5, 0
	s_delay_alu instid0(VALU_DEP_1)
	v_mov_b32_e32 v6, v5
	v_mov_b32_e32 v7, v5
	;; [unrolled: 1-line block ×3, first 2 shown]
	scratch_store_b128 off, v[5:8], off offset:32
	s_waitcnt vmcnt(0)
	ds_store_b128 v132, v[1:4]
.LBB93_189:
	s_or_b32 exec_lo, exec_lo, s2
	s_waitcnt lgkmcnt(0)
	s_waitcnt_vscnt null, 0x0
	s_barrier
	buffer_gl0_inv
	s_clause 0x7
	scratch_load_b128 v[2:5], off, off offset:48
	scratch_load_b128 v[6:9], off, off offset:64
	;; [unrolled: 1-line block ×8, first 2 shown]
	v_mov_b32_e32 v1, 0
	s_mov_b32 s2, exec_lo
	ds_load_b128 v[38:41], v1 offset:528
	s_clause 0x1
	scratch_load_b128 v[34:37], off, off offset:176
	scratch_load_b128 v[133:136], off, off offset:32
	ds_load_b128 v[137:140], v1 offset:544
	scratch_load_b128 v[141:144], off, off offset:192
	s_waitcnt vmcnt(10) lgkmcnt(1)
	v_mul_f64 v[145:146], v[40:41], v[4:5]
	v_mul_f64 v[4:5], v[38:39], v[4:5]
	s_delay_alu instid0(VALU_DEP_2) | instskip(NEXT) | instid1(VALU_DEP_2)
	v_fma_f64 v[151:152], v[38:39], v[2:3], -v[145:146]
	v_fma_f64 v[153:154], v[40:41], v[2:3], v[4:5]
	scratch_load_b128 v[38:41], off, off offset:208
	ds_load_b128 v[2:5], v1 offset:560
	s_waitcnt vmcnt(10) lgkmcnt(1)
	v_mul_f64 v[149:150], v[137:138], v[8:9]
	v_mul_f64 v[8:9], v[139:140], v[8:9]
	ds_load_b128 v[145:148], v1 offset:576
	s_waitcnt vmcnt(9) lgkmcnt(1)
	v_mul_f64 v[155:156], v[2:3], v[12:13]
	v_mul_f64 v[12:13], v[4:5], v[12:13]
	v_fma_f64 v[139:140], v[139:140], v[6:7], v[149:150]
	v_fma_f64 v[137:138], v[137:138], v[6:7], -v[8:9]
	v_add_f64 v[149:150], v[151:152], 0
	v_add_f64 v[151:152], v[153:154], 0
	scratch_load_b128 v[6:9], off, off offset:224
	v_fma_f64 v[155:156], v[4:5], v[10:11], v[155:156]
	v_fma_f64 v[157:158], v[2:3], v[10:11], -v[12:13]
	scratch_load_b128 v[10:13], off, off offset:240
	ds_load_b128 v[2:5], v1 offset:592
	s_waitcnt vmcnt(10) lgkmcnt(1)
	v_mul_f64 v[153:154], v[145:146], v[16:17]
	v_mul_f64 v[16:17], v[147:148], v[16:17]
	v_add_f64 v[149:150], v[149:150], v[137:138]
	v_add_f64 v[151:152], v[151:152], v[139:140]
	s_waitcnt vmcnt(9) lgkmcnt(0)
	v_mul_f64 v[159:160], v[2:3], v[20:21]
	v_mul_f64 v[20:21], v[4:5], v[20:21]
	ds_load_b128 v[137:140], v1 offset:608
	v_fma_f64 v[147:148], v[147:148], v[14:15], v[153:154]
	v_fma_f64 v[145:146], v[145:146], v[14:15], -v[16:17]
	scratch_load_b128 v[14:17], off, off offset:256
	v_add_f64 v[149:150], v[149:150], v[157:158]
	v_add_f64 v[151:152], v[151:152], v[155:156]
	v_fma_f64 v[155:156], v[4:5], v[18:19], v[159:160]
	v_fma_f64 v[157:158], v[2:3], v[18:19], -v[20:21]
	scratch_load_b128 v[18:21], off, off offset:272
	ds_load_b128 v[2:5], v1 offset:624
	s_waitcnt vmcnt(10) lgkmcnt(1)
	v_mul_f64 v[153:154], v[137:138], v[24:25]
	v_mul_f64 v[24:25], v[139:140], v[24:25]
	s_waitcnt vmcnt(9) lgkmcnt(0)
	v_mul_f64 v[159:160], v[2:3], v[28:29]
	v_mul_f64 v[28:29], v[4:5], v[28:29]
	v_add_f64 v[149:150], v[149:150], v[145:146]
	v_add_f64 v[151:152], v[151:152], v[147:148]
	ds_load_b128 v[145:148], v1 offset:640
	v_fma_f64 v[139:140], v[139:140], v[22:23], v[153:154]
	v_fma_f64 v[137:138], v[137:138], v[22:23], -v[24:25]
	scratch_load_b128 v[22:25], off, off offset:288
	v_add_f64 v[149:150], v[149:150], v[157:158]
	v_add_f64 v[151:152], v[151:152], v[155:156]
	v_fma_f64 v[155:156], v[4:5], v[26:27], v[159:160]
	v_fma_f64 v[157:158], v[2:3], v[26:27], -v[28:29]
	scratch_load_b128 v[26:29], off, off offset:304
	ds_load_b128 v[2:5], v1 offset:656
	s_waitcnt vmcnt(10) lgkmcnt(1)
	v_mul_f64 v[153:154], v[145:146], v[32:33]
	v_mul_f64 v[32:33], v[147:148], v[32:33]
	s_waitcnt vmcnt(9) lgkmcnt(0)
	v_mul_f64 v[159:160], v[2:3], v[36:37]
	v_mul_f64 v[36:37], v[4:5], v[36:37]
	v_add_f64 v[149:150], v[149:150], v[137:138]
	v_add_f64 v[151:152], v[151:152], v[139:140]
	ds_load_b128 v[137:140], v1 offset:672
	v_fma_f64 v[147:148], v[147:148], v[30:31], v[153:154]
	v_fma_f64 v[145:146], v[145:146], v[30:31], -v[32:33]
	scratch_load_b128 v[30:33], off, off offset:320
	v_add_f64 v[149:150], v[149:150], v[157:158]
	v_add_f64 v[151:152], v[151:152], v[155:156]
	v_fma_f64 v[157:158], v[4:5], v[34:35], v[159:160]
	v_fma_f64 v[159:160], v[2:3], v[34:35], -v[36:37]
	scratch_load_b128 v[34:37], off, off offset:336
	ds_load_b128 v[2:5], v1 offset:688
	s_waitcnt vmcnt(9) lgkmcnt(1)
	v_mul_f64 v[153:154], v[137:138], v[143:144]
	v_mul_f64 v[155:156], v[139:140], v[143:144]
	v_add_f64 v[149:150], v[149:150], v[145:146]
	v_add_f64 v[147:148], v[151:152], v[147:148]
	ds_load_b128 v[143:146], v1 offset:704
	v_fma_f64 v[153:154], v[139:140], v[141:142], v[153:154]
	v_fma_f64 v[141:142], v[137:138], v[141:142], -v[155:156]
	scratch_load_b128 v[137:140], off, off offset:352
	s_waitcnt vmcnt(9) lgkmcnt(1)
	v_mul_f64 v[151:152], v[2:3], v[40:41]
	v_mul_f64 v[40:41], v[4:5], v[40:41]
	v_add_f64 v[149:150], v[149:150], v[159:160]
	v_add_f64 v[147:148], v[147:148], v[157:158]
	s_delay_alu instid0(VALU_DEP_4) | instskip(NEXT) | instid1(VALU_DEP_4)
	v_fma_f64 v[151:152], v[4:5], v[38:39], v[151:152]
	v_fma_f64 v[157:158], v[2:3], v[38:39], -v[40:41]
	scratch_load_b128 v[38:41], off, off offset:368
	ds_load_b128 v[2:5], v1 offset:720
	s_waitcnt vmcnt(9) lgkmcnt(1)
	v_mul_f64 v[155:156], v[143:144], v[8:9]
	v_mul_f64 v[8:9], v[145:146], v[8:9]
	s_waitcnt vmcnt(8) lgkmcnt(0)
	v_mul_f64 v[159:160], v[2:3], v[12:13]
	v_mul_f64 v[12:13], v[4:5], v[12:13]
	v_add_f64 v[141:142], v[149:150], v[141:142]
	v_add_f64 v[153:154], v[147:148], v[153:154]
	ds_load_b128 v[147:150], v1 offset:736
	v_fma_f64 v[145:146], v[145:146], v[6:7], v[155:156]
	v_fma_f64 v[143:144], v[143:144], v[6:7], -v[8:9]
	scratch_load_b128 v[6:9], off, off offset:384
	v_fma_f64 v[155:156], v[4:5], v[10:11], v[159:160]
	v_add_f64 v[141:142], v[141:142], v[157:158]
	v_add_f64 v[151:152], v[153:154], v[151:152]
	v_fma_f64 v[157:158], v[2:3], v[10:11], -v[12:13]
	scratch_load_b128 v[10:13], off, off offset:400
	ds_load_b128 v[2:5], v1 offset:752
	s_waitcnt vmcnt(9) lgkmcnt(1)
	v_mul_f64 v[153:154], v[147:148], v[16:17]
	v_mul_f64 v[16:17], v[149:150], v[16:17]
	v_add_f64 v[159:160], v[141:142], v[143:144]
	v_add_f64 v[145:146], v[151:152], v[145:146]
	s_waitcnt vmcnt(8) lgkmcnt(0)
	v_mul_f64 v[151:152], v[2:3], v[20:21]
	v_mul_f64 v[20:21], v[4:5], v[20:21]
	ds_load_b128 v[141:144], v1 offset:768
	v_fma_f64 v[149:150], v[149:150], v[14:15], v[153:154]
	v_fma_f64 v[147:148], v[147:148], v[14:15], -v[16:17]
	scratch_load_b128 v[14:17], off, off offset:416
	v_add_f64 v[153:154], v[159:160], v[157:158]
	v_add_f64 v[145:146], v[145:146], v[155:156]
	v_fma_f64 v[151:152], v[4:5], v[18:19], v[151:152]
	v_fma_f64 v[157:158], v[2:3], v[18:19], -v[20:21]
	scratch_load_b128 v[18:21], off, off offset:432
	ds_load_b128 v[2:5], v1 offset:784
	s_waitcnt vmcnt(9) lgkmcnt(1)
	v_mul_f64 v[155:156], v[141:142], v[24:25]
	v_mul_f64 v[24:25], v[143:144], v[24:25]
	s_waitcnt vmcnt(8) lgkmcnt(0)
	v_mul_f64 v[159:160], v[2:3], v[28:29]
	v_mul_f64 v[28:29], v[4:5], v[28:29]
	v_add_f64 v[153:154], v[153:154], v[147:148]
	v_add_f64 v[149:150], v[145:146], v[149:150]
	ds_load_b128 v[145:148], v1 offset:800
	v_fma_f64 v[143:144], v[143:144], v[22:23], v[155:156]
	v_fma_f64 v[141:142], v[141:142], v[22:23], -v[24:25]
	scratch_load_b128 v[22:25], off, off offset:448
	v_fma_f64 v[155:156], v[4:5], v[26:27], v[159:160]
	v_add_f64 v[153:154], v[153:154], v[157:158]
	v_add_f64 v[149:150], v[149:150], v[151:152]
	v_fma_f64 v[157:158], v[2:3], v[26:27], -v[28:29]
	scratch_load_b128 v[26:29], off, off offset:464
	ds_load_b128 v[2:5], v1 offset:816
	s_waitcnt vmcnt(9) lgkmcnt(1)
	v_mul_f64 v[151:152], v[145:146], v[32:33]
	v_mul_f64 v[32:33], v[147:148], v[32:33]
	s_waitcnt vmcnt(8) lgkmcnt(0)
	v_mul_f64 v[159:160], v[2:3], v[36:37]
	v_mul_f64 v[36:37], v[4:5], v[36:37]
	v_add_f64 v[153:154], v[153:154], v[141:142]
	v_add_f64 v[149:150], v[149:150], v[143:144]
	ds_load_b128 v[141:144], v1 offset:832
	v_fma_f64 v[147:148], v[147:148], v[30:31], v[151:152]
	v_fma_f64 v[30:31], v[145:146], v[30:31], -v[32:33]
	v_fma_f64 v[151:152], v[4:5], v[34:35], v[159:160]
	v_fma_f64 v[34:35], v[2:3], v[34:35], -v[36:37]
	v_add_f64 v[32:33], v[153:154], v[157:158]
	v_add_f64 v[145:146], v[149:150], v[155:156]
	s_waitcnt vmcnt(7) lgkmcnt(0)
	v_mul_f64 v[149:150], v[141:142], v[139:140]
	v_mul_f64 v[139:140], v[143:144], v[139:140]
	s_delay_alu instid0(VALU_DEP_4) | instskip(NEXT) | instid1(VALU_DEP_4)
	v_add_f64 v[36:37], v[32:33], v[30:31]
	v_add_f64 v[145:146], v[145:146], v[147:148]
	ds_load_b128 v[2:5], v1 offset:848
	ds_load_b128 v[30:33], v1 offset:864
	v_fma_f64 v[143:144], v[143:144], v[137:138], v[149:150]
	v_fma_f64 v[137:138], v[141:142], v[137:138], -v[139:140]
	s_waitcnt vmcnt(6) lgkmcnt(1)
	v_mul_f64 v[147:148], v[2:3], v[40:41]
	v_mul_f64 v[40:41], v[4:5], v[40:41]
	s_waitcnt vmcnt(5) lgkmcnt(0)
	v_mul_f64 v[139:140], v[30:31], v[8:9]
	v_mul_f64 v[8:9], v[32:33], v[8:9]
	v_add_f64 v[34:35], v[36:37], v[34:35]
	v_add_f64 v[36:37], v[145:146], v[151:152]
	v_fma_f64 v[141:142], v[4:5], v[38:39], v[147:148]
	v_fma_f64 v[38:39], v[2:3], v[38:39], -v[40:41]
	v_fma_f64 v[32:33], v[32:33], v[6:7], v[139:140]
	v_fma_f64 v[6:7], v[30:31], v[6:7], -v[8:9]
	v_add_f64 v[40:41], v[34:35], v[137:138]
	v_add_f64 v[137:138], v[36:37], v[143:144]
	ds_load_b128 v[2:5], v1 offset:880
	ds_load_b128 v[34:37], v1 offset:896
	s_waitcnt vmcnt(4) lgkmcnt(1)
	v_mul_f64 v[143:144], v[2:3], v[12:13]
	v_mul_f64 v[12:13], v[4:5], v[12:13]
	v_add_f64 v[8:9], v[40:41], v[38:39]
	v_add_f64 v[30:31], v[137:138], v[141:142]
	s_waitcnt vmcnt(3) lgkmcnt(0)
	v_mul_f64 v[38:39], v[34:35], v[16:17]
	v_mul_f64 v[16:17], v[36:37], v[16:17]
	v_fma_f64 v[40:41], v[4:5], v[10:11], v[143:144]
	v_fma_f64 v[10:11], v[2:3], v[10:11], -v[12:13]
	v_add_f64 v[12:13], v[8:9], v[6:7]
	v_add_f64 v[30:31], v[30:31], v[32:33]
	ds_load_b128 v[2:5], v1 offset:912
	ds_load_b128 v[6:9], v1 offset:928
	v_fma_f64 v[36:37], v[36:37], v[14:15], v[38:39]
	v_fma_f64 v[14:15], v[34:35], v[14:15], -v[16:17]
	s_waitcnt vmcnt(2) lgkmcnt(1)
	v_mul_f64 v[32:33], v[2:3], v[20:21]
	v_mul_f64 v[20:21], v[4:5], v[20:21]
	s_waitcnt vmcnt(1) lgkmcnt(0)
	v_mul_f64 v[16:17], v[6:7], v[24:25]
	v_mul_f64 v[24:25], v[8:9], v[24:25]
	v_add_f64 v[10:11], v[12:13], v[10:11]
	v_add_f64 v[12:13], v[30:31], v[40:41]
	v_fma_f64 v[30:31], v[4:5], v[18:19], v[32:33]
	v_fma_f64 v[18:19], v[2:3], v[18:19], -v[20:21]
	ds_load_b128 v[2:5], v1 offset:944
	v_fma_f64 v[8:9], v[8:9], v[22:23], v[16:17]
	v_fma_f64 v[6:7], v[6:7], v[22:23], -v[24:25]
	v_add_f64 v[10:11], v[10:11], v[14:15]
	v_add_f64 v[12:13], v[12:13], v[36:37]
	s_waitcnt vmcnt(0) lgkmcnt(0)
	v_mul_f64 v[14:15], v[2:3], v[28:29]
	v_mul_f64 v[20:21], v[4:5], v[28:29]
	s_delay_alu instid0(VALU_DEP_4) | instskip(NEXT) | instid1(VALU_DEP_4)
	v_add_f64 v[10:11], v[10:11], v[18:19]
	v_add_f64 v[12:13], v[12:13], v[30:31]
	s_delay_alu instid0(VALU_DEP_4) | instskip(NEXT) | instid1(VALU_DEP_4)
	v_fma_f64 v[4:5], v[4:5], v[26:27], v[14:15]
	v_fma_f64 v[2:3], v[2:3], v[26:27], -v[20:21]
	s_delay_alu instid0(VALU_DEP_4) | instskip(NEXT) | instid1(VALU_DEP_4)
	v_add_f64 v[6:7], v[10:11], v[6:7]
	v_add_f64 v[8:9], v[12:13], v[8:9]
	s_delay_alu instid0(VALU_DEP_2) | instskip(NEXT) | instid1(VALU_DEP_2)
	v_add_f64 v[2:3], v[6:7], v[2:3]
	v_add_f64 v[4:5], v[8:9], v[4:5]
	s_delay_alu instid0(VALU_DEP_2) | instskip(NEXT) | instid1(VALU_DEP_2)
	v_add_f64 v[2:3], v[133:134], -v[2:3]
	v_add_f64 v[4:5], v[135:136], -v[4:5]
	scratch_store_b128 off, v[2:5], off offset:32
	v_cmpx_lt_u32_e32 1, v102
	s_cbranch_execz .LBB93_191
; %bb.190:
	scratch_load_b128 v[5:8], v106, off
	v_mov_b32_e32 v2, v1
	v_mov_b32_e32 v3, v1
	;; [unrolled: 1-line block ×3, first 2 shown]
	scratch_store_b128 off, v[1:4], off offset:16
	s_waitcnt vmcnt(0)
	ds_store_b128 v132, v[5:8]
.LBB93_191:
	s_or_b32 exec_lo, exec_lo, s2
	s_waitcnt lgkmcnt(0)
	s_waitcnt_vscnt null, 0x0
	s_barrier
	buffer_gl0_inv
	s_clause 0x8
	scratch_load_b128 v[2:5], off, off offset:32
	scratch_load_b128 v[6:9], off, off offset:48
	;; [unrolled: 1-line block ×9, first 2 shown]
	ds_load_b128 v[133:136], v1 offset:512
	ds_load_b128 v[38:41], v1 offset:528
	s_clause 0x1
	scratch_load_b128 v[137:140], off, off offset:16
	scratch_load_b128 v[141:144], off, off offset:176
	s_mov_b32 s2, exec_lo
	s_waitcnt vmcnt(10) lgkmcnt(1)
	v_mul_f64 v[145:146], v[135:136], v[4:5]
	v_mul_f64 v[4:5], v[133:134], v[4:5]
	s_waitcnt vmcnt(9) lgkmcnt(0)
	v_mul_f64 v[149:150], v[38:39], v[8:9]
	v_mul_f64 v[8:9], v[40:41], v[8:9]
	s_delay_alu instid0(VALU_DEP_4) | instskip(NEXT) | instid1(VALU_DEP_4)
	v_fma_f64 v[151:152], v[133:134], v[2:3], -v[145:146]
	v_fma_f64 v[153:154], v[135:136], v[2:3], v[4:5]
	ds_load_b128 v[2:5], v1 offset:544
	ds_load_b128 v[145:148], v1 offset:560
	scratch_load_b128 v[133:136], off, off offset:192
	v_fma_f64 v[40:41], v[40:41], v[6:7], v[149:150]
	v_fma_f64 v[38:39], v[38:39], v[6:7], -v[8:9]
	scratch_load_b128 v[6:9], off, off offset:208
	s_waitcnt vmcnt(10) lgkmcnt(1)
	v_mul_f64 v[155:156], v[2:3], v[12:13]
	v_mul_f64 v[12:13], v[4:5], v[12:13]
	v_add_f64 v[149:150], v[151:152], 0
	v_add_f64 v[151:152], v[153:154], 0
	s_waitcnt vmcnt(9) lgkmcnt(0)
	v_mul_f64 v[153:154], v[145:146], v[16:17]
	v_mul_f64 v[16:17], v[147:148], v[16:17]
	v_fma_f64 v[155:156], v[4:5], v[10:11], v[155:156]
	v_fma_f64 v[157:158], v[2:3], v[10:11], -v[12:13]
	ds_load_b128 v[2:5], v1 offset:576
	scratch_load_b128 v[10:13], off, off offset:224
	v_add_f64 v[149:150], v[149:150], v[38:39]
	v_add_f64 v[151:152], v[151:152], v[40:41]
	ds_load_b128 v[38:41], v1 offset:592
	v_fma_f64 v[147:148], v[147:148], v[14:15], v[153:154]
	v_fma_f64 v[145:146], v[145:146], v[14:15], -v[16:17]
	scratch_load_b128 v[14:17], off, off offset:240
	s_waitcnt vmcnt(10) lgkmcnt(1)
	v_mul_f64 v[159:160], v[2:3], v[20:21]
	v_mul_f64 v[20:21], v[4:5], v[20:21]
	s_waitcnt vmcnt(9) lgkmcnt(0)
	v_mul_f64 v[153:154], v[38:39], v[24:25]
	v_mul_f64 v[24:25], v[40:41], v[24:25]
	v_add_f64 v[149:150], v[149:150], v[157:158]
	v_add_f64 v[151:152], v[151:152], v[155:156]
	v_fma_f64 v[155:156], v[4:5], v[18:19], v[159:160]
	v_fma_f64 v[157:158], v[2:3], v[18:19], -v[20:21]
	ds_load_b128 v[2:5], v1 offset:608
	scratch_load_b128 v[18:21], off, off offset:256
	v_fma_f64 v[40:41], v[40:41], v[22:23], v[153:154]
	v_fma_f64 v[38:39], v[38:39], v[22:23], -v[24:25]
	scratch_load_b128 v[22:25], off, off offset:272
	v_add_f64 v[149:150], v[149:150], v[145:146]
	v_add_f64 v[151:152], v[151:152], v[147:148]
	ds_load_b128 v[145:148], v1 offset:624
	s_waitcnt vmcnt(10) lgkmcnt(1)
	v_mul_f64 v[159:160], v[2:3], v[28:29]
	v_mul_f64 v[28:29], v[4:5], v[28:29]
	s_waitcnt vmcnt(9) lgkmcnt(0)
	v_mul_f64 v[153:154], v[145:146], v[32:33]
	v_mul_f64 v[32:33], v[147:148], v[32:33]
	v_add_f64 v[149:150], v[149:150], v[157:158]
	v_add_f64 v[151:152], v[151:152], v[155:156]
	v_fma_f64 v[155:156], v[4:5], v[26:27], v[159:160]
	v_fma_f64 v[157:158], v[2:3], v[26:27], -v[28:29]
	ds_load_b128 v[2:5], v1 offset:640
	scratch_load_b128 v[26:29], off, off offset:288
	v_fma_f64 v[147:148], v[147:148], v[30:31], v[153:154]
	v_fma_f64 v[145:146], v[145:146], v[30:31], -v[32:33]
	scratch_load_b128 v[30:33], off, off offset:304
	v_add_f64 v[149:150], v[149:150], v[38:39]
	v_add_f64 v[151:152], v[151:152], v[40:41]
	ds_load_b128 v[38:41], v1 offset:656
	s_waitcnt vmcnt(10) lgkmcnt(1)
	v_mul_f64 v[159:160], v[2:3], v[36:37]
	v_mul_f64 v[36:37], v[4:5], v[36:37]
	s_waitcnt vmcnt(8) lgkmcnt(0)
	v_mul_f64 v[153:154], v[38:39], v[143:144]
	v_add_f64 v[149:150], v[149:150], v[157:158]
	v_add_f64 v[151:152], v[151:152], v[155:156]
	v_mul_f64 v[155:156], v[40:41], v[143:144]
	v_fma_f64 v[157:158], v[4:5], v[34:35], v[159:160]
	v_fma_f64 v[159:160], v[2:3], v[34:35], -v[36:37]
	ds_load_b128 v[2:5], v1 offset:672
	scratch_load_b128 v[34:37], off, off offset:320
	v_fma_f64 v[153:154], v[40:41], v[141:142], v[153:154]
	v_add_f64 v[149:150], v[149:150], v[145:146]
	v_add_f64 v[147:148], v[151:152], v[147:148]
	ds_load_b128 v[143:146], v1 offset:688
	v_fma_f64 v[141:142], v[38:39], v[141:142], -v[155:156]
	scratch_load_b128 v[38:41], off, off offset:336
	s_waitcnt vmcnt(9) lgkmcnt(1)
	v_mul_f64 v[151:152], v[2:3], v[135:136]
	v_mul_f64 v[135:136], v[4:5], v[135:136]
	s_waitcnt vmcnt(8) lgkmcnt(0)
	v_mul_f64 v[155:156], v[143:144], v[8:9]
	v_mul_f64 v[8:9], v[145:146], v[8:9]
	v_add_f64 v[149:150], v[149:150], v[159:160]
	v_add_f64 v[147:148], v[147:148], v[157:158]
	v_fma_f64 v[151:152], v[4:5], v[133:134], v[151:152]
	v_fma_f64 v[157:158], v[2:3], v[133:134], -v[135:136]
	ds_load_b128 v[2:5], v1 offset:704
	scratch_load_b128 v[133:136], off, off offset:352
	v_fma_f64 v[145:146], v[145:146], v[6:7], v[155:156]
	v_fma_f64 v[143:144], v[143:144], v[6:7], -v[8:9]
	scratch_load_b128 v[6:9], off, off offset:368
	v_add_f64 v[141:142], v[149:150], v[141:142]
	v_add_f64 v[153:154], v[147:148], v[153:154]
	ds_load_b128 v[147:150], v1 offset:720
	s_waitcnt vmcnt(9) lgkmcnt(1)
	v_mul_f64 v[159:160], v[2:3], v[12:13]
	v_mul_f64 v[12:13], v[4:5], v[12:13]
	v_add_f64 v[141:142], v[141:142], v[157:158]
	v_add_f64 v[151:152], v[153:154], v[151:152]
	s_waitcnt vmcnt(8) lgkmcnt(0)
	v_mul_f64 v[153:154], v[147:148], v[16:17]
	v_mul_f64 v[16:17], v[149:150], v[16:17]
	v_fma_f64 v[155:156], v[4:5], v[10:11], v[159:160]
	v_fma_f64 v[157:158], v[2:3], v[10:11], -v[12:13]
	ds_load_b128 v[2:5], v1 offset:736
	scratch_load_b128 v[10:13], off, off offset:384
	v_add_f64 v[159:160], v[141:142], v[143:144]
	v_add_f64 v[145:146], v[151:152], v[145:146]
	ds_load_b128 v[141:144], v1 offset:752
	s_waitcnt vmcnt(8) lgkmcnt(1)
	v_mul_f64 v[151:152], v[2:3], v[20:21]
	v_mul_f64 v[20:21], v[4:5], v[20:21]
	v_fma_f64 v[149:150], v[149:150], v[14:15], v[153:154]
	v_fma_f64 v[147:148], v[147:148], v[14:15], -v[16:17]
	scratch_load_b128 v[14:17], off, off offset:400
	v_add_f64 v[153:154], v[159:160], v[157:158]
	v_add_f64 v[145:146], v[145:146], v[155:156]
	s_waitcnt vmcnt(8) lgkmcnt(0)
	v_mul_f64 v[155:156], v[141:142], v[24:25]
	v_mul_f64 v[24:25], v[143:144], v[24:25]
	v_fma_f64 v[151:152], v[4:5], v[18:19], v[151:152]
	v_fma_f64 v[157:158], v[2:3], v[18:19], -v[20:21]
	ds_load_b128 v[2:5], v1 offset:768
	scratch_load_b128 v[18:21], off, off offset:416
	v_add_f64 v[153:154], v[153:154], v[147:148]
	v_add_f64 v[149:150], v[145:146], v[149:150]
	ds_load_b128 v[145:148], v1 offset:784
	s_waitcnt vmcnt(8) lgkmcnt(1)
	v_mul_f64 v[159:160], v[2:3], v[28:29]
	v_mul_f64 v[28:29], v[4:5], v[28:29]
	v_fma_f64 v[143:144], v[143:144], v[22:23], v[155:156]
	v_fma_f64 v[141:142], v[141:142], v[22:23], -v[24:25]
	scratch_load_b128 v[22:25], off, off offset:432
	;; [unrolled: 18-line block ×3, first 2 shown]
	v_add_f64 v[151:152], v[153:154], v[157:158]
	v_add_f64 v[149:150], v[149:150], v[155:156]
	s_waitcnt vmcnt(8) lgkmcnt(0)
	v_mul_f64 v[153:154], v[141:142], v[40:41]
	v_mul_f64 v[40:41], v[143:144], v[40:41]
	v_fma_f64 v[155:156], v[4:5], v[34:35], v[159:160]
	v_fma_f64 v[157:158], v[2:3], v[34:35], -v[36:37]
	ds_load_b128 v[2:5], v1 offset:832
	ds_load_b128 v[34:37], v1 offset:848
	v_add_f64 v[145:146], v[151:152], v[145:146]
	v_add_f64 v[147:148], v[149:150], v[147:148]
	s_waitcnt vmcnt(7) lgkmcnt(1)
	v_mul_f64 v[149:150], v[2:3], v[135:136]
	v_mul_f64 v[135:136], v[4:5], v[135:136]
	v_fma_f64 v[143:144], v[143:144], v[38:39], v[153:154]
	v_fma_f64 v[38:39], v[141:142], v[38:39], -v[40:41]
	v_add_f64 v[40:41], v[145:146], v[157:158]
	v_add_f64 v[141:142], v[147:148], v[155:156]
	s_waitcnt vmcnt(6) lgkmcnt(0)
	v_mul_f64 v[145:146], v[34:35], v[8:9]
	v_mul_f64 v[8:9], v[36:37], v[8:9]
	v_fma_f64 v[147:148], v[4:5], v[133:134], v[149:150]
	v_fma_f64 v[133:134], v[2:3], v[133:134], -v[135:136]
	v_add_f64 v[135:136], v[40:41], v[38:39]
	v_add_f64 v[141:142], v[141:142], v[143:144]
	ds_load_b128 v[2:5], v1 offset:864
	ds_load_b128 v[38:41], v1 offset:880
	v_fma_f64 v[36:37], v[36:37], v[6:7], v[145:146]
	v_fma_f64 v[6:7], v[34:35], v[6:7], -v[8:9]
	s_waitcnt vmcnt(5) lgkmcnt(1)
	v_mul_f64 v[143:144], v[2:3], v[12:13]
	v_mul_f64 v[12:13], v[4:5], v[12:13]
	v_add_f64 v[8:9], v[135:136], v[133:134]
	v_add_f64 v[34:35], v[141:142], v[147:148]
	s_waitcnt vmcnt(4) lgkmcnt(0)
	v_mul_f64 v[133:134], v[38:39], v[16:17]
	v_mul_f64 v[16:17], v[40:41], v[16:17]
	v_fma_f64 v[135:136], v[4:5], v[10:11], v[143:144]
	v_fma_f64 v[10:11], v[2:3], v[10:11], -v[12:13]
	v_add_f64 v[12:13], v[8:9], v[6:7]
	v_add_f64 v[34:35], v[34:35], v[36:37]
	ds_load_b128 v[2:5], v1 offset:896
	ds_load_b128 v[6:9], v1 offset:912
	v_fma_f64 v[40:41], v[40:41], v[14:15], v[133:134]
	v_fma_f64 v[14:15], v[38:39], v[14:15], -v[16:17]
	s_waitcnt vmcnt(3) lgkmcnt(1)
	v_mul_f64 v[36:37], v[2:3], v[20:21]
	v_mul_f64 v[20:21], v[4:5], v[20:21]
	s_waitcnt vmcnt(2) lgkmcnt(0)
	v_mul_f64 v[16:17], v[6:7], v[24:25]
	v_mul_f64 v[24:25], v[8:9], v[24:25]
	v_add_f64 v[10:11], v[12:13], v[10:11]
	v_add_f64 v[12:13], v[34:35], v[135:136]
	v_fma_f64 v[34:35], v[4:5], v[18:19], v[36:37]
	v_fma_f64 v[18:19], v[2:3], v[18:19], -v[20:21]
	v_fma_f64 v[8:9], v[8:9], v[22:23], v[16:17]
	v_fma_f64 v[6:7], v[6:7], v[22:23], -v[24:25]
	v_add_f64 v[14:15], v[10:11], v[14:15]
	v_add_f64 v[20:21], v[12:13], v[40:41]
	ds_load_b128 v[2:5], v1 offset:928
	ds_load_b128 v[10:13], v1 offset:944
	s_waitcnt vmcnt(1) lgkmcnt(1)
	v_mul_f64 v[36:37], v[2:3], v[28:29]
	v_mul_f64 v[28:29], v[4:5], v[28:29]
	v_add_f64 v[14:15], v[14:15], v[18:19]
	v_add_f64 v[16:17], v[20:21], v[34:35]
	s_waitcnt vmcnt(0) lgkmcnt(0)
	v_mul_f64 v[18:19], v[10:11], v[32:33]
	v_mul_f64 v[20:21], v[12:13], v[32:33]
	v_fma_f64 v[4:5], v[4:5], v[26:27], v[36:37]
	v_fma_f64 v[1:2], v[2:3], v[26:27], -v[28:29]
	v_add_f64 v[6:7], v[14:15], v[6:7]
	v_add_f64 v[8:9], v[16:17], v[8:9]
	v_fma_f64 v[12:13], v[12:13], v[30:31], v[18:19]
	v_fma_f64 v[10:11], v[10:11], v[30:31], -v[20:21]
	s_delay_alu instid0(VALU_DEP_4) | instskip(NEXT) | instid1(VALU_DEP_4)
	v_add_f64 v[1:2], v[6:7], v[1:2]
	v_add_f64 v[3:4], v[8:9], v[4:5]
	s_delay_alu instid0(VALU_DEP_2) | instskip(NEXT) | instid1(VALU_DEP_2)
	v_add_f64 v[1:2], v[1:2], v[10:11]
	v_add_f64 v[3:4], v[3:4], v[12:13]
	s_delay_alu instid0(VALU_DEP_2) | instskip(NEXT) | instid1(VALU_DEP_2)
	v_add_f64 v[1:2], v[137:138], -v[1:2]
	v_add_f64 v[3:4], v[139:140], -v[3:4]
	scratch_store_b128 off, v[1:4], off offset:16
	v_cmpx_ne_u32_e32 0, v102
	s_cbranch_execz .LBB93_193
; %bb.192:
	scratch_load_b128 v[1:4], off, off
	v_mov_b32_e32 v5, 0
	s_delay_alu instid0(VALU_DEP_1)
	v_mov_b32_e32 v6, v5
	v_mov_b32_e32 v7, v5
	;; [unrolled: 1-line block ×3, first 2 shown]
	scratch_store_b128 off, v[5:8], off
	s_waitcnt vmcnt(0)
	ds_store_b128 v132, v[1:4]
.LBB93_193:
	s_or_b32 exec_lo, exec_lo, s2
	s_waitcnt lgkmcnt(0)
	s_waitcnt_vscnt null, 0x0
	s_barrier
	buffer_gl0_inv
	s_clause 0x7
	scratch_load_b128 v[1:4], off, off offset:16
	scratch_load_b128 v[5:8], off, off offset:32
	;; [unrolled: 1-line block ×8, first 2 shown]
	v_mov_b32_e32 v41, 0
	s_and_b32 vcc_lo, exec_lo, s14
	ds_load_b128 v[37:40], v41 offset:496
	s_clause 0x1
	scratch_load_b128 v[33:36], off, off offset:144
	scratch_load_b128 v[132:135], off, off
	ds_load_b128 v[136:139], v41 offset:512
	scratch_load_b128 v[140:143], off, off offset:160
	s_waitcnt vmcnt(10) lgkmcnt(1)
	v_mul_f64 v[144:145], v[39:40], v[3:4]
	v_mul_f64 v[3:4], v[37:38], v[3:4]
	s_delay_alu instid0(VALU_DEP_2) | instskip(NEXT) | instid1(VALU_DEP_2)
	v_fma_f64 v[150:151], v[37:38], v[1:2], -v[144:145]
	v_fma_f64 v[152:153], v[39:40], v[1:2], v[3:4]
	scratch_load_b128 v[37:40], off, off offset:176
	ds_load_b128 v[1:4], v41 offset:528
	s_waitcnt vmcnt(10) lgkmcnt(1)
	v_mul_f64 v[148:149], v[136:137], v[7:8]
	v_mul_f64 v[7:8], v[138:139], v[7:8]
	ds_load_b128 v[144:147], v41 offset:544
	s_waitcnt vmcnt(9) lgkmcnt(1)
	v_mul_f64 v[154:155], v[1:2], v[11:12]
	v_mul_f64 v[11:12], v[3:4], v[11:12]
	v_fma_f64 v[138:139], v[138:139], v[5:6], v[148:149]
	v_fma_f64 v[136:137], v[136:137], v[5:6], -v[7:8]
	v_add_f64 v[148:149], v[150:151], 0
	v_add_f64 v[150:151], v[152:153], 0
	scratch_load_b128 v[5:8], off, off offset:192
	v_fma_f64 v[154:155], v[3:4], v[9:10], v[154:155]
	v_fma_f64 v[156:157], v[1:2], v[9:10], -v[11:12]
	scratch_load_b128 v[9:12], off, off offset:208
	ds_load_b128 v[1:4], v41 offset:560
	s_waitcnt vmcnt(10) lgkmcnt(1)
	v_mul_f64 v[152:153], v[144:145], v[15:16]
	v_mul_f64 v[15:16], v[146:147], v[15:16]
	v_add_f64 v[148:149], v[148:149], v[136:137]
	v_add_f64 v[150:151], v[150:151], v[138:139]
	s_waitcnt vmcnt(9) lgkmcnt(0)
	v_mul_f64 v[158:159], v[1:2], v[19:20]
	v_mul_f64 v[19:20], v[3:4], v[19:20]
	ds_load_b128 v[136:139], v41 offset:576
	v_fma_f64 v[146:147], v[146:147], v[13:14], v[152:153]
	v_fma_f64 v[144:145], v[144:145], v[13:14], -v[15:16]
	scratch_load_b128 v[13:16], off, off offset:224
	v_add_f64 v[148:149], v[148:149], v[156:157]
	v_add_f64 v[150:151], v[150:151], v[154:155]
	v_fma_f64 v[154:155], v[3:4], v[17:18], v[158:159]
	v_fma_f64 v[156:157], v[1:2], v[17:18], -v[19:20]
	scratch_load_b128 v[17:20], off, off offset:240
	ds_load_b128 v[1:4], v41 offset:592
	s_waitcnt vmcnt(10) lgkmcnt(1)
	v_mul_f64 v[152:153], v[136:137], v[23:24]
	v_mul_f64 v[23:24], v[138:139], v[23:24]
	s_waitcnt vmcnt(9) lgkmcnt(0)
	v_mul_f64 v[158:159], v[1:2], v[27:28]
	v_mul_f64 v[27:28], v[3:4], v[27:28]
	v_add_f64 v[148:149], v[148:149], v[144:145]
	v_add_f64 v[150:151], v[150:151], v[146:147]
	ds_load_b128 v[144:147], v41 offset:608
	v_fma_f64 v[138:139], v[138:139], v[21:22], v[152:153]
	v_fma_f64 v[136:137], v[136:137], v[21:22], -v[23:24]
	scratch_load_b128 v[21:24], off, off offset:256
	v_add_f64 v[148:149], v[148:149], v[156:157]
	v_add_f64 v[150:151], v[150:151], v[154:155]
	v_fma_f64 v[154:155], v[3:4], v[25:26], v[158:159]
	v_fma_f64 v[156:157], v[1:2], v[25:26], -v[27:28]
	scratch_load_b128 v[25:28], off, off offset:272
	ds_load_b128 v[1:4], v41 offset:624
	s_waitcnt vmcnt(10) lgkmcnt(1)
	v_mul_f64 v[152:153], v[144:145], v[31:32]
	v_mul_f64 v[31:32], v[146:147], v[31:32]
	s_waitcnt vmcnt(9) lgkmcnt(0)
	v_mul_f64 v[158:159], v[1:2], v[35:36]
	v_mul_f64 v[35:36], v[3:4], v[35:36]
	v_add_f64 v[148:149], v[148:149], v[136:137]
	v_add_f64 v[150:151], v[150:151], v[138:139]
	ds_load_b128 v[136:139], v41 offset:640
	v_fma_f64 v[146:147], v[146:147], v[29:30], v[152:153]
	v_fma_f64 v[144:145], v[144:145], v[29:30], -v[31:32]
	scratch_load_b128 v[29:32], off, off offset:288
	v_add_f64 v[148:149], v[148:149], v[156:157]
	v_add_f64 v[150:151], v[150:151], v[154:155]
	v_fma_f64 v[156:157], v[3:4], v[33:34], v[158:159]
	v_fma_f64 v[158:159], v[1:2], v[33:34], -v[35:36]
	scratch_load_b128 v[33:36], off, off offset:304
	ds_load_b128 v[1:4], v41 offset:656
	s_waitcnt vmcnt(9) lgkmcnt(1)
	v_mul_f64 v[152:153], v[136:137], v[142:143]
	v_mul_f64 v[154:155], v[138:139], v[142:143]
	v_add_f64 v[148:149], v[148:149], v[144:145]
	v_add_f64 v[146:147], v[150:151], v[146:147]
	ds_load_b128 v[142:145], v41 offset:672
	v_fma_f64 v[152:153], v[138:139], v[140:141], v[152:153]
	v_fma_f64 v[140:141], v[136:137], v[140:141], -v[154:155]
	scratch_load_b128 v[136:139], off, off offset:320
	s_waitcnt vmcnt(9) lgkmcnt(1)
	v_mul_f64 v[150:151], v[1:2], v[39:40]
	v_mul_f64 v[39:40], v[3:4], v[39:40]
	v_add_f64 v[148:149], v[148:149], v[158:159]
	v_add_f64 v[146:147], v[146:147], v[156:157]
	s_delay_alu instid0(VALU_DEP_4) | instskip(NEXT) | instid1(VALU_DEP_4)
	v_fma_f64 v[150:151], v[3:4], v[37:38], v[150:151]
	v_fma_f64 v[156:157], v[1:2], v[37:38], -v[39:40]
	scratch_load_b128 v[37:40], off, off offset:336
	ds_load_b128 v[1:4], v41 offset:688
	s_waitcnt vmcnt(9) lgkmcnt(1)
	v_mul_f64 v[154:155], v[142:143], v[7:8]
	v_mul_f64 v[7:8], v[144:145], v[7:8]
	s_waitcnt vmcnt(8) lgkmcnt(0)
	v_mul_f64 v[158:159], v[1:2], v[11:12]
	v_mul_f64 v[11:12], v[3:4], v[11:12]
	v_add_f64 v[140:141], v[148:149], v[140:141]
	v_add_f64 v[152:153], v[146:147], v[152:153]
	ds_load_b128 v[146:149], v41 offset:704
	v_fma_f64 v[144:145], v[144:145], v[5:6], v[154:155]
	v_fma_f64 v[142:143], v[142:143], v[5:6], -v[7:8]
	scratch_load_b128 v[5:8], off, off offset:352
	v_fma_f64 v[154:155], v[3:4], v[9:10], v[158:159]
	v_add_f64 v[140:141], v[140:141], v[156:157]
	v_add_f64 v[150:151], v[152:153], v[150:151]
	v_fma_f64 v[156:157], v[1:2], v[9:10], -v[11:12]
	scratch_load_b128 v[9:12], off, off offset:368
	ds_load_b128 v[1:4], v41 offset:720
	s_waitcnt vmcnt(9) lgkmcnt(1)
	v_mul_f64 v[152:153], v[146:147], v[15:16]
	v_mul_f64 v[15:16], v[148:149], v[15:16]
	v_add_f64 v[158:159], v[140:141], v[142:143]
	v_add_f64 v[144:145], v[150:151], v[144:145]
	s_waitcnt vmcnt(8) lgkmcnt(0)
	v_mul_f64 v[150:151], v[1:2], v[19:20]
	v_mul_f64 v[19:20], v[3:4], v[19:20]
	ds_load_b128 v[140:143], v41 offset:736
	v_fma_f64 v[148:149], v[148:149], v[13:14], v[152:153]
	v_fma_f64 v[146:147], v[146:147], v[13:14], -v[15:16]
	scratch_load_b128 v[13:16], off, off offset:384
	v_add_f64 v[152:153], v[158:159], v[156:157]
	v_add_f64 v[144:145], v[144:145], v[154:155]
	v_fma_f64 v[150:151], v[3:4], v[17:18], v[150:151]
	v_fma_f64 v[156:157], v[1:2], v[17:18], -v[19:20]
	scratch_load_b128 v[17:20], off, off offset:400
	ds_load_b128 v[1:4], v41 offset:752
	s_waitcnt vmcnt(9) lgkmcnt(1)
	v_mul_f64 v[154:155], v[140:141], v[23:24]
	v_mul_f64 v[23:24], v[142:143], v[23:24]
	s_waitcnt vmcnt(8) lgkmcnt(0)
	v_mul_f64 v[158:159], v[1:2], v[27:28]
	v_mul_f64 v[27:28], v[3:4], v[27:28]
	v_add_f64 v[152:153], v[152:153], v[146:147]
	v_add_f64 v[148:149], v[144:145], v[148:149]
	ds_load_b128 v[144:147], v41 offset:768
	v_fma_f64 v[142:143], v[142:143], v[21:22], v[154:155]
	v_fma_f64 v[140:141], v[140:141], v[21:22], -v[23:24]
	scratch_load_b128 v[21:24], off, off offset:416
	v_fma_f64 v[154:155], v[3:4], v[25:26], v[158:159]
	v_add_f64 v[152:153], v[152:153], v[156:157]
	v_add_f64 v[148:149], v[148:149], v[150:151]
	v_fma_f64 v[156:157], v[1:2], v[25:26], -v[27:28]
	scratch_load_b128 v[25:28], off, off offset:432
	ds_load_b128 v[1:4], v41 offset:784
	s_waitcnt vmcnt(9) lgkmcnt(1)
	v_mul_f64 v[150:151], v[144:145], v[31:32]
	v_mul_f64 v[31:32], v[146:147], v[31:32]
	s_waitcnt vmcnt(8) lgkmcnt(0)
	v_mul_f64 v[158:159], v[1:2], v[35:36]
	v_mul_f64 v[35:36], v[3:4], v[35:36]
	v_add_f64 v[152:153], v[152:153], v[140:141]
	v_add_f64 v[148:149], v[148:149], v[142:143]
	ds_load_b128 v[140:143], v41 offset:800
	v_fma_f64 v[146:147], v[146:147], v[29:30], v[150:151]
	v_fma_f64 v[144:145], v[144:145], v[29:30], -v[31:32]
	scratch_load_b128 v[29:32], off, off offset:448
	v_add_f64 v[150:151], v[152:153], v[156:157]
	v_add_f64 v[148:149], v[148:149], v[154:155]
	v_fma_f64 v[154:155], v[3:4], v[33:34], v[158:159]
	v_fma_f64 v[156:157], v[1:2], v[33:34], -v[35:36]
	scratch_load_b128 v[33:36], off, off offset:464
	ds_load_b128 v[1:4], v41 offset:816
	s_waitcnt vmcnt(9) lgkmcnt(1)
	v_mul_f64 v[152:153], v[140:141], v[138:139]
	v_mul_f64 v[138:139], v[142:143], v[138:139]
	s_waitcnt vmcnt(8) lgkmcnt(0)
	v_mul_f64 v[158:159], v[1:2], v[39:40]
	v_mul_f64 v[39:40], v[3:4], v[39:40]
	v_add_f64 v[150:151], v[150:151], v[144:145]
	v_add_f64 v[148:149], v[148:149], v[146:147]
	ds_load_b128 v[144:147], v41 offset:832
	v_fma_f64 v[142:143], v[142:143], v[136:137], v[152:153]
	v_fma_f64 v[136:137], v[140:141], v[136:137], -v[138:139]
	v_fma_f64 v[152:153], v[1:2], v[37:38], -v[39:40]
	v_add_f64 v[138:139], v[150:151], v[156:157]
	v_add_f64 v[140:141], v[148:149], v[154:155]
	s_waitcnt vmcnt(7) lgkmcnt(0)
	v_mul_f64 v[148:149], v[144:145], v[7:8]
	v_mul_f64 v[7:8], v[146:147], v[7:8]
	v_fma_f64 v[150:151], v[3:4], v[37:38], v[158:159]
	ds_load_b128 v[1:4], v41 offset:848
	ds_load_b128 v[37:40], v41 offset:864
	v_add_f64 v[136:137], v[138:139], v[136:137]
	v_add_f64 v[138:139], v[140:141], v[142:143]
	s_waitcnt vmcnt(6) lgkmcnt(1)
	v_mul_f64 v[140:141], v[1:2], v[11:12]
	v_mul_f64 v[11:12], v[3:4], v[11:12]
	v_fma_f64 v[142:143], v[146:147], v[5:6], v[148:149]
	v_fma_f64 v[5:6], v[144:145], v[5:6], -v[7:8]
	v_add_f64 v[7:8], v[136:137], v[152:153]
	v_add_f64 v[136:137], v[138:139], v[150:151]
	s_waitcnt vmcnt(5) lgkmcnt(0)
	v_mul_f64 v[138:139], v[37:38], v[15:16]
	v_mul_f64 v[15:16], v[39:40], v[15:16]
	v_fma_f64 v[140:141], v[3:4], v[9:10], v[140:141]
	v_fma_f64 v[9:10], v[1:2], v[9:10], -v[11:12]
	v_add_f64 v[11:12], v[7:8], v[5:6]
	v_add_f64 v[136:137], v[136:137], v[142:143]
	ds_load_b128 v[1:4], v41 offset:880
	ds_load_b128 v[5:8], v41 offset:896
	v_fma_f64 v[39:40], v[39:40], v[13:14], v[138:139]
	v_fma_f64 v[13:14], v[37:38], v[13:14], -v[15:16]
	s_waitcnt vmcnt(4) lgkmcnt(1)
	v_mul_f64 v[142:143], v[1:2], v[19:20]
	v_mul_f64 v[19:20], v[3:4], v[19:20]
	s_waitcnt vmcnt(3) lgkmcnt(0)
	v_mul_f64 v[15:16], v[5:6], v[23:24]
	v_mul_f64 v[23:24], v[7:8], v[23:24]
	v_add_f64 v[9:10], v[11:12], v[9:10]
	v_add_f64 v[11:12], v[136:137], v[140:141]
	v_fma_f64 v[37:38], v[3:4], v[17:18], v[142:143]
	v_fma_f64 v[17:18], v[1:2], v[17:18], -v[19:20]
	v_fma_f64 v[7:8], v[7:8], v[21:22], v[15:16]
	v_fma_f64 v[5:6], v[5:6], v[21:22], -v[23:24]
	v_add_f64 v[13:14], v[9:10], v[13:14]
	v_add_f64 v[19:20], v[11:12], v[39:40]
	ds_load_b128 v[1:4], v41 offset:912
	ds_load_b128 v[9:12], v41 offset:928
	s_waitcnt vmcnt(2) lgkmcnt(1)
	v_mul_f64 v[39:40], v[1:2], v[27:28]
	v_mul_f64 v[27:28], v[3:4], v[27:28]
	v_add_f64 v[13:14], v[13:14], v[17:18]
	v_add_f64 v[15:16], v[19:20], v[37:38]
	s_waitcnt vmcnt(1) lgkmcnt(0)
	v_mul_f64 v[17:18], v[9:10], v[31:32]
	v_mul_f64 v[19:20], v[11:12], v[31:32]
	v_fma_f64 v[21:22], v[3:4], v[25:26], v[39:40]
	v_fma_f64 v[23:24], v[1:2], v[25:26], -v[27:28]
	ds_load_b128 v[1:4], v41 offset:944
	v_add_f64 v[5:6], v[13:14], v[5:6]
	v_add_f64 v[7:8], v[15:16], v[7:8]
	v_fma_f64 v[11:12], v[11:12], v[29:30], v[17:18]
	v_fma_f64 v[9:10], v[9:10], v[29:30], -v[19:20]
	s_waitcnt vmcnt(0) lgkmcnt(0)
	v_mul_f64 v[13:14], v[1:2], v[35:36]
	v_mul_f64 v[15:16], v[3:4], v[35:36]
	v_add_f64 v[5:6], v[5:6], v[23:24]
	v_add_f64 v[7:8], v[7:8], v[21:22]
	s_delay_alu instid0(VALU_DEP_4) | instskip(NEXT) | instid1(VALU_DEP_4)
	v_fma_f64 v[3:4], v[3:4], v[33:34], v[13:14]
	v_fma_f64 v[1:2], v[1:2], v[33:34], -v[15:16]
	s_delay_alu instid0(VALU_DEP_4) | instskip(NEXT) | instid1(VALU_DEP_4)
	v_add_f64 v[5:6], v[5:6], v[9:10]
	v_add_f64 v[7:8], v[7:8], v[11:12]
	s_delay_alu instid0(VALU_DEP_2) | instskip(NEXT) | instid1(VALU_DEP_2)
	v_add_f64 v[1:2], v[5:6], v[1:2]
	v_add_f64 v[3:4], v[7:8], v[3:4]
	s_delay_alu instid0(VALU_DEP_2) | instskip(NEXT) | instid1(VALU_DEP_2)
	v_add_f64 v[1:2], v[132:133], -v[1:2]
	v_add_f64 v[3:4], v[134:135], -v[3:4]
	scratch_store_b128 off, v[1:4], off
	s_cbranch_vccz .LBB93_253
; %bb.194:
	v_dual_mov_b32 v1, s8 :: v_dual_mov_b32 v2, s9
	s_load_b64 s[0:1], s[0:1], 0x4
	flat_load_b32 v1, v[1:2] offset:112
	v_bfe_u32 v2, v0, 10, 10
	v_bfe_u32 v0, v0, 20, 10
	s_waitcnt lgkmcnt(0)
	s_lshr_b32 s0, s0, 16
	s_delay_alu instid0(VALU_DEP_2) | instskip(SKIP_1) | instid1(SALU_CYCLE_1)
	v_mul_u32_u24_e32 v2, s1, v2
	s_mul_i32 s0, s0, s1
	v_mul_u32_u24_e32 v3, s0, v102
	s_mov_b32 s0, exec_lo
	s_delay_alu instid0(VALU_DEP_1) | instskip(NEXT) | instid1(VALU_DEP_1)
	v_add3_u32 v0, v3, v2, v0
	v_lshl_add_u32 v0, v0, 4, 0x3c8
	s_waitcnt vmcnt(0)
	v_cmpx_ne_u32_e32 29, v1
	s_cbranch_execz .LBB93_196
; %bb.195:
	v_lshl_add_u32 v9, v1, 4, 0
	s_clause 0x1
	scratch_load_b128 v[1:4], v126, off
	scratch_load_b128 v[5:8], v9, off offset:-16
	s_waitcnt vmcnt(1)
	ds_store_2addr_b64 v0, v[1:2], v[3:4] offset1:1
	s_waitcnt vmcnt(0)
	s_clause 0x1
	scratch_store_b128 v126, v[5:8], off
	scratch_store_b128 v9, v[1:4], off offset:-16
.LBB93_196:
	s_or_b32 exec_lo, exec_lo, s0
	v_dual_mov_b32 v1, s8 :: v_dual_mov_b32 v2, s9
	s_mov_b32 s0, exec_lo
	flat_load_b32 v1, v[1:2] offset:108
	s_waitcnt vmcnt(0) lgkmcnt(0)
	v_cmpx_ne_u32_e32 28, v1
	s_cbranch_execz .LBB93_198
; %bb.197:
	v_lshl_add_u32 v9, v1, 4, 0
	s_clause 0x1
	scratch_load_b128 v[1:4], v127, off
	scratch_load_b128 v[5:8], v9, off offset:-16
	s_waitcnt vmcnt(1)
	ds_store_2addr_b64 v0, v[1:2], v[3:4] offset1:1
	s_waitcnt vmcnt(0)
	s_clause 0x1
	scratch_store_b128 v127, v[5:8], off
	scratch_store_b128 v9, v[1:4], off offset:-16
.LBB93_198:
	s_or_b32 exec_lo, exec_lo, s0
	v_dual_mov_b32 v1, s8 :: v_dual_mov_b32 v2, s9
	s_mov_b32 s0, exec_lo
	flat_load_b32 v1, v[1:2] offset:104
	s_waitcnt vmcnt(0) lgkmcnt(0)
	;; [unrolled: 19-line block ×27, first 2 shown]
	v_cmpx_ne_u32_e32 2, v1
	s_cbranch_execz .LBB93_250
; %bb.249:
	v_lshl_add_u32 v9, v1, 4, 0
	s_clause 0x1
	scratch_load_b128 v[1:4], v106, off
	scratch_load_b128 v[5:8], v9, off offset:-16
	s_waitcnt vmcnt(1)
	ds_store_2addr_b64 v0, v[1:2], v[3:4] offset1:1
	s_waitcnt vmcnt(0)
	s_clause 0x1
	scratch_store_b128 v106, v[5:8], off
	scratch_store_b128 v9, v[1:4], off offset:-16
.LBB93_250:
	s_or_b32 exec_lo, exec_lo, s0
	v_dual_mov_b32 v1, s8 :: v_dual_mov_b32 v2, s9
	s_mov_b32 s0, exec_lo
	flat_load_b32 v1, v[1:2]
	s_waitcnt vmcnt(0) lgkmcnt(0)
	v_cmpx_ne_u32_e32 1, v1
	s_cbranch_execz .LBB93_252
; %bb.251:
	v_lshl_add_u32 v9, v1, 4, 0
	scratch_load_b128 v[1:4], off, off
	scratch_load_b128 v[5:8], v9, off offset:-16
	s_waitcnt vmcnt(1)
	ds_store_2addr_b64 v0, v[1:2], v[3:4] offset1:1
	s_waitcnt vmcnt(0)
	scratch_store_b128 off, v[5:8], off
	scratch_store_b128 v9, v[1:4], off offset:-16
.LBB93_252:
	s_or_b32 exec_lo, exec_lo, s0
.LBB93_253:
	scratch_load_b128 v[0:3], off, off
	s_clause 0x16
	scratch_load_b128 v[4:7], v106, off
	scratch_load_b128 v[8:11], v104, off
	;; [unrolled: 1-line block ×23, first 2 shown]
	s_waitcnt vmcnt(23)
	global_store_b128 v[42:43], v[0:3], off
	s_clause 0x1
	scratch_load_b128 v[0:3], v130, off
	scratch_load_b128 v[40:43], v129, off
	s_waitcnt vmcnt(24)
	global_store_b128 v[44:45], v[4:7], off
	s_clause 0x1
	scratch_load_b128 v[4:7], v128, off
	scratch_load_b128 v[127:130], v127, off
	;; [unrolled: 5-line block ×3, first 2 shown]
	s_waitcnt vmcnt(26)
	global_store_b128 v[48:49], v[12:15], off
	s_waitcnt vmcnt(25)
	global_store_b128 v[50:51], v[16:19], off
	;; [unrolled: 2-line block ×27, first 2 shown]
	s_endpgm
	.section	.rodata,"a",@progbits
	.p2align	6, 0x0
	.amdhsa_kernel _ZN9rocsolver6v33100L18getri_kernel_smallILi30E19rocblas_complex_numIdEPKPS3_EEvT1_iilPiilS8_bb
		.amdhsa_group_segment_fixed_size 1992
		.amdhsa_private_segment_fixed_size 496
		.amdhsa_kernarg_size 60
		.amdhsa_user_sgpr_count 15
		.amdhsa_user_sgpr_dispatch_ptr 1
		.amdhsa_user_sgpr_queue_ptr 0
		.amdhsa_user_sgpr_kernarg_segment_ptr 1
		.amdhsa_user_sgpr_dispatch_id 0
		.amdhsa_user_sgpr_private_segment_size 0
		.amdhsa_wavefront_size32 1
		.amdhsa_uses_dynamic_stack 0
		.amdhsa_enable_private_segment 1
		.amdhsa_system_sgpr_workgroup_id_x 1
		.amdhsa_system_sgpr_workgroup_id_y 0
		.amdhsa_system_sgpr_workgroup_id_z 0
		.amdhsa_system_sgpr_workgroup_info 0
		.amdhsa_system_vgpr_workitem_id 2
		.amdhsa_next_free_vgpr 185
		.amdhsa_next_free_sgpr 36
		.amdhsa_reserve_vcc 1
		.amdhsa_float_round_mode_32 0
		.amdhsa_float_round_mode_16_64 0
		.amdhsa_float_denorm_mode_32 3
		.amdhsa_float_denorm_mode_16_64 3
		.amdhsa_dx10_clamp 1
		.amdhsa_ieee_mode 1
		.amdhsa_fp16_overflow 0
		.amdhsa_workgroup_processor_mode 1
		.amdhsa_memory_ordered 1
		.amdhsa_forward_progress 0
		.amdhsa_shared_vgpr_count 0
		.amdhsa_exception_fp_ieee_invalid_op 0
		.amdhsa_exception_fp_denorm_src 0
		.amdhsa_exception_fp_ieee_div_zero 0
		.amdhsa_exception_fp_ieee_overflow 0
		.amdhsa_exception_fp_ieee_underflow 0
		.amdhsa_exception_fp_ieee_inexact 0
		.amdhsa_exception_int_div_zero 0
	.end_amdhsa_kernel
	.section	.text._ZN9rocsolver6v33100L18getri_kernel_smallILi30E19rocblas_complex_numIdEPKPS3_EEvT1_iilPiilS8_bb,"axG",@progbits,_ZN9rocsolver6v33100L18getri_kernel_smallILi30E19rocblas_complex_numIdEPKPS3_EEvT1_iilPiilS8_bb,comdat
.Lfunc_end93:
	.size	_ZN9rocsolver6v33100L18getri_kernel_smallILi30E19rocblas_complex_numIdEPKPS3_EEvT1_iilPiilS8_bb, .Lfunc_end93-_ZN9rocsolver6v33100L18getri_kernel_smallILi30E19rocblas_complex_numIdEPKPS3_EEvT1_iilPiilS8_bb
                                        ; -- End function
	.section	.AMDGPU.csdata,"",@progbits
; Kernel info:
; codeLenInByte = 48408
; NumSgprs: 38
; NumVgprs: 185
; ScratchSize: 496
; MemoryBound: 0
; FloatMode: 240
; IeeeMode: 1
; LDSByteSize: 1992 bytes/workgroup (compile time only)
; SGPRBlocks: 4
; VGPRBlocks: 23
; NumSGPRsForWavesPerEU: 38
; NumVGPRsForWavesPerEU: 185
; Occupancy: 8
; WaveLimiterHint : 1
; COMPUTE_PGM_RSRC2:SCRATCH_EN: 1
; COMPUTE_PGM_RSRC2:USER_SGPR: 15
; COMPUTE_PGM_RSRC2:TRAP_HANDLER: 0
; COMPUTE_PGM_RSRC2:TGID_X_EN: 1
; COMPUTE_PGM_RSRC2:TGID_Y_EN: 0
; COMPUTE_PGM_RSRC2:TGID_Z_EN: 0
; COMPUTE_PGM_RSRC2:TIDIG_COMP_CNT: 2
	.section	.text._ZN9rocsolver6v33100L18getri_kernel_smallILi31E19rocblas_complex_numIdEPKPS3_EEvT1_iilPiilS8_bb,"axG",@progbits,_ZN9rocsolver6v33100L18getri_kernel_smallILi31E19rocblas_complex_numIdEPKPS3_EEvT1_iilPiilS8_bb,comdat
	.globl	_ZN9rocsolver6v33100L18getri_kernel_smallILi31E19rocblas_complex_numIdEPKPS3_EEvT1_iilPiilS8_bb ; -- Begin function _ZN9rocsolver6v33100L18getri_kernel_smallILi31E19rocblas_complex_numIdEPKPS3_EEvT1_iilPiilS8_bb
	.p2align	8
	.type	_ZN9rocsolver6v33100L18getri_kernel_smallILi31E19rocblas_complex_numIdEPKPS3_EEvT1_iilPiilS8_bb,@function
_ZN9rocsolver6v33100L18getri_kernel_smallILi31E19rocblas_complex_numIdEPKPS3_EEvT1_iilPiilS8_bb: ; @_ZN9rocsolver6v33100L18getri_kernel_smallILi31E19rocblas_complex_numIdEPKPS3_EEvT1_iilPiilS8_bb
; %bb.0:
	v_and_b32_e32 v108, 0x3ff, v0
	s_mov_b32 s4, exec_lo
	s_delay_alu instid0(VALU_DEP_1)
	v_cmpx_gt_u32_e32 31, v108
	s_cbranch_execz .LBB94_138
; %bb.1:
	s_mov_b32 s10, s15
	s_clause 0x2
	s_load_b32 s15, s[2:3], 0x38
	s_load_b64 s[8:9], s[2:3], 0x0
	s_load_b128 s[4:7], s[2:3], 0x28
	s_waitcnt lgkmcnt(0)
	s_bitcmp1_b32 s15, 8
	s_cselect_b32 s14, -1, 0
	s_ashr_i32 s11, s10, 31
	s_delay_alu instid0(SALU_CYCLE_1) | instskip(NEXT) | instid1(SALU_CYCLE_1)
	s_lshl_b64 s[12:13], s[10:11], 3
	s_add_u32 s8, s8, s12
	s_addc_u32 s9, s9, s13
	s_load_b64 s[12:13], s[8:9], 0x0
	s_bfe_u32 s8, s15, 0x10008
	s_delay_alu instid0(SALU_CYCLE_1)
	s_cmp_eq_u32 s8, 0
                                        ; implicit-def: $sgpr8_sgpr9
	s_cbranch_scc1 .LBB94_3
; %bb.2:
	s_clause 0x1
	s_load_b32 s8, s[2:3], 0x20
	s_load_b64 s[16:17], s[2:3], 0x18
	s_mul_i32 s5, s10, s5
	s_mul_hi_u32 s9, s10, s4
	s_mul_i32 s18, s11, s4
	s_add_i32 s5, s9, s5
	s_mul_i32 s4, s10, s4
	s_add_i32 s5, s5, s18
	s_delay_alu instid0(SALU_CYCLE_1)
	s_lshl_b64 s[4:5], s[4:5], 2
	s_waitcnt lgkmcnt(0)
	s_ashr_i32 s9, s8, 31
	s_add_u32 s16, s16, s4
	s_addc_u32 s17, s17, s5
	s_lshl_b64 s[4:5], s[8:9], 2
	s_delay_alu instid0(SALU_CYCLE_1)
	s_add_u32 s8, s16, s4
	s_addc_u32 s9, s17, s5
.LBB94_3:
	s_load_b64 s[2:3], s[2:3], 0x8
	v_lshlrev_b32_e32 v25, 4, v108
	s_movk_i32 s18, 0xc0
	s_movk_i32 s19, 0xd0
	;; [unrolled: 1-line block ×18, first 2 shown]
	s_waitcnt lgkmcnt(0)
	v_add3_u32 v5, s3, s3, v108
	s_ashr_i32 s5, s2, 31
	s_mov_b32 s4, s2
	s_mov_b32 s16, s3
	s_lshl_b64 s[4:5], s[4:5], 4
	v_add_nc_u32_e32 v7, s3, v5
	v_ashrrev_i32_e32 v6, 31, v5
	s_add_u32 s4, s12, s4
	s_addc_u32 s5, s13, s5
	v_add_co_u32 v46, s2, s4, v25
	v_add_nc_u32_e32 v9, s3, v7
	v_ashrrev_i32_e32 v8, 31, v7
	s_ashr_i32 s17, s3, 31
	v_add_co_ci_u32_e64 v47, null, s5, 0, s2
	v_lshlrev_b64 v[5:6], 4, v[5:6]
	s_lshl_b64 s[12:13], s[16:17], 4
	v_add_nc_u32_e32 v26, s3, v9
	v_add_co_u32 v48, vcc_lo, v46, s12
	v_ashrrev_i32_e32 v10, 31, v9
	v_lshlrev_b64 v[13:14], 4, v[7:8]
	v_add_co_ci_u32_e32 v49, vcc_lo, s13, v47, vcc_lo
	v_add_co_u32 v50, vcc_lo, s4, v5
	v_ashrrev_i32_e32 v27, 31, v26
	v_add_co_ci_u32_e32 v51, vcc_lo, s5, v6, vcc_lo
	v_lshlrev_b64 v[15:16], 4, v[9:10]
	v_add_co_u32 v52, vcc_lo, s4, v13
	v_add_co_ci_u32_e32 v53, vcc_lo, s5, v14, vcc_lo
	v_lshlrev_b64 v[13:14], 4, v[26:27]
	s_delay_alu instid0(VALU_DEP_4)
	v_add_co_u32 v54, vcc_lo, s4, v15
	v_add_co_ci_u32_e32 v55, vcc_lo, s5, v16, vcc_lo
	global_load_b128 v[1:4], v25, s[4:5]
	v_add_co_u32 v56, vcc_lo, s4, v13
	s_clause 0x1
	global_load_b128 v[9:12], v[48:49], off
	global_load_b128 v[5:8], v[50:51], off
	v_add_co_ci_u32_e32 v57, vcc_lo, s5, v14, vcc_lo
	s_clause 0x2
	global_load_b128 v[17:20], v[52:53], off
	global_load_b128 v[13:16], v[54:55], off
	;; [unrolled: 1-line block ×3, first 2 shown]
	v_add_nc_u32_e32 v26, s3, v26
	s_movk_i32 s2, 0x50
	s_movk_i32 s12, 0x80
	;; [unrolled: 1-line block ×4, first 2 shown]
	v_add_nc_u32_e32 v28, s3, v26
	v_ashrrev_i32_e32 v27, 31, v26
	s_movk_i32 s17, 0xb0
	s_movk_i32 s37, 0x1e0
	v_add_nc_u32_e64 v112, 0, 16
	v_add_nc_u32_e32 v30, s3, v28
	v_ashrrev_i32_e32 v29, 31, v28
	v_lshlrev_b64 v[26:27], 4, v[26:27]
	v_add_nc_u32_e64 v111, 0, 32
	v_add_nc_u32_e64 v130, s2, 0
	v_add_nc_u32_e32 v32, s3, v30
	v_ashrrev_i32_e32 v31, 31, v30
	v_lshlrev_b64 v[28:29], 4, v[28:29]
	v_add_co_u32 v58, vcc_lo, s4, v26
	s_delay_alu instid0(VALU_DEP_4) | instskip(SKIP_3) | instid1(VALU_DEP_4)
	v_add_nc_u32_e32 v34, s3, v32
	v_ashrrev_i32_e32 v33, 31, v32
	v_lshlrev_b64 v[30:31], 4, v[30:31]
	v_add_co_ci_u32_e32 v59, vcc_lo, s5, v27, vcc_lo
	v_add_nc_u32_e32 v38, s3, v34
	v_ashrrev_i32_e32 v35, 31, v34
	v_add_co_u32 v60, vcc_lo, s4, v28
	v_lshlrev_b64 v[32:33], 4, v[32:33]
	s_delay_alu instid0(VALU_DEP_4) | instskip(SKIP_3) | instid1(VALU_DEP_4)
	v_add_nc_u32_e32 v42, s3, v38
	v_ashrrev_i32_e32 v39, 31, v38
	v_add_co_ci_u32_e32 v61, vcc_lo, s5, v29, vcc_lo
	v_add_co_u32 v62, vcc_lo, s4, v30
	v_add_nc_u32_e32 v70, s3, v42
	v_lshlrev_b64 v[40:41], 4, v[34:35]
	v_ashrrev_i32_e32 v43, 31, v42
	v_add_co_ci_u32_e32 v63, vcc_lo, s5, v31, vcc_lo
	s_delay_alu instid0(VALU_DEP_4)
	v_add_nc_u32_e32 v74, s3, v70
	v_add_co_u32 v64, vcc_lo, s4, v32
	v_lshlrev_b64 v[38:39], 4, v[38:39]
	v_ashrrev_i32_e32 v71, 31, v70
	v_add_co_ci_u32_e32 v65, vcc_lo, s5, v33, vcc_lo
	v_add_co_u32 v66, vcc_lo, s4, v40
	v_lshlrev_b64 v[72:73], 4, v[42:43]
	v_add_nc_u32_e32 v78, s3, v74
	v_add_co_ci_u32_e32 v67, vcc_lo, s5, v41, vcc_lo
	v_add_co_u32 v68, vcc_lo, s4, v38
	v_lshlrev_b64 v[76:77], 4, v[70:71]
	v_add_co_ci_u32_e32 v69, vcc_lo, s5, v39, vcc_lo
	v_add_co_u32 v70, vcc_lo, s4, v72
	v_ashrrev_i32_e32 v79, 31, v78
	v_add_nc_u32_e32 v80, s3, v78
	v_add_co_ci_u32_e32 v71, vcc_lo, s5, v73, vcc_lo
	v_ashrrev_i32_e32 v75, 31, v74
	v_add_co_u32 v72, vcc_lo, s4, v76
	v_add_co_ci_u32_e32 v73, vcc_lo, s5, v77, vcc_lo
	v_lshlrev_b64 v[76:77], 4, v[78:79]
	v_add_nc_u32_e32 v78, s3, v80
	v_lshlrev_b64 v[74:75], 4, v[74:75]
	v_ashrrev_i32_e32 v81, 31, v80
	s_clause 0x2
	global_load_b128 v[26:29], v[58:59], off
	global_load_b128 v[30:33], v[60:61], off
	global_load_b128 v[34:37], v[62:63], off
	v_add_nc_u32_e32 v82, s3, v78
	v_ashrrev_i32_e32 v79, 31, v78
	v_add_co_u32 v74, vcc_lo, s4, v74
	v_lshlrev_b64 v[80:81], 4, v[80:81]
	s_delay_alu instid0(VALU_DEP_4)
	v_add_nc_u32_e32 v86, s3, v82
	v_add_co_ci_u32_e32 v75, vcc_lo, s5, v75, vcc_lo
	v_add_co_u32 v76, vcc_lo, s4, v76
	v_lshlrev_b64 v[84:85], 4, v[78:79]
	v_add_co_ci_u32_e32 v77, vcc_lo, s5, v77, vcc_lo
	v_add_co_u32 v78, vcc_lo, s4, v80
	v_ashrrev_i32_e32 v87, 31, v86
	v_add_nc_u32_e32 v88, s3, v86
	v_add_co_ci_u32_e32 v79, vcc_lo, s5, v81, vcc_lo
	v_ashrrev_i32_e32 v83, 31, v82
	v_add_co_u32 v80, vcc_lo, s4, v84
	v_add_co_ci_u32_e32 v81, vcc_lo, s5, v85, vcc_lo
	v_lshlrev_b64 v[84:85], 4, v[86:87]
	v_add_nc_u32_e32 v86, s3, v88
	v_lshlrev_b64 v[82:83], 4, v[82:83]
	v_ashrrev_i32_e32 v89, 31, v88
	s_clause 0x3
	global_load_b128 v[38:41], v[64:65], off
	global_load_b128 v[42:45], v[66:67], off
	global_load_b128 v[131:134], v[68:69], off
	global_load_b128 v[135:138], v[70:71], off
	v_add_nc_u32_e32 v90, s3, v86
	v_ashrrev_i32_e32 v87, 31, v86
	v_add_co_u32 v82, vcc_lo, s4, v82
	v_lshlrev_b64 v[88:89], 4, v[88:89]
	s_delay_alu instid0(VALU_DEP_4)
	v_add_nc_u32_e32 v94, s3, v90
	v_add_co_ci_u32_e32 v83, vcc_lo, s5, v83, vcc_lo
	v_add_co_u32 v84, vcc_lo, s4, v84
	v_lshlrev_b64 v[92:93], 4, v[86:87]
	v_add_co_ci_u32_e32 v85, vcc_lo, s5, v85, vcc_lo
	v_add_co_u32 v86, vcc_lo, s4, v88
	v_ashrrev_i32_e32 v95, 31, v94
	v_add_nc_u32_e32 v96, s3, v94
	v_add_co_ci_u32_e32 v87, vcc_lo, s5, v89, vcc_lo
	v_ashrrev_i32_e32 v91, 31, v90
	v_add_co_u32 v88, vcc_lo, s4, v92
	v_add_co_ci_u32_e32 v89, vcc_lo, s5, v93, vcc_lo
	v_lshlrev_b64 v[92:93], 4, v[94:95]
	v_add_nc_u32_e32 v94, s3, v96
	v_lshlrev_b64 v[90:91], 4, v[90:91]
	v_ashrrev_i32_e32 v97, 31, v96
	s_clause 0x3
	global_load_b128 v[139:142], v[72:73], off
	;; [unrolled: 26-line block ×3, first 2 shown]
	global_load_b128 v[159:162], v[82:83], off
	global_load_b128 v[163:166], v[84:85], off
	;; [unrolled: 1-line block ×3, first 2 shown]
	v_add_nc_u32_e32 v106, s3, v102
	v_ashrrev_i32_e32 v103, 31, v102
	v_add_co_u32 v98, vcc_lo, s4, v98
	v_lshlrev_b64 v[104:105], 4, v[104:105]
	s_delay_alu instid0(VALU_DEP_4)
	v_ashrrev_i32_e32 v107, 31, v106
	v_add_co_ci_u32_e32 v99, vcc_lo, s5, v99, vcc_lo
	v_add_co_u32 v100, vcc_lo, s4, v100
	v_lshlrev_b64 v[109:110], 4, v[102:103]
	v_add_co_ci_u32_e32 v101, vcc_lo, s5, v101, vcc_lo
	v_add_co_u32 v102, vcc_lo, s4, v104
	v_lshlrev_b64 v[106:107], 4, v[106:107]
	v_add_co_ci_u32_e32 v103, vcc_lo, s5, v105, vcc_lo
	v_add_co_u32 v104, vcc_lo, s4, v109
	v_add_co_ci_u32_e32 v105, vcc_lo, s5, v110, vcc_lo
	s_clause 0x1
	global_load_b128 v[171:174], v[88:89], off
	global_load_b128 v[175:178], v[90:91], off
	v_add_co_u32 v106, vcc_lo, s4, v106
	s_clause 0x1
	global_load_b128 v[179:182], v[92:93], off
	global_load_b128 v[183:186], v[94:95], off
	v_add_co_ci_u32_e32 v107, vcc_lo, s5, v107, vcc_lo
	s_movk_i32 s4, 0x60
	s_movk_i32 s5, 0x70
	v_add_nc_u32_e64 v110, 0, 48
	v_add_nc_u32_e64 v109, 0, 64
	;; [unrolled: 1-line block ×19, first 2 shown]
	s_mov_b32 s3, -1
	s_bitcmp0_b32 s15, 0
	s_waitcnt vmcnt(24)
	scratch_store_b128 off, v[1:4], off
	s_waitcnt vmcnt(23)
	scratch_store_b128 off, v[9:12], off offset:16
	s_clause 0x1
	global_load_b128 v[1:4], v[96:97], off
	global_load_b128 v[9:12], v[98:99], off
	s_waitcnt vmcnt(24)
	scratch_store_b128 off, v[5:8], off offset:32
	s_waitcnt vmcnt(23)
	scratch_store_b128 off, v[17:20], off offset:48
	s_clause 0x1
	global_load_b128 v[5:8], v[100:101], off
	global_load_b128 v[17:20], v[102:103], off
	s_waitcnt vmcnt(24)
	scratch_store_b128 off, v[13:16], off offset:64
	;; [unrolled: 7-line block ×3, first 2 shown]
	s_waitcnt vmcnt(23)
	scratch_store_b128 off, v[30:33], off offset:112
	s_waitcnt vmcnt(22)
	scratch_store_b128 off, v[34:37], off offset:128
	;; [unrolled: 2-line block ×21, first 2 shown]
	v_add_nc_u32_e64 v138, s25, 0
	v_add_nc_u32_e64 v137, s26, 0
	;; [unrolled: 1-line block ×8, first 2 shown]
	s_waitcnt vmcnt(2)
	scratch_store_b128 off, v[17:20], off offset:448
	s_waitcnt vmcnt(1)
	scratch_store_b128 off, v[13:16], off offset:464
	;; [unrolled: 2-line block ×3, first 2 shown]
	s_cbranch_scc1 .LBB94_136
; %bb.4:
	v_cmp_eq_u32_e64 s2, 0, v108
	s_delay_alu instid0(VALU_DEP_1)
	s_and_saveexec_b32 s3, s2
	s_cbranch_execz .LBB94_6
; %bb.5:
	v_mov_b32_e32 v1, 0
	ds_store_b32 v1, v1 offset:992
.LBB94_6:
	s_or_b32 exec_lo, exec_lo, s3
	s_waitcnt lgkmcnt(0)
	s_waitcnt_vscnt null, 0x0
	s_barrier
	buffer_gl0_inv
	scratch_load_b128 v[1:4], v25, off
	s_waitcnt vmcnt(0)
	v_cmp_eq_f64_e32 vcc_lo, 0, v[1:2]
	v_cmp_eq_f64_e64 s3, 0, v[3:4]
	s_delay_alu instid0(VALU_DEP_1) | instskip(NEXT) | instid1(SALU_CYCLE_1)
	s_and_b32 s3, vcc_lo, s3
	s_and_saveexec_b32 s4, s3
	s_cbranch_execz .LBB94_10
; %bb.7:
	v_mov_b32_e32 v1, 0
	s_mov_b32 s5, 0
	ds_load_b32 v2, v1 offset:992
	s_waitcnt lgkmcnt(0)
	v_readfirstlane_b32 s3, v2
	v_add_nc_u32_e32 v2, 1, v108
	s_delay_alu instid0(VALU_DEP_2) | instskip(NEXT) | instid1(VALU_DEP_1)
	s_cmp_eq_u32 s3, 0
	v_cmp_gt_i32_e32 vcc_lo, s3, v2
	s_cselect_b32 s12, -1, 0
	s_delay_alu instid0(SALU_CYCLE_1) | instskip(NEXT) | instid1(SALU_CYCLE_1)
	s_or_b32 s12, s12, vcc_lo
	s_and_b32 exec_lo, exec_lo, s12
	s_cbranch_execz .LBB94_10
; %bb.8:
	v_mov_b32_e32 v3, s3
.LBB94_9:                               ; =>This Inner Loop Header: Depth=1
	ds_cmpstore_rtn_b32 v3, v1, v2, v3 offset:992
	s_waitcnt lgkmcnt(0)
	v_cmp_ne_u32_e32 vcc_lo, 0, v3
	v_cmp_le_i32_e64 s3, v3, v2
	s_delay_alu instid0(VALU_DEP_1) | instskip(NEXT) | instid1(SALU_CYCLE_1)
	s_and_b32 s3, vcc_lo, s3
	s_and_b32 s3, exec_lo, s3
	s_delay_alu instid0(SALU_CYCLE_1) | instskip(NEXT) | instid1(SALU_CYCLE_1)
	s_or_b32 s5, s3, s5
	s_and_not1_b32 exec_lo, exec_lo, s5
	s_cbranch_execnz .LBB94_9
.LBB94_10:
	s_or_b32 exec_lo, exec_lo, s4
	v_mov_b32_e32 v1, 0
	s_barrier
	buffer_gl0_inv
	ds_load_b32 v2, v1 offset:992
	s_and_saveexec_b32 s3, s2
	s_cbranch_execz .LBB94_12
; %bb.11:
	s_lshl_b64 s[4:5], s[10:11], 2
	s_delay_alu instid0(SALU_CYCLE_1)
	s_add_u32 s4, s6, s4
	s_addc_u32 s5, s7, s5
	s_waitcnt lgkmcnt(0)
	global_store_b32 v1, v2, s[4:5]
.LBB94_12:
	s_or_b32 exec_lo, exec_lo, s3
	s_waitcnt lgkmcnt(0)
	v_cmp_ne_u32_e32 vcc_lo, 0, v2
	s_mov_b32 s3, 0
	s_cbranch_vccnz .LBB94_136
; %bb.13:
	v_add_nc_u32_e32 v13, 0, v25
                                        ; implicit-def: $vgpr9_vgpr10
	scratch_load_b128 v[1:4], v13, off
	s_waitcnt vmcnt(0)
	v_cmp_gt_f64_e32 vcc_lo, 0, v[1:2]
	v_xor_b32_e32 v6, 0x80000000, v2
	v_xor_b32_e32 v7, 0x80000000, v4
	s_delay_alu instid0(VALU_DEP_2) | instskip(SKIP_1) | instid1(VALU_DEP_3)
	v_cndmask_b32_e32 v6, v2, v6, vcc_lo
	v_cmp_gt_f64_e32 vcc_lo, 0, v[3:4]
	v_dual_mov_b32 v5, v1 :: v_dual_cndmask_b32 v8, v4, v7
	v_mov_b32_e32 v7, v3
	s_delay_alu instid0(VALU_DEP_1) | instskip(SKIP_1) | instid1(SALU_CYCLE_1)
	v_cmp_ngt_f64_e32 vcc_lo, v[5:6], v[7:8]
                                        ; implicit-def: $vgpr5_vgpr6
	s_and_saveexec_b32 s3, vcc_lo
	s_xor_b32 s3, exec_lo, s3
	s_cbranch_execz .LBB94_15
; %bb.14:
	v_div_scale_f64 v[5:6], null, v[3:4], v[3:4], v[1:2]
	v_div_scale_f64 v[11:12], vcc_lo, v[1:2], v[3:4], v[1:2]
	s_delay_alu instid0(VALU_DEP_2) | instskip(SKIP_2) | instid1(VALU_DEP_1)
	v_rcp_f64_e32 v[7:8], v[5:6]
	s_waitcnt_depctr 0xfff
	v_fma_f64 v[9:10], -v[5:6], v[7:8], 1.0
	v_fma_f64 v[7:8], v[7:8], v[9:10], v[7:8]
	s_delay_alu instid0(VALU_DEP_1) | instskip(NEXT) | instid1(VALU_DEP_1)
	v_fma_f64 v[9:10], -v[5:6], v[7:8], 1.0
	v_fma_f64 v[7:8], v[7:8], v[9:10], v[7:8]
	s_delay_alu instid0(VALU_DEP_1) | instskip(NEXT) | instid1(VALU_DEP_1)
	v_mul_f64 v[9:10], v[11:12], v[7:8]
	v_fma_f64 v[5:6], -v[5:6], v[9:10], v[11:12]
	s_delay_alu instid0(VALU_DEP_1) | instskip(NEXT) | instid1(VALU_DEP_1)
	v_div_fmas_f64 v[5:6], v[5:6], v[7:8], v[9:10]
	v_div_fixup_f64 v[5:6], v[5:6], v[3:4], v[1:2]
	s_delay_alu instid0(VALU_DEP_1) | instskip(NEXT) | instid1(VALU_DEP_1)
	v_fma_f64 v[1:2], v[1:2], v[5:6], v[3:4]
	v_div_scale_f64 v[3:4], null, v[1:2], v[1:2], 1.0
	v_div_scale_f64 v[11:12], vcc_lo, 1.0, v[1:2], 1.0
	s_delay_alu instid0(VALU_DEP_2) | instskip(SKIP_2) | instid1(VALU_DEP_1)
	v_rcp_f64_e32 v[7:8], v[3:4]
	s_waitcnt_depctr 0xfff
	v_fma_f64 v[9:10], -v[3:4], v[7:8], 1.0
	v_fma_f64 v[7:8], v[7:8], v[9:10], v[7:8]
	s_delay_alu instid0(VALU_DEP_1) | instskip(NEXT) | instid1(VALU_DEP_1)
	v_fma_f64 v[9:10], -v[3:4], v[7:8], 1.0
	v_fma_f64 v[7:8], v[7:8], v[9:10], v[7:8]
	s_delay_alu instid0(VALU_DEP_1) | instskip(NEXT) | instid1(VALU_DEP_1)
	v_mul_f64 v[9:10], v[11:12], v[7:8]
	v_fma_f64 v[3:4], -v[3:4], v[9:10], v[11:12]
	s_delay_alu instid0(VALU_DEP_1) | instskip(NEXT) | instid1(VALU_DEP_1)
	v_div_fmas_f64 v[3:4], v[3:4], v[7:8], v[9:10]
	v_div_fixup_f64 v[7:8], v[3:4], v[1:2], 1.0
                                        ; implicit-def: $vgpr1_vgpr2
	s_delay_alu instid0(VALU_DEP_1) | instskip(SKIP_1) | instid1(VALU_DEP_2)
	v_mul_f64 v[5:6], v[5:6], v[7:8]
	v_xor_b32_e32 v8, 0x80000000, v8
	v_xor_b32_e32 v10, 0x80000000, v6
	s_delay_alu instid0(VALU_DEP_3)
	v_mov_b32_e32 v9, v5
.LBB94_15:
	s_and_not1_saveexec_b32 s3, s3
	s_cbranch_execz .LBB94_17
; %bb.16:
	v_div_scale_f64 v[5:6], null, v[1:2], v[1:2], v[3:4]
	v_div_scale_f64 v[11:12], vcc_lo, v[3:4], v[1:2], v[3:4]
	s_delay_alu instid0(VALU_DEP_2) | instskip(SKIP_2) | instid1(VALU_DEP_1)
	v_rcp_f64_e32 v[7:8], v[5:6]
	s_waitcnt_depctr 0xfff
	v_fma_f64 v[9:10], -v[5:6], v[7:8], 1.0
	v_fma_f64 v[7:8], v[7:8], v[9:10], v[7:8]
	s_delay_alu instid0(VALU_DEP_1) | instskip(NEXT) | instid1(VALU_DEP_1)
	v_fma_f64 v[9:10], -v[5:6], v[7:8], 1.0
	v_fma_f64 v[7:8], v[7:8], v[9:10], v[7:8]
	s_delay_alu instid0(VALU_DEP_1) | instskip(NEXT) | instid1(VALU_DEP_1)
	v_mul_f64 v[9:10], v[11:12], v[7:8]
	v_fma_f64 v[5:6], -v[5:6], v[9:10], v[11:12]
	s_delay_alu instid0(VALU_DEP_1) | instskip(NEXT) | instid1(VALU_DEP_1)
	v_div_fmas_f64 v[5:6], v[5:6], v[7:8], v[9:10]
	v_div_fixup_f64 v[7:8], v[5:6], v[1:2], v[3:4]
	s_delay_alu instid0(VALU_DEP_1) | instskip(NEXT) | instid1(VALU_DEP_1)
	v_fma_f64 v[1:2], v[3:4], v[7:8], v[1:2]
	v_div_scale_f64 v[3:4], null, v[1:2], v[1:2], 1.0
	s_delay_alu instid0(VALU_DEP_1) | instskip(SKIP_2) | instid1(VALU_DEP_1)
	v_rcp_f64_e32 v[5:6], v[3:4]
	s_waitcnt_depctr 0xfff
	v_fma_f64 v[9:10], -v[3:4], v[5:6], 1.0
	v_fma_f64 v[5:6], v[5:6], v[9:10], v[5:6]
	s_delay_alu instid0(VALU_DEP_1) | instskip(NEXT) | instid1(VALU_DEP_1)
	v_fma_f64 v[9:10], -v[3:4], v[5:6], 1.0
	v_fma_f64 v[5:6], v[5:6], v[9:10], v[5:6]
	v_div_scale_f64 v[9:10], vcc_lo, 1.0, v[1:2], 1.0
	s_delay_alu instid0(VALU_DEP_1) | instskip(NEXT) | instid1(VALU_DEP_1)
	v_mul_f64 v[11:12], v[9:10], v[5:6]
	v_fma_f64 v[3:4], -v[3:4], v[11:12], v[9:10]
	s_delay_alu instid0(VALU_DEP_1) | instskip(NEXT) | instid1(VALU_DEP_1)
	v_div_fmas_f64 v[3:4], v[3:4], v[5:6], v[11:12]
	v_div_fixup_f64 v[5:6], v[3:4], v[1:2], 1.0
	s_delay_alu instid0(VALU_DEP_1)
	v_mul_f64 v[7:8], v[7:8], -v[5:6]
	v_xor_b32_e32 v10, 0x80000000, v6
	v_mov_b32_e32 v9, v5
.LBB94_17:
	s_or_b32 exec_lo, exec_lo, s3
	scratch_store_b128 v13, v[5:8], off
	scratch_load_b128 v[1:4], v112, off
	v_xor_b32_e32 v12, 0x80000000, v8
	v_mov_b32_e32 v11, v7
	v_add_nc_u32_e32 v5, 0x1f0, v25
	ds_store_b128 v25, v[9:12]
	s_waitcnt vmcnt(0)
	ds_store_b128 v25, v[1:4] offset:496
	s_waitcnt lgkmcnt(0)
	s_waitcnt_vscnt null, 0x0
	s_barrier
	buffer_gl0_inv
	s_and_saveexec_b32 s3, s2
	s_cbranch_execz .LBB94_19
; %bb.18:
	scratch_load_b128 v[1:4], v13, off
	ds_load_b128 v[6:9], v5
	v_mov_b32_e32 v10, 0
	ds_load_b128 v[14:17], v10 offset:16
	s_waitcnt vmcnt(0) lgkmcnt(1)
	v_mul_f64 v[10:11], v[6:7], v[3:4]
	v_mul_f64 v[3:4], v[8:9], v[3:4]
	s_delay_alu instid0(VALU_DEP_2) | instskip(NEXT) | instid1(VALU_DEP_2)
	v_fma_f64 v[8:9], v[8:9], v[1:2], v[10:11]
	v_fma_f64 v[1:2], v[6:7], v[1:2], -v[3:4]
	s_delay_alu instid0(VALU_DEP_2) | instskip(NEXT) | instid1(VALU_DEP_2)
	v_add_f64 v[3:4], v[8:9], 0
	v_add_f64 v[1:2], v[1:2], 0
	s_waitcnt lgkmcnt(0)
	s_delay_alu instid0(VALU_DEP_2) | instskip(NEXT) | instid1(VALU_DEP_2)
	v_mul_f64 v[6:7], v[3:4], v[16:17]
	v_mul_f64 v[8:9], v[1:2], v[16:17]
	s_delay_alu instid0(VALU_DEP_2) | instskip(NEXT) | instid1(VALU_DEP_2)
	v_fma_f64 v[1:2], v[1:2], v[14:15], -v[6:7]
	v_fma_f64 v[3:4], v[3:4], v[14:15], v[8:9]
	scratch_store_b128 off, v[1:4], off offset:16
.LBB94_19:
	s_or_b32 exec_lo, exec_lo, s3
	s_waitcnt_vscnt null, 0x0
	s_barrier
	buffer_gl0_inv
	scratch_load_b128 v[1:4], v111, off
	s_mov_b32 s3, exec_lo
	s_waitcnt vmcnt(0)
	ds_store_b128 v5, v[1:4]
	s_waitcnt lgkmcnt(0)
	s_barrier
	buffer_gl0_inv
	v_cmpx_gt_u32_e32 2, v108
	s_cbranch_execz .LBB94_23
; %bb.20:
	scratch_load_b128 v[1:4], v13, off
	ds_load_b128 v[6:9], v5
	s_waitcnt vmcnt(0) lgkmcnt(0)
	v_mul_f64 v[10:11], v[8:9], v[3:4]
	v_mul_f64 v[3:4], v[6:7], v[3:4]
	s_delay_alu instid0(VALU_DEP_2) | instskip(NEXT) | instid1(VALU_DEP_2)
	v_fma_f64 v[6:7], v[6:7], v[1:2], -v[10:11]
	v_fma_f64 v[3:4], v[8:9], v[1:2], v[3:4]
	s_delay_alu instid0(VALU_DEP_2) | instskip(NEXT) | instid1(VALU_DEP_2)
	v_add_f64 v[1:2], v[6:7], 0
	v_add_f64 v[3:4], v[3:4], 0
	s_and_saveexec_b32 s4, s2
	s_cbranch_execz .LBB94_22
; %bb.21:
	scratch_load_b128 v[6:9], off, off offset:16
	v_mov_b32_e32 v10, 0
	ds_load_b128 v[14:17], v10 offset:512
	s_waitcnt vmcnt(0) lgkmcnt(0)
	v_mul_f64 v[10:11], v[14:15], v[8:9]
	v_mul_f64 v[8:9], v[16:17], v[8:9]
	s_delay_alu instid0(VALU_DEP_2) | instskip(NEXT) | instid1(VALU_DEP_2)
	v_fma_f64 v[10:11], v[16:17], v[6:7], v[10:11]
	v_fma_f64 v[6:7], v[14:15], v[6:7], -v[8:9]
	s_delay_alu instid0(VALU_DEP_2) | instskip(NEXT) | instid1(VALU_DEP_2)
	v_add_f64 v[3:4], v[3:4], v[10:11]
	v_add_f64 v[1:2], v[1:2], v[6:7]
.LBB94_22:
	s_or_b32 exec_lo, exec_lo, s4
	v_mov_b32_e32 v6, 0
	ds_load_b128 v[6:9], v6 offset:32
	s_waitcnt lgkmcnt(0)
	v_mul_f64 v[10:11], v[3:4], v[8:9]
	v_mul_f64 v[8:9], v[1:2], v[8:9]
	s_delay_alu instid0(VALU_DEP_2) | instskip(NEXT) | instid1(VALU_DEP_2)
	v_fma_f64 v[1:2], v[1:2], v[6:7], -v[10:11]
	v_fma_f64 v[3:4], v[3:4], v[6:7], v[8:9]
	scratch_store_b128 off, v[1:4], off offset:32
.LBB94_23:
	s_or_b32 exec_lo, exec_lo, s3
	s_waitcnt_vscnt null, 0x0
	s_barrier
	buffer_gl0_inv
	scratch_load_b128 v[1:4], v110, off
	v_add_nc_u32_e32 v6, -1, v108
	s_mov_b32 s2, exec_lo
	s_waitcnt vmcnt(0)
	ds_store_b128 v5, v[1:4]
	s_waitcnt lgkmcnt(0)
	s_barrier
	buffer_gl0_inv
	v_cmpx_gt_u32_e32 3, v108
	s_cbranch_execz .LBB94_27
; %bb.24:
	v_dual_mov_b32 v1, 0 :: v_dual_add_nc_u32 v8, 0x1f0, v25
	v_dual_mov_b32 v2, 0 :: v_dual_add_nc_u32 v7, -1, v108
	v_or_b32_e32 v9, 8, v13
	s_mov_b32 s3, 0
	s_delay_alu instid0(VALU_DEP_2)
	v_dual_mov_b32 v4, v2 :: v_dual_mov_b32 v3, v1
	.p2align	6
.LBB94_25:                              ; =>This Inner Loop Header: Depth=1
	scratch_load_b128 v[14:17], v9, off offset:-8
	ds_load_b128 v[18:21], v8
	v_add_nc_u32_e32 v7, 1, v7
	v_add_nc_u32_e32 v8, 16, v8
	;; [unrolled: 1-line block ×3, first 2 shown]
	s_delay_alu instid0(VALU_DEP_3) | instskip(SKIP_4) | instid1(VALU_DEP_2)
	v_cmp_lt_u32_e32 vcc_lo, 1, v7
	s_or_b32 s3, vcc_lo, s3
	s_waitcnt vmcnt(0) lgkmcnt(0)
	v_mul_f64 v[10:11], v[20:21], v[16:17]
	v_mul_f64 v[16:17], v[18:19], v[16:17]
	v_fma_f64 v[10:11], v[18:19], v[14:15], -v[10:11]
	s_delay_alu instid0(VALU_DEP_2) | instskip(NEXT) | instid1(VALU_DEP_2)
	v_fma_f64 v[14:15], v[20:21], v[14:15], v[16:17]
	v_add_f64 v[3:4], v[3:4], v[10:11]
	s_delay_alu instid0(VALU_DEP_2)
	v_add_f64 v[1:2], v[1:2], v[14:15]
	s_and_not1_b32 exec_lo, exec_lo, s3
	s_cbranch_execnz .LBB94_25
; %bb.26:
	s_or_b32 exec_lo, exec_lo, s3
	v_mov_b32_e32 v7, 0
	ds_load_b128 v[7:10], v7 offset:48
	s_waitcnt lgkmcnt(0)
	v_mul_f64 v[11:12], v[1:2], v[9:10]
	v_mul_f64 v[14:15], v[3:4], v[9:10]
	s_delay_alu instid0(VALU_DEP_2) | instskip(NEXT) | instid1(VALU_DEP_2)
	v_fma_f64 v[9:10], v[3:4], v[7:8], -v[11:12]
	v_fma_f64 v[11:12], v[1:2], v[7:8], v[14:15]
	scratch_store_b128 off, v[9:12], off offset:48
.LBB94_27:
	s_or_b32 exec_lo, exec_lo, s2
	s_waitcnt_vscnt null, 0x0
	s_barrier
	buffer_gl0_inv
	scratch_load_b128 v[1:4], v109, off
	s_mov_b32 s2, exec_lo
	s_waitcnt vmcnt(0)
	ds_store_b128 v5, v[1:4]
	s_waitcnt lgkmcnt(0)
	s_barrier
	buffer_gl0_inv
	v_cmpx_gt_u32_e32 4, v108
	s_cbranch_execz .LBB94_31
; %bb.28:
	v_dual_mov_b32 v1, 0 :: v_dual_add_nc_u32 v8, 0x1f0, v25
	v_dual_mov_b32 v2, 0 :: v_dual_add_nc_u32 v7, -1, v108
	v_or_b32_e32 v9, 8, v13
	s_mov_b32 s3, 0
	s_delay_alu instid0(VALU_DEP_2)
	v_dual_mov_b32 v4, v2 :: v_dual_mov_b32 v3, v1
	.p2align	6
.LBB94_29:                              ; =>This Inner Loop Header: Depth=1
	scratch_load_b128 v[14:17], v9, off offset:-8
	ds_load_b128 v[18:21], v8
	v_add_nc_u32_e32 v7, 1, v7
	v_add_nc_u32_e32 v8, 16, v8
	;; [unrolled: 1-line block ×3, first 2 shown]
	s_delay_alu instid0(VALU_DEP_3) | instskip(SKIP_4) | instid1(VALU_DEP_2)
	v_cmp_lt_u32_e32 vcc_lo, 2, v7
	s_or_b32 s3, vcc_lo, s3
	s_waitcnt vmcnt(0) lgkmcnt(0)
	v_mul_f64 v[10:11], v[20:21], v[16:17]
	v_mul_f64 v[16:17], v[18:19], v[16:17]
	v_fma_f64 v[10:11], v[18:19], v[14:15], -v[10:11]
	s_delay_alu instid0(VALU_DEP_2) | instskip(NEXT) | instid1(VALU_DEP_2)
	v_fma_f64 v[14:15], v[20:21], v[14:15], v[16:17]
	v_add_f64 v[3:4], v[3:4], v[10:11]
	s_delay_alu instid0(VALU_DEP_2)
	v_add_f64 v[1:2], v[1:2], v[14:15]
	s_and_not1_b32 exec_lo, exec_lo, s3
	s_cbranch_execnz .LBB94_29
; %bb.30:
	s_or_b32 exec_lo, exec_lo, s3
	v_mov_b32_e32 v7, 0
	ds_load_b128 v[7:10], v7 offset:64
	s_waitcnt lgkmcnt(0)
	v_mul_f64 v[11:12], v[1:2], v[9:10]
	v_mul_f64 v[14:15], v[3:4], v[9:10]
	s_delay_alu instid0(VALU_DEP_2) | instskip(NEXT) | instid1(VALU_DEP_2)
	v_fma_f64 v[9:10], v[3:4], v[7:8], -v[11:12]
	v_fma_f64 v[11:12], v[1:2], v[7:8], v[14:15]
	scratch_store_b128 off, v[9:12], off offset:64
.LBB94_31:
	s_or_b32 exec_lo, exec_lo, s2
	s_waitcnt_vscnt null, 0x0
	s_barrier
	buffer_gl0_inv
	scratch_load_b128 v[1:4], v130, off
	s_mov_b32 s2, exec_lo
	s_waitcnt vmcnt(0)
	ds_store_b128 v5, v[1:4]
	s_waitcnt lgkmcnt(0)
	s_barrier
	buffer_gl0_inv
	v_cmpx_gt_u32_e32 5, v108
	s_cbranch_execz .LBB94_35
; %bb.32:
	v_dual_mov_b32 v1, 0 :: v_dual_add_nc_u32 v8, 0x1f0, v25
	v_dual_mov_b32 v2, 0 :: v_dual_add_nc_u32 v7, -1, v108
	v_or_b32_e32 v9, 8, v13
	s_mov_b32 s3, 0
	s_delay_alu instid0(VALU_DEP_2)
	v_dual_mov_b32 v4, v2 :: v_dual_mov_b32 v3, v1
	.p2align	6
.LBB94_33:                              ; =>This Inner Loop Header: Depth=1
	scratch_load_b128 v[14:17], v9, off offset:-8
	ds_load_b128 v[18:21], v8
	v_add_nc_u32_e32 v7, 1, v7
	v_add_nc_u32_e32 v8, 16, v8
	;; [unrolled: 1-line block ×3, first 2 shown]
	s_delay_alu instid0(VALU_DEP_3) | instskip(SKIP_4) | instid1(VALU_DEP_2)
	v_cmp_lt_u32_e32 vcc_lo, 3, v7
	s_or_b32 s3, vcc_lo, s3
	s_waitcnt vmcnt(0) lgkmcnt(0)
	v_mul_f64 v[10:11], v[20:21], v[16:17]
	v_mul_f64 v[16:17], v[18:19], v[16:17]
	v_fma_f64 v[10:11], v[18:19], v[14:15], -v[10:11]
	s_delay_alu instid0(VALU_DEP_2) | instskip(NEXT) | instid1(VALU_DEP_2)
	v_fma_f64 v[14:15], v[20:21], v[14:15], v[16:17]
	v_add_f64 v[3:4], v[3:4], v[10:11]
	s_delay_alu instid0(VALU_DEP_2)
	v_add_f64 v[1:2], v[1:2], v[14:15]
	s_and_not1_b32 exec_lo, exec_lo, s3
	s_cbranch_execnz .LBB94_33
; %bb.34:
	s_or_b32 exec_lo, exec_lo, s3
	v_mov_b32_e32 v7, 0
	ds_load_b128 v[7:10], v7 offset:80
	s_waitcnt lgkmcnt(0)
	v_mul_f64 v[11:12], v[1:2], v[9:10]
	v_mul_f64 v[14:15], v[3:4], v[9:10]
	s_delay_alu instid0(VALU_DEP_2) | instskip(NEXT) | instid1(VALU_DEP_2)
	v_fma_f64 v[9:10], v[3:4], v[7:8], -v[11:12]
	v_fma_f64 v[11:12], v[1:2], v[7:8], v[14:15]
	scratch_store_b128 off, v[9:12], off offset:80
.LBB94_35:
	s_or_b32 exec_lo, exec_lo, s2
	s_waitcnt_vscnt null, 0x0
	s_barrier
	buffer_gl0_inv
	scratch_load_b128 v[1:4], v128, off
	s_mov_b32 s2, exec_lo
	s_waitcnt vmcnt(0)
	ds_store_b128 v5, v[1:4]
	s_waitcnt lgkmcnt(0)
	s_barrier
	buffer_gl0_inv
	v_cmpx_gt_u32_e32 6, v108
	s_cbranch_execz .LBB94_39
; %bb.36:
	v_dual_mov_b32 v1, 0 :: v_dual_add_nc_u32 v8, 0x1f0, v25
	v_dual_mov_b32 v2, 0 :: v_dual_add_nc_u32 v7, -1, v108
	v_or_b32_e32 v9, 8, v13
	s_mov_b32 s3, 0
	s_delay_alu instid0(VALU_DEP_2)
	v_dual_mov_b32 v4, v2 :: v_dual_mov_b32 v3, v1
	.p2align	6
.LBB94_37:                              ; =>This Inner Loop Header: Depth=1
	scratch_load_b128 v[14:17], v9, off offset:-8
	ds_load_b128 v[18:21], v8
	v_add_nc_u32_e32 v7, 1, v7
	v_add_nc_u32_e32 v8, 16, v8
	;; [unrolled: 1-line block ×3, first 2 shown]
	s_delay_alu instid0(VALU_DEP_3) | instskip(SKIP_4) | instid1(VALU_DEP_2)
	v_cmp_lt_u32_e32 vcc_lo, 4, v7
	s_or_b32 s3, vcc_lo, s3
	s_waitcnt vmcnt(0) lgkmcnt(0)
	v_mul_f64 v[10:11], v[20:21], v[16:17]
	v_mul_f64 v[16:17], v[18:19], v[16:17]
	v_fma_f64 v[10:11], v[18:19], v[14:15], -v[10:11]
	s_delay_alu instid0(VALU_DEP_2) | instskip(NEXT) | instid1(VALU_DEP_2)
	v_fma_f64 v[14:15], v[20:21], v[14:15], v[16:17]
	v_add_f64 v[3:4], v[3:4], v[10:11]
	s_delay_alu instid0(VALU_DEP_2)
	v_add_f64 v[1:2], v[1:2], v[14:15]
	s_and_not1_b32 exec_lo, exec_lo, s3
	s_cbranch_execnz .LBB94_37
; %bb.38:
	s_or_b32 exec_lo, exec_lo, s3
	v_mov_b32_e32 v7, 0
	ds_load_b128 v[7:10], v7 offset:96
	s_waitcnt lgkmcnt(0)
	v_mul_f64 v[11:12], v[1:2], v[9:10]
	v_mul_f64 v[14:15], v[3:4], v[9:10]
	s_delay_alu instid0(VALU_DEP_2) | instskip(NEXT) | instid1(VALU_DEP_2)
	v_fma_f64 v[9:10], v[3:4], v[7:8], -v[11:12]
	v_fma_f64 v[11:12], v[1:2], v[7:8], v[14:15]
	scratch_store_b128 off, v[9:12], off offset:96
.LBB94_39:
	s_or_b32 exec_lo, exec_lo, s2
	s_waitcnt_vscnt null, 0x0
	s_barrier
	buffer_gl0_inv
	scratch_load_b128 v[1:4], v126, off
	s_mov_b32 s2, exec_lo
	s_waitcnt vmcnt(0)
	ds_store_b128 v5, v[1:4]
	s_waitcnt lgkmcnt(0)
	s_barrier
	buffer_gl0_inv
	v_cmpx_gt_u32_e32 7, v108
	s_cbranch_execz .LBB94_43
; %bb.40:
	v_dual_mov_b32 v1, 0 :: v_dual_add_nc_u32 v8, 0x1f0, v25
	v_dual_mov_b32 v2, 0 :: v_dual_add_nc_u32 v7, -1, v108
	v_or_b32_e32 v9, 8, v13
	s_mov_b32 s3, 0
	s_delay_alu instid0(VALU_DEP_2)
	v_dual_mov_b32 v4, v2 :: v_dual_mov_b32 v3, v1
	.p2align	6
.LBB94_41:                              ; =>This Inner Loop Header: Depth=1
	scratch_load_b128 v[14:17], v9, off offset:-8
	ds_load_b128 v[18:21], v8
	v_add_nc_u32_e32 v7, 1, v7
	v_add_nc_u32_e32 v8, 16, v8
	;; [unrolled: 1-line block ×3, first 2 shown]
	s_delay_alu instid0(VALU_DEP_3) | instskip(SKIP_4) | instid1(VALU_DEP_2)
	v_cmp_lt_u32_e32 vcc_lo, 5, v7
	s_or_b32 s3, vcc_lo, s3
	s_waitcnt vmcnt(0) lgkmcnt(0)
	v_mul_f64 v[10:11], v[20:21], v[16:17]
	v_mul_f64 v[16:17], v[18:19], v[16:17]
	v_fma_f64 v[10:11], v[18:19], v[14:15], -v[10:11]
	s_delay_alu instid0(VALU_DEP_2) | instskip(NEXT) | instid1(VALU_DEP_2)
	v_fma_f64 v[14:15], v[20:21], v[14:15], v[16:17]
	v_add_f64 v[3:4], v[3:4], v[10:11]
	s_delay_alu instid0(VALU_DEP_2)
	v_add_f64 v[1:2], v[1:2], v[14:15]
	s_and_not1_b32 exec_lo, exec_lo, s3
	s_cbranch_execnz .LBB94_41
; %bb.42:
	s_or_b32 exec_lo, exec_lo, s3
	v_mov_b32_e32 v7, 0
	ds_load_b128 v[7:10], v7 offset:112
	s_waitcnt lgkmcnt(0)
	v_mul_f64 v[11:12], v[1:2], v[9:10]
	v_mul_f64 v[14:15], v[3:4], v[9:10]
	s_delay_alu instid0(VALU_DEP_2) | instskip(NEXT) | instid1(VALU_DEP_2)
	v_fma_f64 v[9:10], v[3:4], v[7:8], -v[11:12]
	v_fma_f64 v[11:12], v[1:2], v[7:8], v[14:15]
	scratch_store_b128 off, v[9:12], off offset:112
.LBB94_43:
	s_or_b32 exec_lo, exec_lo, s2
	s_waitcnt_vscnt null, 0x0
	s_barrier
	buffer_gl0_inv
	scratch_load_b128 v[1:4], v123, off
	s_mov_b32 s2, exec_lo
	s_waitcnt vmcnt(0)
	ds_store_b128 v5, v[1:4]
	s_waitcnt lgkmcnt(0)
	s_barrier
	buffer_gl0_inv
	v_cmpx_gt_u32_e32 8, v108
	s_cbranch_execz .LBB94_47
; %bb.44:
	v_dual_mov_b32 v1, 0 :: v_dual_add_nc_u32 v8, 0x1f0, v25
	v_dual_mov_b32 v2, 0 :: v_dual_add_nc_u32 v7, -1, v108
	v_or_b32_e32 v9, 8, v13
	s_mov_b32 s3, 0
	s_delay_alu instid0(VALU_DEP_2)
	v_dual_mov_b32 v4, v2 :: v_dual_mov_b32 v3, v1
	.p2align	6
.LBB94_45:                              ; =>This Inner Loop Header: Depth=1
	scratch_load_b128 v[14:17], v9, off offset:-8
	ds_load_b128 v[18:21], v8
	v_add_nc_u32_e32 v7, 1, v7
	v_add_nc_u32_e32 v8, 16, v8
	;; [unrolled: 1-line block ×3, first 2 shown]
	s_delay_alu instid0(VALU_DEP_3) | instskip(SKIP_4) | instid1(VALU_DEP_2)
	v_cmp_lt_u32_e32 vcc_lo, 6, v7
	s_or_b32 s3, vcc_lo, s3
	s_waitcnt vmcnt(0) lgkmcnt(0)
	v_mul_f64 v[10:11], v[20:21], v[16:17]
	v_mul_f64 v[16:17], v[18:19], v[16:17]
	v_fma_f64 v[10:11], v[18:19], v[14:15], -v[10:11]
	s_delay_alu instid0(VALU_DEP_2) | instskip(NEXT) | instid1(VALU_DEP_2)
	v_fma_f64 v[14:15], v[20:21], v[14:15], v[16:17]
	v_add_f64 v[3:4], v[3:4], v[10:11]
	s_delay_alu instid0(VALU_DEP_2)
	v_add_f64 v[1:2], v[1:2], v[14:15]
	s_and_not1_b32 exec_lo, exec_lo, s3
	s_cbranch_execnz .LBB94_45
; %bb.46:
	s_or_b32 exec_lo, exec_lo, s3
	v_mov_b32_e32 v7, 0
	ds_load_b128 v[7:10], v7 offset:128
	s_waitcnt lgkmcnt(0)
	v_mul_f64 v[11:12], v[1:2], v[9:10]
	v_mul_f64 v[14:15], v[3:4], v[9:10]
	s_delay_alu instid0(VALU_DEP_2) | instskip(NEXT) | instid1(VALU_DEP_2)
	v_fma_f64 v[9:10], v[3:4], v[7:8], -v[11:12]
	v_fma_f64 v[11:12], v[1:2], v[7:8], v[14:15]
	scratch_store_b128 off, v[9:12], off offset:128
.LBB94_47:
	s_or_b32 exec_lo, exec_lo, s2
	s_waitcnt_vscnt null, 0x0
	s_barrier
	buffer_gl0_inv
	scratch_load_b128 v[1:4], v125, off
	s_mov_b32 s2, exec_lo
	s_waitcnt vmcnt(0)
	ds_store_b128 v5, v[1:4]
	s_waitcnt lgkmcnt(0)
	s_barrier
	buffer_gl0_inv
	v_cmpx_gt_u32_e32 9, v108
	s_cbranch_execz .LBB94_51
; %bb.48:
	v_dual_mov_b32 v1, 0 :: v_dual_add_nc_u32 v8, 0x1f0, v25
	v_dual_mov_b32 v2, 0 :: v_dual_add_nc_u32 v7, -1, v108
	v_or_b32_e32 v9, 8, v13
	s_mov_b32 s3, 0
	s_delay_alu instid0(VALU_DEP_2)
	v_dual_mov_b32 v4, v2 :: v_dual_mov_b32 v3, v1
	.p2align	6
.LBB94_49:                              ; =>This Inner Loop Header: Depth=1
	scratch_load_b128 v[14:17], v9, off offset:-8
	ds_load_b128 v[18:21], v8
	v_add_nc_u32_e32 v7, 1, v7
	v_add_nc_u32_e32 v8, 16, v8
	;; [unrolled: 1-line block ×3, first 2 shown]
	s_delay_alu instid0(VALU_DEP_3) | instskip(SKIP_4) | instid1(VALU_DEP_2)
	v_cmp_lt_u32_e32 vcc_lo, 7, v7
	s_or_b32 s3, vcc_lo, s3
	s_waitcnt vmcnt(0) lgkmcnt(0)
	v_mul_f64 v[10:11], v[20:21], v[16:17]
	v_mul_f64 v[16:17], v[18:19], v[16:17]
	v_fma_f64 v[10:11], v[18:19], v[14:15], -v[10:11]
	s_delay_alu instid0(VALU_DEP_2) | instskip(NEXT) | instid1(VALU_DEP_2)
	v_fma_f64 v[14:15], v[20:21], v[14:15], v[16:17]
	v_add_f64 v[3:4], v[3:4], v[10:11]
	s_delay_alu instid0(VALU_DEP_2)
	v_add_f64 v[1:2], v[1:2], v[14:15]
	s_and_not1_b32 exec_lo, exec_lo, s3
	s_cbranch_execnz .LBB94_49
; %bb.50:
	s_or_b32 exec_lo, exec_lo, s3
	v_mov_b32_e32 v7, 0
	ds_load_b128 v[7:10], v7 offset:144
	s_waitcnt lgkmcnt(0)
	v_mul_f64 v[11:12], v[1:2], v[9:10]
	v_mul_f64 v[14:15], v[3:4], v[9:10]
	s_delay_alu instid0(VALU_DEP_2) | instskip(NEXT) | instid1(VALU_DEP_2)
	v_fma_f64 v[9:10], v[3:4], v[7:8], -v[11:12]
	v_fma_f64 v[11:12], v[1:2], v[7:8], v[14:15]
	scratch_store_b128 off, v[9:12], off offset:144
.LBB94_51:
	s_or_b32 exec_lo, exec_lo, s2
	s_waitcnt_vscnt null, 0x0
	s_barrier
	buffer_gl0_inv
	scratch_load_b128 v[1:4], v122, off
	s_mov_b32 s2, exec_lo
	s_waitcnt vmcnt(0)
	ds_store_b128 v5, v[1:4]
	s_waitcnt lgkmcnt(0)
	s_barrier
	buffer_gl0_inv
	v_cmpx_gt_u32_e32 10, v108
	s_cbranch_execz .LBB94_55
; %bb.52:
	v_dual_mov_b32 v1, 0 :: v_dual_add_nc_u32 v8, 0x1f0, v25
	v_dual_mov_b32 v2, 0 :: v_dual_add_nc_u32 v7, -1, v108
	v_or_b32_e32 v9, 8, v13
	s_mov_b32 s3, 0
	s_delay_alu instid0(VALU_DEP_2)
	v_dual_mov_b32 v4, v2 :: v_dual_mov_b32 v3, v1
	.p2align	6
.LBB94_53:                              ; =>This Inner Loop Header: Depth=1
	scratch_load_b128 v[14:17], v9, off offset:-8
	ds_load_b128 v[18:21], v8
	v_add_nc_u32_e32 v7, 1, v7
	v_add_nc_u32_e32 v8, 16, v8
	;; [unrolled: 1-line block ×3, first 2 shown]
	s_delay_alu instid0(VALU_DEP_3) | instskip(SKIP_4) | instid1(VALU_DEP_2)
	v_cmp_lt_u32_e32 vcc_lo, 8, v7
	s_or_b32 s3, vcc_lo, s3
	s_waitcnt vmcnt(0) lgkmcnt(0)
	v_mul_f64 v[10:11], v[20:21], v[16:17]
	v_mul_f64 v[16:17], v[18:19], v[16:17]
	v_fma_f64 v[10:11], v[18:19], v[14:15], -v[10:11]
	s_delay_alu instid0(VALU_DEP_2) | instskip(NEXT) | instid1(VALU_DEP_2)
	v_fma_f64 v[14:15], v[20:21], v[14:15], v[16:17]
	v_add_f64 v[3:4], v[3:4], v[10:11]
	s_delay_alu instid0(VALU_DEP_2)
	v_add_f64 v[1:2], v[1:2], v[14:15]
	s_and_not1_b32 exec_lo, exec_lo, s3
	s_cbranch_execnz .LBB94_53
; %bb.54:
	s_or_b32 exec_lo, exec_lo, s3
	v_mov_b32_e32 v7, 0
	ds_load_b128 v[7:10], v7 offset:160
	s_waitcnt lgkmcnt(0)
	v_mul_f64 v[11:12], v[1:2], v[9:10]
	v_mul_f64 v[14:15], v[3:4], v[9:10]
	s_delay_alu instid0(VALU_DEP_2) | instskip(NEXT) | instid1(VALU_DEP_2)
	v_fma_f64 v[9:10], v[3:4], v[7:8], -v[11:12]
	v_fma_f64 v[11:12], v[1:2], v[7:8], v[14:15]
	scratch_store_b128 off, v[9:12], off offset:160
.LBB94_55:
	s_or_b32 exec_lo, exec_lo, s2
	s_waitcnt_vscnt null, 0x0
	s_barrier
	buffer_gl0_inv
	scratch_load_b128 v[1:4], v120, off
	s_mov_b32 s2, exec_lo
	s_waitcnt vmcnt(0)
	ds_store_b128 v5, v[1:4]
	s_waitcnt lgkmcnt(0)
	s_barrier
	buffer_gl0_inv
	v_cmpx_gt_u32_e32 11, v108
	s_cbranch_execz .LBB94_59
; %bb.56:
	v_dual_mov_b32 v1, 0 :: v_dual_add_nc_u32 v8, 0x1f0, v25
	v_dual_mov_b32 v2, 0 :: v_dual_add_nc_u32 v7, -1, v108
	v_or_b32_e32 v9, 8, v13
	s_mov_b32 s3, 0
	s_delay_alu instid0(VALU_DEP_2)
	v_dual_mov_b32 v4, v2 :: v_dual_mov_b32 v3, v1
	.p2align	6
.LBB94_57:                              ; =>This Inner Loop Header: Depth=1
	scratch_load_b128 v[14:17], v9, off offset:-8
	ds_load_b128 v[18:21], v8
	v_add_nc_u32_e32 v7, 1, v7
	v_add_nc_u32_e32 v8, 16, v8
	;; [unrolled: 1-line block ×3, first 2 shown]
	s_delay_alu instid0(VALU_DEP_3) | instskip(SKIP_4) | instid1(VALU_DEP_2)
	v_cmp_lt_u32_e32 vcc_lo, 9, v7
	s_or_b32 s3, vcc_lo, s3
	s_waitcnt vmcnt(0) lgkmcnt(0)
	v_mul_f64 v[10:11], v[20:21], v[16:17]
	v_mul_f64 v[16:17], v[18:19], v[16:17]
	v_fma_f64 v[10:11], v[18:19], v[14:15], -v[10:11]
	s_delay_alu instid0(VALU_DEP_2) | instskip(NEXT) | instid1(VALU_DEP_2)
	v_fma_f64 v[14:15], v[20:21], v[14:15], v[16:17]
	v_add_f64 v[3:4], v[3:4], v[10:11]
	s_delay_alu instid0(VALU_DEP_2)
	v_add_f64 v[1:2], v[1:2], v[14:15]
	s_and_not1_b32 exec_lo, exec_lo, s3
	s_cbranch_execnz .LBB94_57
; %bb.58:
	s_or_b32 exec_lo, exec_lo, s3
	v_mov_b32_e32 v7, 0
	ds_load_b128 v[7:10], v7 offset:176
	s_waitcnt lgkmcnt(0)
	v_mul_f64 v[11:12], v[1:2], v[9:10]
	v_mul_f64 v[14:15], v[3:4], v[9:10]
	s_delay_alu instid0(VALU_DEP_2) | instskip(NEXT) | instid1(VALU_DEP_2)
	v_fma_f64 v[9:10], v[3:4], v[7:8], -v[11:12]
	v_fma_f64 v[11:12], v[1:2], v[7:8], v[14:15]
	scratch_store_b128 off, v[9:12], off offset:176
.LBB94_59:
	s_or_b32 exec_lo, exec_lo, s2
	s_waitcnt_vscnt null, 0x0
	s_barrier
	buffer_gl0_inv
	scratch_load_b128 v[1:4], v118, off
	s_mov_b32 s2, exec_lo
	s_waitcnt vmcnt(0)
	ds_store_b128 v5, v[1:4]
	s_waitcnt lgkmcnt(0)
	s_barrier
	buffer_gl0_inv
	v_cmpx_gt_u32_e32 12, v108
	s_cbranch_execz .LBB94_63
; %bb.60:
	v_dual_mov_b32 v1, 0 :: v_dual_add_nc_u32 v8, 0x1f0, v25
	v_dual_mov_b32 v2, 0 :: v_dual_add_nc_u32 v7, -1, v108
	v_or_b32_e32 v9, 8, v13
	s_mov_b32 s3, 0
	s_delay_alu instid0(VALU_DEP_2)
	v_dual_mov_b32 v4, v2 :: v_dual_mov_b32 v3, v1
	.p2align	6
.LBB94_61:                              ; =>This Inner Loop Header: Depth=1
	scratch_load_b128 v[14:17], v9, off offset:-8
	ds_load_b128 v[18:21], v8
	v_add_nc_u32_e32 v7, 1, v7
	v_add_nc_u32_e32 v8, 16, v8
	;; [unrolled: 1-line block ×3, first 2 shown]
	s_delay_alu instid0(VALU_DEP_3) | instskip(SKIP_4) | instid1(VALU_DEP_2)
	v_cmp_lt_u32_e32 vcc_lo, 10, v7
	s_or_b32 s3, vcc_lo, s3
	s_waitcnt vmcnt(0) lgkmcnt(0)
	v_mul_f64 v[10:11], v[20:21], v[16:17]
	v_mul_f64 v[16:17], v[18:19], v[16:17]
	v_fma_f64 v[10:11], v[18:19], v[14:15], -v[10:11]
	s_delay_alu instid0(VALU_DEP_2) | instskip(NEXT) | instid1(VALU_DEP_2)
	v_fma_f64 v[14:15], v[20:21], v[14:15], v[16:17]
	v_add_f64 v[3:4], v[3:4], v[10:11]
	s_delay_alu instid0(VALU_DEP_2)
	v_add_f64 v[1:2], v[1:2], v[14:15]
	s_and_not1_b32 exec_lo, exec_lo, s3
	s_cbranch_execnz .LBB94_61
; %bb.62:
	s_or_b32 exec_lo, exec_lo, s3
	v_mov_b32_e32 v7, 0
	ds_load_b128 v[7:10], v7 offset:192
	s_waitcnt lgkmcnt(0)
	v_mul_f64 v[11:12], v[1:2], v[9:10]
	v_mul_f64 v[14:15], v[3:4], v[9:10]
	s_delay_alu instid0(VALU_DEP_2) | instskip(NEXT) | instid1(VALU_DEP_2)
	v_fma_f64 v[9:10], v[3:4], v[7:8], -v[11:12]
	v_fma_f64 v[11:12], v[1:2], v[7:8], v[14:15]
	scratch_store_b128 off, v[9:12], off offset:192
.LBB94_63:
	s_or_b32 exec_lo, exec_lo, s2
	s_waitcnt_vscnt null, 0x0
	s_barrier
	buffer_gl0_inv
	scratch_load_b128 v[1:4], v119, off
	s_mov_b32 s2, exec_lo
	s_waitcnt vmcnt(0)
	ds_store_b128 v5, v[1:4]
	s_waitcnt lgkmcnt(0)
	s_barrier
	buffer_gl0_inv
	v_cmpx_gt_u32_e32 13, v108
	s_cbranch_execz .LBB94_67
; %bb.64:
	v_dual_mov_b32 v1, 0 :: v_dual_add_nc_u32 v8, 0x1f0, v25
	v_dual_mov_b32 v2, 0 :: v_dual_add_nc_u32 v7, -1, v108
	v_or_b32_e32 v9, 8, v13
	s_mov_b32 s3, 0
	s_delay_alu instid0(VALU_DEP_2)
	v_dual_mov_b32 v4, v2 :: v_dual_mov_b32 v3, v1
	.p2align	6
.LBB94_65:                              ; =>This Inner Loop Header: Depth=1
	scratch_load_b128 v[14:17], v9, off offset:-8
	ds_load_b128 v[18:21], v8
	v_add_nc_u32_e32 v7, 1, v7
	v_add_nc_u32_e32 v8, 16, v8
	;; [unrolled: 1-line block ×3, first 2 shown]
	s_delay_alu instid0(VALU_DEP_3) | instskip(SKIP_4) | instid1(VALU_DEP_2)
	v_cmp_lt_u32_e32 vcc_lo, 11, v7
	s_or_b32 s3, vcc_lo, s3
	s_waitcnt vmcnt(0) lgkmcnt(0)
	v_mul_f64 v[10:11], v[20:21], v[16:17]
	v_mul_f64 v[16:17], v[18:19], v[16:17]
	v_fma_f64 v[10:11], v[18:19], v[14:15], -v[10:11]
	s_delay_alu instid0(VALU_DEP_2) | instskip(NEXT) | instid1(VALU_DEP_2)
	v_fma_f64 v[14:15], v[20:21], v[14:15], v[16:17]
	v_add_f64 v[3:4], v[3:4], v[10:11]
	s_delay_alu instid0(VALU_DEP_2)
	v_add_f64 v[1:2], v[1:2], v[14:15]
	s_and_not1_b32 exec_lo, exec_lo, s3
	s_cbranch_execnz .LBB94_65
; %bb.66:
	s_or_b32 exec_lo, exec_lo, s3
	v_mov_b32_e32 v7, 0
	ds_load_b128 v[7:10], v7 offset:208
	s_waitcnt lgkmcnt(0)
	v_mul_f64 v[11:12], v[1:2], v[9:10]
	v_mul_f64 v[14:15], v[3:4], v[9:10]
	s_delay_alu instid0(VALU_DEP_2) | instskip(NEXT) | instid1(VALU_DEP_2)
	v_fma_f64 v[9:10], v[3:4], v[7:8], -v[11:12]
	v_fma_f64 v[11:12], v[1:2], v[7:8], v[14:15]
	scratch_store_b128 off, v[9:12], off offset:208
.LBB94_67:
	s_or_b32 exec_lo, exec_lo, s2
	s_waitcnt_vscnt null, 0x0
	s_barrier
	buffer_gl0_inv
	scratch_load_b128 v[1:4], v117, off
	s_mov_b32 s2, exec_lo
	s_waitcnt vmcnt(0)
	ds_store_b128 v5, v[1:4]
	s_waitcnt lgkmcnt(0)
	s_barrier
	buffer_gl0_inv
	v_cmpx_gt_u32_e32 14, v108
	s_cbranch_execz .LBB94_71
; %bb.68:
	v_dual_mov_b32 v1, 0 :: v_dual_add_nc_u32 v8, 0x1f0, v25
	v_dual_mov_b32 v2, 0 :: v_dual_add_nc_u32 v7, -1, v108
	v_or_b32_e32 v9, 8, v13
	s_mov_b32 s3, 0
	s_delay_alu instid0(VALU_DEP_2)
	v_dual_mov_b32 v4, v2 :: v_dual_mov_b32 v3, v1
	.p2align	6
.LBB94_69:                              ; =>This Inner Loop Header: Depth=1
	scratch_load_b128 v[14:17], v9, off offset:-8
	ds_load_b128 v[18:21], v8
	v_add_nc_u32_e32 v7, 1, v7
	v_add_nc_u32_e32 v8, 16, v8
	v_add_nc_u32_e32 v9, 16, v9
	s_delay_alu instid0(VALU_DEP_3) | instskip(SKIP_4) | instid1(VALU_DEP_2)
	v_cmp_lt_u32_e32 vcc_lo, 12, v7
	s_or_b32 s3, vcc_lo, s3
	s_waitcnt vmcnt(0) lgkmcnt(0)
	v_mul_f64 v[10:11], v[20:21], v[16:17]
	v_mul_f64 v[16:17], v[18:19], v[16:17]
	v_fma_f64 v[10:11], v[18:19], v[14:15], -v[10:11]
	s_delay_alu instid0(VALU_DEP_2) | instskip(NEXT) | instid1(VALU_DEP_2)
	v_fma_f64 v[14:15], v[20:21], v[14:15], v[16:17]
	v_add_f64 v[3:4], v[3:4], v[10:11]
	s_delay_alu instid0(VALU_DEP_2)
	v_add_f64 v[1:2], v[1:2], v[14:15]
	s_and_not1_b32 exec_lo, exec_lo, s3
	s_cbranch_execnz .LBB94_69
; %bb.70:
	s_or_b32 exec_lo, exec_lo, s3
	v_mov_b32_e32 v7, 0
	ds_load_b128 v[7:10], v7 offset:224
	s_waitcnt lgkmcnt(0)
	v_mul_f64 v[11:12], v[1:2], v[9:10]
	v_mul_f64 v[14:15], v[3:4], v[9:10]
	s_delay_alu instid0(VALU_DEP_2) | instskip(NEXT) | instid1(VALU_DEP_2)
	v_fma_f64 v[9:10], v[3:4], v[7:8], -v[11:12]
	v_fma_f64 v[11:12], v[1:2], v[7:8], v[14:15]
	scratch_store_b128 off, v[9:12], off offset:224
.LBB94_71:
	s_or_b32 exec_lo, exec_lo, s2
	s_waitcnt_vscnt null, 0x0
	s_barrier
	buffer_gl0_inv
	scratch_load_b128 v[1:4], v116, off
	s_mov_b32 s2, exec_lo
	s_waitcnt vmcnt(0)
	ds_store_b128 v5, v[1:4]
	s_waitcnt lgkmcnt(0)
	s_barrier
	buffer_gl0_inv
	v_cmpx_gt_u32_e32 15, v108
	s_cbranch_execz .LBB94_75
; %bb.72:
	v_dual_mov_b32 v1, 0 :: v_dual_add_nc_u32 v8, 0x1f0, v25
	v_dual_mov_b32 v2, 0 :: v_dual_add_nc_u32 v7, -1, v108
	v_or_b32_e32 v9, 8, v13
	s_mov_b32 s3, 0
	s_delay_alu instid0(VALU_DEP_2)
	v_dual_mov_b32 v4, v2 :: v_dual_mov_b32 v3, v1
	.p2align	6
.LBB94_73:                              ; =>This Inner Loop Header: Depth=1
	scratch_load_b128 v[14:17], v9, off offset:-8
	ds_load_b128 v[18:21], v8
	v_add_nc_u32_e32 v7, 1, v7
	v_add_nc_u32_e32 v8, 16, v8
	;; [unrolled: 1-line block ×3, first 2 shown]
	s_delay_alu instid0(VALU_DEP_3) | instskip(SKIP_4) | instid1(VALU_DEP_2)
	v_cmp_lt_u32_e32 vcc_lo, 13, v7
	s_or_b32 s3, vcc_lo, s3
	s_waitcnt vmcnt(0) lgkmcnt(0)
	v_mul_f64 v[10:11], v[20:21], v[16:17]
	v_mul_f64 v[16:17], v[18:19], v[16:17]
	v_fma_f64 v[10:11], v[18:19], v[14:15], -v[10:11]
	s_delay_alu instid0(VALU_DEP_2) | instskip(NEXT) | instid1(VALU_DEP_2)
	v_fma_f64 v[14:15], v[20:21], v[14:15], v[16:17]
	v_add_f64 v[3:4], v[3:4], v[10:11]
	s_delay_alu instid0(VALU_DEP_2)
	v_add_f64 v[1:2], v[1:2], v[14:15]
	s_and_not1_b32 exec_lo, exec_lo, s3
	s_cbranch_execnz .LBB94_73
; %bb.74:
	s_or_b32 exec_lo, exec_lo, s3
	v_mov_b32_e32 v7, 0
	ds_load_b128 v[7:10], v7 offset:240
	s_waitcnt lgkmcnt(0)
	v_mul_f64 v[11:12], v[1:2], v[9:10]
	v_mul_f64 v[14:15], v[3:4], v[9:10]
	s_delay_alu instid0(VALU_DEP_2) | instskip(NEXT) | instid1(VALU_DEP_2)
	v_fma_f64 v[9:10], v[3:4], v[7:8], -v[11:12]
	v_fma_f64 v[11:12], v[1:2], v[7:8], v[14:15]
	scratch_store_b128 off, v[9:12], off offset:240
.LBB94_75:
	s_or_b32 exec_lo, exec_lo, s2
	s_waitcnt_vscnt null, 0x0
	s_barrier
	buffer_gl0_inv
	scratch_load_b128 v[1:4], v114, off
	s_mov_b32 s2, exec_lo
	s_waitcnt vmcnt(0)
	ds_store_b128 v5, v[1:4]
	s_waitcnt lgkmcnt(0)
	s_barrier
	buffer_gl0_inv
	v_cmpx_gt_u32_e32 16, v108
	s_cbranch_execz .LBB94_79
; %bb.76:
	v_dual_mov_b32 v1, 0 :: v_dual_add_nc_u32 v8, 0x1f0, v25
	v_dual_mov_b32 v2, 0 :: v_dual_add_nc_u32 v7, -1, v108
	v_or_b32_e32 v9, 8, v13
	s_mov_b32 s3, 0
	s_delay_alu instid0(VALU_DEP_2)
	v_dual_mov_b32 v4, v2 :: v_dual_mov_b32 v3, v1
	.p2align	6
.LBB94_77:                              ; =>This Inner Loop Header: Depth=1
	scratch_load_b128 v[14:17], v9, off offset:-8
	ds_load_b128 v[18:21], v8
	v_add_nc_u32_e32 v7, 1, v7
	v_add_nc_u32_e32 v8, 16, v8
	v_add_nc_u32_e32 v9, 16, v9
	s_delay_alu instid0(VALU_DEP_3) | instskip(SKIP_4) | instid1(VALU_DEP_2)
	v_cmp_lt_u32_e32 vcc_lo, 14, v7
	s_or_b32 s3, vcc_lo, s3
	s_waitcnt vmcnt(0) lgkmcnt(0)
	v_mul_f64 v[10:11], v[20:21], v[16:17]
	v_mul_f64 v[16:17], v[18:19], v[16:17]
	v_fma_f64 v[10:11], v[18:19], v[14:15], -v[10:11]
	s_delay_alu instid0(VALU_DEP_2) | instskip(NEXT) | instid1(VALU_DEP_2)
	v_fma_f64 v[14:15], v[20:21], v[14:15], v[16:17]
	v_add_f64 v[3:4], v[3:4], v[10:11]
	s_delay_alu instid0(VALU_DEP_2)
	v_add_f64 v[1:2], v[1:2], v[14:15]
	s_and_not1_b32 exec_lo, exec_lo, s3
	s_cbranch_execnz .LBB94_77
; %bb.78:
	s_or_b32 exec_lo, exec_lo, s3
	v_mov_b32_e32 v7, 0
	ds_load_b128 v[7:10], v7 offset:256
	s_waitcnt lgkmcnt(0)
	v_mul_f64 v[11:12], v[1:2], v[9:10]
	v_mul_f64 v[14:15], v[3:4], v[9:10]
	s_delay_alu instid0(VALU_DEP_2) | instskip(NEXT) | instid1(VALU_DEP_2)
	v_fma_f64 v[9:10], v[3:4], v[7:8], -v[11:12]
	v_fma_f64 v[11:12], v[1:2], v[7:8], v[14:15]
	scratch_store_b128 off, v[9:12], off offset:256
.LBB94_79:
	s_or_b32 exec_lo, exec_lo, s2
	s_waitcnt_vscnt null, 0x0
	s_barrier
	buffer_gl0_inv
	scratch_load_b128 v[1:4], v115, off
	s_mov_b32 s2, exec_lo
	s_waitcnt vmcnt(0)
	ds_store_b128 v5, v[1:4]
	s_waitcnt lgkmcnt(0)
	s_barrier
	buffer_gl0_inv
	v_cmpx_gt_u32_e32 17, v108
	s_cbranch_execz .LBB94_83
; %bb.80:
	v_dual_mov_b32 v1, 0 :: v_dual_add_nc_u32 v8, 0x1f0, v25
	v_dual_mov_b32 v2, 0 :: v_dual_add_nc_u32 v7, -1, v108
	v_or_b32_e32 v9, 8, v13
	s_mov_b32 s3, 0
	s_delay_alu instid0(VALU_DEP_2)
	v_dual_mov_b32 v4, v2 :: v_dual_mov_b32 v3, v1
	.p2align	6
.LBB94_81:                              ; =>This Inner Loop Header: Depth=1
	scratch_load_b128 v[14:17], v9, off offset:-8
	ds_load_b128 v[18:21], v8
	v_add_nc_u32_e32 v7, 1, v7
	v_add_nc_u32_e32 v8, 16, v8
	;; [unrolled: 1-line block ×3, first 2 shown]
	s_delay_alu instid0(VALU_DEP_3) | instskip(SKIP_4) | instid1(VALU_DEP_2)
	v_cmp_lt_u32_e32 vcc_lo, 15, v7
	s_or_b32 s3, vcc_lo, s3
	s_waitcnt vmcnt(0) lgkmcnt(0)
	v_mul_f64 v[10:11], v[20:21], v[16:17]
	v_mul_f64 v[16:17], v[18:19], v[16:17]
	v_fma_f64 v[10:11], v[18:19], v[14:15], -v[10:11]
	s_delay_alu instid0(VALU_DEP_2) | instskip(NEXT) | instid1(VALU_DEP_2)
	v_fma_f64 v[14:15], v[20:21], v[14:15], v[16:17]
	v_add_f64 v[3:4], v[3:4], v[10:11]
	s_delay_alu instid0(VALU_DEP_2)
	v_add_f64 v[1:2], v[1:2], v[14:15]
	s_and_not1_b32 exec_lo, exec_lo, s3
	s_cbranch_execnz .LBB94_81
; %bb.82:
	s_or_b32 exec_lo, exec_lo, s3
	v_mov_b32_e32 v7, 0
	ds_load_b128 v[7:10], v7 offset:272
	s_waitcnt lgkmcnt(0)
	v_mul_f64 v[11:12], v[1:2], v[9:10]
	v_mul_f64 v[14:15], v[3:4], v[9:10]
	s_delay_alu instid0(VALU_DEP_2) | instskip(NEXT) | instid1(VALU_DEP_2)
	v_fma_f64 v[9:10], v[3:4], v[7:8], -v[11:12]
	v_fma_f64 v[11:12], v[1:2], v[7:8], v[14:15]
	scratch_store_b128 off, v[9:12], off offset:272
.LBB94_83:
	s_or_b32 exec_lo, exec_lo, s2
	s_waitcnt_vscnt null, 0x0
	s_barrier
	buffer_gl0_inv
	scratch_load_b128 v[1:4], v113, off
	s_mov_b32 s2, exec_lo
	s_waitcnt vmcnt(0)
	ds_store_b128 v5, v[1:4]
	s_waitcnt lgkmcnt(0)
	s_barrier
	buffer_gl0_inv
	v_cmpx_gt_u32_e32 18, v108
	s_cbranch_execz .LBB94_87
; %bb.84:
	v_dual_mov_b32 v1, 0 :: v_dual_add_nc_u32 v8, 0x1f0, v25
	v_dual_mov_b32 v2, 0 :: v_dual_add_nc_u32 v7, -1, v108
	v_or_b32_e32 v9, 8, v13
	s_mov_b32 s3, 0
	s_delay_alu instid0(VALU_DEP_2)
	v_dual_mov_b32 v4, v2 :: v_dual_mov_b32 v3, v1
	.p2align	6
.LBB94_85:                              ; =>This Inner Loop Header: Depth=1
	scratch_load_b128 v[14:17], v9, off offset:-8
	ds_load_b128 v[18:21], v8
	v_add_nc_u32_e32 v7, 1, v7
	v_add_nc_u32_e32 v8, 16, v8
	;; [unrolled: 1-line block ×3, first 2 shown]
	s_delay_alu instid0(VALU_DEP_3) | instskip(SKIP_4) | instid1(VALU_DEP_2)
	v_cmp_lt_u32_e32 vcc_lo, 16, v7
	s_or_b32 s3, vcc_lo, s3
	s_waitcnt vmcnt(0) lgkmcnt(0)
	v_mul_f64 v[10:11], v[20:21], v[16:17]
	v_mul_f64 v[16:17], v[18:19], v[16:17]
	v_fma_f64 v[10:11], v[18:19], v[14:15], -v[10:11]
	s_delay_alu instid0(VALU_DEP_2) | instskip(NEXT) | instid1(VALU_DEP_2)
	v_fma_f64 v[14:15], v[20:21], v[14:15], v[16:17]
	v_add_f64 v[3:4], v[3:4], v[10:11]
	s_delay_alu instid0(VALU_DEP_2)
	v_add_f64 v[1:2], v[1:2], v[14:15]
	s_and_not1_b32 exec_lo, exec_lo, s3
	s_cbranch_execnz .LBB94_85
; %bb.86:
	s_or_b32 exec_lo, exec_lo, s3
	v_mov_b32_e32 v7, 0
	ds_load_b128 v[7:10], v7 offset:288
	s_waitcnt lgkmcnt(0)
	v_mul_f64 v[11:12], v[1:2], v[9:10]
	v_mul_f64 v[14:15], v[3:4], v[9:10]
	s_delay_alu instid0(VALU_DEP_2) | instskip(NEXT) | instid1(VALU_DEP_2)
	v_fma_f64 v[9:10], v[3:4], v[7:8], -v[11:12]
	v_fma_f64 v[11:12], v[1:2], v[7:8], v[14:15]
	scratch_store_b128 off, v[9:12], off offset:288
.LBB94_87:
	s_or_b32 exec_lo, exec_lo, s2
	s_waitcnt_vscnt null, 0x0
	s_barrier
	buffer_gl0_inv
	scratch_load_b128 v[1:4], v138, off
	s_mov_b32 s2, exec_lo
	s_waitcnt vmcnt(0)
	ds_store_b128 v5, v[1:4]
	s_waitcnt lgkmcnt(0)
	s_barrier
	buffer_gl0_inv
	v_cmpx_gt_u32_e32 19, v108
	s_cbranch_execz .LBB94_91
; %bb.88:
	v_dual_mov_b32 v1, 0 :: v_dual_add_nc_u32 v8, 0x1f0, v25
	v_dual_mov_b32 v2, 0 :: v_dual_add_nc_u32 v7, -1, v108
	v_or_b32_e32 v9, 8, v13
	s_mov_b32 s3, 0
	s_delay_alu instid0(VALU_DEP_2)
	v_dual_mov_b32 v4, v2 :: v_dual_mov_b32 v3, v1
	.p2align	6
.LBB94_89:                              ; =>This Inner Loop Header: Depth=1
	scratch_load_b128 v[14:17], v9, off offset:-8
	ds_load_b128 v[18:21], v8
	v_add_nc_u32_e32 v7, 1, v7
	v_add_nc_u32_e32 v8, 16, v8
	;; [unrolled: 1-line block ×3, first 2 shown]
	s_delay_alu instid0(VALU_DEP_3) | instskip(SKIP_4) | instid1(VALU_DEP_2)
	v_cmp_lt_u32_e32 vcc_lo, 17, v7
	s_or_b32 s3, vcc_lo, s3
	s_waitcnt vmcnt(0) lgkmcnt(0)
	v_mul_f64 v[10:11], v[20:21], v[16:17]
	v_mul_f64 v[16:17], v[18:19], v[16:17]
	v_fma_f64 v[10:11], v[18:19], v[14:15], -v[10:11]
	s_delay_alu instid0(VALU_DEP_2) | instskip(NEXT) | instid1(VALU_DEP_2)
	v_fma_f64 v[14:15], v[20:21], v[14:15], v[16:17]
	v_add_f64 v[3:4], v[3:4], v[10:11]
	s_delay_alu instid0(VALU_DEP_2)
	v_add_f64 v[1:2], v[1:2], v[14:15]
	s_and_not1_b32 exec_lo, exec_lo, s3
	s_cbranch_execnz .LBB94_89
; %bb.90:
	s_or_b32 exec_lo, exec_lo, s3
	v_mov_b32_e32 v7, 0
	ds_load_b128 v[7:10], v7 offset:304
	s_waitcnt lgkmcnt(0)
	v_mul_f64 v[11:12], v[1:2], v[9:10]
	v_mul_f64 v[14:15], v[3:4], v[9:10]
	s_delay_alu instid0(VALU_DEP_2) | instskip(NEXT) | instid1(VALU_DEP_2)
	v_fma_f64 v[9:10], v[3:4], v[7:8], -v[11:12]
	v_fma_f64 v[11:12], v[1:2], v[7:8], v[14:15]
	scratch_store_b128 off, v[9:12], off offset:304
.LBB94_91:
	s_or_b32 exec_lo, exec_lo, s2
	s_waitcnt_vscnt null, 0x0
	s_barrier
	buffer_gl0_inv
	scratch_load_b128 v[1:4], v137, off
	s_mov_b32 s2, exec_lo
	s_waitcnt vmcnt(0)
	ds_store_b128 v5, v[1:4]
	s_waitcnt lgkmcnt(0)
	s_barrier
	buffer_gl0_inv
	v_cmpx_gt_u32_e32 20, v108
	s_cbranch_execz .LBB94_95
; %bb.92:
	v_dual_mov_b32 v1, 0 :: v_dual_add_nc_u32 v8, 0x1f0, v25
	v_dual_mov_b32 v2, 0 :: v_dual_add_nc_u32 v7, -1, v108
	v_or_b32_e32 v9, 8, v13
	s_mov_b32 s3, 0
	s_delay_alu instid0(VALU_DEP_2)
	v_dual_mov_b32 v4, v2 :: v_dual_mov_b32 v3, v1
	.p2align	6
.LBB94_93:                              ; =>This Inner Loop Header: Depth=1
	scratch_load_b128 v[14:17], v9, off offset:-8
	ds_load_b128 v[18:21], v8
	v_add_nc_u32_e32 v7, 1, v7
	v_add_nc_u32_e32 v8, 16, v8
	;; [unrolled: 1-line block ×3, first 2 shown]
	s_delay_alu instid0(VALU_DEP_3) | instskip(SKIP_4) | instid1(VALU_DEP_2)
	v_cmp_lt_u32_e32 vcc_lo, 18, v7
	s_or_b32 s3, vcc_lo, s3
	s_waitcnt vmcnt(0) lgkmcnt(0)
	v_mul_f64 v[10:11], v[20:21], v[16:17]
	v_mul_f64 v[16:17], v[18:19], v[16:17]
	v_fma_f64 v[10:11], v[18:19], v[14:15], -v[10:11]
	s_delay_alu instid0(VALU_DEP_2) | instskip(NEXT) | instid1(VALU_DEP_2)
	v_fma_f64 v[14:15], v[20:21], v[14:15], v[16:17]
	v_add_f64 v[3:4], v[3:4], v[10:11]
	s_delay_alu instid0(VALU_DEP_2)
	v_add_f64 v[1:2], v[1:2], v[14:15]
	s_and_not1_b32 exec_lo, exec_lo, s3
	s_cbranch_execnz .LBB94_93
; %bb.94:
	s_or_b32 exec_lo, exec_lo, s3
	v_mov_b32_e32 v7, 0
	ds_load_b128 v[7:10], v7 offset:320
	s_waitcnt lgkmcnt(0)
	v_mul_f64 v[11:12], v[1:2], v[9:10]
	v_mul_f64 v[14:15], v[3:4], v[9:10]
	s_delay_alu instid0(VALU_DEP_2) | instskip(NEXT) | instid1(VALU_DEP_2)
	v_fma_f64 v[9:10], v[3:4], v[7:8], -v[11:12]
	v_fma_f64 v[11:12], v[1:2], v[7:8], v[14:15]
	scratch_store_b128 off, v[9:12], off offset:320
.LBB94_95:
	s_or_b32 exec_lo, exec_lo, s2
	s_waitcnt_vscnt null, 0x0
	s_barrier
	buffer_gl0_inv
	scratch_load_b128 v[1:4], v136, off
	s_mov_b32 s2, exec_lo
	s_waitcnt vmcnt(0)
	ds_store_b128 v5, v[1:4]
	s_waitcnt lgkmcnt(0)
	s_barrier
	buffer_gl0_inv
	v_cmpx_gt_u32_e32 21, v108
	s_cbranch_execz .LBB94_99
; %bb.96:
	v_dual_mov_b32 v1, 0 :: v_dual_add_nc_u32 v8, 0x1f0, v25
	v_dual_mov_b32 v2, 0 :: v_dual_add_nc_u32 v7, -1, v108
	v_or_b32_e32 v9, 8, v13
	s_mov_b32 s3, 0
	s_delay_alu instid0(VALU_DEP_2)
	v_dual_mov_b32 v4, v2 :: v_dual_mov_b32 v3, v1
	.p2align	6
.LBB94_97:                              ; =>This Inner Loop Header: Depth=1
	scratch_load_b128 v[14:17], v9, off offset:-8
	ds_load_b128 v[18:21], v8
	v_add_nc_u32_e32 v7, 1, v7
	v_add_nc_u32_e32 v8, 16, v8
	;; [unrolled: 1-line block ×3, first 2 shown]
	s_delay_alu instid0(VALU_DEP_3) | instskip(SKIP_4) | instid1(VALU_DEP_2)
	v_cmp_lt_u32_e32 vcc_lo, 19, v7
	s_or_b32 s3, vcc_lo, s3
	s_waitcnt vmcnt(0) lgkmcnt(0)
	v_mul_f64 v[10:11], v[20:21], v[16:17]
	v_mul_f64 v[16:17], v[18:19], v[16:17]
	v_fma_f64 v[10:11], v[18:19], v[14:15], -v[10:11]
	s_delay_alu instid0(VALU_DEP_2) | instskip(NEXT) | instid1(VALU_DEP_2)
	v_fma_f64 v[14:15], v[20:21], v[14:15], v[16:17]
	v_add_f64 v[3:4], v[3:4], v[10:11]
	s_delay_alu instid0(VALU_DEP_2)
	v_add_f64 v[1:2], v[1:2], v[14:15]
	s_and_not1_b32 exec_lo, exec_lo, s3
	s_cbranch_execnz .LBB94_97
; %bb.98:
	s_or_b32 exec_lo, exec_lo, s3
	v_mov_b32_e32 v7, 0
	ds_load_b128 v[7:10], v7 offset:336
	s_waitcnt lgkmcnt(0)
	v_mul_f64 v[11:12], v[1:2], v[9:10]
	v_mul_f64 v[14:15], v[3:4], v[9:10]
	s_delay_alu instid0(VALU_DEP_2) | instskip(NEXT) | instid1(VALU_DEP_2)
	v_fma_f64 v[9:10], v[3:4], v[7:8], -v[11:12]
	v_fma_f64 v[11:12], v[1:2], v[7:8], v[14:15]
	scratch_store_b128 off, v[9:12], off offset:336
.LBB94_99:
	s_or_b32 exec_lo, exec_lo, s2
	s_waitcnt_vscnt null, 0x0
	s_barrier
	buffer_gl0_inv
	scratch_load_b128 v[1:4], v135, off
	s_mov_b32 s2, exec_lo
	s_waitcnt vmcnt(0)
	ds_store_b128 v5, v[1:4]
	s_waitcnt lgkmcnt(0)
	s_barrier
	buffer_gl0_inv
	v_cmpx_gt_u32_e32 22, v108
	s_cbranch_execz .LBB94_103
; %bb.100:
	v_dual_mov_b32 v1, 0 :: v_dual_add_nc_u32 v8, 0x1f0, v25
	v_dual_mov_b32 v2, 0 :: v_dual_add_nc_u32 v7, -1, v108
	v_or_b32_e32 v9, 8, v13
	s_mov_b32 s3, 0
	s_delay_alu instid0(VALU_DEP_2)
	v_dual_mov_b32 v4, v2 :: v_dual_mov_b32 v3, v1
	.p2align	6
.LBB94_101:                             ; =>This Inner Loop Header: Depth=1
	scratch_load_b128 v[14:17], v9, off offset:-8
	ds_load_b128 v[18:21], v8
	v_add_nc_u32_e32 v7, 1, v7
	v_add_nc_u32_e32 v8, 16, v8
	v_add_nc_u32_e32 v9, 16, v9
	s_delay_alu instid0(VALU_DEP_3) | instskip(SKIP_4) | instid1(VALU_DEP_2)
	v_cmp_lt_u32_e32 vcc_lo, 20, v7
	s_or_b32 s3, vcc_lo, s3
	s_waitcnt vmcnt(0) lgkmcnt(0)
	v_mul_f64 v[10:11], v[20:21], v[16:17]
	v_mul_f64 v[16:17], v[18:19], v[16:17]
	v_fma_f64 v[10:11], v[18:19], v[14:15], -v[10:11]
	s_delay_alu instid0(VALU_DEP_2) | instskip(NEXT) | instid1(VALU_DEP_2)
	v_fma_f64 v[14:15], v[20:21], v[14:15], v[16:17]
	v_add_f64 v[3:4], v[3:4], v[10:11]
	s_delay_alu instid0(VALU_DEP_2)
	v_add_f64 v[1:2], v[1:2], v[14:15]
	s_and_not1_b32 exec_lo, exec_lo, s3
	s_cbranch_execnz .LBB94_101
; %bb.102:
	s_or_b32 exec_lo, exec_lo, s3
	v_mov_b32_e32 v7, 0
	ds_load_b128 v[7:10], v7 offset:352
	s_waitcnt lgkmcnt(0)
	v_mul_f64 v[11:12], v[1:2], v[9:10]
	v_mul_f64 v[14:15], v[3:4], v[9:10]
	s_delay_alu instid0(VALU_DEP_2) | instskip(NEXT) | instid1(VALU_DEP_2)
	v_fma_f64 v[9:10], v[3:4], v[7:8], -v[11:12]
	v_fma_f64 v[11:12], v[1:2], v[7:8], v[14:15]
	scratch_store_b128 off, v[9:12], off offset:352
.LBB94_103:
	s_or_b32 exec_lo, exec_lo, s2
	s_waitcnt_vscnt null, 0x0
	s_barrier
	buffer_gl0_inv
	scratch_load_b128 v[1:4], v134, off
	s_mov_b32 s2, exec_lo
	s_waitcnt vmcnt(0)
	ds_store_b128 v5, v[1:4]
	s_waitcnt lgkmcnt(0)
	s_barrier
	buffer_gl0_inv
	v_cmpx_gt_u32_e32 23, v108
	s_cbranch_execz .LBB94_107
; %bb.104:
	v_dual_mov_b32 v1, 0 :: v_dual_add_nc_u32 v8, 0x1f0, v25
	v_dual_mov_b32 v2, 0 :: v_dual_add_nc_u32 v7, -1, v108
	v_or_b32_e32 v9, 8, v13
	s_mov_b32 s3, 0
	s_delay_alu instid0(VALU_DEP_2)
	v_dual_mov_b32 v4, v2 :: v_dual_mov_b32 v3, v1
	.p2align	6
.LBB94_105:                             ; =>This Inner Loop Header: Depth=1
	scratch_load_b128 v[14:17], v9, off offset:-8
	ds_load_b128 v[18:21], v8
	v_add_nc_u32_e32 v7, 1, v7
	v_add_nc_u32_e32 v8, 16, v8
	;; [unrolled: 1-line block ×3, first 2 shown]
	s_delay_alu instid0(VALU_DEP_3) | instskip(SKIP_4) | instid1(VALU_DEP_2)
	v_cmp_lt_u32_e32 vcc_lo, 21, v7
	s_or_b32 s3, vcc_lo, s3
	s_waitcnt vmcnt(0) lgkmcnt(0)
	v_mul_f64 v[10:11], v[20:21], v[16:17]
	v_mul_f64 v[16:17], v[18:19], v[16:17]
	v_fma_f64 v[10:11], v[18:19], v[14:15], -v[10:11]
	s_delay_alu instid0(VALU_DEP_2) | instskip(NEXT) | instid1(VALU_DEP_2)
	v_fma_f64 v[14:15], v[20:21], v[14:15], v[16:17]
	v_add_f64 v[3:4], v[3:4], v[10:11]
	s_delay_alu instid0(VALU_DEP_2)
	v_add_f64 v[1:2], v[1:2], v[14:15]
	s_and_not1_b32 exec_lo, exec_lo, s3
	s_cbranch_execnz .LBB94_105
; %bb.106:
	s_or_b32 exec_lo, exec_lo, s3
	v_mov_b32_e32 v7, 0
	ds_load_b128 v[7:10], v7 offset:368
	s_waitcnt lgkmcnt(0)
	v_mul_f64 v[11:12], v[1:2], v[9:10]
	v_mul_f64 v[14:15], v[3:4], v[9:10]
	s_delay_alu instid0(VALU_DEP_2) | instskip(NEXT) | instid1(VALU_DEP_2)
	v_fma_f64 v[9:10], v[3:4], v[7:8], -v[11:12]
	v_fma_f64 v[11:12], v[1:2], v[7:8], v[14:15]
	scratch_store_b128 off, v[9:12], off offset:368
.LBB94_107:
	s_or_b32 exec_lo, exec_lo, s2
	s_waitcnt_vscnt null, 0x0
	s_barrier
	buffer_gl0_inv
	scratch_load_b128 v[1:4], v133, off
	s_mov_b32 s2, exec_lo
	s_waitcnt vmcnt(0)
	ds_store_b128 v5, v[1:4]
	s_waitcnt lgkmcnt(0)
	s_barrier
	buffer_gl0_inv
	v_cmpx_gt_u32_e32 24, v108
	s_cbranch_execz .LBB94_111
; %bb.108:
	v_dual_mov_b32 v1, 0 :: v_dual_add_nc_u32 v8, 0x1f0, v25
	v_dual_mov_b32 v2, 0 :: v_dual_add_nc_u32 v7, -1, v108
	v_or_b32_e32 v9, 8, v13
	s_mov_b32 s3, 0
	s_delay_alu instid0(VALU_DEP_2)
	v_dual_mov_b32 v4, v2 :: v_dual_mov_b32 v3, v1
	.p2align	6
.LBB94_109:                             ; =>This Inner Loop Header: Depth=1
	scratch_load_b128 v[14:17], v9, off offset:-8
	ds_load_b128 v[18:21], v8
	v_add_nc_u32_e32 v7, 1, v7
	v_add_nc_u32_e32 v8, 16, v8
	;; [unrolled: 1-line block ×3, first 2 shown]
	s_delay_alu instid0(VALU_DEP_3) | instskip(SKIP_4) | instid1(VALU_DEP_2)
	v_cmp_lt_u32_e32 vcc_lo, 22, v7
	s_or_b32 s3, vcc_lo, s3
	s_waitcnt vmcnt(0) lgkmcnt(0)
	v_mul_f64 v[10:11], v[20:21], v[16:17]
	v_mul_f64 v[16:17], v[18:19], v[16:17]
	v_fma_f64 v[10:11], v[18:19], v[14:15], -v[10:11]
	s_delay_alu instid0(VALU_DEP_2) | instskip(NEXT) | instid1(VALU_DEP_2)
	v_fma_f64 v[14:15], v[20:21], v[14:15], v[16:17]
	v_add_f64 v[3:4], v[3:4], v[10:11]
	s_delay_alu instid0(VALU_DEP_2)
	v_add_f64 v[1:2], v[1:2], v[14:15]
	s_and_not1_b32 exec_lo, exec_lo, s3
	s_cbranch_execnz .LBB94_109
; %bb.110:
	s_or_b32 exec_lo, exec_lo, s3
	v_mov_b32_e32 v7, 0
	ds_load_b128 v[7:10], v7 offset:384
	s_waitcnt lgkmcnt(0)
	v_mul_f64 v[11:12], v[1:2], v[9:10]
	v_mul_f64 v[14:15], v[3:4], v[9:10]
	s_delay_alu instid0(VALU_DEP_2) | instskip(NEXT) | instid1(VALU_DEP_2)
	v_fma_f64 v[9:10], v[3:4], v[7:8], -v[11:12]
	v_fma_f64 v[11:12], v[1:2], v[7:8], v[14:15]
	scratch_store_b128 off, v[9:12], off offset:384
.LBB94_111:
	s_or_b32 exec_lo, exec_lo, s2
	s_waitcnt_vscnt null, 0x0
	s_barrier
	buffer_gl0_inv
	scratch_load_b128 v[1:4], v132, off
	s_mov_b32 s2, exec_lo
	s_waitcnt vmcnt(0)
	ds_store_b128 v5, v[1:4]
	s_waitcnt lgkmcnt(0)
	s_barrier
	buffer_gl0_inv
	v_cmpx_gt_u32_e32 25, v108
	s_cbranch_execz .LBB94_115
; %bb.112:
	v_dual_mov_b32 v1, 0 :: v_dual_add_nc_u32 v8, 0x1f0, v25
	v_dual_mov_b32 v2, 0 :: v_dual_add_nc_u32 v7, -1, v108
	v_or_b32_e32 v9, 8, v13
	s_mov_b32 s3, 0
	s_delay_alu instid0(VALU_DEP_2)
	v_dual_mov_b32 v4, v2 :: v_dual_mov_b32 v3, v1
	.p2align	6
.LBB94_113:                             ; =>This Inner Loop Header: Depth=1
	scratch_load_b128 v[14:17], v9, off offset:-8
	ds_load_b128 v[18:21], v8
	v_add_nc_u32_e32 v7, 1, v7
	v_add_nc_u32_e32 v8, 16, v8
	;; [unrolled: 1-line block ×3, first 2 shown]
	s_delay_alu instid0(VALU_DEP_3) | instskip(SKIP_4) | instid1(VALU_DEP_2)
	v_cmp_lt_u32_e32 vcc_lo, 23, v7
	s_or_b32 s3, vcc_lo, s3
	s_waitcnt vmcnt(0) lgkmcnt(0)
	v_mul_f64 v[10:11], v[20:21], v[16:17]
	v_mul_f64 v[16:17], v[18:19], v[16:17]
	v_fma_f64 v[10:11], v[18:19], v[14:15], -v[10:11]
	s_delay_alu instid0(VALU_DEP_2) | instskip(NEXT) | instid1(VALU_DEP_2)
	v_fma_f64 v[14:15], v[20:21], v[14:15], v[16:17]
	v_add_f64 v[3:4], v[3:4], v[10:11]
	s_delay_alu instid0(VALU_DEP_2)
	v_add_f64 v[1:2], v[1:2], v[14:15]
	s_and_not1_b32 exec_lo, exec_lo, s3
	s_cbranch_execnz .LBB94_113
; %bb.114:
	s_or_b32 exec_lo, exec_lo, s3
	v_mov_b32_e32 v7, 0
	ds_load_b128 v[7:10], v7 offset:400
	s_waitcnt lgkmcnt(0)
	v_mul_f64 v[11:12], v[1:2], v[9:10]
	v_mul_f64 v[14:15], v[3:4], v[9:10]
	s_delay_alu instid0(VALU_DEP_2) | instskip(NEXT) | instid1(VALU_DEP_2)
	v_fma_f64 v[9:10], v[3:4], v[7:8], -v[11:12]
	v_fma_f64 v[11:12], v[1:2], v[7:8], v[14:15]
	scratch_store_b128 off, v[9:12], off offset:400
.LBB94_115:
	s_or_b32 exec_lo, exec_lo, s2
	s_waitcnt_vscnt null, 0x0
	s_barrier
	buffer_gl0_inv
	scratch_load_b128 v[1:4], v131, off
	s_mov_b32 s2, exec_lo
	s_waitcnt vmcnt(0)
	ds_store_b128 v5, v[1:4]
	s_waitcnt lgkmcnt(0)
	s_barrier
	buffer_gl0_inv
	v_cmpx_gt_u32_e32 26, v108
	s_cbranch_execz .LBB94_119
; %bb.116:
	v_dual_mov_b32 v1, 0 :: v_dual_add_nc_u32 v8, 0x1f0, v25
	v_dual_mov_b32 v2, 0 :: v_dual_add_nc_u32 v7, -1, v108
	v_or_b32_e32 v9, 8, v13
	s_mov_b32 s3, 0
	s_delay_alu instid0(VALU_DEP_2)
	v_dual_mov_b32 v4, v2 :: v_dual_mov_b32 v3, v1
	.p2align	6
.LBB94_117:                             ; =>This Inner Loop Header: Depth=1
	scratch_load_b128 v[14:17], v9, off offset:-8
	ds_load_b128 v[18:21], v8
	v_add_nc_u32_e32 v7, 1, v7
	v_add_nc_u32_e32 v8, 16, v8
	v_add_nc_u32_e32 v9, 16, v9
	s_delay_alu instid0(VALU_DEP_3) | instskip(SKIP_4) | instid1(VALU_DEP_2)
	v_cmp_lt_u32_e32 vcc_lo, 24, v7
	s_or_b32 s3, vcc_lo, s3
	s_waitcnt vmcnt(0) lgkmcnt(0)
	v_mul_f64 v[10:11], v[20:21], v[16:17]
	v_mul_f64 v[16:17], v[18:19], v[16:17]
	v_fma_f64 v[10:11], v[18:19], v[14:15], -v[10:11]
	s_delay_alu instid0(VALU_DEP_2) | instskip(NEXT) | instid1(VALU_DEP_2)
	v_fma_f64 v[14:15], v[20:21], v[14:15], v[16:17]
	v_add_f64 v[3:4], v[3:4], v[10:11]
	s_delay_alu instid0(VALU_DEP_2)
	v_add_f64 v[1:2], v[1:2], v[14:15]
	s_and_not1_b32 exec_lo, exec_lo, s3
	s_cbranch_execnz .LBB94_117
; %bb.118:
	s_or_b32 exec_lo, exec_lo, s3
	v_mov_b32_e32 v7, 0
	ds_load_b128 v[7:10], v7 offset:416
	s_waitcnt lgkmcnt(0)
	v_mul_f64 v[11:12], v[1:2], v[9:10]
	v_mul_f64 v[14:15], v[3:4], v[9:10]
	s_delay_alu instid0(VALU_DEP_2) | instskip(NEXT) | instid1(VALU_DEP_2)
	v_fma_f64 v[9:10], v[3:4], v[7:8], -v[11:12]
	v_fma_f64 v[11:12], v[1:2], v[7:8], v[14:15]
	scratch_store_b128 off, v[9:12], off offset:416
.LBB94_119:
	s_or_b32 exec_lo, exec_lo, s2
	s_waitcnt_vscnt null, 0x0
	s_barrier
	buffer_gl0_inv
	scratch_load_b128 v[1:4], v129, off
	s_mov_b32 s2, exec_lo
	s_waitcnt vmcnt(0)
	ds_store_b128 v5, v[1:4]
	s_waitcnt lgkmcnt(0)
	s_barrier
	buffer_gl0_inv
	v_cmpx_gt_u32_e32 27, v108
	s_cbranch_execz .LBB94_123
; %bb.120:
	v_dual_mov_b32 v1, 0 :: v_dual_add_nc_u32 v8, 0x1f0, v25
	v_dual_mov_b32 v2, 0 :: v_dual_add_nc_u32 v7, -1, v108
	v_or_b32_e32 v9, 8, v13
	s_mov_b32 s3, 0
	s_delay_alu instid0(VALU_DEP_2)
	v_dual_mov_b32 v4, v2 :: v_dual_mov_b32 v3, v1
	.p2align	6
.LBB94_121:                             ; =>This Inner Loop Header: Depth=1
	scratch_load_b128 v[14:17], v9, off offset:-8
	ds_load_b128 v[18:21], v8
	v_add_nc_u32_e32 v7, 1, v7
	v_add_nc_u32_e32 v8, 16, v8
	;; [unrolled: 1-line block ×3, first 2 shown]
	s_delay_alu instid0(VALU_DEP_3) | instskip(SKIP_4) | instid1(VALU_DEP_2)
	v_cmp_lt_u32_e32 vcc_lo, 25, v7
	s_or_b32 s3, vcc_lo, s3
	s_waitcnt vmcnt(0) lgkmcnt(0)
	v_mul_f64 v[10:11], v[20:21], v[16:17]
	v_mul_f64 v[16:17], v[18:19], v[16:17]
	v_fma_f64 v[10:11], v[18:19], v[14:15], -v[10:11]
	s_delay_alu instid0(VALU_DEP_2) | instskip(NEXT) | instid1(VALU_DEP_2)
	v_fma_f64 v[14:15], v[20:21], v[14:15], v[16:17]
	v_add_f64 v[3:4], v[3:4], v[10:11]
	s_delay_alu instid0(VALU_DEP_2)
	v_add_f64 v[1:2], v[1:2], v[14:15]
	s_and_not1_b32 exec_lo, exec_lo, s3
	s_cbranch_execnz .LBB94_121
; %bb.122:
	s_or_b32 exec_lo, exec_lo, s3
	v_mov_b32_e32 v7, 0
	ds_load_b128 v[7:10], v7 offset:432
	s_waitcnt lgkmcnt(0)
	v_mul_f64 v[11:12], v[1:2], v[9:10]
	v_mul_f64 v[14:15], v[3:4], v[9:10]
	s_delay_alu instid0(VALU_DEP_2) | instskip(NEXT) | instid1(VALU_DEP_2)
	v_fma_f64 v[9:10], v[3:4], v[7:8], -v[11:12]
	v_fma_f64 v[11:12], v[1:2], v[7:8], v[14:15]
	scratch_store_b128 off, v[9:12], off offset:432
.LBB94_123:
	s_or_b32 exec_lo, exec_lo, s2
	s_waitcnt_vscnt null, 0x0
	s_barrier
	buffer_gl0_inv
	scratch_load_b128 v[1:4], v127, off
	s_mov_b32 s2, exec_lo
	s_waitcnt vmcnt(0)
	ds_store_b128 v5, v[1:4]
	s_waitcnt lgkmcnt(0)
	s_barrier
	buffer_gl0_inv
	v_cmpx_gt_u32_e32 28, v108
	s_cbranch_execz .LBB94_127
; %bb.124:
	v_dual_mov_b32 v1, 0 :: v_dual_add_nc_u32 v8, 0x1f0, v25
	v_dual_mov_b32 v2, 0 :: v_dual_add_nc_u32 v7, -1, v108
	v_or_b32_e32 v9, 8, v13
	s_mov_b32 s3, 0
	s_delay_alu instid0(VALU_DEP_2)
	v_dual_mov_b32 v4, v2 :: v_dual_mov_b32 v3, v1
	.p2align	6
.LBB94_125:                             ; =>This Inner Loop Header: Depth=1
	scratch_load_b128 v[14:17], v9, off offset:-8
	ds_load_b128 v[18:21], v8
	v_add_nc_u32_e32 v7, 1, v7
	v_add_nc_u32_e32 v8, 16, v8
	;; [unrolled: 1-line block ×3, first 2 shown]
	s_delay_alu instid0(VALU_DEP_3) | instskip(SKIP_4) | instid1(VALU_DEP_2)
	v_cmp_lt_u32_e32 vcc_lo, 26, v7
	s_or_b32 s3, vcc_lo, s3
	s_waitcnt vmcnt(0) lgkmcnt(0)
	v_mul_f64 v[10:11], v[20:21], v[16:17]
	v_mul_f64 v[16:17], v[18:19], v[16:17]
	v_fma_f64 v[10:11], v[18:19], v[14:15], -v[10:11]
	s_delay_alu instid0(VALU_DEP_2) | instskip(NEXT) | instid1(VALU_DEP_2)
	v_fma_f64 v[14:15], v[20:21], v[14:15], v[16:17]
	v_add_f64 v[3:4], v[3:4], v[10:11]
	s_delay_alu instid0(VALU_DEP_2)
	v_add_f64 v[1:2], v[1:2], v[14:15]
	s_and_not1_b32 exec_lo, exec_lo, s3
	s_cbranch_execnz .LBB94_125
; %bb.126:
	s_or_b32 exec_lo, exec_lo, s3
	v_mov_b32_e32 v7, 0
	ds_load_b128 v[7:10], v7 offset:448
	s_waitcnt lgkmcnt(0)
	v_mul_f64 v[11:12], v[1:2], v[9:10]
	v_mul_f64 v[14:15], v[3:4], v[9:10]
	s_delay_alu instid0(VALU_DEP_2) | instskip(NEXT) | instid1(VALU_DEP_2)
	v_fma_f64 v[9:10], v[3:4], v[7:8], -v[11:12]
	v_fma_f64 v[11:12], v[1:2], v[7:8], v[14:15]
	scratch_store_b128 off, v[9:12], off offset:448
.LBB94_127:
	s_or_b32 exec_lo, exec_lo, s2
	s_waitcnt_vscnt null, 0x0
	s_barrier
	buffer_gl0_inv
	scratch_load_b128 v[1:4], v124, off
	s_mov_b32 s2, exec_lo
	s_waitcnt vmcnt(0)
	ds_store_b128 v5, v[1:4]
	s_waitcnt lgkmcnt(0)
	s_barrier
	buffer_gl0_inv
	v_cmpx_gt_u32_e32 29, v108
	s_cbranch_execz .LBB94_131
; %bb.128:
	v_dual_mov_b32 v1, 0 :: v_dual_add_nc_u32 v8, 0x1f0, v25
	v_dual_mov_b32 v2, 0 :: v_dual_add_nc_u32 v7, -1, v108
	v_or_b32_e32 v9, 8, v13
	s_mov_b32 s3, 0
	s_delay_alu instid0(VALU_DEP_2)
	v_dual_mov_b32 v4, v2 :: v_dual_mov_b32 v3, v1
	.p2align	6
.LBB94_129:                             ; =>This Inner Loop Header: Depth=1
	scratch_load_b128 v[14:17], v9, off offset:-8
	ds_load_b128 v[18:21], v8
	v_add_nc_u32_e32 v7, 1, v7
	v_add_nc_u32_e32 v8, 16, v8
	;; [unrolled: 1-line block ×3, first 2 shown]
	s_delay_alu instid0(VALU_DEP_3) | instskip(SKIP_4) | instid1(VALU_DEP_2)
	v_cmp_lt_u32_e32 vcc_lo, 27, v7
	s_or_b32 s3, vcc_lo, s3
	s_waitcnt vmcnt(0) lgkmcnt(0)
	v_mul_f64 v[10:11], v[20:21], v[16:17]
	v_mul_f64 v[16:17], v[18:19], v[16:17]
	v_fma_f64 v[10:11], v[18:19], v[14:15], -v[10:11]
	s_delay_alu instid0(VALU_DEP_2) | instskip(NEXT) | instid1(VALU_DEP_2)
	v_fma_f64 v[14:15], v[20:21], v[14:15], v[16:17]
	v_add_f64 v[3:4], v[3:4], v[10:11]
	s_delay_alu instid0(VALU_DEP_2)
	v_add_f64 v[1:2], v[1:2], v[14:15]
	s_and_not1_b32 exec_lo, exec_lo, s3
	s_cbranch_execnz .LBB94_129
; %bb.130:
	s_or_b32 exec_lo, exec_lo, s3
	v_mov_b32_e32 v7, 0
	ds_load_b128 v[7:10], v7 offset:464
	s_waitcnt lgkmcnt(0)
	v_mul_f64 v[11:12], v[1:2], v[9:10]
	v_mul_f64 v[14:15], v[3:4], v[9:10]
	s_delay_alu instid0(VALU_DEP_2) | instskip(NEXT) | instid1(VALU_DEP_2)
	v_fma_f64 v[9:10], v[3:4], v[7:8], -v[11:12]
	v_fma_f64 v[11:12], v[1:2], v[7:8], v[14:15]
	scratch_store_b128 off, v[9:12], off offset:464
.LBB94_131:
	s_or_b32 exec_lo, exec_lo, s2
	s_waitcnt_vscnt null, 0x0
	s_barrier
	buffer_gl0_inv
	scratch_load_b128 v[1:4], v121, off
	s_mov_b32 s2, exec_lo
	s_waitcnt vmcnt(0)
	ds_store_b128 v5, v[1:4]
	s_waitcnt lgkmcnt(0)
	s_barrier
	buffer_gl0_inv
	v_cmpx_ne_u32_e32 30, v108
	s_cbranch_execz .LBB94_135
; %bb.132:
	v_mov_b32_e32 v1, 0
	v_mov_b32_e32 v2, 0
	v_or_b32_e32 v7, 8, v13
	s_mov_b32 s3, 0
	s_delay_alu instid0(VALU_DEP_2)
	v_dual_mov_b32 v4, v2 :: v_dual_mov_b32 v3, v1
	.p2align	6
.LBB94_133:                             ; =>This Inner Loop Header: Depth=1
	scratch_load_b128 v[8:11], v7, off offset:-8
	ds_load_b128 v[12:15], v5
	v_add_nc_u32_e32 v6, 1, v6
	v_add_nc_u32_e32 v5, 16, v5
	;; [unrolled: 1-line block ×3, first 2 shown]
	s_delay_alu instid0(VALU_DEP_3) | instskip(SKIP_4) | instid1(VALU_DEP_2)
	v_cmp_lt_u32_e32 vcc_lo, 28, v6
	s_or_b32 s3, vcc_lo, s3
	s_waitcnt vmcnt(0) lgkmcnt(0)
	v_mul_f64 v[16:17], v[14:15], v[10:11]
	v_mul_f64 v[10:11], v[12:13], v[10:11]
	v_fma_f64 v[12:13], v[12:13], v[8:9], -v[16:17]
	s_delay_alu instid0(VALU_DEP_2) | instskip(NEXT) | instid1(VALU_DEP_2)
	v_fma_f64 v[8:9], v[14:15], v[8:9], v[10:11]
	v_add_f64 v[3:4], v[3:4], v[12:13]
	s_delay_alu instid0(VALU_DEP_2)
	v_add_f64 v[1:2], v[1:2], v[8:9]
	s_and_not1_b32 exec_lo, exec_lo, s3
	s_cbranch_execnz .LBB94_133
; %bb.134:
	s_or_b32 exec_lo, exec_lo, s3
	v_mov_b32_e32 v5, 0
	ds_load_b128 v[5:8], v5 offset:480
	s_waitcnt lgkmcnt(0)
	v_mul_f64 v[9:10], v[1:2], v[7:8]
	v_mul_f64 v[7:8], v[3:4], v[7:8]
	s_delay_alu instid0(VALU_DEP_2) | instskip(NEXT) | instid1(VALU_DEP_2)
	v_fma_f64 v[3:4], v[3:4], v[5:6], -v[9:10]
	v_fma_f64 v[5:6], v[1:2], v[5:6], v[7:8]
	scratch_store_b128 off, v[3:6], off offset:480
.LBB94_135:
	s_or_b32 exec_lo, exec_lo, s2
	s_mov_b32 s3, -1
	s_waitcnt_vscnt null, 0x0
	s_barrier
	buffer_gl0_inv
.LBB94_136:
	s_and_b32 vcc_lo, exec_lo, s3
	s_cbranch_vccz .LBB94_138
; %bb.137:
	s_lshl_b64 s[2:3], s[10:11], 2
	v_mov_b32_e32 v1, 0
	s_add_u32 s2, s6, s2
	s_addc_u32 s3, s7, s3
	global_load_b32 v1, v1, s[2:3]
	s_waitcnt vmcnt(0)
	v_cmp_ne_u32_e32 vcc_lo, 0, v1
	s_cbranch_vccz .LBB94_139
.LBB94_138:
	s_endpgm
.LBB94_139:
	v_lshl_add_u32 v42, v108, 4, 0x1f0
	s_mov_b32 s2, exec_lo
	v_cmpx_eq_u32_e32 30, v108
	s_cbranch_execz .LBB94_141
; %bb.140:
	scratch_load_b128 v[1:4], v124, off
	v_mov_b32_e32 v5, 0
	s_delay_alu instid0(VALU_DEP_1)
	v_mov_b32_e32 v6, v5
	v_mov_b32_e32 v7, v5
	;; [unrolled: 1-line block ×3, first 2 shown]
	scratch_store_b128 off, v[5:8], off offset:464
	s_waitcnt vmcnt(0)
	ds_store_b128 v42, v[1:4]
.LBB94_141:
	s_or_b32 exec_lo, exec_lo, s2
	s_waitcnt lgkmcnt(0)
	s_waitcnt_vscnt null, 0x0
	s_barrier
	buffer_gl0_inv
	s_clause 0x1
	scratch_load_b128 v[2:5], off, off offset:480
	scratch_load_b128 v[6:9], off, off offset:464
	v_mov_b32_e32 v1, 0
	s_mov_b32 s2, exec_lo
	ds_load_b128 v[10:13], v1 offset:976
	s_waitcnt vmcnt(1) lgkmcnt(0)
	v_mul_f64 v[14:15], v[12:13], v[4:5]
	v_mul_f64 v[4:5], v[10:11], v[4:5]
	s_delay_alu instid0(VALU_DEP_2) | instskip(NEXT) | instid1(VALU_DEP_2)
	v_fma_f64 v[10:11], v[10:11], v[2:3], -v[14:15]
	v_fma_f64 v[2:3], v[12:13], v[2:3], v[4:5]
	s_delay_alu instid0(VALU_DEP_2) | instskip(NEXT) | instid1(VALU_DEP_2)
	v_add_f64 v[4:5], v[10:11], 0
	v_add_f64 v[10:11], v[2:3], 0
	s_waitcnt vmcnt(0)
	s_delay_alu instid0(VALU_DEP_2) | instskip(NEXT) | instid1(VALU_DEP_2)
	v_add_f64 v[2:3], v[6:7], -v[4:5]
	v_add_f64 v[4:5], v[8:9], -v[10:11]
	scratch_store_b128 off, v[2:5], off offset:464
	v_cmpx_lt_u32_e32 28, v108
	s_cbranch_execz .LBB94_143
; %bb.142:
	scratch_load_b128 v[5:8], v127, off
	v_mov_b32_e32 v2, v1
	v_mov_b32_e32 v3, v1
	;; [unrolled: 1-line block ×3, first 2 shown]
	scratch_store_b128 off, v[1:4], off offset:448
	s_waitcnt vmcnt(0)
	ds_store_b128 v42, v[5:8]
.LBB94_143:
	s_or_b32 exec_lo, exec_lo, s2
	s_waitcnt lgkmcnt(0)
	s_waitcnt_vscnt null, 0x0
	s_barrier
	buffer_gl0_inv
	s_clause 0x2
	scratch_load_b128 v[2:5], off, off offset:464
	scratch_load_b128 v[6:9], off, off offset:480
	;; [unrolled: 1-line block ×3, first 2 shown]
	ds_load_b128 v[14:17], v1 offset:960
	ds_load_b128 v[18:21], v1 offset:976
	s_mov_b32 s2, exec_lo
	s_waitcnt vmcnt(2) lgkmcnt(1)
	v_mul_f64 v[22:23], v[16:17], v[4:5]
	v_mul_f64 v[4:5], v[14:15], v[4:5]
	s_waitcnt vmcnt(1) lgkmcnt(0)
	v_mul_f64 v[24:25], v[18:19], v[8:9]
	v_mul_f64 v[8:9], v[20:21], v[8:9]
	s_delay_alu instid0(VALU_DEP_4) | instskip(NEXT) | instid1(VALU_DEP_4)
	v_fma_f64 v[14:15], v[14:15], v[2:3], -v[22:23]
	v_fma_f64 v[1:2], v[16:17], v[2:3], v[4:5]
	s_delay_alu instid0(VALU_DEP_4) | instskip(NEXT) | instid1(VALU_DEP_4)
	v_fma_f64 v[3:4], v[20:21], v[6:7], v[24:25]
	v_fma_f64 v[5:6], v[18:19], v[6:7], -v[8:9]
	s_delay_alu instid0(VALU_DEP_4) | instskip(NEXT) | instid1(VALU_DEP_4)
	v_add_f64 v[7:8], v[14:15], 0
	v_add_f64 v[1:2], v[1:2], 0
	s_delay_alu instid0(VALU_DEP_2) | instskip(NEXT) | instid1(VALU_DEP_2)
	v_add_f64 v[5:6], v[7:8], v[5:6]
	v_add_f64 v[3:4], v[1:2], v[3:4]
	s_waitcnt vmcnt(0)
	s_delay_alu instid0(VALU_DEP_2) | instskip(NEXT) | instid1(VALU_DEP_2)
	v_add_f64 v[1:2], v[10:11], -v[5:6]
	v_add_f64 v[3:4], v[12:13], -v[3:4]
	scratch_store_b128 off, v[1:4], off offset:448
	v_cmpx_lt_u32_e32 27, v108
	s_cbranch_execz .LBB94_145
; %bb.144:
	scratch_load_b128 v[1:4], v129, off
	v_mov_b32_e32 v5, 0
	s_delay_alu instid0(VALU_DEP_1)
	v_mov_b32_e32 v6, v5
	v_mov_b32_e32 v7, v5
	;; [unrolled: 1-line block ×3, first 2 shown]
	scratch_store_b128 off, v[5:8], off offset:432
	s_waitcnt vmcnt(0)
	ds_store_b128 v42, v[1:4]
.LBB94_145:
	s_or_b32 exec_lo, exec_lo, s2
	s_waitcnt lgkmcnt(0)
	s_waitcnt_vscnt null, 0x0
	s_barrier
	buffer_gl0_inv
	s_clause 0x3
	scratch_load_b128 v[2:5], off, off offset:448
	scratch_load_b128 v[6:9], off, off offset:464
	;; [unrolled: 1-line block ×4, first 2 shown]
	v_mov_b32_e32 v1, 0
	ds_load_b128 v[18:21], v1 offset:944
	ds_load_b128 v[22:25], v1 offset:960
	s_mov_b32 s2, exec_lo
	s_waitcnt vmcnt(3) lgkmcnt(1)
	v_mul_f64 v[26:27], v[20:21], v[4:5]
	v_mul_f64 v[4:5], v[18:19], v[4:5]
	s_waitcnt vmcnt(2) lgkmcnt(0)
	v_mul_f64 v[28:29], v[22:23], v[8:9]
	v_mul_f64 v[8:9], v[24:25], v[8:9]
	s_delay_alu instid0(VALU_DEP_4) | instskip(NEXT) | instid1(VALU_DEP_4)
	v_fma_f64 v[18:19], v[18:19], v[2:3], -v[26:27]
	v_fma_f64 v[20:21], v[20:21], v[2:3], v[4:5]
	ds_load_b128 v[2:5], v1 offset:976
	v_fma_f64 v[24:25], v[24:25], v[6:7], v[28:29]
	v_fma_f64 v[6:7], v[22:23], v[6:7], -v[8:9]
	s_waitcnt vmcnt(1) lgkmcnt(0)
	v_mul_f64 v[26:27], v[2:3], v[12:13]
	v_mul_f64 v[12:13], v[4:5], v[12:13]
	v_add_f64 v[8:9], v[18:19], 0
	v_add_f64 v[18:19], v[20:21], 0
	s_delay_alu instid0(VALU_DEP_4) | instskip(NEXT) | instid1(VALU_DEP_4)
	v_fma_f64 v[4:5], v[4:5], v[10:11], v[26:27]
	v_fma_f64 v[2:3], v[2:3], v[10:11], -v[12:13]
	s_delay_alu instid0(VALU_DEP_4) | instskip(NEXT) | instid1(VALU_DEP_4)
	v_add_f64 v[6:7], v[8:9], v[6:7]
	v_add_f64 v[8:9], v[18:19], v[24:25]
	s_delay_alu instid0(VALU_DEP_2) | instskip(NEXT) | instid1(VALU_DEP_2)
	v_add_f64 v[2:3], v[6:7], v[2:3]
	v_add_f64 v[4:5], v[8:9], v[4:5]
	s_waitcnt vmcnt(0)
	s_delay_alu instid0(VALU_DEP_2) | instskip(NEXT) | instid1(VALU_DEP_2)
	v_add_f64 v[2:3], v[14:15], -v[2:3]
	v_add_f64 v[4:5], v[16:17], -v[4:5]
	scratch_store_b128 off, v[2:5], off offset:432
	v_cmpx_lt_u32_e32 26, v108
	s_cbranch_execz .LBB94_147
; %bb.146:
	scratch_load_b128 v[5:8], v131, off
	v_mov_b32_e32 v2, v1
	v_mov_b32_e32 v3, v1
	;; [unrolled: 1-line block ×3, first 2 shown]
	scratch_store_b128 off, v[1:4], off offset:416
	s_waitcnt vmcnt(0)
	ds_store_b128 v42, v[5:8]
.LBB94_147:
	s_or_b32 exec_lo, exec_lo, s2
	s_waitcnt lgkmcnt(0)
	s_waitcnt_vscnt null, 0x0
	s_barrier
	buffer_gl0_inv
	s_clause 0x4
	scratch_load_b128 v[2:5], off, off offset:432
	scratch_load_b128 v[6:9], off, off offset:448
	;; [unrolled: 1-line block ×5, first 2 shown]
	ds_load_b128 v[22:25], v1 offset:928
	ds_load_b128 v[26:29], v1 offset:944
	s_mov_b32 s2, exec_lo
	s_waitcnt vmcnt(4) lgkmcnt(1)
	v_mul_f64 v[30:31], v[24:25], v[4:5]
	v_mul_f64 v[4:5], v[22:23], v[4:5]
	s_waitcnt vmcnt(3) lgkmcnt(0)
	v_mul_f64 v[32:33], v[26:27], v[8:9]
	v_mul_f64 v[8:9], v[28:29], v[8:9]
	s_delay_alu instid0(VALU_DEP_4) | instskip(NEXT) | instid1(VALU_DEP_4)
	v_fma_f64 v[30:31], v[22:23], v[2:3], -v[30:31]
	v_fma_f64 v[34:35], v[24:25], v[2:3], v[4:5]
	ds_load_b128 v[2:5], v1 offset:960
	ds_load_b128 v[22:25], v1 offset:976
	v_fma_f64 v[28:29], v[28:29], v[6:7], v[32:33]
	v_fma_f64 v[6:7], v[26:27], v[6:7], -v[8:9]
	s_waitcnt vmcnt(2) lgkmcnt(1)
	v_mul_f64 v[36:37], v[2:3], v[12:13]
	v_mul_f64 v[12:13], v[4:5], v[12:13]
	v_add_f64 v[8:9], v[30:31], 0
	v_add_f64 v[26:27], v[34:35], 0
	s_waitcnt vmcnt(1) lgkmcnt(0)
	v_mul_f64 v[30:31], v[22:23], v[16:17]
	v_mul_f64 v[16:17], v[24:25], v[16:17]
	v_fma_f64 v[4:5], v[4:5], v[10:11], v[36:37]
	v_fma_f64 v[1:2], v[2:3], v[10:11], -v[12:13]
	v_add_f64 v[6:7], v[8:9], v[6:7]
	v_add_f64 v[8:9], v[26:27], v[28:29]
	v_fma_f64 v[10:11], v[24:25], v[14:15], v[30:31]
	v_fma_f64 v[12:13], v[22:23], v[14:15], -v[16:17]
	s_delay_alu instid0(VALU_DEP_4) | instskip(NEXT) | instid1(VALU_DEP_4)
	v_add_f64 v[1:2], v[6:7], v[1:2]
	v_add_f64 v[3:4], v[8:9], v[4:5]
	s_delay_alu instid0(VALU_DEP_2) | instskip(NEXT) | instid1(VALU_DEP_2)
	v_add_f64 v[1:2], v[1:2], v[12:13]
	v_add_f64 v[3:4], v[3:4], v[10:11]
	s_waitcnt vmcnt(0)
	s_delay_alu instid0(VALU_DEP_2) | instskip(NEXT) | instid1(VALU_DEP_2)
	v_add_f64 v[1:2], v[18:19], -v[1:2]
	v_add_f64 v[3:4], v[20:21], -v[3:4]
	scratch_store_b128 off, v[1:4], off offset:416
	v_cmpx_lt_u32_e32 25, v108
	s_cbranch_execz .LBB94_149
; %bb.148:
	scratch_load_b128 v[1:4], v132, off
	v_mov_b32_e32 v5, 0
	s_delay_alu instid0(VALU_DEP_1)
	v_mov_b32_e32 v6, v5
	v_mov_b32_e32 v7, v5
	;; [unrolled: 1-line block ×3, first 2 shown]
	scratch_store_b128 off, v[5:8], off offset:400
	s_waitcnt vmcnt(0)
	ds_store_b128 v42, v[1:4]
.LBB94_149:
	s_or_b32 exec_lo, exec_lo, s2
	s_waitcnt lgkmcnt(0)
	s_waitcnt_vscnt null, 0x0
	s_barrier
	buffer_gl0_inv
	s_clause 0x5
	scratch_load_b128 v[2:5], off, off offset:416
	scratch_load_b128 v[6:9], off, off offset:432
	;; [unrolled: 1-line block ×6, first 2 shown]
	v_mov_b32_e32 v1, 0
	ds_load_b128 v[26:29], v1 offset:912
	ds_load_b128 v[30:33], v1 offset:928
	s_mov_b32 s2, exec_lo
	s_waitcnt vmcnt(5) lgkmcnt(1)
	v_mul_f64 v[34:35], v[28:29], v[4:5]
	v_mul_f64 v[4:5], v[26:27], v[4:5]
	s_waitcnt vmcnt(4) lgkmcnt(0)
	v_mul_f64 v[36:37], v[30:31], v[8:9]
	v_mul_f64 v[8:9], v[32:33], v[8:9]
	s_delay_alu instid0(VALU_DEP_4) | instskip(NEXT) | instid1(VALU_DEP_4)
	v_fma_f64 v[34:35], v[26:27], v[2:3], -v[34:35]
	v_fma_f64 v[38:39], v[28:29], v[2:3], v[4:5]
	ds_load_b128 v[2:5], v1 offset:944
	ds_load_b128 v[26:29], v1 offset:960
	v_fma_f64 v[32:33], v[32:33], v[6:7], v[36:37]
	v_fma_f64 v[6:7], v[30:31], v[6:7], -v[8:9]
	s_waitcnt vmcnt(3) lgkmcnt(1)
	v_mul_f64 v[40:41], v[2:3], v[12:13]
	v_mul_f64 v[12:13], v[4:5], v[12:13]
	v_add_f64 v[8:9], v[34:35], 0
	v_add_f64 v[30:31], v[38:39], 0
	s_waitcnt vmcnt(2) lgkmcnt(0)
	v_mul_f64 v[34:35], v[26:27], v[16:17]
	v_mul_f64 v[16:17], v[28:29], v[16:17]
	v_fma_f64 v[36:37], v[4:5], v[10:11], v[40:41]
	v_fma_f64 v[10:11], v[2:3], v[10:11], -v[12:13]
	ds_load_b128 v[2:5], v1 offset:976
	v_add_f64 v[6:7], v[8:9], v[6:7]
	v_add_f64 v[8:9], v[30:31], v[32:33]
	v_fma_f64 v[28:29], v[28:29], v[14:15], v[34:35]
	v_fma_f64 v[14:15], v[26:27], v[14:15], -v[16:17]
	s_waitcnt vmcnt(1) lgkmcnt(0)
	v_mul_f64 v[12:13], v[2:3], v[20:21]
	v_mul_f64 v[20:21], v[4:5], v[20:21]
	v_add_f64 v[6:7], v[6:7], v[10:11]
	v_add_f64 v[8:9], v[8:9], v[36:37]
	s_delay_alu instid0(VALU_DEP_4) | instskip(NEXT) | instid1(VALU_DEP_4)
	v_fma_f64 v[4:5], v[4:5], v[18:19], v[12:13]
	v_fma_f64 v[2:3], v[2:3], v[18:19], -v[20:21]
	s_delay_alu instid0(VALU_DEP_4) | instskip(NEXT) | instid1(VALU_DEP_4)
	v_add_f64 v[6:7], v[6:7], v[14:15]
	v_add_f64 v[8:9], v[8:9], v[28:29]
	s_delay_alu instid0(VALU_DEP_2) | instskip(NEXT) | instid1(VALU_DEP_2)
	v_add_f64 v[2:3], v[6:7], v[2:3]
	v_add_f64 v[4:5], v[8:9], v[4:5]
	s_waitcnt vmcnt(0)
	s_delay_alu instid0(VALU_DEP_2) | instskip(NEXT) | instid1(VALU_DEP_2)
	v_add_f64 v[2:3], v[22:23], -v[2:3]
	v_add_f64 v[4:5], v[24:25], -v[4:5]
	scratch_store_b128 off, v[2:5], off offset:400
	v_cmpx_lt_u32_e32 24, v108
	s_cbranch_execz .LBB94_151
; %bb.150:
	scratch_load_b128 v[5:8], v133, off
	v_mov_b32_e32 v2, v1
	v_mov_b32_e32 v3, v1
	;; [unrolled: 1-line block ×3, first 2 shown]
	scratch_store_b128 off, v[1:4], off offset:384
	s_waitcnt vmcnt(0)
	ds_store_b128 v42, v[5:8]
.LBB94_151:
	s_or_b32 exec_lo, exec_lo, s2
	s_waitcnt lgkmcnt(0)
	s_waitcnt_vscnt null, 0x0
	s_barrier
	buffer_gl0_inv
	s_clause 0x5
	scratch_load_b128 v[2:5], off, off offset:400
	scratch_load_b128 v[6:9], off, off offset:416
	;; [unrolled: 1-line block ×6, first 2 shown]
	ds_load_b128 v[26:29], v1 offset:896
	ds_load_b128 v[34:37], v1 offset:912
	scratch_load_b128 v[30:33], off, off offset:384
	s_mov_b32 s2, exec_lo
	s_waitcnt vmcnt(6) lgkmcnt(1)
	v_mul_f64 v[38:39], v[28:29], v[4:5]
	v_mul_f64 v[4:5], v[26:27], v[4:5]
	s_waitcnt vmcnt(5) lgkmcnt(0)
	v_mul_f64 v[40:41], v[34:35], v[8:9]
	v_mul_f64 v[8:9], v[36:37], v[8:9]
	s_delay_alu instid0(VALU_DEP_4) | instskip(NEXT) | instid1(VALU_DEP_4)
	v_fma_f64 v[38:39], v[26:27], v[2:3], -v[38:39]
	v_fma_f64 v[43:44], v[28:29], v[2:3], v[4:5]
	ds_load_b128 v[2:5], v1 offset:928
	ds_load_b128 v[26:29], v1 offset:944
	v_fma_f64 v[36:37], v[36:37], v[6:7], v[40:41]
	v_fma_f64 v[6:7], v[34:35], v[6:7], -v[8:9]
	s_waitcnt vmcnt(4) lgkmcnt(1)
	v_mul_f64 v[139:140], v[2:3], v[12:13]
	v_mul_f64 v[12:13], v[4:5], v[12:13]
	v_add_f64 v[8:9], v[38:39], 0
	v_add_f64 v[34:35], v[43:44], 0
	s_waitcnt vmcnt(3) lgkmcnt(0)
	v_mul_f64 v[38:39], v[26:27], v[16:17]
	v_mul_f64 v[16:17], v[28:29], v[16:17]
	v_fma_f64 v[40:41], v[4:5], v[10:11], v[139:140]
	v_fma_f64 v[10:11], v[2:3], v[10:11], -v[12:13]
	v_add_f64 v[12:13], v[8:9], v[6:7]
	v_add_f64 v[34:35], v[34:35], v[36:37]
	ds_load_b128 v[2:5], v1 offset:960
	ds_load_b128 v[6:9], v1 offset:976
	v_fma_f64 v[28:29], v[28:29], v[14:15], v[38:39]
	v_fma_f64 v[14:15], v[26:27], v[14:15], -v[16:17]
	s_waitcnt vmcnt(2) lgkmcnt(1)
	v_mul_f64 v[36:37], v[2:3], v[20:21]
	v_mul_f64 v[20:21], v[4:5], v[20:21]
	s_waitcnt vmcnt(1) lgkmcnt(0)
	v_mul_f64 v[16:17], v[6:7], v[24:25]
	v_mul_f64 v[24:25], v[8:9], v[24:25]
	v_add_f64 v[10:11], v[12:13], v[10:11]
	v_add_f64 v[12:13], v[34:35], v[40:41]
	v_fma_f64 v[4:5], v[4:5], v[18:19], v[36:37]
	v_fma_f64 v[1:2], v[2:3], v[18:19], -v[20:21]
	v_fma_f64 v[8:9], v[8:9], v[22:23], v[16:17]
	v_fma_f64 v[6:7], v[6:7], v[22:23], -v[24:25]
	v_add_f64 v[10:11], v[10:11], v[14:15]
	v_add_f64 v[12:13], v[12:13], v[28:29]
	s_delay_alu instid0(VALU_DEP_2) | instskip(NEXT) | instid1(VALU_DEP_2)
	v_add_f64 v[1:2], v[10:11], v[1:2]
	v_add_f64 v[3:4], v[12:13], v[4:5]
	s_delay_alu instid0(VALU_DEP_2) | instskip(NEXT) | instid1(VALU_DEP_2)
	v_add_f64 v[1:2], v[1:2], v[6:7]
	v_add_f64 v[3:4], v[3:4], v[8:9]
	s_waitcnt vmcnt(0)
	s_delay_alu instid0(VALU_DEP_2) | instskip(NEXT) | instid1(VALU_DEP_2)
	v_add_f64 v[1:2], v[30:31], -v[1:2]
	v_add_f64 v[3:4], v[32:33], -v[3:4]
	scratch_store_b128 off, v[1:4], off offset:384
	v_cmpx_lt_u32_e32 23, v108
	s_cbranch_execz .LBB94_153
; %bb.152:
	scratch_load_b128 v[1:4], v134, off
	v_mov_b32_e32 v5, 0
	s_delay_alu instid0(VALU_DEP_1)
	v_mov_b32_e32 v6, v5
	v_mov_b32_e32 v7, v5
	;; [unrolled: 1-line block ×3, first 2 shown]
	scratch_store_b128 off, v[5:8], off offset:368
	s_waitcnt vmcnt(0)
	ds_store_b128 v42, v[1:4]
.LBB94_153:
	s_or_b32 exec_lo, exec_lo, s2
	s_waitcnt lgkmcnt(0)
	s_waitcnt_vscnt null, 0x0
	s_barrier
	buffer_gl0_inv
	s_clause 0x6
	scratch_load_b128 v[2:5], off, off offset:384
	scratch_load_b128 v[6:9], off, off offset:400
	;; [unrolled: 1-line block ×7, first 2 shown]
	v_mov_b32_e32 v1, 0
	scratch_load_b128 v[38:41], off, off offset:368
	s_mov_b32 s2, exec_lo
	ds_load_b128 v[30:33], v1 offset:880
	ds_load_b128 v[34:37], v1 offset:896
	s_waitcnt vmcnt(7) lgkmcnt(1)
	v_mul_f64 v[43:44], v[32:33], v[4:5]
	v_mul_f64 v[4:5], v[30:31], v[4:5]
	s_waitcnt vmcnt(6) lgkmcnt(0)
	v_mul_f64 v[139:140], v[34:35], v[8:9]
	v_mul_f64 v[8:9], v[36:37], v[8:9]
	s_delay_alu instid0(VALU_DEP_4) | instskip(NEXT) | instid1(VALU_DEP_4)
	v_fma_f64 v[30:31], v[30:31], v[2:3], -v[43:44]
	v_fma_f64 v[32:33], v[32:33], v[2:3], v[4:5]
	ds_load_b128 v[2:5], v1 offset:912
	v_fma_f64 v[36:37], v[36:37], v[6:7], v[139:140]
	v_fma_f64 v[34:35], v[34:35], v[6:7], -v[8:9]
	ds_load_b128 v[6:9], v1 offset:928
	s_waitcnt vmcnt(5) lgkmcnt(1)
	v_mul_f64 v[43:44], v[2:3], v[12:13]
	v_mul_f64 v[12:13], v[4:5], v[12:13]
	s_waitcnt vmcnt(4) lgkmcnt(0)
	v_mul_f64 v[139:140], v[6:7], v[16:17]
	v_mul_f64 v[16:17], v[8:9], v[16:17]
	v_add_f64 v[30:31], v[30:31], 0
	v_add_f64 v[32:33], v[32:33], 0
	v_fma_f64 v[43:44], v[4:5], v[10:11], v[43:44]
	v_fma_f64 v[10:11], v[2:3], v[10:11], -v[12:13]
	ds_load_b128 v[2:5], v1 offset:944
	v_add_f64 v[12:13], v[30:31], v[34:35]
	v_add_f64 v[30:31], v[32:33], v[36:37]
	v_fma_f64 v[34:35], v[8:9], v[14:15], v[139:140]
	v_fma_f64 v[14:15], v[6:7], v[14:15], -v[16:17]
	ds_load_b128 v[6:9], v1 offset:960
	s_waitcnt vmcnt(3) lgkmcnt(1)
	v_mul_f64 v[32:33], v[2:3], v[20:21]
	v_mul_f64 v[20:21], v[4:5], v[20:21]
	s_waitcnt vmcnt(2) lgkmcnt(0)
	v_mul_f64 v[16:17], v[6:7], v[24:25]
	v_mul_f64 v[24:25], v[8:9], v[24:25]
	v_add_f64 v[10:11], v[12:13], v[10:11]
	v_add_f64 v[12:13], v[30:31], v[43:44]
	v_fma_f64 v[30:31], v[4:5], v[18:19], v[32:33]
	v_fma_f64 v[18:19], v[2:3], v[18:19], -v[20:21]
	ds_load_b128 v[2:5], v1 offset:976
	v_fma_f64 v[8:9], v[8:9], v[22:23], v[16:17]
	v_fma_f64 v[6:7], v[6:7], v[22:23], -v[24:25]
	s_waitcnt vmcnt(1) lgkmcnt(0)
	v_mul_f64 v[20:21], v[4:5], v[28:29]
	v_add_f64 v[10:11], v[10:11], v[14:15]
	v_add_f64 v[12:13], v[12:13], v[34:35]
	v_mul_f64 v[14:15], v[2:3], v[28:29]
	s_delay_alu instid0(VALU_DEP_4) | instskip(NEXT) | instid1(VALU_DEP_4)
	v_fma_f64 v[2:3], v[2:3], v[26:27], -v[20:21]
	v_add_f64 v[10:11], v[10:11], v[18:19]
	s_delay_alu instid0(VALU_DEP_4) | instskip(NEXT) | instid1(VALU_DEP_4)
	v_add_f64 v[12:13], v[12:13], v[30:31]
	v_fma_f64 v[4:5], v[4:5], v[26:27], v[14:15]
	s_delay_alu instid0(VALU_DEP_3) | instskip(NEXT) | instid1(VALU_DEP_3)
	v_add_f64 v[6:7], v[10:11], v[6:7]
	v_add_f64 v[8:9], v[12:13], v[8:9]
	s_delay_alu instid0(VALU_DEP_2) | instskip(NEXT) | instid1(VALU_DEP_2)
	v_add_f64 v[2:3], v[6:7], v[2:3]
	v_add_f64 v[4:5], v[8:9], v[4:5]
	s_waitcnt vmcnt(0)
	s_delay_alu instid0(VALU_DEP_2) | instskip(NEXT) | instid1(VALU_DEP_2)
	v_add_f64 v[2:3], v[38:39], -v[2:3]
	v_add_f64 v[4:5], v[40:41], -v[4:5]
	scratch_store_b128 off, v[2:5], off offset:368
	v_cmpx_lt_u32_e32 22, v108
	s_cbranch_execz .LBB94_155
; %bb.154:
	scratch_load_b128 v[5:8], v135, off
	v_mov_b32_e32 v2, v1
	v_mov_b32_e32 v3, v1
	;; [unrolled: 1-line block ×3, first 2 shown]
	scratch_store_b128 off, v[1:4], off offset:352
	s_waitcnt vmcnt(0)
	ds_store_b128 v42, v[5:8]
.LBB94_155:
	s_or_b32 exec_lo, exec_lo, s2
	s_waitcnt lgkmcnt(0)
	s_waitcnt_vscnt null, 0x0
	s_barrier
	buffer_gl0_inv
	s_clause 0x7
	scratch_load_b128 v[2:5], off, off offset:368
	scratch_load_b128 v[6:9], off, off offset:384
	;; [unrolled: 1-line block ×8, first 2 shown]
	ds_load_b128 v[34:37], v1 offset:864
	ds_load_b128 v[38:41], v1 offset:880
	s_mov_b32 s2, exec_lo
	s_waitcnt vmcnt(7) lgkmcnt(1)
	v_mul_f64 v[43:44], v[36:37], v[4:5]
	v_mul_f64 v[4:5], v[34:35], v[4:5]
	s_waitcnt vmcnt(6) lgkmcnt(0)
	v_mul_f64 v[139:140], v[38:39], v[8:9]
	v_mul_f64 v[8:9], v[40:41], v[8:9]
	s_delay_alu instid0(VALU_DEP_4) | instskip(NEXT) | instid1(VALU_DEP_4)
	v_fma_f64 v[43:44], v[34:35], v[2:3], -v[43:44]
	v_fma_f64 v[141:142], v[36:37], v[2:3], v[4:5]
	ds_load_b128 v[2:5], v1 offset:896
	scratch_load_b128 v[34:37], off, off offset:352
	v_fma_f64 v[40:41], v[40:41], v[6:7], v[139:140]
	v_fma_f64 v[38:39], v[38:39], v[6:7], -v[8:9]
	ds_load_b128 v[6:9], v1 offset:912
	s_waitcnt vmcnt(6) lgkmcnt(1)
	v_mul_f64 v[143:144], v[2:3], v[12:13]
	v_mul_f64 v[12:13], v[4:5], v[12:13]
	v_add_f64 v[43:44], v[43:44], 0
	v_add_f64 v[139:140], v[141:142], 0
	s_waitcnt vmcnt(5) lgkmcnt(0)
	v_mul_f64 v[141:142], v[6:7], v[16:17]
	v_mul_f64 v[16:17], v[8:9], v[16:17]
	v_fma_f64 v[143:144], v[4:5], v[10:11], v[143:144]
	v_fma_f64 v[10:11], v[2:3], v[10:11], -v[12:13]
	ds_load_b128 v[2:5], v1 offset:928
	v_add_f64 v[12:13], v[43:44], v[38:39]
	v_add_f64 v[38:39], v[139:140], v[40:41]
	v_fma_f64 v[43:44], v[8:9], v[14:15], v[141:142]
	v_fma_f64 v[14:15], v[6:7], v[14:15], -v[16:17]
	ds_load_b128 v[6:9], v1 offset:944
	s_waitcnt vmcnt(4) lgkmcnt(1)
	v_mul_f64 v[40:41], v[2:3], v[20:21]
	v_mul_f64 v[20:21], v[4:5], v[20:21]
	s_waitcnt vmcnt(3) lgkmcnt(0)
	v_mul_f64 v[16:17], v[6:7], v[24:25]
	v_mul_f64 v[24:25], v[8:9], v[24:25]
	v_add_f64 v[10:11], v[12:13], v[10:11]
	v_add_f64 v[12:13], v[38:39], v[143:144]
	v_fma_f64 v[38:39], v[4:5], v[18:19], v[40:41]
	v_fma_f64 v[18:19], v[2:3], v[18:19], -v[20:21]
	ds_load_b128 v[2:5], v1 offset:960
	v_fma_f64 v[16:17], v[8:9], v[22:23], v[16:17]
	v_fma_f64 v[22:23], v[6:7], v[22:23], -v[24:25]
	ds_load_b128 v[6:9], v1 offset:976
	s_waitcnt vmcnt(2) lgkmcnt(1)
	v_mul_f64 v[20:21], v[4:5], v[28:29]
	v_add_f64 v[10:11], v[10:11], v[14:15]
	v_add_f64 v[12:13], v[12:13], v[43:44]
	v_mul_f64 v[14:15], v[2:3], v[28:29]
	s_waitcnt vmcnt(1) lgkmcnt(0)
	v_mul_f64 v[24:25], v[8:9], v[32:33]
	v_fma_f64 v[1:2], v[2:3], v[26:27], -v[20:21]
	v_add_f64 v[10:11], v[10:11], v[18:19]
	v_add_f64 v[12:13], v[12:13], v[38:39]
	v_mul_f64 v[18:19], v[6:7], v[32:33]
	v_fma_f64 v[4:5], v[4:5], v[26:27], v[14:15]
	v_fma_f64 v[6:7], v[6:7], v[30:31], -v[24:25]
	v_add_f64 v[10:11], v[10:11], v[22:23]
	v_add_f64 v[12:13], v[12:13], v[16:17]
	v_fma_f64 v[8:9], v[8:9], v[30:31], v[18:19]
	s_delay_alu instid0(VALU_DEP_3) | instskip(NEXT) | instid1(VALU_DEP_3)
	v_add_f64 v[1:2], v[10:11], v[1:2]
	v_add_f64 v[3:4], v[12:13], v[4:5]
	s_delay_alu instid0(VALU_DEP_2) | instskip(NEXT) | instid1(VALU_DEP_2)
	v_add_f64 v[1:2], v[1:2], v[6:7]
	v_add_f64 v[3:4], v[3:4], v[8:9]
	s_waitcnt vmcnt(0)
	s_delay_alu instid0(VALU_DEP_2) | instskip(NEXT) | instid1(VALU_DEP_2)
	v_add_f64 v[1:2], v[34:35], -v[1:2]
	v_add_f64 v[3:4], v[36:37], -v[3:4]
	scratch_store_b128 off, v[1:4], off offset:352
	v_cmpx_lt_u32_e32 21, v108
	s_cbranch_execz .LBB94_157
; %bb.156:
	scratch_load_b128 v[1:4], v136, off
	v_mov_b32_e32 v5, 0
	s_delay_alu instid0(VALU_DEP_1)
	v_mov_b32_e32 v6, v5
	v_mov_b32_e32 v7, v5
	;; [unrolled: 1-line block ×3, first 2 shown]
	scratch_store_b128 off, v[5:8], off offset:336
	s_waitcnt vmcnt(0)
	ds_store_b128 v42, v[1:4]
.LBB94_157:
	s_or_b32 exec_lo, exec_lo, s2
	s_waitcnt lgkmcnt(0)
	s_waitcnt_vscnt null, 0x0
	s_barrier
	buffer_gl0_inv
	s_clause 0x7
	scratch_load_b128 v[2:5], off, off offset:352
	scratch_load_b128 v[6:9], off, off offset:368
	;; [unrolled: 1-line block ×8, first 2 shown]
	v_mov_b32_e32 v1, 0
	s_mov_b32 s2, exec_lo
	ds_load_b128 v[34:37], v1 offset:848
	s_clause 0x1
	scratch_load_b128 v[38:41], off, off offset:480
	scratch_load_b128 v[139:142], off, off offset:336
	ds_load_b128 v[143:146], v1 offset:864
	s_waitcnt vmcnt(9) lgkmcnt(1)
	v_mul_f64 v[43:44], v[36:37], v[4:5]
	v_mul_f64 v[4:5], v[34:35], v[4:5]
	s_waitcnt vmcnt(8) lgkmcnt(0)
	v_mul_f64 v[147:148], v[143:144], v[8:9]
	v_mul_f64 v[8:9], v[145:146], v[8:9]
	s_delay_alu instid0(VALU_DEP_4) | instskip(NEXT) | instid1(VALU_DEP_4)
	v_fma_f64 v[43:44], v[34:35], v[2:3], -v[43:44]
	v_fma_f64 v[149:150], v[36:37], v[2:3], v[4:5]
	ds_load_b128 v[2:5], v1 offset:880
	ds_load_b128 v[34:37], v1 offset:896
	v_fma_f64 v[145:146], v[145:146], v[6:7], v[147:148]
	v_fma_f64 v[6:7], v[143:144], v[6:7], -v[8:9]
	s_waitcnt vmcnt(7) lgkmcnt(1)
	v_mul_f64 v[151:152], v[2:3], v[12:13]
	v_mul_f64 v[12:13], v[4:5], v[12:13]
	s_waitcnt vmcnt(6) lgkmcnt(0)
	v_mul_f64 v[143:144], v[34:35], v[16:17]
	v_mul_f64 v[16:17], v[36:37], v[16:17]
	v_add_f64 v[8:9], v[43:44], 0
	v_add_f64 v[43:44], v[149:150], 0
	v_fma_f64 v[147:148], v[4:5], v[10:11], v[151:152]
	v_fma_f64 v[10:11], v[2:3], v[10:11], -v[12:13]
	v_fma_f64 v[36:37], v[36:37], v[14:15], v[143:144]
	v_fma_f64 v[14:15], v[34:35], v[14:15], -v[16:17]
	v_add_f64 v[12:13], v[8:9], v[6:7]
	v_add_f64 v[43:44], v[43:44], v[145:146]
	ds_load_b128 v[2:5], v1 offset:912
	ds_load_b128 v[6:9], v1 offset:928
	s_waitcnt vmcnt(5) lgkmcnt(1)
	v_mul_f64 v[145:146], v[2:3], v[20:21]
	v_mul_f64 v[20:21], v[4:5], v[20:21]
	s_waitcnt vmcnt(4) lgkmcnt(0)
	v_mul_f64 v[16:17], v[6:7], v[24:25]
	v_mul_f64 v[24:25], v[8:9], v[24:25]
	v_add_f64 v[10:11], v[12:13], v[10:11]
	v_add_f64 v[12:13], v[43:44], v[147:148]
	v_fma_f64 v[34:35], v[4:5], v[18:19], v[145:146]
	v_fma_f64 v[18:19], v[2:3], v[18:19], -v[20:21]
	v_fma_f64 v[8:9], v[8:9], v[22:23], v[16:17]
	v_fma_f64 v[6:7], v[6:7], v[22:23], -v[24:25]
	v_add_f64 v[14:15], v[10:11], v[14:15]
	v_add_f64 v[20:21], v[12:13], v[36:37]
	ds_load_b128 v[2:5], v1 offset:944
	ds_load_b128 v[10:13], v1 offset:960
	s_waitcnt vmcnt(3) lgkmcnt(1)
	v_mul_f64 v[36:37], v[2:3], v[28:29]
	v_mul_f64 v[28:29], v[4:5], v[28:29]
	v_add_f64 v[14:15], v[14:15], v[18:19]
	v_add_f64 v[16:17], v[20:21], v[34:35]
	s_waitcnt vmcnt(2) lgkmcnt(0)
	v_mul_f64 v[18:19], v[10:11], v[32:33]
	v_mul_f64 v[20:21], v[12:13], v[32:33]
	v_fma_f64 v[22:23], v[4:5], v[26:27], v[36:37]
	v_fma_f64 v[24:25], v[2:3], v[26:27], -v[28:29]
	ds_load_b128 v[2:5], v1 offset:976
	v_add_f64 v[6:7], v[14:15], v[6:7]
	v_add_f64 v[8:9], v[16:17], v[8:9]
	v_fma_f64 v[12:13], v[12:13], v[30:31], v[18:19]
	v_fma_f64 v[10:11], v[10:11], v[30:31], -v[20:21]
	s_waitcnt vmcnt(1) lgkmcnt(0)
	v_mul_f64 v[14:15], v[2:3], v[40:41]
	v_mul_f64 v[16:17], v[4:5], v[40:41]
	v_add_f64 v[6:7], v[6:7], v[24:25]
	v_add_f64 v[8:9], v[8:9], v[22:23]
	s_delay_alu instid0(VALU_DEP_4) | instskip(NEXT) | instid1(VALU_DEP_4)
	v_fma_f64 v[4:5], v[4:5], v[38:39], v[14:15]
	v_fma_f64 v[2:3], v[2:3], v[38:39], -v[16:17]
	s_delay_alu instid0(VALU_DEP_4) | instskip(NEXT) | instid1(VALU_DEP_4)
	v_add_f64 v[6:7], v[6:7], v[10:11]
	v_add_f64 v[8:9], v[8:9], v[12:13]
	s_delay_alu instid0(VALU_DEP_2) | instskip(NEXT) | instid1(VALU_DEP_2)
	v_add_f64 v[2:3], v[6:7], v[2:3]
	v_add_f64 v[4:5], v[8:9], v[4:5]
	s_waitcnt vmcnt(0)
	s_delay_alu instid0(VALU_DEP_2) | instskip(NEXT) | instid1(VALU_DEP_2)
	v_add_f64 v[2:3], v[139:140], -v[2:3]
	v_add_f64 v[4:5], v[141:142], -v[4:5]
	scratch_store_b128 off, v[2:5], off offset:336
	v_cmpx_lt_u32_e32 20, v108
	s_cbranch_execz .LBB94_159
; %bb.158:
	scratch_load_b128 v[5:8], v137, off
	v_mov_b32_e32 v2, v1
	v_mov_b32_e32 v3, v1
	;; [unrolled: 1-line block ×3, first 2 shown]
	scratch_store_b128 off, v[1:4], off offset:320
	s_waitcnt vmcnt(0)
	ds_store_b128 v42, v[5:8]
.LBB94_159:
	s_or_b32 exec_lo, exec_lo, s2
	s_waitcnt lgkmcnt(0)
	s_waitcnt_vscnt null, 0x0
	s_barrier
	buffer_gl0_inv
	s_clause 0x8
	scratch_load_b128 v[2:5], off, off offset:336
	scratch_load_b128 v[6:9], off, off offset:352
	;; [unrolled: 1-line block ×9, first 2 shown]
	ds_load_b128 v[38:41], v1 offset:832
	ds_load_b128 v[139:142], v1 offset:848
	s_clause 0x1
	scratch_load_b128 v[143:146], off, off offset:320
	scratch_load_b128 v[147:150], off, off offset:480
	s_mov_b32 s2, exec_lo
	s_waitcnt vmcnt(10) lgkmcnt(1)
	v_mul_f64 v[43:44], v[40:41], v[4:5]
	v_mul_f64 v[4:5], v[38:39], v[4:5]
	s_waitcnt vmcnt(9) lgkmcnt(0)
	v_mul_f64 v[151:152], v[139:140], v[8:9]
	v_mul_f64 v[8:9], v[141:142], v[8:9]
	s_delay_alu instid0(VALU_DEP_4) | instskip(NEXT) | instid1(VALU_DEP_4)
	v_fma_f64 v[43:44], v[38:39], v[2:3], -v[43:44]
	v_fma_f64 v[153:154], v[40:41], v[2:3], v[4:5]
	ds_load_b128 v[2:5], v1 offset:864
	ds_load_b128 v[38:41], v1 offset:880
	v_fma_f64 v[141:142], v[141:142], v[6:7], v[151:152]
	v_fma_f64 v[6:7], v[139:140], v[6:7], -v[8:9]
	s_waitcnt vmcnt(8) lgkmcnt(1)
	v_mul_f64 v[155:156], v[2:3], v[12:13]
	v_mul_f64 v[12:13], v[4:5], v[12:13]
	s_waitcnt vmcnt(7) lgkmcnt(0)
	v_mul_f64 v[139:140], v[38:39], v[16:17]
	v_mul_f64 v[16:17], v[40:41], v[16:17]
	v_add_f64 v[8:9], v[43:44], 0
	v_add_f64 v[43:44], v[153:154], 0
	v_fma_f64 v[151:152], v[4:5], v[10:11], v[155:156]
	v_fma_f64 v[10:11], v[2:3], v[10:11], -v[12:13]
	v_fma_f64 v[40:41], v[40:41], v[14:15], v[139:140]
	v_fma_f64 v[14:15], v[38:39], v[14:15], -v[16:17]
	v_add_f64 v[12:13], v[8:9], v[6:7]
	v_add_f64 v[43:44], v[43:44], v[141:142]
	ds_load_b128 v[2:5], v1 offset:896
	ds_load_b128 v[6:9], v1 offset:912
	s_waitcnt vmcnt(6) lgkmcnt(1)
	v_mul_f64 v[141:142], v[2:3], v[20:21]
	v_mul_f64 v[20:21], v[4:5], v[20:21]
	s_waitcnt vmcnt(5) lgkmcnt(0)
	v_mul_f64 v[16:17], v[6:7], v[24:25]
	v_mul_f64 v[24:25], v[8:9], v[24:25]
	v_add_f64 v[10:11], v[12:13], v[10:11]
	v_add_f64 v[12:13], v[43:44], v[151:152]
	v_fma_f64 v[38:39], v[4:5], v[18:19], v[141:142]
	v_fma_f64 v[18:19], v[2:3], v[18:19], -v[20:21]
	v_fma_f64 v[8:9], v[8:9], v[22:23], v[16:17]
	v_fma_f64 v[6:7], v[6:7], v[22:23], -v[24:25]
	v_add_f64 v[14:15], v[10:11], v[14:15]
	v_add_f64 v[20:21], v[12:13], v[40:41]
	ds_load_b128 v[2:5], v1 offset:928
	ds_load_b128 v[10:13], v1 offset:944
	s_waitcnt vmcnt(4) lgkmcnt(1)
	v_mul_f64 v[40:41], v[2:3], v[28:29]
	v_mul_f64 v[28:29], v[4:5], v[28:29]
	v_add_f64 v[14:15], v[14:15], v[18:19]
	v_add_f64 v[16:17], v[20:21], v[38:39]
	s_waitcnt vmcnt(3) lgkmcnt(0)
	v_mul_f64 v[18:19], v[10:11], v[32:33]
	v_mul_f64 v[20:21], v[12:13], v[32:33]
	v_fma_f64 v[22:23], v[4:5], v[26:27], v[40:41]
	v_fma_f64 v[24:25], v[2:3], v[26:27], -v[28:29]
	v_add_f64 v[14:15], v[14:15], v[6:7]
	v_add_f64 v[16:17], v[16:17], v[8:9]
	ds_load_b128 v[2:5], v1 offset:960
	ds_load_b128 v[6:9], v1 offset:976
	v_fma_f64 v[12:13], v[12:13], v[30:31], v[18:19]
	v_fma_f64 v[10:11], v[10:11], v[30:31], -v[20:21]
	s_waitcnt vmcnt(2) lgkmcnt(1)
	v_mul_f64 v[26:27], v[2:3], v[36:37]
	v_mul_f64 v[28:29], v[4:5], v[36:37]
	s_waitcnt vmcnt(0) lgkmcnt(0)
	v_mul_f64 v[18:19], v[6:7], v[149:150]
	v_mul_f64 v[20:21], v[8:9], v[149:150]
	v_add_f64 v[14:15], v[14:15], v[24:25]
	v_add_f64 v[16:17], v[16:17], v[22:23]
	v_fma_f64 v[4:5], v[4:5], v[34:35], v[26:27]
	v_fma_f64 v[1:2], v[2:3], v[34:35], -v[28:29]
	v_fma_f64 v[8:9], v[8:9], v[147:148], v[18:19]
	v_fma_f64 v[6:7], v[6:7], v[147:148], -v[20:21]
	v_add_f64 v[10:11], v[14:15], v[10:11]
	v_add_f64 v[12:13], v[16:17], v[12:13]
	s_delay_alu instid0(VALU_DEP_2) | instskip(NEXT) | instid1(VALU_DEP_2)
	v_add_f64 v[1:2], v[10:11], v[1:2]
	v_add_f64 v[3:4], v[12:13], v[4:5]
	s_delay_alu instid0(VALU_DEP_2) | instskip(NEXT) | instid1(VALU_DEP_2)
	;; [unrolled: 3-line block ×3, first 2 shown]
	v_add_f64 v[1:2], v[143:144], -v[1:2]
	v_add_f64 v[3:4], v[145:146], -v[3:4]
	scratch_store_b128 off, v[1:4], off offset:320
	v_cmpx_lt_u32_e32 19, v108
	s_cbranch_execz .LBB94_161
; %bb.160:
	scratch_load_b128 v[1:4], v138, off
	v_mov_b32_e32 v5, 0
	s_delay_alu instid0(VALU_DEP_1)
	v_mov_b32_e32 v6, v5
	v_mov_b32_e32 v7, v5
	v_mov_b32_e32 v8, v5
	scratch_store_b128 off, v[5:8], off offset:304
	s_waitcnt vmcnt(0)
	ds_store_b128 v42, v[1:4]
.LBB94_161:
	s_or_b32 exec_lo, exec_lo, s2
	s_waitcnt lgkmcnt(0)
	s_waitcnt_vscnt null, 0x0
	s_barrier
	buffer_gl0_inv
	s_clause 0x7
	scratch_load_b128 v[2:5], off, off offset:320
	scratch_load_b128 v[6:9], off, off offset:336
	;; [unrolled: 1-line block ×8, first 2 shown]
	v_mov_b32_e32 v1, 0
	s_mov_b32 s2, exec_lo
	ds_load_b128 v[34:37], v1 offset:816
	s_clause 0x1
	scratch_load_b128 v[38:41], off, off offset:448
	scratch_load_b128 v[139:142], off, off offset:304
	ds_load_b128 v[143:146], v1 offset:832
	scratch_load_b128 v[147:150], off, off offset:464
	ds_load_b128 v[151:154], v1 offset:864
	s_waitcnt vmcnt(10) lgkmcnt(2)
	v_mul_f64 v[43:44], v[36:37], v[4:5]
	v_mul_f64 v[4:5], v[34:35], v[4:5]
	s_delay_alu instid0(VALU_DEP_2) | instskip(NEXT) | instid1(VALU_DEP_2)
	v_fma_f64 v[43:44], v[34:35], v[2:3], -v[43:44]
	v_fma_f64 v[157:158], v[36:37], v[2:3], v[4:5]
	scratch_load_b128 v[34:37], off, off offset:480
	ds_load_b128 v[2:5], v1 offset:848
	s_waitcnt vmcnt(10) lgkmcnt(2)
	v_mul_f64 v[155:156], v[143:144], v[8:9]
	v_mul_f64 v[8:9], v[145:146], v[8:9]
	s_waitcnt vmcnt(9) lgkmcnt(0)
	v_mul_f64 v[159:160], v[2:3], v[12:13]
	v_mul_f64 v[12:13], v[4:5], v[12:13]
	s_delay_alu instid0(VALU_DEP_4) | instskip(NEXT) | instid1(VALU_DEP_4)
	v_fma_f64 v[145:146], v[145:146], v[6:7], v[155:156]
	v_fma_f64 v[6:7], v[143:144], v[6:7], -v[8:9]
	v_add_f64 v[8:9], v[43:44], 0
	v_add_f64 v[43:44], v[157:158], 0
	s_waitcnt vmcnt(8)
	v_mul_f64 v[143:144], v[151:152], v[16:17]
	v_mul_f64 v[16:17], v[153:154], v[16:17]
	v_fma_f64 v[155:156], v[4:5], v[10:11], v[159:160]
	v_fma_f64 v[10:11], v[2:3], v[10:11], -v[12:13]
	v_add_f64 v[12:13], v[8:9], v[6:7]
	v_add_f64 v[43:44], v[43:44], v[145:146]
	ds_load_b128 v[2:5], v1 offset:880
	ds_load_b128 v[6:9], v1 offset:896
	v_fma_f64 v[143:144], v[153:154], v[14:15], v[143:144]
	v_fma_f64 v[14:15], v[151:152], v[14:15], -v[16:17]
	s_waitcnt vmcnt(7) lgkmcnt(1)
	v_mul_f64 v[145:146], v[2:3], v[20:21]
	v_mul_f64 v[20:21], v[4:5], v[20:21]
	s_waitcnt vmcnt(6) lgkmcnt(0)
	v_mul_f64 v[16:17], v[6:7], v[24:25]
	v_mul_f64 v[24:25], v[8:9], v[24:25]
	v_add_f64 v[10:11], v[12:13], v[10:11]
	v_add_f64 v[12:13], v[43:44], v[155:156]
	v_fma_f64 v[43:44], v[4:5], v[18:19], v[145:146]
	v_fma_f64 v[18:19], v[2:3], v[18:19], -v[20:21]
	v_fma_f64 v[8:9], v[8:9], v[22:23], v[16:17]
	v_fma_f64 v[6:7], v[6:7], v[22:23], -v[24:25]
	v_add_f64 v[14:15], v[10:11], v[14:15]
	v_add_f64 v[20:21], v[12:13], v[143:144]
	ds_load_b128 v[2:5], v1 offset:912
	ds_load_b128 v[10:13], v1 offset:928
	s_waitcnt vmcnt(5) lgkmcnt(1)
	v_mul_f64 v[143:144], v[2:3], v[28:29]
	v_mul_f64 v[28:29], v[4:5], v[28:29]
	v_add_f64 v[14:15], v[14:15], v[18:19]
	v_add_f64 v[16:17], v[20:21], v[43:44]
	s_waitcnt vmcnt(4) lgkmcnt(0)
	v_mul_f64 v[18:19], v[10:11], v[32:33]
	v_mul_f64 v[20:21], v[12:13], v[32:33]
	v_fma_f64 v[22:23], v[4:5], v[26:27], v[143:144]
	v_fma_f64 v[24:25], v[2:3], v[26:27], -v[28:29]
	v_add_f64 v[14:15], v[14:15], v[6:7]
	v_add_f64 v[16:17], v[16:17], v[8:9]
	ds_load_b128 v[2:5], v1 offset:944
	ds_load_b128 v[6:9], v1 offset:960
	v_fma_f64 v[12:13], v[12:13], v[30:31], v[18:19]
	v_fma_f64 v[10:11], v[10:11], v[30:31], -v[20:21]
	s_waitcnt vmcnt(3) lgkmcnt(1)
	v_mul_f64 v[26:27], v[2:3], v[40:41]
	v_mul_f64 v[28:29], v[4:5], v[40:41]
	s_waitcnt vmcnt(1) lgkmcnt(0)
	v_mul_f64 v[18:19], v[6:7], v[149:150]
	v_mul_f64 v[20:21], v[8:9], v[149:150]
	v_add_f64 v[14:15], v[14:15], v[24:25]
	v_add_f64 v[16:17], v[16:17], v[22:23]
	v_fma_f64 v[22:23], v[4:5], v[38:39], v[26:27]
	v_fma_f64 v[24:25], v[2:3], v[38:39], -v[28:29]
	ds_load_b128 v[2:5], v1 offset:976
	v_fma_f64 v[8:9], v[8:9], v[147:148], v[18:19]
	v_fma_f64 v[6:7], v[6:7], v[147:148], -v[20:21]
	v_add_f64 v[10:11], v[14:15], v[10:11]
	v_add_f64 v[12:13], v[16:17], v[12:13]
	s_waitcnt vmcnt(0) lgkmcnt(0)
	v_mul_f64 v[14:15], v[2:3], v[36:37]
	v_mul_f64 v[16:17], v[4:5], v[36:37]
	s_delay_alu instid0(VALU_DEP_4) | instskip(NEXT) | instid1(VALU_DEP_4)
	v_add_f64 v[10:11], v[10:11], v[24:25]
	v_add_f64 v[12:13], v[12:13], v[22:23]
	s_delay_alu instid0(VALU_DEP_4) | instskip(NEXT) | instid1(VALU_DEP_4)
	v_fma_f64 v[4:5], v[4:5], v[34:35], v[14:15]
	v_fma_f64 v[2:3], v[2:3], v[34:35], -v[16:17]
	s_delay_alu instid0(VALU_DEP_4) | instskip(NEXT) | instid1(VALU_DEP_4)
	v_add_f64 v[6:7], v[10:11], v[6:7]
	v_add_f64 v[8:9], v[12:13], v[8:9]
	s_delay_alu instid0(VALU_DEP_2) | instskip(NEXT) | instid1(VALU_DEP_2)
	v_add_f64 v[2:3], v[6:7], v[2:3]
	v_add_f64 v[4:5], v[8:9], v[4:5]
	s_delay_alu instid0(VALU_DEP_2) | instskip(NEXT) | instid1(VALU_DEP_2)
	v_add_f64 v[2:3], v[139:140], -v[2:3]
	v_add_f64 v[4:5], v[141:142], -v[4:5]
	scratch_store_b128 off, v[2:5], off offset:304
	v_cmpx_lt_u32_e32 18, v108
	s_cbranch_execz .LBB94_163
; %bb.162:
	scratch_load_b128 v[5:8], v113, off
	v_mov_b32_e32 v2, v1
	v_mov_b32_e32 v3, v1
	;; [unrolled: 1-line block ×3, first 2 shown]
	scratch_store_b128 off, v[1:4], off offset:288
	s_waitcnt vmcnt(0)
	ds_store_b128 v42, v[5:8]
.LBB94_163:
	s_or_b32 exec_lo, exec_lo, s2
	s_waitcnt lgkmcnt(0)
	s_waitcnt_vscnt null, 0x0
	s_barrier
	buffer_gl0_inv
	s_clause 0x8
	scratch_load_b128 v[2:5], off, off offset:304
	scratch_load_b128 v[6:9], off, off offset:320
	;; [unrolled: 1-line block ×9, first 2 shown]
	ds_load_b128 v[38:41], v1 offset:800
	ds_load_b128 v[139:142], v1 offset:816
	s_clause 0x1
	scratch_load_b128 v[143:146], off, off offset:288
	scratch_load_b128 v[147:150], off, off offset:448
	s_mov_b32 s2, exec_lo
	ds_load_b128 v[151:154], v1 offset:848
	s_waitcnt vmcnt(10) lgkmcnt(2)
	v_mul_f64 v[43:44], v[40:41], v[4:5]
	v_mul_f64 v[4:5], v[38:39], v[4:5]
	s_waitcnt vmcnt(9) lgkmcnt(1)
	v_mul_f64 v[155:156], v[139:140], v[8:9]
	v_mul_f64 v[8:9], v[141:142], v[8:9]
	s_delay_alu instid0(VALU_DEP_4) | instskip(NEXT) | instid1(VALU_DEP_4)
	v_fma_f64 v[43:44], v[38:39], v[2:3], -v[43:44]
	v_fma_f64 v[157:158], v[40:41], v[2:3], v[4:5]
	ds_load_b128 v[2:5], v1 offset:832
	scratch_load_b128 v[38:41], off, off offset:464
	v_fma_f64 v[141:142], v[141:142], v[6:7], v[155:156]
	v_fma_f64 v[139:140], v[139:140], v[6:7], -v[8:9]
	scratch_load_b128 v[6:9], off, off offset:480
	s_waitcnt vmcnt(10) lgkmcnt(0)
	v_mul_f64 v[159:160], v[2:3], v[12:13]
	v_mul_f64 v[12:13], v[4:5], v[12:13]
	v_add_f64 v[43:44], v[43:44], 0
	v_add_f64 v[155:156], v[157:158], 0
	s_waitcnt vmcnt(9)
	v_mul_f64 v[157:158], v[151:152], v[16:17]
	v_mul_f64 v[16:17], v[153:154], v[16:17]
	v_fma_f64 v[159:160], v[4:5], v[10:11], v[159:160]
	v_fma_f64 v[161:162], v[2:3], v[10:11], -v[12:13]
	ds_load_b128 v[2:5], v1 offset:864
	ds_load_b128 v[10:13], v1 offset:880
	v_add_f64 v[43:44], v[43:44], v[139:140]
	v_add_f64 v[139:140], v[155:156], v[141:142]
	v_fma_f64 v[153:154], v[153:154], v[14:15], v[157:158]
	v_fma_f64 v[14:15], v[151:152], v[14:15], -v[16:17]
	s_waitcnt vmcnt(8) lgkmcnt(1)
	v_mul_f64 v[141:142], v[2:3], v[20:21]
	v_mul_f64 v[20:21], v[4:5], v[20:21]
	v_add_f64 v[16:17], v[43:44], v[161:162]
	v_add_f64 v[43:44], v[139:140], v[159:160]
	s_waitcnt vmcnt(7) lgkmcnt(0)
	v_mul_f64 v[139:140], v[10:11], v[24:25]
	v_mul_f64 v[24:25], v[12:13], v[24:25]
	v_fma_f64 v[141:142], v[4:5], v[18:19], v[141:142]
	v_fma_f64 v[18:19], v[2:3], v[18:19], -v[20:21]
	v_add_f64 v[20:21], v[16:17], v[14:15]
	v_add_f64 v[43:44], v[43:44], v[153:154]
	ds_load_b128 v[2:5], v1 offset:896
	ds_load_b128 v[14:17], v1 offset:912
	v_fma_f64 v[12:13], v[12:13], v[22:23], v[139:140]
	v_fma_f64 v[10:11], v[10:11], v[22:23], -v[24:25]
	s_waitcnt vmcnt(6) lgkmcnt(1)
	v_mul_f64 v[151:152], v[2:3], v[28:29]
	v_mul_f64 v[28:29], v[4:5], v[28:29]
	s_waitcnt vmcnt(5) lgkmcnt(0)
	v_mul_f64 v[22:23], v[14:15], v[32:33]
	v_mul_f64 v[24:25], v[16:17], v[32:33]
	v_add_f64 v[18:19], v[20:21], v[18:19]
	v_add_f64 v[20:21], v[43:44], v[141:142]
	v_fma_f64 v[32:33], v[4:5], v[26:27], v[151:152]
	v_fma_f64 v[26:27], v[2:3], v[26:27], -v[28:29]
	v_fma_f64 v[16:17], v[16:17], v[30:31], v[22:23]
	v_fma_f64 v[14:15], v[14:15], v[30:31], -v[24:25]
	v_add_f64 v[18:19], v[18:19], v[10:11]
	v_add_f64 v[20:21], v[20:21], v[12:13]
	ds_load_b128 v[2:5], v1 offset:928
	ds_load_b128 v[10:13], v1 offset:944
	s_waitcnt vmcnt(4) lgkmcnt(1)
	v_mul_f64 v[28:29], v[2:3], v[36:37]
	v_mul_f64 v[36:37], v[4:5], v[36:37]
	s_waitcnt vmcnt(2) lgkmcnt(0)
	v_mul_f64 v[22:23], v[10:11], v[149:150]
	v_mul_f64 v[24:25], v[12:13], v[149:150]
	v_add_f64 v[18:19], v[18:19], v[26:27]
	v_add_f64 v[20:21], v[20:21], v[32:33]
	v_fma_f64 v[26:27], v[4:5], v[34:35], v[28:29]
	v_fma_f64 v[28:29], v[2:3], v[34:35], -v[36:37]
	v_fma_f64 v[12:13], v[12:13], v[147:148], v[22:23]
	v_fma_f64 v[10:11], v[10:11], v[147:148], -v[24:25]
	v_add_f64 v[18:19], v[18:19], v[14:15]
	v_add_f64 v[20:21], v[20:21], v[16:17]
	ds_load_b128 v[2:5], v1 offset:960
	ds_load_b128 v[14:17], v1 offset:976
	s_waitcnt vmcnt(1) lgkmcnt(1)
	v_mul_f64 v[30:31], v[2:3], v[40:41]
	v_mul_f64 v[32:33], v[4:5], v[40:41]
	s_waitcnt vmcnt(0) lgkmcnt(0)
	v_mul_f64 v[22:23], v[14:15], v[8:9]
	v_mul_f64 v[8:9], v[16:17], v[8:9]
	v_add_f64 v[18:19], v[18:19], v[28:29]
	v_add_f64 v[20:21], v[20:21], v[26:27]
	v_fma_f64 v[4:5], v[4:5], v[38:39], v[30:31]
	v_fma_f64 v[1:2], v[2:3], v[38:39], -v[32:33]
	v_fma_f64 v[16:17], v[16:17], v[6:7], v[22:23]
	v_fma_f64 v[6:7], v[14:15], v[6:7], -v[8:9]
	v_add_f64 v[10:11], v[18:19], v[10:11]
	v_add_f64 v[12:13], v[20:21], v[12:13]
	s_delay_alu instid0(VALU_DEP_2) | instskip(NEXT) | instid1(VALU_DEP_2)
	v_add_f64 v[1:2], v[10:11], v[1:2]
	v_add_f64 v[3:4], v[12:13], v[4:5]
	s_delay_alu instid0(VALU_DEP_2) | instskip(NEXT) | instid1(VALU_DEP_2)
	;; [unrolled: 3-line block ×3, first 2 shown]
	v_add_f64 v[1:2], v[143:144], -v[1:2]
	v_add_f64 v[3:4], v[145:146], -v[3:4]
	scratch_store_b128 off, v[1:4], off offset:288
	v_cmpx_lt_u32_e32 17, v108
	s_cbranch_execz .LBB94_165
; %bb.164:
	scratch_load_b128 v[1:4], v115, off
	v_mov_b32_e32 v5, 0
	s_delay_alu instid0(VALU_DEP_1)
	v_mov_b32_e32 v6, v5
	v_mov_b32_e32 v7, v5
	v_mov_b32_e32 v8, v5
	scratch_store_b128 off, v[5:8], off offset:272
	s_waitcnt vmcnt(0)
	ds_store_b128 v42, v[1:4]
.LBB94_165:
	s_or_b32 exec_lo, exec_lo, s2
	s_waitcnt lgkmcnt(0)
	s_waitcnt_vscnt null, 0x0
	s_barrier
	buffer_gl0_inv
	s_clause 0x7
	scratch_load_b128 v[2:5], off, off offset:288
	scratch_load_b128 v[6:9], off, off offset:304
	;; [unrolled: 1-line block ×8, first 2 shown]
	v_mov_b32_e32 v1, 0
	s_mov_b32 s2, exec_lo
	ds_load_b128 v[34:37], v1 offset:784
	s_clause 0x1
	scratch_load_b128 v[38:41], off, off offset:416
	scratch_load_b128 v[139:142], off, off offset:272
	ds_load_b128 v[143:146], v1 offset:800
	scratch_load_b128 v[147:150], off, off offset:432
	ds_load_b128 v[151:154], v1 offset:832
	s_waitcnt vmcnt(10) lgkmcnt(2)
	v_mul_f64 v[43:44], v[36:37], v[4:5]
	v_mul_f64 v[4:5], v[34:35], v[4:5]
	s_delay_alu instid0(VALU_DEP_2) | instskip(NEXT) | instid1(VALU_DEP_2)
	v_fma_f64 v[43:44], v[34:35], v[2:3], -v[43:44]
	v_fma_f64 v[157:158], v[36:37], v[2:3], v[4:5]
	ds_load_b128 v[2:5], v1 offset:816
	s_waitcnt vmcnt(9) lgkmcnt(2)
	v_mul_f64 v[155:156], v[143:144], v[8:9]
	v_mul_f64 v[8:9], v[145:146], v[8:9]
	scratch_load_b128 v[34:37], off, off offset:448
	s_waitcnt vmcnt(9) lgkmcnt(0)
	v_mul_f64 v[159:160], v[2:3], v[12:13]
	v_mul_f64 v[12:13], v[4:5], v[12:13]
	v_add_f64 v[43:44], v[43:44], 0
	v_fma_f64 v[145:146], v[145:146], v[6:7], v[155:156]
	v_fma_f64 v[143:144], v[143:144], v[6:7], -v[8:9]
	v_add_f64 v[155:156], v[157:158], 0
	scratch_load_b128 v[6:9], off, off offset:464
	v_fma_f64 v[159:160], v[4:5], v[10:11], v[159:160]
	v_fma_f64 v[161:162], v[2:3], v[10:11], -v[12:13]
	scratch_load_b128 v[10:13], off, off offset:480
	ds_load_b128 v[2:5], v1 offset:848
	s_waitcnt vmcnt(10)
	v_mul_f64 v[157:158], v[151:152], v[16:17]
	v_mul_f64 v[16:17], v[153:154], v[16:17]
	v_add_f64 v[43:44], v[43:44], v[143:144]
	v_add_f64 v[155:156], v[155:156], v[145:146]
	ds_load_b128 v[143:146], v1 offset:864
	s_waitcnt vmcnt(9) lgkmcnt(1)
	v_mul_f64 v[163:164], v[2:3], v[20:21]
	v_mul_f64 v[20:21], v[4:5], v[20:21]
	v_fma_f64 v[153:154], v[153:154], v[14:15], v[157:158]
	v_fma_f64 v[14:15], v[151:152], v[14:15], -v[16:17]
	s_waitcnt vmcnt(8) lgkmcnt(0)
	v_mul_f64 v[151:152], v[143:144], v[24:25]
	v_mul_f64 v[24:25], v[145:146], v[24:25]
	v_add_f64 v[16:17], v[43:44], v[161:162]
	v_add_f64 v[43:44], v[155:156], v[159:160]
	v_fma_f64 v[155:156], v[4:5], v[18:19], v[163:164]
	v_fma_f64 v[18:19], v[2:3], v[18:19], -v[20:21]
	v_fma_f64 v[145:146], v[145:146], v[22:23], v[151:152]
	v_fma_f64 v[22:23], v[143:144], v[22:23], -v[24:25]
	v_add_f64 v[20:21], v[16:17], v[14:15]
	v_add_f64 v[43:44], v[43:44], v[153:154]
	ds_load_b128 v[2:5], v1 offset:880
	ds_load_b128 v[14:17], v1 offset:896
	s_waitcnt vmcnt(7) lgkmcnt(1)
	v_mul_f64 v[153:154], v[2:3], v[28:29]
	v_mul_f64 v[28:29], v[4:5], v[28:29]
	s_waitcnt vmcnt(6) lgkmcnt(0)
	v_mul_f64 v[24:25], v[14:15], v[32:33]
	v_mul_f64 v[32:33], v[16:17], v[32:33]
	v_add_f64 v[18:19], v[20:21], v[18:19]
	v_add_f64 v[20:21], v[43:44], v[155:156]
	v_fma_f64 v[43:44], v[4:5], v[26:27], v[153:154]
	v_fma_f64 v[26:27], v[2:3], v[26:27], -v[28:29]
	v_fma_f64 v[16:17], v[16:17], v[30:31], v[24:25]
	v_fma_f64 v[14:15], v[14:15], v[30:31], -v[32:33]
	v_add_f64 v[22:23], v[18:19], v[22:23]
	v_add_f64 v[28:29], v[20:21], v[145:146]
	ds_load_b128 v[2:5], v1 offset:912
	ds_load_b128 v[18:21], v1 offset:928
	s_waitcnt vmcnt(5) lgkmcnt(1)
	v_mul_f64 v[143:144], v[2:3], v[40:41]
	v_mul_f64 v[40:41], v[4:5], v[40:41]
	v_add_f64 v[22:23], v[22:23], v[26:27]
	v_add_f64 v[24:25], v[28:29], v[43:44]
	s_waitcnt vmcnt(3) lgkmcnt(0)
	v_mul_f64 v[26:27], v[18:19], v[149:150]
	v_mul_f64 v[28:29], v[20:21], v[149:150]
	v_fma_f64 v[30:31], v[4:5], v[38:39], v[143:144]
	v_fma_f64 v[32:33], v[2:3], v[38:39], -v[40:41]
	v_add_f64 v[22:23], v[22:23], v[14:15]
	v_add_f64 v[24:25], v[24:25], v[16:17]
	ds_load_b128 v[2:5], v1 offset:944
	ds_load_b128 v[14:17], v1 offset:960
	v_fma_f64 v[20:21], v[20:21], v[147:148], v[26:27]
	v_fma_f64 v[18:19], v[18:19], v[147:148], -v[28:29]
	s_waitcnt vmcnt(2) lgkmcnt(1)
	v_mul_f64 v[38:39], v[2:3], v[36:37]
	v_mul_f64 v[36:37], v[4:5], v[36:37]
	v_add_f64 v[22:23], v[22:23], v[32:33]
	v_add_f64 v[24:25], v[24:25], v[30:31]
	s_waitcnt vmcnt(1) lgkmcnt(0)
	v_mul_f64 v[26:27], v[14:15], v[8:9]
	v_mul_f64 v[8:9], v[16:17], v[8:9]
	v_fma_f64 v[28:29], v[4:5], v[34:35], v[38:39]
	v_fma_f64 v[30:31], v[2:3], v[34:35], -v[36:37]
	ds_load_b128 v[2:5], v1 offset:976
	v_add_f64 v[18:19], v[22:23], v[18:19]
	v_add_f64 v[20:21], v[24:25], v[20:21]
	s_waitcnt vmcnt(0) lgkmcnt(0)
	v_mul_f64 v[22:23], v[2:3], v[12:13]
	v_mul_f64 v[12:13], v[4:5], v[12:13]
	v_fma_f64 v[16:17], v[16:17], v[6:7], v[26:27]
	v_fma_f64 v[6:7], v[14:15], v[6:7], -v[8:9]
	v_add_f64 v[8:9], v[18:19], v[30:31]
	v_add_f64 v[14:15], v[20:21], v[28:29]
	v_fma_f64 v[4:5], v[4:5], v[10:11], v[22:23]
	v_fma_f64 v[2:3], v[2:3], v[10:11], -v[12:13]
	s_delay_alu instid0(VALU_DEP_4) | instskip(NEXT) | instid1(VALU_DEP_4)
	v_add_f64 v[6:7], v[8:9], v[6:7]
	v_add_f64 v[8:9], v[14:15], v[16:17]
	s_delay_alu instid0(VALU_DEP_2) | instskip(NEXT) | instid1(VALU_DEP_2)
	v_add_f64 v[2:3], v[6:7], v[2:3]
	v_add_f64 v[4:5], v[8:9], v[4:5]
	s_delay_alu instid0(VALU_DEP_2) | instskip(NEXT) | instid1(VALU_DEP_2)
	v_add_f64 v[2:3], v[139:140], -v[2:3]
	v_add_f64 v[4:5], v[141:142], -v[4:5]
	scratch_store_b128 off, v[2:5], off offset:272
	v_cmpx_lt_u32_e32 16, v108
	s_cbranch_execz .LBB94_167
; %bb.166:
	scratch_load_b128 v[5:8], v114, off
	v_mov_b32_e32 v2, v1
	v_mov_b32_e32 v3, v1
	;; [unrolled: 1-line block ×3, first 2 shown]
	scratch_store_b128 off, v[1:4], off offset:256
	s_waitcnt vmcnt(0)
	ds_store_b128 v42, v[5:8]
.LBB94_167:
	s_or_b32 exec_lo, exec_lo, s2
	s_waitcnt lgkmcnt(0)
	s_waitcnt_vscnt null, 0x0
	s_barrier
	buffer_gl0_inv
	s_clause 0x8
	scratch_load_b128 v[2:5], off, off offset:272
	scratch_load_b128 v[6:9], off, off offset:288
	;; [unrolled: 1-line block ×9, first 2 shown]
	ds_load_b128 v[38:41], v1 offset:768
	ds_load_b128 v[139:142], v1 offset:784
	s_clause 0x1
	scratch_load_b128 v[143:146], off, off offset:256
	scratch_load_b128 v[147:150], off, off offset:416
	s_mov_b32 s2, exec_lo
	ds_load_b128 v[151:154], v1 offset:816
	s_waitcnt vmcnt(10) lgkmcnt(2)
	v_mul_f64 v[43:44], v[40:41], v[4:5]
	v_mul_f64 v[4:5], v[38:39], v[4:5]
	s_waitcnt vmcnt(9) lgkmcnt(1)
	v_mul_f64 v[155:156], v[139:140], v[8:9]
	v_mul_f64 v[8:9], v[141:142], v[8:9]
	s_delay_alu instid0(VALU_DEP_4) | instskip(NEXT) | instid1(VALU_DEP_4)
	v_fma_f64 v[43:44], v[38:39], v[2:3], -v[43:44]
	v_fma_f64 v[157:158], v[40:41], v[2:3], v[4:5]
	ds_load_b128 v[2:5], v1 offset:800
	scratch_load_b128 v[38:41], off, off offset:432
	v_fma_f64 v[141:142], v[141:142], v[6:7], v[155:156]
	v_fma_f64 v[139:140], v[139:140], v[6:7], -v[8:9]
	scratch_load_b128 v[6:9], off, off offset:448
	s_waitcnt vmcnt(10) lgkmcnt(0)
	v_mul_f64 v[159:160], v[2:3], v[12:13]
	v_mul_f64 v[12:13], v[4:5], v[12:13]
	v_add_f64 v[43:44], v[43:44], 0
	v_add_f64 v[155:156], v[157:158], 0
	s_waitcnt vmcnt(9)
	v_mul_f64 v[157:158], v[151:152], v[16:17]
	v_mul_f64 v[16:17], v[153:154], v[16:17]
	v_fma_f64 v[159:160], v[4:5], v[10:11], v[159:160]
	v_fma_f64 v[161:162], v[2:3], v[10:11], -v[12:13]
	ds_load_b128 v[2:5], v1 offset:832
	scratch_load_b128 v[10:13], off, off offset:464
	v_add_f64 v[43:44], v[43:44], v[139:140]
	v_add_f64 v[155:156], v[155:156], v[141:142]
	ds_load_b128 v[139:142], v1 offset:848
	v_fma_f64 v[153:154], v[153:154], v[14:15], v[157:158]
	v_fma_f64 v[151:152], v[151:152], v[14:15], -v[16:17]
	scratch_load_b128 v[14:17], off, off offset:480
	s_waitcnt vmcnt(10) lgkmcnt(1)
	v_mul_f64 v[163:164], v[2:3], v[20:21]
	v_mul_f64 v[20:21], v[4:5], v[20:21]
	s_waitcnt vmcnt(9) lgkmcnt(0)
	v_mul_f64 v[157:158], v[139:140], v[24:25]
	v_mul_f64 v[24:25], v[141:142], v[24:25]
	v_add_f64 v[43:44], v[43:44], v[161:162]
	v_add_f64 v[155:156], v[155:156], v[159:160]
	v_fma_f64 v[159:160], v[4:5], v[18:19], v[163:164]
	v_fma_f64 v[161:162], v[2:3], v[18:19], -v[20:21]
	ds_load_b128 v[2:5], v1 offset:864
	ds_load_b128 v[18:21], v1 offset:880
	v_fma_f64 v[141:142], v[141:142], v[22:23], v[157:158]
	v_fma_f64 v[22:23], v[139:140], v[22:23], -v[24:25]
	s_waitcnt vmcnt(7) lgkmcnt(0)
	v_mul_f64 v[139:140], v[18:19], v[32:33]
	v_mul_f64 v[32:33], v[20:21], v[32:33]
	v_add_f64 v[43:44], v[43:44], v[151:152]
	v_add_f64 v[151:152], v[155:156], v[153:154]
	v_mul_f64 v[153:154], v[2:3], v[28:29]
	v_mul_f64 v[28:29], v[4:5], v[28:29]
	v_fma_f64 v[20:21], v[20:21], v[30:31], v[139:140]
	v_fma_f64 v[18:19], v[18:19], v[30:31], -v[32:33]
	v_add_f64 v[24:25], v[43:44], v[161:162]
	v_add_f64 v[43:44], v[151:152], v[159:160]
	v_fma_f64 v[151:152], v[4:5], v[26:27], v[153:154]
	v_fma_f64 v[26:27], v[2:3], v[26:27], -v[28:29]
	s_delay_alu instid0(VALU_DEP_4) | instskip(NEXT) | instid1(VALU_DEP_4)
	v_add_f64 v[28:29], v[24:25], v[22:23]
	v_add_f64 v[43:44], v[43:44], v[141:142]
	ds_load_b128 v[2:5], v1 offset:896
	ds_load_b128 v[22:25], v1 offset:912
	s_waitcnt vmcnt(6) lgkmcnt(1)
	v_mul_f64 v[141:142], v[2:3], v[36:37]
	v_mul_f64 v[36:37], v[4:5], v[36:37]
	s_waitcnt vmcnt(4) lgkmcnt(0)
	v_mul_f64 v[30:31], v[22:23], v[149:150]
	v_mul_f64 v[32:33], v[24:25], v[149:150]
	v_add_f64 v[26:27], v[28:29], v[26:27]
	v_add_f64 v[28:29], v[43:44], v[151:152]
	v_fma_f64 v[43:44], v[4:5], v[34:35], v[141:142]
	v_fma_f64 v[34:35], v[2:3], v[34:35], -v[36:37]
	v_fma_f64 v[24:25], v[24:25], v[147:148], v[30:31]
	v_fma_f64 v[22:23], v[22:23], v[147:148], -v[32:33]
	v_add_f64 v[26:27], v[26:27], v[18:19]
	v_add_f64 v[28:29], v[28:29], v[20:21]
	ds_load_b128 v[2:5], v1 offset:928
	ds_load_b128 v[18:21], v1 offset:944
	s_waitcnt vmcnt(3) lgkmcnt(1)
	v_mul_f64 v[36:37], v[2:3], v[40:41]
	v_mul_f64 v[40:41], v[4:5], v[40:41]
	s_waitcnt vmcnt(2) lgkmcnt(0)
	v_mul_f64 v[30:31], v[18:19], v[8:9]
	v_mul_f64 v[8:9], v[20:21], v[8:9]
	v_add_f64 v[26:27], v[26:27], v[34:35]
	v_add_f64 v[28:29], v[28:29], v[43:44]
	v_fma_f64 v[32:33], v[4:5], v[38:39], v[36:37]
	v_fma_f64 v[34:35], v[2:3], v[38:39], -v[40:41]
	v_fma_f64 v[20:21], v[20:21], v[6:7], v[30:31]
	v_fma_f64 v[6:7], v[18:19], v[6:7], -v[8:9]
	v_add_f64 v[26:27], v[26:27], v[22:23]
	v_add_f64 v[28:29], v[28:29], v[24:25]
	ds_load_b128 v[2:5], v1 offset:960
	ds_load_b128 v[22:25], v1 offset:976
	s_waitcnt vmcnt(1) lgkmcnt(1)
	v_mul_f64 v[36:37], v[2:3], v[12:13]
	v_mul_f64 v[12:13], v[4:5], v[12:13]
	v_add_f64 v[8:9], v[26:27], v[34:35]
	v_add_f64 v[18:19], v[28:29], v[32:33]
	s_waitcnt vmcnt(0) lgkmcnt(0)
	v_mul_f64 v[26:27], v[22:23], v[16:17]
	v_mul_f64 v[16:17], v[24:25], v[16:17]
	v_fma_f64 v[4:5], v[4:5], v[10:11], v[36:37]
	v_fma_f64 v[1:2], v[2:3], v[10:11], -v[12:13]
	v_add_f64 v[6:7], v[8:9], v[6:7]
	v_add_f64 v[8:9], v[18:19], v[20:21]
	v_fma_f64 v[10:11], v[24:25], v[14:15], v[26:27]
	v_fma_f64 v[12:13], v[22:23], v[14:15], -v[16:17]
	s_delay_alu instid0(VALU_DEP_4) | instskip(NEXT) | instid1(VALU_DEP_4)
	v_add_f64 v[1:2], v[6:7], v[1:2]
	v_add_f64 v[3:4], v[8:9], v[4:5]
	s_delay_alu instid0(VALU_DEP_2) | instskip(NEXT) | instid1(VALU_DEP_2)
	v_add_f64 v[1:2], v[1:2], v[12:13]
	v_add_f64 v[3:4], v[3:4], v[10:11]
	s_delay_alu instid0(VALU_DEP_2) | instskip(NEXT) | instid1(VALU_DEP_2)
	v_add_f64 v[1:2], v[143:144], -v[1:2]
	v_add_f64 v[3:4], v[145:146], -v[3:4]
	scratch_store_b128 off, v[1:4], off offset:256
	v_cmpx_lt_u32_e32 15, v108
	s_cbranch_execz .LBB94_169
; %bb.168:
	scratch_load_b128 v[1:4], v116, off
	v_mov_b32_e32 v5, 0
	s_delay_alu instid0(VALU_DEP_1)
	v_mov_b32_e32 v6, v5
	v_mov_b32_e32 v7, v5
	;; [unrolled: 1-line block ×3, first 2 shown]
	scratch_store_b128 off, v[5:8], off offset:240
	s_waitcnt vmcnt(0)
	ds_store_b128 v42, v[1:4]
.LBB94_169:
	s_or_b32 exec_lo, exec_lo, s2
	s_waitcnt lgkmcnt(0)
	s_waitcnt_vscnt null, 0x0
	s_barrier
	buffer_gl0_inv
	s_clause 0x7
	scratch_load_b128 v[2:5], off, off offset:256
	scratch_load_b128 v[6:9], off, off offset:272
	;; [unrolled: 1-line block ×8, first 2 shown]
	v_mov_b32_e32 v1, 0
	s_mov_b32 s2, exec_lo
	ds_load_b128 v[34:37], v1 offset:752
	s_clause 0x1
	scratch_load_b128 v[38:41], off, off offset:384
	scratch_load_b128 v[139:142], off, off offset:240
	ds_load_b128 v[143:146], v1 offset:768
	scratch_load_b128 v[147:150], off, off offset:400
	ds_load_b128 v[151:154], v1 offset:800
	s_waitcnt vmcnt(10) lgkmcnt(2)
	v_mul_f64 v[43:44], v[36:37], v[4:5]
	v_mul_f64 v[4:5], v[34:35], v[4:5]
	s_delay_alu instid0(VALU_DEP_2) | instskip(NEXT) | instid1(VALU_DEP_2)
	v_fma_f64 v[43:44], v[34:35], v[2:3], -v[43:44]
	v_fma_f64 v[157:158], v[36:37], v[2:3], v[4:5]
	ds_load_b128 v[2:5], v1 offset:784
	s_waitcnt vmcnt(9) lgkmcnt(2)
	v_mul_f64 v[155:156], v[143:144], v[8:9]
	v_mul_f64 v[8:9], v[145:146], v[8:9]
	scratch_load_b128 v[34:37], off, off offset:416
	s_waitcnt vmcnt(9) lgkmcnt(0)
	v_mul_f64 v[159:160], v[2:3], v[12:13]
	v_mul_f64 v[12:13], v[4:5], v[12:13]
	v_add_f64 v[43:44], v[43:44], 0
	v_fma_f64 v[145:146], v[145:146], v[6:7], v[155:156]
	v_fma_f64 v[143:144], v[143:144], v[6:7], -v[8:9]
	v_add_f64 v[155:156], v[157:158], 0
	scratch_load_b128 v[6:9], off, off offset:432
	v_fma_f64 v[159:160], v[4:5], v[10:11], v[159:160]
	v_fma_f64 v[161:162], v[2:3], v[10:11], -v[12:13]
	scratch_load_b128 v[10:13], off, off offset:448
	ds_load_b128 v[2:5], v1 offset:816
	s_waitcnt vmcnt(10)
	v_mul_f64 v[157:158], v[151:152], v[16:17]
	v_mul_f64 v[16:17], v[153:154], v[16:17]
	v_add_f64 v[43:44], v[43:44], v[143:144]
	v_add_f64 v[155:156], v[155:156], v[145:146]
	ds_load_b128 v[143:146], v1 offset:832
	s_waitcnt vmcnt(9) lgkmcnt(1)
	v_mul_f64 v[163:164], v[2:3], v[20:21]
	v_mul_f64 v[20:21], v[4:5], v[20:21]
	v_fma_f64 v[153:154], v[153:154], v[14:15], v[157:158]
	v_fma_f64 v[151:152], v[151:152], v[14:15], -v[16:17]
	scratch_load_b128 v[14:17], off, off offset:464
	v_add_f64 v[43:44], v[43:44], v[161:162]
	v_add_f64 v[155:156], v[155:156], v[159:160]
	v_fma_f64 v[159:160], v[4:5], v[18:19], v[163:164]
	v_fma_f64 v[161:162], v[2:3], v[18:19], -v[20:21]
	scratch_load_b128 v[18:21], off, off offset:480
	ds_load_b128 v[2:5], v1 offset:848
	s_waitcnt vmcnt(10) lgkmcnt(1)
	v_mul_f64 v[157:158], v[143:144], v[24:25]
	v_mul_f64 v[24:25], v[145:146], v[24:25]
	s_waitcnt vmcnt(9) lgkmcnt(0)
	v_mul_f64 v[163:164], v[2:3], v[28:29]
	v_mul_f64 v[28:29], v[4:5], v[28:29]
	v_add_f64 v[43:44], v[43:44], v[151:152]
	v_add_f64 v[155:156], v[155:156], v[153:154]
	ds_load_b128 v[151:154], v1 offset:864
	v_fma_f64 v[145:146], v[145:146], v[22:23], v[157:158]
	v_fma_f64 v[22:23], v[143:144], v[22:23], -v[24:25]
	s_waitcnt vmcnt(8) lgkmcnt(0)
	v_mul_f64 v[143:144], v[151:152], v[32:33]
	v_mul_f64 v[32:33], v[153:154], v[32:33]
	v_add_f64 v[24:25], v[43:44], v[161:162]
	v_add_f64 v[43:44], v[155:156], v[159:160]
	v_fma_f64 v[155:156], v[4:5], v[26:27], v[163:164]
	v_fma_f64 v[26:27], v[2:3], v[26:27], -v[28:29]
	v_fma_f64 v[143:144], v[153:154], v[30:31], v[143:144]
	v_fma_f64 v[30:31], v[151:152], v[30:31], -v[32:33]
	v_add_f64 v[28:29], v[24:25], v[22:23]
	v_add_f64 v[43:44], v[43:44], v[145:146]
	ds_load_b128 v[2:5], v1 offset:880
	ds_load_b128 v[22:25], v1 offset:896
	s_waitcnt vmcnt(7) lgkmcnt(1)
	v_mul_f64 v[145:146], v[2:3], v[40:41]
	v_mul_f64 v[40:41], v[4:5], v[40:41]
	s_waitcnt vmcnt(5) lgkmcnt(0)
	v_mul_f64 v[32:33], v[22:23], v[149:150]
	v_add_f64 v[26:27], v[28:29], v[26:27]
	v_add_f64 v[28:29], v[43:44], v[155:156]
	v_mul_f64 v[43:44], v[24:25], v[149:150]
	v_fma_f64 v[145:146], v[4:5], v[38:39], v[145:146]
	v_fma_f64 v[38:39], v[2:3], v[38:39], -v[40:41]
	v_fma_f64 v[24:25], v[24:25], v[147:148], v[32:33]
	v_add_f64 v[30:31], v[26:27], v[30:31]
	v_add_f64 v[40:41], v[28:29], v[143:144]
	ds_load_b128 v[2:5], v1 offset:912
	ds_load_b128 v[26:29], v1 offset:928
	v_fma_f64 v[22:23], v[22:23], v[147:148], -v[43:44]
	s_waitcnt vmcnt(4) lgkmcnt(1)
	v_mul_f64 v[143:144], v[2:3], v[36:37]
	v_mul_f64 v[36:37], v[4:5], v[36:37]
	v_add_f64 v[30:31], v[30:31], v[38:39]
	v_add_f64 v[32:33], v[40:41], v[145:146]
	s_waitcnt vmcnt(3) lgkmcnt(0)
	v_mul_f64 v[38:39], v[26:27], v[8:9]
	v_mul_f64 v[8:9], v[28:29], v[8:9]
	v_fma_f64 v[40:41], v[4:5], v[34:35], v[143:144]
	v_fma_f64 v[34:35], v[2:3], v[34:35], -v[36:37]
	v_add_f64 v[30:31], v[30:31], v[22:23]
	v_add_f64 v[32:33], v[32:33], v[24:25]
	ds_load_b128 v[2:5], v1 offset:944
	ds_load_b128 v[22:25], v1 offset:960
	v_fma_f64 v[28:29], v[28:29], v[6:7], v[38:39]
	v_fma_f64 v[6:7], v[26:27], v[6:7], -v[8:9]
	s_waitcnt vmcnt(2) lgkmcnt(1)
	v_mul_f64 v[36:37], v[2:3], v[12:13]
	v_mul_f64 v[12:13], v[4:5], v[12:13]
	v_add_f64 v[8:9], v[30:31], v[34:35]
	v_add_f64 v[26:27], v[32:33], v[40:41]
	s_waitcnt vmcnt(1) lgkmcnt(0)
	v_mul_f64 v[30:31], v[22:23], v[16:17]
	v_mul_f64 v[16:17], v[24:25], v[16:17]
	v_fma_f64 v[32:33], v[4:5], v[10:11], v[36:37]
	v_fma_f64 v[10:11], v[2:3], v[10:11], -v[12:13]
	ds_load_b128 v[2:5], v1 offset:976
	v_add_f64 v[6:7], v[8:9], v[6:7]
	v_add_f64 v[8:9], v[26:27], v[28:29]
	v_fma_f64 v[24:25], v[24:25], v[14:15], v[30:31]
	v_fma_f64 v[14:15], v[22:23], v[14:15], -v[16:17]
	s_waitcnt vmcnt(0) lgkmcnt(0)
	v_mul_f64 v[12:13], v[2:3], v[20:21]
	v_mul_f64 v[20:21], v[4:5], v[20:21]
	v_add_f64 v[6:7], v[6:7], v[10:11]
	v_add_f64 v[8:9], v[8:9], v[32:33]
	s_delay_alu instid0(VALU_DEP_4) | instskip(NEXT) | instid1(VALU_DEP_4)
	v_fma_f64 v[4:5], v[4:5], v[18:19], v[12:13]
	v_fma_f64 v[2:3], v[2:3], v[18:19], -v[20:21]
	s_delay_alu instid0(VALU_DEP_4) | instskip(NEXT) | instid1(VALU_DEP_4)
	v_add_f64 v[6:7], v[6:7], v[14:15]
	v_add_f64 v[8:9], v[8:9], v[24:25]
	s_delay_alu instid0(VALU_DEP_2) | instskip(NEXT) | instid1(VALU_DEP_2)
	v_add_f64 v[2:3], v[6:7], v[2:3]
	v_add_f64 v[4:5], v[8:9], v[4:5]
	s_delay_alu instid0(VALU_DEP_2) | instskip(NEXT) | instid1(VALU_DEP_2)
	v_add_f64 v[2:3], v[139:140], -v[2:3]
	v_add_f64 v[4:5], v[141:142], -v[4:5]
	scratch_store_b128 off, v[2:5], off offset:240
	v_cmpx_lt_u32_e32 14, v108
	s_cbranch_execz .LBB94_171
; %bb.170:
	scratch_load_b128 v[5:8], v117, off
	v_mov_b32_e32 v2, v1
	v_mov_b32_e32 v3, v1
	;; [unrolled: 1-line block ×3, first 2 shown]
	scratch_store_b128 off, v[1:4], off offset:224
	s_waitcnt vmcnt(0)
	ds_store_b128 v42, v[5:8]
.LBB94_171:
	s_or_b32 exec_lo, exec_lo, s2
	s_waitcnt lgkmcnt(0)
	s_waitcnt_vscnt null, 0x0
	s_barrier
	buffer_gl0_inv
	s_clause 0x8
	scratch_load_b128 v[2:5], off, off offset:240
	scratch_load_b128 v[6:9], off, off offset:256
	;; [unrolled: 1-line block ×9, first 2 shown]
	ds_load_b128 v[38:41], v1 offset:736
	ds_load_b128 v[139:142], v1 offset:752
	s_clause 0x1
	scratch_load_b128 v[143:146], off, off offset:224
	scratch_load_b128 v[147:150], off, off offset:384
	s_mov_b32 s2, exec_lo
	ds_load_b128 v[151:154], v1 offset:784
	s_waitcnt vmcnt(10) lgkmcnt(2)
	v_mul_f64 v[43:44], v[40:41], v[4:5]
	v_mul_f64 v[4:5], v[38:39], v[4:5]
	s_waitcnt vmcnt(9) lgkmcnt(1)
	v_mul_f64 v[155:156], v[139:140], v[8:9]
	v_mul_f64 v[8:9], v[141:142], v[8:9]
	s_delay_alu instid0(VALU_DEP_4) | instskip(NEXT) | instid1(VALU_DEP_4)
	v_fma_f64 v[43:44], v[38:39], v[2:3], -v[43:44]
	v_fma_f64 v[157:158], v[40:41], v[2:3], v[4:5]
	ds_load_b128 v[2:5], v1 offset:768
	scratch_load_b128 v[38:41], off, off offset:400
	v_fma_f64 v[141:142], v[141:142], v[6:7], v[155:156]
	v_fma_f64 v[139:140], v[139:140], v[6:7], -v[8:9]
	scratch_load_b128 v[6:9], off, off offset:416
	s_waitcnt vmcnt(10) lgkmcnt(0)
	v_mul_f64 v[159:160], v[2:3], v[12:13]
	v_mul_f64 v[12:13], v[4:5], v[12:13]
	v_add_f64 v[43:44], v[43:44], 0
	v_add_f64 v[155:156], v[157:158], 0
	s_waitcnt vmcnt(9)
	v_mul_f64 v[157:158], v[151:152], v[16:17]
	v_mul_f64 v[16:17], v[153:154], v[16:17]
	v_fma_f64 v[159:160], v[4:5], v[10:11], v[159:160]
	v_fma_f64 v[161:162], v[2:3], v[10:11], -v[12:13]
	ds_load_b128 v[2:5], v1 offset:800
	scratch_load_b128 v[10:13], off, off offset:432
	v_add_f64 v[43:44], v[43:44], v[139:140]
	v_add_f64 v[155:156], v[155:156], v[141:142]
	ds_load_b128 v[139:142], v1 offset:816
	v_fma_f64 v[153:154], v[153:154], v[14:15], v[157:158]
	v_fma_f64 v[151:152], v[151:152], v[14:15], -v[16:17]
	scratch_load_b128 v[14:17], off, off offset:448
	s_waitcnt vmcnt(10) lgkmcnt(1)
	v_mul_f64 v[163:164], v[2:3], v[20:21]
	v_mul_f64 v[20:21], v[4:5], v[20:21]
	s_waitcnt vmcnt(9) lgkmcnt(0)
	v_mul_f64 v[157:158], v[139:140], v[24:25]
	v_mul_f64 v[24:25], v[141:142], v[24:25]
	v_add_f64 v[43:44], v[43:44], v[161:162]
	v_add_f64 v[155:156], v[155:156], v[159:160]
	v_fma_f64 v[159:160], v[4:5], v[18:19], v[163:164]
	v_fma_f64 v[161:162], v[2:3], v[18:19], -v[20:21]
	ds_load_b128 v[2:5], v1 offset:832
	scratch_load_b128 v[18:21], off, off offset:464
	v_fma_f64 v[141:142], v[141:142], v[22:23], v[157:158]
	v_fma_f64 v[139:140], v[139:140], v[22:23], -v[24:25]
	scratch_load_b128 v[22:25], off, off offset:480
	v_add_f64 v[43:44], v[43:44], v[151:152]
	v_add_f64 v[155:156], v[155:156], v[153:154]
	ds_load_b128 v[151:154], v1 offset:848
	s_waitcnt vmcnt(10) lgkmcnt(1)
	v_mul_f64 v[163:164], v[2:3], v[28:29]
	v_mul_f64 v[28:29], v[4:5], v[28:29]
	s_waitcnt vmcnt(9) lgkmcnt(0)
	v_mul_f64 v[157:158], v[151:152], v[32:33]
	v_mul_f64 v[32:33], v[153:154], v[32:33]
	v_add_f64 v[43:44], v[43:44], v[161:162]
	v_add_f64 v[155:156], v[155:156], v[159:160]
	v_fma_f64 v[159:160], v[4:5], v[26:27], v[163:164]
	v_fma_f64 v[161:162], v[2:3], v[26:27], -v[28:29]
	ds_load_b128 v[2:5], v1 offset:864
	ds_load_b128 v[26:29], v1 offset:880
	v_fma_f64 v[153:154], v[153:154], v[30:31], v[157:158]
	v_fma_f64 v[30:31], v[151:152], v[30:31], -v[32:33]
	v_add_f64 v[43:44], v[43:44], v[139:140]
	v_add_f64 v[139:140], v[155:156], v[141:142]
	s_waitcnt vmcnt(8) lgkmcnt(1)
	v_mul_f64 v[141:142], v[2:3], v[36:37]
	v_mul_f64 v[36:37], v[4:5], v[36:37]
	s_delay_alu instid0(VALU_DEP_4) | instskip(NEXT) | instid1(VALU_DEP_4)
	v_add_f64 v[32:33], v[43:44], v[161:162]
	v_add_f64 v[43:44], v[139:140], v[159:160]
	s_waitcnt vmcnt(6) lgkmcnt(0)
	v_mul_f64 v[139:140], v[26:27], v[149:150]
	v_mul_f64 v[149:150], v[28:29], v[149:150]
	v_fma_f64 v[141:142], v[4:5], v[34:35], v[141:142]
	v_fma_f64 v[34:35], v[2:3], v[34:35], -v[36:37]
	v_add_f64 v[36:37], v[32:33], v[30:31]
	v_add_f64 v[43:44], v[43:44], v[153:154]
	ds_load_b128 v[2:5], v1 offset:896
	ds_load_b128 v[30:33], v1 offset:912
	v_fma_f64 v[28:29], v[28:29], v[147:148], v[139:140]
	v_fma_f64 v[26:27], v[26:27], v[147:148], -v[149:150]
	s_waitcnt vmcnt(5) lgkmcnt(1)
	v_mul_f64 v[151:152], v[2:3], v[40:41]
	v_mul_f64 v[40:41], v[4:5], v[40:41]
	v_add_f64 v[34:35], v[36:37], v[34:35]
	v_add_f64 v[36:37], v[43:44], v[141:142]
	s_waitcnt vmcnt(4) lgkmcnt(0)
	v_mul_f64 v[43:44], v[30:31], v[8:9]
	v_mul_f64 v[8:9], v[32:33], v[8:9]
	v_fma_f64 v[139:140], v[4:5], v[38:39], v[151:152]
	v_fma_f64 v[38:39], v[2:3], v[38:39], -v[40:41]
	v_add_f64 v[34:35], v[34:35], v[26:27]
	v_add_f64 v[36:37], v[36:37], v[28:29]
	ds_load_b128 v[2:5], v1 offset:928
	ds_load_b128 v[26:29], v1 offset:944
	v_fma_f64 v[32:33], v[32:33], v[6:7], v[43:44]
	v_fma_f64 v[6:7], v[30:31], v[6:7], -v[8:9]
	s_waitcnt vmcnt(3) lgkmcnt(1)
	v_mul_f64 v[40:41], v[2:3], v[12:13]
	v_mul_f64 v[12:13], v[4:5], v[12:13]
	;; [unrolled: 16-line block ×3, first 2 shown]
	s_waitcnt vmcnt(0) lgkmcnt(0)
	v_mul_f64 v[16:17], v[6:7], v[24:25]
	v_mul_f64 v[24:25], v[8:9], v[24:25]
	v_add_f64 v[10:11], v[12:13], v[10:11]
	v_add_f64 v[12:13], v[30:31], v[36:37]
	v_fma_f64 v[4:5], v[4:5], v[18:19], v[32:33]
	v_fma_f64 v[1:2], v[2:3], v[18:19], -v[20:21]
	v_fma_f64 v[8:9], v[8:9], v[22:23], v[16:17]
	v_fma_f64 v[6:7], v[6:7], v[22:23], -v[24:25]
	v_add_f64 v[10:11], v[10:11], v[14:15]
	v_add_f64 v[12:13], v[12:13], v[28:29]
	s_delay_alu instid0(VALU_DEP_2) | instskip(NEXT) | instid1(VALU_DEP_2)
	v_add_f64 v[1:2], v[10:11], v[1:2]
	v_add_f64 v[3:4], v[12:13], v[4:5]
	s_delay_alu instid0(VALU_DEP_2) | instskip(NEXT) | instid1(VALU_DEP_2)
	;; [unrolled: 3-line block ×3, first 2 shown]
	v_add_f64 v[1:2], v[143:144], -v[1:2]
	v_add_f64 v[3:4], v[145:146], -v[3:4]
	scratch_store_b128 off, v[1:4], off offset:224
	v_cmpx_lt_u32_e32 13, v108
	s_cbranch_execz .LBB94_173
; %bb.172:
	scratch_load_b128 v[1:4], v119, off
	v_mov_b32_e32 v5, 0
	s_delay_alu instid0(VALU_DEP_1)
	v_mov_b32_e32 v6, v5
	v_mov_b32_e32 v7, v5
	;; [unrolled: 1-line block ×3, first 2 shown]
	scratch_store_b128 off, v[5:8], off offset:208
	s_waitcnt vmcnt(0)
	ds_store_b128 v42, v[1:4]
.LBB94_173:
	s_or_b32 exec_lo, exec_lo, s2
	s_waitcnt lgkmcnt(0)
	s_waitcnt_vscnt null, 0x0
	s_barrier
	buffer_gl0_inv
	s_clause 0x7
	scratch_load_b128 v[2:5], off, off offset:224
	scratch_load_b128 v[6:9], off, off offset:240
	;; [unrolled: 1-line block ×8, first 2 shown]
	v_mov_b32_e32 v1, 0
	s_mov_b32 s2, exec_lo
	ds_load_b128 v[34:37], v1 offset:720
	s_clause 0x1
	scratch_load_b128 v[38:41], off, off offset:352
	scratch_load_b128 v[139:142], off, off offset:208
	ds_load_b128 v[143:146], v1 offset:736
	scratch_load_b128 v[147:150], off, off offset:368
	ds_load_b128 v[151:154], v1 offset:768
	s_waitcnt vmcnt(10) lgkmcnt(2)
	v_mul_f64 v[43:44], v[36:37], v[4:5]
	v_mul_f64 v[4:5], v[34:35], v[4:5]
	s_delay_alu instid0(VALU_DEP_2) | instskip(NEXT) | instid1(VALU_DEP_2)
	v_fma_f64 v[43:44], v[34:35], v[2:3], -v[43:44]
	v_fma_f64 v[157:158], v[36:37], v[2:3], v[4:5]
	ds_load_b128 v[2:5], v1 offset:752
	s_waitcnt vmcnt(9) lgkmcnt(2)
	v_mul_f64 v[155:156], v[143:144], v[8:9]
	v_mul_f64 v[8:9], v[145:146], v[8:9]
	scratch_load_b128 v[34:37], off, off offset:384
	s_waitcnt vmcnt(9) lgkmcnt(0)
	v_mul_f64 v[159:160], v[2:3], v[12:13]
	v_mul_f64 v[12:13], v[4:5], v[12:13]
	v_add_f64 v[43:44], v[43:44], 0
	v_fma_f64 v[145:146], v[145:146], v[6:7], v[155:156]
	v_fma_f64 v[143:144], v[143:144], v[6:7], -v[8:9]
	v_add_f64 v[155:156], v[157:158], 0
	scratch_load_b128 v[6:9], off, off offset:400
	v_fma_f64 v[159:160], v[4:5], v[10:11], v[159:160]
	v_fma_f64 v[161:162], v[2:3], v[10:11], -v[12:13]
	scratch_load_b128 v[10:13], off, off offset:416
	ds_load_b128 v[2:5], v1 offset:784
	s_waitcnt vmcnt(10)
	v_mul_f64 v[157:158], v[151:152], v[16:17]
	v_mul_f64 v[16:17], v[153:154], v[16:17]
	v_add_f64 v[43:44], v[43:44], v[143:144]
	v_add_f64 v[155:156], v[155:156], v[145:146]
	ds_load_b128 v[143:146], v1 offset:800
	s_waitcnt vmcnt(9) lgkmcnt(1)
	v_mul_f64 v[163:164], v[2:3], v[20:21]
	v_mul_f64 v[20:21], v[4:5], v[20:21]
	v_fma_f64 v[153:154], v[153:154], v[14:15], v[157:158]
	v_fma_f64 v[151:152], v[151:152], v[14:15], -v[16:17]
	scratch_load_b128 v[14:17], off, off offset:432
	v_add_f64 v[43:44], v[43:44], v[161:162]
	v_add_f64 v[155:156], v[155:156], v[159:160]
	v_fma_f64 v[159:160], v[4:5], v[18:19], v[163:164]
	v_fma_f64 v[161:162], v[2:3], v[18:19], -v[20:21]
	scratch_load_b128 v[18:21], off, off offset:448
	ds_load_b128 v[2:5], v1 offset:816
	s_waitcnt vmcnt(10) lgkmcnt(1)
	v_mul_f64 v[157:158], v[143:144], v[24:25]
	v_mul_f64 v[24:25], v[145:146], v[24:25]
	s_waitcnt vmcnt(9) lgkmcnt(0)
	v_mul_f64 v[163:164], v[2:3], v[28:29]
	v_mul_f64 v[28:29], v[4:5], v[28:29]
	v_add_f64 v[43:44], v[43:44], v[151:152]
	v_add_f64 v[155:156], v[155:156], v[153:154]
	ds_load_b128 v[151:154], v1 offset:832
	v_fma_f64 v[145:146], v[145:146], v[22:23], v[157:158]
	v_fma_f64 v[143:144], v[143:144], v[22:23], -v[24:25]
	scratch_load_b128 v[22:25], off, off offset:464
	v_add_f64 v[43:44], v[43:44], v[161:162]
	v_add_f64 v[155:156], v[155:156], v[159:160]
	v_fma_f64 v[159:160], v[4:5], v[26:27], v[163:164]
	v_fma_f64 v[161:162], v[2:3], v[26:27], -v[28:29]
	scratch_load_b128 v[26:29], off, off offset:480
	ds_load_b128 v[2:5], v1 offset:848
	s_waitcnt vmcnt(10) lgkmcnt(1)
	v_mul_f64 v[157:158], v[151:152], v[32:33]
	v_mul_f64 v[32:33], v[153:154], v[32:33]
	s_waitcnt vmcnt(9) lgkmcnt(0)
	v_mul_f64 v[163:164], v[2:3], v[40:41]
	v_mul_f64 v[40:41], v[4:5], v[40:41]
	v_add_f64 v[43:44], v[43:44], v[143:144]
	v_add_f64 v[155:156], v[155:156], v[145:146]
	ds_load_b128 v[143:146], v1 offset:864
	v_fma_f64 v[153:154], v[153:154], v[30:31], v[157:158]
	v_fma_f64 v[30:31], v[151:152], v[30:31], -v[32:33]
	s_waitcnt vmcnt(7) lgkmcnt(0)
	v_mul_f64 v[151:152], v[143:144], v[149:150]
	v_mul_f64 v[149:150], v[145:146], v[149:150]
	v_add_f64 v[32:33], v[43:44], v[161:162]
	v_add_f64 v[43:44], v[155:156], v[159:160]
	v_fma_f64 v[155:156], v[4:5], v[38:39], v[163:164]
	v_fma_f64 v[38:39], v[2:3], v[38:39], -v[40:41]
	v_fma_f64 v[145:146], v[145:146], v[147:148], v[151:152]
	v_fma_f64 v[143:144], v[143:144], v[147:148], -v[149:150]
	v_add_f64 v[40:41], v[32:33], v[30:31]
	v_add_f64 v[43:44], v[43:44], v[153:154]
	ds_load_b128 v[2:5], v1 offset:880
	ds_load_b128 v[30:33], v1 offset:896
	s_waitcnt vmcnt(6) lgkmcnt(1)
	v_mul_f64 v[153:154], v[2:3], v[36:37]
	v_mul_f64 v[36:37], v[4:5], v[36:37]
	v_add_f64 v[38:39], v[40:41], v[38:39]
	v_add_f64 v[40:41], v[43:44], v[155:156]
	s_waitcnt vmcnt(5) lgkmcnt(0)
	v_mul_f64 v[43:44], v[30:31], v[8:9]
	v_mul_f64 v[8:9], v[32:33], v[8:9]
	v_fma_f64 v[147:148], v[4:5], v[34:35], v[153:154]
	v_fma_f64 v[149:150], v[2:3], v[34:35], -v[36:37]
	ds_load_b128 v[2:5], v1 offset:912
	ds_load_b128 v[34:37], v1 offset:928
	v_add_f64 v[38:39], v[38:39], v[143:144]
	v_add_f64 v[40:41], v[40:41], v[145:146]
	s_waitcnt vmcnt(4) lgkmcnt(1)
	v_mul_f64 v[143:144], v[2:3], v[12:13]
	v_mul_f64 v[12:13], v[4:5], v[12:13]
	v_fma_f64 v[32:33], v[32:33], v[6:7], v[43:44]
	v_fma_f64 v[6:7], v[30:31], v[6:7], -v[8:9]
	v_add_f64 v[8:9], v[38:39], v[149:150]
	v_add_f64 v[30:31], v[40:41], v[147:148]
	s_waitcnt vmcnt(3) lgkmcnt(0)
	v_mul_f64 v[38:39], v[34:35], v[16:17]
	v_mul_f64 v[16:17], v[36:37], v[16:17]
	v_fma_f64 v[40:41], v[4:5], v[10:11], v[143:144]
	v_fma_f64 v[10:11], v[2:3], v[10:11], -v[12:13]
	v_add_f64 v[12:13], v[8:9], v[6:7]
	v_add_f64 v[30:31], v[30:31], v[32:33]
	ds_load_b128 v[2:5], v1 offset:944
	ds_load_b128 v[6:9], v1 offset:960
	v_fma_f64 v[36:37], v[36:37], v[14:15], v[38:39]
	v_fma_f64 v[14:15], v[34:35], v[14:15], -v[16:17]
	s_waitcnt vmcnt(2) lgkmcnt(1)
	v_mul_f64 v[32:33], v[2:3], v[20:21]
	v_mul_f64 v[20:21], v[4:5], v[20:21]
	s_waitcnt vmcnt(1) lgkmcnt(0)
	v_mul_f64 v[16:17], v[6:7], v[24:25]
	v_mul_f64 v[24:25], v[8:9], v[24:25]
	v_add_f64 v[10:11], v[12:13], v[10:11]
	v_add_f64 v[12:13], v[30:31], v[40:41]
	v_fma_f64 v[30:31], v[4:5], v[18:19], v[32:33]
	v_fma_f64 v[18:19], v[2:3], v[18:19], -v[20:21]
	ds_load_b128 v[2:5], v1 offset:976
	v_fma_f64 v[8:9], v[8:9], v[22:23], v[16:17]
	v_fma_f64 v[6:7], v[6:7], v[22:23], -v[24:25]
	v_add_f64 v[10:11], v[10:11], v[14:15]
	v_add_f64 v[12:13], v[12:13], v[36:37]
	s_waitcnt vmcnt(0) lgkmcnt(0)
	v_mul_f64 v[14:15], v[2:3], v[28:29]
	v_mul_f64 v[20:21], v[4:5], v[28:29]
	s_delay_alu instid0(VALU_DEP_4) | instskip(NEXT) | instid1(VALU_DEP_4)
	v_add_f64 v[10:11], v[10:11], v[18:19]
	v_add_f64 v[12:13], v[12:13], v[30:31]
	s_delay_alu instid0(VALU_DEP_4) | instskip(NEXT) | instid1(VALU_DEP_4)
	v_fma_f64 v[4:5], v[4:5], v[26:27], v[14:15]
	v_fma_f64 v[2:3], v[2:3], v[26:27], -v[20:21]
	s_delay_alu instid0(VALU_DEP_4) | instskip(NEXT) | instid1(VALU_DEP_4)
	v_add_f64 v[6:7], v[10:11], v[6:7]
	v_add_f64 v[8:9], v[12:13], v[8:9]
	s_delay_alu instid0(VALU_DEP_2) | instskip(NEXT) | instid1(VALU_DEP_2)
	v_add_f64 v[2:3], v[6:7], v[2:3]
	v_add_f64 v[4:5], v[8:9], v[4:5]
	s_delay_alu instid0(VALU_DEP_2) | instskip(NEXT) | instid1(VALU_DEP_2)
	v_add_f64 v[2:3], v[139:140], -v[2:3]
	v_add_f64 v[4:5], v[141:142], -v[4:5]
	scratch_store_b128 off, v[2:5], off offset:208
	v_cmpx_lt_u32_e32 12, v108
	s_cbranch_execz .LBB94_175
; %bb.174:
	scratch_load_b128 v[5:8], v118, off
	v_mov_b32_e32 v2, v1
	v_mov_b32_e32 v3, v1
	;; [unrolled: 1-line block ×3, first 2 shown]
	scratch_store_b128 off, v[1:4], off offset:192
	s_waitcnt vmcnt(0)
	ds_store_b128 v42, v[5:8]
.LBB94_175:
	s_or_b32 exec_lo, exec_lo, s2
	s_waitcnt lgkmcnt(0)
	s_waitcnt_vscnt null, 0x0
	s_barrier
	buffer_gl0_inv
	s_clause 0x8
	scratch_load_b128 v[2:5], off, off offset:208
	scratch_load_b128 v[6:9], off, off offset:224
	;; [unrolled: 1-line block ×9, first 2 shown]
	ds_load_b128 v[38:41], v1 offset:704
	ds_load_b128 v[139:142], v1 offset:720
	s_clause 0x1
	scratch_load_b128 v[143:146], off, off offset:192
	scratch_load_b128 v[147:150], off, off offset:352
	s_mov_b32 s2, exec_lo
	ds_load_b128 v[151:154], v1 offset:752
	s_waitcnt vmcnt(10) lgkmcnt(2)
	v_mul_f64 v[43:44], v[40:41], v[4:5]
	v_mul_f64 v[4:5], v[38:39], v[4:5]
	s_waitcnt vmcnt(9) lgkmcnt(1)
	v_mul_f64 v[155:156], v[139:140], v[8:9]
	v_mul_f64 v[8:9], v[141:142], v[8:9]
	s_delay_alu instid0(VALU_DEP_4) | instskip(NEXT) | instid1(VALU_DEP_4)
	v_fma_f64 v[43:44], v[38:39], v[2:3], -v[43:44]
	v_fma_f64 v[157:158], v[40:41], v[2:3], v[4:5]
	ds_load_b128 v[2:5], v1 offset:736
	scratch_load_b128 v[38:41], off, off offset:368
	v_fma_f64 v[141:142], v[141:142], v[6:7], v[155:156]
	v_fma_f64 v[139:140], v[139:140], v[6:7], -v[8:9]
	scratch_load_b128 v[6:9], off, off offset:384
	s_waitcnt vmcnt(10) lgkmcnt(0)
	v_mul_f64 v[159:160], v[2:3], v[12:13]
	v_mul_f64 v[12:13], v[4:5], v[12:13]
	v_add_f64 v[43:44], v[43:44], 0
	v_add_f64 v[155:156], v[157:158], 0
	s_waitcnt vmcnt(9)
	v_mul_f64 v[157:158], v[151:152], v[16:17]
	v_mul_f64 v[16:17], v[153:154], v[16:17]
	v_fma_f64 v[159:160], v[4:5], v[10:11], v[159:160]
	v_fma_f64 v[161:162], v[2:3], v[10:11], -v[12:13]
	ds_load_b128 v[2:5], v1 offset:768
	scratch_load_b128 v[10:13], off, off offset:400
	v_add_f64 v[43:44], v[43:44], v[139:140]
	v_add_f64 v[155:156], v[155:156], v[141:142]
	ds_load_b128 v[139:142], v1 offset:784
	v_fma_f64 v[153:154], v[153:154], v[14:15], v[157:158]
	v_fma_f64 v[151:152], v[151:152], v[14:15], -v[16:17]
	scratch_load_b128 v[14:17], off, off offset:416
	s_waitcnt vmcnt(10) lgkmcnt(1)
	v_mul_f64 v[163:164], v[2:3], v[20:21]
	v_mul_f64 v[20:21], v[4:5], v[20:21]
	s_waitcnt vmcnt(9) lgkmcnt(0)
	v_mul_f64 v[157:158], v[139:140], v[24:25]
	v_mul_f64 v[24:25], v[141:142], v[24:25]
	v_add_f64 v[43:44], v[43:44], v[161:162]
	v_add_f64 v[155:156], v[155:156], v[159:160]
	v_fma_f64 v[159:160], v[4:5], v[18:19], v[163:164]
	v_fma_f64 v[161:162], v[2:3], v[18:19], -v[20:21]
	ds_load_b128 v[2:5], v1 offset:800
	scratch_load_b128 v[18:21], off, off offset:432
	v_fma_f64 v[141:142], v[141:142], v[22:23], v[157:158]
	v_fma_f64 v[139:140], v[139:140], v[22:23], -v[24:25]
	scratch_load_b128 v[22:25], off, off offset:448
	v_add_f64 v[43:44], v[43:44], v[151:152]
	v_add_f64 v[155:156], v[155:156], v[153:154]
	ds_load_b128 v[151:154], v1 offset:816
	s_waitcnt vmcnt(10) lgkmcnt(1)
	v_mul_f64 v[163:164], v[2:3], v[28:29]
	v_mul_f64 v[28:29], v[4:5], v[28:29]
	s_waitcnt vmcnt(9) lgkmcnt(0)
	v_mul_f64 v[157:158], v[151:152], v[32:33]
	v_mul_f64 v[32:33], v[153:154], v[32:33]
	v_add_f64 v[43:44], v[43:44], v[161:162]
	v_add_f64 v[155:156], v[155:156], v[159:160]
	v_fma_f64 v[159:160], v[4:5], v[26:27], v[163:164]
	v_fma_f64 v[161:162], v[2:3], v[26:27], -v[28:29]
	ds_load_b128 v[2:5], v1 offset:832
	scratch_load_b128 v[26:29], off, off offset:464
	v_fma_f64 v[153:154], v[153:154], v[30:31], v[157:158]
	v_fma_f64 v[151:152], v[151:152], v[30:31], -v[32:33]
	scratch_load_b128 v[30:33], off, off offset:480
	v_add_f64 v[43:44], v[43:44], v[139:140]
	v_add_f64 v[155:156], v[155:156], v[141:142]
	ds_load_b128 v[139:142], v1 offset:848
	s_waitcnt vmcnt(10) lgkmcnt(1)
	v_mul_f64 v[163:164], v[2:3], v[36:37]
	v_mul_f64 v[36:37], v[4:5], v[36:37]
	s_waitcnt vmcnt(8) lgkmcnt(0)
	v_mul_f64 v[157:158], v[139:140], v[149:150]
	v_mul_f64 v[149:150], v[141:142], v[149:150]
	v_add_f64 v[43:44], v[43:44], v[161:162]
	v_add_f64 v[155:156], v[155:156], v[159:160]
	v_fma_f64 v[159:160], v[4:5], v[34:35], v[163:164]
	v_fma_f64 v[161:162], v[2:3], v[34:35], -v[36:37]
	ds_load_b128 v[2:5], v1 offset:864
	ds_load_b128 v[34:37], v1 offset:880
	v_fma_f64 v[141:142], v[141:142], v[147:148], v[157:158]
	v_fma_f64 v[139:140], v[139:140], v[147:148], -v[149:150]
	v_add_f64 v[43:44], v[43:44], v[151:152]
	v_add_f64 v[151:152], v[155:156], v[153:154]
	s_waitcnt vmcnt(7) lgkmcnt(1)
	v_mul_f64 v[153:154], v[2:3], v[40:41]
	v_mul_f64 v[40:41], v[4:5], v[40:41]
	s_waitcnt vmcnt(6) lgkmcnt(0)
	v_mul_f64 v[149:150], v[34:35], v[8:9]
	v_mul_f64 v[8:9], v[36:37], v[8:9]
	v_add_f64 v[43:44], v[43:44], v[161:162]
	v_add_f64 v[147:148], v[151:152], v[159:160]
	v_fma_f64 v[151:152], v[4:5], v[38:39], v[153:154]
	v_fma_f64 v[153:154], v[2:3], v[38:39], -v[40:41]
	ds_load_b128 v[2:5], v1 offset:896
	ds_load_b128 v[38:41], v1 offset:912
	v_fma_f64 v[36:37], v[36:37], v[6:7], v[149:150]
	v_fma_f64 v[6:7], v[34:35], v[6:7], -v[8:9]
	v_add_f64 v[43:44], v[43:44], v[139:140]
	v_add_f64 v[139:140], v[147:148], v[141:142]
	s_waitcnt vmcnt(5) lgkmcnt(1)
	v_mul_f64 v[141:142], v[2:3], v[12:13]
	v_mul_f64 v[12:13], v[4:5], v[12:13]
	s_delay_alu instid0(VALU_DEP_4) | instskip(NEXT) | instid1(VALU_DEP_4)
	v_add_f64 v[8:9], v[43:44], v[153:154]
	v_add_f64 v[34:35], v[139:140], v[151:152]
	s_waitcnt vmcnt(4) lgkmcnt(0)
	v_mul_f64 v[43:44], v[38:39], v[16:17]
	v_mul_f64 v[16:17], v[40:41], v[16:17]
	v_fma_f64 v[139:140], v[4:5], v[10:11], v[141:142]
	v_fma_f64 v[10:11], v[2:3], v[10:11], -v[12:13]
	v_add_f64 v[12:13], v[8:9], v[6:7]
	v_add_f64 v[34:35], v[34:35], v[36:37]
	ds_load_b128 v[2:5], v1 offset:928
	ds_load_b128 v[6:9], v1 offset:944
	v_fma_f64 v[40:41], v[40:41], v[14:15], v[43:44]
	v_fma_f64 v[14:15], v[38:39], v[14:15], -v[16:17]
	s_waitcnt vmcnt(3) lgkmcnt(1)
	v_mul_f64 v[36:37], v[2:3], v[20:21]
	v_mul_f64 v[20:21], v[4:5], v[20:21]
	s_waitcnt vmcnt(2) lgkmcnt(0)
	v_mul_f64 v[16:17], v[6:7], v[24:25]
	v_mul_f64 v[24:25], v[8:9], v[24:25]
	v_add_f64 v[10:11], v[12:13], v[10:11]
	v_add_f64 v[12:13], v[34:35], v[139:140]
	v_fma_f64 v[34:35], v[4:5], v[18:19], v[36:37]
	v_fma_f64 v[18:19], v[2:3], v[18:19], -v[20:21]
	v_fma_f64 v[8:9], v[8:9], v[22:23], v[16:17]
	v_fma_f64 v[6:7], v[6:7], v[22:23], -v[24:25]
	v_add_f64 v[14:15], v[10:11], v[14:15]
	v_add_f64 v[20:21], v[12:13], v[40:41]
	ds_load_b128 v[2:5], v1 offset:960
	ds_load_b128 v[10:13], v1 offset:976
	s_waitcnt vmcnt(1) lgkmcnt(1)
	v_mul_f64 v[36:37], v[2:3], v[28:29]
	v_mul_f64 v[28:29], v[4:5], v[28:29]
	v_add_f64 v[14:15], v[14:15], v[18:19]
	v_add_f64 v[16:17], v[20:21], v[34:35]
	s_waitcnt vmcnt(0) lgkmcnt(0)
	v_mul_f64 v[18:19], v[10:11], v[32:33]
	v_mul_f64 v[20:21], v[12:13], v[32:33]
	v_fma_f64 v[4:5], v[4:5], v[26:27], v[36:37]
	v_fma_f64 v[1:2], v[2:3], v[26:27], -v[28:29]
	v_add_f64 v[6:7], v[14:15], v[6:7]
	v_add_f64 v[8:9], v[16:17], v[8:9]
	v_fma_f64 v[12:13], v[12:13], v[30:31], v[18:19]
	v_fma_f64 v[10:11], v[10:11], v[30:31], -v[20:21]
	s_delay_alu instid0(VALU_DEP_4) | instskip(NEXT) | instid1(VALU_DEP_4)
	v_add_f64 v[1:2], v[6:7], v[1:2]
	v_add_f64 v[3:4], v[8:9], v[4:5]
	s_delay_alu instid0(VALU_DEP_2) | instskip(NEXT) | instid1(VALU_DEP_2)
	v_add_f64 v[1:2], v[1:2], v[10:11]
	v_add_f64 v[3:4], v[3:4], v[12:13]
	s_delay_alu instid0(VALU_DEP_2) | instskip(NEXT) | instid1(VALU_DEP_2)
	v_add_f64 v[1:2], v[143:144], -v[1:2]
	v_add_f64 v[3:4], v[145:146], -v[3:4]
	scratch_store_b128 off, v[1:4], off offset:192
	v_cmpx_lt_u32_e32 11, v108
	s_cbranch_execz .LBB94_177
; %bb.176:
	scratch_load_b128 v[1:4], v120, off
	v_mov_b32_e32 v5, 0
	s_delay_alu instid0(VALU_DEP_1)
	v_mov_b32_e32 v6, v5
	v_mov_b32_e32 v7, v5
	v_mov_b32_e32 v8, v5
	scratch_store_b128 off, v[5:8], off offset:176
	s_waitcnt vmcnt(0)
	ds_store_b128 v42, v[1:4]
.LBB94_177:
	s_or_b32 exec_lo, exec_lo, s2
	s_waitcnt lgkmcnt(0)
	s_waitcnt_vscnt null, 0x0
	s_barrier
	buffer_gl0_inv
	s_clause 0x7
	scratch_load_b128 v[2:5], off, off offset:192
	scratch_load_b128 v[6:9], off, off offset:208
	;; [unrolled: 1-line block ×8, first 2 shown]
	v_mov_b32_e32 v1, 0
	s_mov_b32 s2, exec_lo
	ds_load_b128 v[34:37], v1 offset:688
	s_clause 0x1
	scratch_load_b128 v[38:41], off, off offset:320
	scratch_load_b128 v[139:142], off, off offset:176
	ds_load_b128 v[143:146], v1 offset:704
	scratch_load_b128 v[147:150], off, off offset:336
	ds_load_b128 v[151:154], v1 offset:736
	s_waitcnt vmcnt(10) lgkmcnt(2)
	v_mul_f64 v[43:44], v[36:37], v[4:5]
	v_mul_f64 v[4:5], v[34:35], v[4:5]
	s_delay_alu instid0(VALU_DEP_2) | instskip(NEXT) | instid1(VALU_DEP_2)
	v_fma_f64 v[43:44], v[34:35], v[2:3], -v[43:44]
	v_fma_f64 v[157:158], v[36:37], v[2:3], v[4:5]
	ds_load_b128 v[2:5], v1 offset:720
	s_waitcnt vmcnt(9) lgkmcnt(2)
	v_mul_f64 v[155:156], v[143:144], v[8:9]
	v_mul_f64 v[8:9], v[145:146], v[8:9]
	scratch_load_b128 v[34:37], off, off offset:352
	s_waitcnt vmcnt(9) lgkmcnt(0)
	v_mul_f64 v[159:160], v[2:3], v[12:13]
	v_mul_f64 v[12:13], v[4:5], v[12:13]
	v_add_f64 v[43:44], v[43:44], 0
	v_fma_f64 v[145:146], v[145:146], v[6:7], v[155:156]
	v_fma_f64 v[143:144], v[143:144], v[6:7], -v[8:9]
	v_add_f64 v[155:156], v[157:158], 0
	scratch_load_b128 v[6:9], off, off offset:368
	v_fma_f64 v[159:160], v[4:5], v[10:11], v[159:160]
	v_fma_f64 v[161:162], v[2:3], v[10:11], -v[12:13]
	scratch_load_b128 v[10:13], off, off offset:384
	ds_load_b128 v[2:5], v1 offset:752
	s_waitcnt vmcnt(10)
	v_mul_f64 v[157:158], v[151:152], v[16:17]
	v_mul_f64 v[16:17], v[153:154], v[16:17]
	v_add_f64 v[43:44], v[43:44], v[143:144]
	v_add_f64 v[155:156], v[155:156], v[145:146]
	ds_load_b128 v[143:146], v1 offset:768
	s_waitcnt vmcnt(9) lgkmcnt(1)
	v_mul_f64 v[163:164], v[2:3], v[20:21]
	v_mul_f64 v[20:21], v[4:5], v[20:21]
	v_fma_f64 v[153:154], v[153:154], v[14:15], v[157:158]
	v_fma_f64 v[151:152], v[151:152], v[14:15], -v[16:17]
	scratch_load_b128 v[14:17], off, off offset:400
	v_add_f64 v[43:44], v[43:44], v[161:162]
	v_add_f64 v[155:156], v[155:156], v[159:160]
	v_fma_f64 v[159:160], v[4:5], v[18:19], v[163:164]
	v_fma_f64 v[161:162], v[2:3], v[18:19], -v[20:21]
	scratch_load_b128 v[18:21], off, off offset:416
	ds_load_b128 v[2:5], v1 offset:784
	s_waitcnt vmcnt(10) lgkmcnt(1)
	v_mul_f64 v[157:158], v[143:144], v[24:25]
	v_mul_f64 v[24:25], v[145:146], v[24:25]
	s_waitcnt vmcnt(9) lgkmcnt(0)
	v_mul_f64 v[163:164], v[2:3], v[28:29]
	v_mul_f64 v[28:29], v[4:5], v[28:29]
	v_add_f64 v[43:44], v[43:44], v[151:152]
	v_add_f64 v[155:156], v[155:156], v[153:154]
	ds_load_b128 v[151:154], v1 offset:800
	v_fma_f64 v[145:146], v[145:146], v[22:23], v[157:158]
	v_fma_f64 v[143:144], v[143:144], v[22:23], -v[24:25]
	scratch_load_b128 v[22:25], off, off offset:432
	v_add_f64 v[43:44], v[43:44], v[161:162]
	v_add_f64 v[155:156], v[155:156], v[159:160]
	v_fma_f64 v[159:160], v[4:5], v[26:27], v[163:164]
	v_fma_f64 v[161:162], v[2:3], v[26:27], -v[28:29]
	scratch_load_b128 v[26:29], off, off offset:448
	ds_load_b128 v[2:5], v1 offset:816
	s_waitcnt vmcnt(10) lgkmcnt(1)
	v_mul_f64 v[157:158], v[151:152], v[32:33]
	v_mul_f64 v[32:33], v[153:154], v[32:33]
	s_waitcnt vmcnt(9) lgkmcnt(0)
	v_mul_f64 v[163:164], v[2:3], v[40:41]
	v_mul_f64 v[40:41], v[4:5], v[40:41]
	v_add_f64 v[43:44], v[43:44], v[143:144]
	v_add_f64 v[155:156], v[155:156], v[145:146]
	ds_load_b128 v[143:146], v1 offset:832
	v_fma_f64 v[153:154], v[153:154], v[30:31], v[157:158]
	v_fma_f64 v[151:152], v[151:152], v[30:31], -v[32:33]
	scratch_load_b128 v[30:33], off, off offset:464
	v_add_f64 v[43:44], v[43:44], v[161:162]
	v_add_f64 v[155:156], v[155:156], v[159:160]
	v_fma_f64 v[161:162], v[4:5], v[38:39], v[163:164]
	v_fma_f64 v[163:164], v[2:3], v[38:39], -v[40:41]
	scratch_load_b128 v[38:41], off, off offset:480
	ds_load_b128 v[2:5], v1 offset:848
	s_waitcnt vmcnt(9) lgkmcnt(1)
	v_mul_f64 v[157:158], v[143:144], v[149:150]
	v_mul_f64 v[159:160], v[145:146], v[149:150]
	v_add_f64 v[43:44], v[43:44], v[151:152]
	v_add_f64 v[153:154], v[155:156], v[153:154]
	ds_load_b128 v[149:152], v1 offset:864
	v_fma_f64 v[145:146], v[145:146], v[147:148], v[157:158]
	v_fma_f64 v[143:144], v[143:144], v[147:148], -v[159:160]
	s_waitcnt vmcnt(8) lgkmcnt(1)
	v_mul_f64 v[155:156], v[2:3], v[36:37]
	v_mul_f64 v[36:37], v[4:5], v[36:37]
	v_add_f64 v[43:44], v[43:44], v[163:164]
	v_add_f64 v[147:148], v[153:154], v[161:162]
	s_delay_alu instid0(VALU_DEP_4)
	v_fma_f64 v[155:156], v[4:5], v[34:35], v[155:156]
	s_waitcnt vmcnt(7) lgkmcnt(0)
	v_mul_f64 v[153:154], v[149:150], v[8:9]
	v_mul_f64 v[8:9], v[151:152], v[8:9]
	v_fma_f64 v[157:158], v[2:3], v[34:35], -v[36:37]
	ds_load_b128 v[2:5], v1 offset:880
	ds_load_b128 v[34:37], v1 offset:896
	v_add_f64 v[43:44], v[43:44], v[143:144]
	v_add_f64 v[143:144], v[147:148], v[145:146]
	s_waitcnt vmcnt(6) lgkmcnt(1)
	v_mul_f64 v[145:146], v[2:3], v[12:13]
	v_mul_f64 v[12:13], v[4:5], v[12:13]
	v_fma_f64 v[147:148], v[151:152], v[6:7], v[153:154]
	v_fma_f64 v[6:7], v[149:150], v[6:7], -v[8:9]
	v_add_f64 v[8:9], v[43:44], v[157:158]
	v_add_f64 v[43:44], v[143:144], v[155:156]
	s_waitcnt vmcnt(5) lgkmcnt(0)
	v_mul_f64 v[143:144], v[34:35], v[16:17]
	v_mul_f64 v[16:17], v[36:37], v[16:17]
	v_fma_f64 v[145:146], v[4:5], v[10:11], v[145:146]
	v_fma_f64 v[10:11], v[2:3], v[10:11], -v[12:13]
	v_add_f64 v[12:13], v[8:9], v[6:7]
	v_add_f64 v[43:44], v[43:44], v[147:148]
	ds_load_b128 v[2:5], v1 offset:912
	ds_load_b128 v[6:9], v1 offset:928
	v_fma_f64 v[36:37], v[36:37], v[14:15], v[143:144]
	v_fma_f64 v[14:15], v[34:35], v[14:15], -v[16:17]
	s_waitcnt vmcnt(4) lgkmcnt(1)
	v_mul_f64 v[147:148], v[2:3], v[20:21]
	v_mul_f64 v[20:21], v[4:5], v[20:21]
	s_waitcnt vmcnt(3) lgkmcnt(0)
	v_mul_f64 v[16:17], v[6:7], v[24:25]
	v_mul_f64 v[24:25], v[8:9], v[24:25]
	v_add_f64 v[10:11], v[12:13], v[10:11]
	v_add_f64 v[12:13], v[43:44], v[145:146]
	v_fma_f64 v[34:35], v[4:5], v[18:19], v[147:148]
	v_fma_f64 v[18:19], v[2:3], v[18:19], -v[20:21]
	v_fma_f64 v[8:9], v[8:9], v[22:23], v[16:17]
	v_fma_f64 v[6:7], v[6:7], v[22:23], -v[24:25]
	v_add_f64 v[14:15], v[10:11], v[14:15]
	v_add_f64 v[20:21], v[12:13], v[36:37]
	ds_load_b128 v[2:5], v1 offset:944
	ds_load_b128 v[10:13], v1 offset:960
	s_waitcnt vmcnt(2) lgkmcnt(1)
	v_mul_f64 v[36:37], v[2:3], v[28:29]
	v_mul_f64 v[28:29], v[4:5], v[28:29]
	v_add_f64 v[14:15], v[14:15], v[18:19]
	v_add_f64 v[16:17], v[20:21], v[34:35]
	s_waitcnt vmcnt(1) lgkmcnt(0)
	v_mul_f64 v[18:19], v[10:11], v[32:33]
	v_mul_f64 v[20:21], v[12:13], v[32:33]
	v_fma_f64 v[22:23], v[4:5], v[26:27], v[36:37]
	v_fma_f64 v[24:25], v[2:3], v[26:27], -v[28:29]
	ds_load_b128 v[2:5], v1 offset:976
	v_add_f64 v[6:7], v[14:15], v[6:7]
	v_add_f64 v[8:9], v[16:17], v[8:9]
	v_fma_f64 v[12:13], v[12:13], v[30:31], v[18:19]
	v_fma_f64 v[10:11], v[10:11], v[30:31], -v[20:21]
	s_waitcnt vmcnt(0) lgkmcnt(0)
	v_mul_f64 v[14:15], v[2:3], v[40:41]
	v_mul_f64 v[16:17], v[4:5], v[40:41]
	v_add_f64 v[6:7], v[6:7], v[24:25]
	v_add_f64 v[8:9], v[8:9], v[22:23]
	s_delay_alu instid0(VALU_DEP_4) | instskip(NEXT) | instid1(VALU_DEP_4)
	v_fma_f64 v[4:5], v[4:5], v[38:39], v[14:15]
	v_fma_f64 v[2:3], v[2:3], v[38:39], -v[16:17]
	s_delay_alu instid0(VALU_DEP_4) | instskip(NEXT) | instid1(VALU_DEP_4)
	v_add_f64 v[6:7], v[6:7], v[10:11]
	v_add_f64 v[8:9], v[8:9], v[12:13]
	s_delay_alu instid0(VALU_DEP_2) | instskip(NEXT) | instid1(VALU_DEP_2)
	v_add_f64 v[2:3], v[6:7], v[2:3]
	v_add_f64 v[4:5], v[8:9], v[4:5]
	s_delay_alu instid0(VALU_DEP_2) | instskip(NEXT) | instid1(VALU_DEP_2)
	v_add_f64 v[2:3], v[139:140], -v[2:3]
	v_add_f64 v[4:5], v[141:142], -v[4:5]
	scratch_store_b128 off, v[2:5], off offset:176
	v_cmpx_lt_u32_e32 10, v108
	s_cbranch_execz .LBB94_179
; %bb.178:
	scratch_load_b128 v[5:8], v122, off
	v_mov_b32_e32 v2, v1
	v_mov_b32_e32 v3, v1
	;; [unrolled: 1-line block ×3, first 2 shown]
	scratch_store_b128 off, v[1:4], off offset:160
	s_waitcnt vmcnt(0)
	ds_store_b128 v42, v[5:8]
.LBB94_179:
	s_or_b32 exec_lo, exec_lo, s2
	s_waitcnt lgkmcnt(0)
	s_waitcnt_vscnt null, 0x0
	s_barrier
	buffer_gl0_inv
	s_clause 0x8
	scratch_load_b128 v[2:5], off, off offset:176
	scratch_load_b128 v[6:9], off, off offset:192
	;; [unrolled: 1-line block ×9, first 2 shown]
	ds_load_b128 v[38:41], v1 offset:672
	ds_load_b128 v[139:142], v1 offset:688
	s_clause 0x1
	scratch_load_b128 v[143:146], off, off offset:160
	scratch_load_b128 v[147:150], off, off offset:320
	s_mov_b32 s2, exec_lo
	ds_load_b128 v[151:154], v1 offset:720
	s_waitcnt vmcnt(10) lgkmcnt(2)
	v_mul_f64 v[43:44], v[40:41], v[4:5]
	v_mul_f64 v[4:5], v[38:39], v[4:5]
	s_waitcnt vmcnt(9) lgkmcnt(1)
	v_mul_f64 v[155:156], v[139:140], v[8:9]
	v_mul_f64 v[8:9], v[141:142], v[8:9]
	s_delay_alu instid0(VALU_DEP_4) | instskip(NEXT) | instid1(VALU_DEP_4)
	v_fma_f64 v[43:44], v[38:39], v[2:3], -v[43:44]
	v_fma_f64 v[157:158], v[40:41], v[2:3], v[4:5]
	ds_load_b128 v[2:5], v1 offset:704
	scratch_load_b128 v[38:41], off, off offset:336
	v_fma_f64 v[141:142], v[141:142], v[6:7], v[155:156]
	v_fma_f64 v[139:140], v[139:140], v[6:7], -v[8:9]
	scratch_load_b128 v[6:9], off, off offset:352
	s_waitcnt vmcnt(10) lgkmcnt(0)
	v_mul_f64 v[159:160], v[2:3], v[12:13]
	v_mul_f64 v[12:13], v[4:5], v[12:13]
	v_add_f64 v[43:44], v[43:44], 0
	v_add_f64 v[155:156], v[157:158], 0
	s_waitcnt vmcnt(9)
	v_mul_f64 v[157:158], v[151:152], v[16:17]
	v_mul_f64 v[16:17], v[153:154], v[16:17]
	v_fma_f64 v[159:160], v[4:5], v[10:11], v[159:160]
	v_fma_f64 v[161:162], v[2:3], v[10:11], -v[12:13]
	ds_load_b128 v[2:5], v1 offset:736
	scratch_load_b128 v[10:13], off, off offset:368
	v_add_f64 v[43:44], v[43:44], v[139:140]
	v_add_f64 v[155:156], v[155:156], v[141:142]
	ds_load_b128 v[139:142], v1 offset:752
	v_fma_f64 v[153:154], v[153:154], v[14:15], v[157:158]
	v_fma_f64 v[151:152], v[151:152], v[14:15], -v[16:17]
	scratch_load_b128 v[14:17], off, off offset:384
	s_waitcnt vmcnt(10) lgkmcnt(1)
	v_mul_f64 v[163:164], v[2:3], v[20:21]
	v_mul_f64 v[20:21], v[4:5], v[20:21]
	s_waitcnt vmcnt(9) lgkmcnt(0)
	v_mul_f64 v[157:158], v[139:140], v[24:25]
	v_mul_f64 v[24:25], v[141:142], v[24:25]
	v_add_f64 v[43:44], v[43:44], v[161:162]
	v_add_f64 v[155:156], v[155:156], v[159:160]
	v_fma_f64 v[159:160], v[4:5], v[18:19], v[163:164]
	v_fma_f64 v[161:162], v[2:3], v[18:19], -v[20:21]
	ds_load_b128 v[2:5], v1 offset:768
	scratch_load_b128 v[18:21], off, off offset:400
	v_fma_f64 v[141:142], v[141:142], v[22:23], v[157:158]
	v_fma_f64 v[139:140], v[139:140], v[22:23], -v[24:25]
	scratch_load_b128 v[22:25], off, off offset:416
	v_add_f64 v[43:44], v[43:44], v[151:152]
	v_add_f64 v[155:156], v[155:156], v[153:154]
	ds_load_b128 v[151:154], v1 offset:784
	s_waitcnt vmcnt(10) lgkmcnt(1)
	v_mul_f64 v[163:164], v[2:3], v[28:29]
	v_mul_f64 v[28:29], v[4:5], v[28:29]
	s_waitcnt vmcnt(9) lgkmcnt(0)
	v_mul_f64 v[157:158], v[151:152], v[32:33]
	v_mul_f64 v[32:33], v[153:154], v[32:33]
	v_add_f64 v[43:44], v[43:44], v[161:162]
	v_add_f64 v[155:156], v[155:156], v[159:160]
	v_fma_f64 v[159:160], v[4:5], v[26:27], v[163:164]
	v_fma_f64 v[161:162], v[2:3], v[26:27], -v[28:29]
	ds_load_b128 v[2:5], v1 offset:800
	scratch_load_b128 v[26:29], off, off offset:432
	v_fma_f64 v[153:154], v[153:154], v[30:31], v[157:158]
	v_fma_f64 v[151:152], v[151:152], v[30:31], -v[32:33]
	scratch_load_b128 v[30:33], off, off offset:448
	v_add_f64 v[43:44], v[43:44], v[139:140]
	v_add_f64 v[155:156], v[155:156], v[141:142]
	ds_load_b128 v[139:142], v1 offset:816
	s_waitcnt vmcnt(10) lgkmcnt(1)
	v_mul_f64 v[163:164], v[2:3], v[36:37]
	v_mul_f64 v[36:37], v[4:5], v[36:37]
	s_waitcnt vmcnt(8) lgkmcnt(0)
	v_mul_f64 v[157:158], v[139:140], v[149:150]
	v_add_f64 v[43:44], v[43:44], v[161:162]
	v_add_f64 v[155:156], v[155:156], v[159:160]
	v_mul_f64 v[159:160], v[141:142], v[149:150]
	v_fma_f64 v[161:162], v[4:5], v[34:35], v[163:164]
	v_fma_f64 v[163:164], v[2:3], v[34:35], -v[36:37]
	ds_load_b128 v[2:5], v1 offset:832
	scratch_load_b128 v[34:37], off, off offset:464
	v_fma_f64 v[157:158], v[141:142], v[147:148], v[157:158]
	v_add_f64 v[43:44], v[43:44], v[151:152]
	v_add_f64 v[153:154], v[155:156], v[153:154]
	ds_load_b128 v[149:152], v1 offset:848
	v_fma_f64 v[147:148], v[139:140], v[147:148], -v[159:160]
	scratch_load_b128 v[139:142], off, off offset:480
	s_waitcnt vmcnt(9) lgkmcnt(1)
	v_mul_f64 v[155:156], v[2:3], v[40:41]
	v_mul_f64 v[40:41], v[4:5], v[40:41]
	s_waitcnt vmcnt(8) lgkmcnt(0)
	v_mul_f64 v[159:160], v[149:150], v[8:9]
	v_mul_f64 v[8:9], v[151:152], v[8:9]
	v_add_f64 v[43:44], v[43:44], v[163:164]
	v_add_f64 v[153:154], v[153:154], v[161:162]
	v_fma_f64 v[155:156], v[4:5], v[38:39], v[155:156]
	v_fma_f64 v[161:162], v[2:3], v[38:39], -v[40:41]
	ds_load_b128 v[2:5], v1 offset:864
	ds_load_b128 v[38:41], v1 offset:880
	v_fma_f64 v[151:152], v[151:152], v[6:7], v[159:160]
	v_fma_f64 v[6:7], v[149:150], v[6:7], -v[8:9]
	v_add_f64 v[43:44], v[43:44], v[147:148]
	v_add_f64 v[147:148], v[153:154], v[157:158]
	s_waitcnt vmcnt(7) lgkmcnt(1)
	v_mul_f64 v[153:154], v[2:3], v[12:13]
	v_mul_f64 v[12:13], v[4:5], v[12:13]
	s_delay_alu instid0(VALU_DEP_4) | instskip(NEXT) | instid1(VALU_DEP_4)
	v_add_f64 v[8:9], v[43:44], v[161:162]
	v_add_f64 v[43:44], v[147:148], v[155:156]
	s_waitcnt vmcnt(6) lgkmcnt(0)
	v_mul_f64 v[147:148], v[38:39], v[16:17]
	v_mul_f64 v[16:17], v[40:41], v[16:17]
	v_fma_f64 v[149:150], v[4:5], v[10:11], v[153:154]
	v_fma_f64 v[10:11], v[2:3], v[10:11], -v[12:13]
	v_add_f64 v[12:13], v[8:9], v[6:7]
	v_add_f64 v[43:44], v[43:44], v[151:152]
	ds_load_b128 v[2:5], v1 offset:896
	ds_load_b128 v[6:9], v1 offset:912
	v_fma_f64 v[40:41], v[40:41], v[14:15], v[147:148]
	v_fma_f64 v[14:15], v[38:39], v[14:15], -v[16:17]
	s_waitcnt vmcnt(5) lgkmcnt(1)
	v_mul_f64 v[151:152], v[2:3], v[20:21]
	v_mul_f64 v[20:21], v[4:5], v[20:21]
	s_waitcnt vmcnt(4) lgkmcnt(0)
	v_mul_f64 v[16:17], v[6:7], v[24:25]
	v_mul_f64 v[24:25], v[8:9], v[24:25]
	v_add_f64 v[10:11], v[12:13], v[10:11]
	v_add_f64 v[12:13], v[43:44], v[149:150]
	v_fma_f64 v[38:39], v[4:5], v[18:19], v[151:152]
	v_fma_f64 v[18:19], v[2:3], v[18:19], -v[20:21]
	v_fma_f64 v[8:9], v[8:9], v[22:23], v[16:17]
	v_fma_f64 v[6:7], v[6:7], v[22:23], -v[24:25]
	v_add_f64 v[14:15], v[10:11], v[14:15]
	v_add_f64 v[20:21], v[12:13], v[40:41]
	ds_load_b128 v[2:5], v1 offset:928
	ds_load_b128 v[10:13], v1 offset:944
	s_waitcnt vmcnt(3) lgkmcnt(1)
	v_mul_f64 v[40:41], v[2:3], v[28:29]
	v_mul_f64 v[28:29], v[4:5], v[28:29]
	v_add_f64 v[14:15], v[14:15], v[18:19]
	v_add_f64 v[16:17], v[20:21], v[38:39]
	s_waitcnt vmcnt(2) lgkmcnt(0)
	v_mul_f64 v[18:19], v[10:11], v[32:33]
	v_mul_f64 v[20:21], v[12:13], v[32:33]
	v_fma_f64 v[22:23], v[4:5], v[26:27], v[40:41]
	v_fma_f64 v[24:25], v[2:3], v[26:27], -v[28:29]
	v_add_f64 v[14:15], v[14:15], v[6:7]
	v_add_f64 v[16:17], v[16:17], v[8:9]
	ds_load_b128 v[2:5], v1 offset:960
	ds_load_b128 v[6:9], v1 offset:976
	v_fma_f64 v[12:13], v[12:13], v[30:31], v[18:19]
	v_fma_f64 v[10:11], v[10:11], v[30:31], -v[20:21]
	s_waitcnt vmcnt(1) lgkmcnt(1)
	v_mul_f64 v[26:27], v[2:3], v[36:37]
	v_mul_f64 v[28:29], v[4:5], v[36:37]
	s_waitcnt vmcnt(0) lgkmcnt(0)
	v_mul_f64 v[18:19], v[6:7], v[141:142]
	v_mul_f64 v[20:21], v[8:9], v[141:142]
	v_add_f64 v[14:15], v[14:15], v[24:25]
	v_add_f64 v[16:17], v[16:17], v[22:23]
	v_fma_f64 v[4:5], v[4:5], v[34:35], v[26:27]
	v_fma_f64 v[1:2], v[2:3], v[34:35], -v[28:29]
	v_fma_f64 v[8:9], v[8:9], v[139:140], v[18:19]
	v_fma_f64 v[6:7], v[6:7], v[139:140], -v[20:21]
	v_add_f64 v[10:11], v[14:15], v[10:11]
	v_add_f64 v[12:13], v[16:17], v[12:13]
	s_delay_alu instid0(VALU_DEP_2) | instskip(NEXT) | instid1(VALU_DEP_2)
	v_add_f64 v[1:2], v[10:11], v[1:2]
	v_add_f64 v[3:4], v[12:13], v[4:5]
	s_delay_alu instid0(VALU_DEP_2) | instskip(NEXT) | instid1(VALU_DEP_2)
	v_add_f64 v[1:2], v[1:2], v[6:7]
	v_add_f64 v[3:4], v[3:4], v[8:9]
	s_delay_alu instid0(VALU_DEP_2) | instskip(NEXT) | instid1(VALU_DEP_2)
	v_add_f64 v[1:2], v[143:144], -v[1:2]
	v_add_f64 v[3:4], v[145:146], -v[3:4]
	scratch_store_b128 off, v[1:4], off offset:160
	v_cmpx_lt_u32_e32 9, v108
	s_cbranch_execz .LBB94_181
; %bb.180:
	scratch_load_b128 v[1:4], v125, off
	v_mov_b32_e32 v5, 0
	s_delay_alu instid0(VALU_DEP_1)
	v_mov_b32_e32 v6, v5
	v_mov_b32_e32 v7, v5
	;; [unrolled: 1-line block ×3, first 2 shown]
	scratch_store_b128 off, v[5:8], off offset:144
	s_waitcnt vmcnt(0)
	ds_store_b128 v42, v[1:4]
.LBB94_181:
	s_or_b32 exec_lo, exec_lo, s2
	s_waitcnt lgkmcnt(0)
	s_waitcnt_vscnt null, 0x0
	s_barrier
	buffer_gl0_inv
	s_clause 0x7
	scratch_load_b128 v[2:5], off, off offset:160
	scratch_load_b128 v[6:9], off, off offset:176
	;; [unrolled: 1-line block ×8, first 2 shown]
	v_mov_b32_e32 v1, 0
	s_mov_b32 s2, exec_lo
	ds_load_b128 v[34:37], v1 offset:656
	s_clause 0x1
	scratch_load_b128 v[38:41], off, off offset:288
	scratch_load_b128 v[139:142], off, off offset:144
	ds_load_b128 v[143:146], v1 offset:672
	scratch_load_b128 v[147:150], off, off offset:304
	ds_load_b128 v[151:154], v1 offset:704
	s_waitcnt vmcnt(10) lgkmcnt(2)
	v_mul_f64 v[43:44], v[36:37], v[4:5]
	v_mul_f64 v[4:5], v[34:35], v[4:5]
	s_delay_alu instid0(VALU_DEP_2) | instskip(NEXT) | instid1(VALU_DEP_2)
	v_fma_f64 v[43:44], v[34:35], v[2:3], -v[43:44]
	v_fma_f64 v[157:158], v[36:37], v[2:3], v[4:5]
	ds_load_b128 v[2:5], v1 offset:688
	s_waitcnt vmcnt(9) lgkmcnt(2)
	v_mul_f64 v[155:156], v[143:144], v[8:9]
	v_mul_f64 v[8:9], v[145:146], v[8:9]
	scratch_load_b128 v[34:37], off, off offset:320
	s_waitcnt vmcnt(9) lgkmcnt(0)
	v_mul_f64 v[159:160], v[2:3], v[12:13]
	v_mul_f64 v[12:13], v[4:5], v[12:13]
	v_add_f64 v[43:44], v[43:44], 0
	v_fma_f64 v[145:146], v[145:146], v[6:7], v[155:156]
	v_fma_f64 v[143:144], v[143:144], v[6:7], -v[8:9]
	v_add_f64 v[155:156], v[157:158], 0
	scratch_load_b128 v[6:9], off, off offset:336
	v_fma_f64 v[159:160], v[4:5], v[10:11], v[159:160]
	v_fma_f64 v[161:162], v[2:3], v[10:11], -v[12:13]
	scratch_load_b128 v[10:13], off, off offset:352
	ds_load_b128 v[2:5], v1 offset:720
	s_waitcnt vmcnt(10)
	v_mul_f64 v[157:158], v[151:152], v[16:17]
	v_mul_f64 v[16:17], v[153:154], v[16:17]
	v_add_f64 v[43:44], v[43:44], v[143:144]
	v_add_f64 v[155:156], v[155:156], v[145:146]
	ds_load_b128 v[143:146], v1 offset:736
	s_waitcnt vmcnt(9) lgkmcnt(1)
	v_mul_f64 v[163:164], v[2:3], v[20:21]
	v_mul_f64 v[20:21], v[4:5], v[20:21]
	v_fma_f64 v[153:154], v[153:154], v[14:15], v[157:158]
	v_fma_f64 v[151:152], v[151:152], v[14:15], -v[16:17]
	scratch_load_b128 v[14:17], off, off offset:368
	v_add_f64 v[43:44], v[43:44], v[161:162]
	v_add_f64 v[155:156], v[155:156], v[159:160]
	v_fma_f64 v[159:160], v[4:5], v[18:19], v[163:164]
	v_fma_f64 v[161:162], v[2:3], v[18:19], -v[20:21]
	scratch_load_b128 v[18:21], off, off offset:384
	ds_load_b128 v[2:5], v1 offset:752
	s_waitcnt vmcnt(10) lgkmcnt(1)
	v_mul_f64 v[157:158], v[143:144], v[24:25]
	v_mul_f64 v[24:25], v[145:146], v[24:25]
	s_waitcnt vmcnt(9) lgkmcnt(0)
	v_mul_f64 v[163:164], v[2:3], v[28:29]
	v_mul_f64 v[28:29], v[4:5], v[28:29]
	v_add_f64 v[43:44], v[43:44], v[151:152]
	v_add_f64 v[155:156], v[155:156], v[153:154]
	ds_load_b128 v[151:154], v1 offset:768
	v_fma_f64 v[145:146], v[145:146], v[22:23], v[157:158]
	v_fma_f64 v[143:144], v[143:144], v[22:23], -v[24:25]
	scratch_load_b128 v[22:25], off, off offset:400
	v_add_f64 v[43:44], v[43:44], v[161:162]
	v_add_f64 v[155:156], v[155:156], v[159:160]
	v_fma_f64 v[159:160], v[4:5], v[26:27], v[163:164]
	v_fma_f64 v[161:162], v[2:3], v[26:27], -v[28:29]
	scratch_load_b128 v[26:29], off, off offset:416
	ds_load_b128 v[2:5], v1 offset:784
	s_waitcnt vmcnt(10) lgkmcnt(1)
	v_mul_f64 v[157:158], v[151:152], v[32:33]
	v_mul_f64 v[32:33], v[153:154], v[32:33]
	s_waitcnt vmcnt(9) lgkmcnt(0)
	v_mul_f64 v[163:164], v[2:3], v[40:41]
	v_mul_f64 v[40:41], v[4:5], v[40:41]
	v_add_f64 v[43:44], v[43:44], v[143:144]
	v_add_f64 v[155:156], v[155:156], v[145:146]
	ds_load_b128 v[143:146], v1 offset:800
	v_fma_f64 v[153:154], v[153:154], v[30:31], v[157:158]
	v_fma_f64 v[151:152], v[151:152], v[30:31], -v[32:33]
	scratch_load_b128 v[30:33], off, off offset:432
	v_add_f64 v[43:44], v[43:44], v[161:162]
	v_add_f64 v[155:156], v[155:156], v[159:160]
	v_fma_f64 v[161:162], v[4:5], v[38:39], v[163:164]
	v_fma_f64 v[163:164], v[2:3], v[38:39], -v[40:41]
	scratch_load_b128 v[38:41], off, off offset:448
	ds_load_b128 v[2:5], v1 offset:816
	s_waitcnt vmcnt(9) lgkmcnt(1)
	v_mul_f64 v[157:158], v[143:144], v[149:150]
	v_mul_f64 v[159:160], v[145:146], v[149:150]
	v_add_f64 v[43:44], v[43:44], v[151:152]
	v_add_f64 v[153:154], v[155:156], v[153:154]
	ds_load_b128 v[149:152], v1 offset:832
	v_fma_f64 v[157:158], v[145:146], v[147:148], v[157:158]
	v_fma_f64 v[147:148], v[143:144], v[147:148], -v[159:160]
	scratch_load_b128 v[143:146], off, off offset:464
	s_waitcnt vmcnt(9) lgkmcnt(1)
	v_mul_f64 v[155:156], v[2:3], v[36:37]
	v_mul_f64 v[36:37], v[4:5], v[36:37]
	v_add_f64 v[43:44], v[43:44], v[163:164]
	v_add_f64 v[153:154], v[153:154], v[161:162]
	s_delay_alu instid0(VALU_DEP_4) | instskip(NEXT) | instid1(VALU_DEP_4)
	v_fma_f64 v[161:162], v[4:5], v[34:35], v[155:156]
	v_fma_f64 v[163:164], v[2:3], v[34:35], -v[36:37]
	scratch_load_b128 v[34:37], off, off offset:480
	ds_load_b128 v[2:5], v1 offset:848
	s_waitcnt vmcnt(9) lgkmcnt(1)
	v_mul_f64 v[159:160], v[149:150], v[8:9]
	v_mul_f64 v[8:9], v[151:152], v[8:9]
	v_add_f64 v[43:44], v[43:44], v[147:148]
	v_add_f64 v[147:148], v[153:154], v[157:158]
	s_waitcnt vmcnt(8) lgkmcnt(0)
	v_mul_f64 v[157:158], v[2:3], v[12:13]
	v_mul_f64 v[12:13], v[4:5], v[12:13]
	ds_load_b128 v[153:156], v1 offset:864
	v_fma_f64 v[151:152], v[151:152], v[6:7], v[159:160]
	v_fma_f64 v[6:7], v[149:150], v[6:7], -v[8:9]
	v_add_f64 v[8:9], v[43:44], v[163:164]
	v_add_f64 v[43:44], v[147:148], v[161:162]
	s_waitcnt vmcnt(7) lgkmcnt(0)
	v_mul_f64 v[147:148], v[153:154], v[16:17]
	v_mul_f64 v[16:17], v[155:156], v[16:17]
	v_fma_f64 v[149:150], v[4:5], v[10:11], v[157:158]
	v_fma_f64 v[10:11], v[2:3], v[10:11], -v[12:13]
	v_add_f64 v[12:13], v[8:9], v[6:7]
	v_add_f64 v[43:44], v[43:44], v[151:152]
	ds_load_b128 v[2:5], v1 offset:880
	ds_load_b128 v[6:9], v1 offset:896
	v_fma_f64 v[147:148], v[155:156], v[14:15], v[147:148]
	v_fma_f64 v[14:15], v[153:154], v[14:15], -v[16:17]
	s_waitcnt vmcnt(6) lgkmcnt(1)
	v_mul_f64 v[151:152], v[2:3], v[20:21]
	v_mul_f64 v[20:21], v[4:5], v[20:21]
	s_waitcnt vmcnt(5) lgkmcnt(0)
	v_mul_f64 v[16:17], v[6:7], v[24:25]
	v_mul_f64 v[24:25], v[8:9], v[24:25]
	v_add_f64 v[10:11], v[12:13], v[10:11]
	v_add_f64 v[12:13], v[43:44], v[149:150]
	v_fma_f64 v[43:44], v[4:5], v[18:19], v[151:152]
	v_fma_f64 v[18:19], v[2:3], v[18:19], -v[20:21]
	v_fma_f64 v[8:9], v[8:9], v[22:23], v[16:17]
	v_fma_f64 v[6:7], v[6:7], v[22:23], -v[24:25]
	v_add_f64 v[14:15], v[10:11], v[14:15]
	v_add_f64 v[20:21], v[12:13], v[147:148]
	ds_load_b128 v[2:5], v1 offset:912
	ds_load_b128 v[10:13], v1 offset:928
	s_waitcnt vmcnt(4) lgkmcnt(1)
	v_mul_f64 v[147:148], v[2:3], v[28:29]
	v_mul_f64 v[28:29], v[4:5], v[28:29]
	v_add_f64 v[14:15], v[14:15], v[18:19]
	v_add_f64 v[16:17], v[20:21], v[43:44]
	s_waitcnt vmcnt(3) lgkmcnt(0)
	v_mul_f64 v[18:19], v[10:11], v[32:33]
	v_mul_f64 v[20:21], v[12:13], v[32:33]
	v_fma_f64 v[22:23], v[4:5], v[26:27], v[147:148]
	v_fma_f64 v[24:25], v[2:3], v[26:27], -v[28:29]
	v_add_f64 v[14:15], v[14:15], v[6:7]
	v_add_f64 v[16:17], v[16:17], v[8:9]
	ds_load_b128 v[2:5], v1 offset:944
	ds_load_b128 v[6:9], v1 offset:960
	v_fma_f64 v[12:13], v[12:13], v[30:31], v[18:19]
	v_fma_f64 v[10:11], v[10:11], v[30:31], -v[20:21]
	s_waitcnt vmcnt(2) lgkmcnt(1)
	v_mul_f64 v[26:27], v[2:3], v[40:41]
	v_mul_f64 v[28:29], v[4:5], v[40:41]
	s_waitcnt vmcnt(1) lgkmcnt(0)
	v_mul_f64 v[18:19], v[6:7], v[145:146]
	v_mul_f64 v[20:21], v[8:9], v[145:146]
	v_add_f64 v[14:15], v[14:15], v[24:25]
	v_add_f64 v[16:17], v[16:17], v[22:23]
	v_fma_f64 v[22:23], v[4:5], v[38:39], v[26:27]
	v_fma_f64 v[24:25], v[2:3], v[38:39], -v[28:29]
	ds_load_b128 v[2:5], v1 offset:976
	v_fma_f64 v[8:9], v[8:9], v[143:144], v[18:19]
	v_fma_f64 v[6:7], v[6:7], v[143:144], -v[20:21]
	v_add_f64 v[10:11], v[14:15], v[10:11]
	v_add_f64 v[12:13], v[16:17], v[12:13]
	s_waitcnt vmcnt(0) lgkmcnt(0)
	v_mul_f64 v[14:15], v[2:3], v[36:37]
	v_mul_f64 v[16:17], v[4:5], v[36:37]
	s_delay_alu instid0(VALU_DEP_4) | instskip(NEXT) | instid1(VALU_DEP_4)
	v_add_f64 v[10:11], v[10:11], v[24:25]
	v_add_f64 v[12:13], v[12:13], v[22:23]
	s_delay_alu instid0(VALU_DEP_4) | instskip(NEXT) | instid1(VALU_DEP_4)
	v_fma_f64 v[4:5], v[4:5], v[34:35], v[14:15]
	v_fma_f64 v[2:3], v[2:3], v[34:35], -v[16:17]
	s_delay_alu instid0(VALU_DEP_4) | instskip(NEXT) | instid1(VALU_DEP_4)
	v_add_f64 v[6:7], v[10:11], v[6:7]
	v_add_f64 v[8:9], v[12:13], v[8:9]
	s_delay_alu instid0(VALU_DEP_2) | instskip(NEXT) | instid1(VALU_DEP_2)
	v_add_f64 v[2:3], v[6:7], v[2:3]
	v_add_f64 v[4:5], v[8:9], v[4:5]
	s_delay_alu instid0(VALU_DEP_2) | instskip(NEXT) | instid1(VALU_DEP_2)
	v_add_f64 v[2:3], v[139:140], -v[2:3]
	v_add_f64 v[4:5], v[141:142], -v[4:5]
	scratch_store_b128 off, v[2:5], off offset:144
	v_cmpx_lt_u32_e32 8, v108
	s_cbranch_execz .LBB94_183
; %bb.182:
	scratch_load_b128 v[5:8], v123, off
	v_mov_b32_e32 v2, v1
	v_mov_b32_e32 v3, v1
	;; [unrolled: 1-line block ×3, first 2 shown]
	scratch_store_b128 off, v[1:4], off offset:128
	s_waitcnt vmcnt(0)
	ds_store_b128 v42, v[5:8]
.LBB94_183:
	s_or_b32 exec_lo, exec_lo, s2
	s_waitcnt lgkmcnt(0)
	s_waitcnt_vscnt null, 0x0
	s_barrier
	buffer_gl0_inv
	s_clause 0x8
	scratch_load_b128 v[2:5], off, off offset:144
	scratch_load_b128 v[6:9], off, off offset:160
	;; [unrolled: 1-line block ×9, first 2 shown]
	ds_load_b128 v[38:41], v1 offset:640
	ds_load_b128 v[139:142], v1 offset:656
	s_clause 0x1
	scratch_load_b128 v[143:146], off, off offset:128
	scratch_load_b128 v[147:150], off, off offset:288
	s_mov_b32 s2, exec_lo
	ds_load_b128 v[151:154], v1 offset:688
	s_waitcnt vmcnt(10) lgkmcnt(2)
	v_mul_f64 v[43:44], v[40:41], v[4:5]
	v_mul_f64 v[4:5], v[38:39], v[4:5]
	s_waitcnt vmcnt(9) lgkmcnt(1)
	v_mul_f64 v[155:156], v[139:140], v[8:9]
	v_mul_f64 v[8:9], v[141:142], v[8:9]
	s_delay_alu instid0(VALU_DEP_4) | instskip(NEXT) | instid1(VALU_DEP_4)
	v_fma_f64 v[43:44], v[38:39], v[2:3], -v[43:44]
	v_fma_f64 v[157:158], v[40:41], v[2:3], v[4:5]
	ds_load_b128 v[2:5], v1 offset:672
	scratch_load_b128 v[38:41], off, off offset:304
	v_fma_f64 v[141:142], v[141:142], v[6:7], v[155:156]
	v_fma_f64 v[139:140], v[139:140], v[6:7], -v[8:9]
	scratch_load_b128 v[6:9], off, off offset:320
	s_waitcnt vmcnt(10) lgkmcnt(0)
	v_mul_f64 v[159:160], v[2:3], v[12:13]
	v_mul_f64 v[12:13], v[4:5], v[12:13]
	v_add_f64 v[43:44], v[43:44], 0
	v_add_f64 v[155:156], v[157:158], 0
	s_waitcnt vmcnt(9)
	v_mul_f64 v[157:158], v[151:152], v[16:17]
	v_mul_f64 v[16:17], v[153:154], v[16:17]
	v_fma_f64 v[159:160], v[4:5], v[10:11], v[159:160]
	v_fma_f64 v[161:162], v[2:3], v[10:11], -v[12:13]
	ds_load_b128 v[2:5], v1 offset:704
	scratch_load_b128 v[10:13], off, off offset:336
	v_add_f64 v[43:44], v[43:44], v[139:140]
	v_add_f64 v[155:156], v[155:156], v[141:142]
	ds_load_b128 v[139:142], v1 offset:720
	v_fma_f64 v[153:154], v[153:154], v[14:15], v[157:158]
	v_fma_f64 v[151:152], v[151:152], v[14:15], -v[16:17]
	scratch_load_b128 v[14:17], off, off offset:352
	s_waitcnt vmcnt(10) lgkmcnt(1)
	v_mul_f64 v[163:164], v[2:3], v[20:21]
	v_mul_f64 v[20:21], v[4:5], v[20:21]
	s_waitcnt vmcnt(9) lgkmcnt(0)
	v_mul_f64 v[157:158], v[139:140], v[24:25]
	v_mul_f64 v[24:25], v[141:142], v[24:25]
	v_add_f64 v[43:44], v[43:44], v[161:162]
	v_add_f64 v[155:156], v[155:156], v[159:160]
	v_fma_f64 v[159:160], v[4:5], v[18:19], v[163:164]
	v_fma_f64 v[161:162], v[2:3], v[18:19], -v[20:21]
	ds_load_b128 v[2:5], v1 offset:736
	scratch_load_b128 v[18:21], off, off offset:368
	v_fma_f64 v[141:142], v[141:142], v[22:23], v[157:158]
	v_fma_f64 v[139:140], v[139:140], v[22:23], -v[24:25]
	scratch_load_b128 v[22:25], off, off offset:384
	v_add_f64 v[43:44], v[43:44], v[151:152]
	v_add_f64 v[155:156], v[155:156], v[153:154]
	ds_load_b128 v[151:154], v1 offset:752
	s_waitcnt vmcnt(10) lgkmcnt(1)
	v_mul_f64 v[163:164], v[2:3], v[28:29]
	v_mul_f64 v[28:29], v[4:5], v[28:29]
	s_waitcnt vmcnt(9) lgkmcnt(0)
	v_mul_f64 v[157:158], v[151:152], v[32:33]
	v_mul_f64 v[32:33], v[153:154], v[32:33]
	v_add_f64 v[43:44], v[43:44], v[161:162]
	v_add_f64 v[155:156], v[155:156], v[159:160]
	v_fma_f64 v[159:160], v[4:5], v[26:27], v[163:164]
	v_fma_f64 v[161:162], v[2:3], v[26:27], -v[28:29]
	ds_load_b128 v[2:5], v1 offset:768
	scratch_load_b128 v[26:29], off, off offset:400
	v_fma_f64 v[153:154], v[153:154], v[30:31], v[157:158]
	v_fma_f64 v[151:152], v[151:152], v[30:31], -v[32:33]
	scratch_load_b128 v[30:33], off, off offset:416
	v_add_f64 v[43:44], v[43:44], v[139:140]
	v_add_f64 v[155:156], v[155:156], v[141:142]
	ds_load_b128 v[139:142], v1 offset:784
	s_waitcnt vmcnt(10) lgkmcnt(1)
	v_mul_f64 v[163:164], v[2:3], v[36:37]
	v_mul_f64 v[36:37], v[4:5], v[36:37]
	s_waitcnt vmcnt(8) lgkmcnt(0)
	v_mul_f64 v[157:158], v[139:140], v[149:150]
	v_add_f64 v[43:44], v[43:44], v[161:162]
	v_add_f64 v[155:156], v[155:156], v[159:160]
	v_mul_f64 v[159:160], v[141:142], v[149:150]
	v_fma_f64 v[161:162], v[4:5], v[34:35], v[163:164]
	v_fma_f64 v[163:164], v[2:3], v[34:35], -v[36:37]
	ds_load_b128 v[2:5], v1 offset:800
	scratch_load_b128 v[34:37], off, off offset:432
	v_fma_f64 v[157:158], v[141:142], v[147:148], v[157:158]
	v_add_f64 v[43:44], v[43:44], v[151:152]
	v_add_f64 v[153:154], v[155:156], v[153:154]
	ds_load_b128 v[149:152], v1 offset:816
	v_fma_f64 v[147:148], v[139:140], v[147:148], -v[159:160]
	scratch_load_b128 v[139:142], off, off offset:448
	s_waitcnt vmcnt(9) lgkmcnt(1)
	v_mul_f64 v[155:156], v[2:3], v[40:41]
	v_mul_f64 v[40:41], v[4:5], v[40:41]
	s_waitcnt vmcnt(8) lgkmcnt(0)
	v_mul_f64 v[159:160], v[149:150], v[8:9]
	v_mul_f64 v[8:9], v[151:152], v[8:9]
	v_add_f64 v[43:44], v[43:44], v[163:164]
	v_add_f64 v[153:154], v[153:154], v[161:162]
	v_fma_f64 v[161:162], v[4:5], v[38:39], v[155:156]
	v_fma_f64 v[163:164], v[2:3], v[38:39], -v[40:41]
	ds_load_b128 v[2:5], v1 offset:832
	scratch_load_b128 v[38:41], off, off offset:464
	v_fma_f64 v[151:152], v[151:152], v[6:7], v[159:160]
	v_fma_f64 v[149:150], v[149:150], v[6:7], -v[8:9]
	scratch_load_b128 v[6:9], off, off offset:480
	v_add_f64 v[43:44], v[43:44], v[147:148]
	v_add_f64 v[147:148], v[153:154], v[157:158]
	ds_load_b128 v[153:156], v1 offset:848
	s_waitcnt vmcnt(9) lgkmcnt(1)
	v_mul_f64 v[157:158], v[2:3], v[12:13]
	v_mul_f64 v[12:13], v[4:5], v[12:13]
	s_waitcnt vmcnt(8) lgkmcnt(0)
	v_mul_f64 v[159:160], v[153:154], v[16:17]
	v_mul_f64 v[16:17], v[155:156], v[16:17]
	v_add_f64 v[43:44], v[43:44], v[163:164]
	v_add_f64 v[147:148], v[147:148], v[161:162]
	v_fma_f64 v[157:158], v[4:5], v[10:11], v[157:158]
	v_fma_f64 v[161:162], v[2:3], v[10:11], -v[12:13]
	ds_load_b128 v[2:5], v1 offset:864
	ds_load_b128 v[10:13], v1 offset:880
	v_add_f64 v[43:44], v[43:44], v[149:150]
	v_add_f64 v[147:148], v[147:148], v[151:152]
	s_waitcnt vmcnt(7) lgkmcnt(1)
	v_mul_f64 v[149:150], v[2:3], v[20:21]
	v_mul_f64 v[20:21], v[4:5], v[20:21]
	v_fma_f64 v[151:152], v[155:156], v[14:15], v[159:160]
	v_fma_f64 v[14:15], v[153:154], v[14:15], -v[16:17]
	v_add_f64 v[16:17], v[43:44], v[161:162]
	v_add_f64 v[43:44], v[147:148], v[157:158]
	s_waitcnt vmcnt(6) lgkmcnt(0)
	v_mul_f64 v[147:148], v[10:11], v[24:25]
	v_mul_f64 v[24:25], v[12:13], v[24:25]
	v_fma_f64 v[149:150], v[4:5], v[18:19], v[149:150]
	v_fma_f64 v[18:19], v[2:3], v[18:19], -v[20:21]
	v_add_f64 v[20:21], v[16:17], v[14:15]
	v_add_f64 v[43:44], v[43:44], v[151:152]
	ds_load_b128 v[2:5], v1 offset:896
	ds_load_b128 v[14:17], v1 offset:912
	v_fma_f64 v[12:13], v[12:13], v[22:23], v[147:148]
	v_fma_f64 v[10:11], v[10:11], v[22:23], -v[24:25]
	s_waitcnt vmcnt(5) lgkmcnt(1)
	v_mul_f64 v[151:152], v[2:3], v[28:29]
	v_mul_f64 v[28:29], v[4:5], v[28:29]
	s_waitcnt vmcnt(4) lgkmcnt(0)
	v_mul_f64 v[22:23], v[14:15], v[32:33]
	v_mul_f64 v[24:25], v[16:17], v[32:33]
	v_add_f64 v[18:19], v[20:21], v[18:19]
	v_add_f64 v[20:21], v[43:44], v[149:150]
	v_fma_f64 v[32:33], v[4:5], v[26:27], v[151:152]
	v_fma_f64 v[26:27], v[2:3], v[26:27], -v[28:29]
	v_fma_f64 v[16:17], v[16:17], v[30:31], v[22:23]
	v_fma_f64 v[14:15], v[14:15], v[30:31], -v[24:25]
	v_add_f64 v[18:19], v[18:19], v[10:11]
	v_add_f64 v[20:21], v[20:21], v[12:13]
	ds_load_b128 v[2:5], v1 offset:928
	ds_load_b128 v[10:13], v1 offset:944
	s_waitcnt vmcnt(3) lgkmcnt(1)
	v_mul_f64 v[28:29], v[2:3], v[36:37]
	v_mul_f64 v[36:37], v[4:5], v[36:37]
	s_waitcnt vmcnt(2) lgkmcnt(0)
	v_mul_f64 v[22:23], v[10:11], v[141:142]
	v_mul_f64 v[24:25], v[12:13], v[141:142]
	v_add_f64 v[18:19], v[18:19], v[26:27]
	v_add_f64 v[20:21], v[20:21], v[32:33]
	v_fma_f64 v[26:27], v[4:5], v[34:35], v[28:29]
	v_fma_f64 v[28:29], v[2:3], v[34:35], -v[36:37]
	v_fma_f64 v[12:13], v[12:13], v[139:140], v[22:23]
	v_fma_f64 v[10:11], v[10:11], v[139:140], -v[24:25]
	v_add_f64 v[18:19], v[18:19], v[14:15]
	v_add_f64 v[20:21], v[20:21], v[16:17]
	ds_load_b128 v[2:5], v1 offset:960
	ds_load_b128 v[14:17], v1 offset:976
	s_waitcnt vmcnt(1) lgkmcnt(1)
	v_mul_f64 v[30:31], v[2:3], v[40:41]
	v_mul_f64 v[32:33], v[4:5], v[40:41]
	s_waitcnt vmcnt(0) lgkmcnt(0)
	v_mul_f64 v[22:23], v[14:15], v[8:9]
	v_mul_f64 v[8:9], v[16:17], v[8:9]
	v_add_f64 v[18:19], v[18:19], v[28:29]
	v_add_f64 v[20:21], v[20:21], v[26:27]
	v_fma_f64 v[4:5], v[4:5], v[38:39], v[30:31]
	v_fma_f64 v[1:2], v[2:3], v[38:39], -v[32:33]
	v_fma_f64 v[16:17], v[16:17], v[6:7], v[22:23]
	v_fma_f64 v[6:7], v[14:15], v[6:7], -v[8:9]
	v_add_f64 v[10:11], v[18:19], v[10:11]
	v_add_f64 v[12:13], v[20:21], v[12:13]
	s_delay_alu instid0(VALU_DEP_2) | instskip(NEXT) | instid1(VALU_DEP_2)
	v_add_f64 v[1:2], v[10:11], v[1:2]
	v_add_f64 v[3:4], v[12:13], v[4:5]
	s_delay_alu instid0(VALU_DEP_2) | instskip(NEXT) | instid1(VALU_DEP_2)
	;; [unrolled: 3-line block ×3, first 2 shown]
	v_add_f64 v[1:2], v[143:144], -v[1:2]
	v_add_f64 v[3:4], v[145:146], -v[3:4]
	scratch_store_b128 off, v[1:4], off offset:128
	v_cmpx_lt_u32_e32 7, v108
	s_cbranch_execz .LBB94_185
; %bb.184:
	scratch_load_b128 v[1:4], v126, off
	v_mov_b32_e32 v5, 0
	s_delay_alu instid0(VALU_DEP_1)
	v_mov_b32_e32 v6, v5
	v_mov_b32_e32 v7, v5
	;; [unrolled: 1-line block ×3, first 2 shown]
	scratch_store_b128 off, v[5:8], off offset:112
	s_waitcnt vmcnt(0)
	ds_store_b128 v42, v[1:4]
.LBB94_185:
	s_or_b32 exec_lo, exec_lo, s2
	s_waitcnt lgkmcnt(0)
	s_waitcnt_vscnt null, 0x0
	s_barrier
	buffer_gl0_inv
	s_clause 0x7
	scratch_load_b128 v[2:5], off, off offset:128
	scratch_load_b128 v[6:9], off, off offset:144
	;; [unrolled: 1-line block ×8, first 2 shown]
	v_mov_b32_e32 v1, 0
	s_mov_b32 s2, exec_lo
	ds_load_b128 v[34:37], v1 offset:624
	s_clause 0x1
	scratch_load_b128 v[38:41], off, off offset:256
	scratch_load_b128 v[139:142], off, off offset:112
	ds_load_b128 v[143:146], v1 offset:640
	scratch_load_b128 v[147:150], off, off offset:272
	ds_load_b128 v[151:154], v1 offset:672
	s_waitcnt vmcnt(10) lgkmcnt(2)
	v_mul_f64 v[43:44], v[36:37], v[4:5]
	v_mul_f64 v[4:5], v[34:35], v[4:5]
	s_delay_alu instid0(VALU_DEP_2) | instskip(NEXT) | instid1(VALU_DEP_2)
	v_fma_f64 v[43:44], v[34:35], v[2:3], -v[43:44]
	v_fma_f64 v[157:158], v[36:37], v[2:3], v[4:5]
	ds_load_b128 v[2:5], v1 offset:656
	s_waitcnt vmcnt(9) lgkmcnt(2)
	v_mul_f64 v[155:156], v[143:144], v[8:9]
	v_mul_f64 v[8:9], v[145:146], v[8:9]
	scratch_load_b128 v[34:37], off, off offset:288
	s_waitcnt vmcnt(9) lgkmcnt(0)
	v_mul_f64 v[159:160], v[2:3], v[12:13]
	v_mul_f64 v[12:13], v[4:5], v[12:13]
	v_add_f64 v[43:44], v[43:44], 0
	v_fma_f64 v[145:146], v[145:146], v[6:7], v[155:156]
	v_fma_f64 v[143:144], v[143:144], v[6:7], -v[8:9]
	v_add_f64 v[155:156], v[157:158], 0
	scratch_load_b128 v[6:9], off, off offset:304
	v_fma_f64 v[159:160], v[4:5], v[10:11], v[159:160]
	v_fma_f64 v[161:162], v[2:3], v[10:11], -v[12:13]
	scratch_load_b128 v[10:13], off, off offset:320
	ds_load_b128 v[2:5], v1 offset:688
	s_waitcnt vmcnt(10)
	v_mul_f64 v[157:158], v[151:152], v[16:17]
	v_mul_f64 v[16:17], v[153:154], v[16:17]
	v_add_f64 v[43:44], v[43:44], v[143:144]
	v_add_f64 v[155:156], v[155:156], v[145:146]
	ds_load_b128 v[143:146], v1 offset:704
	s_waitcnt vmcnt(9) lgkmcnt(1)
	v_mul_f64 v[163:164], v[2:3], v[20:21]
	v_mul_f64 v[20:21], v[4:5], v[20:21]
	v_fma_f64 v[153:154], v[153:154], v[14:15], v[157:158]
	v_fma_f64 v[151:152], v[151:152], v[14:15], -v[16:17]
	scratch_load_b128 v[14:17], off, off offset:336
	v_add_f64 v[43:44], v[43:44], v[161:162]
	v_add_f64 v[155:156], v[155:156], v[159:160]
	v_fma_f64 v[159:160], v[4:5], v[18:19], v[163:164]
	v_fma_f64 v[161:162], v[2:3], v[18:19], -v[20:21]
	scratch_load_b128 v[18:21], off, off offset:352
	ds_load_b128 v[2:5], v1 offset:720
	s_waitcnt vmcnt(10) lgkmcnt(1)
	v_mul_f64 v[157:158], v[143:144], v[24:25]
	v_mul_f64 v[24:25], v[145:146], v[24:25]
	s_waitcnt vmcnt(9) lgkmcnt(0)
	v_mul_f64 v[163:164], v[2:3], v[28:29]
	v_mul_f64 v[28:29], v[4:5], v[28:29]
	v_add_f64 v[43:44], v[43:44], v[151:152]
	v_add_f64 v[155:156], v[155:156], v[153:154]
	ds_load_b128 v[151:154], v1 offset:736
	v_fma_f64 v[145:146], v[145:146], v[22:23], v[157:158]
	v_fma_f64 v[143:144], v[143:144], v[22:23], -v[24:25]
	scratch_load_b128 v[22:25], off, off offset:368
	v_add_f64 v[43:44], v[43:44], v[161:162]
	v_add_f64 v[155:156], v[155:156], v[159:160]
	v_fma_f64 v[159:160], v[4:5], v[26:27], v[163:164]
	v_fma_f64 v[161:162], v[2:3], v[26:27], -v[28:29]
	scratch_load_b128 v[26:29], off, off offset:384
	ds_load_b128 v[2:5], v1 offset:752
	s_waitcnt vmcnt(10) lgkmcnt(1)
	v_mul_f64 v[157:158], v[151:152], v[32:33]
	v_mul_f64 v[32:33], v[153:154], v[32:33]
	s_waitcnt vmcnt(9) lgkmcnt(0)
	v_mul_f64 v[163:164], v[2:3], v[40:41]
	v_mul_f64 v[40:41], v[4:5], v[40:41]
	v_add_f64 v[43:44], v[43:44], v[143:144]
	v_add_f64 v[155:156], v[155:156], v[145:146]
	ds_load_b128 v[143:146], v1 offset:768
	v_fma_f64 v[153:154], v[153:154], v[30:31], v[157:158]
	v_fma_f64 v[151:152], v[151:152], v[30:31], -v[32:33]
	scratch_load_b128 v[30:33], off, off offset:400
	v_add_f64 v[43:44], v[43:44], v[161:162]
	v_add_f64 v[155:156], v[155:156], v[159:160]
	v_fma_f64 v[161:162], v[4:5], v[38:39], v[163:164]
	v_fma_f64 v[163:164], v[2:3], v[38:39], -v[40:41]
	scratch_load_b128 v[38:41], off, off offset:416
	ds_load_b128 v[2:5], v1 offset:784
	s_waitcnt vmcnt(9) lgkmcnt(1)
	v_mul_f64 v[157:158], v[143:144], v[149:150]
	v_mul_f64 v[159:160], v[145:146], v[149:150]
	v_add_f64 v[43:44], v[43:44], v[151:152]
	v_add_f64 v[153:154], v[155:156], v[153:154]
	ds_load_b128 v[149:152], v1 offset:800
	v_fma_f64 v[157:158], v[145:146], v[147:148], v[157:158]
	v_fma_f64 v[147:148], v[143:144], v[147:148], -v[159:160]
	scratch_load_b128 v[143:146], off, off offset:432
	s_waitcnt vmcnt(9) lgkmcnt(1)
	v_mul_f64 v[155:156], v[2:3], v[36:37]
	v_mul_f64 v[36:37], v[4:5], v[36:37]
	v_add_f64 v[43:44], v[43:44], v[163:164]
	v_add_f64 v[153:154], v[153:154], v[161:162]
	s_delay_alu instid0(VALU_DEP_4) | instskip(NEXT) | instid1(VALU_DEP_4)
	v_fma_f64 v[161:162], v[4:5], v[34:35], v[155:156]
	v_fma_f64 v[163:164], v[2:3], v[34:35], -v[36:37]
	scratch_load_b128 v[34:37], off, off offset:448
	ds_load_b128 v[2:5], v1 offset:816
	s_waitcnt vmcnt(9) lgkmcnt(1)
	v_mul_f64 v[159:160], v[149:150], v[8:9]
	v_mul_f64 v[8:9], v[151:152], v[8:9]
	v_add_f64 v[43:44], v[43:44], v[147:148]
	v_add_f64 v[147:148], v[153:154], v[157:158]
	s_waitcnt vmcnt(8) lgkmcnt(0)
	v_mul_f64 v[157:158], v[2:3], v[12:13]
	v_mul_f64 v[12:13], v[4:5], v[12:13]
	ds_load_b128 v[153:156], v1 offset:832
	v_fma_f64 v[151:152], v[151:152], v[6:7], v[159:160]
	v_fma_f64 v[149:150], v[149:150], v[6:7], -v[8:9]
	scratch_load_b128 v[6:9], off, off offset:464
	v_add_f64 v[43:44], v[43:44], v[163:164]
	v_add_f64 v[147:148], v[147:148], v[161:162]
	v_fma_f64 v[157:158], v[4:5], v[10:11], v[157:158]
	v_fma_f64 v[161:162], v[2:3], v[10:11], -v[12:13]
	scratch_load_b128 v[10:13], off, off offset:480
	ds_load_b128 v[2:5], v1 offset:848
	s_waitcnt vmcnt(9) lgkmcnt(1)
	v_mul_f64 v[159:160], v[153:154], v[16:17]
	v_mul_f64 v[16:17], v[155:156], v[16:17]
	s_waitcnt vmcnt(8) lgkmcnt(0)
	v_mul_f64 v[163:164], v[2:3], v[20:21]
	v_mul_f64 v[20:21], v[4:5], v[20:21]
	v_add_f64 v[43:44], v[43:44], v[149:150]
	v_add_f64 v[151:152], v[147:148], v[151:152]
	ds_load_b128 v[147:150], v1 offset:864
	v_fma_f64 v[155:156], v[155:156], v[14:15], v[159:160]
	v_fma_f64 v[14:15], v[153:154], v[14:15], -v[16:17]
	v_fma_f64 v[153:154], v[4:5], v[18:19], v[163:164]
	v_fma_f64 v[18:19], v[2:3], v[18:19], -v[20:21]
	v_add_f64 v[16:17], v[43:44], v[161:162]
	v_add_f64 v[43:44], v[151:152], v[157:158]
	s_waitcnt vmcnt(7) lgkmcnt(0)
	v_mul_f64 v[151:152], v[147:148], v[24:25]
	v_mul_f64 v[24:25], v[149:150], v[24:25]
	s_delay_alu instid0(VALU_DEP_4) | instskip(NEXT) | instid1(VALU_DEP_4)
	v_add_f64 v[20:21], v[16:17], v[14:15]
	v_add_f64 v[43:44], v[43:44], v[155:156]
	ds_load_b128 v[2:5], v1 offset:880
	ds_load_b128 v[14:17], v1 offset:896
	v_fma_f64 v[149:150], v[149:150], v[22:23], v[151:152]
	v_fma_f64 v[22:23], v[147:148], v[22:23], -v[24:25]
	s_waitcnt vmcnt(6) lgkmcnt(1)
	v_mul_f64 v[155:156], v[2:3], v[28:29]
	v_mul_f64 v[28:29], v[4:5], v[28:29]
	s_waitcnt vmcnt(5) lgkmcnt(0)
	v_mul_f64 v[24:25], v[14:15], v[32:33]
	v_mul_f64 v[32:33], v[16:17], v[32:33]
	v_add_f64 v[18:19], v[20:21], v[18:19]
	v_add_f64 v[20:21], v[43:44], v[153:154]
	v_fma_f64 v[43:44], v[4:5], v[26:27], v[155:156]
	v_fma_f64 v[26:27], v[2:3], v[26:27], -v[28:29]
	v_fma_f64 v[16:17], v[16:17], v[30:31], v[24:25]
	v_fma_f64 v[14:15], v[14:15], v[30:31], -v[32:33]
	v_add_f64 v[22:23], v[18:19], v[22:23]
	v_add_f64 v[28:29], v[20:21], v[149:150]
	ds_load_b128 v[2:5], v1 offset:912
	ds_load_b128 v[18:21], v1 offset:928
	s_waitcnt vmcnt(4) lgkmcnt(1)
	v_mul_f64 v[147:148], v[2:3], v[40:41]
	v_mul_f64 v[40:41], v[4:5], v[40:41]
	v_add_f64 v[22:23], v[22:23], v[26:27]
	v_add_f64 v[24:25], v[28:29], v[43:44]
	s_waitcnt vmcnt(3) lgkmcnt(0)
	v_mul_f64 v[26:27], v[18:19], v[145:146]
	v_mul_f64 v[28:29], v[20:21], v[145:146]
	v_fma_f64 v[30:31], v[4:5], v[38:39], v[147:148]
	v_fma_f64 v[32:33], v[2:3], v[38:39], -v[40:41]
	v_add_f64 v[22:23], v[22:23], v[14:15]
	v_add_f64 v[24:25], v[24:25], v[16:17]
	ds_load_b128 v[2:5], v1 offset:944
	ds_load_b128 v[14:17], v1 offset:960
	v_fma_f64 v[20:21], v[20:21], v[143:144], v[26:27]
	v_fma_f64 v[18:19], v[18:19], v[143:144], -v[28:29]
	s_waitcnt vmcnt(2) lgkmcnt(1)
	v_mul_f64 v[38:39], v[2:3], v[36:37]
	v_mul_f64 v[36:37], v[4:5], v[36:37]
	v_add_f64 v[22:23], v[22:23], v[32:33]
	v_add_f64 v[24:25], v[24:25], v[30:31]
	s_waitcnt vmcnt(1) lgkmcnt(0)
	v_mul_f64 v[26:27], v[14:15], v[8:9]
	v_mul_f64 v[8:9], v[16:17], v[8:9]
	v_fma_f64 v[28:29], v[4:5], v[34:35], v[38:39]
	v_fma_f64 v[30:31], v[2:3], v[34:35], -v[36:37]
	ds_load_b128 v[2:5], v1 offset:976
	v_add_f64 v[18:19], v[22:23], v[18:19]
	v_add_f64 v[20:21], v[24:25], v[20:21]
	v_fma_f64 v[16:17], v[16:17], v[6:7], v[26:27]
	v_fma_f64 v[6:7], v[14:15], v[6:7], -v[8:9]
	s_waitcnt vmcnt(0) lgkmcnt(0)
	v_mul_f64 v[22:23], v[2:3], v[12:13]
	v_mul_f64 v[12:13], v[4:5], v[12:13]
	v_add_f64 v[8:9], v[18:19], v[30:31]
	v_add_f64 v[14:15], v[20:21], v[28:29]
	s_delay_alu instid0(VALU_DEP_4) | instskip(NEXT) | instid1(VALU_DEP_4)
	v_fma_f64 v[4:5], v[4:5], v[10:11], v[22:23]
	v_fma_f64 v[2:3], v[2:3], v[10:11], -v[12:13]
	s_delay_alu instid0(VALU_DEP_4) | instskip(NEXT) | instid1(VALU_DEP_4)
	v_add_f64 v[6:7], v[8:9], v[6:7]
	v_add_f64 v[8:9], v[14:15], v[16:17]
	s_delay_alu instid0(VALU_DEP_2) | instskip(NEXT) | instid1(VALU_DEP_2)
	v_add_f64 v[2:3], v[6:7], v[2:3]
	v_add_f64 v[4:5], v[8:9], v[4:5]
	s_delay_alu instid0(VALU_DEP_2) | instskip(NEXT) | instid1(VALU_DEP_2)
	v_add_f64 v[2:3], v[139:140], -v[2:3]
	v_add_f64 v[4:5], v[141:142], -v[4:5]
	scratch_store_b128 off, v[2:5], off offset:112
	v_cmpx_lt_u32_e32 6, v108
	s_cbranch_execz .LBB94_187
; %bb.186:
	scratch_load_b128 v[5:8], v128, off
	v_mov_b32_e32 v2, v1
	v_mov_b32_e32 v3, v1
	;; [unrolled: 1-line block ×3, first 2 shown]
	scratch_store_b128 off, v[1:4], off offset:96
	s_waitcnt vmcnt(0)
	ds_store_b128 v42, v[5:8]
.LBB94_187:
	s_or_b32 exec_lo, exec_lo, s2
	s_waitcnt lgkmcnt(0)
	s_waitcnt_vscnt null, 0x0
	s_barrier
	buffer_gl0_inv
	s_clause 0x8
	scratch_load_b128 v[2:5], off, off offset:112
	scratch_load_b128 v[6:9], off, off offset:128
	;; [unrolled: 1-line block ×9, first 2 shown]
	ds_load_b128 v[38:41], v1 offset:608
	ds_load_b128 v[139:142], v1 offset:624
	s_clause 0x1
	scratch_load_b128 v[143:146], off, off offset:96
	scratch_load_b128 v[147:150], off, off offset:256
	s_mov_b32 s2, exec_lo
	ds_load_b128 v[151:154], v1 offset:656
	s_waitcnt vmcnt(10) lgkmcnt(2)
	v_mul_f64 v[43:44], v[40:41], v[4:5]
	v_mul_f64 v[4:5], v[38:39], v[4:5]
	s_waitcnt vmcnt(9) lgkmcnt(1)
	v_mul_f64 v[155:156], v[139:140], v[8:9]
	v_mul_f64 v[8:9], v[141:142], v[8:9]
	s_delay_alu instid0(VALU_DEP_4) | instskip(NEXT) | instid1(VALU_DEP_4)
	v_fma_f64 v[43:44], v[38:39], v[2:3], -v[43:44]
	v_fma_f64 v[157:158], v[40:41], v[2:3], v[4:5]
	ds_load_b128 v[2:5], v1 offset:640
	scratch_load_b128 v[38:41], off, off offset:272
	v_fma_f64 v[141:142], v[141:142], v[6:7], v[155:156]
	v_fma_f64 v[139:140], v[139:140], v[6:7], -v[8:9]
	scratch_load_b128 v[6:9], off, off offset:288
	s_waitcnt vmcnt(10) lgkmcnt(0)
	v_mul_f64 v[159:160], v[2:3], v[12:13]
	v_mul_f64 v[12:13], v[4:5], v[12:13]
	v_add_f64 v[43:44], v[43:44], 0
	v_add_f64 v[155:156], v[157:158], 0
	s_waitcnt vmcnt(9)
	v_mul_f64 v[157:158], v[151:152], v[16:17]
	v_mul_f64 v[16:17], v[153:154], v[16:17]
	v_fma_f64 v[159:160], v[4:5], v[10:11], v[159:160]
	v_fma_f64 v[161:162], v[2:3], v[10:11], -v[12:13]
	ds_load_b128 v[2:5], v1 offset:672
	scratch_load_b128 v[10:13], off, off offset:304
	v_add_f64 v[43:44], v[43:44], v[139:140]
	v_add_f64 v[155:156], v[155:156], v[141:142]
	ds_load_b128 v[139:142], v1 offset:688
	v_fma_f64 v[153:154], v[153:154], v[14:15], v[157:158]
	v_fma_f64 v[151:152], v[151:152], v[14:15], -v[16:17]
	scratch_load_b128 v[14:17], off, off offset:320
	s_waitcnt vmcnt(10) lgkmcnt(1)
	v_mul_f64 v[163:164], v[2:3], v[20:21]
	v_mul_f64 v[20:21], v[4:5], v[20:21]
	s_waitcnt vmcnt(9) lgkmcnt(0)
	v_mul_f64 v[157:158], v[139:140], v[24:25]
	v_mul_f64 v[24:25], v[141:142], v[24:25]
	v_add_f64 v[43:44], v[43:44], v[161:162]
	v_add_f64 v[155:156], v[155:156], v[159:160]
	v_fma_f64 v[159:160], v[4:5], v[18:19], v[163:164]
	v_fma_f64 v[161:162], v[2:3], v[18:19], -v[20:21]
	ds_load_b128 v[2:5], v1 offset:704
	scratch_load_b128 v[18:21], off, off offset:336
	v_fma_f64 v[141:142], v[141:142], v[22:23], v[157:158]
	v_fma_f64 v[139:140], v[139:140], v[22:23], -v[24:25]
	scratch_load_b128 v[22:25], off, off offset:352
	v_add_f64 v[43:44], v[43:44], v[151:152]
	v_add_f64 v[155:156], v[155:156], v[153:154]
	ds_load_b128 v[151:154], v1 offset:720
	s_waitcnt vmcnt(10) lgkmcnt(1)
	v_mul_f64 v[163:164], v[2:3], v[28:29]
	v_mul_f64 v[28:29], v[4:5], v[28:29]
	s_waitcnt vmcnt(9) lgkmcnt(0)
	v_mul_f64 v[157:158], v[151:152], v[32:33]
	v_mul_f64 v[32:33], v[153:154], v[32:33]
	v_add_f64 v[43:44], v[43:44], v[161:162]
	v_add_f64 v[155:156], v[155:156], v[159:160]
	v_fma_f64 v[159:160], v[4:5], v[26:27], v[163:164]
	v_fma_f64 v[161:162], v[2:3], v[26:27], -v[28:29]
	ds_load_b128 v[2:5], v1 offset:736
	scratch_load_b128 v[26:29], off, off offset:368
	v_fma_f64 v[153:154], v[153:154], v[30:31], v[157:158]
	v_fma_f64 v[151:152], v[151:152], v[30:31], -v[32:33]
	scratch_load_b128 v[30:33], off, off offset:384
	v_add_f64 v[43:44], v[43:44], v[139:140]
	v_add_f64 v[155:156], v[155:156], v[141:142]
	ds_load_b128 v[139:142], v1 offset:752
	s_waitcnt vmcnt(10) lgkmcnt(1)
	v_mul_f64 v[163:164], v[2:3], v[36:37]
	v_mul_f64 v[36:37], v[4:5], v[36:37]
	s_waitcnt vmcnt(8) lgkmcnt(0)
	v_mul_f64 v[157:158], v[139:140], v[149:150]
	v_add_f64 v[43:44], v[43:44], v[161:162]
	v_add_f64 v[155:156], v[155:156], v[159:160]
	v_mul_f64 v[159:160], v[141:142], v[149:150]
	v_fma_f64 v[161:162], v[4:5], v[34:35], v[163:164]
	v_fma_f64 v[163:164], v[2:3], v[34:35], -v[36:37]
	ds_load_b128 v[2:5], v1 offset:768
	scratch_load_b128 v[34:37], off, off offset:400
	v_fma_f64 v[157:158], v[141:142], v[147:148], v[157:158]
	v_add_f64 v[43:44], v[43:44], v[151:152]
	v_add_f64 v[153:154], v[155:156], v[153:154]
	ds_load_b128 v[149:152], v1 offset:784
	v_fma_f64 v[147:148], v[139:140], v[147:148], -v[159:160]
	scratch_load_b128 v[139:142], off, off offset:416
	s_waitcnt vmcnt(9) lgkmcnt(1)
	v_mul_f64 v[155:156], v[2:3], v[40:41]
	v_mul_f64 v[40:41], v[4:5], v[40:41]
	s_waitcnt vmcnt(8) lgkmcnt(0)
	v_mul_f64 v[159:160], v[149:150], v[8:9]
	v_mul_f64 v[8:9], v[151:152], v[8:9]
	v_add_f64 v[43:44], v[43:44], v[163:164]
	v_add_f64 v[153:154], v[153:154], v[161:162]
	v_fma_f64 v[161:162], v[4:5], v[38:39], v[155:156]
	v_fma_f64 v[163:164], v[2:3], v[38:39], -v[40:41]
	ds_load_b128 v[2:5], v1 offset:800
	scratch_load_b128 v[38:41], off, off offset:432
	v_fma_f64 v[151:152], v[151:152], v[6:7], v[159:160]
	v_fma_f64 v[149:150], v[149:150], v[6:7], -v[8:9]
	scratch_load_b128 v[6:9], off, off offset:448
	v_add_f64 v[43:44], v[43:44], v[147:148]
	v_add_f64 v[147:148], v[153:154], v[157:158]
	ds_load_b128 v[153:156], v1 offset:816
	s_waitcnt vmcnt(9) lgkmcnt(1)
	v_mul_f64 v[157:158], v[2:3], v[12:13]
	v_mul_f64 v[12:13], v[4:5], v[12:13]
	s_waitcnt vmcnt(8) lgkmcnt(0)
	v_mul_f64 v[159:160], v[153:154], v[16:17]
	v_mul_f64 v[16:17], v[155:156], v[16:17]
	v_add_f64 v[43:44], v[43:44], v[163:164]
	v_add_f64 v[147:148], v[147:148], v[161:162]
	v_fma_f64 v[157:158], v[4:5], v[10:11], v[157:158]
	v_fma_f64 v[161:162], v[2:3], v[10:11], -v[12:13]
	ds_load_b128 v[2:5], v1 offset:832
	scratch_load_b128 v[10:13], off, off offset:464
	v_fma_f64 v[155:156], v[155:156], v[14:15], v[159:160]
	v_fma_f64 v[153:154], v[153:154], v[14:15], -v[16:17]
	scratch_load_b128 v[14:17], off, off offset:480
	v_add_f64 v[43:44], v[43:44], v[149:150]
	v_add_f64 v[151:152], v[147:148], v[151:152]
	ds_load_b128 v[147:150], v1 offset:848
	s_waitcnt vmcnt(9) lgkmcnt(1)
	v_mul_f64 v[163:164], v[2:3], v[20:21]
	v_mul_f64 v[20:21], v[4:5], v[20:21]
	v_add_f64 v[43:44], v[43:44], v[161:162]
	v_add_f64 v[151:152], v[151:152], v[157:158]
	s_waitcnt vmcnt(8) lgkmcnt(0)
	v_mul_f64 v[157:158], v[147:148], v[24:25]
	v_mul_f64 v[24:25], v[149:150], v[24:25]
	v_fma_f64 v[159:160], v[4:5], v[18:19], v[163:164]
	v_fma_f64 v[161:162], v[2:3], v[18:19], -v[20:21]
	ds_load_b128 v[2:5], v1 offset:864
	ds_load_b128 v[18:21], v1 offset:880
	v_add_f64 v[43:44], v[43:44], v[153:154]
	v_add_f64 v[151:152], v[151:152], v[155:156]
	s_waitcnt vmcnt(7) lgkmcnt(1)
	v_mul_f64 v[153:154], v[2:3], v[28:29]
	v_mul_f64 v[28:29], v[4:5], v[28:29]
	v_fma_f64 v[149:150], v[149:150], v[22:23], v[157:158]
	v_fma_f64 v[22:23], v[147:148], v[22:23], -v[24:25]
	s_waitcnt vmcnt(6) lgkmcnt(0)
	v_mul_f64 v[147:148], v[18:19], v[32:33]
	v_mul_f64 v[32:33], v[20:21], v[32:33]
	v_add_f64 v[24:25], v[43:44], v[161:162]
	v_add_f64 v[43:44], v[151:152], v[159:160]
	v_fma_f64 v[151:152], v[4:5], v[26:27], v[153:154]
	v_fma_f64 v[26:27], v[2:3], v[26:27], -v[28:29]
	v_fma_f64 v[20:21], v[20:21], v[30:31], v[147:148]
	v_fma_f64 v[18:19], v[18:19], v[30:31], -v[32:33]
	v_add_f64 v[28:29], v[24:25], v[22:23]
	v_add_f64 v[43:44], v[43:44], v[149:150]
	ds_load_b128 v[2:5], v1 offset:896
	ds_load_b128 v[22:25], v1 offset:912
	s_waitcnt vmcnt(5) lgkmcnt(1)
	v_mul_f64 v[149:150], v[2:3], v[36:37]
	v_mul_f64 v[36:37], v[4:5], v[36:37]
	s_waitcnt vmcnt(4) lgkmcnt(0)
	v_mul_f64 v[30:31], v[22:23], v[141:142]
	v_mul_f64 v[32:33], v[24:25], v[141:142]
	v_add_f64 v[26:27], v[28:29], v[26:27]
	v_add_f64 v[28:29], v[43:44], v[151:152]
	v_fma_f64 v[43:44], v[4:5], v[34:35], v[149:150]
	v_fma_f64 v[34:35], v[2:3], v[34:35], -v[36:37]
	v_fma_f64 v[24:25], v[24:25], v[139:140], v[30:31]
	v_fma_f64 v[22:23], v[22:23], v[139:140], -v[32:33]
	v_add_f64 v[26:27], v[26:27], v[18:19]
	v_add_f64 v[28:29], v[28:29], v[20:21]
	ds_load_b128 v[2:5], v1 offset:928
	ds_load_b128 v[18:21], v1 offset:944
	s_waitcnt vmcnt(3) lgkmcnt(1)
	v_mul_f64 v[36:37], v[2:3], v[40:41]
	v_mul_f64 v[40:41], v[4:5], v[40:41]
	;; [unrolled: 16-line block ×3, first 2 shown]
	v_add_f64 v[8:9], v[26:27], v[34:35]
	v_add_f64 v[18:19], v[28:29], v[32:33]
	s_waitcnt vmcnt(0) lgkmcnt(0)
	v_mul_f64 v[26:27], v[22:23], v[16:17]
	v_mul_f64 v[16:17], v[24:25], v[16:17]
	v_fma_f64 v[4:5], v[4:5], v[10:11], v[36:37]
	v_fma_f64 v[1:2], v[2:3], v[10:11], -v[12:13]
	v_add_f64 v[6:7], v[8:9], v[6:7]
	v_add_f64 v[8:9], v[18:19], v[20:21]
	v_fma_f64 v[10:11], v[24:25], v[14:15], v[26:27]
	v_fma_f64 v[12:13], v[22:23], v[14:15], -v[16:17]
	s_delay_alu instid0(VALU_DEP_4) | instskip(NEXT) | instid1(VALU_DEP_4)
	v_add_f64 v[1:2], v[6:7], v[1:2]
	v_add_f64 v[3:4], v[8:9], v[4:5]
	s_delay_alu instid0(VALU_DEP_2) | instskip(NEXT) | instid1(VALU_DEP_2)
	v_add_f64 v[1:2], v[1:2], v[12:13]
	v_add_f64 v[3:4], v[3:4], v[10:11]
	s_delay_alu instid0(VALU_DEP_2) | instskip(NEXT) | instid1(VALU_DEP_2)
	v_add_f64 v[1:2], v[143:144], -v[1:2]
	v_add_f64 v[3:4], v[145:146], -v[3:4]
	scratch_store_b128 off, v[1:4], off offset:96
	v_cmpx_lt_u32_e32 5, v108
	s_cbranch_execz .LBB94_189
; %bb.188:
	scratch_load_b128 v[1:4], v130, off
	v_mov_b32_e32 v5, 0
	s_delay_alu instid0(VALU_DEP_1)
	v_mov_b32_e32 v6, v5
	v_mov_b32_e32 v7, v5
	;; [unrolled: 1-line block ×3, first 2 shown]
	scratch_store_b128 off, v[5:8], off offset:80
	s_waitcnt vmcnt(0)
	ds_store_b128 v42, v[1:4]
.LBB94_189:
	s_or_b32 exec_lo, exec_lo, s2
	s_waitcnt lgkmcnt(0)
	s_waitcnt_vscnt null, 0x0
	s_barrier
	buffer_gl0_inv
	s_clause 0x7
	scratch_load_b128 v[2:5], off, off offset:96
	scratch_load_b128 v[6:9], off, off offset:112
	;; [unrolled: 1-line block ×8, first 2 shown]
	v_mov_b32_e32 v1, 0
	s_mov_b32 s2, exec_lo
	ds_load_b128 v[34:37], v1 offset:592
	s_clause 0x1
	scratch_load_b128 v[38:41], off, off offset:224
	scratch_load_b128 v[139:142], off, off offset:80
	ds_load_b128 v[143:146], v1 offset:608
	scratch_load_b128 v[147:150], off, off offset:240
	ds_load_b128 v[151:154], v1 offset:640
	s_waitcnt vmcnt(10) lgkmcnt(2)
	v_mul_f64 v[43:44], v[36:37], v[4:5]
	v_mul_f64 v[4:5], v[34:35], v[4:5]
	s_delay_alu instid0(VALU_DEP_2) | instskip(NEXT) | instid1(VALU_DEP_2)
	v_fma_f64 v[43:44], v[34:35], v[2:3], -v[43:44]
	v_fma_f64 v[157:158], v[36:37], v[2:3], v[4:5]
	ds_load_b128 v[2:5], v1 offset:624
	s_waitcnt vmcnt(9) lgkmcnt(2)
	v_mul_f64 v[155:156], v[143:144], v[8:9]
	v_mul_f64 v[8:9], v[145:146], v[8:9]
	scratch_load_b128 v[34:37], off, off offset:256
	s_waitcnt vmcnt(9) lgkmcnt(0)
	v_mul_f64 v[159:160], v[2:3], v[12:13]
	v_mul_f64 v[12:13], v[4:5], v[12:13]
	v_add_f64 v[43:44], v[43:44], 0
	v_fma_f64 v[145:146], v[145:146], v[6:7], v[155:156]
	v_fma_f64 v[143:144], v[143:144], v[6:7], -v[8:9]
	v_add_f64 v[155:156], v[157:158], 0
	scratch_load_b128 v[6:9], off, off offset:272
	v_fma_f64 v[159:160], v[4:5], v[10:11], v[159:160]
	v_fma_f64 v[161:162], v[2:3], v[10:11], -v[12:13]
	scratch_load_b128 v[10:13], off, off offset:288
	ds_load_b128 v[2:5], v1 offset:656
	s_waitcnt vmcnt(10)
	v_mul_f64 v[157:158], v[151:152], v[16:17]
	v_mul_f64 v[16:17], v[153:154], v[16:17]
	v_add_f64 v[43:44], v[43:44], v[143:144]
	v_add_f64 v[155:156], v[155:156], v[145:146]
	ds_load_b128 v[143:146], v1 offset:672
	s_waitcnt vmcnt(9) lgkmcnt(1)
	v_mul_f64 v[163:164], v[2:3], v[20:21]
	v_mul_f64 v[20:21], v[4:5], v[20:21]
	v_fma_f64 v[153:154], v[153:154], v[14:15], v[157:158]
	v_fma_f64 v[151:152], v[151:152], v[14:15], -v[16:17]
	scratch_load_b128 v[14:17], off, off offset:304
	v_add_f64 v[43:44], v[43:44], v[161:162]
	v_add_f64 v[155:156], v[155:156], v[159:160]
	v_fma_f64 v[159:160], v[4:5], v[18:19], v[163:164]
	v_fma_f64 v[161:162], v[2:3], v[18:19], -v[20:21]
	scratch_load_b128 v[18:21], off, off offset:320
	ds_load_b128 v[2:5], v1 offset:688
	s_waitcnt vmcnt(10) lgkmcnt(1)
	v_mul_f64 v[157:158], v[143:144], v[24:25]
	v_mul_f64 v[24:25], v[145:146], v[24:25]
	s_waitcnt vmcnt(9) lgkmcnt(0)
	v_mul_f64 v[163:164], v[2:3], v[28:29]
	v_mul_f64 v[28:29], v[4:5], v[28:29]
	v_add_f64 v[43:44], v[43:44], v[151:152]
	v_add_f64 v[155:156], v[155:156], v[153:154]
	ds_load_b128 v[151:154], v1 offset:704
	v_fma_f64 v[145:146], v[145:146], v[22:23], v[157:158]
	v_fma_f64 v[143:144], v[143:144], v[22:23], -v[24:25]
	scratch_load_b128 v[22:25], off, off offset:336
	v_add_f64 v[43:44], v[43:44], v[161:162]
	v_add_f64 v[155:156], v[155:156], v[159:160]
	v_fma_f64 v[159:160], v[4:5], v[26:27], v[163:164]
	v_fma_f64 v[161:162], v[2:3], v[26:27], -v[28:29]
	scratch_load_b128 v[26:29], off, off offset:352
	ds_load_b128 v[2:5], v1 offset:720
	s_waitcnt vmcnt(10) lgkmcnt(1)
	v_mul_f64 v[157:158], v[151:152], v[32:33]
	v_mul_f64 v[32:33], v[153:154], v[32:33]
	s_waitcnt vmcnt(9) lgkmcnt(0)
	v_mul_f64 v[163:164], v[2:3], v[40:41]
	v_mul_f64 v[40:41], v[4:5], v[40:41]
	v_add_f64 v[43:44], v[43:44], v[143:144]
	v_add_f64 v[155:156], v[155:156], v[145:146]
	ds_load_b128 v[143:146], v1 offset:736
	v_fma_f64 v[153:154], v[153:154], v[30:31], v[157:158]
	v_fma_f64 v[151:152], v[151:152], v[30:31], -v[32:33]
	scratch_load_b128 v[30:33], off, off offset:368
	v_add_f64 v[43:44], v[43:44], v[161:162]
	v_add_f64 v[155:156], v[155:156], v[159:160]
	v_fma_f64 v[161:162], v[4:5], v[38:39], v[163:164]
	v_fma_f64 v[163:164], v[2:3], v[38:39], -v[40:41]
	scratch_load_b128 v[38:41], off, off offset:384
	ds_load_b128 v[2:5], v1 offset:752
	s_waitcnt vmcnt(9) lgkmcnt(1)
	v_mul_f64 v[157:158], v[143:144], v[149:150]
	v_mul_f64 v[159:160], v[145:146], v[149:150]
	v_add_f64 v[43:44], v[43:44], v[151:152]
	v_add_f64 v[153:154], v[155:156], v[153:154]
	ds_load_b128 v[149:152], v1 offset:768
	v_fma_f64 v[157:158], v[145:146], v[147:148], v[157:158]
	v_fma_f64 v[147:148], v[143:144], v[147:148], -v[159:160]
	scratch_load_b128 v[143:146], off, off offset:400
	s_waitcnt vmcnt(9) lgkmcnt(1)
	v_mul_f64 v[155:156], v[2:3], v[36:37]
	v_mul_f64 v[36:37], v[4:5], v[36:37]
	v_add_f64 v[43:44], v[43:44], v[163:164]
	v_add_f64 v[153:154], v[153:154], v[161:162]
	s_delay_alu instid0(VALU_DEP_4) | instskip(NEXT) | instid1(VALU_DEP_4)
	v_fma_f64 v[161:162], v[4:5], v[34:35], v[155:156]
	v_fma_f64 v[163:164], v[2:3], v[34:35], -v[36:37]
	scratch_load_b128 v[34:37], off, off offset:416
	ds_load_b128 v[2:5], v1 offset:784
	s_waitcnt vmcnt(9) lgkmcnt(1)
	v_mul_f64 v[159:160], v[149:150], v[8:9]
	v_mul_f64 v[8:9], v[151:152], v[8:9]
	v_add_f64 v[43:44], v[43:44], v[147:148]
	v_add_f64 v[147:148], v[153:154], v[157:158]
	s_waitcnt vmcnt(8) lgkmcnt(0)
	v_mul_f64 v[157:158], v[2:3], v[12:13]
	v_mul_f64 v[12:13], v[4:5], v[12:13]
	ds_load_b128 v[153:156], v1 offset:800
	v_fma_f64 v[151:152], v[151:152], v[6:7], v[159:160]
	v_fma_f64 v[149:150], v[149:150], v[6:7], -v[8:9]
	scratch_load_b128 v[6:9], off, off offset:432
	v_add_f64 v[43:44], v[43:44], v[163:164]
	v_add_f64 v[147:148], v[147:148], v[161:162]
	v_fma_f64 v[157:158], v[4:5], v[10:11], v[157:158]
	v_fma_f64 v[161:162], v[2:3], v[10:11], -v[12:13]
	scratch_load_b128 v[10:13], off, off offset:448
	ds_load_b128 v[2:5], v1 offset:816
	s_waitcnt vmcnt(9) lgkmcnt(1)
	v_mul_f64 v[159:160], v[153:154], v[16:17]
	v_mul_f64 v[16:17], v[155:156], v[16:17]
	s_waitcnt vmcnt(8) lgkmcnt(0)
	v_mul_f64 v[163:164], v[2:3], v[20:21]
	v_mul_f64 v[20:21], v[4:5], v[20:21]
	v_add_f64 v[43:44], v[43:44], v[149:150]
	v_add_f64 v[151:152], v[147:148], v[151:152]
	ds_load_b128 v[147:150], v1 offset:832
	v_fma_f64 v[155:156], v[155:156], v[14:15], v[159:160]
	v_fma_f64 v[153:154], v[153:154], v[14:15], -v[16:17]
	scratch_load_b128 v[14:17], off, off offset:464
	v_fma_f64 v[159:160], v[4:5], v[18:19], v[163:164]
	v_add_f64 v[43:44], v[43:44], v[161:162]
	v_add_f64 v[151:152], v[151:152], v[157:158]
	v_fma_f64 v[161:162], v[2:3], v[18:19], -v[20:21]
	scratch_load_b128 v[18:21], off, off offset:480
	ds_load_b128 v[2:5], v1 offset:848
	s_waitcnt vmcnt(9) lgkmcnt(1)
	v_mul_f64 v[157:158], v[147:148], v[24:25]
	v_mul_f64 v[24:25], v[149:150], v[24:25]
	s_waitcnt vmcnt(8) lgkmcnt(0)
	v_mul_f64 v[163:164], v[2:3], v[28:29]
	v_mul_f64 v[28:29], v[4:5], v[28:29]
	v_add_f64 v[43:44], v[43:44], v[153:154]
	v_add_f64 v[155:156], v[151:152], v[155:156]
	ds_load_b128 v[151:154], v1 offset:864
	v_fma_f64 v[149:150], v[149:150], v[22:23], v[157:158]
	v_fma_f64 v[22:23], v[147:148], v[22:23], -v[24:25]
	s_waitcnt vmcnt(7) lgkmcnt(0)
	v_mul_f64 v[147:148], v[151:152], v[32:33]
	v_mul_f64 v[32:33], v[153:154], v[32:33]
	v_add_f64 v[24:25], v[43:44], v[161:162]
	v_add_f64 v[43:44], v[155:156], v[159:160]
	v_fma_f64 v[155:156], v[4:5], v[26:27], v[163:164]
	v_fma_f64 v[26:27], v[2:3], v[26:27], -v[28:29]
	v_fma_f64 v[147:148], v[153:154], v[30:31], v[147:148]
	v_fma_f64 v[30:31], v[151:152], v[30:31], -v[32:33]
	v_add_f64 v[28:29], v[24:25], v[22:23]
	v_add_f64 v[43:44], v[43:44], v[149:150]
	ds_load_b128 v[2:5], v1 offset:880
	ds_load_b128 v[22:25], v1 offset:896
	s_waitcnt vmcnt(6) lgkmcnt(1)
	v_mul_f64 v[149:150], v[2:3], v[40:41]
	v_mul_f64 v[40:41], v[4:5], v[40:41]
	s_waitcnt vmcnt(5) lgkmcnt(0)
	v_mul_f64 v[32:33], v[22:23], v[145:146]
	v_add_f64 v[26:27], v[28:29], v[26:27]
	v_add_f64 v[28:29], v[43:44], v[155:156]
	v_mul_f64 v[43:44], v[24:25], v[145:146]
	v_fma_f64 v[145:146], v[4:5], v[38:39], v[149:150]
	v_fma_f64 v[38:39], v[2:3], v[38:39], -v[40:41]
	v_fma_f64 v[24:25], v[24:25], v[143:144], v[32:33]
	v_add_f64 v[30:31], v[26:27], v[30:31]
	v_add_f64 v[40:41], v[28:29], v[147:148]
	ds_load_b128 v[2:5], v1 offset:912
	ds_load_b128 v[26:29], v1 offset:928
	v_fma_f64 v[22:23], v[22:23], v[143:144], -v[43:44]
	s_waitcnt vmcnt(4) lgkmcnt(1)
	v_mul_f64 v[147:148], v[2:3], v[36:37]
	v_mul_f64 v[36:37], v[4:5], v[36:37]
	v_add_f64 v[30:31], v[30:31], v[38:39]
	v_add_f64 v[32:33], v[40:41], v[145:146]
	s_waitcnt vmcnt(3) lgkmcnt(0)
	v_mul_f64 v[38:39], v[26:27], v[8:9]
	v_mul_f64 v[8:9], v[28:29], v[8:9]
	v_fma_f64 v[40:41], v[4:5], v[34:35], v[147:148]
	v_fma_f64 v[34:35], v[2:3], v[34:35], -v[36:37]
	v_add_f64 v[30:31], v[30:31], v[22:23]
	v_add_f64 v[32:33], v[32:33], v[24:25]
	ds_load_b128 v[2:5], v1 offset:944
	ds_load_b128 v[22:25], v1 offset:960
	v_fma_f64 v[28:29], v[28:29], v[6:7], v[38:39]
	v_fma_f64 v[6:7], v[26:27], v[6:7], -v[8:9]
	s_waitcnt vmcnt(2) lgkmcnt(1)
	v_mul_f64 v[36:37], v[2:3], v[12:13]
	v_mul_f64 v[12:13], v[4:5], v[12:13]
	v_add_f64 v[8:9], v[30:31], v[34:35]
	v_add_f64 v[26:27], v[32:33], v[40:41]
	s_waitcnt vmcnt(1) lgkmcnt(0)
	v_mul_f64 v[30:31], v[22:23], v[16:17]
	v_mul_f64 v[16:17], v[24:25], v[16:17]
	v_fma_f64 v[32:33], v[4:5], v[10:11], v[36:37]
	v_fma_f64 v[10:11], v[2:3], v[10:11], -v[12:13]
	ds_load_b128 v[2:5], v1 offset:976
	v_add_f64 v[6:7], v[8:9], v[6:7]
	v_add_f64 v[8:9], v[26:27], v[28:29]
	v_fma_f64 v[24:25], v[24:25], v[14:15], v[30:31]
	v_fma_f64 v[14:15], v[22:23], v[14:15], -v[16:17]
	s_waitcnt vmcnt(0) lgkmcnt(0)
	v_mul_f64 v[12:13], v[2:3], v[20:21]
	v_mul_f64 v[20:21], v[4:5], v[20:21]
	v_add_f64 v[6:7], v[6:7], v[10:11]
	v_add_f64 v[8:9], v[8:9], v[32:33]
	s_delay_alu instid0(VALU_DEP_4) | instskip(NEXT) | instid1(VALU_DEP_4)
	v_fma_f64 v[4:5], v[4:5], v[18:19], v[12:13]
	v_fma_f64 v[2:3], v[2:3], v[18:19], -v[20:21]
	s_delay_alu instid0(VALU_DEP_4) | instskip(NEXT) | instid1(VALU_DEP_4)
	v_add_f64 v[6:7], v[6:7], v[14:15]
	v_add_f64 v[8:9], v[8:9], v[24:25]
	s_delay_alu instid0(VALU_DEP_2) | instskip(NEXT) | instid1(VALU_DEP_2)
	v_add_f64 v[2:3], v[6:7], v[2:3]
	v_add_f64 v[4:5], v[8:9], v[4:5]
	s_delay_alu instid0(VALU_DEP_2) | instskip(NEXT) | instid1(VALU_DEP_2)
	v_add_f64 v[2:3], v[139:140], -v[2:3]
	v_add_f64 v[4:5], v[141:142], -v[4:5]
	scratch_store_b128 off, v[2:5], off offset:80
	v_cmpx_lt_u32_e32 4, v108
	s_cbranch_execz .LBB94_191
; %bb.190:
	scratch_load_b128 v[5:8], v109, off
	v_mov_b32_e32 v2, v1
	v_mov_b32_e32 v3, v1
	;; [unrolled: 1-line block ×3, first 2 shown]
	scratch_store_b128 off, v[1:4], off offset:64
	s_waitcnt vmcnt(0)
	ds_store_b128 v42, v[5:8]
.LBB94_191:
	s_or_b32 exec_lo, exec_lo, s2
	s_waitcnt lgkmcnt(0)
	s_waitcnt_vscnt null, 0x0
	s_barrier
	buffer_gl0_inv
	s_clause 0x8
	scratch_load_b128 v[2:5], off, off offset:80
	scratch_load_b128 v[6:9], off, off offset:96
	scratch_load_b128 v[10:13], off, off offset:112
	scratch_load_b128 v[14:17], off, off offset:128
	scratch_load_b128 v[18:21], off, off offset:144
	scratch_load_b128 v[22:25], off, off offset:160
	scratch_load_b128 v[26:29], off, off offset:176
	scratch_load_b128 v[30:33], off, off offset:192
	scratch_load_b128 v[34:37], off, off offset:208
	ds_load_b128 v[38:41], v1 offset:576
	ds_load_b128 v[139:142], v1 offset:592
	s_clause 0x1
	scratch_load_b128 v[143:146], off, off offset:64
	scratch_load_b128 v[147:150], off, off offset:224
	s_mov_b32 s2, exec_lo
	ds_load_b128 v[151:154], v1 offset:624
	s_waitcnt vmcnt(10) lgkmcnt(2)
	v_mul_f64 v[43:44], v[40:41], v[4:5]
	v_mul_f64 v[4:5], v[38:39], v[4:5]
	s_waitcnt vmcnt(9) lgkmcnt(1)
	v_mul_f64 v[155:156], v[139:140], v[8:9]
	v_mul_f64 v[8:9], v[141:142], v[8:9]
	s_delay_alu instid0(VALU_DEP_4) | instskip(NEXT) | instid1(VALU_DEP_4)
	v_fma_f64 v[43:44], v[38:39], v[2:3], -v[43:44]
	v_fma_f64 v[157:158], v[40:41], v[2:3], v[4:5]
	ds_load_b128 v[2:5], v1 offset:608
	scratch_load_b128 v[38:41], off, off offset:240
	v_fma_f64 v[141:142], v[141:142], v[6:7], v[155:156]
	v_fma_f64 v[139:140], v[139:140], v[6:7], -v[8:9]
	scratch_load_b128 v[6:9], off, off offset:256
	s_waitcnt vmcnt(10) lgkmcnt(0)
	v_mul_f64 v[159:160], v[2:3], v[12:13]
	v_mul_f64 v[12:13], v[4:5], v[12:13]
	v_add_f64 v[43:44], v[43:44], 0
	v_add_f64 v[155:156], v[157:158], 0
	s_waitcnt vmcnt(9)
	v_mul_f64 v[157:158], v[151:152], v[16:17]
	v_mul_f64 v[16:17], v[153:154], v[16:17]
	v_fma_f64 v[159:160], v[4:5], v[10:11], v[159:160]
	v_fma_f64 v[161:162], v[2:3], v[10:11], -v[12:13]
	ds_load_b128 v[2:5], v1 offset:640
	scratch_load_b128 v[10:13], off, off offset:272
	v_add_f64 v[43:44], v[43:44], v[139:140]
	v_add_f64 v[155:156], v[155:156], v[141:142]
	ds_load_b128 v[139:142], v1 offset:656
	v_fma_f64 v[153:154], v[153:154], v[14:15], v[157:158]
	v_fma_f64 v[151:152], v[151:152], v[14:15], -v[16:17]
	scratch_load_b128 v[14:17], off, off offset:288
	s_waitcnt vmcnt(10) lgkmcnt(1)
	v_mul_f64 v[163:164], v[2:3], v[20:21]
	v_mul_f64 v[20:21], v[4:5], v[20:21]
	s_waitcnt vmcnt(9) lgkmcnt(0)
	v_mul_f64 v[157:158], v[139:140], v[24:25]
	v_mul_f64 v[24:25], v[141:142], v[24:25]
	v_add_f64 v[43:44], v[43:44], v[161:162]
	v_add_f64 v[155:156], v[155:156], v[159:160]
	v_fma_f64 v[159:160], v[4:5], v[18:19], v[163:164]
	v_fma_f64 v[161:162], v[2:3], v[18:19], -v[20:21]
	ds_load_b128 v[2:5], v1 offset:672
	scratch_load_b128 v[18:21], off, off offset:304
	v_fma_f64 v[141:142], v[141:142], v[22:23], v[157:158]
	v_fma_f64 v[139:140], v[139:140], v[22:23], -v[24:25]
	scratch_load_b128 v[22:25], off, off offset:320
	v_add_f64 v[43:44], v[43:44], v[151:152]
	v_add_f64 v[155:156], v[155:156], v[153:154]
	ds_load_b128 v[151:154], v1 offset:688
	s_waitcnt vmcnt(10) lgkmcnt(1)
	v_mul_f64 v[163:164], v[2:3], v[28:29]
	v_mul_f64 v[28:29], v[4:5], v[28:29]
	s_waitcnt vmcnt(9) lgkmcnt(0)
	v_mul_f64 v[157:158], v[151:152], v[32:33]
	v_mul_f64 v[32:33], v[153:154], v[32:33]
	v_add_f64 v[43:44], v[43:44], v[161:162]
	v_add_f64 v[155:156], v[155:156], v[159:160]
	v_fma_f64 v[159:160], v[4:5], v[26:27], v[163:164]
	v_fma_f64 v[161:162], v[2:3], v[26:27], -v[28:29]
	ds_load_b128 v[2:5], v1 offset:704
	scratch_load_b128 v[26:29], off, off offset:336
	v_fma_f64 v[153:154], v[153:154], v[30:31], v[157:158]
	v_fma_f64 v[151:152], v[151:152], v[30:31], -v[32:33]
	scratch_load_b128 v[30:33], off, off offset:352
	v_add_f64 v[43:44], v[43:44], v[139:140]
	v_add_f64 v[155:156], v[155:156], v[141:142]
	ds_load_b128 v[139:142], v1 offset:720
	s_waitcnt vmcnt(10) lgkmcnt(1)
	v_mul_f64 v[163:164], v[2:3], v[36:37]
	v_mul_f64 v[36:37], v[4:5], v[36:37]
	s_waitcnt vmcnt(8) lgkmcnt(0)
	v_mul_f64 v[157:158], v[139:140], v[149:150]
	v_add_f64 v[43:44], v[43:44], v[161:162]
	v_add_f64 v[155:156], v[155:156], v[159:160]
	v_mul_f64 v[159:160], v[141:142], v[149:150]
	v_fma_f64 v[161:162], v[4:5], v[34:35], v[163:164]
	v_fma_f64 v[163:164], v[2:3], v[34:35], -v[36:37]
	ds_load_b128 v[2:5], v1 offset:736
	scratch_load_b128 v[34:37], off, off offset:368
	v_fma_f64 v[157:158], v[141:142], v[147:148], v[157:158]
	v_add_f64 v[43:44], v[43:44], v[151:152]
	v_add_f64 v[153:154], v[155:156], v[153:154]
	ds_load_b128 v[149:152], v1 offset:752
	v_fma_f64 v[147:148], v[139:140], v[147:148], -v[159:160]
	scratch_load_b128 v[139:142], off, off offset:384
	s_waitcnt vmcnt(9) lgkmcnt(1)
	v_mul_f64 v[155:156], v[2:3], v[40:41]
	v_mul_f64 v[40:41], v[4:5], v[40:41]
	s_waitcnt vmcnt(8) lgkmcnt(0)
	v_mul_f64 v[159:160], v[149:150], v[8:9]
	v_mul_f64 v[8:9], v[151:152], v[8:9]
	v_add_f64 v[43:44], v[43:44], v[163:164]
	v_add_f64 v[153:154], v[153:154], v[161:162]
	v_fma_f64 v[161:162], v[4:5], v[38:39], v[155:156]
	v_fma_f64 v[163:164], v[2:3], v[38:39], -v[40:41]
	ds_load_b128 v[2:5], v1 offset:768
	scratch_load_b128 v[38:41], off, off offset:400
	v_fma_f64 v[151:152], v[151:152], v[6:7], v[159:160]
	v_fma_f64 v[149:150], v[149:150], v[6:7], -v[8:9]
	scratch_load_b128 v[6:9], off, off offset:416
	v_add_f64 v[43:44], v[43:44], v[147:148]
	v_add_f64 v[147:148], v[153:154], v[157:158]
	ds_load_b128 v[153:156], v1 offset:784
	s_waitcnt vmcnt(9) lgkmcnt(1)
	v_mul_f64 v[157:158], v[2:3], v[12:13]
	v_mul_f64 v[12:13], v[4:5], v[12:13]
	s_waitcnt vmcnt(8) lgkmcnt(0)
	v_mul_f64 v[159:160], v[153:154], v[16:17]
	v_mul_f64 v[16:17], v[155:156], v[16:17]
	v_add_f64 v[43:44], v[43:44], v[163:164]
	v_add_f64 v[147:148], v[147:148], v[161:162]
	v_fma_f64 v[157:158], v[4:5], v[10:11], v[157:158]
	v_fma_f64 v[161:162], v[2:3], v[10:11], -v[12:13]
	ds_load_b128 v[2:5], v1 offset:800
	scratch_load_b128 v[10:13], off, off offset:432
	v_fma_f64 v[155:156], v[155:156], v[14:15], v[159:160]
	v_fma_f64 v[153:154], v[153:154], v[14:15], -v[16:17]
	scratch_load_b128 v[14:17], off, off offset:448
	v_add_f64 v[43:44], v[43:44], v[149:150]
	v_add_f64 v[151:152], v[147:148], v[151:152]
	ds_load_b128 v[147:150], v1 offset:816
	s_waitcnt vmcnt(9) lgkmcnt(1)
	v_mul_f64 v[163:164], v[2:3], v[20:21]
	v_mul_f64 v[20:21], v[4:5], v[20:21]
	v_add_f64 v[43:44], v[43:44], v[161:162]
	v_add_f64 v[151:152], v[151:152], v[157:158]
	s_waitcnt vmcnt(8) lgkmcnt(0)
	v_mul_f64 v[157:158], v[147:148], v[24:25]
	v_mul_f64 v[24:25], v[149:150], v[24:25]
	v_fma_f64 v[159:160], v[4:5], v[18:19], v[163:164]
	v_fma_f64 v[161:162], v[2:3], v[18:19], -v[20:21]
	ds_load_b128 v[2:5], v1 offset:832
	scratch_load_b128 v[18:21], off, off offset:464
	v_add_f64 v[43:44], v[43:44], v[153:154]
	v_add_f64 v[155:156], v[151:152], v[155:156]
	ds_load_b128 v[151:154], v1 offset:848
	s_waitcnt vmcnt(8) lgkmcnt(1)
	v_mul_f64 v[163:164], v[2:3], v[28:29]
	v_mul_f64 v[28:29], v[4:5], v[28:29]
	v_fma_f64 v[149:150], v[149:150], v[22:23], v[157:158]
	v_fma_f64 v[147:148], v[147:148], v[22:23], -v[24:25]
	scratch_load_b128 v[22:25], off, off offset:480
	s_waitcnt vmcnt(8) lgkmcnt(0)
	v_mul_f64 v[157:158], v[151:152], v[32:33]
	v_mul_f64 v[32:33], v[153:154], v[32:33]
	v_add_f64 v[43:44], v[43:44], v[161:162]
	v_add_f64 v[155:156], v[155:156], v[159:160]
	v_fma_f64 v[159:160], v[4:5], v[26:27], v[163:164]
	v_fma_f64 v[161:162], v[2:3], v[26:27], -v[28:29]
	ds_load_b128 v[2:5], v1 offset:864
	ds_load_b128 v[26:29], v1 offset:880
	v_fma_f64 v[153:154], v[153:154], v[30:31], v[157:158]
	v_fma_f64 v[30:31], v[151:152], v[30:31], -v[32:33]
	v_add_f64 v[43:44], v[43:44], v[147:148]
	v_add_f64 v[147:148], v[155:156], v[149:150]
	s_waitcnt vmcnt(7) lgkmcnt(1)
	v_mul_f64 v[149:150], v[2:3], v[36:37]
	v_mul_f64 v[36:37], v[4:5], v[36:37]
	s_delay_alu instid0(VALU_DEP_4) | instskip(NEXT) | instid1(VALU_DEP_4)
	v_add_f64 v[32:33], v[43:44], v[161:162]
	v_add_f64 v[43:44], v[147:148], v[159:160]
	s_waitcnt vmcnt(6) lgkmcnt(0)
	v_mul_f64 v[147:148], v[26:27], v[141:142]
	v_mul_f64 v[141:142], v[28:29], v[141:142]
	v_fma_f64 v[149:150], v[4:5], v[34:35], v[149:150]
	v_fma_f64 v[34:35], v[2:3], v[34:35], -v[36:37]
	v_add_f64 v[36:37], v[32:33], v[30:31]
	v_add_f64 v[43:44], v[43:44], v[153:154]
	ds_load_b128 v[2:5], v1 offset:896
	ds_load_b128 v[30:33], v1 offset:912
	v_fma_f64 v[28:29], v[28:29], v[139:140], v[147:148]
	v_fma_f64 v[26:27], v[26:27], v[139:140], -v[141:142]
	s_waitcnt vmcnt(5) lgkmcnt(1)
	v_mul_f64 v[151:152], v[2:3], v[40:41]
	v_mul_f64 v[40:41], v[4:5], v[40:41]
	v_add_f64 v[34:35], v[36:37], v[34:35]
	v_add_f64 v[36:37], v[43:44], v[149:150]
	s_waitcnt vmcnt(4) lgkmcnt(0)
	v_mul_f64 v[43:44], v[30:31], v[8:9]
	v_mul_f64 v[8:9], v[32:33], v[8:9]
	v_fma_f64 v[139:140], v[4:5], v[38:39], v[151:152]
	v_fma_f64 v[38:39], v[2:3], v[38:39], -v[40:41]
	v_add_f64 v[34:35], v[34:35], v[26:27]
	v_add_f64 v[36:37], v[36:37], v[28:29]
	ds_load_b128 v[2:5], v1 offset:928
	ds_load_b128 v[26:29], v1 offset:944
	v_fma_f64 v[32:33], v[32:33], v[6:7], v[43:44]
	v_fma_f64 v[6:7], v[30:31], v[6:7], -v[8:9]
	s_waitcnt vmcnt(3) lgkmcnt(1)
	v_mul_f64 v[40:41], v[2:3], v[12:13]
	v_mul_f64 v[12:13], v[4:5], v[12:13]
	;; [unrolled: 16-line block ×3, first 2 shown]
	s_waitcnt vmcnt(0) lgkmcnt(0)
	v_mul_f64 v[16:17], v[6:7], v[24:25]
	v_mul_f64 v[24:25], v[8:9], v[24:25]
	v_add_f64 v[10:11], v[12:13], v[10:11]
	v_add_f64 v[12:13], v[30:31], v[36:37]
	v_fma_f64 v[4:5], v[4:5], v[18:19], v[32:33]
	v_fma_f64 v[1:2], v[2:3], v[18:19], -v[20:21]
	v_fma_f64 v[8:9], v[8:9], v[22:23], v[16:17]
	v_fma_f64 v[6:7], v[6:7], v[22:23], -v[24:25]
	v_add_f64 v[10:11], v[10:11], v[14:15]
	v_add_f64 v[12:13], v[12:13], v[28:29]
	s_delay_alu instid0(VALU_DEP_2) | instskip(NEXT) | instid1(VALU_DEP_2)
	v_add_f64 v[1:2], v[10:11], v[1:2]
	v_add_f64 v[3:4], v[12:13], v[4:5]
	s_delay_alu instid0(VALU_DEP_2) | instskip(NEXT) | instid1(VALU_DEP_2)
	;; [unrolled: 3-line block ×3, first 2 shown]
	v_add_f64 v[1:2], v[143:144], -v[1:2]
	v_add_f64 v[3:4], v[145:146], -v[3:4]
	scratch_store_b128 off, v[1:4], off offset:64
	v_cmpx_lt_u32_e32 3, v108
	s_cbranch_execz .LBB94_193
; %bb.192:
	scratch_load_b128 v[1:4], v110, off
	v_mov_b32_e32 v5, 0
	s_delay_alu instid0(VALU_DEP_1)
	v_mov_b32_e32 v6, v5
	v_mov_b32_e32 v7, v5
	;; [unrolled: 1-line block ×3, first 2 shown]
	scratch_store_b128 off, v[5:8], off offset:48
	s_waitcnt vmcnt(0)
	ds_store_b128 v42, v[1:4]
.LBB94_193:
	s_or_b32 exec_lo, exec_lo, s2
	s_waitcnt lgkmcnt(0)
	s_waitcnt_vscnt null, 0x0
	s_barrier
	buffer_gl0_inv
	s_clause 0x7
	scratch_load_b128 v[2:5], off, off offset:64
	scratch_load_b128 v[6:9], off, off offset:80
	;; [unrolled: 1-line block ×8, first 2 shown]
	v_mov_b32_e32 v1, 0
	s_mov_b32 s2, exec_lo
	ds_load_b128 v[38:41], v1 offset:560
	s_clause 0x1
	scratch_load_b128 v[34:37], off, off offset:192
	scratch_load_b128 v[139:142], off, off offset:48
	ds_load_b128 v[143:146], v1 offset:576
	scratch_load_b128 v[147:150], off, off offset:208
	ds_load_b128 v[151:154], v1 offset:608
	s_waitcnt vmcnt(10) lgkmcnt(2)
	v_mul_f64 v[43:44], v[40:41], v[4:5]
	v_mul_f64 v[4:5], v[38:39], v[4:5]
	s_delay_alu instid0(VALU_DEP_2) | instskip(NEXT) | instid1(VALU_DEP_2)
	v_fma_f64 v[43:44], v[38:39], v[2:3], -v[43:44]
	v_fma_f64 v[157:158], v[40:41], v[2:3], v[4:5]
	ds_load_b128 v[2:5], v1 offset:592
	s_waitcnt vmcnt(9) lgkmcnt(2)
	v_mul_f64 v[155:156], v[143:144], v[8:9]
	v_mul_f64 v[8:9], v[145:146], v[8:9]
	scratch_load_b128 v[38:41], off, off offset:224
	s_waitcnt vmcnt(9) lgkmcnt(0)
	v_mul_f64 v[159:160], v[2:3], v[12:13]
	v_mul_f64 v[12:13], v[4:5], v[12:13]
	v_add_f64 v[43:44], v[43:44], 0
	v_fma_f64 v[145:146], v[145:146], v[6:7], v[155:156]
	v_fma_f64 v[143:144], v[143:144], v[6:7], -v[8:9]
	v_add_f64 v[155:156], v[157:158], 0
	scratch_load_b128 v[6:9], off, off offset:240
	v_fma_f64 v[159:160], v[4:5], v[10:11], v[159:160]
	v_fma_f64 v[161:162], v[2:3], v[10:11], -v[12:13]
	scratch_load_b128 v[10:13], off, off offset:256
	ds_load_b128 v[2:5], v1 offset:624
	s_waitcnt vmcnt(10)
	v_mul_f64 v[157:158], v[151:152], v[16:17]
	v_mul_f64 v[16:17], v[153:154], v[16:17]
	v_add_f64 v[43:44], v[43:44], v[143:144]
	v_add_f64 v[155:156], v[155:156], v[145:146]
	ds_load_b128 v[143:146], v1 offset:640
	s_waitcnt vmcnt(9) lgkmcnt(1)
	v_mul_f64 v[163:164], v[2:3], v[20:21]
	v_mul_f64 v[20:21], v[4:5], v[20:21]
	v_fma_f64 v[153:154], v[153:154], v[14:15], v[157:158]
	v_fma_f64 v[151:152], v[151:152], v[14:15], -v[16:17]
	scratch_load_b128 v[14:17], off, off offset:272
	v_add_f64 v[43:44], v[43:44], v[161:162]
	v_add_f64 v[155:156], v[155:156], v[159:160]
	v_fma_f64 v[159:160], v[4:5], v[18:19], v[163:164]
	v_fma_f64 v[161:162], v[2:3], v[18:19], -v[20:21]
	scratch_load_b128 v[18:21], off, off offset:288
	ds_load_b128 v[2:5], v1 offset:656
	s_waitcnt vmcnt(10) lgkmcnt(1)
	v_mul_f64 v[157:158], v[143:144], v[24:25]
	v_mul_f64 v[24:25], v[145:146], v[24:25]
	s_waitcnt vmcnt(9) lgkmcnt(0)
	v_mul_f64 v[163:164], v[2:3], v[28:29]
	v_mul_f64 v[28:29], v[4:5], v[28:29]
	v_add_f64 v[43:44], v[43:44], v[151:152]
	v_add_f64 v[155:156], v[155:156], v[153:154]
	ds_load_b128 v[151:154], v1 offset:672
	v_fma_f64 v[145:146], v[145:146], v[22:23], v[157:158]
	v_fma_f64 v[143:144], v[143:144], v[22:23], -v[24:25]
	scratch_load_b128 v[22:25], off, off offset:304
	v_add_f64 v[43:44], v[43:44], v[161:162]
	v_add_f64 v[155:156], v[155:156], v[159:160]
	v_fma_f64 v[159:160], v[4:5], v[26:27], v[163:164]
	v_fma_f64 v[161:162], v[2:3], v[26:27], -v[28:29]
	scratch_load_b128 v[26:29], off, off offset:320
	ds_load_b128 v[2:5], v1 offset:688
	s_waitcnt vmcnt(10) lgkmcnt(1)
	v_mul_f64 v[157:158], v[151:152], v[32:33]
	v_mul_f64 v[32:33], v[153:154], v[32:33]
	s_waitcnt vmcnt(9) lgkmcnt(0)
	v_mul_f64 v[163:164], v[2:3], v[36:37]
	v_mul_f64 v[36:37], v[4:5], v[36:37]
	v_add_f64 v[43:44], v[43:44], v[143:144]
	v_add_f64 v[155:156], v[155:156], v[145:146]
	ds_load_b128 v[143:146], v1 offset:704
	v_fma_f64 v[153:154], v[153:154], v[30:31], v[157:158]
	v_fma_f64 v[151:152], v[151:152], v[30:31], -v[32:33]
	scratch_load_b128 v[30:33], off, off offset:336
	v_add_f64 v[43:44], v[43:44], v[161:162]
	v_add_f64 v[155:156], v[155:156], v[159:160]
	v_fma_f64 v[161:162], v[4:5], v[34:35], v[163:164]
	v_fma_f64 v[163:164], v[2:3], v[34:35], -v[36:37]
	scratch_load_b128 v[34:37], off, off offset:352
	ds_load_b128 v[2:5], v1 offset:720
	s_waitcnt vmcnt(9) lgkmcnt(1)
	v_mul_f64 v[157:158], v[143:144], v[149:150]
	v_mul_f64 v[159:160], v[145:146], v[149:150]
	v_add_f64 v[43:44], v[43:44], v[151:152]
	v_add_f64 v[153:154], v[155:156], v[153:154]
	ds_load_b128 v[149:152], v1 offset:736
	v_fma_f64 v[157:158], v[145:146], v[147:148], v[157:158]
	v_fma_f64 v[147:148], v[143:144], v[147:148], -v[159:160]
	scratch_load_b128 v[143:146], off, off offset:368
	s_waitcnt vmcnt(9) lgkmcnt(1)
	v_mul_f64 v[155:156], v[2:3], v[40:41]
	v_mul_f64 v[40:41], v[4:5], v[40:41]
	v_add_f64 v[43:44], v[43:44], v[163:164]
	v_add_f64 v[153:154], v[153:154], v[161:162]
	s_delay_alu instid0(VALU_DEP_4) | instskip(NEXT) | instid1(VALU_DEP_4)
	v_fma_f64 v[161:162], v[4:5], v[38:39], v[155:156]
	v_fma_f64 v[163:164], v[2:3], v[38:39], -v[40:41]
	scratch_load_b128 v[38:41], off, off offset:384
	ds_load_b128 v[2:5], v1 offset:752
	s_waitcnt vmcnt(9) lgkmcnt(1)
	v_mul_f64 v[159:160], v[149:150], v[8:9]
	v_mul_f64 v[8:9], v[151:152], v[8:9]
	v_add_f64 v[43:44], v[43:44], v[147:148]
	v_add_f64 v[147:148], v[153:154], v[157:158]
	s_waitcnt vmcnt(8) lgkmcnt(0)
	v_mul_f64 v[157:158], v[2:3], v[12:13]
	v_mul_f64 v[12:13], v[4:5], v[12:13]
	ds_load_b128 v[153:156], v1 offset:768
	v_fma_f64 v[151:152], v[151:152], v[6:7], v[159:160]
	v_fma_f64 v[149:150], v[149:150], v[6:7], -v[8:9]
	scratch_load_b128 v[6:9], off, off offset:400
	v_add_f64 v[43:44], v[43:44], v[163:164]
	v_add_f64 v[147:148], v[147:148], v[161:162]
	v_fma_f64 v[157:158], v[4:5], v[10:11], v[157:158]
	v_fma_f64 v[161:162], v[2:3], v[10:11], -v[12:13]
	scratch_load_b128 v[10:13], off, off offset:416
	ds_load_b128 v[2:5], v1 offset:784
	s_waitcnt vmcnt(9) lgkmcnt(1)
	v_mul_f64 v[159:160], v[153:154], v[16:17]
	v_mul_f64 v[16:17], v[155:156], v[16:17]
	s_waitcnt vmcnt(8) lgkmcnt(0)
	v_mul_f64 v[163:164], v[2:3], v[20:21]
	v_mul_f64 v[20:21], v[4:5], v[20:21]
	v_add_f64 v[43:44], v[43:44], v[149:150]
	v_add_f64 v[151:152], v[147:148], v[151:152]
	ds_load_b128 v[147:150], v1 offset:800
	v_fma_f64 v[155:156], v[155:156], v[14:15], v[159:160]
	v_fma_f64 v[153:154], v[153:154], v[14:15], -v[16:17]
	scratch_load_b128 v[14:17], off, off offset:432
	v_fma_f64 v[159:160], v[4:5], v[18:19], v[163:164]
	v_add_f64 v[43:44], v[43:44], v[161:162]
	v_add_f64 v[151:152], v[151:152], v[157:158]
	v_fma_f64 v[161:162], v[2:3], v[18:19], -v[20:21]
	scratch_load_b128 v[18:21], off, off offset:448
	ds_load_b128 v[2:5], v1 offset:816
	s_waitcnt vmcnt(9) lgkmcnt(1)
	v_mul_f64 v[157:158], v[147:148], v[24:25]
	v_mul_f64 v[24:25], v[149:150], v[24:25]
	s_waitcnt vmcnt(8) lgkmcnt(0)
	v_mul_f64 v[163:164], v[2:3], v[28:29]
	v_mul_f64 v[28:29], v[4:5], v[28:29]
	v_add_f64 v[43:44], v[43:44], v[153:154]
	v_add_f64 v[155:156], v[151:152], v[155:156]
	ds_load_b128 v[151:154], v1 offset:832
	v_fma_f64 v[149:150], v[149:150], v[22:23], v[157:158]
	v_fma_f64 v[147:148], v[147:148], v[22:23], -v[24:25]
	scratch_load_b128 v[22:25], off, off offset:464
	v_add_f64 v[43:44], v[43:44], v[161:162]
	v_add_f64 v[155:156], v[155:156], v[159:160]
	v_fma_f64 v[159:160], v[4:5], v[26:27], v[163:164]
	v_fma_f64 v[161:162], v[2:3], v[26:27], -v[28:29]
	scratch_load_b128 v[26:29], off, off offset:480
	ds_load_b128 v[2:5], v1 offset:848
	s_waitcnt vmcnt(9) lgkmcnt(1)
	v_mul_f64 v[157:158], v[151:152], v[32:33]
	v_mul_f64 v[32:33], v[153:154], v[32:33]
	s_waitcnt vmcnt(8) lgkmcnt(0)
	v_mul_f64 v[163:164], v[2:3], v[36:37]
	v_mul_f64 v[36:37], v[4:5], v[36:37]
	v_add_f64 v[43:44], v[43:44], v[147:148]
	v_add_f64 v[155:156], v[155:156], v[149:150]
	ds_load_b128 v[147:150], v1 offset:864
	v_fma_f64 v[153:154], v[153:154], v[30:31], v[157:158]
	v_fma_f64 v[30:31], v[151:152], v[30:31], -v[32:33]
	s_waitcnt vmcnt(7) lgkmcnt(0)
	v_mul_f64 v[151:152], v[147:148], v[145:146]
	v_mul_f64 v[145:146], v[149:150], v[145:146]
	v_add_f64 v[32:33], v[43:44], v[161:162]
	v_add_f64 v[43:44], v[155:156], v[159:160]
	v_fma_f64 v[155:156], v[4:5], v[34:35], v[163:164]
	v_fma_f64 v[34:35], v[2:3], v[34:35], -v[36:37]
	v_fma_f64 v[149:150], v[149:150], v[143:144], v[151:152]
	v_fma_f64 v[143:144], v[147:148], v[143:144], -v[145:146]
	v_add_f64 v[36:37], v[32:33], v[30:31]
	v_add_f64 v[43:44], v[43:44], v[153:154]
	ds_load_b128 v[2:5], v1 offset:880
	ds_load_b128 v[30:33], v1 offset:896
	s_waitcnt vmcnt(6) lgkmcnt(1)
	v_mul_f64 v[153:154], v[2:3], v[40:41]
	v_mul_f64 v[40:41], v[4:5], v[40:41]
	v_add_f64 v[34:35], v[36:37], v[34:35]
	v_add_f64 v[36:37], v[43:44], v[155:156]
	s_waitcnt vmcnt(5) lgkmcnt(0)
	v_mul_f64 v[43:44], v[30:31], v[8:9]
	v_mul_f64 v[8:9], v[32:33], v[8:9]
	v_fma_f64 v[145:146], v[4:5], v[38:39], v[153:154]
	v_fma_f64 v[38:39], v[2:3], v[38:39], -v[40:41]
	v_add_f64 v[40:41], v[34:35], v[143:144]
	v_add_f64 v[143:144], v[36:37], v[149:150]
	ds_load_b128 v[2:5], v1 offset:912
	ds_load_b128 v[34:37], v1 offset:928
	v_fma_f64 v[32:33], v[32:33], v[6:7], v[43:44]
	v_fma_f64 v[6:7], v[30:31], v[6:7], -v[8:9]
	s_waitcnt vmcnt(4) lgkmcnt(1)
	v_mul_f64 v[147:148], v[2:3], v[12:13]
	v_mul_f64 v[12:13], v[4:5], v[12:13]
	v_add_f64 v[8:9], v[40:41], v[38:39]
	v_add_f64 v[30:31], v[143:144], v[145:146]
	s_waitcnt vmcnt(3) lgkmcnt(0)
	v_mul_f64 v[38:39], v[34:35], v[16:17]
	v_mul_f64 v[16:17], v[36:37], v[16:17]
	v_fma_f64 v[40:41], v[4:5], v[10:11], v[147:148]
	v_fma_f64 v[10:11], v[2:3], v[10:11], -v[12:13]
	v_add_f64 v[12:13], v[8:9], v[6:7]
	v_add_f64 v[30:31], v[30:31], v[32:33]
	ds_load_b128 v[2:5], v1 offset:944
	ds_load_b128 v[6:9], v1 offset:960
	v_fma_f64 v[36:37], v[36:37], v[14:15], v[38:39]
	v_fma_f64 v[14:15], v[34:35], v[14:15], -v[16:17]
	s_waitcnt vmcnt(2) lgkmcnt(1)
	v_mul_f64 v[32:33], v[2:3], v[20:21]
	v_mul_f64 v[20:21], v[4:5], v[20:21]
	s_waitcnt vmcnt(1) lgkmcnt(0)
	v_mul_f64 v[16:17], v[6:7], v[24:25]
	v_mul_f64 v[24:25], v[8:9], v[24:25]
	v_add_f64 v[10:11], v[12:13], v[10:11]
	v_add_f64 v[12:13], v[30:31], v[40:41]
	v_fma_f64 v[30:31], v[4:5], v[18:19], v[32:33]
	v_fma_f64 v[18:19], v[2:3], v[18:19], -v[20:21]
	ds_load_b128 v[2:5], v1 offset:976
	v_fma_f64 v[8:9], v[8:9], v[22:23], v[16:17]
	v_fma_f64 v[6:7], v[6:7], v[22:23], -v[24:25]
	v_add_f64 v[10:11], v[10:11], v[14:15]
	v_add_f64 v[12:13], v[12:13], v[36:37]
	s_waitcnt vmcnt(0) lgkmcnt(0)
	v_mul_f64 v[14:15], v[2:3], v[28:29]
	v_mul_f64 v[20:21], v[4:5], v[28:29]
	s_delay_alu instid0(VALU_DEP_4) | instskip(NEXT) | instid1(VALU_DEP_4)
	v_add_f64 v[10:11], v[10:11], v[18:19]
	v_add_f64 v[12:13], v[12:13], v[30:31]
	s_delay_alu instid0(VALU_DEP_4) | instskip(NEXT) | instid1(VALU_DEP_4)
	v_fma_f64 v[4:5], v[4:5], v[26:27], v[14:15]
	v_fma_f64 v[2:3], v[2:3], v[26:27], -v[20:21]
	s_delay_alu instid0(VALU_DEP_4) | instskip(NEXT) | instid1(VALU_DEP_4)
	v_add_f64 v[6:7], v[10:11], v[6:7]
	v_add_f64 v[8:9], v[12:13], v[8:9]
	s_delay_alu instid0(VALU_DEP_2) | instskip(NEXT) | instid1(VALU_DEP_2)
	v_add_f64 v[2:3], v[6:7], v[2:3]
	v_add_f64 v[4:5], v[8:9], v[4:5]
	s_delay_alu instid0(VALU_DEP_2) | instskip(NEXT) | instid1(VALU_DEP_2)
	v_add_f64 v[2:3], v[139:140], -v[2:3]
	v_add_f64 v[4:5], v[141:142], -v[4:5]
	scratch_store_b128 off, v[2:5], off offset:48
	v_cmpx_lt_u32_e32 2, v108
	s_cbranch_execz .LBB94_195
; %bb.194:
	scratch_load_b128 v[5:8], v111, off
	v_mov_b32_e32 v2, v1
	v_mov_b32_e32 v3, v1
	;; [unrolled: 1-line block ×3, first 2 shown]
	scratch_store_b128 off, v[1:4], off offset:32
	s_waitcnt vmcnt(0)
	ds_store_b128 v42, v[5:8]
.LBB94_195:
	s_or_b32 exec_lo, exec_lo, s2
	s_waitcnt lgkmcnt(0)
	s_waitcnt_vscnt null, 0x0
	s_barrier
	buffer_gl0_inv
	s_clause 0x8
	scratch_load_b128 v[2:5], off, off offset:48
	scratch_load_b128 v[6:9], off, off offset:64
	;; [unrolled: 1-line block ×9, first 2 shown]
	ds_load_b128 v[139:142], v1 offset:544
	ds_load_b128 v[38:41], v1 offset:560
	s_clause 0x1
	scratch_load_b128 v[143:146], off, off offset:32
	scratch_load_b128 v[147:150], off, off offset:192
	s_mov_b32 s2, exec_lo
	ds_load_b128 v[151:154], v1 offset:592
	s_waitcnt vmcnt(10) lgkmcnt(2)
	v_mul_f64 v[43:44], v[141:142], v[4:5]
	v_mul_f64 v[4:5], v[139:140], v[4:5]
	s_waitcnt vmcnt(9) lgkmcnt(1)
	v_mul_f64 v[155:156], v[38:39], v[8:9]
	v_mul_f64 v[8:9], v[40:41], v[8:9]
	s_delay_alu instid0(VALU_DEP_4) | instskip(NEXT) | instid1(VALU_DEP_4)
	v_fma_f64 v[43:44], v[139:140], v[2:3], -v[43:44]
	v_fma_f64 v[157:158], v[141:142], v[2:3], v[4:5]
	ds_load_b128 v[2:5], v1 offset:576
	scratch_load_b128 v[139:142], off, off offset:208
	v_fma_f64 v[40:41], v[40:41], v[6:7], v[155:156]
	v_fma_f64 v[38:39], v[38:39], v[6:7], -v[8:9]
	scratch_load_b128 v[6:9], off, off offset:224
	s_waitcnt vmcnt(10) lgkmcnt(0)
	v_mul_f64 v[159:160], v[2:3], v[12:13]
	v_mul_f64 v[12:13], v[4:5], v[12:13]
	v_add_f64 v[43:44], v[43:44], 0
	v_add_f64 v[155:156], v[157:158], 0
	s_waitcnt vmcnt(9)
	v_mul_f64 v[157:158], v[151:152], v[16:17]
	v_mul_f64 v[16:17], v[153:154], v[16:17]
	v_fma_f64 v[159:160], v[4:5], v[10:11], v[159:160]
	v_fma_f64 v[161:162], v[2:3], v[10:11], -v[12:13]
	ds_load_b128 v[2:5], v1 offset:608
	scratch_load_b128 v[10:13], off, off offset:240
	v_add_f64 v[43:44], v[43:44], v[38:39]
	v_add_f64 v[155:156], v[155:156], v[40:41]
	ds_load_b128 v[38:41], v1 offset:624
	v_fma_f64 v[153:154], v[153:154], v[14:15], v[157:158]
	v_fma_f64 v[151:152], v[151:152], v[14:15], -v[16:17]
	scratch_load_b128 v[14:17], off, off offset:256
	s_waitcnt vmcnt(10) lgkmcnt(1)
	v_mul_f64 v[163:164], v[2:3], v[20:21]
	v_mul_f64 v[20:21], v[4:5], v[20:21]
	s_waitcnt vmcnt(9) lgkmcnt(0)
	v_mul_f64 v[157:158], v[38:39], v[24:25]
	v_mul_f64 v[24:25], v[40:41], v[24:25]
	v_add_f64 v[43:44], v[43:44], v[161:162]
	v_add_f64 v[155:156], v[155:156], v[159:160]
	v_fma_f64 v[159:160], v[4:5], v[18:19], v[163:164]
	v_fma_f64 v[161:162], v[2:3], v[18:19], -v[20:21]
	ds_load_b128 v[2:5], v1 offset:640
	scratch_load_b128 v[18:21], off, off offset:272
	v_fma_f64 v[40:41], v[40:41], v[22:23], v[157:158]
	v_fma_f64 v[38:39], v[38:39], v[22:23], -v[24:25]
	scratch_load_b128 v[22:25], off, off offset:288
	v_add_f64 v[43:44], v[43:44], v[151:152]
	v_add_f64 v[155:156], v[155:156], v[153:154]
	ds_load_b128 v[151:154], v1 offset:656
	s_waitcnt vmcnt(10) lgkmcnt(1)
	v_mul_f64 v[163:164], v[2:3], v[28:29]
	v_mul_f64 v[28:29], v[4:5], v[28:29]
	s_waitcnt vmcnt(9) lgkmcnt(0)
	v_mul_f64 v[157:158], v[151:152], v[32:33]
	v_mul_f64 v[32:33], v[153:154], v[32:33]
	v_add_f64 v[43:44], v[43:44], v[161:162]
	v_add_f64 v[155:156], v[155:156], v[159:160]
	v_fma_f64 v[159:160], v[4:5], v[26:27], v[163:164]
	v_fma_f64 v[161:162], v[2:3], v[26:27], -v[28:29]
	ds_load_b128 v[2:5], v1 offset:672
	scratch_load_b128 v[26:29], off, off offset:304
	v_fma_f64 v[153:154], v[153:154], v[30:31], v[157:158]
	v_fma_f64 v[151:152], v[151:152], v[30:31], -v[32:33]
	scratch_load_b128 v[30:33], off, off offset:320
	v_add_f64 v[43:44], v[43:44], v[38:39]
	v_add_f64 v[155:156], v[155:156], v[40:41]
	ds_load_b128 v[38:41], v1 offset:688
	s_waitcnt vmcnt(10) lgkmcnt(1)
	v_mul_f64 v[163:164], v[2:3], v[36:37]
	v_mul_f64 v[36:37], v[4:5], v[36:37]
	s_waitcnt vmcnt(8) lgkmcnt(0)
	v_mul_f64 v[157:158], v[38:39], v[149:150]
	v_add_f64 v[43:44], v[43:44], v[161:162]
	v_add_f64 v[155:156], v[155:156], v[159:160]
	v_mul_f64 v[159:160], v[40:41], v[149:150]
	v_fma_f64 v[161:162], v[4:5], v[34:35], v[163:164]
	v_fma_f64 v[163:164], v[2:3], v[34:35], -v[36:37]
	ds_load_b128 v[2:5], v1 offset:704
	scratch_load_b128 v[34:37], off, off offset:336
	v_fma_f64 v[157:158], v[40:41], v[147:148], v[157:158]
	v_add_f64 v[43:44], v[43:44], v[151:152]
	v_add_f64 v[153:154], v[155:156], v[153:154]
	ds_load_b128 v[149:152], v1 offset:720
	v_fma_f64 v[147:148], v[38:39], v[147:148], -v[159:160]
	scratch_load_b128 v[38:41], off, off offset:352
	s_waitcnt vmcnt(9) lgkmcnt(1)
	v_mul_f64 v[155:156], v[2:3], v[141:142]
	v_mul_f64 v[141:142], v[4:5], v[141:142]
	s_waitcnt vmcnt(8) lgkmcnt(0)
	v_mul_f64 v[159:160], v[149:150], v[8:9]
	v_mul_f64 v[8:9], v[151:152], v[8:9]
	v_add_f64 v[43:44], v[43:44], v[163:164]
	v_add_f64 v[153:154], v[153:154], v[161:162]
	v_fma_f64 v[161:162], v[4:5], v[139:140], v[155:156]
	v_fma_f64 v[163:164], v[2:3], v[139:140], -v[141:142]
	ds_load_b128 v[2:5], v1 offset:736
	scratch_load_b128 v[139:142], off, off offset:368
	v_fma_f64 v[151:152], v[151:152], v[6:7], v[159:160]
	v_fma_f64 v[149:150], v[149:150], v[6:7], -v[8:9]
	scratch_load_b128 v[6:9], off, off offset:384
	v_add_f64 v[43:44], v[43:44], v[147:148]
	v_add_f64 v[147:148], v[153:154], v[157:158]
	ds_load_b128 v[153:156], v1 offset:752
	s_waitcnt vmcnt(9) lgkmcnt(1)
	v_mul_f64 v[157:158], v[2:3], v[12:13]
	v_mul_f64 v[12:13], v[4:5], v[12:13]
	s_waitcnt vmcnt(8) lgkmcnt(0)
	v_mul_f64 v[159:160], v[153:154], v[16:17]
	v_mul_f64 v[16:17], v[155:156], v[16:17]
	v_add_f64 v[43:44], v[43:44], v[163:164]
	v_add_f64 v[147:148], v[147:148], v[161:162]
	v_fma_f64 v[157:158], v[4:5], v[10:11], v[157:158]
	v_fma_f64 v[161:162], v[2:3], v[10:11], -v[12:13]
	ds_load_b128 v[2:5], v1 offset:768
	scratch_load_b128 v[10:13], off, off offset:400
	v_fma_f64 v[155:156], v[155:156], v[14:15], v[159:160]
	v_fma_f64 v[153:154], v[153:154], v[14:15], -v[16:17]
	scratch_load_b128 v[14:17], off, off offset:416
	v_add_f64 v[43:44], v[43:44], v[149:150]
	v_add_f64 v[151:152], v[147:148], v[151:152]
	ds_load_b128 v[147:150], v1 offset:784
	s_waitcnt vmcnt(9) lgkmcnt(1)
	v_mul_f64 v[163:164], v[2:3], v[20:21]
	v_mul_f64 v[20:21], v[4:5], v[20:21]
	v_add_f64 v[43:44], v[43:44], v[161:162]
	v_add_f64 v[151:152], v[151:152], v[157:158]
	s_waitcnt vmcnt(8) lgkmcnt(0)
	v_mul_f64 v[157:158], v[147:148], v[24:25]
	v_mul_f64 v[24:25], v[149:150], v[24:25]
	v_fma_f64 v[159:160], v[4:5], v[18:19], v[163:164]
	v_fma_f64 v[161:162], v[2:3], v[18:19], -v[20:21]
	ds_load_b128 v[2:5], v1 offset:800
	scratch_load_b128 v[18:21], off, off offset:432
	v_add_f64 v[43:44], v[43:44], v[153:154]
	v_add_f64 v[155:156], v[151:152], v[155:156]
	ds_load_b128 v[151:154], v1 offset:816
	s_waitcnt vmcnt(8) lgkmcnt(1)
	v_mul_f64 v[163:164], v[2:3], v[28:29]
	v_mul_f64 v[28:29], v[4:5], v[28:29]
	v_fma_f64 v[149:150], v[149:150], v[22:23], v[157:158]
	v_fma_f64 v[147:148], v[147:148], v[22:23], -v[24:25]
	scratch_load_b128 v[22:25], off, off offset:448
	s_waitcnt vmcnt(8) lgkmcnt(0)
	v_mul_f64 v[157:158], v[151:152], v[32:33]
	v_mul_f64 v[32:33], v[153:154], v[32:33]
	v_add_f64 v[43:44], v[43:44], v[161:162]
	v_add_f64 v[155:156], v[155:156], v[159:160]
	v_fma_f64 v[159:160], v[4:5], v[26:27], v[163:164]
	v_fma_f64 v[161:162], v[2:3], v[26:27], -v[28:29]
	ds_load_b128 v[2:5], v1 offset:832
	scratch_load_b128 v[26:29], off, off offset:464
	v_fma_f64 v[153:154], v[153:154], v[30:31], v[157:158]
	v_fma_f64 v[151:152], v[151:152], v[30:31], -v[32:33]
	scratch_load_b128 v[30:33], off, off offset:480
	v_add_f64 v[43:44], v[43:44], v[147:148]
	v_add_f64 v[155:156], v[155:156], v[149:150]
	ds_load_b128 v[147:150], v1 offset:848
	s_waitcnt vmcnt(9) lgkmcnt(1)
	v_mul_f64 v[163:164], v[2:3], v[36:37]
	v_mul_f64 v[36:37], v[4:5], v[36:37]
	s_waitcnt vmcnt(8) lgkmcnt(0)
	v_mul_f64 v[157:158], v[147:148], v[40:41]
	v_mul_f64 v[40:41], v[149:150], v[40:41]
	v_add_f64 v[43:44], v[43:44], v[161:162]
	v_add_f64 v[155:156], v[155:156], v[159:160]
	v_fma_f64 v[159:160], v[4:5], v[34:35], v[163:164]
	v_fma_f64 v[161:162], v[2:3], v[34:35], -v[36:37]
	ds_load_b128 v[2:5], v1 offset:864
	ds_load_b128 v[34:37], v1 offset:880
	v_fma_f64 v[149:150], v[149:150], v[38:39], v[157:158]
	v_fma_f64 v[38:39], v[147:148], v[38:39], -v[40:41]
	v_add_f64 v[43:44], v[43:44], v[151:152]
	v_add_f64 v[151:152], v[155:156], v[153:154]
	s_waitcnt vmcnt(7) lgkmcnt(1)
	v_mul_f64 v[153:154], v[2:3], v[141:142]
	v_mul_f64 v[141:142], v[4:5], v[141:142]
	s_waitcnt vmcnt(6) lgkmcnt(0)
	v_mul_f64 v[147:148], v[34:35], v[8:9]
	v_mul_f64 v[8:9], v[36:37], v[8:9]
	v_add_f64 v[40:41], v[43:44], v[161:162]
	v_add_f64 v[43:44], v[151:152], v[159:160]
	v_fma_f64 v[151:152], v[4:5], v[139:140], v[153:154]
	v_fma_f64 v[139:140], v[2:3], v[139:140], -v[141:142]
	v_fma_f64 v[36:37], v[36:37], v[6:7], v[147:148]
	v_fma_f64 v[6:7], v[34:35], v[6:7], -v[8:9]
	v_add_f64 v[141:142], v[40:41], v[38:39]
	v_add_f64 v[43:44], v[43:44], v[149:150]
	ds_load_b128 v[2:5], v1 offset:896
	ds_load_b128 v[38:41], v1 offset:912
	s_waitcnt vmcnt(5) lgkmcnt(1)
	v_mul_f64 v[149:150], v[2:3], v[12:13]
	v_mul_f64 v[12:13], v[4:5], v[12:13]
	v_add_f64 v[8:9], v[141:142], v[139:140]
	v_add_f64 v[34:35], v[43:44], v[151:152]
	s_waitcnt vmcnt(4) lgkmcnt(0)
	v_mul_f64 v[43:44], v[38:39], v[16:17]
	v_mul_f64 v[16:17], v[40:41], v[16:17]
	v_fma_f64 v[139:140], v[4:5], v[10:11], v[149:150]
	v_fma_f64 v[10:11], v[2:3], v[10:11], -v[12:13]
	v_add_f64 v[12:13], v[8:9], v[6:7]
	v_add_f64 v[34:35], v[34:35], v[36:37]
	ds_load_b128 v[2:5], v1 offset:928
	ds_load_b128 v[6:9], v1 offset:944
	v_fma_f64 v[40:41], v[40:41], v[14:15], v[43:44]
	v_fma_f64 v[14:15], v[38:39], v[14:15], -v[16:17]
	s_waitcnt vmcnt(3) lgkmcnt(1)
	v_mul_f64 v[36:37], v[2:3], v[20:21]
	v_mul_f64 v[20:21], v[4:5], v[20:21]
	s_waitcnt vmcnt(2) lgkmcnt(0)
	v_mul_f64 v[16:17], v[6:7], v[24:25]
	v_mul_f64 v[24:25], v[8:9], v[24:25]
	v_add_f64 v[10:11], v[12:13], v[10:11]
	v_add_f64 v[12:13], v[34:35], v[139:140]
	v_fma_f64 v[34:35], v[4:5], v[18:19], v[36:37]
	v_fma_f64 v[18:19], v[2:3], v[18:19], -v[20:21]
	v_fma_f64 v[8:9], v[8:9], v[22:23], v[16:17]
	v_fma_f64 v[6:7], v[6:7], v[22:23], -v[24:25]
	v_add_f64 v[14:15], v[10:11], v[14:15]
	v_add_f64 v[20:21], v[12:13], v[40:41]
	ds_load_b128 v[2:5], v1 offset:960
	ds_load_b128 v[10:13], v1 offset:976
	s_waitcnt vmcnt(1) lgkmcnt(1)
	v_mul_f64 v[36:37], v[2:3], v[28:29]
	v_mul_f64 v[28:29], v[4:5], v[28:29]
	v_add_f64 v[14:15], v[14:15], v[18:19]
	v_add_f64 v[16:17], v[20:21], v[34:35]
	s_waitcnt vmcnt(0) lgkmcnt(0)
	v_mul_f64 v[18:19], v[10:11], v[32:33]
	v_mul_f64 v[20:21], v[12:13], v[32:33]
	v_fma_f64 v[4:5], v[4:5], v[26:27], v[36:37]
	v_fma_f64 v[1:2], v[2:3], v[26:27], -v[28:29]
	v_add_f64 v[6:7], v[14:15], v[6:7]
	v_add_f64 v[8:9], v[16:17], v[8:9]
	v_fma_f64 v[12:13], v[12:13], v[30:31], v[18:19]
	v_fma_f64 v[10:11], v[10:11], v[30:31], -v[20:21]
	s_delay_alu instid0(VALU_DEP_4) | instskip(NEXT) | instid1(VALU_DEP_4)
	v_add_f64 v[1:2], v[6:7], v[1:2]
	v_add_f64 v[3:4], v[8:9], v[4:5]
	s_delay_alu instid0(VALU_DEP_2) | instskip(NEXT) | instid1(VALU_DEP_2)
	v_add_f64 v[1:2], v[1:2], v[10:11]
	v_add_f64 v[3:4], v[3:4], v[12:13]
	s_delay_alu instid0(VALU_DEP_2) | instskip(NEXT) | instid1(VALU_DEP_2)
	v_add_f64 v[1:2], v[143:144], -v[1:2]
	v_add_f64 v[3:4], v[145:146], -v[3:4]
	scratch_store_b128 off, v[1:4], off offset:32
	v_cmpx_lt_u32_e32 1, v108
	s_cbranch_execz .LBB94_197
; %bb.196:
	scratch_load_b128 v[1:4], v112, off
	v_mov_b32_e32 v5, 0
	s_delay_alu instid0(VALU_DEP_1)
	v_mov_b32_e32 v6, v5
	v_mov_b32_e32 v7, v5
	;; [unrolled: 1-line block ×3, first 2 shown]
	scratch_store_b128 off, v[5:8], off offset:16
	s_waitcnt vmcnt(0)
	ds_store_b128 v42, v[1:4]
.LBB94_197:
	s_or_b32 exec_lo, exec_lo, s2
	s_waitcnt lgkmcnt(0)
	s_waitcnt_vscnt null, 0x0
	s_barrier
	buffer_gl0_inv
	s_clause 0x7
	scratch_load_b128 v[2:5], off, off offset:32
	scratch_load_b128 v[6:9], off, off offset:48
	scratch_load_b128 v[10:13], off, off offset:64
	scratch_load_b128 v[14:17], off, off offset:80
	scratch_load_b128 v[18:21], off, off offset:96
	scratch_load_b128 v[22:25], off, off offset:112
	scratch_load_b128 v[26:29], off, off offset:128
	scratch_load_b128 v[30:33], off, off offset:144
	v_mov_b32_e32 v1, 0
	s_mov_b32 s2, exec_lo
	ds_load_b128 v[38:41], v1 offset:528
	s_clause 0x1
	scratch_load_b128 v[34:37], off, off offset:160
	scratch_load_b128 v[139:142], off, off offset:16
	ds_load_b128 v[143:146], v1 offset:544
	scratch_load_b128 v[147:150], off, off offset:176
	ds_load_b128 v[151:154], v1 offset:576
	s_waitcnt vmcnt(10) lgkmcnt(2)
	v_mul_f64 v[43:44], v[40:41], v[4:5]
	v_mul_f64 v[4:5], v[38:39], v[4:5]
	s_delay_alu instid0(VALU_DEP_2) | instskip(NEXT) | instid1(VALU_DEP_2)
	v_fma_f64 v[43:44], v[38:39], v[2:3], -v[43:44]
	v_fma_f64 v[157:158], v[40:41], v[2:3], v[4:5]
	ds_load_b128 v[2:5], v1 offset:560
	s_waitcnt vmcnt(9) lgkmcnt(2)
	v_mul_f64 v[155:156], v[143:144], v[8:9]
	v_mul_f64 v[8:9], v[145:146], v[8:9]
	scratch_load_b128 v[38:41], off, off offset:192
	s_waitcnt vmcnt(9) lgkmcnt(0)
	v_mul_f64 v[159:160], v[2:3], v[12:13]
	v_mul_f64 v[12:13], v[4:5], v[12:13]
	v_add_f64 v[43:44], v[43:44], 0
	v_fma_f64 v[145:146], v[145:146], v[6:7], v[155:156]
	v_fma_f64 v[143:144], v[143:144], v[6:7], -v[8:9]
	v_add_f64 v[155:156], v[157:158], 0
	scratch_load_b128 v[6:9], off, off offset:208
	v_fma_f64 v[159:160], v[4:5], v[10:11], v[159:160]
	v_fma_f64 v[161:162], v[2:3], v[10:11], -v[12:13]
	scratch_load_b128 v[10:13], off, off offset:224
	ds_load_b128 v[2:5], v1 offset:592
	s_waitcnt vmcnt(10)
	v_mul_f64 v[157:158], v[151:152], v[16:17]
	v_mul_f64 v[16:17], v[153:154], v[16:17]
	v_add_f64 v[43:44], v[43:44], v[143:144]
	v_add_f64 v[155:156], v[155:156], v[145:146]
	ds_load_b128 v[143:146], v1 offset:608
	s_waitcnt vmcnt(9) lgkmcnt(1)
	v_mul_f64 v[163:164], v[2:3], v[20:21]
	v_mul_f64 v[20:21], v[4:5], v[20:21]
	v_fma_f64 v[153:154], v[153:154], v[14:15], v[157:158]
	v_fma_f64 v[151:152], v[151:152], v[14:15], -v[16:17]
	scratch_load_b128 v[14:17], off, off offset:240
	v_add_f64 v[43:44], v[43:44], v[161:162]
	v_add_f64 v[155:156], v[155:156], v[159:160]
	v_fma_f64 v[159:160], v[4:5], v[18:19], v[163:164]
	v_fma_f64 v[161:162], v[2:3], v[18:19], -v[20:21]
	scratch_load_b128 v[18:21], off, off offset:256
	ds_load_b128 v[2:5], v1 offset:624
	s_waitcnt vmcnt(10) lgkmcnt(1)
	v_mul_f64 v[157:158], v[143:144], v[24:25]
	v_mul_f64 v[24:25], v[145:146], v[24:25]
	s_waitcnt vmcnt(9) lgkmcnt(0)
	v_mul_f64 v[163:164], v[2:3], v[28:29]
	v_mul_f64 v[28:29], v[4:5], v[28:29]
	v_add_f64 v[43:44], v[43:44], v[151:152]
	v_add_f64 v[155:156], v[155:156], v[153:154]
	ds_load_b128 v[151:154], v1 offset:640
	v_fma_f64 v[145:146], v[145:146], v[22:23], v[157:158]
	v_fma_f64 v[143:144], v[143:144], v[22:23], -v[24:25]
	scratch_load_b128 v[22:25], off, off offset:272
	v_add_f64 v[43:44], v[43:44], v[161:162]
	v_add_f64 v[155:156], v[155:156], v[159:160]
	v_fma_f64 v[159:160], v[4:5], v[26:27], v[163:164]
	v_fma_f64 v[161:162], v[2:3], v[26:27], -v[28:29]
	scratch_load_b128 v[26:29], off, off offset:288
	ds_load_b128 v[2:5], v1 offset:656
	s_waitcnt vmcnt(10) lgkmcnt(1)
	v_mul_f64 v[157:158], v[151:152], v[32:33]
	v_mul_f64 v[32:33], v[153:154], v[32:33]
	s_waitcnt vmcnt(9) lgkmcnt(0)
	v_mul_f64 v[163:164], v[2:3], v[36:37]
	v_mul_f64 v[36:37], v[4:5], v[36:37]
	v_add_f64 v[43:44], v[43:44], v[143:144]
	v_add_f64 v[155:156], v[155:156], v[145:146]
	ds_load_b128 v[143:146], v1 offset:672
	v_fma_f64 v[153:154], v[153:154], v[30:31], v[157:158]
	v_fma_f64 v[151:152], v[151:152], v[30:31], -v[32:33]
	scratch_load_b128 v[30:33], off, off offset:304
	v_add_f64 v[43:44], v[43:44], v[161:162]
	v_add_f64 v[155:156], v[155:156], v[159:160]
	v_fma_f64 v[161:162], v[4:5], v[34:35], v[163:164]
	v_fma_f64 v[163:164], v[2:3], v[34:35], -v[36:37]
	scratch_load_b128 v[34:37], off, off offset:320
	ds_load_b128 v[2:5], v1 offset:688
	s_waitcnt vmcnt(9) lgkmcnt(1)
	v_mul_f64 v[157:158], v[143:144], v[149:150]
	v_mul_f64 v[159:160], v[145:146], v[149:150]
	v_add_f64 v[43:44], v[43:44], v[151:152]
	v_add_f64 v[153:154], v[155:156], v[153:154]
	ds_load_b128 v[149:152], v1 offset:704
	v_fma_f64 v[157:158], v[145:146], v[147:148], v[157:158]
	v_fma_f64 v[147:148], v[143:144], v[147:148], -v[159:160]
	scratch_load_b128 v[143:146], off, off offset:336
	s_waitcnt vmcnt(9) lgkmcnt(1)
	v_mul_f64 v[155:156], v[2:3], v[40:41]
	v_mul_f64 v[40:41], v[4:5], v[40:41]
	v_add_f64 v[43:44], v[43:44], v[163:164]
	v_add_f64 v[153:154], v[153:154], v[161:162]
	s_delay_alu instid0(VALU_DEP_4) | instskip(NEXT) | instid1(VALU_DEP_4)
	v_fma_f64 v[161:162], v[4:5], v[38:39], v[155:156]
	v_fma_f64 v[163:164], v[2:3], v[38:39], -v[40:41]
	scratch_load_b128 v[38:41], off, off offset:352
	ds_load_b128 v[2:5], v1 offset:720
	s_waitcnt vmcnt(9) lgkmcnt(1)
	v_mul_f64 v[159:160], v[149:150], v[8:9]
	v_mul_f64 v[8:9], v[151:152], v[8:9]
	v_add_f64 v[43:44], v[43:44], v[147:148]
	v_add_f64 v[147:148], v[153:154], v[157:158]
	s_waitcnt vmcnt(8) lgkmcnt(0)
	v_mul_f64 v[157:158], v[2:3], v[12:13]
	v_mul_f64 v[12:13], v[4:5], v[12:13]
	ds_load_b128 v[153:156], v1 offset:736
	v_fma_f64 v[151:152], v[151:152], v[6:7], v[159:160]
	v_fma_f64 v[149:150], v[149:150], v[6:7], -v[8:9]
	scratch_load_b128 v[6:9], off, off offset:368
	v_add_f64 v[43:44], v[43:44], v[163:164]
	v_add_f64 v[147:148], v[147:148], v[161:162]
	v_fma_f64 v[157:158], v[4:5], v[10:11], v[157:158]
	v_fma_f64 v[161:162], v[2:3], v[10:11], -v[12:13]
	scratch_load_b128 v[10:13], off, off offset:384
	ds_load_b128 v[2:5], v1 offset:752
	s_waitcnt vmcnt(9) lgkmcnt(1)
	v_mul_f64 v[159:160], v[153:154], v[16:17]
	v_mul_f64 v[16:17], v[155:156], v[16:17]
	s_waitcnt vmcnt(8) lgkmcnt(0)
	v_mul_f64 v[163:164], v[2:3], v[20:21]
	v_mul_f64 v[20:21], v[4:5], v[20:21]
	v_add_f64 v[43:44], v[43:44], v[149:150]
	v_add_f64 v[151:152], v[147:148], v[151:152]
	ds_load_b128 v[147:150], v1 offset:768
	v_fma_f64 v[155:156], v[155:156], v[14:15], v[159:160]
	v_fma_f64 v[153:154], v[153:154], v[14:15], -v[16:17]
	scratch_load_b128 v[14:17], off, off offset:400
	v_fma_f64 v[159:160], v[4:5], v[18:19], v[163:164]
	v_add_f64 v[43:44], v[43:44], v[161:162]
	v_add_f64 v[151:152], v[151:152], v[157:158]
	v_fma_f64 v[161:162], v[2:3], v[18:19], -v[20:21]
	scratch_load_b128 v[18:21], off, off offset:416
	ds_load_b128 v[2:5], v1 offset:784
	s_waitcnt vmcnt(9) lgkmcnt(1)
	v_mul_f64 v[157:158], v[147:148], v[24:25]
	v_mul_f64 v[24:25], v[149:150], v[24:25]
	s_waitcnt vmcnt(8) lgkmcnt(0)
	v_mul_f64 v[163:164], v[2:3], v[28:29]
	v_mul_f64 v[28:29], v[4:5], v[28:29]
	v_add_f64 v[43:44], v[43:44], v[153:154]
	v_add_f64 v[155:156], v[151:152], v[155:156]
	ds_load_b128 v[151:154], v1 offset:800
	v_fma_f64 v[149:150], v[149:150], v[22:23], v[157:158]
	v_fma_f64 v[147:148], v[147:148], v[22:23], -v[24:25]
	scratch_load_b128 v[22:25], off, off offset:432
	v_add_f64 v[43:44], v[43:44], v[161:162]
	v_add_f64 v[155:156], v[155:156], v[159:160]
	v_fma_f64 v[159:160], v[4:5], v[26:27], v[163:164]
	v_fma_f64 v[161:162], v[2:3], v[26:27], -v[28:29]
	scratch_load_b128 v[26:29], off, off offset:448
	ds_load_b128 v[2:5], v1 offset:816
	s_waitcnt vmcnt(9) lgkmcnt(1)
	v_mul_f64 v[157:158], v[151:152], v[32:33]
	v_mul_f64 v[32:33], v[153:154], v[32:33]
	s_waitcnt vmcnt(8) lgkmcnt(0)
	v_mul_f64 v[163:164], v[2:3], v[36:37]
	v_mul_f64 v[36:37], v[4:5], v[36:37]
	v_add_f64 v[43:44], v[43:44], v[147:148]
	v_add_f64 v[155:156], v[155:156], v[149:150]
	ds_load_b128 v[147:150], v1 offset:832
	v_fma_f64 v[153:154], v[153:154], v[30:31], v[157:158]
	v_fma_f64 v[151:152], v[151:152], v[30:31], -v[32:33]
	scratch_load_b128 v[30:33], off, off offset:464
	v_add_f64 v[43:44], v[43:44], v[161:162]
	v_add_f64 v[155:156], v[155:156], v[159:160]
	v_fma_f64 v[159:160], v[4:5], v[34:35], v[163:164]
	v_fma_f64 v[161:162], v[2:3], v[34:35], -v[36:37]
	scratch_load_b128 v[34:37], off, off offset:480
	ds_load_b128 v[2:5], v1 offset:848
	s_waitcnt vmcnt(9) lgkmcnt(1)
	v_mul_f64 v[157:158], v[147:148], v[145:146]
	v_mul_f64 v[145:146], v[149:150], v[145:146]
	s_waitcnt vmcnt(8) lgkmcnt(0)
	v_mul_f64 v[163:164], v[2:3], v[40:41]
	v_mul_f64 v[40:41], v[4:5], v[40:41]
	v_add_f64 v[43:44], v[43:44], v[151:152]
	v_add_f64 v[155:156], v[155:156], v[153:154]
	ds_load_b128 v[151:154], v1 offset:864
	v_fma_f64 v[149:150], v[149:150], v[143:144], v[157:158]
	v_fma_f64 v[143:144], v[147:148], v[143:144], -v[145:146]
	v_fma_f64 v[157:158], v[2:3], v[38:39], -v[40:41]
	v_add_f64 v[43:44], v[43:44], v[161:162]
	v_add_f64 v[145:146], v[155:156], v[159:160]
	s_waitcnt vmcnt(7) lgkmcnt(0)
	v_mul_f64 v[147:148], v[151:152], v[8:9]
	v_mul_f64 v[8:9], v[153:154], v[8:9]
	v_fma_f64 v[155:156], v[4:5], v[38:39], v[163:164]
	ds_load_b128 v[2:5], v1 offset:880
	ds_load_b128 v[38:41], v1 offset:896
	v_add_f64 v[43:44], v[43:44], v[143:144]
	v_add_f64 v[143:144], v[145:146], v[149:150]
	s_waitcnt vmcnt(6) lgkmcnt(1)
	v_mul_f64 v[145:146], v[2:3], v[12:13]
	v_mul_f64 v[12:13], v[4:5], v[12:13]
	v_fma_f64 v[147:148], v[153:154], v[6:7], v[147:148]
	v_fma_f64 v[6:7], v[151:152], v[6:7], -v[8:9]
	v_add_f64 v[8:9], v[43:44], v[157:158]
	v_add_f64 v[43:44], v[143:144], v[155:156]
	s_waitcnt vmcnt(5) lgkmcnt(0)
	v_mul_f64 v[143:144], v[38:39], v[16:17]
	v_mul_f64 v[16:17], v[40:41], v[16:17]
	v_fma_f64 v[145:146], v[4:5], v[10:11], v[145:146]
	v_fma_f64 v[10:11], v[2:3], v[10:11], -v[12:13]
	v_add_f64 v[12:13], v[8:9], v[6:7]
	v_add_f64 v[43:44], v[43:44], v[147:148]
	ds_load_b128 v[2:5], v1 offset:912
	ds_load_b128 v[6:9], v1 offset:928
	v_fma_f64 v[40:41], v[40:41], v[14:15], v[143:144]
	v_fma_f64 v[14:15], v[38:39], v[14:15], -v[16:17]
	s_waitcnt vmcnt(4) lgkmcnt(1)
	v_mul_f64 v[147:148], v[2:3], v[20:21]
	v_mul_f64 v[20:21], v[4:5], v[20:21]
	s_waitcnt vmcnt(3) lgkmcnt(0)
	v_mul_f64 v[16:17], v[6:7], v[24:25]
	v_mul_f64 v[24:25], v[8:9], v[24:25]
	v_add_f64 v[10:11], v[12:13], v[10:11]
	v_add_f64 v[12:13], v[43:44], v[145:146]
	v_fma_f64 v[38:39], v[4:5], v[18:19], v[147:148]
	v_fma_f64 v[18:19], v[2:3], v[18:19], -v[20:21]
	v_fma_f64 v[8:9], v[8:9], v[22:23], v[16:17]
	v_fma_f64 v[6:7], v[6:7], v[22:23], -v[24:25]
	v_add_f64 v[14:15], v[10:11], v[14:15]
	v_add_f64 v[20:21], v[12:13], v[40:41]
	ds_load_b128 v[2:5], v1 offset:944
	ds_load_b128 v[10:13], v1 offset:960
	s_waitcnt vmcnt(2) lgkmcnt(1)
	v_mul_f64 v[40:41], v[2:3], v[28:29]
	v_mul_f64 v[28:29], v[4:5], v[28:29]
	v_add_f64 v[14:15], v[14:15], v[18:19]
	v_add_f64 v[16:17], v[20:21], v[38:39]
	s_waitcnt vmcnt(1) lgkmcnt(0)
	v_mul_f64 v[18:19], v[10:11], v[32:33]
	v_mul_f64 v[20:21], v[12:13], v[32:33]
	v_fma_f64 v[22:23], v[4:5], v[26:27], v[40:41]
	v_fma_f64 v[24:25], v[2:3], v[26:27], -v[28:29]
	ds_load_b128 v[2:5], v1 offset:976
	v_add_f64 v[6:7], v[14:15], v[6:7]
	v_add_f64 v[8:9], v[16:17], v[8:9]
	v_fma_f64 v[12:13], v[12:13], v[30:31], v[18:19]
	v_fma_f64 v[10:11], v[10:11], v[30:31], -v[20:21]
	s_waitcnt vmcnt(0) lgkmcnt(0)
	v_mul_f64 v[14:15], v[2:3], v[36:37]
	v_mul_f64 v[16:17], v[4:5], v[36:37]
	v_add_f64 v[6:7], v[6:7], v[24:25]
	v_add_f64 v[8:9], v[8:9], v[22:23]
	s_delay_alu instid0(VALU_DEP_4) | instskip(NEXT) | instid1(VALU_DEP_4)
	v_fma_f64 v[4:5], v[4:5], v[34:35], v[14:15]
	v_fma_f64 v[2:3], v[2:3], v[34:35], -v[16:17]
	s_delay_alu instid0(VALU_DEP_4) | instskip(NEXT) | instid1(VALU_DEP_4)
	v_add_f64 v[6:7], v[6:7], v[10:11]
	v_add_f64 v[8:9], v[8:9], v[12:13]
	s_delay_alu instid0(VALU_DEP_2) | instskip(NEXT) | instid1(VALU_DEP_2)
	v_add_f64 v[2:3], v[6:7], v[2:3]
	v_add_f64 v[4:5], v[8:9], v[4:5]
	s_delay_alu instid0(VALU_DEP_2) | instskip(NEXT) | instid1(VALU_DEP_2)
	v_add_f64 v[2:3], v[139:140], -v[2:3]
	v_add_f64 v[4:5], v[141:142], -v[4:5]
	scratch_store_b128 off, v[2:5], off offset:16
	v_cmpx_ne_u32_e32 0, v108
	s_cbranch_execz .LBB94_199
; %bb.198:
	scratch_load_b128 v[5:8], off, off
	v_mov_b32_e32 v2, v1
	v_mov_b32_e32 v3, v1
	;; [unrolled: 1-line block ×3, first 2 shown]
	scratch_store_b128 off, v[1:4], off
	s_waitcnt vmcnt(0)
	ds_store_b128 v42, v[5:8]
.LBB94_199:
	s_or_b32 exec_lo, exec_lo, s2
	s_waitcnt lgkmcnt(0)
	s_waitcnt_vscnt null, 0x0
	s_barrier
	buffer_gl0_inv
	s_clause 0x8
	scratch_load_b128 v[2:5], off, off offset:16
	scratch_load_b128 v[6:9], off, off offset:32
	;; [unrolled: 1-line block ×9, first 2 shown]
	ds_load_b128 v[42:45], v1 offset:512
	ds_load_b128 v[38:41], v1 offset:528
	s_clause 0x1
	scratch_load_b128 v[139:142], off, off
	scratch_load_b128 v[143:146], off, off offset:160
	s_and_b32 vcc_lo, exec_lo, s14
	s_waitcnt vmcnt(10) lgkmcnt(1)
	v_mul_f64 v[147:148], v[44:45], v[4:5]
	v_mul_f64 v[4:5], v[42:43], v[4:5]
	s_waitcnt vmcnt(9) lgkmcnt(0)
	v_mul_f64 v[151:152], v[38:39], v[8:9]
	v_mul_f64 v[8:9], v[40:41], v[8:9]
	s_delay_alu instid0(VALU_DEP_4) | instskip(NEXT) | instid1(VALU_DEP_4)
	v_fma_f64 v[153:154], v[42:43], v[2:3], -v[147:148]
	v_fma_f64 v[155:156], v[44:45], v[2:3], v[4:5]
	ds_load_b128 v[2:5], v1 offset:544
	ds_load_b128 v[147:150], v1 offset:560
	scratch_load_b128 v[42:45], off, off offset:176
	v_fma_f64 v[40:41], v[40:41], v[6:7], v[151:152]
	v_fma_f64 v[38:39], v[38:39], v[6:7], -v[8:9]
	scratch_load_b128 v[6:9], off, off offset:192
	s_waitcnt vmcnt(10) lgkmcnt(1)
	v_mul_f64 v[157:158], v[2:3], v[12:13]
	v_mul_f64 v[12:13], v[4:5], v[12:13]
	v_add_f64 v[151:152], v[153:154], 0
	v_add_f64 v[153:154], v[155:156], 0
	s_waitcnt vmcnt(9) lgkmcnt(0)
	v_mul_f64 v[155:156], v[147:148], v[16:17]
	v_mul_f64 v[16:17], v[149:150], v[16:17]
	v_fma_f64 v[157:158], v[4:5], v[10:11], v[157:158]
	v_fma_f64 v[159:160], v[2:3], v[10:11], -v[12:13]
	ds_load_b128 v[2:5], v1 offset:576
	scratch_load_b128 v[10:13], off, off offset:208
	v_add_f64 v[151:152], v[151:152], v[38:39]
	v_add_f64 v[153:154], v[153:154], v[40:41]
	ds_load_b128 v[38:41], v1 offset:592
	v_fma_f64 v[149:150], v[149:150], v[14:15], v[155:156]
	v_fma_f64 v[147:148], v[147:148], v[14:15], -v[16:17]
	scratch_load_b128 v[14:17], off, off offset:224
	s_waitcnt vmcnt(10) lgkmcnt(1)
	v_mul_f64 v[161:162], v[2:3], v[20:21]
	v_mul_f64 v[20:21], v[4:5], v[20:21]
	s_waitcnt vmcnt(9) lgkmcnt(0)
	v_mul_f64 v[155:156], v[38:39], v[24:25]
	v_mul_f64 v[24:25], v[40:41], v[24:25]
	v_add_f64 v[151:152], v[151:152], v[159:160]
	v_add_f64 v[153:154], v[153:154], v[157:158]
	v_fma_f64 v[157:158], v[4:5], v[18:19], v[161:162]
	v_fma_f64 v[159:160], v[2:3], v[18:19], -v[20:21]
	ds_load_b128 v[2:5], v1 offset:608
	scratch_load_b128 v[18:21], off, off offset:240
	v_fma_f64 v[40:41], v[40:41], v[22:23], v[155:156]
	v_fma_f64 v[38:39], v[38:39], v[22:23], -v[24:25]
	scratch_load_b128 v[22:25], off, off offset:256
	v_add_f64 v[151:152], v[151:152], v[147:148]
	v_add_f64 v[153:154], v[153:154], v[149:150]
	ds_load_b128 v[147:150], v1 offset:624
	s_waitcnt vmcnt(10) lgkmcnt(1)
	v_mul_f64 v[161:162], v[2:3], v[28:29]
	v_mul_f64 v[28:29], v[4:5], v[28:29]
	s_waitcnt vmcnt(9) lgkmcnt(0)
	v_mul_f64 v[155:156], v[147:148], v[32:33]
	v_mul_f64 v[32:33], v[149:150], v[32:33]
	v_add_f64 v[151:152], v[151:152], v[159:160]
	v_add_f64 v[153:154], v[153:154], v[157:158]
	v_fma_f64 v[157:158], v[4:5], v[26:27], v[161:162]
	v_fma_f64 v[159:160], v[2:3], v[26:27], -v[28:29]
	ds_load_b128 v[2:5], v1 offset:640
	scratch_load_b128 v[26:29], off, off offset:272
	v_fma_f64 v[149:150], v[149:150], v[30:31], v[155:156]
	v_fma_f64 v[147:148], v[147:148], v[30:31], -v[32:33]
	scratch_load_b128 v[30:33], off, off offset:288
	v_add_f64 v[151:152], v[151:152], v[38:39]
	v_add_f64 v[153:154], v[153:154], v[40:41]
	ds_load_b128 v[38:41], v1 offset:656
	s_waitcnt vmcnt(10) lgkmcnt(1)
	v_mul_f64 v[161:162], v[2:3], v[36:37]
	v_mul_f64 v[36:37], v[4:5], v[36:37]
	s_waitcnt vmcnt(8) lgkmcnt(0)
	v_mul_f64 v[155:156], v[38:39], v[145:146]
	v_add_f64 v[151:152], v[151:152], v[159:160]
	v_add_f64 v[153:154], v[153:154], v[157:158]
	v_mul_f64 v[157:158], v[40:41], v[145:146]
	v_fma_f64 v[159:160], v[4:5], v[34:35], v[161:162]
	v_fma_f64 v[161:162], v[2:3], v[34:35], -v[36:37]
	ds_load_b128 v[2:5], v1 offset:672
	scratch_load_b128 v[34:37], off, off offset:304
	v_fma_f64 v[155:156], v[40:41], v[143:144], v[155:156]
	v_add_f64 v[151:152], v[151:152], v[147:148]
	v_add_f64 v[149:150], v[153:154], v[149:150]
	ds_load_b128 v[145:148], v1 offset:688
	v_fma_f64 v[143:144], v[38:39], v[143:144], -v[157:158]
	scratch_load_b128 v[38:41], off, off offset:320
	s_waitcnt vmcnt(9) lgkmcnt(1)
	v_mul_f64 v[153:154], v[2:3], v[44:45]
	v_mul_f64 v[44:45], v[4:5], v[44:45]
	s_waitcnt vmcnt(8) lgkmcnt(0)
	v_mul_f64 v[157:158], v[145:146], v[8:9]
	v_mul_f64 v[8:9], v[147:148], v[8:9]
	v_add_f64 v[151:152], v[151:152], v[161:162]
	v_add_f64 v[149:150], v[149:150], v[159:160]
	v_fma_f64 v[153:154], v[4:5], v[42:43], v[153:154]
	v_fma_f64 v[159:160], v[2:3], v[42:43], -v[44:45]
	ds_load_b128 v[2:5], v1 offset:704
	scratch_load_b128 v[42:45], off, off offset:336
	v_fma_f64 v[147:148], v[147:148], v[6:7], v[157:158]
	v_fma_f64 v[145:146], v[145:146], v[6:7], -v[8:9]
	scratch_load_b128 v[6:9], off, off offset:352
	v_add_f64 v[143:144], v[151:152], v[143:144]
	v_add_f64 v[155:156], v[149:150], v[155:156]
	ds_load_b128 v[149:152], v1 offset:720
	s_waitcnt vmcnt(9) lgkmcnt(1)
	v_mul_f64 v[161:162], v[2:3], v[12:13]
	v_mul_f64 v[12:13], v[4:5], v[12:13]
	v_add_f64 v[143:144], v[143:144], v[159:160]
	v_add_f64 v[153:154], v[155:156], v[153:154]
	s_waitcnt vmcnt(8) lgkmcnt(0)
	v_mul_f64 v[155:156], v[149:150], v[16:17]
	v_mul_f64 v[16:17], v[151:152], v[16:17]
	v_fma_f64 v[157:158], v[4:5], v[10:11], v[161:162]
	v_fma_f64 v[159:160], v[2:3], v[10:11], -v[12:13]
	ds_load_b128 v[2:5], v1 offset:736
	scratch_load_b128 v[10:13], off, off offset:368
	v_add_f64 v[161:162], v[143:144], v[145:146]
	v_add_f64 v[147:148], v[153:154], v[147:148]
	ds_load_b128 v[143:146], v1 offset:752
	s_waitcnt vmcnt(8) lgkmcnt(1)
	v_mul_f64 v[153:154], v[2:3], v[20:21]
	v_mul_f64 v[20:21], v[4:5], v[20:21]
	v_fma_f64 v[151:152], v[151:152], v[14:15], v[155:156]
	v_fma_f64 v[149:150], v[149:150], v[14:15], -v[16:17]
	scratch_load_b128 v[14:17], off, off offset:384
	v_add_f64 v[155:156], v[161:162], v[159:160]
	v_add_f64 v[147:148], v[147:148], v[157:158]
	s_waitcnt vmcnt(8) lgkmcnt(0)
	v_mul_f64 v[157:158], v[143:144], v[24:25]
	v_mul_f64 v[24:25], v[145:146], v[24:25]
	v_fma_f64 v[153:154], v[4:5], v[18:19], v[153:154]
	v_fma_f64 v[159:160], v[2:3], v[18:19], -v[20:21]
	ds_load_b128 v[2:5], v1 offset:768
	scratch_load_b128 v[18:21], off, off offset:400
	v_add_f64 v[155:156], v[155:156], v[149:150]
	v_add_f64 v[151:152], v[147:148], v[151:152]
	ds_load_b128 v[147:150], v1 offset:784
	s_waitcnt vmcnt(8) lgkmcnt(1)
	v_mul_f64 v[161:162], v[2:3], v[28:29]
	v_mul_f64 v[28:29], v[4:5], v[28:29]
	v_fma_f64 v[145:146], v[145:146], v[22:23], v[157:158]
	v_fma_f64 v[143:144], v[143:144], v[22:23], -v[24:25]
	scratch_load_b128 v[22:25], off, off offset:416
	;; [unrolled: 18-line block ×4, first 2 shown]
	s_waitcnt vmcnt(8) lgkmcnt(0)
	v_mul_f64 v[155:156], v[147:148], v[8:9]
	v_mul_f64 v[8:9], v[149:150], v[8:9]
	v_add_f64 v[153:154], v[153:154], v[159:160]
	v_add_f64 v[151:152], v[151:152], v[157:158]
	v_fma_f64 v[157:158], v[4:5], v[42:43], v[161:162]
	v_fma_f64 v[159:160], v[2:3], v[42:43], -v[44:45]
	ds_load_b128 v[2:5], v1 offset:864
	ds_load_b128 v[42:45], v1 offset:880
	v_fma_f64 v[149:150], v[149:150], v[6:7], v[155:156]
	v_fma_f64 v[6:7], v[147:148], v[6:7], -v[8:9]
	v_add_f64 v[143:144], v[153:154], v[143:144]
	v_add_f64 v[145:146], v[151:152], v[145:146]
	s_waitcnt vmcnt(7) lgkmcnt(1)
	v_mul_f64 v[151:152], v[2:3], v[12:13]
	v_mul_f64 v[12:13], v[4:5], v[12:13]
	s_delay_alu instid0(VALU_DEP_4) | instskip(NEXT) | instid1(VALU_DEP_4)
	v_add_f64 v[8:9], v[143:144], v[159:160]
	v_add_f64 v[143:144], v[145:146], v[157:158]
	s_waitcnt vmcnt(6) lgkmcnt(0)
	v_mul_f64 v[145:146], v[42:43], v[16:17]
	v_mul_f64 v[16:17], v[44:45], v[16:17]
	v_fma_f64 v[147:148], v[4:5], v[10:11], v[151:152]
	v_fma_f64 v[10:11], v[2:3], v[10:11], -v[12:13]
	v_add_f64 v[12:13], v[8:9], v[6:7]
	v_add_f64 v[143:144], v[143:144], v[149:150]
	ds_load_b128 v[2:5], v1 offset:896
	ds_load_b128 v[6:9], v1 offset:912
	v_fma_f64 v[44:45], v[44:45], v[14:15], v[145:146]
	v_fma_f64 v[14:15], v[42:43], v[14:15], -v[16:17]
	s_waitcnt vmcnt(5) lgkmcnt(1)
	v_mul_f64 v[149:150], v[2:3], v[20:21]
	v_mul_f64 v[20:21], v[4:5], v[20:21]
	s_waitcnt vmcnt(4) lgkmcnt(0)
	v_mul_f64 v[16:17], v[6:7], v[24:25]
	v_mul_f64 v[24:25], v[8:9], v[24:25]
	v_add_f64 v[10:11], v[12:13], v[10:11]
	v_add_f64 v[12:13], v[143:144], v[147:148]
	v_fma_f64 v[42:43], v[4:5], v[18:19], v[149:150]
	v_fma_f64 v[18:19], v[2:3], v[18:19], -v[20:21]
	v_fma_f64 v[8:9], v[8:9], v[22:23], v[16:17]
	v_fma_f64 v[6:7], v[6:7], v[22:23], -v[24:25]
	v_add_f64 v[14:15], v[10:11], v[14:15]
	v_add_f64 v[20:21], v[12:13], v[44:45]
	ds_load_b128 v[2:5], v1 offset:928
	ds_load_b128 v[10:13], v1 offset:944
	s_waitcnt vmcnt(3) lgkmcnt(1)
	v_mul_f64 v[44:45], v[2:3], v[28:29]
	v_mul_f64 v[28:29], v[4:5], v[28:29]
	v_add_f64 v[14:15], v[14:15], v[18:19]
	v_add_f64 v[16:17], v[20:21], v[42:43]
	s_waitcnt vmcnt(2) lgkmcnt(0)
	v_mul_f64 v[18:19], v[10:11], v[32:33]
	v_mul_f64 v[20:21], v[12:13], v[32:33]
	v_fma_f64 v[22:23], v[4:5], v[26:27], v[44:45]
	v_fma_f64 v[24:25], v[2:3], v[26:27], -v[28:29]
	v_add_f64 v[14:15], v[14:15], v[6:7]
	v_add_f64 v[16:17], v[16:17], v[8:9]
	ds_load_b128 v[2:5], v1 offset:960
	ds_load_b128 v[6:9], v1 offset:976
	v_fma_f64 v[12:13], v[12:13], v[30:31], v[18:19]
	v_fma_f64 v[10:11], v[10:11], v[30:31], -v[20:21]
	s_waitcnt vmcnt(1) lgkmcnt(1)
	v_mul_f64 v[26:27], v[2:3], v[36:37]
	v_mul_f64 v[28:29], v[4:5], v[36:37]
	s_waitcnt vmcnt(0) lgkmcnt(0)
	v_mul_f64 v[18:19], v[6:7], v[40:41]
	v_mul_f64 v[20:21], v[8:9], v[40:41]
	v_add_f64 v[14:15], v[14:15], v[24:25]
	v_add_f64 v[16:17], v[16:17], v[22:23]
	v_fma_f64 v[4:5], v[4:5], v[34:35], v[26:27]
	v_fma_f64 v[1:2], v[2:3], v[34:35], -v[28:29]
	v_fma_f64 v[8:9], v[8:9], v[38:39], v[18:19]
	v_fma_f64 v[6:7], v[6:7], v[38:39], -v[20:21]
	v_add_f64 v[10:11], v[14:15], v[10:11]
	v_add_f64 v[12:13], v[16:17], v[12:13]
	s_delay_alu instid0(VALU_DEP_2) | instskip(NEXT) | instid1(VALU_DEP_2)
	v_add_f64 v[1:2], v[10:11], v[1:2]
	v_add_f64 v[3:4], v[12:13], v[4:5]
	s_delay_alu instid0(VALU_DEP_2) | instskip(NEXT) | instid1(VALU_DEP_2)
	;; [unrolled: 3-line block ×3, first 2 shown]
	v_add_f64 v[1:2], v[139:140], -v[1:2]
	v_add_f64 v[3:4], v[141:142], -v[3:4]
	scratch_store_b128 off, v[1:4], off
	s_cbranch_vccz .LBB94_261
; %bb.200:
	v_dual_mov_b32 v1, s8 :: v_dual_mov_b32 v2, s9
	s_load_b64 s[0:1], s[0:1], 0x4
	flat_load_b32 v1, v[1:2] offset:116
	v_bfe_u32 v2, v0, 10, 10
	v_bfe_u32 v0, v0, 20, 10
	s_waitcnt lgkmcnt(0)
	s_lshr_b32 s0, s0, 16
	s_delay_alu instid0(VALU_DEP_2) | instskip(SKIP_1) | instid1(SALU_CYCLE_1)
	v_mul_u32_u24_e32 v2, s1, v2
	s_mul_i32 s0, s0, s1
	v_mul_u32_u24_e32 v3, s0, v108
	s_mov_b32 s0, exec_lo
	s_delay_alu instid0(VALU_DEP_1) | instskip(NEXT) | instid1(VALU_DEP_1)
	v_add3_u32 v0, v3, v2, v0
	v_lshl_add_u32 v0, v0, 4, 0x3e8
	s_waitcnt vmcnt(0)
	v_cmpx_ne_u32_e32 30, v1
	s_cbranch_execz .LBB94_202
; %bb.201:
	v_lshl_add_u32 v9, v1, 4, 0
	s_clause 0x1
	scratch_load_b128 v[1:4], v124, off
	scratch_load_b128 v[5:8], v9, off offset:-16
	s_waitcnt vmcnt(1)
	ds_store_2addr_b64 v0, v[1:2], v[3:4] offset1:1
	s_waitcnt vmcnt(0)
	s_clause 0x1
	scratch_store_b128 v124, v[5:8], off
	scratch_store_b128 v9, v[1:4], off offset:-16
.LBB94_202:
	s_or_b32 exec_lo, exec_lo, s0
	v_dual_mov_b32 v1, s8 :: v_dual_mov_b32 v2, s9
	s_mov_b32 s0, exec_lo
	flat_load_b32 v1, v[1:2] offset:112
	s_waitcnt vmcnt(0) lgkmcnt(0)
	v_cmpx_ne_u32_e32 29, v1
	s_cbranch_execz .LBB94_204
; %bb.203:
	v_lshl_add_u32 v9, v1, 4, 0
	s_clause 0x1
	scratch_load_b128 v[1:4], v127, off
	scratch_load_b128 v[5:8], v9, off offset:-16
	s_waitcnt vmcnt(1)
	ds_store_2addr_b64 v0, v[1:2], v[3:4] offset1:1
	s_waitcnt vmcnt(0)
	s_clause 0x1
	scratch_store_b128 v127, v[5:8], off
	scratch_store_b128 v9, v[1:4], off offset:-16
.LBB94_204:
	s_or_b32 exec_lo, exec_lo, s0
	v_dual_mov_b32 v1, s8 :: v_dual_mov_b32 v2, s9
	s_mov_b32 s0, exec_lo
	flat_load_b32 v1, v[1:2] offset:108
	s_waitcnt vmcnt(0) lgkmcnt(0)
	;; [unrolled: 19-line block ×28, first 2 shown]
	v_cmpx_ne_u32_e32 2, v1
	s_cbranch_execz .LBB94_258
; %bb.257:
	v_lshl_add_u32 v9, v1, 4, 0
	s_clause 0x1
	scratch_load_b128 v[1:4], v112, off
	scratch_load_b128 v[5:8], v9, off offset:-16
	s_waitcnt vmcnt(1)
	ds_store_2addr_b64 v0, v[1:2], v[3:4] offset1:1
	s_waitcnt vmcnt(0)
	s_clause 0x1
	scratch_store_b128 v112, v[5:8], off
	scratch_store_b128 v9, v[1:4], off offset:-16
.LBB94_258:
	s_or_b32 exec_lo, exec_lo, s0
	v_dual_mov_b32 v1, s8 :: v_dual_mov_b32 v2, s9
	s_mov_b32 s0, exec_lo
	flat_load_b32 v1, v[1:2]
	s_waitcnt vmcnt(0) lgkmcnt(0)
	v_cmpx_ne_u32_e32 1, v1
	s_cbranch_execz .LBB94_260
; %bb.259:
	v_lshl_add_u32 v9, v1, 4, 0
	scratch_load_b128 v[1:4], off, off
	scratch_load_b128 v[5:8], v9, off offset:-16
	s_waitcnt vmcnt(1)
	ds_store_2addr_b64 v0, v[1:2], v[3:4] offset1:1
	s_waitcnt vmcnt(0)
	scratch_store_b128 off, v[5:8], off
	scratch_store_b128 v9, v[1:4], off offset:-16
.LBB94_260:
	s_or_b32 exec_lo, exec_lo, s0
.LBB94_261:
	scratch_load_b128 v[0:3], off, off
	s_clause 0x15
	scratch_load_b128 v[4:7], v112, off
	scratch_load_b128 v[8:11], v111, off
	;; [unrolled: 1-line block ×22, first 2 shown]
	s_waitcnt vmcnt(22)
	global_store_b128 v[46:47], v[0:3], off
	s_clause 0x1
	scratch_load_b128 v[0:3], v134, off
	scratch_load_b128 v[44:47], v133, off
	s_waitcnt vmcnt(23)
	global_store_b128 v[48:49], v[4:7], off
	s_clause 0x1
	scratch_load_b128 v[4:7], v132, off
	scratch_load_b128 v[130:133], v131, off
	;; [unrolled: 5-line block ×4, first 2 shown]
	s_waitcnt vmcnt(26)
	global_store_b128 v[54:55], v[16:19], off
	s_waitcnt vmcnt(25)
	global_store_b128 v[56:57], v[20:23], off
	;; [unrolled: 2-line block ×27, first 2 shown]
	s_endpgm
	.section	.rodata,"a",@progbits
	.p2align	6, 0x0
	.amdhsa_kernel _ZN9rocsolver6v33100L18getri_kernel_smallILi31E19rocblas_complex_numIdEPKPS3_EEvT1_iilPiilS8_bb
		.amdhsa_group_segment_fixed_size 2024
		.amdhsa_private_segment_fixed_size 512
		.amdhsa_kernarg_size 60
		.amdhsa_user_sgpr_count 15
		.amdhsa_user_sgpr_dispatch_ptr 1
		.amdhsa_user_sgpr_queue_ptr 0
		.amdhsa_user_sgpr_kernarg_segment_ptr 1
		.amdhsa_user_sgpr_dispatch_id 0
		.amdhsa_user_sgpr_private_segment_size 0
		.amdhsa_wavefront_size32 1
		.amdhsa_uses_dynamic_stack 0
		.amdhsa_enable_private_segment 1
		.amdhsa_system_sgpr_workgroup_id_x 1
		.amdhsa_system_sgpr_workgroup_id_y 0
		.amdhsa_system_sgpr_workgroup_id_z 0
		.amdhsa_system_sgpr_workgroup_info 0
		.amdhsa_system_vgpr_workitem_id 2
		.amdhsa_next_free_vgpr 187
		.amdhsa_next_free_sgpr 38
		.amdhsa_reserve_vcc 1
		.amdhsa_float_round_mode_32 0
		.amdhsa_float_round_mode_16_64 0
		.amdhsa_float_denorm_mode_32 3
		.amdhsa_float_denorm_mode_16_64 3
		.amdhsa_dx10_clamp 1
		.amdhsa_ieee_mode 1
		.amdhsa_fp16_overflow 0
		.amdhsa_workgroup_processor_mode 1
		.amdhsa_memory_ordered 1
		.amdhsa_forward_progress 0
		.amdhsa_shared_vgpr_count 0
		.amdhsa_exception_fp_ieee_invalid_op 0
		.amdhsa_exception_fp_denorm_src 0
		.amdhsa_exception_fp_ieee_div_zero 0
		.amdhsa_exception_fp_ieee_overflow 0
		.amdhsa_exception_fp_ieee_underflow 0
		.amdhsa_exception_fp_ieee_inexact 0
		.amdhsa_exception_int_div_zero 0
	.end_amdhsa_kernel
	.section	.text._ZN9rocsolver6v33100L18getri_kernel_smallILi31E19rocblas_complex_numIdEPKPS3_EEvT1_iilPiilS8_bb,"axG",@progbits,_ZN9rocsolver6v33100L18getri_kernel_smallILi31E19rocblas_complex_numIdEPKPS3_EEvT1_iilPiilS8_bb,comdat
.Lfunc_end94:
	.size	_ZN9rocsolver6v33100L18getri_kernel_smallILi31E19rocblas_complex_numIdEPKPS3_EEvT1_iilPiilS8_bb, .Lfunc_end94-_ZN9rocsolver6v33100L18getri_kernel_smallILi31E19rocblas_complex_numIdEPKPS3_EEvT1_iilPiilS8_bb
                                        ; -- End function
	.section	.AMDGPU.csdata,"",@progbits
; Kernel info:
; codeLenInByte = 51072
; NumSgprs: 40
; NumVgprs: 187
; ScratchSize: 512
; MemoryBound: 0
; FloatMode: 240
; IeeeMode: 1
; LDSByteSize: 2024 bytes/workgroup (compile time only)
; SGPRBlocks: 4
; VGPRBlocks: 23
; NumSGPRsForWavesPerEU: 40
; NumVGPRsForWavesPerEU: 187
; Occupancy: 8
; WaveLimiterHint : 1
; COMPUTE_PGM_RSRC2:SCRATCH_EN: 1
; COMPUTE_PGM_RSRC2:USER_SGPR: 15
; COMPUTE_PGM_RSRC2:TRAP_HANDLER: 0
; COMPUTE_PGM_RSRC2:TGID_X_EN: 1
; COMPUTE_PGM_RSRC2:TGID_Y_EN: 0
; COMPUTE_PGM_RSRC2:TGID_Z_EN: 0
; COMPUTE_PGM_RSRC2:TIDIG_COMP_CNT: 2
	.section	.text._ZN9rocsolver6v33100L18getri_kernel_smallILi32E19rocblas_complex_numIdEPKPS3_EEvT1_iilPiilS8_bb,"axG",@progbits,_ZN9rocsolver6v33100L18getri_kernel_smallILi32E19rocblas_complex_numIdEPKPS3_EEvT1_iilPiilS8_bb,comdat
	.globl	_ZN9rocsolver6v33100L18getri_kernel_smallILi32E19rocblas_complex_numIdEPKPS3_EEvT1_iilPiilS8_bb ; -- Begin function _ZN9rocsolver6v33100L18getri_kernel_smallILi32E19rocblas_complex_numIdEPKPS3_EEvT1_iilPiilS8_bb
	.p2align	8
	.type	_ZN9rocsolver6v33100L18getri_kernel_smallILi32E19rocblas_complex_numIdEPKPS3_EEvT1_iilPiilS8_bb,@function
_ZN9rocsolver6v33100L18getri_kernel_smallILi32E19rocblas_complex_numIdEPKPS3_EEvT1_iilPiilS8_bb: ; @_ZN9rocsolver6v33100L18getri_kernel_smallILi32E19rocblas_complex_numIdEPKPS3_EEvT1_iilPiilS8_bb
; %bb.0:
	v_and_b32_e32 v106, 0x3ff, v0
	s_mov_b32 s4, exec_lo
	s_delay_alu instid0(VALU_DEP_1)
	v_cmpx_gt_u32_e32 32, v106
	s_cbranch_execz .LBB95_142
; %bb.1:
	s_mov_b32 s10, s15
	s_clause 0x2
	s_load_b32 s15, s[2:3], 0x38
	s_load_b64 s[8:9], s[2:3], 0x0
	s_load_b128 s[4:7], s[2:3], 0x28
	s_waitcnt lgkmcnt(0)
	s_bitcmp1_b32 s15, 8
	s_cselect_b32 s14, -1, 0
	s_ashr_i32 s11, s10, 31
	s_delay_alu instid0(SALU_CYCLE_1) | instskip(NEXT) | instid1(SALU_CYCLE_1)
	s_lshl_b64 s[12:13], s[10:11], 3
	s_add_u32 s8, s8, s12
	s_addc_u32 s9, s9, s13
	s_load_b64 s[12:13], s[8:9], 0x0
	s_bfe_u32 s8, s15, 0x10008
	s_delay_alu instid0(SALU_CYCLE_1)
	s_cmp_eq_u32 s8, 0
                                        ; implicit-def: $sgpr8_sgpr9
	s_cbranch_scc1 .LBB95_3
; %bb.2:
	s_clause 0x1
	s_load_b32 s8, s[2:3], 0x20
	s_load_b64 s[16:17], s[2:3], 0x18
	s_mul_i32 s5, s10, s5
	s_mul_hi_u32 s9, s10, s4
	s_mul_i32 s18, s11, s4
	s_add_i32 s5, s9, s5
	s_mul_i32 s4, s10, s4
	s_add_i32 s5, s5, s18
	s_delay_alu instid0(SALU_CYCLE_1)
	s_lshl_b64 s[4:5], s[4:5], 2
	s_waitcnt lgkmcnt(0)
	s_ashr_i32 s9, s8, 31
	s_add_u32 s16, s16, s4
	s_addc_u32 s17, s17, s5
	s_lshl_b64 s[4:5], s[8:9], 2
	s_delay_alu instid0(SALU_CYCLE_1)
	s_add_u32 s8, s16, s4
	s_addc_u32 s9, s17, s5
.LBB95_3:
	s_load_b64 s[2:3], s[2:3], 0x8
	v_lshlrev_b32_e32 v13, 4, v106
	s_movk_i32 s18, 0xc0
	s_movk_i32 s19, 0xd0
	;; [unrolled: 1-line block ×18, first 2 shown]
	s_waitcnt lgkmcnt(0)
	v_add3_u32 v5, s3, s3, v106
	s_ashr_i32 s5, s2, 31
	s_mov_b32 s4, s2
	s_mov_b32 s16, s3
	s_lshl_b64 s[4:5], s[4:5], 4
	v_add_nc_u32_e32 v9, s3, v5
	v_ashrrev_i32_e32 v6, 31, v5
	s_add_u32 s4, s12, s4
	s_addc_u32 s5, s13, s5
	v_add_co_u32 v44, s2, s4, v13
	v_add_nc_u32_e32 v11, s3, v9
	s_ashr_i32 s17, s3, 31
	v_add_co_ci_u32_e64 v45, null, s5, 0, s2
	v_lshlrev_b64 v[14:15], 4, v[5:6]
	s_lshl_b64 s[12:13], s[16:17], 4
	v_add_nc_u32_e32 v18, s3, v11
	v_add_co_u32 v42, vcc_lo, v44, s12
	v_ashrrev_i32_e32 v10, 31, v9
	v_add_co_ci_u32_e32 v43, vcc_lo, s13, v45, vcc_lo
	v_ashrrev_i32_e32 v12, 31, v11
	v_add_co_u32 v46, vcc_lo, s4, v14
	v_add_nc_u32_e32 v22, s3, v18
	v_add_co_ci_u32_e32 v47, vcc_lo, s5, v15, vcc_lo
	v_lshlrev_b64 v[14:15], 4, v[9:10]
	v_ashrrev_i32_e32 v19, 31, v18
	v_lshlrev_b64 v[16:17], 4, v[11:12]
	v_add_nc_u32_e32 v34, s3, v22
	v_ashrrev_i32_e32 v23, 31, v22
	s_clause 0x1
	global_load_b128 v[1:4], v13, s[4:5]
	global_load_b128 v[5:8], v[42:43], off
	v_add_co_u32 v48, vcc_lo, s4, v14
	v_lshlrev_b64 v[24:25], 4, v[18:19]
	v_add_co_ci_u32_e32 v49, vcc_lo, s5, v15, vcc_lo
	v_add_co_u32 v50, vcc_lo, s4, v16
	v_ashrrev_i32_e32 v35, 31, v34
	v_add_co_ci_u32_e32 v51, vcc_lo, s5, v17, vcc_lo
	v_lshlrev_b64 v[22:23], 4, v[22:23]
	v_add_co_u32 v52, vcc_lo, s4, v24
	v_add_co_ci_u32_e32 v53, vcc_lo, s5, v25, vcc_lo
	v_lshlrev_b64 v[24:25], 4, v[34:35]
	s_delay_alu instid0(VALU_DEP_4)
	v_add_co_u32 v54, vcc_lo, s4, v22
	s_clause 0x1
	global_load_b128 v[9:12], v[46:47], off
	global_load_b128 v[14:17], v[48:49], off
	v_add_co_ci_u32_e32 v55, vcc_lo, s5, v23, vcc_lo
	v_add_co_u32 v56, vcc_lo, s4, v24
	v_add_co_ci_u32_e32 v57, vcc_lo, s5, v25, vcc_lo
	s_clause 0x3
	global_load_b128 v[18:21], v[50:51], off
	global_load_b128 v[22:25], v[52:53], off
	global_load_b128 v[26:29], v[54:55], off
	global_load_b128 v[30:33], v[56:57], off
	v_add_nc_u32_e32 v34, s3, v34
	s_movk_i32 s2, 0x50
	s_movk_i32 s12, 0x80
	;; [unrolled: 1-line block ×4, first 2 shown]
	v_add_nc_u32_e32 v36, s3, v34
	v_ashrrev_i32_e32 v35, 31, v34
	s_movk_i32 s17, 0xb0
	s_movk_i32 s37, 0x1e0
	;; [unrolled: 1-line block ×3, first 2 shown]
	v_add_nc_u32_e32 v38, s3, v36
	v_ashrrev_i32_e32 v37, 31, v36
	v_lshlrev_b64 v[34:35], 4, v[34:35]
	v_add_nc_u32_e64 v110, 0, 16
	v_add_nc_u32_e64 v108, 0, 32
	v_add_nc_u32_e32 v40, s3, v38
	v_ashrrev_i32_e32 v39, 31, v38
	v_lshlrev_b64 v[36:37], 4, v[36:37]
	v_add_co_u32 v58, vcc_lo, s4, v34
	s_delay_alu instid0(VALU_DEP_4) | instskip(SKIP_3) | instid1(VALU_DEP_4)
	v_add_nc_u32_e32 v64, s3, v40
	v_ashrrev_i32_e32 v41, 31, v40
	v_lshlrev_b64 v[38:39], 4, v[38:39]
	v_add_co_ci_u32_e32 v59, vcc_lo, s5, v35, vcc_lo
	v_add_nc_u32_e32 v66, s3, v64
	v_add_co_u32 v60, vcc_lo, s4, v36
	v_lshlrev_b64 v[68:69], 4, v[40:41]
	v_ashrrev_i32_e32 v65, 31, v64
	s_delay_alu instid0(VALU_DEP_4) | instskip(SKIP_2) | instid1(VALU_DEP_3)
	v_add_nc_u32_e32 v70, s3, v66
	v_add_co_ci_u32_e32 v61, vcc_lo, s5, v37, vcc_lo
	v_add_co_u32 v62, vcc_lo, s4, v38
	v_add_nc_u32_e32 v74, s3, v70
	v_ashrrev_i32_e32 v67, 31, v66
	v_add_co_ci_u32_e32 v63, vcc_lo, s5, v39, vcc_lo
	v_lshlrev_b64 v[72:73], 4, v[64:65]
	s_delay_alu instid0(VALU_DEP_4) | instskip(SKIP_3) | instid1(VALU_DEP_4)
	v_add_nc_u32_e32 v76, s3, v74
	v_add_co_u32 v64, vcc_lo, s4, v68
	v_ashrrev_i32_e32 v71, 31, v70
	v_add_co_ci_u32_e32 v65, vcc_lo, s5, v69, vcc_lo
	v_add_nc_u32_e32 v78, s3, v76
	v_lshlrev_b64 v[68:69], 4, v[66:67]
	v_ashrrev_i32_e32 v75, 31, v74
	v_add_co_u32 v66, vcc_lo, s4, v72
	s_delay_alu instid0(VALU_DEP_4) | instskip(SKIP_3) | instid1(VALU_DEP_4)
	v_add_nc_u32_e32 v80, s3, v78
	v_lshlrev_b64 v[70:71], 4, v[70:71]
	v_ashrrev_i32_e32 v77, 31, v76
	v_add_co_ci_u32_e32 v67, vcc_lo, s5, v73, vcc_lo
	v_add_nc_u32_e32 v82, s3, v80
	v_add_co_u32 v68, vcc_lo, s4, v68
	v_lshlrev_b64 v[72:73], 4, v[74:75]
	v_ashrrev_i32_e32 v79, 31, v78
	s_delay_alu instid0(VALU_DEP_4) | instskip(SKIP_2) | instid1(VALU_DEP_3)
	v_add_nc_u32_e32 v84, s3, v82
	v_add_co_ci_u32_e32 v69, vcc_lo, s5, v69, vcc_lo
	v_add_co_u32 v70, vcc_lo, s4, v70
	v_add_nc_u32_e32 v86, s3, v84
	v_lshlrev_b64 v[74:75], 4, v[76:77]
	v_ashrrev_i32_e32 v81, 31, v80
	v_add_co_ci_u32_e32 v71, vcc_lo, s5, v71, vcc_lo
	s_delay_alu instid0(VALU_DEP_4) | instskip(SKIP_3) | instid1(VALU_DEP_4)
	v_add_nc_u32_e32 v88, s3, v86
	v_add_co_u32 v72, vcc_lo, s4, v72
	v_lshlrev_b64 v[76:77], 4, v[78:79]
	v_ashrrev_i32_e32 v83, 31, v82
	v_add_nc_u32_e32 v90, s3, v88
	v_add_co_ci_u32_e32 v73, vcc_lo, s5, v73, vcc_lo
	v_add_co_u32 v74, vcc_lo, s4, v74
	s_delay_alu instid0(VALU_DEP_3) | instskip(SKIP_3) | instid1(VALU_DEP_4)
	v_add_nc_u32_e32 v92, s3, v90
	v_lshlrev_b64 v[78:79], 4, v[80:81]
	v_ashrrev_i32_e32 v85, 31, v84
	v_add_co_ci_u32_e32 v75, vcc_lo, s5, v75, vcc_lo
	v_add_nc_u32_e32 v94, s3, v92
	v_add_co_u32 v76, vcc_lo, s4, v76
	v_lshlrev_b64 v[80:81], 4, v[82:83]
	v_ashrrev_i32_e32 v87, 31, v86
	s_delay_alu instid0(VALU_DEP_4) | instskip(SKIP_3) | instid1(VALU_DEP_4)
	v_add_nc_u32_e32 v96, s3, v94
	v_ashrrev_i32_e32 v89, 31, v88
	v_ashrrev_i32_e32 v91, 31, v90
	v_add_co_ci_u32_e32 v77, vcc_lo, s5, v77, vcc_lo
	v_add_nc_u32_e32 v98, s3, v96
	v_add_co_u32 v78, vcc_lo, s4, v78
	v_lshlrev_b64 v[82:83], 4, v[84:85]
	v_add_co_ci_u32_e32 v79, vcc_lo, s5, v79, vcc_lo
	s_delay_alu instid0(VALU_DEP_4)
	v_add_nc_u32_e32 v100, s3, v98
	v_lshlrev_b64 v[84:85], 4, v[86:87]
	v_lshlrev_b64 v[86:87], 4, v[88:89]
	;; [unrolled: 1-line block ×3, first 2 shown]
	v_add_co_u32 v80, vcc_lo, s4, v80
	v_add_nc_u32_e32 v102, s3, v100
	v_add_co_ci_u32_e32 v81, vcc_lo, s5, v81, vcc_lo
	v_add_co_u32 v82, vcc_lo, s4, v82
	s_delay_alu instid0(VALU_DEP_3) | instskip(SKIP_2) | instid1(VALU_DEP_3)
	v_add_nc_u32_e32 v104, s3, v102
	v_add_co_ci_u32_e32 v83, vcc_lo, s5, v83, vcc_lo
	v_add_co_u32 v84, vcc_lo, s4, v84
	v_add_nc_u32_e32 v90, s3, v104
	v_ashrrev_i32_e32 v93, 31, v92
	v_add_co_ci_u32_e32 v85, vcc_lo, s5, v85, vcc_lo
	v_add_co_u32 v86, vcc_lo, s4, v86
	s_delay_alu instid0(VALU_DEP_4) | instskip(SKIP_3) | instid1(VALU_DEP_4)
	v_ashrrev_i32_e32 v91, 31, v90
	v_ashrrev_i32_e32 v95, 31, v94
	v_add_co_ci_u32_e32 v87, vcc_lo, s5, v87, vcc_lo
	v_lshlrev_b64 v[92:93], 4, v[92:93]
	v_lshlrev_b64 v[90:91], 4, v[90:91]
	v_add_co_u32 v88, vcc_lo, s4, v88
	v_ashrrev_i32_e32 v97, 31, v96
	v_add_co_ci_u32_e32 v89, vcc_lo, s5, v89, vcc_lo
	v_lshlrev_b64 v[94:95], 4, v[94:95]
	v_add_co_u32 v90, vcc_lo, s4, v90
	v_ashrrev_i32_e32 v99, 31, v98
	v_add_co_ci_u32_e32 v91, vcc_lo, s5, v91, vcc_lo
	v_add_co_u32 v92, vcc_lo, s4, v92
	v_lshlrev_b64 v[96:97], 4, v[96:97]
	v_ashrrev_i32_e32 v101, 31, v100
	v_add_co_ci_u32_e32 v93, vcc_lo, s5, v93, vcc_lo
	v_add_co_u32 v94, vcc_lo, s4, v94
	v_lshlrev_b64 v[98:99], 4, v[98:99]
	;; [unrolled: 4-line block ×4, first 2 shown]
	v_add_co_ci_u32_e32 v99, vcc_lo, s5, v99, vcc_lo
	v_add_co_u32 v100, vcc_lo, s4, v100
	v_lshlrev_b64 v[104:105], 4, v[104:105]
	v_add_co_ci_u32_e32 v101, vcc_lo, s5, v101, vcc_lo
	v_add_co_u32 v102, vcc_lo, s4, v102
	v_add_co_ci_u32_e32 v103, vcc_lo, s5, v103, vcc_lo
	s_clause 0xf
	global_load_b128 v[34:37], v[58:59], off
	global_load_b128 v[38:41], v[60:61], off
	;; [unrolled: 1-line block ×16, first 2 shown]
	v_add_co_u32 v104, vcc_lo, s4, v104
	v_add_co_ci_u32_e32 v105, vcc_lo, s5, v105, vcc_lo
	s_movk_i32 s4, 0x60
	s_movk_i32 s5, 0x70
	v_add_nc_u32_e64 v109, 0, 48
	v_add_nc_u32_e64 v107, 0, 64
	;; [unrolled: 1-line block ×13, first 2 shown]
	s_mov_b32 s3, -1
	s_bitcmp0_b32 s15, 0
	s_waitcnt vmcnt(23)
	scratch_store_b128 off, v[1:4], off
	s_waitcnt vmcnt(22)
	scratch_store_b128 off, v[5:8], off offset:16
	s_clause 0x1
	global_load_b128 v[1:4], v[88:89], off
	global_load_b128 v[5:8], v[92:93], off
	s_waitcnt vmcnt(23)
	scratch_store_b128 off, v[9:12], off offset:32
	s_waitcnt vmcnt(22)
	scratch_store_b128 off, v[14:17], off offset:48
	s_clause 0x1
	global_load_b128 v[9:12], v[94:95], off
	global_load_b128 v[14:17], v[96:97], off
	s_waitcnt vmcnt(22)
	s_clause 0x1
	scratch_store_b128 off, v[22:25], off offset:80
	scratch_store_b128 off, v[18:21], off offset:64
	s_clause 0x1
	global_load_b128 v[18:21], v[98:99], off
	global_load_b128 v[22:25], v[100:101], off
	s_waitcnt vmcnt(23)
	scratch_store_b128 off, v[26:29], off offset:96
	s_waitcnt vmcnt(22)
	scratch_store_b128 off, v[30:33], off offset:112
	s_clause 0x1
	global_load_b128 v[26:29], v[102:103], off
	global_load_b128 v[30:33], v[104:105], off
	s_waitcnt vmcnt(23)
	scratch_store_b128 off, v[34:37], off offset:128
	s_waitcnt vmcnt(22)
	scratch_store_b128 off, v[38:41], off offset:144
	;; [unrolled: 2-line block ×4, first 2 shown]
	v_add_nc_u32_e64 v118, s30, 0
	v_add_nc_u32_e64 v117, s31, 0
	;; [unrolled: 1-line block ×8, first 2 shown]
	s_waitcnt vmcnt(19)
	scratch_store_b128 off, v[119:122], off offset:192
	s_waitcnt vmcnt(18)
	scratch_store_b128 off, v[134:137], off offset:208
	;; [unrolled: 2-line block ×16, first 2 shown]
	v_add_nc_u32_e64 v137, s22, 0
	v_add_nc_u32_e64 v136, s23, 0
	;; [unrolled: 1-line block ×8, first 2 shown]
	s_waitcnt vmcnt(2)
	scratch_store_b128 off, v[22:25], off offset:448
	s_waitcnt vmcnt(1)
	scratch_store_b128 off, v[26:29], off offset:464
	s_waitcnt vmcnt(0)
	s_clause 0x1
	scratch_store_b128 off, v[30:33], off offset:480
	scratch_store_b128 off, v[174:177], off offset:496
	s_cbranch_scc1 .LBB95_140
; %bb.4:
	v_cmp_eq_u32_e64 s2, 0, v106
	s_delay_alu instid0(VALU_DEP_1)
	s_and_saveexec_b32 s3, s2
	s_cbranch_execz .LBB95_6
; %bb.5:
	v_mov_b32_e32 v1, 0
	ds_store_b32 v1, v1 offset:1024
.LBB95_6:
	s_or_b32 exec_lo, exec_lo, s3
	s_waitcnt lgkmcnt(0)
	s_waitcnt_vscnt null, 0x0
	s_barrier
	buffer_gl0_inv
	scratch_load_b128 v[1:4], v13, off
	s_waitcnt vmcnt(0)
	v_cmp_eq_f64_e32 vcc_lo, 0, v[1:2]
	v_cmp_eq_f64_e64 s3, 0, v[3:4]
	s_delay_alu instid0(VALU_DEP_1) | instskip(NEXT) | instid1(SALU_CYCLE_1)
	s_and_b32 s3, vcc_lo, s3
	s_and_saveexec_b32 s4, s3
	s_cbranch_execz .LBB95_10
; %bb.7:
	v_mov_b32_e32 v1, 0
	s_mov_b32 s5, 0
	ds_load_b32 v2, v1 offset:1024
	s_waitcnt lgkmcnt(0)
	v_readfirstlane_b32 s3, v2
	v_add_nc_u32_e32 v2, 1, v106
	s_delay_alu instid0(VALU_DEP_2) | instskip(NEXT) | instid1(VALU_DEP_1)
	s_cmp_eq_u32 s3, 0
	v_cmp_gt_i32_e32 vcc_lo, s3, v2
	s_cselect_b32 s12, -1, 0
	s_delay_alu instid0(SALU_CYCLE_1) | instskip(NEXT) | instid1(SALU_CYCLE_1)
	s_or_b32 s12, s12, vcc_lo
	s_and_b32 exec_lo, exec_lo, s12
	s_cbranch_execz .LBB95_10
; %bb.8:
	v_mov_b32_e32 v3, s3
.LBB95_9:                               ; =>This Inner Loop Header: Depth=1
	ds_cmpstore_rtn_b32 v3, v1, v2, v3 offset:1024
	s_waitcnt lgkmcnt(0)
	v_cmp_ne_u32_e32 vcc_lo, 0, v3
	v_cmp_le_i32_e64 s3, v3, v2
	s_delay_alu instid0(VALU_DEP_1) | instskip(NEXT) | instid1(SALU_CYCLE_1)
	s_and_b32 s3, vcc_lo, s3
	s_and_b32 s3, exec_lo, s3
	s_delay_alu instid0(SALU_CYCLE_1) | instskip(NEXT) | instid1(SALU_CYCLE_1)
	s_or_b32 s5, s3, s5
	s_and_not1_b32 exec_lo, exec_lo, s5
	s_cbranch_execnz .LBB95_9
.LBB95_10:
	s_or_b32 exec_lo, exec_lo, s4
	v_mov_b32_e32 v1, 0
	s_barrier
	buffer_gl0_inv
	ds_load_b32 v2, v1 offset:1024
	s_and_saveexec_b32 s3, s2
	s_cbranch_execz .LBB95_12
; %bb.11:
	s_lshl_b64 s[4:5], s[10:11], 2
	s_delay_alu instid0(SALU_CYCLE_1)
	s_add_u32 s4, s6, s4
	s_addc_u32 s5, s7, s5
	s_waitcnt lgkmcnt(0)
	global_store_b32 v1, v2, s[4:5]
.LBB95_12:
	s_or_b32 exec_lo, exec_lo, s3
	s_waitcnt lgkmcnt(0)
	v_cmp_ne_u32_e32 vcc_lo, 0, v2
	s_mov_b32 s3, 0
	s_cbranch_vccnz .LBB95_140
; %bb.13:
	v_add_nc_u32_e32 v14, 0, v13
                                        ; implicit-def: $vgpr9_vgpr10
	scratch_load_b128 v[1:4], v14, off
	s_waitcnt vmcnt(0)
	v_mov_b32_e32 v5, v1
	v_cmp_gt_f64_e32 vcc_lo, 0, v[1:2]
	v_xor_b32_e32 v6, 0x80000000, v2
	v_xor_b32_e32 v7, 0x80000000, v4
	s_delay_alu instid0(VALU_DEP_2) | instskip(SKIP_1) | instid1(VALU_DEP_3)
	v_cndmask_b32_e32 v6, v2, v6, vcc_lo
	v_cmp_gt_f64_e32 vcc_lo, 0, v[3:4]
	v_dual_cndmask_b32 v8, v4, v7 :: v_dual_mov_b32 v7, v3
	s_delay_alu instid0(VALU_DEP_1) | instskip(SKIP_1) | instid1(SALU_CYCLE_1)
	v_cmp_ngt_f64_e32 vcc_lo, v[5:6], v[7:8]
                                        ; implicit-def: $vgpr5_vgpr6
	s_and_saveexec_b32 s3, vcc_lo
	s_xor_b32 s3, exec_lo, s3
	s_cbranch_execz .LBB95_15
; %bb.14:
	v_div_scale_f64 v[5:6], null, v[3:4], v[3:4], v[1:2]
	v_div_scale_f64 v[11:12], vcc_lo, v[1:2], v[3:4], v[1:2]
	s_delay_alu instid0(VALU_DEP_2) | instskip(SKIP_2) | instid1(VALU_DEP_1)
	v_rcp_f64_e32 v[7:8], v[5:6]
	s_waitcnt_depctr 0xfff
	v_fma_f64 v[9:10], -v[5:6], v[7:8], 1.0
	v_fma_f64 v[7:8], v[7:8], v[9:10], v[7:8]
	s_delay_alu instid0(VALU_DEP_1) | instskip(NEXT) | instid1(VALU_DEP_1)
	v_fma_f64 v[9:10], -v[5:6], v[7:8], 1.0
	v_fma_f64 v[7:8], v[7:8], v[9:10], v[7:8]
	s_delay_alu instid0(VALU_DEP_1) | instskip(NEXT) | instid1(VALU_DEP_1)
	v_mul_f64 v[9:10], v[11:12], v[7:8]
	v_fma_f64 v[5:6], -v[5:6], v[9:10], v[11:12]
	s_delay_alu instid0(VALU_DEP_1) | instskip(NEXT) | instid1(VALU_DEP_1)
	v_div_fmas_f64 v[5:6], v[5:6], v[7:8], v[9:10]
	v_div_fixup_f64 v[5:6], v[5:6], v[3:4], v[1:2]
	s_delay_alu instid0(VALU_DEP_1) | instskip(NEXT) | instid1(VALU_DEP_1)
	v_fma_f64 v[1:2], v[1:2], v[5:6], v[3:4]
	v_div_scale_f64 v[3:4], null, v[1:2], v[1:2], 1.0
	v_div_scale_f64 v[11:12], vcc_lo, 1.0, v[1:2], 1.0
	s_delay_alu instid0(VALU_DEP_2) | instskip(SKIP_2) | instid1(VALU_DEP_1)
	v_rcp_f64_e32 v[7:8], v[3:4]
	s_waitcnt_depctr 0xfff
	v_fma_f64 v[9:10], -v[3:4], v[7:8], 1.0
	v_fma_f64 v[7:8], v[7:8], v[9:10], v[7:8]
	s_delay_alu instid0(VALU_DEP_1) | instskip(NEXT) | instid1(VALU_DEP_1)
	v_fma_f64 v[9:10], -v[3:4], v[7:8], 1.0
	v_fma_f64 v[7:8], v[7:8], v[9:10], v[7:8]
	s_delay_alu instid0(VALU_DEP_1) | instskip(NEXT) | instid1(VALU_DEP_1)
	v_mul_f64 v[9:10], v[11:12], v[7:8]
	v_fma_f64 v[3:4], -v[3:4], v[9:10], v[11:12]
	s_delay_alu instid0(VALU_DEP_1) | instskip(NEXT) | instid1(VALU_DEP_1)
	v_div_fmas_f64 v[3:4], v[3:4], v[7:8], v[9:10]
	v_div_fixup_f64 v[7:8], v[3:4], v[1:2], 1.0
                                        ; implicit-def: $vgpr1_vgpr2
	s_delay_alu instid0(VALU_DEP_1) | instskip(SKIP_1) | instid1(VALU_DEP_2)
	v_mul_f64 v[5:6], v[5:6], v[7:8]
	v_xor_b32_e32 v8, 0x80000000, v8
	v_xor_b32_e32 v10, 0x80000000, v6
	s_delay_alu instid0(VALU_DEP_3)
	v_mov_b32_e32 v9, v5
.LBB95_15:
	s_and_not1_saveexec_b32 s3, s3
	s_cbranch_execz .LBB95_17
; %bb.16:
	v_div_scale_f64 v[5:6], null, v[1:2], v[1:2], v[3:4]
	v_div_scale_f64 v[11:12], vcc_lo, v[3:4], v[1:2], v[3:4]
	s_delay_alu instid0(VALU_DEP_2) | instskip(SKIP_2) | instid1(VALU_DEP_1)
	v_rcp_f64_e32 v[7:8], v[5:6]
	s_waitcnt_depctr 0xfff
	v_fma_f64 v[9:10], -v[5:6], v[7:8], 1.0
	v_fma_f64 v[7:8], v[7:8], v[9:10], v[7:8]
	s_delay_alu instid0(VALU_DEP_1) | instskip(NEXT) | instid1(VALU_DEP_1)
	v_fma_f64 v[9:10], -v[5:6], v[7:8], 1.0
	v_fma_f64 v[7:8], v[7:8], v[9:10], v[7:8]
	s_delay_alu instid0(VALU_DEP_1) | instskip(NEXT) | instid1(VALU_DEP_1)
	v_mul_f64 v[9:10], v[11:12], v[7:8]
	v_fma_f64 v[5:6], -v[5:6], v[9:10], v[11:12]
	s_delay_alu instid0(VALU_DEP_1) | instskip(NEXT) | instid1(VALU_DEP_1)
	v_div_fmas_f64 v[5:6], v[5:6], v[7:8], v[9:10]
	v_div_fixup_f64 v[7:8], v[5:6], v[1:2], v[3:4]
	s_delay_alu instid0(VALU_DEP_1) | instskip(NEXT) | instid1(VALU_DEP_1)
	v_fma_f64 v[1:2], v[3:4], v[7:8], v[1:2]
	v_div_scale_f64 v[3:4], null, v[1:2], v[1:2], 1.0
	s_delay_alu instid0(VALU_DEP_1) | instskip(SKIP_2) | instid1(VALU_DEP_1)
	v_rcp_f64_e32 v[5:6], v[3:4]
	s_waitcnt_depctr 0xfff
	v_fma_f64 v[9:10], -v[3:4], v[5:6], 1.0
	v_fma_f64 v[5:6], v[5:6], v[9:10], v[5:6]
	s_delay_alu instid0(VALU_DEP_1) | instskip(NEXT) | instid1(VALU_DEP_1)
	v_fma_f64 v[9:10], -v[3:4], v[5:6], 1.0
	v_fma_f64 v[5:6], v[5:6], v[9:10], v[5:6]
	v_div_scale_f64 v[9:10], vcc_lo, 1.0, v[1:2], 1.0
	s_delay_alu instid0(VALU_DEP_1) | instskip(NEXT) | instid1(VALU_DEP_1)
	v_mul_f64 v[11:12], v[9:10], v[5:6]
	v_fma_f64 v[3:4], -v[3:4], v[11:12], v[9:10]
	s_delay_alu instid0(VALU_DEP_1) | instskip(NEXT) | instid1(VALU_DEP_1)
	v_div_fmas_f64 v[3:4], v[3:4], v[5:6], v[11:12]
	v_div_fixup_f64 v[5:6], v[3:4], v[1:2], 1.0
	s_delay_alu instid0(VALU_DEP_1)
	v_mul_f64 v[7:8], v[7:8], -v[5:6]
	v_xor_b32_e32 v10, 0x80000000, v6
	v_mov_b32_e32 v9, v5
.LBB95_17:
	s_or_b32 exec_lo, exec_lo, s3
	scratch_store_b128 v14, v[5:8], off
	scratch_load_b128 v[1:4], v110, off
	v_xor_b32_e32 v12, 0x80000000, v8
	v_mov_b32_e32 v11, v7
	v_add_nc_u32_e32 v5, 0x200, v13
	ds_store_b128 v13, v[9:12]
	s_waitcnt vmcnt(0)
	ds_store_b128 v13, v[1:4] offset:512
	s_waitcnt lgkmcnt(0)
	s_waitcnt_vscnt null, 0x0
	s_barrier
	buffer_gl0_inv
	s_and_saveexec_b32 s3, s2
	s_cbranch_execz .LBB95_19
; %bb.18:
	scratch_load_b128 v[1:4], v14, off
	ds_load_b128 v[6:9], v5
	v_mov_b32_e32 v10, 0
	ds_load_b128 v[15:18], v10 offset:16
	s_waitcnt vmcnt(0) lgkmcnt(1)
	v_mul_f64 v[10:11], v[6:7], v[3:4]
	v_mul_f64 v[3:4], v[8:9], v[3:4]
	s_delay_alu instid0(VALU_DEP_2) | instskip(NEXT) | instid1(VALU_DEP_2)
	v_fma_f64 v[8:9], v[8:9], v[1:2], v[10:11]
	v_fma_f64 v[1:2], v[6:7], v[1:2], -v[3:4]
	s_delay_alu instid0(VALU_DEP_2) | instskip(NEXT) | instid1(VALU_DEP_2)
	v_add_f64 v[3:4], v[8:9], 0
	v_add_f64 v[1:2], v[1:2], 0
	s_waitcnt lgkmcnt(0)
	s_delay_alu instid0(VALU_DEP_2) | instskip(NEXT) | instid1(VALU_DEP_2)
	v_mul_f64 v[6:7], v[3:4], v[17:18]
	v_mul_f64 v[8:9], v[1:2], v[17:18]
	s_delay_alu instid0(VALU_DEP_2) | instskip(NEXT) | instid1(VALU_DEP_2)
	v_fma_f64 v[1:2], v[1:2], v[15:16], -v[6:7]
	v_fma_f64 v[3:4], v[3:4], v[15:16], v[8:9]
	scratch_store_b128 off, v[1:4], off offset:16
.LBB95_19:
	s_or_b32 exec_lo, exec_lo, s3
	s_waitcnt_vscnt null, 0x0
	s_barrier
	buffer_gl0_inv
	scratch_load_b128 v[1:4], v108, off
	s_mov_b32 s3, exec_lo
	s_waitcnt vmcnt(0)
	ds_store_b128 v5, v[1:4]
	s_waitcnt lgkmcnt(0)
	s_barrier
	buffer_gl0_inv
	v_cmpx_gt_u32_e32 2, v106
	s_cbranch_execz .LBB95_23
; %bb.20:
	scratch_load_b128 v[1:4], v14, off
	ds_load_b128 v[6:9], v5
	s_waitcnt vmcnt(0) lgkmcnt(0)
	v_mul_f64 v[10:11], v[8:9], v[3:4]
	v_mul_f64 v[3:4], v[6:7], v[3:4]
	s_delay_alu instid0(VALU_DEP_2) | instskip(NEXT) | instid1(VALU_DEP_2)
	v_fma_f64 v[6:7], v[6:7], v[1:2], -v[10:11]
	v_fma_f64 v[3:4], v[8:9], v[1:2], v[3:4]
	s_delay_alu instid0(VALU_DEP_2) | instskip(NEXT) | instid1(VALU_DEP_2)
	v_add_f64 v[1:2], v[6:7], 0
	v_add_f64 v[3:4], v[3:4], 0
	s_and_saveexec_b32 s4, s2
	s_cbranch_execz .LBB95_22
; %bb.21:
	scratch_load_b128 v[6:9], off, off offset:16
	v_mov_b32_e32 v10, 0
	ds_load_b128 v[15:18], v10 offset:528
	s_waitcnt vmcnt(0) lgkmcnt(0)
	v_mul_f64 v[10:11], v[15:16], v[8:9]
	v_mul_f64 v[8:9], v[17:18], v[8:9]
	s_delay_alu instid0(VALU_DEP_2) | instskip(NEXT) | instid1(VALU_DEP_2)
	v_fma_f64 v[10:11], v[17:18], v[6:7], v[10:11]
	v_fma_f64 v[6:7], v[15:16], v[6:7], -v[8:9]
	s_delay_alu instid0(VALU_DEP_2) | instskip(NEXT) | instid1(VALU_DEP_2)
	v_add_f64 v[3:4], v[3:4], v[10:11]
	v_add_f64 v[1:2], v[1:2], v[6:7]
.LBB95_22:
	s_or_b32 exec_lo, exec_lo, s4
	v_mov_b32_e32 v6, 0
	ds_load_b128 v[6:9], v6 offset:32
	s_waitcnt lgkmcnt(0)
	v_mul_f64 v[10:11], v[3:4], v[8:9]
	v_mul_f64 v[8:9], v[1:2], v[8:9]
	s_delay_alu instid0(VALU_DEP_2) | instskip(NEXT) | instid1(VALU_DEP_2)
	v_fma_f64 v[1:2], v[1:2], v[6:7], -v[10:11]
	v_fma_f64 v[3:4], v[3:4], v[6:7], v[8:9]
	scratch_store_b128 off, v[1:4], off offset:32
.LBB95_23:
	s_or_b32 exec_lo, exec_lo, s3
	s_waitcnt_vscnt null, 0x0
	s_barrier
	buffer_gl0_inv
	scratch_load_b128 v[1:4], v109, off
	v_add_nc_u32_e32 v6, -1, v106
	s_mov_b32 s2, exec_lo
	s_waitcnt vmcnt(0)
	ds_store_b128 v5, v[1:4]
	s_waitcnt lgkmcnt(0)
	s_barrier
	buffer_gl0_inv
	v_cmpx_gt_u32_e32 3, v106
	s_cbranch_execz .LBB95_27
; %bb.24:
	v_dual_mov_b32 v1, 0 :: v_dual_add_nc_u32 v8, 0x200, v13
	v_dual_mov_b32 v2, 0 :: v_dual_add_nc_u32 v7, -1, v106
	v_or_b32_e32 v9, 8, v14
	s_mov_b32 s3, 0
	s_delay_alu instid0(VALU_DEP_2)
	v_dual_mov_b32 v4, v2 :: v_dual_mov_b32 v3, v1
	.p2align	6
.LBB95_25:                              ; =>This Inner Loop Header: Depth=1
	scratch_load_b128 v[15:18], v9, off offset:-8
	ds_load_b128 v[19:22], v8
	v_add_nc_u32_e32 v7, 1, v7
	v_add_nc_u32_e32 v8, 16, v8
	;; [unrolled: 1-line block ×3, first 2 shown]
	s_delay_alu instid0(VALU_DEP_3) | instskip(SKIP_4) | instid1(VALU_DEP_2)
	v_cmp_lt_u32_e32 vcc_lo, 1, v7
	s_or_b32 s3, vcc_lo, s3
	s_waitcnt vmcnt(0) lgkmcnt(0)
	v_mul_f64 v[10:11], v[21:22], v[17:18]
	v_mul_f64 v[17:18], v[19:20], v[17:18]
	v_fma_f64 v[10:11], v[19:20], v[15:16], -v[10:11]
	s_delay_alu instid0(VALU_DEP_2) | instskip(NEXT) | instid1(VALU_DEP_2)
	v_fma_f64 v[15:16], v[21:22], v[15:16], v[17:18]
	v_add_f64 v[3:4], v[3:4], v[10:11]
	s_delay_alu instid0(VALU_DEP_2)
	v_add_f64 v[1:2], v[1:2], v[15:16]
	s_and_not1_b32 exec_lo, exec_lo, s3
	s_cbranch_execnz .LBB95_25
; %bb.26:
	s_or_b32 exec_lo, exec_lo, s3
	v_mov_b32_e32 v7, 0
	ds_load_b128 v[7:10], v7 offset:48
	s_waitcnt lgkmcnt(0)
	v_mul_f64 v[11:12], v[1:2], v[9:10]
	v_mul_f64 v[15:16], v[3:4], v[9:10]
	s_delay_alu instid0(VALU_DEP_2) | instskip(NEXT) | instid1(VALU_DEP_2)
	v_fma_f64 v[9:10], v[3:4], v[7:8], -v[11:12]
	v_fma_f64 v[11:12], v[1:2], v[7:8], v[15:16]
	scratch_store_b128 off, v[9:12], off offset:48
.LBB95_27:
	s_or_b32 exec_lo, exec_lo, s2
	s_waitcnt_vscnt null, 0x0
	s_barrier
	buffer_gl0_inv
	scratch_load_b128 v[1:4], v107, off
	s_mov_b32 s2, exec_lo
	s_waitcnt vmcnt(0)
	ds_store_b128 v5, v[1:4]
	s_waitcnt lgkmcnt(0)
	s_barrier
	buffer_gl0_inv
	v_cmpx_gt_u32_e32 4, v106
	s_cbranch_execz .LBB95_31
; %bb.28:
	v_dual_mov_b32 v1, 0 :: v_dual_add_nc_u32 v8, 0x200, v13
	v_dual_mov_b32 v2, 0 :: v_dual_add_nc_u32 v7, -1, v106
	v_or_b32_e32 v9, 8, v14
	s_mov_b32 s3, 0
	s_delay_alu instid0(VALU_DEP_2)
	v_dual_mov_b32 v4, v2 :: v_dual_mov_b32 v3, v1
	.p2align	6
.LBB95_29:                              ; =>This Inner Loop Header: Depth=1
	scratch_load_b128 v[15:18], v9, off offset:-8
	ds_load_b128 v[19:22], v8
	v_add_nc_u32_e32 v7, 1, v7
	v_add_nc_u32_e32 v8, 16, v8
	;; [unrolled: 1-line block ×3, first 2 shown]
	s_delay_alu instid0(VALU_DEP_3) | instskip(SKIP_4) | instid1(VALU_DEP_2)
	v_cmp_lt_u32_e32 vcc_lo, 2, v7
	s_or_b32 s3, vcc_lo, s3
	s_waitcnt vmcnt(0) lgkmcnt(0)
	v_mul_f64 v[10:11], v[21:22], v[17:18]
	v_mul_f64 v[17:18], v[19:20], v[17:18]
	v_fma_f64 v[10:11], v[19:20], v[15:16], -v[10:11]
	s_delay_alu instid0(VALU_DEP_2) | instskip(NEXT) | instid1(VALU_DEP_2)
	v_fma_f64 v[15:16], v[21:22], v[15:16], v[17:18]
	v_add_f64 v[3:4], v[3:4], v[10:11]
	s_delay_alu instid0(VALU_DEP_2)
	v_add_f64 v[1:2], v[1:2], v[15:16]
	s_and_not1_b32 exec_lo, exec_lo, s3
	s_cbranch_execnz .LBB95_29
; %bb.30:
	s_or_b32 exec_lo, exec_lo, s3
	v_mov_b32_e32 v7, 0
	ds_load_b128 v[7:10], v7 offset:64
	s_waitcnt lgkmcnt(0)
	v_mul_f64 v[11:12], v[1:2], v[9:10]
	v_mul_f64 v[15:16], v[3:4], v[9:10]
	s_delay_alu instid0(VALU_DEP_2) | instskip(NEXT) | instid1(VALU_DEP_2)
	v_fma_f64 v[9:10], v[3:4], v[7:8], -v[11:12]
	v_fma_f64 v[11:12], v[1:2], v[7:8], v[15:16]
	scratch_store_b128 off, v[9:12], off offset:64
.LBB95_31:
	s_or_b32 exec_lo, exec_lo, s2
	s_waitcnt_vscnt null, 0x0
	s_barrier
	buffer_gl0_inv
	scratch_load_b128 v[1:4], v133, off
	s_mov_b32 s2, exec_lo
	s_waitcnt vmcnt(0)
	ds_store_b128 v5, v[1:4]
	s_waitcnt lgkmcnt(0)
	s_barrier
	buffer_gl0_inv
	v_cmpx_gt_u32_e32 5, v106
	s_cbranch_execz .LBB95_35
; %bb.32:
	v_dual_mov_b32 v1, 0 :: v_dual_add_nc_u32 v8, 0x200, v13
	v_dual_mov_b32 v2, 0 :: v_dual_add_nc_u32 v7, -1, v106
	v_or_b32_e32 v9, 8, v14
	s_mov_b32 s3, 0
	s_delay_alu instid0(VALU_DEP_2)
	v_dual_mov_b32 v4, v2 :: v_dual_mov_b32 v3, v1
	.p2align	6
.LBB95_33:                              ; =>This Inner Loop Header: Depth=1
	scratch_load_b128 v[15:18], v9, off offset:-8
	ds_load_b128 v[19:22], v8
	v_add_nc_u32_e32 v7, 1, v7
	v_add_nc_u32_e32 v8, 16, v8
	v_add_nc_u32_e32 v9, 16, v9
	s_delay_alu instid0(VALU_DEP_3) | instskip(SKIP_4) | instid1(VALU_DEP_2)
	v_cmp_lt_u32_e32 vcc_lo, 3, v7
	s_or_b32 s3, vcc_lo, s3
	s_waitcnt vmcnt(0) lgkmcnt(0)
	v_mul_f64 v[10:11], v[21:22], v[17:18]
	v_mul_f64 v[17:18], v[19:20], v[17:18]
	v_fma_f64 v[10:11], v[19:20], v[15:16], -v[10:11]
	s_delay_alu instid0(VALU_DEP_2) | instskip(NEXT) | instid1(VALU_DEP_2)
	v_fma_f64 v[15:16], v[21:22], v[15:16], v[17:18]
	v_add_f64 v[3:4], v[3:4], v[10:11]
	s_delay_alu instid0(VALU_DEP_2)
	v_add_f64 v[1:2], v[1:2], v[15:16]
	s_and_not1_b32 exec_lo, exec_lo, s3
	s_cbranch_execnz .LBB95_33
; %bb.34:
	s_or_b32 exec_lo, exec_lo, s3
	v_mov_b32_e32 v7, 0
	ds_load_b128 v[7:10], v7 offset:80
	s_waitcnt lgkmcnt(0)
	v_mul_f64 v[11:12], v[1:2], v[9:10]
	v_mul_f64 v[15:16], v[3:4], v[9:10]
	s_delay_alu instid0(VALU_DEP_2) | instskip(NEXT) | instid1(VALU_DEP_2)
	v_fma_f64 v[9:10], v[3:4], v[7:8], -v[11:12]
	v_fma_f64 v[11:12], v[1:2], v[7:8], v[15:16]
	scratch_store_b128 off, v[9:12], off offset:80
.LBB95_35:
	s_or_b32 exec_lo, exec_lo, s2
	s_waitcnt_vscnt null, 0x0
	s_barrier
	buffer_gl0_inv
	scratch_load_b128 v[1:4], v131, off
	s_mov_b32 s2, exec_lo
	s_waitcnt vmcnt(0)
	ds_store_b128 v5, v[1:4]
	s_waitcnt lgkmcnt(0)
	s_barrier
	buffer_gl0_inv
	v_cmpx_gt_u32_e32 6, v106
	s_cbranch_execz .LBB95_39
; %bb.36:
	v_dual_mov_b32 v1, 0 :: v_dual_add_nc_u32 v8, 0x200, v13
	v_dual_mov_b32 v2, 0 :: v_dual_add_nc_u32 v7, -1, v106
	v_or_b32_e32 v9, 8, v14
	s_mov_b32 s3, 0
	s_delay_alu instid0(VALU_DEP_2)
	v_dual_mov_b32 v4, v2 :: v_dual_mov_b32 v3, v1
	.p2align	6
.LBB95_37:                              ; =>This Inner Loop Header: Depth=1
	scratch_load_b128 v[15:18], v9, off offset:-8
	ds_load_b128 v[19:22], v8
	v_add_nc_u32_e32 v7, 1, v7
	v_add_nc_u32_e32 v8, 16, v8
	;; [unrolled: 1-line block ×3, first 2 shown]
	s_delay_alu instid0(VALU_DEP_3) | instskip(SKIP_4) | instid1(VALU_DEP_2)
	v_cmp_lt_u32_e32 vcc_lo, 4, v7
	s_or_b32 s3, vcc_lo, s3
	s_waitcnt vmcnt(0) lgkmcnt(0)
	v_mul_f64 v[10:11], v[21:22], v[17:18]
	v_mul_f64 v[17:18], v[19:20], v[17:18]
	v_fma_f64 v[10:11], v[19:20], v[15:16], -v[10:11]
	s_delay_alu instid0(VALU_DEP_2) | instskip(NEXT) | instid1(VALU_DEP_2)
	v_fma_f64 v[15:16], v[21:22], v[15:16], v[17:18]
	v_add_f64 v[3:4], v[3:4], v[10:11]
	s_delay_alu instid0(VALU_DEP_2)
	v_add_f64 v[1:2], v[1:2], v[15:16]
	s_and_not1_b32 exec_lo, exec_lo, s3
	s_cbranch_execnz .LBB95_37
; %bb.38:
	s_or_b32 exec_lo, exec_lo, s3
	v_mov_b32_e32 v7, 0
	ds_load_b128 v[7:10], v7 offset:96
	s_waitcnt lgkmcnt(0)
	v_mul_f64 v[11:12], v[1:2], v[9:10]
	v_mul_f64 v[15:16], v[3:4], v[9:10]
	s_delay_alu instid0(VALU_DEP_2) | instskip(NEXT) | instid1(VALU_DEP_2)
	v_fma_f64 v[9:10], v[3:4], v[7:8], -v[11:12]
	v_fma_f64 v[11:12], v[1:2], v[7:8], v[15:16]
	scratch_store_b128 off, v[9:12], off offset:96
.LBB95_39:
	s_or_b32 exec_lo, exec_lo, s2
	s_waitcnt_vscnt null, 0x0
	s_barrier
	buffer_gl0_inv
	scratch_load_b128 v[1:4], v132, off
	s_mov_b32 s2, exec_lo
	s_waitcnt vmcnt(0)
	ds_store_b128 v5, v[1:4]
	s_waitcnt lgkmcnt(0)
	s_barrier
	buffer_gl0_inv
	v_cmpx_gt_u32_e32 7, v106
	s_cbranch_execz .LBB95_43
; %bb.40:
	v_dual_mov_b32 v1, 0 :: v_dual_add_nc_u32 v8, 0x200, v13
	v_dual_mov_b32 v2, 0 :: v_dual_add_nc_u32 v7, -1, v106
	v_or_b32_e32 v9, 8, v14
	s_mov_b32 s3, 0
	s_delay_alu instid0(VALU_DEP_2)
	v_dual_mov_b32 v4, v2 :: v_dual_mov_b32 v3, v1
	.p2align	6
.LBB95_41:                              ; =>This Inner Loop Header: Depth=1
	scratch_load_b128 v[15:18], v9, off offset:-8
	ds_load_b128 v[19:22], v8
	v_add_nc_u32_e32 v7, 1, v7
	v_add_nc_u32_e32 v8, 16, v8
	;; [unrolled: 1-line block ×3, first 2 shown]
	s_delay_alu instid0(VALU_DEP_3) | instskip(SKIP_4) | instid1(VALU_DEP_2)
	v_cmp_lt_u32_e32 vcc_lo, 5, v7
	s_or_b32 s3, vcc_lo, s3
	s_waitcnt vmcnt(0) lgkmcnt(0)
	v_mul_f64 v[10:11], v[21:22], v[17:18]
	v_mul_f64 v[17:18], v[19:20], v[17:18]
	v_fma_f64 v[10:11], v[19:20], v[15:16], -v[10:11]
	s_delay_alu instid0(VALU_DEP_2) | instskip(NEXT) | instid1(VALU_DEP_2)
	v_fma_f64 v[15:16], v[21:22], v[15:16], v[17:18]
	v_add_f64 v[3:4], v[3:4], v[10:11]
	s_delay_alu instid0(VALU_DEP_2)
	v_add_f64 v[1:2], v[1:2], v[15:16]
	s_and_not1_b32 exec_lo, exec_lo, s3
	s_cbranch_execnz .LBB95_41
; %bb.42:
	s_or_b32 exec_lo, exec_lo, s3
	v_mov_b32_e32 v7, 0
	ds_load_b128 v[7:10], v7 offset:112
	s_waitcnt lgkmcnt(0)
	v_mul_f64 v[11:12], v[1:2], v[9:10]
	v_mul_f64 v[15:16], v[3:4], v[9:10]
	s_delay_alu instid0(VALU_DEP_2) | instskip(NEXT) | instid1(VALU_DEP_2)
	v_fma_f64 v[9:10], v[3:4], v[7:8], -v[11:12]
	v_fma_f64 v[11:12], v[1:2], v[7:8], v[15:16]
	scratch_store_b128 off, v[9:12], off offset:112
.LBB95_43:
	s_or_b32 exec_lo, exec_lo, s2
	s_waitcnt_vscnt null, 0x0
	s_barrier
	buffer_gl0_inv
	scratch_load_b128 v[1:4], v130, off
	s_mov_b32 s2, exec_lo
	s_waitcnt vmcnt(0)
	ds_store_b128 v5, v[1:4]
	s_waitcnt lgkmcnt(0)
	s_barrier
	buffer_gl0_inv
	v_cmpx_gt_u32_e32 8, v106
	s_cbranch_execz .LBB95_47
; %bb.44:
	v_dual_mov_b32 v1, 0 :: v_dual_add_nc_u32 v8, 0x200, v13
	v_dual_mov_b32 v2, 0 :: v_dual_add_nc_u32 v7, -1, v106
	v_or_b32_e32 v9, 8, v14
	s_mov_b32 s3, 0
	s_delay_alu instid0(VALU_DEP_2)
	v_dual_mov_b32 v4, v2 :: v_dual_mov_b32 v3, v1
	.p2align	6
.LBB95_45:                              ; =>This Inner Loop Header: Depth=1
	scratch_load_b128 v[15:18], v9, off offset:-8
	ds_load_b128 v[19:22], v8
	v_add_nc_u32_e32 v7, 1, v7
	v_add_nc_u32_e32 v8, 16, v8
	;; [unrolled: 1-line block ×3, first 2 shown]
	s_delay_alu instid0(VALU_DEP_3) | instskip(SKIP_4) | instid1(VALU_DEP_2)
	v_cmp_lt_u32_e32 vcc_lo, 6, v7
	s_or_b32 s3, vcc_lo, s3
	s_waitcnt vmcnt(0) lgkmcnt(0)
	v_mul_f64 v[10:11], v[21:22], v[17:18]
	v_mul_f64 v[17:18], v[19:20], v[17:18]
	v_fma_f64 v[10:11], v[19:20], v[15:16], -v[10:11]
	s_delay_alu instid0(VALU_DEP_2) | instskip(NEXT) | instid1(VALU_DEP_2)
	v_fma_f64 v[15:16], v[21:22], v[15:16], v[17:18]
	v_add_f64 v[3:4], v[3:4], v[10:11]
	s_delay_alu instid0(VALU_DEP_2)
	v_add_f64 v[1:2], v[1:2], v[15:16]
	s_and_not1_b32 exec_lo, exec_lo, s3
	s_cbranch_execnz .LBB95_45
; %bb.46:
	s_or_b32 exec_lo, exec_lo, s3
	v_mov_b32_e32 v7, 0
	ds_load_b128 v[7:10], v7 offset:128
	s_waitcnt lgkmcnt(0)
	v_mul_f64 v[11:12], v[1:2], v[9:10]
	v_mul_f64 v[15:16], v[3:4], v[9:10]
	s_delay_alu instid0(VALU_DEP_2) | instskip(NEXT) | instid1(VALU_DEP_2)
	v_fma_f64 v[9:10], v[3:4], v[7:8], -v[11:12]
	v_fma_f64 v[11:12], v[1:2], v[7:8], v[15:16]
	scratch_store_b128 off, v[9:12], off offset:128
.LBB95_47:
	s_or_b32 exec_lo, exec_lo, s2
	s_waitcnt_vscnt null, 0x0
	s_barrier
	buffer_gl0_inv
	scratch_load_b128 v[1:4], v129, off
	s_mov_b32 s2, exec_lo
	s_waitcnt vmcnt(0)
	ds_store_b128 v5, v[1:4]
	s_waitcnt lgkmcnt(0)
	s_barrier
	buffer_gl0_inv
	v_cmpx_gt_u32_e32 9, v106
	s_cbranch_execz .LBB95_51
; %bb.48:
	v_dual_mov_b32 v1, 0 :: v_dual_add_nc_u32 v8, 0x200, v13
	v_dual_mov_b32 v2, 0 :: v_dual_add_nc_u32 v7, -1, v106
	v_or_b32_e32 v9, 8, v14
	s_mov_b32 s3, 0
	s_delay_alu instid0(VALU_DEP_2)
	v_dual_mov_b32 v4, v2 :: v_dual_mov_b32 v3, v1
	.p2align	6
.LBB95_49:                              ; =>This Inner Loop Header: Depth=1
	scratch_load_b128 v[15:18], v9, off offset:-8
	ds_load_b128 v[19:22], v8
	v_add_nc_u32_e32 v7, 1, v7
	v_add_nc_u32_e32 v8, 16, v8
	;; [unrolled: 1-line block ×3, first 2 shown]
	s_delay_alu instid0(VALU_DEP_3) | instskip(SKIP_4) | instid1(VALU_DEP_2)
	v_cmp_lt_u32_e32 vcc_lo, 7, v7
	s_or_b32 s3, vcc_lo, s3
	s_waitcnt vmcnt(0) lgkmcnt(0)
	v_mul_f64 v[10:11], v[21:22], v[17:18]
	v_mul_f64 v[17:18], v[19:20], v[17:18]
	v_fma_f64 v[10:11], v[19:20], v[15:16], -v[10:11]
	s_delay_alu instid0(VALU_DEP_2) | instskip(NEXT) | instid1(VALU_DEP_2)
	v_fma_f64 v[15:16], v[21:22], v[15:16], v[17:18]
	v_add_f64 v[3:4], v[3:4], v[10:11]
	s_delay_alu instid0(VALU_DEP_2)
	v_add_f64 v[1:2], v[1:2], v[15:16]
	s_and_not1_b32 exec_lo, exec_lo, s3
	s_cbranch_execnz .LBB95_49
; %bb.50:
	s_or_b32 exec_lo, exec_lo, s3
	v_mov_b32_e32 v7, 0
	ds_load_b128 v[7:10], v7 offset:144
	s_waitcnt lgkmcnt(0)
	v_mul_f64 v[11:12], v[1:2], v[9:10]
	v_mul_f64 v[15:16], v[3:4], v[9:10]
	s_delay_alu instid0(VALU_DEP_2) | instskip(NEXT) | instid1(VALU_DEP_2)
	v_fma_f64 v[9:10], v[3:4], v[7:8], -v[11:12]
	v_fma_f64 v[11:12], v[1:2], v[7:8], v[15:16]
	scratch_store_b128 off, v[9:12], off offset:144
.LBB95_51:
	s_or_b32 exec_lo, exec_lo, s2
	s_waitcnt_vscnt null, 0x0
	s_barrier
	buffer_gl0_inv
	scratch_load_b128 v[1:4], v127, off
	s_mov_b32 s2, exec_lo
	s_waitcnt vmcnt(0)
	ds_store_b128 v5, v[1:4]
	s_waitcnt lgkmcnt(0)
	s_barrier
	buffer_gl0_inv
	v_cmpx_gt_u32_e32 10, v106
	s_cbranch_execz .LBB95_55
; %bb.52:
	v_dual_mov_b32 v1, 0 :: v_dual_add_nc_u32 v8, 0x200, v13
	v_dual_mov_b32 v2, 0 :: v_dual_add_nc_u32 v7, -1, v106
	v_or_b32_e32 v9, 8, v14
	s_mov_b32 s3, 0
	s_delay_alu instid0(VALU_DEP_2)
	v_dual_mov_b32 v4, v2 :: v_dual_mov_b32 v3, v1
	.p2align	6
.LBB95_53:                              ; =>This Inner Loop Header: Depth=1
	scratch_load_b128 v[15:18], v9, off offset:-8
	ds_load_b128 v[19:22], v8
	v_add_nc_u32_e32 v7, 1, v7
	v_add_nc_u32_e32 v8, 16, v8
	;; [unrolled: 1-line block ×3, first 2 shown]
	s_delay_alu instid0(VALU_DEP_3) | instskip(SKIP_4) | instid1(VALU_DEP_2)
	v_cmp_lt_u32_e32 vcc_lo, 8, v7
	s_or_b32 s3, vcc_lo, s3
	s_waitcnt vmcnt(0) lgkmcnt(0)
	v_mul_f64 v[10:11], v[21:22], v[17:18]
	v_mul_f64 v[17:18], v[19:20], v[17:18]
	v_fma_f64 v[10:11], v[19:20], v[15:16], -v[10:11]
	s_delay_alu instid0(VALU_DEP_2) | instskip(NEXT) | instid1(VALU_DEP_2)
	v_fma_f64 v[15:16], v[21:22], v[15:16], v[17:18]
	v_add_f64 v[3:4], v[3:4], v[10:11]
	s_delay_alu instid0(VALU_DEP_2)
	v_add_f64 v[1:2], v[1:2], v[15:16]
	s_and_not1_b32 exec_lo, exec_lo, s3
	s_cbranch_execnz .LBB95_53
; %bb.54:
	s_or_b32 exec_lo, exec_lo, s3
	v_mov_b32_e32 v7, 0
	ds_load_b128 v[7:10], v7 offset:160
	s_waitcnt lgkmcnt(0)
	v_mul_f64 v[11:12], v[1:2], v[9:10]
	v_mul_f64 v[15:16], v[3:4], v[9:10]
	s_delay_alu instid0(VALU_DEP_2) | instskip(NEXT) | instid1(VALU_DEP_2)
	v_fma_f64 v[9:10], v[3:4], v[7:8], -v[11:12]
	v_fma_f64 v[11:12], v[1:2], v[7:8], v[15:16]
	scratch_store_b128 off, v[9:12], off offset:160
.LBB95_55:
	s_or_b32 exec_lo, exec_lo, s2
	s_waitcnt_vscnt null, 0x0
	s_barrier
	buffer_gl0_inv
	scratch_load_b128 v[1:4], v128, off
	s_mov_b32 s2, exec_lo
	s_waitcnt vmcnt(0)
	ds_store_b128 v5, v[1:4]
	s_waitcnt lgkmcnt(0)
	s_barrier
	buffer_gl0_inv
	v_cmpx_gt_u32_e32 11, v106
	s_cbranch_execz .LBB95_59
; %bb.56:
	v_dual_mov_b32 v1, 0 :: v_dual_add_nc_u32 v8, 0x200, v13
	v_dual_mov_b32 v2, 0 :: v_dual_add_nc_u32 v7, -1, v106
	v_or_b32_e32 v9, 8, v14
	s_mov_b32 s3, 0
	s_delay_alu instid0(VALU_DEP_2)
	v_dual_mov_b32 v4, v2 :: v_dual_mov_b32 v3, v1
	.p2align	6
.LBB95_57:                              ; =>This Inner Loop Header: Depth=1
	scratch_load_b128 v[15:18], v9, off offset:-8
	ds_load_b128 v[19:22], v8
	v_add_nc_u32_e32 v7, 1, v7
	v_add_nc_u32_e32 v8, 16, v8
	;; [unrolled: 1-line block ×3, first 2 shown]
	s_delay_alu instid0(VALU_DEP_3) | instskip(SKIP_4) | instid1(VALU_DEP_2)
	v_cmp_lt_u32_e32 vcc_lo, 9, v7
	s_or_b32 s3, vcc_lo, s3
	s_waitcnt vmcnt(0) lgkmcnt(0)
	v_mul_f64 v[10:11], v[21:22], v[17:18]
	v_mul_f64 v[17:18], v[19:20], v[17:18]
	v_fma_f64 v[10:11], v[19:20], v[15:16], -v[10:11]
	s_delay_alu instid0(VALU_DEP_2) | instskip(NEXT) | instid1(VALU_DEP_2)
	v_fma_f64 v[15:16], v[21:22], v[15:16], v[17:18]
	v_add_f64 v[3:4], v[3:4], v[10:11]
	s_delay_alu instid0(VALU_DEP_2)
	v_add_f64 v[1:2], v[1:2], v[15:16]
	s_and_not1_b32 exec_lo, exec_lo, s3
	s_cbranch_execnz .LBB95_57
; %bb.58:
	s_or_b32 exec_lo, exec_lo, s3
	v_mov_b32_e32 v7, 0
	ds_load_b128 v[7:10], v7 offset:176
	s_waitcnt lgkmcnt(0)
	v_mul_f64 v[11:12], v[1:2], v[9:10]
	v_mul_f64 v[15:16], v[3:4], v[9:10]
	s_delay_alu instid0(VALU_DEP_2) | instskip(NEXT) | instid1(VALU_DEP_2)
	v_fma_f64 v[9:10], v[3:4], v[7:8], -v[11:12]
	v_fma_f64 v[11:12], v[1:2], v[7:8], v[15:16]
	scratch_store_b128 off, v[9:12], off offset:176
.LBB95_59:
	s_or_b32 exec_lo, exec_lo, s2
	s_waitcnt_vscnt null, 0x0
	s_barrier
	buffer_gl0_inv
	scratch_load_b128 v[1:4], v126, off
	s_mov_b32 s2, exec_lo
	s_waitcnt vmcnt(0)
	ds_store_b128 v5, v[1:4]
	s_waitcnt lgkmcnt(0)
	s_barrier
	buffer_gl0_inv
	v_cmpx_gt_u32_e32 12, v106
	s_cbranch_execz .LBB95_63
; %bb.60:
	v_dual_mov_b32 v1, 0 :: v_dual_add_nc_u32 v8, 0x200, v13
	v_dual_mov_b32 v2, 0 :: v_dual_add_nc_u32 v7, -1, v106
	v_or_b32_e32 v9, 8, v14
	s_mov_b32 s3, 0
	s_delay_alu instid0(VALU_DEP_2)
	v_dual_mov_b32 v4, v2 :: v_dual_mov_b32 v3, v1
	.p2align	6
.LBB95_61:                              ; =>This Inner Loop Header: Depth=1
	scratch_load_b128 v[15:18], v9, off offset:-8
	ds_load_b128 v[19:22], v8
	v_add_nc_u32_e32 v7, 1, v7
	v_add_nc_u32_e32 v8, 16, v8
	;; [unrolled: 1-line block ×3, first 2 shown]
	s_delay_alu instid0(VALU_DEP_3) | instskip(SKIP_4) | instid1(VALU_DEP_2)
	v_cmp_lt_u32_e32 vcc_lo, 10, v7
	s_or_b32 s3, vcc_lo, s3
	s_waitcnt vmcnt(0) lgkmcnt(0)
	v_mul_f64 v[10:11], v[21:22], v[17:18]
	v_mul_f64 v[17:18], v[19:20], v[17:18]
	v_fma_f64 v[10:11], v[19:20], v[15:16], -v[10:11]
	s_delay_alu instid0(VALU_DEP_2) | instskip(NEXT) | instid1(VALU_DEP_2)
	v_fma_f64 v[15:16], v[21:22], v[15:16], v[17:18]
	v_add_f64 v[3:4], v[3:4], v[10:11]
	s_delay_alu instid0(VALU_DEP_2)
	v_add_f64 v[1:2], v[1:2], v[15:16]
	s_and_not1_b32 exec_lo, exec_lo, s3
	s_cbranch_execnz .LBB95_61
; %bb.62:
	s_or_b32 exec_lo, exec_lo, s3
	v_mov_b32_e32 v7, 0
	ds_load_b128 v[7:10], v7 offset:192
	s_waitcnt lgkmcnt(0)
	v_mul_f64 v[11:12], v[1:2], v[9:10]
	v_mul_f64 v[15:16], v[3:4], v[9:10]
	s_delay_alu instid0(VALU_DEP_2) | instskip(NEXT) | instid1(VALU_DEP_2)
	v_fma_f64 v[9:10], v[3:4], v[7:8], -v[11:12]
	v_fma_f64 v[11:12], v[1:2], v[7:8], v[15:16]
	scratch_store_b128 off, v[9:12], off offset:192
.LBB95_63:
	s_or_b32 exec_lo, exec_lo, s2
	s_waitcnt_vscnt null, 0x0
	s_barrier
	buffer_gl0_inv
	scratch_load_b128 v[1:4], v125, off
	s_mov_b32 s2, exec_lo
	s_waitcnt vmcnt(0)
	ds_store_b128 v5, v[1:4]
	s_waitcnt lgkmcnt(0)
	s_barrier
	buffer_gl0_inv
	v_cmpx_gt_u32_e32 13, v106
	s_cbranch_execz .LBB95_67
; %bb.64:
	v_dual_mov_b32 v1, 0 :: v_dual_add_nc_u32 v8, 0x200, v13
	v_dual_mov_b32 v2, 0 :: v_dual_add_nc_u32 v7, -1, v106
	v_or_b32_e32 v9, 8, v14
	s_mov_b32 s3, 0
	s_delay_alu instid0(VALU_DEP_2)
	v_dual_mov_b32 v4, v2 :: v_dual_mov_b32 v3, v1
	.p2align	6
.LBB95_65:                              ; =>This Inner Loop Header: Depth=1
	scratch_load_b128 v[15:18], v9, off offset:-8
	ds_load_b128 v[19:22], v8
	v_add_nc_u32_e32 v7, 1, v7
	v_add_nc_u32_e32 v8, 16, v8
	;; [unrolled: 1-line block ×3, first 2 shown]
	s_delay_alu instid0(VALU_DEP_3) | instskip(SKIP_4) | instid1(VALU_DEP_2)
	v_cmp_lt_u32_e32 vcc_lo, 11, v7
	s_or_b32 s3, vcc_lo, s3
	s_waitcnt vmcnt(0) lgkmcnt(0)
	v_mul_f64 v[10:11], v[21:22], v[17:18]
	v_mul_f64 v[17:18], v[19:20], v[17:18]
	v_fma_f64 v[10:11], v[19:20], v[15:16], -v[10:11]
	s_delay_alu instid0(VALU_DEP_2) | instskip(NEXT) | instid1(VALU_DEP_2)
	v_fma_f64 v[15:16], v[21:22], v[15:16], v[17:18]
	v_add_f64 v[3:4], v[3:4], v[10:11]
	s_delay_alu instid0(VALU_DEP_2)
	v_add_f64 v[1:2], v[1:2], v[15:16]
	s_and_not1_b32 exec_lo, exec_lo, s3
	s_cbranch_execnz .LBB95_65
; %bb.66:
	s_or_b32 exec_lo, exec_lo, s3
	v_mov_b32_e32 v7, 0
	ds_load_b128 v[7:10], v7 offset:208
	s_waitcnt lgkmcnt(0)
	v_mul_f64 v[11:12], v[1:2], v[9:10]
	v_mul_f64 v[15:16], v[3:4], v[9:10]
	s_delay_alu instid0(VALU_DEP_2) | instskip(NEXT) | instid1(VALU_DEP_2)
	v_fma_f64 v[9:10], v[3:4], v[7:8], -v[11:12]
	v_fma_f64 v[11:12], v[1:2], v[7:8], v[15:16]
	scratch_store_b128 off, v[9:12], off offset:208
.LBB95_67:
	s_or_b32 exec_lo, exec_lo, s2
	s_waitcnt_vscnt null, 0x0
	s_barrier
	buffer_gl0_inv
	scratch_load_b128 v[1:4], v123, off
	s_mov_b32 s2, exec_lo
	s_waitcnt vmcnt(0)
	ds_store_b128 v5, v[1:4]
	s_waitcnt lgkmcnt(0)
	s_barrier
	buffer_gl0_inv
	v_cmpx_gt_u32_e32 14, v106
	s_cbranch_execz .LBB95_71
; %bb.68:
	v_dual_mov_b32 v1, 0 :: v_dual_add_nc_u32 v8, 0x200, v13
	v_dual_mov_b32 v2, 0 :: v_dual_add_nc_u32 v7, -1, v106
	v_or_b32_e32 v9, 8, v14
	s_mov_b32 s3, 0
	s_delay_alu instid0(VALU_DEP_2)
	v_dual_mov_b32 v4, v2 :: v_dual_mov_b32 v3, v1
	.p2align	6
.LBB95_69:                              ; =>This Inner Loop Header: Depth=1
	scratch_load_b128 v[15:18], v9, off offset:-8
	ds_load_b128 v[19:22], v8
	v_add_nc_u32_e32 v7, 1, v7
	v_add_nc_u32_e32 v8, 16, v8
	;; [unrolled: 1-line block ×3, first 2 shown]
	s_delay_alu instid0(VALU_DEP_3) | instskip(SKIP_4) | instid1(VALU_DEP_2)
	v_cmp_lt_u32_e32 vcc_lo, 12, v7
	s_or_b32 s3, vcc_lo, s3
	s_waitcnt vmcnt(0) lgkmcnt(0)
	v_mul_f64 v[10:11], v[21:22], v[17:18]
	v_mul_f64 v[17:18], v[19:20], v[17:18]
	v_fma_f64 v[10:11], v[19:20], v[15:16], -v[10:11]
	s_delay_alu instid0(VALU_DEP_2) | instskip(NEXT) | instid1(VALU_DEP_2)
	v_fma_f64 v[15:16], v[21:22], v[15:16], v[17:18]
	v_add_f64 v[3:4], v[3:4], v[10:11]
	s_delay_alu instid0(VALU_DEP_2)
	v_add_f64 v[1:2], v[1:2], v[15:16]
	s_and_not1_b32 exec_lo, exec_lo, s3
	s_cbranch_execnz .LBB95_69
; %bb.70:
	s_or_b32 exec_lo, exec_lo, s3
	v_mov_b32_e32 v7, 0
	ds_load_b128 v[7:10], v7 offset:224
	s_waitcnt lgkmcnt(0)
	v_mul_f64 v[11:12], v[1:2], v[9:10]
	v_mul_f64 v[15:16], v[3:4], v[9:10]
	s_delay_alu instid0(VALU_DEP_2) | instskip(NEXT) | instid1(VALU_DEP_2)
	v_fma_f64 v[9:10], v[3:4], v[7:8], -v[11:12]
	v_fma_f64 v[11:12], v[1:2], v[7:8], v[15:16]
	scratch_store_b128 off, v[9:12], off offset:224
.LBB95_71:
	s_or_b32 exec_lo, exec_lo, s2
	s_waitcnt_vscnt null, 0x0
	s_barrier
	buffer_gl0_inv
	scratch_load_b128 v[1:4], v124, off
	s_mov_b32 s2, exec_lo
	s_waitcnt vmcnt(0)
	ds_store_b128 v5, v[1:4]
	s_waitcnt lgkmcnt(0)
	s_barrier
	buffer_gl0_inv
	v_cmpx_gt_u32_e32 15, v106
	s_cbranch_execz .LBB95_75
; %bb.72:
	v_dual_mov_b32 v1, 0 :: v_dual_add_nc_u32 v8, 0x200, v13
	v_dual_mov_b32 v2, 0 :: v_dual_add_nc_u32 v7, -1, v106
	v_or_b32_e32 v9, 8, v14
	s_mov_b32 s3, 0
	s_delay_alu instid0(VALU_DEP_2)
	v_dual_mov_b32 v4, v2 :: v_dual_mov_b32 v3, v1
	.p2align	6
.LBB95_73:                              ; =>This Inner Loop Header: Depth=1
	scratch_load_b128 v[15:18], v9, off offset:-8
	ds_load_b128 v[19:22], v8
	v_add_nc_u32_e32 v7, 1, v7
	v_add_nc_u32_e32 v8, 16, v8
	;; [unrolled: 1-line block ×3, first 2 shown]
	s_delay_alu instid0(VALU_DEP_3) | instskip(SKIP_4) | instid1(VALU_DEP_2)
	v_cmp_lt_u32_e32 vcc_lo, 13, v7
	s_or_b32 s3, vcc_lo, s3
	s_waitcnt vmcnt(0) lgkmcnt(0)
	v_mul_f64 v[10:11], v[21:22], v[17:18]
	v_mul_f64 v[17:18], v[19:20], v[17:18]
	v_fma_f64 v[10:11], v[19:20], v[15:16], -v[10:11]
	s_delay_alu instid0(VALU_DEP_2) | instskip(NEXT) | instid1(VALU_DEP_2)
	v_fma_f64 v[15:16], v[21:22], v[15:16], v[17:18]
	v_add_f64 v[3:4], v[3:4], v[10:11]
	s_delay_alu instid0(VALU_DEP_2)
	v_add_f64 v[1:2], v[1:2], v[15:16]
	s_and_not1_b32 exec_lo, exec_lo, s3
	s_cbranch_execnz .LBB95_73
; %bb.74:
	s_or_b32 exec_lo, exec_lo, s3
	v_mov_b32_e32 v7, 0
	ds_load_b128 v[7:10], v7 offset:240
	s_waitcnt lgkmcnt(0)
	v_mul_f64 v[11:12], v[1:2], v[9:10]
	v_mul_f64 v[15:16], v[3:4], v[9:10]
	s_delay_alu instid0(VALU_DEP_2) | instskip(NEXT) | instid1(VALU_DEP_2)
	v_fma_f64 v[9:10], v[3:4], v[7:8], -v[11:12]
	v_fma_f64 v[11:12], v[1:2], v[7:8], v[15:16]
	scratch_store_b128 off, v[9:12], off offset:240
.LBB95_75:
	s_or_b32 exec_lo, exec_lo, s2
	s_waitcnt_vscnt null, 0x0
	s_barrier
	buffer_gl0_inv
	scratch_load_b128 v[1:4], v137, off
	s_mov_b32 s2, exec_lo
	s_waitcnt vmcnt(0)
	ds_store_b128 v5, v[1:4]
	s_waitcnt lgkmcnt(0)
	s_barrier
	buffer_gl0_inv
	v_cmpx_gt_u32_e32 16, v106
	s_cbranch_execz .LBB95_79
; %bb.76:
	v_dual_mov_b32 v1, 0 :: v_dual_add_nc_u32 v8, 0x200, v13
	v_dual_mov_b32 v2, 0 :: v_dual_add_nc_u32 v7, -1, v106
	v_or_b32_e32 v9, 8, v14
	s_mov_b32 s3, 0
	s_delay_alu instid0(VALU_DEP_2)
	v_dual_mov_b32 v4, v2 :: v_dual_mov_b32 v3, v1
	.p2align	6
.LBB95_77:                              ; =>This Inner Loop Header: Depth=1
	scratch_load_b128 v[15:18], v9, off offset:-8
	ds_load_b128 v[19:22], v8
	v_add_nc_u32_e32 v7, 1, v7
	v_add_nc_u32_e32 v8, 16, v8
	;; [unrolled: 1-line block ×3, first 2 shown]
	s_delay_alu instid0(VALU_DEP_3) | instskip(SKIP_4) | instid1(VALU_DEP_2)
	v_cmp_lt_u32_e32 vcc_lo, 14, v7
	s_or_b32 s3, vcc_lo, s3
	s_waitcnt vmcnt(0) lgkmcnt(0)
	v_mul_f64 v[10:11], v[21:22], v[17:18]
	v_mul_f64 v[17:18], v[19:20], v[17:18]
	v_fma_f64 v[10:11], v[19:20], v[15:16], -v[10:11]
	s_delay_alu instid0(VALU_DEP_2) | instskip(NEXT) | instid1(VALU_DEP_2)
	v_fma_f64 v[15:16], v[21:22], v[15:16], v[17:18]
	v_add_f64 v[3:4], v[3:4], v[10:11]
	s_delay_alu instid0(VALU_DEP_2)
	v_add_f64 v[1:2], v[1:2], v[15:16]
	s_and_not1_b32 exec_lo, exec_lo, s3
	s_cbranch_execnz .LBB95_77
; %bb.78:
	s_or_b32 exec_lo, exec_lo, s3
	v_mov_b32_e32 v7, 0
	ds_load_b128 v[7:10], v7 offset:256
	s_waitcnt lgkmcnt(0)
	v_mul_f64 v[11:12], v[1:2], v[9:10]
	v_mul_f64 v[15:16], v[3:4], v[9:10]
	s_delay_alu instid0(VALU_DEP_2) | instskip(NEXT) | instid1(VALU_DEP_2)
	v_fma_f64 v[9:10], v[3:4], v[7:8], -v[11:12]
	v_fma_f64 v[11:12], v[1:2], v[7:8], v[15:16]
	scratch_store_b128 off, v[9:12], off offset:256
.LBB95_79:
	s_or_b32 exec_lo, exec_lo, s2
	s_waitcnt_vscnt null, 0x0
	s_barrier
	buffer_gl0_inv
	scratch_load_b128 v[1:4], v136, off
	s_mov_b32 s2, exec_lo
	s_waitcnt vmcnt(0)
	ds_store_b128 v5, v[1:4]
	s_waitcnt lgkmcnt(0)
	s_barrier
	buffer_gl0_inv
	v_cmpx_gt_u32_e32 17, v106
	s_cbranch_execz .LBB95_83
; %bb.80:
	v_dual_mov_b32 v1, 0 :: v_dual_add_nc_u32 v8, 0x200, v13
	v_dual_mov_b32 v2, 0 :: v_dual_add_nc_u32 v7, -1, v106
	v_or_b32_e32 v9, 8, v14
	s_mov_b32 s3, 0
	s_delay_alu instid0(VALU_DEP_2)
	v_dual_mov_b32 v4, v2 :: v_dual_mov_b32 v3, v1
	.p2align	6
.LBB95_81:                              ; =>This Inner Loop Header: Depth=1
	scratch_load_b128 v[15:18], v9, off offset:-8
	ds_load_b128 v[19:22], v8
	v_add_nc_u32_e32 v7, 1, v7
	v_add_nc_u32_e32 v8, 16, v8
	;; [unrolled: 1-line block ×3, first 2 shown]
	s_delay_alu instid0(VALU_DEP_3) | instskip(SKIP_4) | instid1(VALU_DEP_2)
	v_cmp_lt_u32_e32 vcc_lo, 15, v7
	s_or_b32 s3, vcc_lo, s3
	s_waitcnt vmcnt(0) lgkmcnt(0)
	v_mul_f64 v[10:11], v[21:22], v[17:18]
	v_mul_f64 v[17:18], v[19:20], v[17:18]
	v_fma_f64 v[10:11], v[19:20], v[15:16], -v[10:11]
	s_delay_alu instid0(VALU_DEP_2) | instskip(NEXT) | instid1(VALU_DEP_2)
	v_fma_f64 v[15:16], v[21:22], v[15:16], v[17:18]
	v_add_f64 v[3:4], v[3:4], v[10:11]
	s_delay_alu instid0(VALU_DEP_2)
	v_add_f64 v[1:2], v[1:2], v[15:16]
	s_and_not1_b32 exec_lo, exec_lo, s3
	s_cbranch_execnz .LBB95_81
; %bb.82:
	s_or_b32 exec_lo, exec_lo, s3
	v_mov_b32_e32 v7, 0
	ds_load_b128 v[7:10], v7 offset:272
	s_waitcnt lgkmcnt(0)
	v_mul_f64 v[11:12], v[1:2], v[9:10]
	v_mul_f64 v[15:16], v[3:4], v[9:10]
	s_delay_alu instid0(VALU_DEP_2) | instskip(NEXT) | instid1(VALU_DEP_2)
	v_fma_f64 v[9:10], v[3:4], v[7:8], -v[11:12]
	v_fma_f64 v[11:12], v[1:2], v[7:8], v[15:16]
	scratch_store_b128 off, v[9:12], off offset:272
.LBB95_83:
	s_or_b32 exec_lo, exec_lo, s2
	s_waitcnt_vscnt null, 0x0
	s_barrier
	buffer_gl0_inv
	scratch_load_b128 v[1:4], v135, off
	s_mov_b32 s2, exec_lo
	s_waitcnt vmcnt(0)
	ds_store_b128 v5, v[1:4]
	s_waitcnt lgkmcnt(0)
	s_barrier
	buffer_gl0_inv
	v_cmpx_gt_u32_e32 18, v106
	s_cbranch_execz .LBB95_87
; %bb.84:
	v_dual_mov_b32 v1, 0 :: v_dual_add_nc_u32 v8, 0x200, v13
	v_dual_mov_b32 v2, 0 :: v_dual_add_nc_u32 v7, -1, v106
	v_or_b32_e32 v9, 8, v14
	s_mov_b32 s3, 0
	s_delay_alu instid0(VALU_DEP_2)
	v_dual_mov_b32 v4, v2 :: v_dual_mov_b32 v3, v1
	.p2align	6
.LBB95_85:                              ; =>This Inner Loop Header: Depth=1
	scratch_load_b128 v[15:18], v9, off offset:-8
	ds_load_b128 v[19:22], v8
	v_add_nc_u32_e32 v7, 1, v7
	v_add_nc_u32_e32 v8, 16, v8
	;; [unrolled: 1-line block ×3, first 2 shown]
	s_delay_alu instid0(VALU_DEP_3) | instskip(SKIP_4) | instid1(VALU_DEP_2)
	v_cmp_lt_u32_e32 vcc_lo, 16, v7
	s_or_b32 s3, vcc_lo, s3
	s_waitcnt vmcnt(0) lgkmcnt(0)
	v_mul_f64 v[10:11], v[21:22], v[17:18]
	v_mul_f64 v[17:18], v[19:20], v[17:18]
	v_fma_f64 v[10:11], v[19:20], v[15:16], -v[10:11]
	s_delay_alu instid0(VALU_DEP_2) | instskip(NEXT) | instid1(VALU_DEP_2)
	v_fma_f64 v[15:16], v[21:22], v[15:16], v[17:18]
	v_add_f64 v[3:4], v[3:4], v[10:11]
	s_delay_alu instid0(VALU_DEP_2)
	v_add_f64 v[1:2], v[1:2], v[15:16]
	s_and_not1_b32 exec_lo, exec_lo, s3
	s_cbranch_execnz .LBB95_85
; %bb.86:
	s_or_b32 exec_lo, exec_lo, s3
	v_mov_b32_e32 v7, 0
	ds_load_b128 v[7:10], v7 offset:288
	s_waitcnt lgkmcnt(0)
	v_mul_f64 v[11:12], v[1:2], v[9:10]
	v_mul_f64 v[15:16], v[3:4], v[9:10]
	s_delay_alu instid0(VALU_DEP_2) | instskip(NEXT) | instid1(VALU_DEP_2)
	v_fma_f64 v[9:10], v[3:4], v[7:8], -v[11:12]
	v_fma_f64 v[11:12], v[1:2], v[7:8], v[15:16]
	scratch_store_b128 off, v[9:12], off offset:288
.LBB95_87:
	s_or_b32 exec_lo, exec_lo, s2
	s_waitcnt_vscnt null, 0x0
	s_barrier
	buffer_gl0_inv
	scratch_load_b128 v[1:4], v134, off
	s_mov_b32 s2, exec_lo
	s_waitcnt vmcnt(0)
	ds_store_b128 v5, v[1:4]
	s_waitcnt lgkmcnt(0)
	s_barrier
	buffer_gl0_inv
	v_cmpx_gt_u32_e32 19, v106
	s_cbranch_execz .LBB95_91
; %bb.88:
	v_dual_mov_b32 v1, 0 :: v_dual_add_nc_u32 v8, 0x200, v13
	v_dual_mov_b32 v2, 0 :: v_dual_add_nc_u32 v7, -1, v106
	v_or_b32_e32 v9, 8, v14
	s_mov_b32 s3, 0
	s_delay_alu instid0(VALU_DEP_2)
	v_dual_mov_b32 v4, v2 :: v_dual_mov_b32 v3, v1
	.p2align	6
.LBB95_89:                              ; =>This Inner Loop Header: Depth=1
	scratch_load_b128 v[15:18], v9, off offset:-8
	ds_load_b128 v[19:22], v8
	v_add_nc_u32_e32 v7, 1, v7
	v_add_nc_u32_e32 v8, 16, v8
	;; [unrolled: 1-line block ×3, first 2 shown]
	s_delay_alu instid0(VALU_DEP_3) | instskip(SKIP_4) | instid1(VALU_DEP_2)
	v_cmp_lt_u32_e32 vcc_lo, 17, v7
	s_or_b32 s3, vcc_lo, s3
	s_waitcnt vmcnt(0) lgkmcnt(0)
	v_mul_f64 v[10:11], v[21:22], v[17:18]
	v_mul_f64 v[17:18], v[19:20], v[17:18]
	v_fma_f64 v[10:11], v[19:20], v[15:16], -v[10:11]
	s_delay_alu instid0(VALU_DEP_2) | instskip(NEXT) | instid1(VALU_DEP_2)
	v_fma_f64 v[15:16], v[21:22], v[15:16], v[17:18]
	v_add_f64 v[3:4], v[3:4], v[10:11]
	s_delay_alu instid0(VALU_DEP_2)
	v_add_f64 v[1:2], v[1:2], v[15:16]
	s_and_not1_b32 exec_lo, exec_lo, s3
	s_cbranch_execnz .LBB95_89
; %bb.90:
	s_or_b32 exec_lo, exec_lo, s3
	v_mov_b32_e32 v7, 0
	ds_load_b128 v[7:10], v7 offset:304
	s_waitcnt lgkmcnt(0)
	v_mul_f64 v[11:12], v[1:2], v[9:10]
	v_mul_f64 v[15:16], v[3:4], v[9:10]
	s_delay_alu instid0(VALU_DEP_2) | instskip(NEXT) | instid1(VALU_DEP_2)
	v_fma_f64 v[9:10], v[3:4], v[7:8], -v[11:12]
	v_fma_f64 v[11:12], v[1:2], v[7:8], v[15:16]
	scratch_store_b128 off, v[9:12], off offset:304
.LBB95_91:
	s_or_b32 exec_lo, exec_lo, s2
	s_waitcnt_vscnt null, 0x0
	s_barrier
	buffer_gl0_inv
	scratch_load_b128 v[1:4], v122, off
	s_mov_b32 s2, exec_lo
	s_waitcnt vmcnt(0)
	ds_store_b128 v5, v[1:4]
	s_waitcnt lgkmcnt(0)
	s_barrier
	buffer_gl0_inv
	v_cmpx_gt_u32_e32 20, v106
	s_cbranch_execz .LBB95_95
; %bb.92:
	v_dual_mov_b32 v1, 0 :: v_dual_add_nc_u32 v8, 0x200, v13
	v_dual_mov_b32 v2, 0 :: v_dual_add_nc_u32 v7, -1, v106
	v_or_b32_e32 v9, 8, v14
	s_mov_b32 s3, 0
	s_delay_alu instid0(VALU_DEP_2)
	v_dual_mov_b32 v4, v2 :: v_dual_mov_b32 v3, v1
	.p2align	6
.LBB95_93:                              ; =>This Inner Loop Header: Depth=1
	scratch_load_b128 v[15:18], v9, off offset:-8
	ds_load_b128 v[19:22], v8
	v_add_nc_u32_e32 v7, 1, v7
	v_add_nc_u32_e32 v8, 16, v8
	;; [unrolled: 1-line block ×3, first 2 shown]
	s_delay_alu instid0(VALU_DEP_3) | instskip(SKIP_4) | instid1(VALU_DEP_2)
	v_cmp_lt_u32_e32 vcc_lo, 18, v7
	s_or_b32 s3, vcc_lo, s3
	s_waitcnt vmcnt(0) lgkmcnt(0)
	v_mul_f64 v[10:11], v[21:22], v[17:18]
	v_mul_f64 v[17:18], v[19:20], v[17:18]
	v_fma_f64 v[10:11], v[19:20], v[15:16], -v[10:11]
	s_delay_alu instid0(VALU_DEP_2) | instskip(NEXT) | instid1(VALU_DEP_2)
	v_fma_f64 v[15:16], v[21:22], v[15:16], v[17:18]
	v_add_f64 v[3:4], v[3:4], v[10:11]
	s_delay_alu instid0(VALU_DEP_2)
	v_add_f64 v[1:2], v[1:2], v[15:16]
	s_and_not1_b32 exec_lo, exec_lo, s3
	s_cbranch_execnz .LBB95_93
; %bb.94:
	s_or_b32 exec_lo, exec_lo, s3
	v_mov_b32_e32 v7, 0
	ds_load_b128 v[7:10], v7 offset:320
	s_waitcnt lgkmcnt(0)
	v_mul_f64 v[11:12], v[1:2], v[9:10]
	v_mul_f64 v[15:16], v[3:4], v[9:10]
	s_delay_alu instid0(VALU_DEP_2) | instskip(NEXT) | instid1(VALU_DEP_2)
	v_fma_f64 v[9:10], v[3:4], v[7:8], -v[11:12]
	v_fma_f64 v[11:12], v[1:2], v[7:8], v[15:16]
	scratch_store_b128 off, v[9:12], off offset:320
.LBB95_95:
	s_or_b32 exec_lo, exec_lo, s2
	s_waitcnt_vscnt null, 0x0
	s_barrier
	buffer_gl0_inv
	scratch_load_b128 v[1:4], v121, off
	s_mov_b32 s2, exec_lo
	s_waitcnt vmcnt(0)
	ds_store_b128 v5, v[1:4]
	s_waitcnt lgkmcnt(0)
	s_barrier
	buffer_gl0_inv
	v_cmpx_gt_u32_e32 21, v106
	s_cbranch_execz .LBB95_99
; %bb.96:
	v_dual_mov_b32 v1, 0 :: v_dual_add_nc_u32 v8, 0x200, v13
	v_dual_mov_b32 v2, 0 :: v_dual_add_nc_u32 v7, -1, v106
	v_or_b32_e32 v9, 8, v14
	s_mov_b32 s3, 0
	s_delay_alu instid0(VALU_DEP_2)
	v_dual_mov_b32 v4, v2 :: v_dual_mov_b32 v3, v1
	.p2align	6
.LBB95_97:                              ; =>This Inner Loop Header: Depth=1
	scratch_load_b128 v[15:18], v9, off offset:-8
	ds_load_b128 v[19:22], v8
	v_add_nc_u32_e32 v7, 1, v7
	v_add_nc_u32_e32 v8, 16, v8
	;; [unrolled: 1-line block ×3, first 2 shown]
	s_delay_alu instid0(VALU_DEP_3) | instskip(SKIP_4) | instid1(VALU_DEP_2)
	v_cmp_lt_u32_e32 vcc_lo, 19, v7
	s_or_b32 s3, vcc_lo, s3
	s_waitcnt vmcnt(0) lgkmcnt(0)
	v_mul_f64 v[10:11], v[21:22], v[17:18]
	v_mul_f64 v[17:18], v[19:20], v[17:18]
	v_fma_f64 v[10:11], v[19:20], v[15:16], -v[10:11]
	s_delay_alu instid0(VALU_DEP_2) | instskip(NEXT) | instid1(VALU_DEP_2)
	v_fma_f64 v[15:16], v[21:22], v[15:16], v[17:18]
	v_add_f64 v[3:4], v[3:4], v[10:11]
	s_delay_alu instid0(VALU_DEP_2)
	v_add_f64 v[1:2], v[1:2], v[15:16]
	s_and_not1_b32 exec_lo, exec_lo, s3
	s_cbranch_execnz .LBB95_97
; %bb.98:
	s_or_b32 exec_lo, exec_lo, s3
	v_mov_b32_e32 v7, 0
	ds_load_b128 v[7:10], v7 offset:336
	s_waitcnt lgkmcnt(0)
	v_mul_f64 v[11:12], v[1:2], v[9:10]
	v_mul_f64 v[15:16], v[3:4], v[9:10]
	s_delay_alu instid0(VALU_DEP_2) | instskip(NEXT) | instid1(VALU_DEP_2)
	v_fma_f64 v[9:10], v[3:4], v[7:8], -v[11:12]
	v_fma_f64 v[11:12], v[1:2], v[7:8], v[15:16]
	scratch_store_b128 off, v[9:12], off offset:336
.LBB95_99:
	s_or_b32 exec_lo, exec_lo, s2
	s_waitcnt_vscnt null, 0x0
	s_barrier
	buffer_gl0_inv
	scratch_load_b128 v[1:4], v119, off
	s_mov_b32 s2, exec_lo
	s_waitcnt vmcnt(0)
	ds_store_b128 v5, v[1:4]
	s_waitcnt lgkmcnt(0)
	s_barrier
	buffer_gl0_inv
	v_cmpx_gt_u32_e32 22, v106
	s_cbranch_execz .LBB95_103
; %bb.100:
	v_dual_mov_b32 v1, 0 :: v_dual_add_nc_u32 v8, 0x200, v13
	v_dual_mov_b32 v2, 0 :: v_dual_add_nc_u32 v7, -1, v106
	v_or_b32_e32 v9, 8, v14
	s_mov_b32 s3, 0
	s_delay_alu instid0(VALU_DEP_2)
	v_dual_mov_b32 v4, v2 :: v_dual_mov_b32 v3, v1
	.p2align	6
.LBB95_101:                             ; =>This Inner Loop Header: Depth=1
	scratch_load_b128 v[15:18], v9, off offset:-8
	ds_load_b128 v[19:22], v8
	v_add_nc_u32_e32 v7, 1, v7
	v_add_nc_u32_e32 v8, 16, v8
	;; [unrolled: 1-line block ×3, first 2 shown]
	s_delay_alu instid0(VALU_DEP_3) | instskip(SKIP_4) | instid1(VALU_DEP_2)
	v_cmp_lt_u32_e32 vcc_lo, 20, v7
	s_or_b32 s3, vcc_lo, s3
	s_waitcnt vmcnt(0) lgkmcnt(0)
	v_mul_f64 v[10:11], v[21:22], v[17:18]
	v_mul_f64 v[17:18], v[19:20], v[17:18]
	v_fma_f64 v[10:11], v[19:20], v[15:16], -v[10:11]
	s_delay_alu instid0(VALU_DEP_2) | instskip(NEXT) | instid1(VALU_DEP_2)
	v_fma_f64 v[15:16], v[21:22], v[15:16], v[17:18]
	v_add_f64 v[3:4], v[3:4], v[10:11]
	s_delay_alu instid0(VALU_DEP_2)
	v_add_f64 v[1:2], v[1:2], v[15:16]
	s_and_not1_b32 exec_lo, exec_lo, s3
	s_cbranch_execnz .LBB95_101
; %bb.102:
	s_or_b32 exec_lo, exec_lo, s3
	v_mov_b32_e32 v7, 0
	ds_load_b128 v[7:10], v7 offset:352
	s_waitcnt lgkmcnt(0)
	v_mul_f64 v[11:12], v[1:2], v[9:10]
	v_mul_f64 v[15:16], v[3:4], v[9:10]
	s_delay_alu instid0(VALU_DEP_2) | instskip(NEXT) | instid1(VALU_DEP_2)
	v_fma_f64 v[9:10], v[3:4], v[7:8], -v[11:12]
	v_fma_f64 v[11:12], v[1:2], v[7:8], v[15:16]
	scratch_store_b128 off, v[9:12], off offset:352
.LBB95_103:
	s_or_b32 exec_lo, exec_lo, s2
	s_waitcnt_vscnt null, 0x0
	s_barrier
	buffer_gl0_inv
	scratch_load_b128 v[1:4], v120, off
	s_mov_b32 s2, exec_lo
	s_waitcnt vmcnt(0)
	ds_store_b128 v5, v[1:4]
	s_waitcnt lgkmcnt(0)
	s_barrier
	buffer_gl0_inv
	v_cmpx_gt_u32_e32 23, v106
	s_cbranch_execz .LBB95_107
; %bb.104:
	v_dual_mov_b32 v1, 0 :: v_dual_add_nc_u32 v8, 0x200, v13
	v_dual_mov_b32 v2, 0 :: v_dual_add_nc_u32 v7, -1, v106
	v_or_b32_e32 v9, 8, v14
	s_mov_b32 s3, 0
	s_delay_alu instid0(VALU_DEP_2)
	v_dual_mov_b32 v4, v2 :: v_dual_mov_b32 v3, v1
	.p2align	6
.LBB95_105:                             ; =>This Inner Loop Header: Depth=1
	scratch_load_b128 v[15:18], v9, off offset:-8
	ds_load_b128 v[19:22], v8
	v_add_nc_u32_e32 v7, 1, v7
	v_add_nc_u32_e32 v8, 16, v8
	;; [unrolled: 1-line block ×3, first 2 shown]
	s_delay_alu instid0(VALU_DEP_3) | instskip(SKIP_4) | instid1(VALU_DEP_2)
	v_cmp_lt_u32_e32 vcc_lo, 21, v7
	s_or_b32 s3, vcc_lo, s3
	s_waitcnt vmcnt(0) lgkmcnt(0)
	v_mul_f64 v[10:11], v[21:22], v[17:18]
	v_mul_f64 v[17:18], v[19:20], v[17:18]
	v_fma_f64 v[10:11], v[19:20], v[15:16], -v[10:11]
	s_delay_alu instid0(VALU_DEP_2) | instskip(NEXT) | instid1(VALU_DEP_2)
	v_fma_f64 v[15:16], v[21:22], v[15:16], v[17:18]
	v_add_f64 v[3:4], v[3:4], v[10:11]
	s_delay_alu instid0(VALU_DEP_2)
	v_add_f64 v[1:2], v[1:2], v[15:16]
	s_and_not1_b32 exec_lo, exec_lo, s3
	s_cbranch_execnz .LBB95_105
; %bb.106:
	s_or_b32 exec_lo, exec_lo, s3
	v_mov_b32_e32 v7, 0
	ds_load_b128 v[7:10], v7 offset:368
	s_waitcnt lgkmcnt(0)
	v_mul_f64 v[11:12], v[1:2], v[9:10]
	v_mul_f64 v[15:16], v[3:4], v[9:10]
	s_delay_alu instid0(VALU_DEP_2) | instskip(NEXT) | instid1(VALU_DEP_2)
	v_fma_f64 v[9:10], v[3:4], v[7:8], -v[11:12]
	v_fma_f64 v[11:12], v[1:2], v[7:8], v[15:16]
	scratch_store_b128 off, v[9:12], off offset:368
.LBB95_107:
	s_or_b32 exec_lo, exec_lo, s2
	s_waitcnt_vscnt null, 0x0
	s_barrier
	buffer_gl0_inv
	scratch_load_b128 v[1:4], v118, off
	s_mov_b32 s2, exec_lo
	s_waitcnt vmcnt(0)
	ds_store_b128 v5, v[1:4]
	s_waitcnt lgkmcnt(0)
	s_barrier
	buffer_gl0_inv
	v_cmpx_gt_u32_e32 24, v106
	s_cbranch_execz .LBB95_111
; %bb.108:
	v_dual_mov_b32 v1, 0 :: v_dual_add_nc_u32 v8, 0x200, v13
	v_dual_mov_b32 v2, 0 :: v_dual_add_nc_u32 v7, -1, v106
	v_or_b32_e32 v9, 8, v14
	s_mov_b32 s3, 0
	s_delay_alu instid0(VALU_DEP_2)
	v_dual_mov_b32 v4, v2 :: v_dual_mov_b32 v3, v1
	.p2align	6
.LBB95_109:                             ; =>This Inner Loop Header: Depth=1
	scratch_load_b128 v[15:18], v9, off offset:-8
	ds_load_b128 v[19:22], v8
	v_add_nc_u32_e32 v7, 1, v7
	v_add_nc_u32_e32 v8, 16, v8
	;; [unrolled: 1-line block ×3, first 2 shown]
	s_delay_alu instid0(VALU_DEP_3) | instskip(SKIP_4) | instid1(VALU_DEP_2)
	v_cmp_lt_u32_e32 vcc_lo, 22, v7
	s_or_b32 s3, vcc_lo, s3
	s_waitcnt vmcnt(0) lgkmcnt(0)
	v_mul_f64 v[10:11], v[21:22], v[17:18]
	v_mul_f64 v[17:18], v[19:20], v[17:18]
	v_fma_f64 v[10:11], v[19:20], v[15:16], -v[10:11]
	s_delay_alu instid0(VALU_DEP_2) | instskip(NEXT) | instid1(VALU_DEP_2)
	v_fma_f64 v[15:16], v[21:22], v[15:16], v[17:18]
	v_add_f64 v[3:4], v[3:4], v[10:11]
	s_delay_alu instid0(VALU_DEP_2)
	v_add_f64 v[1:2], v[1:2], v[15:16]
	s_and_not1_b32 exec_lo, exec_lo, s3
	s_cbranch_execnz .LBB95_109
; %bb.110:
	s_or_b32 exec_lo, exec_lo, s3
	v_mov_b32_e32 v7, 0
	ds_load_b128 v[7:10], v7 offset:384
	s_waitcnt lgkmcnt(0)
	v_mul_f64 v[11:12], v[1:2], v[9:10]
	v_mul_f64 v[15:16], v[3:4], v[9:10]
	s_delay_alu instid0(VALU_DEP_2) | instskip(NEXT) | instid1(VALU_DEP_2)
	v_fma_f64 v[9:10], v[3:4], v[7:8], -v[11:12]
	v_fma_f64 v[11:12], v[1:2], v[7:8], v[15:16]
	scratch_store_b128 off, v[9:12], off offset:384
.LBB95_111:
	s_or_b32 exec_lo, exec_lo, s2
	s_waitcnt_vscnt null, 0x0
	s_barrier
	buffer_gl0_inv
	scratch_load_b128 v[1:4], v117, off
	s_mov_b32 s2, exec_lo
	s_waitcnt vmcnt(0)
	ds_store_b128 v5, v[1:4]
	s_waitcnt lgkmcnt(0)
	s_barrier
	buffer_gl0_inv
	v_cmpx_gt_u32_e32 25, v106
	s_cbranch_execz .LBB95_115
; %bb.112:
	v_dual_mov_b32 v1, 0 :: v_dual_add_nc_u32 v8, 0x200, v13
	v_dual_mov_b32 v2, 0 :: v_dual_add_nc_u32 v7, -1, v106
	v_or_b32_e32 v9, 8, v14
	s_mov_b32 s3, 0
	s_delay_alu instid0(VALU_DEP_2)
	v_dual_mov_b32 v4, v2 :: v_dual_mov_b32 v3, v1
	.p2align	6
.LBB95_113:                             ; =>This Inner Loop Header: Depth=1
	scratch_load_b128 v[15:18], v9, off offset:-8
	ds_load_b128 v[19:22], v8
	v_add_nc_u32_e32 v7, 1, v7
	v_add_nc_u32_e32 v8, 16, v8
	v_add_nc_u32_e32 v9, 16, v9
	s_delay_alu instid0(VALU_DEP_3) | instskip(SKIP_4) | instid1(VALU_DEP_2)
	v_cmp_lt_u32_e32 vcc_lo, 23, v7
	s_or_b32 s3, vcc_lo, s3
	s_waitcnt vmcnt(0) lgkmcnt(0)
	v_mul_f64 v[10:11], v[21:22], v[17:18]
	v_mul_f64 v[17:18], v[19:20], v[17:18]
	v_fma_f64 v[10:11], v[19:20], v[15:16], -v[10:11]
	s_delay_alu instid0(VALU_DEP_2) | instskip(NEXT) | instid1(VALU_DEP_2)
	v_fma_f64 v[15:16], v[21:22], v[15:16], v[17:18]
	v_add_f64 v[3:4], v[3:4], v[10:11]
	s_delay_alu instid0(VALU_DEP_2)
	v_add_f64 v[1:2], v[1:2], v[15:16]
	s_and_not1_b32 exec_lo, exec_lo, s3
	s_cbranch_execnz .LBB95_113
; %bb.114:
	s_or_b32 exec_lo, exec_lo, s3
	v_mov_b32_e32 v7, 0
	ds_load_b128 v[7:10], v7 offset:400
	s_waitcnt lgkmcnt(0)
	v_mul_f64 v[11:12], v[1:2], v[9:10]
	v_mul_f64 v[15:16], v[3:4], v[9:10]
	s_delay_alu instid0(VALU_DEP_2) | instskip(NEXT) | instid1(VALU_DEP_2)
	v_fma_f64 v[9:10], v[3:4], v[7:8], -v[11:12]
	v_fma_f64 v[11:12], v[1:2], v[7:8], v[15:16]
	scratch_store_b128 off, v[9:12], off offset:400
.LBB95_115:
	s_or_b32 exec_lo, exec_lo, s2
	s_waitcnt_vscnt null, 0x0
	s_barrier
	buffer_gl0_inv
	scratch_load_b128 v[1:4], v115, off
	s_mov_b32 s2, exec_lo
	s_waitcnt vmcnt(0)
	ds_store_b128 v5, v[1:4]
	s_waitcnt lgkmcnt(0)
	s_barrier
	buffer_gl0_inv
	v_cmpx_gt_u32_e32 26, v106
	s_cbranch_execz .LBB95_119
; %bb.116:
	v_dual_mov_b32 v1, 0 :: v_dual_add_nc_u32 v8, 0x200, v13
	v_dual_mov_b32 v2, 0 :: v_dual_add_nc_u32 v7, -1, v106
	v_or_b32_e32 v9, 8, v14
	s_mov_b32 s3, 0
	s_delay_alu instid0(VALU_DEP_2)
	v_dual_mov_b32 v4, v2 :: v_dual_mov_b32 v3, v1
	.p2align	6
.LBB95_117:                             ; =>This Inner Loop Header: Depth=1
	scratch_load_b128 v[15:18], v9, off offset:-8
	ds_load_b128 v[19:22], v8
	v_add_nc_u32_e32 v7, 1, v7
	v_add_nc_u32_e32 v8, 16, v8
	;; [unrolled: 1-line block ×3, first 2 shown]
	s_delay_alu instid0(VALU_DEP_3) | instskip(SKIP_4) | instid1(VALU_DEP_2)
	v_cmp_lt_u32_e32 vcc_lo, 24, v7
	s_or_b32 s3, vcc_lo, s3
	s_waitcnt vmcnt(0) lgkmcnt(0)
	v_mul_f64 v[10:11], v[21:22], v[17:18]
	v_mul_f64 v[17:18], v[19:20], v[17:18]
	v_fma_f64 v[10:11], v[19:20], v[15:16], -v[10:11]
	s_delay_alu instid0(VALU_DEP_2) | instskip(NEXT) | instid1(VALU_DEP_2)
	v_fma_f64 v[15:16], v[21:22], v[15:16], v[17:18]
	v_add_f64 v[3:4], v[3:4], v[10:11]
	s_delay_alu instid0(VALU_DEP_2)
	v_add_f64 v[1:2], v[1:2], v[15:16]
	s_and_not1_b32 exec_lo, exec_lo, s3
	s_cbranch_execnz .LBB95_117
; %bb.118:
	s_or_b32 exec_lo, exec_lo, s3
	v_mov_b32_e32 v7, 0
	ds_load_b128 v[7:10], v7 offset:416
	s_waitcnt lgkmcnt(0)
	v_mul_f64 v[11:12], v[1:2], v[9:10]
	v_mul_f64 v[15:16], v[3:4], v[9:10]
	s_delay_alu instid0(VALU_DEP_2) | instskip(NEXT) | instid1(VALU_DEP_2)
	v_fma_f64 v[9:10], v[3:4], v[7:8], -v[11:12]
	v_fma_f64 v[11:12], v[1:2], v[7:8], v[15:16]
	scratch_store_b128 off, v[9:12], off offset:416
.LBB95_119:
	s_or_b32 exec_lo, exec_lo, s2
	s_waitcnt_vscnt null, 0x0
	s_barrier
	buffer_gl0_inv
	scratch_load_b128 v[1:4], v116, off
	s_mov_b32 s2, exec_lo
	s_waitcnt vmcnt(0)
	ds_store_b128 v5, v[1:4]
	s_waitcnt lgkmcnt(0)
	s_barrier
	buffer_gl0_inv
	v_cmpx_gt_u32_e32 27, v106
	s_cbranch_execz .LBB95_123
; %bb.120:
	v_dual_mov_b32 v1, 0 :: v_dual_add_nc_u32 v8, 0x200, v13
	v_dual_mov_b32 v2, 0 :: v_dual_add_nc_u32 v7, -1, v106
	v_or_b32_e32 v9, 8, v14
	s_mov_b32 s3, 0
	s_delay_alu instid0(VALU_DEP_2)
	v_dual_mov_b32 v4, v2 :: v_dual_mov_b32 v3, v1
	.p2align	6
.LBB95_121:                             ; =>This Inner Loop Header: Depth=1
	scratch_load_b128 v[15:18], v9, off offset:-8
	ds_load_b128 v[19:22], v8
	v_add_nc_u32_e32 v7, 1, v7
	v_add_nc_u32_e32 v8, 16, v8
	;; [unrolled: 1-line block ×3, first 2 shown]
	s_delay_alu instid0(VALU_DEP_3) | instskip(SKIP_4) | instid1(VALU_DEP_2)
	v_cmp_lt_u32_e32 vcc_lo, 25, v7
	s_or_b32 s3, vcc_lo, s3
	s_waitcnt vmcnt(0) lgkmcnt(0)
	v_mul_f64 v[10:11], v[21:22], v[17:18]
	v_mul_f64 v[17:18], v[19:20], v[17:18]
	v_fma_f64 v[10:11], v[19:20], v[15:16], -v[10:11]
	s_delay_alu instid0(VALU_DEP_2) | instskip(NEXT) | instid1(VALU_DEP_2)
	v_fma_f64 v[15:16], v[21:22], v[15:16], v[17:18]
	v_add_f64 v[3:4], v[3:4], v[10:11]
	s_delay_alu instid0(VALU_DEP_2)
	v_add_f64 v[1:2], v[1:2], v[15:16]
	s_and_not1_b32 exec_lo, exec_lo, s3
	s_cbranch_execnz .LBB95_121
; %bb.122:
	s_or_b32 exec_lo, exec_lo, s3
	v_mov_b32_e32 v7, 0
	ds_load_b128 v[7:10], v7 offset:432
	s_waitcnt lgkmcnt(0)
	v_mul_f64 v[11:12], v[1:2], v[9:10]
	v_mul_f64 v[15:16], v[3:4], v[9:10]
	s_delay_alu instid0(VALU_DEP_2) | instskip(NEXT) | instid1(VALU_DEP_2)
	v_fma_f64 v[9:10], v[3:4], v[7:8], -v[11:12]
	v_fma_f64 v[11:12], v[1:2], v[7:8], v[15:16]
	scratch_store_b128 off, v[9:12], off offset:432
.LBB95_123:
	s_or_b32 exec_lo, exec_lo, s2
	s_waitcnt_vscnt null, 0x0
	s_barrier
	buffer_gl0_inv
	scratch_load_b128 v[1:4], v114, off
	s_mov_b32 s2, exec_lo
	s_waitcnt vmcnt(0)
	ds_store_b128 v5, v[1:4]
	s_waitcnt lgkmcnt(0)
	s_barrier
	buffer_gl0_inv
	v_cmpx_gt_u32_e32 28, v106
	s_cbranch_execz .LBB95_127
; %bb.124:
	v_dual_mov_b32 v1, 0 :: v_dual_add_nc_u32 v8, 0x200, v13
	v_dual_mov_b32 v2, 0 :: v_dual_add_nc_u32 v7, -1, v106
	v_or_b32_e32 v9, 8, v14
	s_mov_b32 s3, 0
	s_delay_alu instid0(VALU_DEP_2)
	v_dual_mov_b32 v4, v2 :: v_dual_mov_b32 v3, v1
	.p2align	6
.LBB95_125:                             ; =>This Inner Loop Header: Depth=1
	scratch_load_b128 v[15:18], v9, off offset:-8
	ds_load_b128 v[19:22], v8
	v_add_nc_u32_e32 v7, 1, v7
	v_add_nc_u32_e32 v8, 16, v8
	;; [unrolled: 1-line block ×3, first 2 shown]
	s_delay_alu instid0(VALU_DEP_3) | instskip(SKIP_4) | instid1(VALU_DEP_2)
	v_cmp_lt_u32_e32 vcc_lo, 26, v7
	s_or_b32 s3, vcc_lo, s3
	s_waitcnt vmcnt(0) lgkmcnt(0)
	v_mul_f64 v[10:11], v[21:22], v[17:18]
	v_mul_f64 v[17:18], v[19:20], v[17:18]
	v_fma_f64 v[10:11], v[19:20], v[15:16], -v[10:11]
	s_delay_alu instid0(VALU_DEP_2) | instskip(NEXT) | instid1(VALU_DEP_2)
	v_fma_f64 v[15:16], v[21:22], v[15:16], v[17:18]
	v_add_f64 v[3:4], v[3:4], v[10:11]
	s_delay_alu instid0(VALU_DEP_2)
	v_add_f64 v[1:2], v[1:2], v[15:16]
	s_and_not1_b32 exec_lo, exec_lo, s3
	s_cbranch_execnz .LBB95_125
; %bb.126:
	s_or_b32 exec_lo, exec_lo, s3
	v_mov_b32_e32 v7, 0
	ds_load_b128 v[7:10], v7 offset:448
	s_waitcnt lgkmcnt(0)
	v_mul_f64 v[11:12], v[1:2], v[9:10]
	v_mul_f64 v[15:16], v[3:4], v[9:10]
	s_delay_alu instid0(VALU_DEP_2) | instskip(NEXT) | instid1(VALU_DEP_2)
	v_fma_f64 v[9:10], v[3:4], v[7:8], -v[11:12]
	v_fma_f64 v[11:12], v[1:2], v[7:8], v[15:16]
	scratch_store_b128 off, v[9:12], off offset:448
.LBB95_127:
	s_or_b32 exec_lo, exec_lo, s2
	s_waitcnt_vscnt null, 0x0
	s_barrier
	buffer_gl0_inv
	scratch_load_b128 v[1:4], v113, off
	s_mov_b32 s2, exec_lo
	s_waitcnt vmcnt(0)
	ds_store_b128 v5, v[1:4]
	s_waitcnt lgkmcnt(0)
	s_barrier
	buffer_gl0_inv
	v_cmpx_gt_u32_e32 29, v106
	s_cbranch_execz .LBB95_131
; %bb.128:
	v_dual_mov_b32 v1, 0 :: v_dual_add_nc_u32 v8, 0x200, v13
	v_dual_mov_b32 v2, 0 :: v_dual_add_nc_u32 v7, -1, v106
	v_or_b32_e32 v9, 8, v14
	s_mov_b32 s3, 0
	s_delay_alu instid0(VALU_DEP_2)
	v_dual_mov_b32 v4, v2 :: v_dual_mov_b32 v3, v1
	.p2align	6
.LBB95_129:                             ; =>This Inner Loop Header: Depth=1
	scratch_load_b128 v[15:18], v9, off offset:-8
	ds_load_b128 v[19:22], v8
	v_add_nc_u32_e32 v7, 1, v7
	v_add_nc_u32_e32 v8, 16, v8
	;; [unrolled: 1-line block ×3, first 2 shown]
	s_delay_alu instid0(VALU_DEP_3) | instskip(SKIP_4) | instid1(VALU_DEP_2)
	v_cmp_lt_u32_e32 vcc_lo, 27, v7
	s_or_b32 s3, vcc_lo, s3
	s_waitcnt vmcnt(0) lgkmcnt(0)
	v_mul_f64 v[10:11], v[21:22], v[17:18]
	v_mul_f64 v[17:18], v[19:20], v[17:18]
	v_fma_f64 v[10:11], v[19:20], v[15:16], -v[10:11]
	s_delay_alu instid0(VALU_DEP_2) | instskip(NEXT) | instid1(VALU_DEP_2)
	v_fma_f64 v[15:16], v[21:22], v[15:16], v[17:18]
	v_add_f64 v[3:4], v[3:4], v[10:11]
	s_delay_alu instid0(VALU_DEP_2)
	v_add_f64 v[1:2], v[1:2], v[15:16]
	s_and_not1_b32 exec_lo, exec_lo, s3
	s_cbranch_execnz .LBB95_129
; %bb.130:
	s_or_b32 exec_lo, exec_lo, s3
	v_mov_b32_e32 v7, 0
	ds_load_b128 v[7:10], v7 offset:464
	s_waitcnt lgkmcnt(0)
	v_mul_f64 v[11:12], v[1:2], v[9:10]
	v_mul_f64 v[15:16], v[3:4], v[9:10]
	s_delay_alu instid0(VALU_DEP_2) | instskip(NEXT) | instid1(VALU_DEP_2)
	v_fma_f64 v[9:10], v[3:4], v[7:8], -v[11:12]
	v_fma_f64 v[11:12], v[1:2], v[7:8], v[15:16]
	scratch_store_b128 off, v[9:12], off offset:464
.LBB95_131:
	s_or_b32 exec_lo, exec_lo, s2
	s_waitcnt_vscnt null, 0x0
	s_barrier
	buffer_gl0_inv
	scratch_load_b128 v[1:4], v112, off
	s_mov_b32 s2, exec_lo
	s_waitcnt vmcnt(0)
	ds_store_b128 v5, v[1:4]
	s_waitcnt lgkmcnt(0)
	s_barrier
	buffer_gl0_inv
	v_cmpx_gt_u32_e32 30, v106
	s_cbranch_execz .LBB95_135
; %bb.132:
	v_dual_mov_b32 v1, 0 :: v_dual_add_nc_u32 v8, 0x200, v13
	v_dual_mov_b32 v2, 0 :: v_dual_add_nc_u32 v7, -1, v106
	v_or_b32_e32 v9, 8, v14
	s_mov_b32 s3, 0
	s_delay_alu instid0(VALU_DEP_2)
	v_dual_mov_b32 v4, v2 :: v_dual_mov_b32 v3, v1
	.p2align	6
.LBB95_133:                             ; =>This Inner Loop Header: Depth=1
	scratch_load_b128 v[10:13], v9, off offset:-8
	ds_load_b128 v[15:18], v8
	v_add_nc_u32_e32 v7, 1, v7
	v_add_nc_u32_e32 v8, 16, v8
	;; [unrolled: 1-line block ×3, first 2 shown]
	s_delay_alu instid0(VALU_DEP_3) | instskip(SKIP_4) | instid1(VALU_DEP_2)
	v_cmp_lt_u32_e32 vcc_lo, 28, v7
	s_or_b32 s3, vcc_lo, s3
	s_waitcnt vmcnt(0) lgkmcnt(0)
	v_mul_f64 v[19:20], v[17:18], v[12:13]
	v_mul_f64 v[12:13], v[15:16], v[12:13]
	v_fma_f64 v[15:16], v[15:16], v[10:11], -v[19:20]
	s_delay_alu instid0(VALU_DEP_2) | instskip(NEXT) | instid1(VALU_DEP_2)
	v_fma_f64 v[10:11], v[17:18], v[10:11], v[12:13]
	v_add_f64 v[3:4], v[3:4], v[15:16]
	s_delay_alu instid0(VALU_DEP_2)
	v_add_f64 v[1:2], v[1:2], v[10:11]
	s_and_not1_b32 exec_lo, exec_lo, s3
	s_cbranch_execnz .LBB95_133
; %bb.134:
	s_or_b32 exec_lo, exec_lo, s3
	v_mov_b32_e32 v7, 0
	ds_load_b128 v[7:10], v7 offset:480
	s_waitcnt lgkmcnt(0)
	v_mul_f64 v[11:12], v[1:2], v[9:10]
	v_mul_f64 v[15:16], v[3:4], v[9:10]
	s_delay_alu instid0(VALU_DEP_2) | instskip(NEXT) | instid1(VALU_DEP_2)
	v_fma_f64 v[9:10], v[3:4], v[7:8], -v[11:12]
	v_fma_f64 v[11:12], v[1:2], v[7:8], v[15:16]
	scratch_store_b128 off, v[9:12], off offset:480
.LBB95_135:
	s_or_b32 exec_lo, exec_lo, s2
	s_waitcnt_vscnt null, 0x0
	s_barrier
	buffer_gl0_inv
	scratch_load_b128 v[1:4], v111, off
	s_mov_b32 s2, exec_lo
	s_waitcnt vmcnt(0)
	ds_store_b128 v5, v[1:4]
	s_waitcnt lgkmcnt(0)
	s_barrier
	buffer_gl0_inv
	v_cmpx_ne_u32_e32 31, v106
	s_cbranch_execz .LBB95_139
; %bb.136:
	v_mov_b32_e32 v1, 0
	v_mov_b32_e32 v2, 0
	v_or_b32_e32 v7, 8, v14
	s_mov_b32 s3, 0
	s_delay_alu instid0(VALU_DEP_2)
	v_dual_mov_b32 v4, v2 :: v_dual_mov_b32 v3, v1
	.p2align	6
.LBB95_137:                             ; =>This Inner Loop Header: Depth=1
	scratch_load_b128 v[8:11], v7, off offset:-8
	ds_load_b128 v[12:15], v5
	v_add_nc_u32_e32 v6, 1, v6
	v_add_nc_u32_e32 v5, 16, v5
	;; [unrolled: 1-line block ×3, first 2 shown]
	s_delay_alu instid0(VALU_DEP_3) | instskip(SKIP_4) | instid1(VALU_DEP_2)
	v_cmp_lt_u32_e32 vcc_lo, 29, v6
	s_or_b32 s3, vcc_lo, s3
	s_waitcnt vmcnt(0) lgkmcnt(0)
	v_mul_f64 v[16:17], v[14:15], v[10:11]
	v_mul_f64 v[10:11], v[12:13], v[10:11]
	v_fma_f64 v[12:13], v[12:13], v[8:9], -v[16:17]
	s_delay_alu instid0(VALU_DEP_2) | instskip(NEXT) | instid1(VALU_DEP_2)
	v_fma_f64 v[8:9], v[14:15], v[8:9], v[10:11]
	v_add_f64 v[3:4], v[3:4], v[12:13]
	s_delay_alu instid0(VALU_DEP_2)
	v_add_f64 v[1:2], v[1:2], v[8:9]
	s_and_not1_b32 exec_lo, exec_lo, s3
	s_cbranch_execnz .LBB95_137
; %bb.138:
	s_or_b32 exec_lo, exec_lo, s3
	v_mov_b32_e32 v5, 0
	ds_load_b128 v[5:8], v5 offset:496
	s_waitcnt lgkmcnt(0)
	v_mul_f64 v[9:10], v[1:2], v[7:8]
	v_mul_f64 v[7:8], v[3:4], v[7:8]
	s_delay_alu instid0(VALU_DEP_2) | instskip(NEXT) | instid1(VALU_DEP_2)
	v_fma_f64 v[3:4], v[3:4], v[5:6], -v[9:10]
	v_fma_f64 v[5:6], v[1:2], v[5:6], v[7:8]
	scratch_store_b128 off, v[3:6], off offset:496
.LBB95_139:
	s_or_b32 exec_lo, exec_lo, s2
	s_mov_b32 s3, -1
	s_waitcnt_vscnt null, 0x0
	s_barrier
	buffer_gl0_inv
.LBB95_140:
	s_and_b32 vcc_lo, exec_lo, s3
	s_cbranch_vccz .LBB95_142
; %bb.141:
	s_lshl_b64 s[2:3], s[10:11], 2
	v_mov_b32_e32 v1, 0
	s_add_u32 s2, s6, s2
	s_addc_u32 s3, s7, s3
	global_load_b32 v1, v1, s[2:3]
	s_waitcnt vmcnt(0)
	v_cmp_ne_u32_e32 vcc_lo, 0, v1
	s_cbranch_vccz .LBB95_143
.LBB95_142:
	s_endpgm
.LBB95_143:
	v_lshl_add_u32 v138, v106, 4, 0x200
	s_mov_b32 s2, exec_lo
	v_cmpx_eq_u32_e32 31, v106
	s_cbranch_execz .LBB95_145
; %bb.144:
	scratch_load_b128 v[1:4], v112, off
	v_mov_b32_e32 v5, 0
	s_delay_alu instid0(VALU_DEP_1)
	v_mov_b32_e32 v6, v5
	v_mov_b32_e32 v7, v5
	;; [unrolled: 1-line block ×3, first 2 shown]
	scratch_store_b128 off, v[5:8], off offset:480
	s_waitcnt vmcnt(0)
	ds_store_b128 v138, v[1:4]
.LBB95_145:
	s_or_b32 exec_lo, exec_lo, s2
	s_waitcnt lgkmcnt(0)
	s_waitcnt_vscnt null, 0x0
	s_barrier
	buffer_gl0_inv
	s_clause 0x1
	scratch_load_b128 v[2:5], off, off offset:496
	scratch_load_b128 v[6:9], off, off offset:480
	v_mov_b32_e32 v1, 0
	s_mov_b32 s2, exec_lo
	ds_load_b128 v[10:13], v1 offset:1008
	s_waitcnt vmcnt(1) lgkmcnt(0)
	v_mul_f64 v[14:15], v[12:13], v[4:5]
	v_mul_f64 v[4:5], v[10:11], v[4:5]
	s_delay_alu instid0(VALU_DEP_2) | instskip(NEXT) | instid1(VALU_DEP_2)
	v_fma_f64 v[10:11], v[10:11], v[2:3], -v[14:15]
	v_fma_f64 v[2:3], v[12:13], v[2:3], v[4:5]
	s_delay_alu instid0(VALU_DEP_2) | instskip(NEXT) | instid1(VALU_DEP_2)
	v_add_f64 v[4:5], v[10:11], 0
	v_add_f64 v[10:11], v[2:3], 0
	s_waitcnt vmcnt(0)
	s_delay_alu instid0(VALU_DEP_2) | instskip(NEXT) | instid1(VALU_DEP_2)
	v_add_f64 v[2:3], v[6:7], -v[4:5]
	v_add_f64 v[4:5], v[8:9], -v[10:11]
	scratch_store_b128 off, v[2:5], off offset:480
	v_cmpx_lt_u32_e32 29, v106
	s_cbranch_execz .LBB95_147
; %bb.146:
	scratch_load_b128 v[5:8], v113, off
	v_mov_b32_e32 v2, v1
	v_mov_b32_e32 v3, v1
	;; [unrolled: 1-line block ×3, first 2 shown]
	scratch_store_b128 off, v[1:4], off offset:464
	s_waitcnt vmcnt(0)
	ds_store_b128 v138, v[5:8]
.LBB95_147:
	s_or_b32 exec_lo, exec_lo, s2
	s_waitcnt lgkmcnt(0)
	s_waitcnt_vscnt null, 0x0
	s_barrier
	buffer_gl0_inv
	s_clause 0x2
	scratch_load_b128 v[2:5], off, off offset:480
	scratch_load_b128 v[6:9], off, off offset:496
	;; [unrolled: 1-line block ×3, first 2 shown]
	ds_load_b128 v[14:17], v1 offset:992
	ds_load_b128 v[18:21], v1 offset:1008
	s_mov_b32 s2, exec_lo
	s_waitcnt vmcnt(2) lgkmcnt(1)
	v_mul_f64 v[22:23], v[16:17], v[4:5]
	v_mul_f64 v[4:5], v[14:15], v[4:5]
	s_waitcnt vmcnt(1) lgkmcnt(0)
	v_mul_f64 v[24:25], v[18:19], v[8:9]
	v_mul_f64 v[8:9], v[20:21], v[8:9]
	s_delay_alu instid0(VALU_DEP_4) | instskip(NEXT) | instid1(VALU_DEP_4)
	v_fma_f64 v[14:15], v[14:15], v[2:3], -v[22:23]
	v_fma_f64 v[1:2], v[16:17], v[2:3], v[4:5]
	s_delay_alu instid0(VALU_DEP_4) | instskip(NEXT) | instid1(VALU_DEP_4)
	v_fma_f64 v[3:4], v[20:21], v[6:7], v[24:25]
	v_fma_f64 v[5:6], v[18:19], v[6:7], -v[8:9]
	s_delay_alu instid0(VALU_DEP_4) | instskip(NEXT) | instid1(VALU_DEP_4)
	v_add_f64 v[7:8], v[14:15], 0
	v_add_f64 v[1:2], v[1:2], 0
	s_delay_alu instid0(VALU_DEP_2) | instskip(NEXT) | instid1(VALU_DEP_2)
	v_add_f64 v[5:6], v[7:8], v[5:6]
	v_add_f64 v[3:4], v[1:2], v[3:4]
	s_waitcnt vmcnt(0)
	s_delay_alu instid0(VALU_DEP_2) | instskip(NEXT) | instid1(VALU_DEP_2)
	v_add_f64 v[1:2], v[10:11], -v[5:6]
	v_add_f64 v[3:4], v[12:13], -v[3:4]
	scratch_store_b128 off, v[1:4], off offset:464
	v_cmpx_lt_u32_e32 28, v106
	s_cbranch_execz .LBB95_149
; %bb.148:
	scratch_load_b128 v[1:4], v114, off
	v_mov_b32_e32 v5, 0
	s_delay_alu instid0(VALU_DEP_1)
	v_mov_b32_e32 v6, v5
	v_mov_b32_e32 v7, v5
	;; [unrolled: 1-line block ×3, first 2 shown]
	scratch_store_b128 off, v[5:8], off offset:448
	s_waitcnt vmcnt(0)
	ds_store_b128 v138, v[1:4]
.LBB95_149:
	s_or_b32 exec_lo, exec_lo, s2
	s_waitcnt lgkmcnt(0)
	s_waitcnt_vscnt null, 0x0
	s_barrier
	buffer_gl0_inv
	s_clause 0x3
	scratch_load_b128 v[2:5], off, off offset:464
	scratch_load_b128 v[6:9], off, off offset:480
	;; [unrolled: 1-line block ×4, first 2 shown]
	v_mov_b32_e32 v1, 0
	ds_load_b128 v[18:21], v1 offset:976
	ds_load_b128 v[22:25], v1 offset:992
	s_mov_b32 s2, exec_lo
	s_waitcnt vmcnt(3) lgkmcnt(1)
	v_mul_f64 v[26:27], v[20:21], v[4:5]
	v_mul_f64 v[4:5], v[18:19], v[4:5]
	s_waitcnt vmcnt(2) lgkmcnt(0)
	v_mul_f64 v[28:29], v[22:23], v[8:9]
	v_mul_f64 v[8:9], v[24:25], v[8:9]
	s_delay_alu instid0(VALU_DEP_4) | instskip(NEXT) | instid1(VALU_DEP_4)
	v_fma_f64 v[18:19], v[18:19], v[2:3], -v[26:27]
	v_fma_f64 v[20:21], v[20:21], v[2:3], v[4:5]
	ds_load_b128 v[2:5], v1 offset:1008
	v_fma_f64 v[24:25], v[24:25], v[6:7], v[28:29]
	v_fma_f64 v[6:7], v[22:23], v[6:7], -v[8:9]
	s_waitcnt vmcnt(1) lgkmcnt(0)
	v_mul_f64 v[26:27], v[2:3], v[12:13]
	v_mul_f64 v[12:13], v[4:5], v[12:13]
	v_add_f64 v[8:9], v[18:19], 0
	v_add_f64 v[18:19], v[20:21], 0
	s_delay_alu instid0(VALU_DEP_4) | instskip(NEXT) | instid1(VALU_DEP_4)
	v_fma_f64 v[4:5], v[4:5], v[10:11], v[26:27]
	v_fma_f64 v[2:3], v[2:3], v[10:11], -v[12:13]
	s_delay_alu instid0(VALU_DEP_4) | instskip(NEXT) | instid1(VALU_DEP_4)
	v_add_f64 v[6:7], v[8:9], v[6:7]
	v_add_f64 v[8:9], v[18:19], v[24:25]
	s_delay_alu instid0(VALU_DEP_2) | instskip(NEXT) | instid1(VALU_DEP_2)
	v_add_f64 v[2:3], v[6:7], v[2:3]
	v_add_f64 v[4:5], v[8:9], v[4:5]
	s_waitcnt vmcnt(0)
	s_delay_alu instid0(VALU_DEP_2) | instskip(NEXT) | instid1(VALU_DEP_2)
	v_add_f64 v[2:3], v[14:15], -v[2:3]
	v_add_f64 v[4:5], v[16:17], -v[4:5]
	scratch_store_b128 off, v[2:5], off offset:448
	v_cmpx_lt_u32_e32 27, v106
	s_cbranch_execz .LBB95_151
; %bb.150:
	scratch_load_b128 v[5:8], v116, off
	v_mov_b32_e32 v2, v1
	v_mov_b32_e32 v3, v1
	;; [unrolled: 1-line block ×3, first 2 shown]
	scratch_store_b128 off, v[1:4], off offset:432
	s_waitcnt vmcnt(0)
	ds_store_b128 v138, v[5:8]
.LBB95_151:
	s_or_b32 exec_lo, exec_lo, s2
	s_waitcnt lgkmcnt(0)
	s_waitcnt_vscnt null, 0x0
	s_barrier
	buffer_gl0_inv
	s_clause 0x4
	scratch_load_b128 v[2:5], off, off offset:448
	scratch_load_b128 v[6:9], off, off offset:464
	;; [unrolled: 1-line block ×5, first 2 shown]
	ds_load_b128 v[22:25], v1 offset:960
	ds_load_b128 v[26:29], v1 offset:976
	s_mov_b32 s2, exec_lo
	s_waitcnt vmcnt(4) lgkmcnt(1)
	v_mul_f64 v[30:31], v[24:25], v[4:5]
	v_mul_f64 v[4:5], v[22:23], v[4:5]
	s_waitcnt vmcnt(3) lgkmcnt(0)
	v_mul_f64 v[32:33], v[26:27], v[8:9]
	v_mul_f64 v[8:9], v[28:29], v[8:9]
	s_delay_alu instid0(VALU_DEP_4) | instskip(NEXT) | instid1(VALU_DEP_4)
	v_fma_f64 v[30:31], v[22:23], v[2:3], -v[30:31]
	v_fma_f64 v[34:35], v[24:25], v[2:3], v[4:5]
	ds_load_b128 v[2:5], v1 offset:992
	ds_load_b128 v[22:25], v1 offset:1008
	v_fma_f64 v[28:29], v[28:29], v[6:7], v[32:33]
	v_fma_f64 v[6:7], v[26:27], v[6:7], -v[8:9]
	s_waitcnt vmcnt(2) lgkmcnt(1)
	v_mul_f64 v[36:37], v[2:3], v[12:13]
	v_mul_f64 v[12:13], v[4:5], v[12:13]
	v_add_f64 v[8:9], v[30:31], 0
	v_add_f64 v[26:27], v[34:35], 0
	s_waitcnt vmcnt(1) lgkmcnt(0)
	v_mul_f64 v[30:31], v[22:23], v[16:17]
	v_mul_f64 v[16:17], v[24:25], v[16:17]
	v_fma_f64 v[4:5], v[4:5], v[10:11], v[36:37]
	v_fma_f64 v[1:2], v[2:3], v[10:11], -v[12:13]
	v_add_f64 v[6:7], v[8:9], v[6:7]
	v_add_f64 v[8:9], v[26:27], v[28:29]
	v_fma_f64 v[10:11], v[24:25], v[14:15], v[30:31]
	v_fma_f64 v[12:13], v[22:23], v[14:15], -v[16:17]
	s_delay_alu instid0(VALU_DEP_4) | instskip(NEXT) | instid1(VALU_DEP_4)
	v_add_f64 v[1:2], v[6:7], v[1:2]
	v_add_f64 v[3:4], v[8:9], v[4:5]
	s_delay_alu instid0(VALU_DEP_2) | instskip(NEXT) | instid1(VALU_DEP_2)
	v_add_f64 v[1:2], v[1:2], v[12:13]
	v_add_f64 v[3:4], v[3:4], v[10:11]
	s_waitcnt vmcnt(0)
	s_delay_alu instid0(VALU_DEP_2) | instskip(NEXT) | instid1(VALU_DEP_2)
	v_add_f64 v[1:2], v[18:19], -v[1:2]
	v_add_f64 v[3:4], v[20:21], -v[3:4]
	scratch_store_b128 off, v[1:4], off offset:432
	v_cmpx_lt_u32_e32 26, v106
	s_cbranch_execz .LBB95_153
; %bb.152:
	scratch_load_b128 v[1:4], v115, off
	v_mov_b32_e32 v5, 0
	s_delay_alu instid0(VALU_DEP_1)
	v_mov_b32_e32 v6, v5
	v_mov_b32_e32 v7, v5
	;; [unrolled: 1-line block ×3, first 2 shown]
	scratch_store_b128 off, v[5:8], off offset:416
	s_waitcnt vmcnt(0)
	ds_store_b128 v138, v[1:4]
.LBB95_153:
	s_or_b32 exec_lo, exec_lo, s2
	s_waitcnt lgkmcnt(0)
	s_waitcnt_vscnt null, 0x0
	s_barrier
	buffer_gl0_inv
	s_clause 0x5
	scratch_load_b128 v[2:5], off, off offset:432
	scratch_load_b128 v[6:9], off, off offset:448
	;; [unrolled: 1-line block ×6, first 2 shown]
	v_mov_b32_e32 v1, 0
	ds_load_b128 v[26:29], v1 offset:944
	ds_load_b128 v[30:33], v1 offset:960
	s_mov_b32 s2, exec_lo
	s_waitcnt vmcnt(5) lgkmcnt(1)
	v_mul_f64 v[34:35], v[28:29], v[4:5]
	v_mul_f64 v[4:5], v[26:27], v[4:5]
	s_waitcnt vmcnt(4) lgkmcnt(0)
	v_mul_f64 v[36:37], v[30:31], v[8:9]
	v_mul_f64 v[8:9], v[32:33], v[8:9]
	s_delay_alu instid0(VALU_DEP_4) | instskip(NEXT) | instid1(VALU_DEP_4)
	v_fma_f64 v[34:35], v[26:27], v[2:3], -v[34:35]
	v_fma_f64 v[38:39], v[28:29], v[2:3], v[4:5]
	ds_load_b128 v[2:5], v1 offset:976
	ds_load_b128 v[26:29], v1 offset:992
	v_fma_f64 v[32:33], v[32:33], v[6:7], v[36:37]
	v_fma_f64 v[6:7], v[30:31], v[6:7], -v[8:9]
	s_waitcnt vmcnt(3) lgkmcnt(1)
	v_mul_f64 v[40:41], v[2:3], v[12:13]
	v_mul_f64 v[12:13], v[4:5], v[12:13]
	v_add_f64 v[8:9], v[34:35], 0
	v_add_f64 v[30:31], v[38:39], 0
	s_waitcnt vmcnt(2) lgkmcnt(0)
	v_mul_f64 v[34:35], v[26:27], v[16:17]
	v_mul_f64 v[16:17], v[28:29], v[16:17]
	v_fma_f64 v[36:37], v[4:5], v[10:11], v[40:41]
	v_fma_f64 v[10:11], v[2:3], v[10:11], -v[12:13]
	ds_load_b128 v[2:5], v1 offset:1008
	v_add_f64 v[6:7], v[8:9], v[6:7]
	v_add_f64 v[8:9], v[30:31], v[32:33]
	v_fma_f64 v[28:29], v[28:29], v[14:15], v[34:35]
	v_fma_f64 v[14:15], v[26:27], v[14:15], -v[16:17]
	s_waitcnt vmcnt(1) lgkmcnt(0)
	v_mul_f64 v[12:13], v[2:3], v[20:21]
	v_mul_f64 v[20:21], v[4:5], v[20:21]
	v_add_f64 v[6:7], v[6:7], v[10:11]
	v_add_f64 v[8:9], v[8:9], v[36:37]
	s_delay_alu instid0(VALU_DEP_4) | instskip(NEXT) | instid1(VALU_DEP_4)
	v_fma_f64 v[4:5], v[4:5], v[18:19], v[12:13]
	v_fma_f64 v[2:3], v[2:3], v[18:19], -v[20:21]
	s_delay_alu instid0(VALU_DEP_4) | instskip(NEXT) | instid1(VALU_DEP_4)
	v_add_f64 v[6:7], v[6:7], v[14:15]
	v_add_f64 v[8:9], v[8:9], v[28:29]
	s_delay_alu instid0(VALU_DEP_2) | instskip(NEXT) | instid1(VALU_DEP_2)
	v_add_f64 v[2:3], v[6:7], v[2:3]
	v_add_f64 v[4:5], v[8:9], v[4:5]
	s_waitcnt vmcnt(0)
	s_delay_alu instid0(VALU_DEP_2) | instskip(NEXT) | instid1(VALU_DEP_2)
	v_add_f64 v[2:3], v[22:23], -v[2:3]
	v_add_f64 v[4:5], v[24:25], -v[4:5]
	scratch_store_b128 off, v[2:5], off offset:416
	v_cmpx_lt_u32_e32 25, v106
	s_cbranch_execz .LBB95_155
; %bb.154:
	scratch_load_b128 v[5:8], v117, off
	v_mov_b32_e32 v2, v1
	v_mov_b32_e32 v3, v1
	;; [unrolled: 1-line block ×3, first 2 shown]
	scratch_store_b128 off, v[1:4], off offset:400
	s_waitcnt vmcnt(0)
	ds_store_b128 v138, v[5:8]
.LBB95_155:
	s_or_b32 exec_lo, exec_lo, s2
	s_waitcnt lgkmcnt(0)
	s_waitcnt_vscnt null, 0x0
	s_barrier
	buffer_gl0_inv
	s_clause 0x5
	scratch_load_b128 v[2:5], off, off offset:416
	scratch_load_b128 v[6:9], off, off offset:432
	;; [unrolled: 1-line block ×6, first 2 shown]
	ds_load_b128 v[26:29], v1 offset:928
	ds_load_b128 v[34:37], v1 offset:944
	scratch_load_b128 v[30:33], off, off offset:400
	s_mov_b32 s2, exec_lo
	s_waitcnt vmcnt(6) lgkmcnt(1)
	v_mul_f64 v[38:39], v[28:29], v[4:5]
	v_mul_f64 v[4:5], v[26:27], v[4:5]
	s_waitcnt vmcnt(5) lgkmcnt(0)
	v_mul_f64 v[40:41], v[34:35], v[8:9]
	v_mul_f64 v[8:9], v[36:37], v[8:9]
	s_delay_alu instid0(VALU_DEP_4) | instskip(NEXT) | instid1(VALU_DEP_4)
	v_fma_f64 v[38:39], v[26:27], v[2:3], -v[38:39]
	v_fma_f64 v[139:140], v[28:29], v[2:3], v[4:5]
	ds_load_b128 v[2:5], v1 offset:960
	ds_load_b128 v[26:29], v1 offset:976
	v_fma_f64 v[36:37], v[36:37], v[6:7], v[40:41]
	v_fma_f64 v[6:7], v[34:35], v[6:7], -v[8:9]
	s_waitcnt vmcnt(4) lgkmcnt(1)
	v_mul_f64 v[141:142], v[2:3], v[12:13]
	v_mul_f64 v[12:13], v[4:5], v[12:13]
	v_add_f64 v[8:9], v[38:39], 0
	v_add_f64 v[34:35], v[139:140], 0
	s_waitcnt vmcnt(3) lgkmcnt(0)
	v_mul_f64 v[38:39], v[26:27], v[16:17]
	v_mul_f64 v[16:17], v[28:29], v[16:17]
	v_fma_f64 v[40:41], v[4:5], v[10:11], v[141:142]
	v_fma_f64 v[10:11], v[2:3], v[10:11], -v[12:13]
	v_add_f64 v[12:13], v[8:9], v[6:7]
	v_add_f64 v[34:35], v[34:35], v[36:37]
	ds_load_b128 v[2:5], v1 offset:992
	ds_load_b128 v[6:9], v1 offset:1008
	v_fma_f64 v[28:29], v[28:29], v[14:15], v[38:39]
	v_fma_f64 v[14:15], v[26:27], v[14:15], -v[16:17]
	s_waitcnt vmcnt(2) lgkmcnt(1)
	v_mul_f64 v[36:37], v[2:3], v[20:21]
	v_mul_f64 v[20:21], v[4:5], v[20:21]
	s_waitcnt vmcnt(1) lgkmcnt(0)
	v_mul_f64 v[16:17], v[6:7], v[24:25]
	v_mul_f64 v[24:25], v[8:9], v[24:25]
	v_add_f64 v[10:11], v[12:13], v[10:11]
	v_add_f64 v[12:13], v[34:35], v[40:41]
	v_fma_f64 v[4:5], v[4:5], v[18:19], v[36:37]
	v_fma_f64 v[1:2], v[2:3], v[18:19], -v[20:21]
	v_fma_f64 v[8:9], v[8:9], v[22:23], v[16:17]
	v_fma_f64 v[6:7], v[6:7], v[22:23], -v[24:25]
	v_add_f64 v[10:11], v[10:11], v[14:15]
	v_add_f64 v[12:13], v[12:13], v[28:29]
	s_delay_alu instid0(VALU_DEP_2) | instskip(NEXT) | instid1(VALU_DEP_2)
	v_add_f64 v[1:2], v[10:11], v[1:2]
	v_add_f64 v[3:4], v[12:13], v[4:5]
	s_delay_alu instid0(VALU_DEP_2) | instskip(NEXT) | instid1(VALU_DEP_2)
	v_add_f64 v[1:2], v[1:2], v[6:7]
	v_add_f64 v[3:4], v[3:4], v[8:9]
	s_waitcnt vmcnt(0)
	s_delay_alu instid0(VALU_DEP_2) | instskip(NEXT) | instid1(VALU_DEP_2)
	v_add_f64 v[1:2], v[30:31], -v[1:2]
	v_add_f64 v[3:4], v[32:33], -v[3:4]
	scratch_store_b128 off, v[1:4], off offset:400
	v_cmpx_lt_u32_e32 24, v106
	s_cbranch_execz .LBB95_157
; %bb.156:
	scratch_load_b128 v[1:4], v118, off
	v_mov_b32_e32 v5, 0
	s_delay_alu instid0(VALU_DEP_1)
	v_mov_b32_e32 v6, v5
	v_mov_b32_e32 v7, v5
	;; [unrolled: 1-line block ×3, first 2 shown]
	scratch_store_b128 off, v[5:8], off offset:384
	s_waitcnt vmcnt(0)
	ds_store_b128 v138, v[1:4]
.LBB95_157:
	s_or_b32 exec_lo, exec_lo, s2
	s_waitcnt lgkmcnt(0)
	s_waitcnt_vscnt null, 0x0
	s_barrier
	buffer_gl0_inv
	s_clause 0x6
	scratch_load_b128 v[2:5], off, off offset:400
	scratch_load_b128 v[6:9], off, off offset:416
	scratch_load_b128 v[10:13], off, off offset:432
	scratch_load_b128 v[14:17], off, off offset:448
	scratch_load_b128 v[18:21], off, off offset:464
	scratch_load_b128 v[22:25], off, off offset:480
	scratch_load_b128 v[26:29], off, off offset:496
	v_mov_b32_e32 v1, 0
	scratch_load_b128 v[34:37], off, off offset:384
	s_mov_b32 s2, exec_lo
	ds_load_b128 v[30:33], v1 offset:912
	ds_load_b128 v[38:41], v1 offset:928
	s_waitcnt vmcnt(7) lgkmcnt(1)
	v_mul_f64 v[139:140], v[32:33], v[4:5]
	v_mul_f64 v[4:5], v[30:31], v[4:5]
	s_waitcnt vmcnt(6) lgkmcnt(0)
	v_mul_f64 v[141:142], v[38:39], v[8:9]
	v_mul_f64 v[8:9], v[40:41], v[8:9]
	s_delay_alu instid0(VALU_DEP_4) | instskip(NEXT) | instid1(VALU_DEP_4)
	v_fma_f64 v[139:140], v[30:31], v[2:3], -v[139:140]
	v_fma_f64 v[143:144], v[32:33], v[2:3], v[4:5]
	ds_load_b128 v[2:5], v1 offset:944
	ds_load_b128 v[30:33], v1 offset:960
	v_fma_f64 v[40:41], v[40:41], v[6:7], v[141:142]
	v_fma_f64 v[6:7], v[38:39], v[6:7], -v[8:9]
	s_waitcnt vmcnt(5) lgkmcnt(1)
	v_mul_f64 v[145:146], v[2:3], v[12:13]
	v_mul_f64 v[12:13], v[4:5], v[12:13]
	v_add_f64 v[8:9], v[139:140], 0
	v_add_f64 v[38:39], v[143:144], 0
	s_waitcnt vmcnt(4) lgkmcnt(0)
	v_mul_f64 v[139:140], v[30:31], v[16:17]
	v_mul_f64 v[16:17], v[32:33], v[16:17]
	v_fma_f64 v[141:142], v[4:5], v[10:11], v[145:146]
	v_fma_f64 v[10:11], v[2:3], v[10:11], -v[12:13]
	v_add_f64 v[12:13], v[8:9], v[6:7]
	v_add_f64 v[38:39], v[38:39], v[40:41]
	ds_load_b128 v[2:5], v1 offset:976
	ds_load_b128 v[6:9], v1 offset:992
	v_fma_f64 v[32:33], v[32:33], v[14:15], v[139:140]
	v_fma_f64 v[14:15], v[30:31], v[14:15], -v[16:17]
	s_waitcnt vmcnt(3) lgkmcnt(1)
	v_mul_f64 v[40:41], v[2:3], v[20:21]
	v_mul_f64 v[20:21], v[4:5], v[20:21]
	s_waitcnt vmcnt(2) lgkmcnt(0)
	v_mul_f64 v[16:17], v[6:7], v[24:25]
	v_mul_f64 v[24:25], v[8:9], v[24:25]
	v_add_f64 v[10:11], v[12:13], v[10:11]
	v_add_f64 v[12:13], v[38:39], v[141:142]
	v_fma_f64 v[30:31], v[4:5], v[18:19], v[40:41]
	v_fma_f64 v[18:19], v[2:3], v[18:19], -v[20:21]
	ds_load_b128 v[2:5], v1 offset:1008
	v_fma_f64 v[8:9], v[8:9], v[22:23], v[16:17]
	v_fma_f64 v[6:7], v[6:7], v[22:23], -v[24:25]
	v_add_f64 v[10:11], v[10:11], v[14:15]
	v_add_f64 v[12:13], v[12:13], v[32:33]
	s_waitcnt vmcnt(1) lgkmcnt(0)
	v_mul_f64 v[14:15], v[2:3], v[28:29]
	v_mul_f64 v[20:21], v[4:5], v[28:29]
	s_delay_alu instid0(VALU_DEP_4) | instskip(NEXT) | instid1(VALU_DEP_4)
	v_add_f64 v[10:11], v[10:11], v[18:19]
	v_add_f64 v[12:13], v[12:13], v[30:31]
	s_delay_alu instid0(VALU_DEP_4) | instskip(NEXT) | instid1(VALU_DEP_4)
	v_fma_f64 v[4:5], v[4:5], v[26:27], v[14:15]
	v_fma_f64 v[2:3], v[2:3], v[26:27], -v[20:21]
	s_delay_alu instid0(VALU_DEP_4) | instskip(NEXT) | instid1(VALU_DEP_4)
	v_add_f64 v[6:7], v[10:11], v[6:7]
	v_add_f64 v[8:9], v[12:13], v[8:9]
	s_delay_alu instid0(VALU_DEP_2) | instskip(NEXT) | instid1(VALU_DEP_2)
	v_add_f64 v[2:3], v[6:7], v[2:3]
	v_add_f64 v[4:5], v[8:9], v[4:5]
	s_waitcnt vmcnt(0)
	s_delay_alu instid0(VALU_DEP_2) | instskip(NEXT) | instid1(VALU_DEP_2)
	v_add_f64 v[2:3], v[34:35], -v[2:3]
	v_add_f64 v[4:5], v[36:37], -v[4:5]
	scratch_store_b128 off, v[2:5], off offset:384
	v_cmpx_lt_u32_e32 23, v106
	s_cbranch_execz .LBB95_159
; %bb.158:
	scratch_load_b128 v[5:8], v120, off
	v_mov_b32_e32 v2, v1
	v_mov_b32_e32 v3, v1
	;; [unrolled: 1-line block ×3, first 2 shown]
	scratch_store_b128 off, v[1:4], off offset:368
	s_waitcnt vmcnt(0)
	ds_store_b128 v138, v[5:8]
.LBB95_159:
	s_or_b32 exec_lo, exec_lo, s2
	s_waitcnt lgkmcnt(0)
	s_waitcnt_vscnt null, 0x0
	s_barrier
	buffer_gl0_inv
	s_clause 0x7
	scratch_load_b128 v[2:5], off, off offset:384
	scratch_load_b128 v[6:9], off, off offset:400
	;; [unrolled: 1-line block ×8, first 2 shown]
	ds_load_b128 v[34:37], v1 offset:896
	ds_load_b128 v[38:41], v1 offset:912
	scratch_load_b128 v[139:142], off, off offset:368
	s_mov_b32 s2, exec_lo
	s_waitcnt vmcnt(8) lgkmcnt(1)
	v_mul_f64 v[143:144], v[36:37], v[4:5]
	v_mul_f64 v[4:5], v[34:35], v[4:5]
	s_waitcnt vmcnt(7) lgkmcnt(0)
	v_mul_f64 v[145:146], v[38:39], v[8:9]
	v_mul_f64 v[8:9], v[40:41], v[8:9]
	s_delay_alu instid0(VALU_DEP_4) | instskip(NEXT) | instid1(VALU_DEP_4)
	v_fma_f64 v[143:144], v[34:35], v[2:3], -v[143:144]
	v_fma_f64 v[147:148], v[36:37], v[2:3], v[4:5]
	ds_load_b128 v[2:5], v1 offset:928
	ds_load_b128 v[34:37], v1 offset:944
	v_fma_f64 v[40:41], v[40:41], v[6:7], v[145:146]
	v_fma_f64 v[6:7], v[38:39], v[6:7], -v[8:9]
	s_waitcnt vmcnt(6) lgkmcnt(1)
	v_mul_f64 v[149:150], v[2:3], v[12:13]
	v_mul_f64 v[12:13], v[4:5], v[12:13]
	v_add_f64 v[8:9], v[143:144], 0
	v_add_f64 v[38:39], v[147:148], 0
	s_waitcnt vmcnt(5) lgkmcnt(0)
	v_mul_f64 v[143:144], v[34:35], v[16:17]
	v_mul_f64 v[16:17], v[36:37], v[16:17]
	v_fma_f64 v[145:146], v[4:5], v[10:11], v[149:150]
	v_fma_f64 v[10:11], v[2:3], v[10:11], -v[12:13]
	v_add_f64 v[12:13], v[8:9], v[6:7]
	v_add_f64 v[38:39], v[38:39], v[40:41]
	ds_load_b128 v[2:5], v1 offset:960
	ds_load_b128 v[6:9], v1 offset:976
	v_fma_f64 v[36:37], v[36:37], v[14:15], v[143:144]
	v_fma_f64 v[14:15], v[34:35], v[14:15], -v[16:17]
	s_waitcnt vmcnt(4) lgkmcnt(1)
	v_mul_f64 v[40:41], v[2:3], v[20:21]
	v_mul_f64 v[20:21], v[4:5], v[20:21]
	s_waitcnt vmcnt(3) lgkmcnt(0)
	v_mul_f64 v[16:17], v[6:7], v[24:25]
	v_mul_f64 v[24:25], v[8:9], v[24:25]
	v_add_f64 v[10:11], v[12:13], v[10:11]
	v_add_f64 v[12:13], v[38:39], v[145:146]
	v_fma_f64 v[34:35], v[4:5], v[18:19], v[40:41]
	v_fma_f64 v[18:19], v[2:3], v[18:19], -v[20:21]
	v_fma_f64 v[8:9], v[8:9], v[22:23], v[16:17]
	v_fma_f64 v[6:7], v[6:7], v[22:23], -v[24:25]
	v_add_f64 v[14:15], v[10:11], v[14:15]
	v_add_f64 v[20:21], v[12:13], v[36:37]
	ds_load_b128 v[2:5], v1 offset:992
	ds_load_b128 v[10:13], v1 offset:1008
	s_waitcnt vmcnt(2) lgkmcnt(1)
	v_mul_f64 v[36:37], v[2:3], v[28:29]
	v_mul_f64 v[28:29], v[4:5], v[28:29]
	v_add_f64 v[14:15], v[14:15], v[18:19]
	v_add_f64 v[16:17], v[20:21], v[34:35]
	s_waitcnt vmcnt(1) lgkmcnt(0)
	v_mul_f64 v[18:19], v[10:11], v[32:33]
	v_mul_f64 v[20:21], v[12:13], v[32:33]
	v_fma_f64 v[4:5], v[4:5], v[26:27], v[36:37]
	v_fma_f64 v[1:2], v[2:3], v[26:27], -v[28:29]
	v_add_f64 v[6:7], v[14:15], v[6:7]
	v_add_f64 v[8:9], v[16:17], v[8:9]
	v_fma_f64 v[12:13], v[12:13], v[30:31], v[18:19]
	v_fma_f64 v[10:11], v[10:11], v[30:31], -v[20:21]
	s_delay_alu instid0(VALU_DEP_4) | instskip(NEXT) | instid1(VALU_DEP_4)
	v_add_f64 v[1:2], v[6:7], v[1:2]
	v_add_f64 v[3:4], v[8:9], v[4:5]
	s_delay_alu instid0(VALU_DEP_2) | instskip(NEXT) | instid1(VALU_DEP_2)
	v_add_f64 v[1:2], v[1:2], v[10:11]
	v_add_f64 v[3:4], v[3:4], v[12:13]
	s_waitcnt vmcnt(0)
	s_delay_alu instid0(VALU_DEP_2) | instskip(NEXT) | instid1(VALU_DEP_2)
	v_add_f64 v[1:2], v[139:140], -v[1:2]
	v_add_f64 v[3:4], v[141:142], -v[3:4]
	scratch_store_b128 off, v[1:4], off offset:368
	v_cmpx_lt_u32_e32 22, v106
	s_cbranch_execz .LBB95_161
; %bb.160:
	scratch_load_b128 v[1:4], v119, off
	v_mov_b32_e32 v5, 0
	s_delay_alu instid0(VALU_DEP_1)
	v_mov_b32_e32 v6, v5
	v_mov_b32_e32 v7, v5
	;; [unrolled: 1-line block ×3, first 2 shown]
	scratch_store_b128 off, v[5:8], off offset:352
	s_waitcnt vmcnt(0)
	ds_store_b128 v138, v[1:4]
.LBB95_161:
	s_or_b32 exec_lo, exec_lo, s2
	s_waitcnt lgkmcnt(0)
	s_waitcnt_vscnt null, 0x0
	s_barrier
	buffer_gl0_inv
	s_clause 0x7
	scratch_load_b128 v[2:5], off, off offset:368
	scratch_load_b128 v[6:9], off, off offset:384
	;; [unrolled: 1-line block ×8, first 2 shown]
	v_mov_b32_e32 v1, 0
	s_mov_b32 s2, exec_lo
	ds_load_b128 v[34:37], v1 offset:880
	s_clause 0x1
	scratch_load_b128 v[38:41], off, off offset:496
	scratch_load_b128 v[139:142], off, off offset:352
	ds_load_b128 v[143:146], v1 offset:896
	s_waitcnt vmcnt(9) lgkmcnt(1)
	v_mul_f64 v[147:148], v[36:37], v[4:5]
	v_mul_f64 v[4:5], v[34:35], v[4:5]
	s_waitcnt vmcnt(8) lgkmcnt(0)
	v_mul_f64 v[149:150], v[143:144], v[8:9]
	v_mul_f64 v[8:9], v[145:146], v[8:9]
	s_delay_alu instid0(VALU_DEP_4) | instskip(NEXT) | instid1(VALU_DEP_4)
	v_fma_f64 v[147:148], v[34:35], v[2:3], -v[147:148]
	v_fma_f64 v[151:152], v[36:37], v[2:3], v[4:5]
	ds_load_b128 v[2:5], v1 offset:912
	ds_load_b128 v[34:37], v1 offset:928
	v_fma_f64 v[145:146], v[145:146], v[6:7], v[149:150]
	v_fma_f64 v[6:7], v[143:144], v[6:7], -v[8:9]
	s_waitcnt vmcnt(7) lgkmcnt(1)
	v_mul_f64 v[153:154], v[2:3], v[12:13]
	v_mul_f64 v[12:13], v[4:5], v[12:13]
	v_add_f64 v[8:9], v[147:148], 0
	v_add_f64 v[143:144], v[151:152], 0
	s_waitcnt vmcnt(6) lgkmcnt(0)
	v_mul_f64 v[147:148], v[34:35], v[16:17]
	v_mul_f64 v[16:17], v[36:37], v[16:17]
	v_fma_f64 v[149:150], v[4:5], v[10:11], v[153:154]
	v_fma_f64 v[10:11], v[2:3], v[10:11], -v[12:13]
	v_add_f64 v[12:13], v[8:9], v[6:7]
	v_add_f64 v[143:144], v[143:144], v[145:146]
	ds_load_b128 v[2:5], v1 offset:944
	ds_load_b128 v[6:9], v1 offset:960
	v_fma_f64 v[36:37], v[36:37], v[14:15], v[147:148]
	v_fma_f64 v[14:15], v[34:35], v[14:15], -v[16:17]
	s_waitcnt vmcnt(5) lgkmcnt(1)
	v_mul_f64 v[145:146], v[2:3], v[20:21]
	v_mul_f64 v[20:21], v[4:5], v[20:21]
	s_waitcnt vmcnt(4) lgkmcnt(0)
	v_mul_f64 v[16:17], v[6:7], v[24:25]
	v_mul_f64 v[24:25], v[8:9], v[24:25]
	v_add_f64 v[10:11], v[12:13], v[10:11]
	v_add_f64 v[12:13], v[143:144], v[149:150]
	v_fma_f64 v[34:35], v[4:5], v[18:19], v[145:146]
	v_fma_f64 v[18:19], v[2:3], v[18:19], -v[20:21]
	v_fma_f64 v[8:9], v[8:9], v[22:23], v[16:17]
	v_fma_f64 v[6:7], v[6:7], v[22:23], -v[24:25]
	v_add_f64 v[14:15], v[10:11], v[14:15]
	v_add_f64 v[20:21], v[12:13], v[36:37]
	ds_load_b128 v[2:5], v1 offset:976
	ds_load_b128 v[10:13], v1 offset:992
	s_waitcnt vmcnt(3) lgkmcnt(1)
	v_mul_f64 v[36:37], v[2:3], v[28:29]
	v_mul_f64 v[28:29], v[4:5], v[28:29]
	v_add_f64 v[14:15], v[14:15], v[18:19]
	v_add_f64 v[16:17], v[20:21], v[34:35]
	s_waitcnt vmcnt(2) lgkmcnt(0)
	v_mul_f64 v[18:19], v[10:11], v[32:33]
	v_mul_f64 v[20:21], v[12:13], v[32:33]
	v_fma_f64 v[22:23], v[4:5], v[26:27], v[36:37]
	v_fma_f64 v[24:25], v[2:3], v[26:27], -v[28:29]
	ds_load_b128 v[2:5], v1 offset:1008
	v_add_f64 v[6:7], v[14:15], v[6:7]
	v_add_f64 v[8:9], v[16:17], v[8:9]
	v_fma_f64 v[12:13], v[12:13], v[30:31], v[18:19]
	v_fma_f64 v[10:11], v[10:11], v[30:31], -v[20:21]
	s_waitcnt vmcnt(1) lgkmcnt(0)
	v_mul_f64 v[14:15], v[2:3], v[40:41]
	v_mul_f64 v[16:17], v[4:5], v[40:41]
	v_add_f64 v[6:7], v[6:7], v[24:25]
	v_add_f64 v[8:9], v[8:9], v[22:23]
	s_delay_alu instid0(VALU_DEP_4) | instskip(NEXT) | instid1(VALU_DEP_4)
	v_fma_f64 v[4:5], v[4:5], v[38:39], v[14:15]
	v_fma_f64 v[2:3], v[2:3], v[38:39], -v[16:17]
	s_delay_alu instid0(VALU_DEP_4) | instskip(NEXT) | instid1(VALU_DEP_4)
	v_add_f64 v[6:7], v[6:7], v[10:11]
	v_add_f64 v[8:9], v[8:9], v[12:13]
	s_delay_alu instid0(VALU_DEP_2) | instskip(NEXT) | instid1(VALU_DEP_2)
	v_add_f64 v[2:3], v[6:7], v[2:3]
	v_add_f64 v[4:5], v[8:9], v[4:5]
	s_waitcnt vmcnt(0)
	s_delay_alu instid0(VALU_DEP_2) | instskip(NEXT) | instid1(VALU_DEP_2)
	v_add_f64 v[2:3], v[139:140], -v[2:3]
	v_add_f64 v[4:5], v[141:142], -v[4:5]
	scratch_store_b128 off, v[2:5], off offset:352
	v_cmpx_lt_u32_e32 21, v106
	s_cbranch_execz .LBB95_163
; %bb.162:
	scratch_load_b128 v[5:8], v121, off
	v_mov_b32_e32 v2, v1
	v_mov_b32_e32 v3, v1
	;; [unrolled: 1-line block ×3, first 2 shown]
	scratch_store_b128 off, v[1:4], off offset:336
	s_waitcnt vmcnt(0)
	ds_store_b128 v138, v[5:8]
.LBB95_163:
	s_or_b32 exec_lo, exec_lo, s2
	s_waitcnt lgkmcnt(0)
	s_waitcnt_vscnt null, 0x0
	s_barrier
	buffer_gl0_inv
	s_clause 0x8
	scratch_load_b128 v[2:5], off, off offset:352
	scratch_load_b128 v[6:9], off, off offset:368
	;; [unrolled: 1-line block ×9, first 2 shown]
	ds_load_b128 v[38:41], v1 offset:864
	ds_load_b128 v[139:142], v1 offset:880
	s_clause 0x1
	scratch_load_b128 v[143:146], off, off offset:336
	scratch_load_b128 v[147:150], off, off offset:496
	s_mov_b32 s2, exec_lo
	s_waitcnt vmcnt(10) lgkmcnt(1)
	v_mul_f64 v[151:152], v[40:41], v[4:5]
	v_mul_f64 v[4:5], v[38:39], v[4:5]
	s_waitcnt vmcnt(9) lgkmcnt(0)
	v_mul_f64 v[153:154], v[139:140], v[8:9]
	v_mul_f64 v[8:9], v[141:142], v[8:9]
	s_delay_alu instid0(VALU_DEP_4) | instskip(NEXT) | instid1(VALU_DEP_4)
	v_fma_f64 v[151:152], v[38:39], v[2:3], -v[151:152]
	v_fma_f64 v[155:156], v[40:41], v[2:3], v[4:5]
	ds_load_b128 v[2:5], v1 offset:896
	ds_load_b128 v[38:41], v1 offset:912
	v_fma_f64 v[141:142], v[141:142], v[6:7], v[153:154]
	v_fma_f64 v[6:7], v[139:140], v[6:7], -v[8:9]
	s_waitcnt vmcnt(8) lgkmcnt(1)
	v_mul_f64 v[157:158], v[2:3], v[12:13]
	v_mul_f64 v[12:13], v[4:5], v[12:13]
	v_add_f64 v[8:9], v[151:152], 0
	v_add_f64 v[139:140], v[155:156], 0
	s_waitcnt vmcnt(7) lgkmcnt(0)
	v_mul_f64 v[151:152], v[38:39], v[16:17]
	v_mul_f64 v[16:17], v[40:41], v[16:17]
	v_fma_f64 v[153:154], v[4:5], v[10:11], v[157:158]
	v_fma_f64 v[10:11], v[2:3], v[10:11], -v[12:13]
	v_add_f64 v[12:13], v[8:9], v[6:7]
	v_add_f64 v[139:140], v[139:140], v[141:142]
	ds_load_b128 v[2:5], v1 offset:928
	ds_load_b128 v[6:9], v1 offset:944
	v_fma_f64 v[40:41], v[40:41], v[14:15], v[151:152]
	v_fma_f64 v[14:15], v[38:39], v[14:15], -v[16:17]
	s_waitcnt vmcnt(6) lgkmcnt(1)
	v_mul_f64 v[141:142], v[2:3], v[20:21]
	v_mul_f64 v[20:21], v[4:5], v[20:21]
	s_waitcnt vmcnt(5) lgkmcnt(0)
	v_mul_f64 v[16:17], v[6:7], v[24:25]
	v_mul_f64 v[24:25], v[8:9], v[24:25]
	v_add_f64 v[10:11], v[12:13], v[10:11]
	v_add_f64 v[12:13], v[139:140], v[153:154]
	v_fma_f64 v[38:39], v[4:5], v[18:19], v[141:142]
	v_fma_f64 v[18:19], v[2:3], v[18:19], -v[20:21]
	v_fma_f64 v[8:9], v[8:9], v[22:23], v[16:17]
	v_fma_f64 v[6:7], v[6:7], v[22:23], -v[24:25]
	v_add_f64 v[14:15], v[10:11], v[14:15]
	v_add_f64 v[20:21], v[12:13], v[40:41]
	ds_load_b128 v[2:5], v1 offset:960
	ds_load_b128 v[10:13], v1 offset:976
	s_waitcnt vmcnt(4) lgkmcnt(1)
	v_mul_f64 v[40:41], v[2:3], v[28:29]
	v_mul_f64 v[28:29], v[4:5], v[28:29]
	v_add_f64 v[14:15], v[14:15], v[18:19]
	v_add_f64 v[16:17], v[20:21], v[38:39]
	s_waitcnt vmcnt(3) lgkmcnt(0)
	v_mul_f64 v[18:19], v[10:11], v[32:33]
	v_mul_f64 v[20:21], v[12:13], v[32:33]
	v_fma_f64 v[22:23], v[4:5], v[26:27], v[40:41]
	v_fma_f64 v[24:25], v[2:3], v[26:27], -v[28:29]
	v_add_f64 v[14:15], v[14:15], v[6:7]
	v_add_f64 v[16:17], v[16:17], v[8:9]
	ds_load_b128 v[2:5], v1 offset:992
	ds_load_b128 v[6:9], v1 offset:1008
	v_fma_f64 v[12:13], v[12:13], v[30:31], v[18:19]
	v_fma_f64 v[10:11], v[10:11], v[30:31], -v[20:21]
	s_waitcnt vmcnt(2) lgkmcnt(1)
	v_mul_f64 v[26:27], v[2:3], v[36:37]
	v_mul_f64 v[28:29], v[4:5], v[36:37]
	s_waitcnt vmcnt(0) lgkmcnt(0)
	v_mul_f64 v[18:19], v[6:7], v[149:150]
	v_mul_f64 v[20:21], v[8:9], v[149:150]
	v_add_f64 v[14:15], v[14:15], v[24:25]
	v_add_f64 v[16:17], v[16:17], v[22:23]
	v_fma_f64 v[4:5], v[4:5], v[34:35], v[26:27]
	v_fma_f64 v[1:2], v[2:3], v[34:35], -v[28:29]
	v_fma_f64 v[8:9], v[8:9], v[147:148], v[18:19]
	v_fma_f64 v[6:7], v[6:7], v[147:148], -v[20:21]
	v_add_f64 v[10:11], v[14:15], v[10:11]
	v_add_f64 v[12:13], v[16:17], v[12:13]
	s_delay_alu instid0(VALU_DEP_2) | instskip(NEXT) | instid1(VALU_DEP_2)
	v_add_f64 v[1:2], v[10:11], v[1:2]
	v_add_f64 v[3:4], v[12:13], v[4:5]
	s_delay_alu instid0(VALU_DEP_2) | instskip(NEXT) | instid1(VALU_DEP_2)
	;; [unrolled: 3-line block ×3, first 2 shown]
	v_add_f64 v[1:2], v[143:144], -v[1:2]
	v_add_f64 v[3:4], v[145:146], -v[3:4]
	scratch_store_b128 off, v[1:4], off offset:336
	v_cmpx_lt_u32_e32 20, v106
	s_cbranch_execz .LBB95_165
; %bb.164:
	scratch_load_b128 v[1:4], v122, off
	v_mov_b32_e32 v5, 0
	s_delay_alu instid0(VALU_DEP_1)
	v_mov_b32_e32 v6, v5
	v_mov_b32_e32 v7, v5
	v_mov_b32_e32 v8, v5
	scratch_store_b128 off, v[5:8], off offset:320
	s_waitcnt vmcnt(0)
	ds_store_b128 v138, v[1:4]
.LBB95_165:
	s_or_b32 exec_lo, exec_lo, s2
	s_waitcnt lgkmcnt(0)
	s_waitcnt_vscnt null, 0x0
	s_barrier
	buffer_gl0_inv
	s_clause 0x7
	scratch_load_b128 v[2:5], off, off offset:336
	scratch_load_b128 v[6:9], off, off offset:352
	;; [unrolled: 1-line block ×8, first 2 shown]
	v_mov_b32_e32 v1, 0
	s_mov_b32 s2, exec_lo
	ds_load_b128 v[34:37], v1 offset:848
	s_clause 0x1
	scratch_load_b128 v[38:41], off, off offset:464
	scratch_load_b128 v[139:142], off, off offset:320
	ds_load_b128 v[143:146], v1 offset:864
	scratch_load_b128 v[147:150], off, off offset:480
	s_waitcnt vmcnt(10) lgkmcnt(1)
	v_mul_f64 v[151:152], v[36:37], v[4:5]
	v_mul_f64 v[4:5], v[34:35], v[4:5]
	s_delay_alu instid0(VALU_DEP_2) | instskip(NEXT) | instid1(VALU_DEP_2)
	v_fma_f64 v[157:158], v[34:35], v[2:3], -v[151:152]
	v_fma_f64 v[159:160], v[36:37], v[2:3], v[4:5]
	scratch_load_b128 v[34:37], off, off offset:496
	ds_load_b128 v[2:5], v1 offset:880
	s_waitcnt vmcnt(10) lgkmcnt(1)
	v_mul_f64 v[155:156], v[143:144], v[8:9]
	v_mul_f64 v[8:9], v[145:146], v[8:9]
	ds_load_b128 v[151:154], v1 offset:896
	s_waitcnt vmcnt(9) lgkmcnt(1)
	v_mul_f64 v[161:162], v[2:3], v[12:13]
	v_mul_f64 v[12:13], v[4:5], v[12:13]
	v_fma_f64 v[145:146], v[145:146], v[6:7], v[155:156]
	v_fma_f64 v[6:7], v[143:144], v[6:7], -v[8:9]
	v_add_f64 v[8:9], v[157:158], 0
	v_add_f64 v[143:144], v[159:160], 0
	s_waitcnt vmcnt(8) lgkmcnt(0)
	v_mul_f64 v[155:156], v[151:152], v[16:17]
	v_mul_f64 v[16:17], v[153:154], v[16:17]
	v_fma_f64 v[157:158], v[4:5], v[10:11], v[161:162]
	v_fma_f64 v[10:11], v[2:3], v[10:11], -v[12:13]
	v_add_f64 v[12:13], v[8:9], v[6:7]
	v_add_f64 v[143:144], v[143:144], v[145:146]
	ds_load_b128 v[2:5], v1 offset:912
	ds_load_b128 v[6:9], v1 offset:928
	v_fma_f64 v[153:154], v[153:154], v[14:15], v[155:156]
	v_fma_f64 v[14:15], v[151:152], v[14:15], -v[16:17]
	s_waitcnt vmcnt(7) lgkmcnt(1)
	v_mul_f64 v[145:146], v[2:3], v[20:21]
	v_mul_f64 v[20:21], v[4:5], v[20:21]
	s_waitcnt vmcnt(6) lgkmcnt(0)
	v_mul_f64 v[16:17], v[6:7], v[24:25]
	v_mul_f64 v[24:25], v[8:9], v[24:25]
	v_add_f64 v[10:11], v[12:13], v[10:11]
	v_add_f64 v[12:13], v[143:144], v[157:158]
	v_fma_f64 v[143:144], v[4:5], v[18:19], v[145:146]
	v_fma_f64 v[18:19], v[2:3], v[18:19], -v[20:21]
	v_fma_f64 v[8:9], v[8:9], v[22:23], v[16:17]
	v_fma_f64 v[6:7], v[6:7], v[22:23], -v[24:25]
	v_add_f64 v[14:15], v[10:11], v[14:15]
	v_add_f64 v[20:21], v[12:13], v[153:154]
	ds_load_b128 v[2:5], v1 offset:944
	ds_load_b128 v[10:13], v1 offset:960
	s_waitcnt vmcnt(5) lgkmcnt(1)
	v_mul_f64 v[145:146], v[2:3], v[28:29]
	v_mul_f64 v[28:29], v[4:5], v[28:29]
	v_add_f64 v[14:15], v[14:15], v[18:19]
	v_add_f64 v[16:17], v[20:21], v[143:144]
	s_waitcnt vmcnt(4) lgkmcnt(0)
	v_mul_f64 v[18:19], v[10:11], v[32:33]
	v_mul_f64 v[20:21], v[12:13], v[32:33]
	v_fma_f64 v[22:23], v[4:5], v[26:27], v[145:146]
	v_fma_f64 v[24:25], v[2:3], v[26:27], -v[28:29]
	v_add_f64 v[14:15], v[14:15], v[6:7]
	v_add_f64 v[16:17], v[16:17], v[8:9]
	ds_load_b128 v[2:5], v1 offset:976
	ds_load_b128 v[6:9], v1 offset:992
	v_fma_f64 v[12:13], v[12:13], v[30:31], v[18:19]
	v_fma_f64 v[10:11], v[10:11], v[30:31], -v[20:21]
	s_waitcnt vmcnt(3) lgkmcnt(1)
	v_mul_f64 v[26:27], v[2:3], v[40:41]
	v_mul_f64 v[28:29], v[4:5], v[40:41]
	s_waitcnt vmcnt(1) lgkmcnt(0)
	v_mul_f64 v[18:19], v[6:7], v[149:150]
	v_mul_f64 v[20:21], v[8:9], v[149:150]
	v_add_f64 v[14:15], v[14:15], v[24:25]
	v_add_f64 v[16:17], v[16:17], v[22:23]
	v_fma_f64 v[22:23], v[4:5], v[38:39], v[26:27]
	v_fma_f64 v[24:25], v[2:3], v[38:39], -v[28:29]
	ds_load_b128 v[2:5], v1 offset:1008
	v_fma_f64 v[8:9], v[8:9], v[147:148], v[18:19]
	v_fma_f64 v[6:7], v[6:7], v[147:148], -v[20:21]
	v_add_f64 v[10:11], v[14:15], v[10:11]
	v_add_f64 v[12:13], v[16:17], v[12:13]
	s_waitcnt vmcnt(0) lgkmcnt(0)
	v_mul_f64 v[14:15], v[2:3], v[36:37]
	v_mul_f64 v[16:17], v[4:5], v[36:37]
	s_delay_alu instid0(VALU_DEP_4) | instskip(NEXT) | instid1(VALU_DEP_4)
	v_add_f64 v[10:11], v[10:11], v[24:25]
	v_add_f64 v[12:13], v[12:13], v[22:23]
	s_delay_alu instid0(VALU_DEP_4) | instskip(NEXT) | instid1(VALU_DEP_4)
	v_fma_f64 v[4:5], v[4:5], v[34:35], v[14:15]
	v_fma_f64 v[2:3], v[2:3], v[34:35], -v[16:17]
	s_delay_alu instid0(VALU_DEP_4) | instskip(NEXT) | instid1(VALU_DEP_4)
	v_add_f64 v[6:7], v[10:11], v[6:7]
	v_add_f64 v[8:9], v[12:13], v[8:9]
	s_delay_alu instid0(VALU_DEP_2) | instskip(NEXT) | instid1(VALU_DEP_2)
	v_add_f64 v[2:3], v[6:7], v[2:3]
	v_add_f64 v[4:5], v[8:9], v[4:5]
	s_delay_alu instid0(VALU_DEP_2) | instskip(NEXT) | instid1(VALU_DEP_2)
	v_add_f64 v[2:3], v[139:140], -v[2:3]
	v_add_f64 v[4:5], v[141:142], -v[4:5]
	scratch_store_b128 off, v[2:5], off offset:320
	v_cmpx_lt_u32_e32 19, v106
	s_cbranch_execz .LBB95_167
; %bb.166:
	scratch_load_b128 v[5:8], v134, off
	v_mov_b32_e32 v2, v1
	v_mov_b32_e32 v3, v1
	;; [unrolled: 1-line block ×3, first 2 shown]
	scratch_store_b128 off, v[1:4], off offset:304
	s_waitcnt vmcnt(0)
	ds_store_b128 v138, v[5:8]
.LBB95_167:
	s_or_b32 exec_lo, exec_lo, s2
	s_waitcnt lgkmcnt(0)
	s_waitcnt_vscnt null, 0x0
	s_barrier
	buffer_gl0_inv
	s_clause 0x8
	scratch_load_b128 v[2:5], off, off offset:320
	scratch_load_b128 v[6:9], off, off offset:336
	;; [unrolled: 1-line block ×9, first 2 shown]
	ds_load_b128 v[38:41], v1 offset:832
	ds_load_b128 v[139:142], v1 offset:848
	s_clause 0x1
	scratch_load_b128 v[143:146], off, off offset:304
	scratch_load_b128 v[147:150], off, off offset:464
	s_mov_b32 s2, exec_lo
	s_waitcnt vmcnt(10) lgkmcnt(1)
	v_mul_f64 v[151:152], v[40:41], v[4:5]
	v_mul_f64 v[4:5], v[38:39], v[4:5]
	s_waitcnt vmcnt(9) lgkmcnt(0)
	v_mul_f64 v[155:156], v[139:140], v[8:9]
	v_mul_f64 v[8:9], v[141:142], v[8:9]
	s_delay_alu instid0(VALU_DEP_4) | instskip(NEXT) | instid1(VALU_DEP_4)
	v_fma_f64 v[157:158], v[38:39], v[2:3], -v[151:152]
	v_fma_f64 v[159:160], v[40:41], v[2:3], v[4:5]
	ds_load_b128 v[2:5], v1 offset:864
	ds_load_b128 v[151:154], v1 offset:880
	scratch_load_b128 v[38:41], off, off offset:480
	v_fma_f64 v[141:142], v[141:142], v[6:7], v[155:156]
	v_fma_f64 v[139:140], v[139:140], v[6:7], -v[8:9]
	scratch_load_b128 v[6:9], off, off offset:496
	s_waitcnt vmcnt(10) lgkmcnt(1)
	v_mul_f64 v[161:162], v[2:3], v[12:13]
	v_mul_f64 v[12:13], v[4:5], v[12:13]
	v_add_f64 v[155:156], v[157:158], 0
	v_add_f64 v[157:158], v[159:160], 0
	s_waitcnt vmcnt(9) lgkmcnt(0)
	v_mul_f64 v[159:160], v[151:152], v[16:17]
	v_mul_f64 v[16:17], v[153:154], v[16:17]
	v_fma_f64 v[161:162], v[4:5], v[10:11], v[161:162]
	v_fma_f64 v[163:164], v[2:3], v[10:11], -v[12:13]
	ds_load_b128 v[2:5], v1 offset:896
	ds_load_b128 v[10:13], v1 offset:912
	v_add_f64 v[139:140], v[155:156], v[139:140]
	v_add_f64 v[141:142], v[157:158], v[141:142]
	v_fma_f64 v[153:154], v[153:154], v[14:15], v[159:160]
	v_fma_f64 v[14:15], v[151:152], v[14:15], -v[16:17]
	s_waitcnt vmcnt(8) lgkmcnt(1)
	v_mul_f64 v[155:156], v[2:3], v[20:21]
	v_mul_f64 v[20:21], v[4:5], v[20:21]
	v_add_f64 v[16:17], v[139:140], v[163:164]
	v_add_f64 v[139:140], v[141:142], v[161:162]
	s_waitcnt vmcnt(7) lgkmcnt(0)
	v_mul_f64 v[141:142], v[10:11], v[24:25]
	v_mul_f64 v[24:25], v[12:13], v[24:25]
	v_fma_f64 v[151:152], v[4:5], v[18:19], v[155:156]
	v_fma_f64 v[18:19], v[2:3], v[18:19], -v[20:21]
	v_add_f64 v[20:21], v[16:17], v[14:15]
	v_add_f64 v[139:140], v[139:140], v[153:154]
	ds_load_b128 v[2:5], v1 offset:928
	ds_load_b128 v[14:17], v1 offset:944
	v_fma_f64 v[12:13], v[12:13], v[22:23], v[141:142]
	v_fma_f64 v[10:11], v[10:11], v[22:23], -v[24:25]
	s_waitcnt vmcnt(6) lgkmcnt(1)
	v_mul_f64 v[153:154], v[2:3], v[28:29]
	v_mul_f64 v[28:29], v[4:5], v[28:29]
	s_waitcnt vmcnt(5) lgkmcnt(0)
	v_mul_f64 v[22:23], v[14:15], v[32:33]
	v_mul_f64 v[24:25], v[16:17], v[32:33]
	v_add_f64 v[18:19], v[20:21], v[18:19]
	v_add_f64 v[20:21], v[139:140], v[151:152]
	v_fma_f64 v[32:33], v[4:5], v[26:27], v[153:154]
	v_fma_f64 v[26:27], v[2:3], v[26:27], -v[28:29]
	v_fma_f64 v[16:17], v[16:17], v[30:31], v[22:23]
	v_fma_f64 v[14:15], v[14:15], v[30:31], -v[24:25]
	v_add_f64 v[18:19], v[18:19], v[10:11]
	v_add_f64 v[20:21], v[20:21], v[12:13]
	ds_load_b128 v[2:5], v1 offset:960
	ds_load_b128 v[10:13], v1 offset:976
	s_waitcnt vmcnt(4) lgkmcnt(1)
	v_mul_f64 v[28:29], v[2:3], v[36:37]
	v_mul_f64 v[36:37], v[4:5], v[36:37]
	s_waitcnt vmcnt(2) lgkmcnt(0)
	v_mul_f64 v[22:23], v[10:11], v[149:150]
	v_mul_f64 v[24:25], v[12:13], v[149:150]
	v_add_f64 v[18:19], v[18:19], v[26:27]
	v_add_f64 v[20:21], v[20:21], v[32:33]
	v_fma_f64 v[26:27], v[4:5], v[34:35], v[28:29]
	v_fma_f64 v[28:29], v[2:3], v[34:35], -v[36:37]
	v_fma_f64 v[12:13], v[12:13], v[147:148], v[22:23]
	v_fma_f64 v[10:11], v[10:11], v[147:148], -v[24:25]
	v_add_f64 v[18:19], v[18:19], v[14:15]
	v_add_f64 v[20:21], v[20:21], v[16:17]
	ds_load_b128 v[2:5], v1 offset:992
	ds_load_b128 v[14:17], v1 offset:1008
	s_waitcnt vmcnt(1) lgkmcnt(1)
	v_mul_f64 v[30:31], v[2:3], v[40:41]
	v_mul_f64 v[32:33], v[4:5], v[40:41]
	s_waitcnt vmcnt(0) lgkmcnt(0)
	v_mul_f64 v[22:23], v[14:15], v[8:9]
	v_mul_f64 v[8:9], v[16:17], v[8:9]
	v_add_f64 v[18:19], v[18:19], v[28:29]
	v_add_f64 v[20:21], v[20:21], v[26:27]
	v_fma_f64 v[4:5], v[4:5], v[38:39], v[30:31]
	v_fma_f64 v[1:2], v[2:3], v[38:39], -v[32:33]
	v_fma_f64 v[16:17], v[16:17], v[6:7], v[22:23]
	v_fma_f64 v[6:7], v[14:15], v[6:7], -v[8:9]
	v_add_f64 v[10:11], v[18:19], v[10:11]
	v_add_f64 v[12:13], v[20:21], v[12:13]
	s_delay_alu instid0(VALU_DEP_2) | instskip(NEXT) | instid1(VALU_DEP_2)
	v_add_f64 v[1:2], v[10:11], v[1:2]
	v_add_f64 v[3:4], v[12:13], v[4:5]
	s_delay_alu instid0(VALU_DEP_2) | instskip(NEXT) | instid1(VALU_DEP_2)
	;; [unrolled: 3-line block ×3, first 2 shown]
	v_add_f64 v[1:2], v[143:144], -v[1:2]
	v_add_f64 v[3:4], v[145:146], -v[3:4]
	scratch_store_b128 off, v[1:4], off offset:304
	v_cmpx_lt_u32_e32 18, v106
	s_cbranch_execz .LBB95_169
; %bb.168:
	scratch_load_b128 v[1:4], v135, off
	v_mov_b32_e32 v5, 0
	s_delay_alu instid0(VALU_DEP_1)
	v_mov_b32_e32 v6, v5
	v_mov_b32_e32 v7, v5
	;; [unrolled: 1-line block ×3, first 2 shown]
	scratch_store_b128 off, v[5:8], off offset:288
	s_waitcnt vmcnt(0)
	ds_store_b128 v138, v[1:4]
.LBB95_169:
	s_or_b32 exec_lo, exec_lo, s2
	s_waitcnt lgkmcnt(0)
	s_waitcnt_vscnt null, 0x0
	s_barrier
	buffer_gl0_inv
	s_clause 0x7
	scratch_load_b128 v[2:5], off, off offset:304
	scratch_load_b128 v[6:9], off, off offset:320
	;; [unrolled: 1-line block ×8, first 2 shown]
	v_mov_b32_e32 v1, 0
	s_clause 0x1
	scratch_load_b128 v[38:41], off, off offset:432
	scratch_load_b128 v[143:146], off, off offset:448
	s_mov_b32 s2, exec_lo
	ds_load_b128 v[34:37], v1 offset:816
	ds_load_b128 v[139:142], v1 offset:832
	s_waitcnt vmcnt(9) lgkmcnt(1)
	v_mul_f64 v[147:148], v[36:37], v[4:5]
	v_mul_f64 v[4:5], v[34:35], v[4:5]
	s_waitcnt vmcnt(8) lgkmcnt(0)
	v_mul_f64 v[149:150], v[139:140], v[8:9]
	v_mul_f64 v[8:9], v[141:142], v[8:9]
	s_delay_alu instid0(VALU_DEP_4) | instskip(NEXT) | instid1(VALU_DEP_4)
	v_fma_f64 v[147:148], v[34:35], v[2:3], -v[147:148]
	v_fma_f64 v[151:152], v[36:37], v[2:3], v[4:5]
	ds_load_b128 v[2:5], v1 offset:848
	scratch_load_b128 v[34:37], off, off offset:464
	v_fma_f64 v[149:150], v[141:142], v[6:7], v[149:150]
	v_fma_f64 v[155:156], v[139:140], v[6:7], -v[8:9]
	ds_load_b128 v[6:9], v1 offset:864
	scratch_load_b128 v[139:142], off, off offset:480
	s_waitcnt vmcnt(9) lgkmcnt(1)
	v_mul_f64 v[153:154], v[2:3], v[12:13]
	v_mul_f64 v[12:13], v[4:5], v[12:13]
	s_waitcnt vmcnt(8) lgkmcnt(0)
	v_mul_f64 v[157:158], v[6:7], v[16:17]
	v_mul_f64 v[16:17], v[8:9], v[16:17]
	v_add_f64 v[147:148], v[147:148], 0
	v_add_f64 v[151:152], v[151:152], 0
	v_fma_f64 v[153:154], v[4:5], v[10:11], v[153:154]
	v_fma_f64 v[159:160], v[2:3], v[10:11], -v[12:13]
	scratch_load_b128 v[10:13], off, off offset:496
	ds_load_b128 v[2:5], v1 offset:880
	v_add_f64 v[147:148], v[147:148], v[155:156]
	v_add_f64 v[149:150], v[151:152], v[149:150]
	v_fma_f64 v[155:156], v[8:9], v[14:15], v[157:158]
	v_fma_f64 v[14:15], v[6:7], v[14:15], -v[16:17]
	ds_load_b128 v[6:9], v1 offset:896
	s_waitcnt vmcnt(8) lgkmcnt(1)
	v_mul_f64 v[151:152], v[2:3], v[20:21]
	v_mul_f64 v[20:21], v[4:5], v[20:21]
	v_add_f64 v[16:17], v[147:148], v[159:160]
	v_add_f64 v[147:148], v[149:150], v[153:154]
	s_waitcnt vmcnt(7) lgkmcnt(0)
	v_mul_f64 v[149:150], v[6:7], v[24:25]
	v_mul_f64 v[24:25], v[8:9], v[24:25]
	v_fma_f64 v[151:152], v[4:5], v[18:19], v[151:152]
	v_fma_f64 v[18:19], v[2:3], v[18:19], -v[20:21]
	ds_load_b128 v[2:5], v1 offset:912
	v_add_f64 v[14:15], v[16:17], v[14:15]
	v_add_f64 v[16:17], v[147:148], v[155:156]
	v_fma_f64 v[147:148], v[8:9], v[22:23], v[149:150]
	v_fma_f64 v[22:23], v[6:7], v[22:23], -v[24:25]
	ds_load_b128 v[6:9], v1 offset:928
	s_waitcnt vmcnt(6) lgkmcnt(1)
	v_mul_f64 v[20:21], v[2:3], v[28:29]
	v_mul_f64 v[28:29], v[4:5], v[28:29]
	s_waitcnt vmcnt(5) lgkmcnt(0)
	v_mul_f64 v[149:150], v[6:7], v[32:33]
	v_mul_f64 v[32:33], v[8:9], v[32:33]
	v_add_f64 v[18:19], v[14:15], v[18:19]
	v_add_f64 v[24:25], v[16:17], v[151:152]
	scratch_load_b128 v[14:17], off, off offset:288
	v_fma_f64 v[20:21], v[4:5], v[26:27], v[20:21]
	v_fma_f64 v[26:27], v[2:3], v[26:27], -v[28:29]
	ds_load_b128 v[2:5], v1 offset:944
	s_waitcnt vmcnt(5) lgkmcnt(0)
	v_mul_f64 v[28:29], v[4:5], v[40:41]
	v_add_f64 v[18:19], v[18:19], v[22:23]
	v_add_f64 v[22:23], v[24:25], v[147:148]
	v_mul_f64 v[24:25], v[2:3], v[40:41]
	v_fma_f64 v[40:41], v[8:9], v[30:31], v[149:150]
	v_fma_f64 v[30:31], v[6:7], v[30:31], -v[32:33]
	ds_load_b128 v[6:9], v1 offset:960
	v_fma_f64 v[28:29], v[2:3], v[38:39], -v[28:29]
	v_add_f64 v[18:19], v[18:19], v[26:27]
	v_add_f64 v[20:21], v[22:23], v[20:21]
	v_fma_f64 v[24:25], v[4:5], v[38:39], v[24:25]
	ds_load_b128 v[2:5], v1 offset:976
	s_waitcnt vmcnt(4) lgkmcnt(1)
	v_mul_f64 v[22:23], v[6:7], v[145:146]
	v_mul_f64 v[26:27], v[8:9], v[145:146]
	v_add_f64 v[18:19], v[18:19], v[30:31]
	v_add_f64 v[20:21], v[20:21], v[40:41]
	s_delay_alu instid0(VALU_DEP_4) | instskip(NEXT) | instid1(VALU_DEP_4)
	v_fma_f64 v[22:23], v[8:9], v[143:144], v[22:23]
	v_fma_f64 v[26:27], v[6:7], v[143:144], -v[26:27]
	ds_load_b128 v[6:9], v1 offset:992
	s_waitcnt vmcnt(3) lgkmcnt(1)
	v_mul_f64 v[30:31], v[2:3], v[36:37]
	v_mul_f64 v[32:33], v[4:5], v[36:37]
	v_add_f64 v[18:19], v[18:19], v[28:29]
	v_add_f64 v[20:21], v[20:21], v[24:25]
	s_delay_alu instid0(VALU_DEP_4) | instskip(NEXT) | instid1(VALU_DEP_4)
	v_fma_f64 v[30:31], v[4:5], v[34:35], v[30:31]
	v_fma_f64 v[32:33], v[2:3], v[34:35], -v[32:33]
	ds_load_b128 v[2:5], v1 offset:1008
	s_waitcnt vmcnt(2) lgkmcnt(1)
	v_mul_f64 v[24:25], v[6:7], v[141:142]
	v_mul_f64 v[28:29], v[8:9], v[141:142]
	v_add_f64 v[18:19], v[18:19], v[26:27]
	v_add_f64 v[20:21], v[20:21], v[22:23]
	s_waitcnt vmcnt(1) lgkmcnt(0)
	v_mul_f64 v[22:23], v[2:3], v[12:13]
	v_mul_f64 v[12:13], v[4:5], v[12:13]
	v_fma_f64 v[8:9], v[8:9], v[139:140], v[24:25]
	v_fma_f64 v[6:7], v[6:7], v[139:140], -v[28:29]
	v_add_f64 v[18:19], v[18:19], v[32:33]
	v_add_f64 v[20:21], v[20:21], v[30:31]
	v_fma_f64 v[4:5], v[4:5], v[10:11], v[22:23]
	v_fma_f64 v[2:3], v[2:3], v[10:11], -v[12:13]
	s_delay_alu instid0(VALU_DEP_4) | instskip(NEXT) | instid1(VALU_DEP_4)
	v_add_f64 v[6:7], v[18:19], v[6:7]
	v_add_f64 v[8:9], v[20:21], v[8:9]
	s_delay_alu instid0(VALU_DEP_2) | instskip(NEXT) | instid1(VALU_DEP_2)
	v_add_f64 v[2:3], v[6:7], v[2:3]
	v_add_f64 v[4:5], v[8:9], v[4:5]
	s_waitcnt vmcnt(0)
	s_delay_alu instid0(VALU_DEP_2) | instskip(NEXT) | instid1(VALU_DEP_2)
	v_add_f64 v[2:3], v[14:15], -v[2:3]
	v_add_f64 v[4:5], v[16:17], -v[4:5]
	scratch_store_b128 off, v[2:5], off offset:288
	v_cmpx_lt_u32_e32 17, v106
	s_cbranch_execz .LBB95_171
; %bb.170:
	scratch_load_b128 v[5:8], v136, off
	v_mov_b32_e32 v2, v1
	v_mov_b32_e32 v3, v1
	;; [unrolled: 1-line block ×3, first 2 shown]
	scratch_store_b128 off, v[1:4], off offset:272
	s_waitcnt vmcnt(0)
	ds_store_b128 v138, v[5:8]
.LBB95_171:
	s_or_b32 exec_lo, exec_lo, s2
	s_waitcnt lgkmcnt(0)
	s_waitcnt_vscnt null, 0x0
	s_barrier
	buffer_gl0_inv
	s_clause 0x7
	scratch_load_b128 v[2:5], off, off offset:288
	scratch_load_b128 v[6:9], off, off offset:304
	;; [unrolled: 1-line block ×8, first 2 shown]
	ds_load_b128 v[34:37], v1 offset:800
	ds_load_b128 v[139:142], v1 offset:816
	s_clause 0x1
	scratch_load_b128 v[38:41], off, off offset:416
	scratch_load_b128 v[143:146], off, off offset:432
	s_mov_b32 s2, exec_lo
	s_waitcnt vmcnt(9) lgkmcnt(1)
	v_mul_f64 v[147:148], v[36:37], v[4:5]
	v_mul_f64 v[4:5], v[34:35], v[4:5]
	s_waitcnt vmcnt(8) lgkmcnt(0)
	v_mul_f64 v[149:150], v[139:140], v[8:9]
	v_mul_f64 v[8:9], v[141:142], v[8:9]
	s_delay_alu instid0(VALU_DEP_4) | instskip(NEXT) | instid1(VALU_DEP_4)
	v_fma_f64 v[147:148], v[34:35], v[2:3], -v[147:148]
	v_fma_f64 v[151:152], v[36:37], v[2:3], v[4:5]
	scratch_load_b128 v[34:37], off, off offset:448
	ds_load_b128 v[2:5], v1 offset:832
	v_fma_f64 v[149:150], v[141:142], v[6:7], v[149:150]
	v_fma_f64 v[155:156], v[139:140], v[6:7], -v[8:9]
	ds_load_b128 v[6:9], v1 offset:848
	scratch_load_b128 v[139:142], off, off offset:464
	s_waitcnt vmcnt(9) lgkmcnt(1)
	v_mul_f64 v[153:154], v[2:3], v[12:13]
	v_mul_f64 v[12:13], v[4:5], v[12:13]
	s_waitcnt vmcnt(8) lgkmcnt(0)
	v_mul_f64 v[157:158], v[6:7], v[16:17]
	v_mul_f64 v[16:17], v[8:9], v[16:17]
	v_add_f64 v[147:148], v[147:148], 0
	v_add_f64 v[151:152], v[151:152], 0
	v_fma_f64 v[153:154], v[4:5], v[10:11], v[153:154]
	v_fma_f64 v[159:160], v[2:3], v[10:11], -v[12:13]
	scratch_load_b128 v[10:13], off, off offset:480
	ds_load_b128 v[2:5], v1 offset:864
	v_add_f64 v[147:148], v[147:148], v[155:156]
	v_add_f64 v[149:150], v[151:152], v[149:150]
	v_fma_f64 v[155:156], v[8:9], v[14:15], v[157:158]
	v_fma_f64 v[157:158], v[6:7], v[14:15], -v[16:17]
	ds_load_b128 v[6:9], v1 offset:880
	scratch_load_b128 v[14:17], off, off offset:496
	s_waitcnt vmcnt(9) lgkmcnt(1)
	v_mul_f64 v[151:152], v[2:3], v[20:21]
	v_mul_f64 v[20:21], v[4:5], v[20:21]
	v_add_f64 v[147:148], v[147:148], v[159:160]
	v_add_f64 v[149:150], v[149:150], v[153:154]
	s_waitcnt vmcnt(8) lgkmcnt(0)
	v_mul_f64 v[153:154], v[6:7], v[24:25]
	v_mul_f64 v[24:25], v[8:9], v[24:25]
	v_fma_f64 v[151:152], v[4:5], v[18:19], v[151:152]
	v_fma_f64 v[18:19], v[2:3], v[18:19], -v[20:21]
	ds_load_b128 v[2:5], v1 offset:896
	v_add_f64 v[20:21], v[147:148], v[157:158]
	v_add_f64 v[147:148], v[149:150], v[155:156]
	v_fma_f64 v[153:154], v[8:9], v[22:23], v[153:154]
	v_fma_f64 v[22:23], v[6:7], v[22:23], -v[24:25]
	ds_load_b128 v[6:9], v1 offset:912
	s_waitcnt vmcnt(7) lgkmcnt(1)
	v_mul_f64 v[149:150], v[2:3], v[28:29]
	v_mul_f64 v[28:29], v[4:5], v[28:29]
	s_waitcnt vmcnt(6) lgkmcnt(0)
	v_mul_f64 v[24:25], v[6:7], v[32:33]
	v_mul_f64 v[32:33], v[8:9], v[32:33]
	v_add_f64 v[18:19], v[20:21], v[18:19]
	v_add_f64 v[20:21], v[147:148], v[151:152]
	v_fma_f64 v[147:148], v[4:5], v[26:27], v[149:150]
	v_fma_f64 v[26:27], v[2:3], v[26:27], -v[28:29]
	ds_load_b128 v[2:5], v1 offset:928
	v_fma_f64 v[24:25], v[8:9], v[30:31], v[24:25]
	v_fma_f64 v[30:31], v[6:7], v[30:31], -v[32:33]
	ds_load_b128 v[6:9], v1 offset:944
	v_add_f64 v[22:23], v[18:19], v[22:23]
	v_add_f64 v[28:29], v[20:21], v[153:154]
	scratch_load_b128 v[18:21], off, off offset:272
	s_waitcnt vmcnt(6) lgkmcnt(1)
	v_mul_f64 v[149:150], v[2:3], v[40:41]
	v_mul_f64 v[40:41], v[4:5], v[40:41]
	s_waitcnt vmcnt(5) lgkmcnt(0)
	v_mul_f64 v[32:33], v[8:9], v[145:146]
	v_add_f64 v[22:23], v[22:23], v[26:27]
	v_add_f64 v[26:27], v[28:29], v[147:148]
	v_mul_f64 v[28:29], v[6:7], v[145:146]
	v_fma_f64 v[145:146], v[4:5], v[38:39], v[149:150]
	v_fma_f64 v[38:39], v[2:3], v[38:39], -v[40:41]
	ds_load_b128 v[2:5], v1 offset:960
	v_fma_f64 v[32:33], v[6:7], v[143:144], -v[32:33]
	v_add_f64 v[22:23], v[22:23], v[30:31]
	v_add_f64 v[24:25], v[26:27], v[24:25]
	v_fma_f64 v[28:29], v[8:9], v[143:144], v[28:29]
	ds_load_b128 v[6:9], v1 offset:976
	s_waitcnt vmcnt(4) lgkmcnt(1)
	v_mul_f64 v[26:27], v[2:3], v[36:37]
	v_mul_f64 v[30:31], v[4:5], v[36:37]
	s_waitcnt vmcnt(3) lgkmcnt(0)
	v_mul_f64 v[36:37], v[6:7], v[141:142]
	v_add_f64 v[22:23], v[22:23], v[38:39]
	v_add_f64 v[24:25], v[24:25], v[145:146]
	v_mul_f64 v[38:39], v[8:9], v[141:142]
	v_fma_f64 v[26:27], v[4:5], v[34:35], v[26:27]
	v_fma_f64 v[30:31], v[2:3], v[34:35], -v[30:31]
	ds_load_b128 v[2:5], v1 offset:992
	v_add_f64 v[22:23], v[22:23], v[32:33]
	v_add_f64 v[24:25], v[24:25], v[28:29]
	v_fma_f64 v[32:33], v[8:9], v[139:140], v[36:37]
	v_fma_f64 v[34:35], v[6:7], v[139:140], -v[38:39]
	ds_load_b128 v[6:9], v1 offset:1008
	s_waitcnt vmcnt(2) lgkmcnt(1)
	v_mul_f64 v[28:29], v[2:3], v[12:13]
	v_mul_f64 v[12:13], v[4:5], v[12:13]
	v_add_f64 v[22:23], v[22:23], v[30:31]
	v_add_f64 v[24:25], v[24:25], v[26:27]
	s_waitcnt vmcnt(1) lgkmcnt(0)
	v_mul_f64 v[26:27], v[6:7], v[16:17]
	v_mul_f64 v[16:17], v[8:9], v[16:17]
	v_fma_f64 v[4:5], v[4:5], v[10:11], v[28:29]
	v_fma_f64 v[1:2], v[2:3], v[10:11], -v[12:13]
	v_add_f64 v[10:11], v[22:23], v[34:35]
	v_add_f64 v[12:13], v[24:25], v[32:33]
	v_fma_f64 v[8:9], v[8:9], v[14:15], v[26:27]
	v_fma_f64 v[6:7], v[6:7], v[14:15], -v[16:17]
	s_delay_alu instid0(VALU_DEP_4) | instskip(NEXT) | instid1(VALU_DEP_4)
	v_add_f64 v[1:2], v[10:11], v[1:2]
	v_add_f64 v[3:4], v[12:13], v[4:5]
	s_delay_alu instid0(VALU_DEP_2) | instskip(NEXT) | instid1(VALU_DEP_2)
	v_add_f64 v[1:2], v[1:2], v[6:7]
	v_add_f64 v[3:4], v[3:4], v[8:9]
	s_waitcnt vmcnt(0)
	s_delay_alu instid0(VALU_DEP_2) | instskip(NEXT) | instid1(VALU_DEP_2)
	v_add_f64 v[1:2], v[18:19], -v[1:2]
	v_add_f64 v[3:4], v[20:21], -v[3:4]
	scratch_store_b128 off, v[1:4], off offset:272
	v_cmpx_lt_u32_e32 16, v106
	s_cbranch_execz .LBB95_173
; %bb.172:
	scratch_load_b128 v[1:4], v137, off
	v_mov_b32_e32 v5, 0
	s_delay_alu instid0(VALU_DEP_1)
	v_mov_b32_e32 v6, v5
	v_mov_b32_e32 v7, v5
	v_mov_b32_e32 v8, v5
	scratch_store_b128 off, v[5:8], off offset:256
	s_waitcnt vmcnt(0)
	ds_store_b128 v138, v[1:4]
.LBB95_173:
	s_or_b32 exec_lo, exec_lo, s2
	s_waitcnt lgkmcnt(0)
	s_waitcnt_vscnt null, 0x0
	s_barrier
	buffer_gl0_inv
	s_clause 0x7
	scratch_load_b128 v[2:5], off, off offset:272
	scratch_load_b128 v[6:9], off, off offset:288
	;; [unrolled: 1-line block ×8, first 2 shown]
	v_mov_b32_e32 v1, 0
	s_clause 0x1
	scratch_load_b128 v[38:41], off, off offset:400
	scratch_load_b128 v[143:146], off, off offset:416
	s_mov_b32 s2, exec_lo
	ds_load_b128 v[34:37], v1 offset:784
	ds_load_b128 v[139:142], v1 offset:800
	s_waitcnt vmcnt(9) lgkmcnt(1)
	v_mul_f64 v[147:148], v[36:37], v[4:5]
	v_mul_f64 v[4:5], v[34:35], v[4:5]
	s_waitcnt vmcnt(8) lgkmcnt(0)
	v_mul_f64 v[149:150], v[139:140], v[8:9]
	v_mul_f64 v[8:9], v[141:142], v[8:9]
	s_delay_alu instid0(VALU_DEP_4) | instskip(NEXT) | instid1(VALU_DEP_4)
	v_fma_f64 v[147:148], v[34:35], v[2:3], -v[147:148]
	v_fma_f64 v[151:152], v[36:37], v[2:3], v[4:5]
	ds_load_b128 v[2:5], v1 offset:816
	scratch_load_b128 v[34:37], off, off offset:432
	v_fma_f64 v[149:150], v[141:142], v[6:7], v[149:150]
	v_fma_f64 v[155:156], v[139:140], v[6:7], -v[8:9]
	ds_load_b128 v[6:9], v1 offset:832
	scratch_load_b128 v[139:142], off, off offset:448
	s_waitcnt vmcnt(9) lgkmcnt(1)
	v_mul_f64 v[153:154], v[2:3], v[12:13]
	v_mul_f64 v[12:13], v[4:5], v[12:13]
	s_waitcnt vmcnt(8) lgkmcnt(0)
	v_mul_f64 v[157:158], v[6:7], v[16:17]
	v_mul_f64 v[16:17], v[8:9], v[16:17]
	v_add_f64 v[147:148], v[147:148], 0
	v_add_f64 v[151:152], v[151:152], 0
	v_fma_f64 v[153:154], v[4:5], v[10:11], v[153:154]
	v_fma_f64 v[159:160], v[2:3], v[10:11], -v[12:13]
	scratch_load_b128 v[10:13], off, off offset:464
	ds_load_b128 v[2:5], v1 offset:848
	v_add_f64 v[147:148], v[147:148], v[155:156]
	v_add_f64 v[149:150], v[151:152], v[149:150]
	v_fma_f64 v[155:156], v[8:9], v[14:15], v[157:158]
	v_fma_f64 v[157:158], v[6:7], v[14:15], -v[16:17]
	ds_load_b128 v[6:9], v1 offset:864
	scratch_load_b128 v[14:17], off, off offset:480
	s_waitcnt vmcnt(9) lgkmcnt(1)
	v_mul_f64 v[151:152], v[2:3], v[20:21]
	v_mul_f64 v[20:21], v[4:5], v[20:21]
	v_add_f64 v[147:148], v[147:148], v[159:160]
	v_add_f64 v[149:150], v[149:150], v[153:154]
	s_waitcnt vmcnt(8) lgkmcnt(0)
	v_mul_f64 v[153:154], v[6:7], v[24:25]
	v_mul_f64 v[24:25], v[8:9], v[24:25]
	v_fma_f64 v[151:152], v[4:5], v[18:19], v[151:152]
	v_fma_f64 v[159:160], v[2:3], v[18:19], -v[20:21]
	scratch_load_b128 v[18:21], off, off offset:496
	ds_load_b128 v[2:5], v1 offset:880
	v_add_f64 v[147:148], v[147:148], v[157:158]
	v_add_f64 v[149:150], v[149:150], v[155:156]
	v_fma_f64 v[153:154], v[8:9], v[22:23], v[153:154]
	v_fma_f64 v[22:23], v[6:7], v[22:23], -v[24:25]
	ds_load_b128 v[6:9], v1 offset:896
	s_waitcnt vmcnt(8) lgkmcnt(1)
	v_mul_f64 v[155:156], v[2:3], v[28:29]
	v_mul_f64 v[28:29], v[4:5], v[28:29]
	v_add_f64 v[24:25], v[147:148], v[159:160]
	v_add_f64 v[147:148], v[149:150], v[151:152]
	s_waitcnt vmcnt(7) lgkmcnt(0)
	v_mul_f64 v[149:150], v[6:7], v[32:33]
	v_mul_f64 v[32:33], v[8:9], v[32:33]
	v_fma_f64 v[151:152], v[4:5], v[26:27], v[155:156]
	v_fma_f64 v[26:27], v[2:3], v[26:27], -v[28:29]
	ds_load_b128 v[2:5], v1 offset:912
	v_add_f64 v[22:23], v[24:25], v[22:23]
	v_add_f64 v[24:25], v[147:148], v[153:154]
	v_fma_f64 v[147:148], v[8:9], v[30:31], v[149:150]
	v_fma_f64 v[30:31], v[6:7], v[30:31], -v[32:33]
	ds_load_b128 v[6:9], v1 offset:928
	s_waitcnt vmcnt(5) lgkmcnt(0)
	v_mul_f64 v[149:150], v[6:7], v[145:146]
	v_mul_f64 v[145:146], v[8:9], v[145:146]
	v_add_f64 v[26:27], v[22:23], v[26:27]
	v_add_f64 v[32:33], v[24:25], v[151:152]
	scratch_load_b128 v[22:25], off, off offset:256
	v_mul_f64 v[28:29], v[2:3], v[40:41]
	v_mul_f64 v[40:41], v[4:5], v[40:41]
	v_add_f64 v[26:27], v[26:27], v[30:31]
	v_add_f64 v[30:31], v[32:33], v[147:148]
	s_delay_alu instid0(VALU_DEP_4) | instskip(NEXT) | instid1(VALU_DEP_4)
	v_fma_f64 v[28:29], v[4:5], v[38:39], v[28:29]
	v_fma_f64 v[38:39], v[2:3], v[38:39], -v[40:41]
	ds_load_b128 v[2:5], v1 offset:944
	v_fma_f64 v[40:41], v[8:9], v[143:144], v[149:150]
	v_fma_f64 v[143:144], v[6:7], v[143:144], -v[145:146]
	ds_load_b128 v[6:9], v1 offset:960
	s_waitcnt vmcnt(5) lgkmcnt(1)
	v_mul_f64 v[32:33], v[2:3], v[36:37]
	v_mul_f64 v[36:37], v[4:5], v[36:37]
	v_add_f64 v[28:29], v[30:31], v[28:29]
	v_add_f64 v[26:27], v[26:27], v[38:39]
	s_waitcnt vmcnt(4) lgkmcnt(0)
	v_mul_f64 v[30:31], v[6:7], v[141:142]
	v_mul_f64 v[38:39], v[8:9], v[141:142]
	v_fma_f64 v[32:33], v[4:5], v[34:35], v[32:33]
	v_fma_f64 v[34:35], v[2:3], v[34:35], -v[36:37]
	ds_load_b128 v[2:5], v1 offset:976
	v_add_f64 v[28:29], v[28:29], v[40:41]
	v_add_f64 v[26:27], v[26:27], v[143:144]
	v_fma_f64 v[30:31], v[8:9], v[139:140], v[30:31]
	v_fma_f64 v[38:39], v[6:7], v[139:140], -v[38:39]
	ds_load_b128 v[6:9], v1 offset:992
	s_waitcnt vmcnt(3) lgkmcnt(1)
	v_mul_f64 v[36:37], v[2:3], v[12:13]
	v_mul_f64 v[12:13], v[4:5], v[12:13]
	v_add_f64 v[28:29], v[28:29], v[32:33]
	v_add_f64 v[26:27], v[26:27], v[34:35]
	s_waitcnt vmcnt(2) lgkmcnt(0)
	v_mul_f64 v[32:33], v[6:7], v[16:17]
	v_mul_f64 v[16:17], v[8:9], v[16:17]
	v_fma_f64 v[34:35], v[4:5], v[10:11], v[36:37]
	v_fma_f64 v[10:11], v[2:3], v[10:11], -v[12:13]
	ds_load_b128 v[2:5], v1 offset:1008
	v_add_f64 v[12:13], v[26:27], v[38:39]
	v_add_f64 v[26:27], v[28:29], v[30:31]
	s_waitcnt vmcnt(1) lgkmcnt(0)
	v_mul_f64 v[28:29], v[2:3], v[20:21]
	v_mul_f64 v[20:21], v[4:5], v[20:21]
	v_fma_f64 v[8:9], v[8:9], v[14:15], v[32:33]
	v_fma_f64 v[6:7], v[6:7], v[14:15], -v[16:17]
	v_add_f64 v[10:11], v[12:13], v[10:11]
	v_add_f64 v[12:13], v[26:27], v[34:35]
	v_fma_f64 v[4:5], v[4:5], v[18:19], v[28:29]
	v_fma_f64 v[2:3], v[2:3], v[18:19], -v[20:21]
	s_delay_alu instid0(VALU_DEP_4) | instskip(NEXT) | instid1(VALU_DEP_4)
	v_add_f64 v[6:7], v[10:11], v[6:7]
	v_add_f64 v[8:9], v[12:13], v[8:9]
	s_delay_alu instid0(VALU_DEP_2) | instskip(NEXT) | instid1(VALU_DEP_2)
	v_add_f64 v[2:3], v[6:7], v[2:3]
	v_add_f64 v[4:5], v[8:9], v[4:5]
	s_waitcnt vmcnt(0)
	s_delay_alu instid0(VALU_DEP_2) | instskip(NEXT) | instid1(VALU_DEP_2)
	v_add_f64 v[2:3], v[22:23], -v[2:3]
	v_add_f64 v[4:5], v[24:25], -v[4:5]
	scratch_store_b128 off, v[2:5], off offset:256
	v_cmpx_lt_u32_e32 15, v106
	s_cbranch_execz .LBB95_175
; %bb.174:
	scratch_load_b128 v[5:8], v124, off
	v_mov_b32_e32 v2, v1
	v_mov_b32_e32 v3, v1
	;; [unrolled: 1-line block ×3, first 2 shown]
	scratch_store_b128 off, v[1:4], off offset:240
	s_waitcnt vmcnt(0)
	ds_store_b128 v138, v[5:8]
.LBB95_175:
	s_or_b32 exec_lo, exec_lo, s2
	s_waitcnt lgkmcnt(0)
	s_waitcnt_vscnt null, 0x0
	s_barrier
	buffer_gl0_inv
	s_clause 0x7
	scratch_load_b128 v[2:5], off, off offset:256
	scratch_load_b128 v[6:9], off, off offset:272
	;; [unrolled: 1-line block ×8, first 2 shown]
	ds_load_b128 v[34:37], v1 offset:768
	ds_load_b128 v[139:142], v1 offset:784
	s_clause 0x1
	scratch_load_b128 v[38:41], off, off offset:384
	scratch_load_b128 v[143:146], off, off offset:400
	s_mov_b32 s2, exec_lo
	s_waitcnt vmcnt(9) lgkmcnt(1)
	v_mul_f64 v[147:148], v[36:37], v[4:5]
	v_mul_f64 v[4:5], v[34:35], v[4:5]
	s_waitcnt vmcnt(8) lgkmcnt(0)
	v_mul_f64 v[149:150], v[139:140], v[8:9]
	v_mul_f64 v[8:9], v[141:142], v[8:9]
	s_delay_alu instid0(VALU_DEP_4) | instskip(NEXT) | instid1(VALU_DEP_4)
	v_fma_f64 v[147:148], v[34:35], v[2:3], -v[147:148]
	v_fma_f64 v[151:152], v[36:37], v[2:3], v[4:5]
	ds_load_b128 v[2:5], v1 offset:800
	scratch_load_b128 v[34:37], off, off offset:416
	v_fma_f64 v[149:150], v[141:142], v[6:7], v[149:150]
	v_fma_f64 v[155:156], v[139:140], v[6:7], -v[8:9]
	ds_load_b128 v[6:9], v1 offset:816
	scratch_load_b128 v[139:142], off, off offset:432
	s_waitcnt vmcnt(9) lgkmcnt(1)
	v_mul_f64 v[153:154], v[2:3], v[12:13]
	v_mul_f64 v[12:13], v[4:5], v[12:13]
	s_waitcnt vmcnt(8) lgkmcnt(0)
	v_mul_f64 v[157:158], v[6:7], v[16:17]
	v_mul_f64 v[16:17], v[8:9], v[16:17]
	v_add_f64 v[147:148], v[147:148], 0
	v_add_f64 v[151:152], v[151:152], 0
	v_fma_f64 v[153:154], v[4:5], v[10:11], v[153:154]
	v_fma_f64 v[159:160], v[2:3], v[10:11], -v[12:13]
	scratch_load_b128 v[10:13], off, off offset:448
	ds_load_b128 v[2:5], v1 offset:832
	v_add_f64 v[147:148], v[147:148], v[155:156]
	v_add_f64 v[149:150], v[151:152], v[149:150]
	v_fma_f64 v[155:156], v[8:9], v[14:15], v[157:158]
	v_fma_f64 v[157:158], v[6:7], v[14:15], -v[16:17]
	ds_load_b128 v[6:9], v1 offset:848
	scratch_load_b128 v[14:17], off, off offset:464
	s_waitcnt vmcnt(9) lgkmcnt(1)
	v_mul_f64 v[151:152], v[2:3], v[20:21]
	v_mul_f64 v[20:21], v[4:5], v[20:21]
	v_add_f64 v[147:148], v[147:148], v[159:160]
	v_add_f64 v[149:150], v[149:150], v[153:154]
	s_waitcnt vmcnt(8) lgkmcnt(0)
	v_mul_f64 v[153:154], v[6:7], v[24:25]
	v_mul_f64 v[24:25], v[8:9], v[24:25]
	v_fma_f64 v[151:152], v[4:5], v[18:19], v[151:152]
	v_fma_f64 v[159:160], v[2:3], v[18:19], -v[20:21]
	scratch_load_b128 v[18:21], off, off offset:480
	ds_load_b128 v[2:5], v1 offset:864
	v_add_f64 v[147:148], v[147:148], v[157:158]
	v_add_f64 v[149:150], v[149:150], v[155:156]
	v_fma_f64 v[153:154], v[8:9], v[22:23], v[153:154]
	v_fma_f64 v[157:158], v[6:7], v[22:23], -v[24:25]
	ds_load_b128 v[6:9], v1 offset:880
	s_waitcnt vmcnt(8) lgkmcnt(1)
	v_mul_f64 v[155:156], v[2:3], v[28:29]
	v_mul_f64 v[28:29], v[4:5], v[28:29]
	scratch_load_b128 v[22:25], off, off offset:496
	v_add_f64 v[147:148], v[147:148], v[159:160]
	v_add_f64 v[149:150], v[149:150], v[151:152]
	s_waitcnt vmcnt(8) lgkmcnt(0)
	v_mul_f64 v[151:152], v[6:7], v[32:33]
	v_mul_f64 v[32:33], v[8:9], v[32:33]
	v_fma_f64 v[155:156], v[4:5], v[26:27], v[155:156]
	v_fma_f64 v[26:27], v[2:3], v[26:27], -v[28:29]
	ds_load_b128 v[2:5], v1 offset:896
	v_add_f64 v[28:29], v[147:148], v[157:158]
	v_add_f64 v[147:148], v[149:150], v[153:154]
	v_fma_f64 v[151:152], v[8:9], v[30:31], v[151:152]
	v_fma_f64 v[30:31], v[6:7], v[30:31], -v[32:33]
	ds_load_b128 v[6:9], v1 offset:912
	s_waitcnt vmcnt(7) lgkmcnt(1)
	v_mul_f64 v[149:150], v[2:3], v[40:41]
	v_mul_f64 v[40:41], v[4:5], v[40:41]
	v_add_f64 v[26:27], v[28:29], v[26:27]
	v_add_f64 v[28:29], v[147:148], v[155:156]
	s_delay_alu instid0(VALU_DEP_4) | instskip(NEXT) | instid1(VALU_DEP_4)
	v_fma_f64 v[147:148], v[4:5], v[38:39], v[149:150]
	v_fma_f64 v[38:39], v[2:3], v[38:39], -v[40:41]
	ds_load_b128 v[2:5], v1 offset:928
	v_add_f64 v[30:31], v[26:27], v[30:31]
	v_add_f64 v[40:41], v[28:29], v[151:152]
	scratch_load_b128 v[26:29], off, off offset:240
	s_waitcnt vmcnt(7) lgkmcnt(1)
	v_mul_f64 v[32:33], v[6:7], v[145:146]
	v_mul_f64 v[145:146], v[8:9], v[145:146]
	v_add_f64 v[30:31], v[30:31], v[38:39]
	v_add_f64 v[38:39], v[40:41], v[147:148]
	s_delay_alu instid0(VALU_DEP_4) | instskip(NEXT) | instid1(VALU_DEP_4)
	v_fma_f64 v[32:33], v[8:9], v[143:144], v[32:33]
	v_fma_f64 v[143:144], v[6:7], v[143:144], -v[145:146]
	ds_load_b128 v[6:9], v1 offset:944
	s_waitcnt vmcnt(6) lgkmcnt(1)
	v_mul_f64 v[149:150], v[2:3], v[36:37]
	v_mul_f64 v[36:37], v[4:5], v[36:37]
	s_waitcnt vmcnt(5) lgkmcnt(0)
	v_mul_f64 v[40:41], v[6:7], v[141:142]
	v_mul_f64 v[141:142], v[8:9], v[141:142]
	v_add_f64 v[32:33], v[38:39], v[32:33]
	v_add_f64 v[30:31], v[30:31], v[143:144]
	v_fma_f64 v[145:146], v[4:5], v[34:35], v[149:150]
	v_fma_f64 v[34:35], v[2:3], v[34:35], -v[36:37]
	ds_load_b128 v[2:5], v1 offset:960
	v_fma_f64 v[38:39], v[8:9], v[139:140], v[40:41]
	v_fma_f64 v[40:41], v[6:7], v[139:140], -v[141:142]
	ds_load_b128 v[6:9], v1 offset:976
	s_waitcnt vmcnt(4) lgkmcnt(1)
	v_mul_f64 v[36:37], v[2:3], v[12:13]
	v_mul_f64 v[12:13], v[4:5], v[12:13]
	v_add_f64 v[32:33], v[32:33], v[145:146]
	v_add_f64 v[30:31], v[30:31], v[34:35]
	s_waitcnt vmcnt(3) lgkmcnt(0)
	v_mul_f64 v[34:35], v[6:7], v[16:17]
	v_mul_f64 v[16:17], v[8:9], v[16:17]
	v_fma_f64 v[36:37], v[4:5], v[10:11], v[36:37]
	v_fma_f64 v[10:11], v[2:3], v[10:11], -v[12:13]
	ds_load_b128 v[2:5], v1 offset:992
	v_add_f64 v[12:13], v[30:31], v[40:41]
	v_add_f64 v[30:31], v[32:33], v[38:39]
	v_fma_f64 v[34:35], v[8:9], v[14:15], v[34:35]
	v_fma_f64 v[14:15], v[6:7], v[14:15], -v[16:17]
	ds_load_b128 v[6:9], v1 offset:1008
	s_waitcnt vmcnt(2) lgkmcnt(1)
	v_mul_f64 v[32:33], v[2:3], v[20:21]
	v_mul_f64 v[20:21], v[4:5], v[20:21]
	s_waitcnt vmcnt(1) lgkmcnt(0)
	v_mul_f64 v[16:17], v[6:7], v[24:25]
	v_mul_f64 v[24:25], v[8:9], v[24:25]
	v_add_f64 v[10:11], v[12:13], v[10:11]
	v_add_f64 v[12:13], v[30:31], v[36:37]
	v_fma_f64 v[4:5], v[4:5], v[18:19], v[32:33]
	v_fma_f64 v[1:2], v[2:3], v[18:19], -v[20:21]
	v_fma_f64 v[8:9], v[8:9], v[22:23], v[16:17]
	v_fma_f64 v[6:7], v[6:7], v[22:23], -v[24:25]
	v_add_f64 v[10:11], v[10:11], v[14:15]
	v_add_f64 v[12:13], v[12:13], v[34:35]
	s_delay_alu instid0(VALU_DEP_2) | instskip(NEXT) | instid1(VALU_DEP_2)
	v_add_f64 v[1:2], v[10:11], v[1:2]
	v_add_f64 v[3:4], v[12:13], v[4:5]
	s_delay_alu instid0(VALU_DEP_2) | instskip(NEXT) | instid1(VALU_DEP_2)
	v_add_f64 v[1:2], v[1:2], v[6:7]
	v_add_f64 v[3:4], v[3:4], v[8:9]
	s_waitcnt vmcnt(0)
	s_delay_alu instid0(VALU_DEP_2) | instskip(NEXT) | instid1(VALU_DEP_2)
	v_add_f64 v[1:2], v[26:27], -v[1:2]
	v_add_f64 v[3:4], v[28:29], -v[3:4]
	scratch_store_b128 off, v[1:4], off offset:240
	v_cmpx_lt_u32_e32 14, v106
	s_cbranch_execz .LBB95_177
; %bb.176:
	scratch_load_b128 v[1:4], v123, off
	v_mov_b32_e32 v5, 0
	s_delay_alu instid0(VALU_DEP_1)
	v_mov_b32_e32 v6, v5
	v_mov_b32_e32 v7, v5
	;; [unrolled: 1-line block ×3, first 2 shown]
	scratch_store_b128 off, v[5:8], off offset:224
	s_waitcnt vmcnt(0)
	ds_store_b128 v138, v[1:4]
.LBB95_177:
	s_or_b32 exec_lo, exec_lo, s2
	s_waitcnt lgkmcnt(0)
	s_waitcnt_vscnt null, 0x0
	s_barrier
	buffer_gl0_inv
	s_clause 0x7
	scratch_load_b128 v[2:5], off, off offset:240
	scratch_load_b128 v[6:9], off, off offset:256
	;; [unrolled: 1-line block ×8, first 2 shown]
	v_mov_b32_e32 v1, 0
	s_clause 0x1
	scratch_load_b128 v[38:41], off, off offset:368
	scratch_load_b128 v[143:146], off, off offset:384
	s_mov_b32 s2, exec_lo
	ds_load_b128 v[34:37], v1 offset:752
	ds_load_b128 v[139:142], v1 offset:768
	s_waitcnt vmcnt(9) lgkmcnt(1)
	v_mul_f64 v[147:148], v[36:37], v[4:5]
	v_mul_f64 v[4:5], v[34:35], v[4:5]
	s_waitcnt vmcnt(8) lgkmcnt(0)
	v_mul_f64 v[149:150], v[139:140], v[8:9]
	v_mul_f64 v[8:9], v[141:142], v[8:9]
	s_delay_alu instid0(VALU_DEP_4) | instskip(NEXT) | instid1(VALU_DEP_4)
	v_fma_f64 v[147:148], v[34:35], v[2:3], -v[147:148]
	v_fma_f64 v[151:152], v[36:37], v[2:3], v[4:5]
	ds_load_b128 v[2:5], v1 offset:784
	scratch_load_b128 v[34:37], off, off offset:400
	v_fma_f64 v[149:150], v[141:142], v[6:7], v[149:150]
	v_fma_f64 v[155:156], v[139:140], v[6:7], -v[8:9]
	ds_load_b128 v[6:9], v1 offset:800
	scratch_load_b128 v[139:142], off, off offset:416
	s_waitcnt vmcnt(9) lgkmcnt(1)
	v_mul_f64 v[153:154], v[2:3], v[12:13]
	v_mul_f64 v[12:13], v[4:5], v[12:13]
	s_waitcnt vmcnt(8) lgkmcnt(0)
	v_mul_f64 v[157:158], v[6:7], v[16:17]
	v_mul_f64 v[16:17], v[8:9], v[16:17]
	v_add_f64 v[147:148], v[147:148], 0
	v_add_f64 v[151:152], v[151:152], 0
	v_fma_f64 v[153:154], v[4:5], v[10:11], v[153:154]
	v_fma_f64 v[159:160], v[2:3], v[10:11], -v[12:13]
	scratch_load_b128 v[10:13], off, off offset:432
	ds_load_b128 v[2:5], v1 offset:816
	v_add_f64 v[147:148], v[147:148], v[155:156]
	v_add_f64 v[149:150], v[151:152], v[149:150]
	v_fma_f64 v[155:156], v[8:9], v[14:15], v[157:158]
	v_fma_f64 v[157:158], v[6:7], v[14:15], -v[16:17]
	ds_load_b128 v[6:9], v1 offset:832
	scratch_load_b128 v[14:17], off, off offset:448
	s_waitcnt vmcnt(9) lgkmcnt(1)
	v_mul_f64 v[151:152], v[2:3], v[20:21]
	v_mul_f64 v[20:21], v[4:5], v[20:21]
	v_add_f64 v[147:148], v[147:148], v[159:160]
	v_add_f64 v[149:150], v[149:150], v[153:154]
	s_waitcnt vmcnt(8) lgkmcnt(0)
	v_mul_f64 v[153:154], v[6:7], v[24:25]
	v_mul_f64 v[24:25], v[8:9], v[24:25]
	v_fma_f64 v[151:152], v[4:5], v[18:19], v[151:152]
	v_fma_f64 v[159:160], v[2:3], v[18:19], -v[20:21]
	scratch_load_b128 v[18:21], off, off offset:464
	ds_load_b128 v[2:5], v1 offset:848
	v_add_f64 v[147:148], v[147:148], v[157:158]
	v_add_f64 v[149:150], v[149:150], v[155:156]
	v_fma_f64 v[153:154], v[8:9], v[22:23], v[153:154]
	v_fma_f64 v[157:158], v[6:7], v[22:23], -v[24:25]
	ds_load_b128 v[6:9], v1 offset:864
	s_waitcnt vmcnt(8) lgkmcnt(1)
	v_mul_f64 v[155:156], v[2:3], v[28:29]
	v_mul_f64 v[28:29], v[4:5], v[28:29]
	scratch_load_b128 v[22:25], off, off offset:480
	v_add_f64 v[147:148], v[147:148], v[159:160]
	v_add_f64 v[149:150], v[149:150], v[151:152]
	s_waitcnt vmcnt(8) lgkmcnt(0)
	v_mul_f64 v[151:152], v[6:7], v[32:33]
	v_mul_f64 v[32:33], v[8:9], v[32:33]
	v_fma_f64 v[155:156], v[4:5], v[26:27], v[155:156]
	v_fma_f64 v[159:160], v[2:3], v[26:27], -v[28:29]
	scratch_load_b128 v[26:29], off, off offset:496
	ds_load_b128 v[2:5], v1 offset:880
	v_add_f64 v[147:148], v[147:148], v[157:158]
	v_add_f64 v[149:150], v[149:150], v[153:154]
	v_fma_f64 v[151:152], v[8:9], v[30:31], v[151:152]
	v_fma_f64 v[30:31], v[6:7], v[30:31], -v[32:33]
	ds_load_b128 v[6:9], v1 offset:896
	s_waitcnt vmcnt(8) lgkmcnt(1)
	v_mul_f64 v[153:154], v[2:3], v[40:41]
	v_mul_f64 v[40:41], v[4:5], v[40:41]
	v_add_f64 v[32:33], v[147:148], v[159:160]
	v_add_f64 v[147:148], v[149:150], v[155:156]
	s_waitcnt vmcnt(7) lgkmcnt(0)
	v_mul_f64 v[149:150], v[6:7], v[145:146]
	v_mul_f64 v[145:146], v[8:9], v[145:146]
	v_fma_f64 v[153:154], v[4:5], v[38:39], v[153:154]
	v_fma_f64 v[38:39], v[2:3], v[38:39], -v[40:41]
	ds_load_b128 v[2:5], v1 offset:912
	v_add_f64 v[30:31], v[32:33], v[30:31]
	v_add_f64 v[32:33], v[147:148], v[151:152]
	v_fma_f64 v[147:148], v[8:9], v[143:144], v[149:150]
	v_fma_f64 v[143:144], v[6:7], v[143:144], -v[145:146]
	ds_load_b128 v[6:9], v1 offset:928
	s_waitcnt vmcnt(5) lgkmcnt(0)
	v_mul_f64 v[149:150], v[6:7], v[141:142]
	v_mul_f64 v[141:142], v[8:9], v[141:142]
	v_add_f64 v[38:39], v[30:31], v[38:39]
	v_add_f64 v[145:146], v[32:33], v[153:154]
	scratch_load_b128 v[30:33], off, off offset:224
	v_mul_f64 v[40:41], v[2:3], v[36:37]
	v_mul_f64 v[36:37], v[4:5], v[36:37]
	s_delay_alu instid0(VALU_DEP_2) | instskip(NEXT) | instid1(VALU_DEP_2)
	v_fma_f64 v[40:41], v[4:5], v[34:35], v[40:41]
	v_fma_f64 v[34:35], v[2:3], v[34:35], -v[36:37]
	v_add_f64 v[36:37], v[38:39], v[143:144]
	v_add_f64 v[38:39], v[145:146], v[147:148]
	ds_load_b128 v[2:5], v1 offset:944
	v_fma_f64 v[145:146], v[8:9], v[139:140], v[149:150]
	v_fma_f64 v[139:140], v[6:7], v[139:140], -v[141:142]
	ds_load_b128 v[6:9], v1 offset:960
	s_waitcnt vmcnt(5) lgkmcnt(1)
	v_mul_f64 v[143:144], v[2:3], v[12:13]
	v_mul_f64 v[12:13], v[4:5], v[12:13]
	v_add_f64 v[34:35], v[36:37], v[34:35]
	v_add_f64 v[36:37], v[38:39], v[40:41]
	s_waitcnt vmcnt(4) lgkmcnt(0)
	v_mul_f64 v[38:39], v[6:7], v[16:17]
	v_mul_f64 v[16:17], v[8:9], v[16:17]
	v_fma_f64 v[40:41], v[4:5], v[10:11], v[143:144]
	v_fma_f64 v[10:11], v[2:3], v[10:11], -v[12:13]
	ds_load_b128 v[2:5], v1 offset:976
	v_add_f64 v[12:13], v[34:35], v[139:140]
	v_add_f64 v[34:35], v[36:37], v[145:146]
	v_fma_f64 v[38:39], v[8:9], v[14:15], v[38:39]
	v_fma_f64 v[14:15], v[6:7], v[14:15], -v[16:17]
	ds_load_b128 v[6:9], v1 offset:992
	s_waitcnt vmcnt(3) lgkmcnt(1)
	v_mul_f64 v[36:37], v[2:3], v[20:21]
	v_mul_f64 v[20:21], v[4:5], v[20:21]
	s_waitcnt vmcnt(2) lgkmcnt(0)
	v_mul_f64 v[16:17], v[6:7], v[24:25]
	v_mul_f64 v[24:25], v[8:9], v[24:25]
	v_add_f64 v[10:11], v[12:13], v[10:11]
	v_add_f64 v[12:13], v[34:35], v[40:41]
	v_fma_f64 v[34:35], v[4:5], v[18:19], v[36:37]
	v_fma_f64 v[18:19], v[2:3], v[18:19], -v[20:21]
	ds_load_b128 v[2:5], v1 offset:1008
	v_fma_f64 v[8:9], v[8:9], v[22:23], v[16:17]
	v_fma_f64 v[6:7], v[6:7], v[22:23], -v[24:25]
	s_waitcnt vmcnt(1) lgkmcnt(0)
	v_mul_f64 v[20:21], v[4:5], v[28:29]
	v_add_f64 v[10:11], v[10:11], v[14:15]
	v_add_f64 v[12:13], v[12:13], v[38:39]
	v_mul_f64 v[14:15], v[2:3], v[28:29]
	s_delay_alu instid0(VALU_DEP_4) | instskip(NEXT) | instid1(VALU_DEP_4)
	v_fma_f64 v[2:3], v[2:3], v[26:27], -v[20:21]
	v_add_f64 v[10:11], v[10:11], v[18:19]
	s_delay_alu instid0(VALU_DEP_4) | instskip(NEXT) | instid1(VALU_DEP_4)
	v_add_f64 v[12:13], v[12:13], v[34:35]
	v_fma_f64 v[4:5], v[4:5], v[26:27], v[14:15]
	s_delay_alu instid0(VALU_DEP_3) | instskip(NEXT) | instid1(VALU_DEP_3)
	v_add_f64 v[6:7], v[10:11], v[6:7]
	v_add_f64 v[8:9], v[12:13], v[8:9]
	s_delay_alu instid0(VALU_DEP_2) | instskip(NEXT) | instid1(VALU_DEP_2)
	v_add_f64 v[2:3], v[6:7], v[2:3]
	v_add_f64 v[4:5], v[8:9], v[4:5]
	s_waitcnt vmcnt(0)
	s_delay_alu instid0(VALU_DEP_2) | instskip(NEXT) | instid1(VALU_DEP_2)
	v_add_f64 v[2:3], v[30:31], -v[2:3]
	v_add_f64 v[4:5], v[32:33], -v[4:5]
	scratch_store_b128 off, v[2:5], off offset:224
	v_cmpx_lt_u32_e32 13, v106
	s_cbranch_execz .LBB95_179
; %bb.178:
	scratch_load_b128 v[5:8], v125, off
	v_mov_b32_e32 v2, v1
	v_mov_b32_e32 v3, v1
	;; [unrolled: 1-line block ×3, first 2 shown]
	scratch_store_b128 off, v[1:4], off offset:208
	s_waitcnt vmcnt(0)
	ds_store_b128 v138, v[5:8]
.LBB95_179:
	s_or_b32 exec_lo, exec_lo, s2
	s_waitcnt lgkmcnt(0)
	s_waitcnt_vscnt null, 0x0
	s_barrier
	buffer_gl0_inv
	s_clause 0x7
	scratch_load_b128 v[2:5], off, off offset:224
	scratch_load_b128 v[6:9], off, off offset:240
	;; [unrolled: 1-line block ×8, first 2 shown]
	ds_load_b128 v[34:37], v1 offset:736
	ds_load_b128 v[139:142], v1 offset:752
	s_clause 0x1
	scratch_load_b128 v[38:41], off, off offset:352
	scratch_load_b128 v[143:146], off, off offset:368
	s_mov_b32 s2, exec_lo
	s_waitcnt vmcnt(9) lgkmcnt(1)
	v_mul_f64 v[147:148], v[36:37], v[4:5]
	v_mul_f64 v[4:5], v[34:35], v[4:5]
	s_waitcnt vmcnt(8) lgkmcnt(0)
	v_mul_f64 v[149:150], v[139:140], v[8:9]
	v_mul_f64 v[8:9], v[141:142], v[8:9]
	s_delay_alu instid0(VALU_DEP_4) | instskip(NEXT) | instid1(VALU_DEP_4)
	v_fma_f64 v[147:148], v[34:35], v[2:3], -v[147:148]
	v_fma_f64 v[151:152], v[36:37], v[2:3], v[4:5]
	scratch_load_b128 v[34:37], off, off offset:384
	ds_load_b128 v[2:5], v1 offset:768
	v_fma_f64 v[149:150], v[141:142], v[6:7], v[149:150]
	v_fma_f64 v[155:156], v[139:140], v[6:7], -v[8:9]
	ds_load_b128 v[6:9], v1 offset:784
	scratch_load_b128 v[139:142], off, off offset:400
	s_waitcnt vmcnt(9) lgkmcnt(1)
	v_mul_f64 v[153:154], v[2:3], v[12:13]
	v_mul_f64 v[12:13], v[4:5], v[12:13]
	s_waitcnt vmcnt(8) lgkmcnt(0)
	v_mul_f64 v[157:158], v[6:7], v[16:17]
	v_mul_f64 v[16:17], v[8:9], v[16:17]
	v_add_f64 v[147:148], v[147:148], 0
	v_add_f64 v[151:152], v[151:152], 0
	v_fma_f64 v[153:154], v[4:5], v[10:11], v[153:154]
	v_fma_f64 v[159:160], v[2:3], v[10:11], -v[12:13]
	scratch_load_b128 v[10:13], off, off offset:416
	ds_load_b128 v[2:5], v1 offset:800
	v_add_f64 v[147:148], v[147:148], v[155:156]
	v_add_f64 v[149:150], v[151:152], v[149:150]
	v_fma_f64 v[155:156], v[8:9], v[14:15], v[157:158]
	v_fma_f64 v[157:158], v[6:7], v[14:15], -v[16:17]
	ds_load_b128 v[6:9], v1 offset:816
	scratch_load_b128 v[14:17], off, off offset:432
	s_waitcnt vmcnt(9) lgkmcnt(1)
	v_mul_f64 v[151:152], v[2:3], v[20:21]
	v_mul_f64 v[20:21], v[4:5], v[20:21]
	v_add_f64 v[147:148], v[147:148], v[159:160]
	v_add_f64 v[149:150], v[149:150], v[153:154]
	s_waitcnt vmcnt(8) lgkmcnt(0)
	v_mul_f64 v[153:154], v[6:7], v[24:25]
	v_mul_f64 v[24:25], v[8:9], v[24:25]
	v_fma_f64 v[151:152], v[4:5], v[18:19], v[151:152]
	v_fma_f64 v[159:160], v[2:3], v[18:19], -v[20:21]
	scratch_load_b128 v[18:21], off, off offset:448
	ds_load_b128 v[2:5], v1 offset:832
	v_add_f64 v[147:148], v[147:148], v[157:158]
	v_add_f64 v[149:150], v[149:150], v[155:156]
	v_fma_f64 v[153:154], v[8:9], v[22:23], v[153:154]
	v_fma_f64 v[157:158], v[6:7], v[22:23], -v[24:25]
	ds_load_b128 v[6:9], v1 offset:848
	s_waitcnt vmcnt(8) lgkmcnt(1)
	v_mul_f64 v[155:156], v[2:3], v[28:29]
	v_mul_f64 v[28:29], v[4:5], v[28:29]
	scratch_load_b128 v[22:25], off, off offset:464
	v_add_f64 v[147:148], v[147:148], v[159:160]
	v_add_f64 v[149:150], v[149:150], v[151:152]
	s_waitcnt vmcnt(8) lgkmcnt(0)
	v_mul_f64 v[151:152], v[6:7], v[32:33]
	v_mul_f64 v[32:33], v[8:9], v[32:33]
	v_fma_f64 v[155:156], v[4:5], v[26:27], v[155:156]
	v_fma_f64 v[159:160], v[2:3], v[26:27], -v[28:29]
	scratch_load_b128 v[26:29], off, off offset:480
	ds_load_b128 v[2:5], v1 offset:864
	v_add_f64 v[147:148], v[147:148], v[157:158]
	v_add_f64 v[149:150], v[149:150], v[153:154]
	v_fma_f64 v[151:152], v[8:9], v[30:31], v[151:152]
	v_fma_f64 v[157:158], v[6:7], v[30:31], -v[32:33]
	ds_load_b128 v[6:9], v1 offset:880
	s_waitcnt vmcnt(8) lgkmcnt(1)
	v_mul_f64 v[153:154], v[2:3], v[40:41]
	v_mul_f64 v[40:41], v[4:5], v[40:41]
	scratch_load_b128 v[30:33], off, off offset:496
	v_add_f64 v[147:148], v[147:148], v[159:160]
	v_add_f64 v[149:150], v[149:150], v[155:156]
	v_fma_f64 v[153:154], v[4:5], v[38:39], v[153:154]
	v_fma_f64 v[38:39], v[2:3], v[38:39], -v[40:41]
	ds_load_b128 v[2:5], v1 offset:896
	v_add_f64 v[40:41], v[147:148], v[157:158]
	v_add_f64 v[147:148], v[149:150], v[151:152]
	s_waitcnt vmcnt(7) lgkmcnt(0)
	v_mul_f64 v[149:150], v[2:3], v[36:37]
	v_mul_f64 v[36:37], v[4:5], v[36:37]
	s_delay_alu instid0(VALU_DEP_4) | instskip(NEXT) | instid1(VALU_DEP_4)
	v_add_f64 v[38:39], v[40:41], v[38:39]
	v_add_f64 v[40:41], v[147:148], v[153:154]
	s_delay_alu instid0(VALU_DEP_4) | instskip(NEXT) | instid1(VALU_DEP_4)
	v_fma_f64 v[147:148], v[4:5], v[34:35], v[149:150]
	v_fma_f64 v[149:150], v[2:3], v[34:35], -v[36:37]
	scratch_load_b128 v[34:37], off, off offset:208
	v_mul_f64 v[155:156], v[6:7], v[145:146]
	v_mul_f64 v[145:146], v[8:9], v[145:146]
	ds_load_b128 v[2:5], v1 offset:928
	v_fma_f64 v[151:152], v[8:9], v[143:144], v[155:156]
	v_fma_f64 v[143:144], v[6:7], v[143:144], -v[145:146]
	ds_load_b128 v[6:9], v1 offset:912
	s_waitcnt vmcnt(7) lgkmcnt(0)
	v_mul_f64 v[145:146], v[6:7], v[141:142]
	v_mul_f64 v[141:142], v[8:9], v[141:142]
	v_add_f64 v[40:41], v[40:41], v[151:152]
	v_add_f64 v[38:39], v[38:39], v[143:144]
	s_waitcnt vmcnt(6)
	v_mul_f64 v[143:144], v[2:3], v[12:13]
	v_mul_f64 v[12:13], v[4:5], v[12:13]
	v_fma_f64 v[145:146], v[8:9], v[139:140], v[145:146]
	v_fma_f64 v[139:140], v[6:7], v[139:140], -v[141:142]
	ds_load_b128 v[6:9], v1 offset:944
	v_add_f64 v[40:41], v[40:41], v[147:148]
	v_add_f64 v[38:39], v[38:39], v[149:150]
	v_fma_f64 v[143:144], v[4:5], v[10:11], v[143:144]
	v_fma_f64 v[10:11], v[2:3], v[10:11], -v[12:13]
	ds_load_b128 v[2:5], v1 offset:960
	s_waitcnt vmcnt(5) lgkmcnt(1)
	v_mul_f64 v[141:142], v[6:7], v[16:17]
	v_mul_f64 v[16:17], v[8:9], v[16:17]
	v_add_f64 v[12:13], v[38:39], v[139:140]
	v_add_f64 v[38:39], v[40:41], v[145:146]
	s_waitcnt vmcnt(4) lgkmcnt(0)
	v_mul_f64 v[40:41], v[2:3], v[20:21]
	v_mul_f64 v[20:21], v[4:5], v[20:21]
	v_fma_f64 v[139:140], v[8:9], v[14:15], v[141:142]
	v_fma_f64 v[14:15], v[6:7], v[14:15], -v[16:17]
	ds_load_b128 v[6:9], v1 offset:976
	v_add_f64 v[10:11], v[12:13], v[10:11]
	v_add_f64 v[12:13], v[38:39], v[143:144]
	v_fma_f64 v[38:39], v[4:5], v[18:19], v[40:41]
	v_fma_f64 v[18:19], v[2:3], v[18:19], -v[20:21]
	ds_load_b128 v[2:5], v1 offset:992
	s_waitcnt vmcnt(3) lgkmcnt(1)
	v_mul_f64 v[16:17], v[6:7], v[24:25]
	v_mul_f64 v[24:25], v[8:9], v[24:25]
	s_waitcnt vmcnt(2) lgkmcnt(0)
	v_mul_f64 v[20:21], v[4:5], v[28:29]
	v_add_f64 v[10:11], v[10:11], v[14:15]
	v_add_f64 v[12:13], v[12:13], v[139:140]
	v_mul_f64 v[14:15], v[2:3], v[28:29]
	v_fma_f64 v[16:17], v[8:9], v[22:23], v[16:17]
	v_fma_f64 v[22:23], v[6:7], v[22:23], -v[24:25]
	ds_load_b128 v[6:9], v1 offset:1008
	v_fma_f64 v[1:2], v[2:3], v[26:27], -v[20:21]
	s_waitcnt vmcnt(1) lgkmcnt(0)
	v_mul_f64 v[24:25], v[8:9], v[32:33]
	v_add_f64 v[10:11], v[10:11], v[18:19]
	v_add_f64 v[12:13], v[12:13], v[38:39]
	v_mul_f64 v[18:19], v[6:7], v[32:33]
	v_fma_f64 v[4:5], v[4:5], v[26:27], v[14:15]
	v_fma_f64 v[6:7], v[6:7], v[30:31], -v[24:25]
	v_add_f64 v[10:11], v[10:11], v[22:23]
	v_add_f64 v[12:13], v[12:13], v[16:17]
	v_fma_f64 v[8:9], v[8:9], v[30:31], v[18:19]
	s_delay_alu instid0(VALU_DEP_3) | instskip(NEXT) | instid1(VALU_DEP_3)
	v_add_f64 v[1:2], v[10:11], v[1:2]
	v_add_f64 v[3:4], v[12:13], v[4:5]
	s_delay_alu instid0(VALU_DEP_2) | instskip(NEXT) | instid1(VALU_DEP_2)
	v_add_f64 v[1:2], v[1:2], v[6:7]
	v_add_f64 v[3:4], v[3:4], v[8:9]
	s_waitcnt vmcnt(0)
	s_delay_alu instid0(VALU_DEP_2) | instskip(NEXT) | instid1(VALU_DEP_2)
	v_add_f64 v[1:2], v[34:35], -v[1:2]
	v_add_f64 v[3:4], v[36:37], -v[3:4]
	scratch_store_b128 off, v[1:4], off offset:208
	v_cmpx_lt_u32_e32 12, v106
	s_cbranch_execz .LBB95_181
; %bb.180:
	scratch_load_b128 v[1:4], v126, off
	v_mov_b32_e32 v5, 0
	s_delay_alu instid0(VALU_DEP_1)
	v_mov_b32_e32 v6, v5
	v_mov_b32_e32 v7, v5
	;; [unrolled: 1-line block ×3, first 2 shown]
	scratch_store_b128 off, v[5:8], off offset:192
	s_waitcnt vmcnt(0)
	ds_store_b128 v138, v[1:4]
.LBB95_181:
	s_or_b32 exec_lo, exec_lo, s2
	s_waitcnt lgkmcnt(0)
	s_waitcnt_vscnt null, 0x0
	s_barrier
	buffer_gl0_inv
	s_clause 0x7
	scratch_load_b128 v[2:5], off, off offset:208
	scratch_load_b128 v[6:9], off, off offset:224
	;; [unrolled: 1-line block ×8, first 2 shown]
	v_mov_b32_e32 v1, 0
	s_clause 0x1
	scratch_load_b128 v[38:41], off, off offset:336
	scratch_load_b128 v[143:146], off, off offset:352
	s_mov_b32 s2, exec_lo
	ds_load_b128 v[34:37], v1 offset:720
	ds_load_b128 v[139:142], v1 offset:736
	s_waitcnt vmcnt(9) lgkmcnt(1)
	v_mul_f64 v[147:148], v[36:37], v[4:5]
	v_mul_f64 v[4:5], v[34:35], v[4:5]
	s_waitcnt vmcnt(8) lgkmcnt(0)
	v_mul_f64 v[149:150], v[139:140], v[8:9]
	v_mul_f64 v[8:9], v[141:142], v[8:9]
	s_delay_alu instid0(VALU_DEP_4) | instskip(NEXT) | instid1(VALU_DEP_4)
	v_fma_f64 v[147:148], v[34:35], v[2:3], -v[147:148]
	v_fma_f64 v[151:152], v[36:37], v[2:3], v[4:5]
	ds_load_b128 v[2:5], v1 offset:752
	scratch_load_b128 v[34:37], off, off offset:368
	v_fma_f64 v[149:150], v[141:142], v[6:7], v[149:150]
	v_fma_f64 v[155:156], v[139:140], v[6:7], -v[8:9]
	scratch_load_b128 v[139:142], off, off offset:384
	ds_load_b128 v[6:9], v1 offset:768
	s_waitcnt vmcnt(9) lgkmcnt(1)
	v_mul_f64 v[153:154], v[2:3], v[12:13]
	v_mul_f64 v[12:13], v[4:5], v[12:13]
	s_waitcnt vmcnt(8) lgkmcnt(0)
	v_mul_f64 v[157:158], v[6:7], v[16:17]
	v_mul_f64 v[16:17], v[8:9], v[16:17]
	v_add_f64 v[147:148], v[147:148], 0
	v_add_f64 v[151:152], v[151:152], 0
	v_fma_f64 v[153:154], v[4:5], v[10:11], v[153:154]
	v_fma_f64 v[159:160], v[2:3], v[10:11], -v[12:13]
	ds_load_b128 v[2:5], v1 offset:784
	scratch_load_b128 v[10:13], off, off offset:400
	v_add_f64 v[147:148], v[147:148], v[155:156]
	v_add_f64 v[149:150], v[151:152], v[149:150]
	v_fma_f64 v[155:156], v[8:9], v[14:15], v[157:158]
	v_fma_f64 v[157:158], v[6:7], v[14:15], -v[16:17]
	ds_load_b128 v[6:9], v1 offset:800
	scratch_load_b128 v[14:17], off, off offset:416
	s_waitcnt vmcnt(9) lgkmcnt(1)
	v_mul_f64 v[151:152], v[2:3], v[20:21]
	v_mul_f64 v[20:21], v[4:5], v[20:21]
	v_add_f64 v[147:148], v[147:148], v[159:160]
	v_add_f64 v[149:150], v[149:150], v[153:154]
	s_waitcnt vmcnt(8) lgkmcnt(0)
	v_mul_f64 v[153:154], v[6:7], v[24:25]
	v_mul_f64 v[24:25], v[8:9], v[24:25]
	v_fma_f64 v[151:152], v[4:5], v[18:19], v[151:152]
	v_fma_f64 v[159:160], v[2:3], v[18:19], -v[20:21]
	scratch_load_b128 v[18:21], off, off offset:432
	ds_load_b128 v[2:5], v1 offset:816
	v_add_f64 v[147:148], v[147:148], v[157:158]
	v_add_f64 v[149:150], v[149:150], v[155:156]
	v_fma_f64 v[153:154], v[8:9], v[22:23], v[153:154]
	v_fma_f64 v[157:158], v[6:7], v[22:23], -v[24:25]
	ds_load_b128 v[6:9], v1 offset:832
	s_waitcnt vmcnt(8) lgkmcnt(1)
	v_mul_f64 v[155:156], v[2:3], v[28:29]
	v_mul_f64 v[28:29], v[4:5], v[28:29]
	scratch_load_b128 v[22:25], off, off offset:448
	v_add_f64 v[147:148], v[147:148], v[159:160]
	v_add_f64 v[149:150], v[149:150], v[151:152]
	s_waitcnt vmcnt(8) lgkmcnt(0)
	v_mul_f64 v[151:152], v[6:7], v[32:33]
	v_mul_f64 v[32:33], v[8:9], v[32:33]
	v_fma_f64 v[155:156], v[4:5], v[26:27], v[155:156]
	v_fma_f64 v[159:160], v[2:3], v[26:27], -v[28:29]
	scratch_load_b128 v[26:29], off, off offset:464
	ds_load_b128 v[2:5], v1 offset:848
	v_add_f64 v[147:148], v[147:148], v[157:158]
	v_add_f64 v[149:150], v[149:150], v[153:154]
	v_fma_f64 v[151:152], v[8:9], v[30:31], v[151:152]
	v_fma_f64 v[157:158], v[6:7], v[30:31], -v[32:33]
	ds_load_b128 v[6:9], v1 offset:864
	s_waitcnt vmcnt(8) lgkmcnt(1)
	v_mul_f64 v[153:154], v[2:3], v[40:41]
	v_mul_f64 v[40:41], v[4:5], v[40:41]
	scratch_load_b128 v[30:33], off, off offset:480
	v_add_f64 v[147:148], v[147:148], v[159:160]
	v_add_f64 v[149:150], v[149:150], v[155:156]
	s_waitcnt vmcnt(8) lgkmcnt(0)
	v_mul_f64 v[155:156], v[6:7], v[145:146]
	v_mul_f64 v[145:146], v[8:9], v[145:146]
	v_fma_f64 v[153:154], v[4:5], v[38:39], v[153:154]
	v_fma_f64 v[159:160], v[2:3], v[38:39], -v[40:41]
	scratch_load_b128 v[38:41], off, off offset:496
	ds_load_b128 v[2:5], v1 offset:880
	v_add_f64 v[147:148], v[147:148], v[157:158]
	v_add_f64 v[149:150], v[149:150], v[151:152]
	v_fma_f64 v[155:156], v[8:9], v[143:144], v[155:156]
	v_fma_f64 v[143:144], v[6:7], v[143:144], -v[145:146]
	ds_load_b128 v[6:9], v1 offset:896
	s_waitcnt vmcnt(8) lgkmcnt(1)
	v_mul_f64 v[151:152], v[2:3], v[36:37]
	v_mul_f64 v[36:37], v[4:5], v[36:37]
	v_add_f64 v[145:146], v[147:148], v[159:160]
	v_add_f64 v[147:148], v[149:150], v[153:154]
	s_waitcnt vmcnt(7) lgkmcnt(0)
	v_mul_f64 v[149:150], v[6:7], v[141:142]
	v_mul_f64 v[141:142], v[8:9], v[141:142]
	v_fma_f64 v[151:152], v[4:5], v[34:35], v[151:152]
	v_fma_f64 v[34:35], v[2:3], v[34:35], -v[36:37]
	ds_load_b128 v[2:5], v1 offset:912
	v_add_f64 v[36:37], v[145:146], v[143:144]
	v_add_f64 v[143:144], v[147:148], v[155:156]
	v_fma_f64 v[147:148], v[8:9], v[139:140], v[149:150]
	v_fma_f64 v[139:140], v[6:7], v[139:140], -v[141:142]
	ds_load_b128 v[6:9], v1 offset:928
	s_waitcnt vmcnt(5) lgkmcnt(0)
	v_mul_f64 v[149:150], v[6:7], v[16:17]
	v_mul_f64 v[16:17], v[8:9], v[16:17]
	v_add_f64 v[141:142], v[36:37], v[34:35]
	v_add_f64 v[143:144], v[143:144], v[151:152]
	scratch_load_b128 v[34:37], off, off offset:192
	v_mul_f64 v[145:146], v[2:3], v[12:13]
	v_mul_f64 v[12:13], v[4:5], v[12:13]
	s_delay_alu instid0(VALU_DEP_2) | instskip(NEXT) | instid1(VALU_DEP_2)
	v_fma_f64 v[145:146], v[4:5], v[10:11], v[145:146]
	v_fma_f64 v[10:11], v[2:3], v[10:11], -v[12:13]
	v_add_f64 v[12:13], v[141:142], v[139:140]
	v_add_f64 v[139:140], v[143:144], v[147:148]
	ds_load_b128 v[2:5], v1 offset:944
	v_fma_f64 v[143:144], v[8:9], v[14:15], v[149:150]
	v_fma_f64 v[14:15], v[6:7], v[14:15], -v[16:17]
	ds_load_b128 v[6:9], v1 offset:960
	s_waitcnt vmcnt(5) lgkmcnt(1)
	v_mul_f64 v[141:142], v[2:3], v[20:21]
	v_mul_f64 v[20:21], v[4:5], v[20:21]
	s_waitcnt vmcnt(4) lgkmcnt(0)
	v_mul_f64 v[16:17], v[6:7], v[24:25]
	v_mul_f64 v[24:25], v[8:9], v[24:25]
	v_add_f64 v[10:11], v[12:13], v[10:11]
	v_add_f64 v[12:13], v[139:140], v[145:146]
	v_fma_f64 v[139:140], v[4:5], v[18:19], v[141:142]
	v_fma_f64 v[18:19], v[2:3], v[18:19], -v[20:21]
	ds_load_b128 v[2:5], v1 offset:976
	v_fma_f64 v[16:17], v[8:9], v[22:23], v[16:17]
	v_fma_f64 v[22:23], v[6:7], v[22:23], -v[24:25]
	ds_load_b128 v[6:9], v1 offset:992
	v_add_f64 v[10:11], v[10:11], v[14:15]
	v_add_f64 v[12:13], v[12:13], v[143:144]
	s_waitcnt vmcnt(3) lgkmcnt(1)
	v_mul_f64 v[14:15], v[2:3], v[28:29]
	v_mul_f64 v[20:21], v[4:5], v[28:29]
	s_waitcnt vmcnt(2) lgkmcnt(0)
	v_mul_f64 v[24:25], v[8:9], v[32:33]
	v_add_f64 v[10:11], v[10:11], v[18:19]
	v_add_f64 v[12:13], v[12:13], v[139:140]
	v_mul_f64 v[18:19], v[6:7], v[32:33]
	v_fma_f64 v[14:15], v[4:5], v[26:27], v[14:15]
	v_fma_f64 v[20:21], v[2:3], v[26:27], -v[20:21]
	ds_load_b128 v[2:5], v1 offset:1008
	v_fma_f64 v[6:7], v[6:7], v[30:31], -v[24:25]
	v_add_f64 v[10:11], v[10:11], v[22:23]
	v_add_f64 v[12:13], v[12:13], v[16:17]
	s_waitcnt vmcnt(1) lgkmcnt(0)
	v_mul_f64 v[16:17], v[2:3], v[40:41]
	v_mul_f64 v[22:23], v[4:5], v[40:41]
	v_fma_f64 v[8:9], v[8:9], v[30:31], v[18:19]
	v_add_f64 v[10:11], v[10:11], v[20:21]
	v_add_f64 v[12:13], v[12:13], v[14:15]
	v_fma_f64 v[4:5], v[4:5], v[38:39], v[16:17]
	v_fma_f64 v[2:3], v[2:3], v[38:39], -v[22:23]
	s_delay_alu instid0(VALU_DEP_4) | instskip(NEXT) | instid1(VALU_DEP_4)
	v_add_f64 v[6:7], v[10:11], v[6:7]
	v_add_f64 v[8:9], v[12:13], v[8:9]
	s_delay_alu instid0(VALU_DEP_2) | instskip(NEXT) | instid1(VALU_DEP_2)
	v_add_f64 v[2:3], v[6:7], v[2:3]
	v_add_f64 v[4:5], v[8:9], v[4:5]
	s_waitcnt vmcnt(0)
	s_delay_alu instid0(VALU_DEP_2) | instskip(NEXT) | instid1(VALU_DEP_2)
	v_add_f64 v[2:3], v[34:35], -v[2:3]
	v_add_f64 v[4:5], v[36:37], -v[4:5]
	scratch_store_b128 off, v[2:5], off offset:192
	v_cmpx_lt_u32_e32 11, v106
	s_cbranch_execz .LBB95_183
; %bb.182:
	scratch_load_b128 v[5:8], v128, off
	v_mov_b32_e32 v2, v1
	v_mov_b32_e32 v3, v1
	;; [unrolled: 1-line block ×3, first 2 shown]
	scratch_store_b128 off, v[1:4], off offset:176
	s_waitcnt vmcnt(0)
	ds_store_b128 v138, v[5:8]
.LBB95_183:
	s_or_b32 exec_lo, exec_lo, s2
	s_waitcnt lgkmcnt(0)
	s_waitcnt_vscnt null, 0x0
	s_barrier
	buffer_gl0_inv
	s_clause 0x7
	scratch_load_b128 v[2:5], off, off offset:192
	scratch_load_b128 v[6:9], off, off offset:208
	;; [unrolled: 1-line block ×8, first 2 shown]
	ds_load_b128 v[34:37], v1 offset:704
	ds_load_b128 v[139:142], v1 offset:720
	s_clause 0x1
	scratch_load_b128 v[38:41], off, off offset:320
	scratch_load_b128 v[143:146], off, off offset:336
	s_mov_b32 s2, exec_lo
	s_waitcnt vmcnt(9) lgkmcnt(1)
	v_mul_f64 v[147:148], v[36:37], v[4:5]
	v_mul_f64 v[4:5], v[34:35], v[4:5]
	s_waitcnt vmcnt(8) lgkmcnt(0)
	v_mul_f64 v[149:150], v[139:140], v[8:9]
	v_mul_f64 v[8:9], v[141:142], v[8:9]
	s_delay_alu instid0(VALU_DEP_4) | instskip(NEXT) | instid1(VALU_DEP_4)
	v_fma_f64 v[147:148], v[34:35], v[2:3], -v[147:148]
	v_fma_f64 v[151:152], v[36:37], v[2:3], v[4:5]
	ds_load_b128 v[2:5], v1 offset:736
	scratch_load_b128 v[34:37], off, off offset:352
	v_fma_f64 v[149:150], v[141:142], v[6:7], v[149:150]
	v_fma_f64 v[155:156], v[139:140], v[6:7], -v[8:9]
	ds_load_b128 v[6:9], v1 offset:752
	scratch_load_b128 v[139:142], off, off offset:368
	s_waitcnt vmcnt(9) lgkmcnt(1)
	v_mul_f64 v[153:154], v[2:3], v[12:13]
	v_mul_f64 v[12:13], v[4:5], v[12:13]
	s_waitcnt vmcnt(8) lgkmcnt(0)
	v_mul_f64 v[157:158], v[6:7], v[16:17]
	v_mul_f64 v[16:17], v[8:9], v[16:17]
	v_add_f64 v[147:148], v[147:148], 0
	v_add_f64 v[151:152], v[151:152], 0
	v_fma_f64 v[153:154], v[4:5], v[10:11], v[153:154]
	v_fma_f64 v[159:160], v[2:3], v[10:11], -v[12:13]
	scratch_load_b128 v[10:13], off, off offset:384
	ds_load_b128 v[2:5], v1 offset:768
	v_add_f64 v[147:148], v[147:148], v[155:156]
	v_add_f64 v[149:150], v[151:152], v[149:150]
	v_fma_f64 v[155:156], v[8:9], v[14:15], v[157:158]
	v_fma_f64 v[157:158], v[6:7], v[14:15], -v[16:17]
	ds_load_b128 v[6:9], v1 offset:784
	scratch_load_b128 v[14:17], off, off offset:400
	s_waitcnt vmcnt(9) lgkmcnt(1)
	v_mul_f64 v[151:152], v[2:3], v[20:21]
	v_mul_f64 v[20:21], v[4:5], v[20:21]
	v_add_f64 v[147:148], v[147:148], v[159:160]
	v_add_f64 v[149:150], v[149:150], v[153:154]
	s_waitcnt vmcnt(8) lgkmcnt(0)
	v_mul_f64 v[153:154], v[6:7], v[24:25]
	v_mul_f64 v[24:25], v[8:9], v[24:25]
	v_fma_f64 v[151:152], v[4:5], v[18:19], v[151:152]
	v_fma_f64 v[159:160], v[2:3], v[18:19], -v[20:21]
	scratch_load_b128 v[18:21], off, off offset:416
	ds_load_b128 v[2:5], v1 offset:800
	v_add_f64 v[147:148], v[147:148], v[157:158]
	v_add_f64 v[149:150], v[149:150], v[155:156]
	v_fma_f64 v[153:154], v[8:9], v[22:23], v[153:154]
	v_fma_f64 v[157:158], v[6:7], v[22:23], -v[24:25]
	ds_load_b128 v[6:9], v1 offset:816
	s_waitcnt vmcnt(8) lgkmcnt(1)
	v_mul_f64 v[155:156], v[2:3], v[28:29]
	v_mul_f64 v[28:29], v[4:5], v[28:29]
	scratch_load_b128 v[22:25], off, off offset:432
	v_add_f64 v[147:148], v[147:148], v[159:160]
	v_add_f64 v[149:150], v[149:150], v[151:152]
	s_waitcnt vmcnt(8) lgkmcnt(0)
	v_mul_f64 v[151:152], v[6:7], v[32:33]
	v_mul_f64 v[32:33], v[8:9], v[32:33]
	v_fma_f64 v[155:156], v[4:5], v[26:27], v[155:156]
	v_fma_f64 v[159:160], v[2:3], v[26:27], -v[28:29]
	scratch_load_b128 v[26:29], off, off offset:448
	ds_load_b128 v[2:5], v1 offset:832
	v_add_f64 v[147:148], v[147:148], v[157:158]
	v_add_f64 v[149:150], v[149:150], v[153:154]
	v_fma_f64 v[151:152], v[8:9], v[30:31], v[151:152]
	v_fma_f64 v[157:158], v[6:7], v[30:31], -v[32:33]
	ds_load_b128 v[6:9], v1 offset:848
	s_waitcnt vmcnt(8) lgkmcnt(1)
	v_mul_f64 v[153:154], v[2:3], v[40:41]
	v_mul_f64 v[40:41], v[4:5], v[40:41]
	scratch_load_b128 v[30:33], off, off offset:464
	v_add_f64 v[147:148], v[147:148], v[159:160]
	v_add_f64 v[149:150], v[149:150], v[155:156]
	s_waitcnt vmcnt(8) lgkmcnt(0)
	v_mul_f64 v[155:156], v[6:7], v[145:146]
	v_mul_f64 v[145:146], v[8:9], v[145:146]
	v_fma_f64 v[153:154], v[4:5], v[38:39], v[153:154]
	v_fma_f64 v[159:160], v[2:3], v[38:39], -v[40:41]
	scratch_load_b128 v[38:41], off, off offset:480
	ds_load_b128 v[2:5], v1 offset:864
	v_add_f64 v[147:148], v[147:148], v[157:158]
	v_add_f64 v[149:150], v[149:150], v[151:152]
	v_fma_f64 v[155:156], v[8:9], v[143:144], v[155:156]
	v_fma_f64 v[157:158], v[6:7], v[143:144], -v[145:146]
	ds_load_b128 v[6:9], v1 offset:880
	scratch_load_b128 v[143:146], off, off offset:496
	s_waitcnt vmcnt(9) lgkmcnt(1)
	v_mul_f64 v[151:152], v[2:3], v[36:37]
	v_mul_f64 v[36:37], v[4:5], v[36:37]
	v_add_f64 v[147:148], v[147:148], v[159:160]
	v_add_f64 v[149:150], v[149:150], v[153:154]
	s_delay_alu instid0(VALU_DEP_4) | instskip(NEXT) | instid1(VALU_DEP_4)
	v_fma_f64 v[151:152], v[4:5], v[34:35], v[151:152]
	v_fma_f64 v[34:35], v[2:3], v[34:35], -v[36:37]
	ds_load_b128 v[2:5], v1 offset:896
	v_add_f64 v[36:37], v[147:148], v[157:158]
	v_add_f64 v[147:148], v[149:150], v[155:156]
	s_waitcnt vmcnt(7) lgkmcnt(0)
	v_mul_f64 v[149:150], v[2:3], v[12:13]
	v_mul_f64 v[12:13], v[4:5], v[12:13]
	s_delay_alu instid0(VALU_DEP_4) | instskip(NEXT) | instid1(VALU_DEP_4)
	v_add_f64 v[34:35], v[36:37], v[34:35]
	v_add_f64 v[36:37], v[147:148], v[151:152]
	s_delay_alu instid0(VALU_DEP_4) | instskip(NEXT) | instid1(VALU_DEP_4)
	v_fma_f64 v[147:148], v[4:5], v[10:11], v[149:150]
	v_fma_f64 v[149:150], v[2:3], v[10:11], -v[12:13]
	scratch_load_b128 v[10:13], off, off offset:176
	v_mul_f64 v[153:154], v[6:7], v[141:142]
	v_mul_f64 v[141:142], v[8:9], v[141:142]
	ds_load_b128 v[2:5], v1 offset:928
	v_fma_f64 v[153:154], v[8:9], v[139:140], v[153:154]
	v_fma_f64 v[139:140], v[6:7], v[139:140], -v[141:142]
	ds_load_b128 v[6:9], v1 offset:912
	s_waitcnt vmcnt(7) lgkmcnt(0)
	v_mul_f64 v[141:142], v[6:7], v[16:17]
	v_mul_f64 v[16:17], v[8:9], v[16:17]
	v_add_f64 v[36:37], v[36:37], v[153:154]
	v_add_f64 v[34:35], v[34:35], v[139:140]
	s_waitcnt vmcnt(6)
	v_mul_f64 v[139:140], v[2:3], v[20:21]
	v_mul_f64 v[20:21], v[4:5], v[20:21]
	v_fma_f64 v[141:142], v[8:9], v[14:15], v[141:142]
	v_fma_f64 v[14:15], v[6:7], v[14:15], -v[16:17]
	ds_load_b128 v[6:9], v1 offset:944
	v_add_f64 v[16:17], v[34:35], v[149:150]
	v_add_f64 v[34:35], v[36:37], v[147:148]
	v_fma_f64 v[139:140], v[4:5], v[18:19], v[139:140]
	v_fma_f64 v[18:19], v[2:3], v[18:19], -v[20:21]
	ds_load_b128 v[2:5], v1 offset:960
	s_waitcnt vmcnt(5) lgkmcnt(1)
	v_mul_f64 v[36:37], v[6:7], v[24:25]
	v_mul_f64 v[24:25], v[8:9], v[24:25]
	s_waitcnt vmcnt(4) lgkmcnt(0)
	v_mul_f64 v[20:21], v[2:3], v[28:29]
	v_mul_f64 v[28:29], v[4:5], v[28:29]
	v_add_f64 v[14:15], v[16:17], v[14:15]
	v_add_f64 v[16:17], v[34:35], v[141:142]
	v_fma_f64 v[34:35], v[8:9], v[22:23], v[36:37]
	v_fma_f64 v[22:23], v[6:7], v[22:23], -v[24:25]
	ds_load_b128 v[6:9], v1 offset:976
	v_fma_f64 v[20:21], v[4:5], v[26:27], v[20:21]
	v_fma_f64 v[26:27], v[2:3], v[26:27], -v[28:29]
	ds_load_b128 v[2:5], v1 offset:992
	s_waitcnt vmcnt(3) lgkmcnt(1)
	v_mul_f64 v[24:25], v[8:9], v[32:33]
	v_add_f64 v[14:15], v[14:15], v[18:19]
	v_add_f64 v[16:17], v[16:17], v[139:140]
	v_mul_f64 v[18:19], v[6:7], v[32:33]
	s_waitcnt vmcnt(2) lgkmcnt(0)
	v_mul_f64 v[28:29], v[4:5], v[40:41]
	v_fma_f64 v[24:25], v[6:7], v[30:31], -v[24:25]
	v_add_f64 v[14:15], v[14:15], v[22:23]
	v_add_f64 v[16:17], v[16:17], v[34:35]
	v_mul_f64 v[22:23], v[2:3], v[40:41]
	v_fma_f64 v[18:19], v[8:9], v[30:31], v[18:19]
	ds_load_b128 v[6:9], v1 offset:1008
	v_fma_f64 v[1:2], v[2:3], v[38:39], -v[28:29]
	v_add_f64 v[14:15], v[14:15], v[26:27]
	v_add_f64 v[16:17], v[16:17], v[20:21]
	s_waitcnt vmcnt(1) lgkmcnt(0)
	v_mul_f64 v[20:21], v[6:7], v[145:146]
	v_mul_f64 v[26:27], v[8:9], v[145:146]
	v_fma_f64 v[4:5], v[4:5], v[38:39], v[22:23]
	v_add_f64 v[14:15], v[14:15], v[24:25]
	v_add_f64 v[16:17], v[16:17], v[18:19]
	v_fma_f64 v[8:9], v[8:9], v[143:144], v[20:21]
	v_fma_f64 v[6:7], v[6:7], v[143:144], -v[26:27]
	s_delay_alu instid0(VALU_DEP_4) | instskip(NEXT) | instid1(VALU_DEP_4)
	v_add_f64 v[1:2], v[14:15], v[1:2]
	v_add_f64 v[3:4], v[16:17], v[4:5]
	s_delay_alu instid0(VALU_DEP_2) | instskip(NEXT) | instid1(VALU_DEP_2)
	v_add_f64 v[1:2], v[1:2], v[6:7]
	v_add_f64 v[3:4], v[3:4], v[8:9]
	s_waitcnt vmcnt(0)
	s_delay_alu instid0(VALU_DEP_2) | instskip(NEXT) | instid1(VALU_DEP_2)
	v_add_f64 v[1:2], v[10:11], -v[1:2]
	v_add_f64 v[3:4], v[12:13], -v[3:4]
	scratch_store_b128 off, v[1:4], off offset:176
	v_cmpx_lt_u32_e32 10, v106
	s_cbranch_execz .LBB95_185
; %bb.184:
	scratch_load_b128 v[1:4], v127, off
	v_mov_b32_e32 v5, 0
	s_delay_alu instid0(VALU_DEP_1)
	v_mov_b32_e32 v6, v5
	v_mov_b32_e32 v7, v5
	;; [unrolled: 1-line block ×3, first 2 shown]
	scratch_store_b128 off, v[5:8], off offset:160
	s_waitcnt vmcnt(0)
	ds_store_b128 v138, v[1:4]
.LBB95_185:
	s_or_b32 exec_lo, exec_lo, s2
	s_waitcnt lgkmcnt(0)
	s_waitcnt_vscnt null, 0x0
	s_barrier
	buffer_gl0_inv
	s_clause 0x7
	scratch_load_b128 v[2:5], off, off offset:176
	scratch_load_b128 v[6:9], off, off offset:192
	;; [unrolled: 1-line block ×8, first 2 shown]
	v_mov_b32_e32 v1, 0
	s_clause 0x1
	scratch_load_b128 v[38:41], off, off offset:304
	scratch_load_b128 v[143:146], off, off offset:320
	s_mov_b32 s2, exec_lo
	ds_load_b128 v[34:37], v1 offset:688
	ds_load_b128 v[139:142], v1 offset:704
	s_waitcnt vmcnt(9) lgkmcnt(1)
	v_mul_f64 v[147:148], v[36:37], v[4:5]
	v_mul_f64 v[4:5], v[34:35], v[4:5]
	s_waitcnt vmcnt(8) lgkmcnt(0)
	v_mul_f64 v[149:150], v[139:140], v[8:9]
	v_mul_f64 v[8:9], v[141:142], v[8:9]
	s_delay_alu instid0(VALU_DEP_4) | instskip(NEXT) | instid1(VALU_DEP_4)
	v_fma_f64 v[147:148], v[34:35], v[2:3], -v[147:148]
	v_fma_f64 v[151:152], v[36:37], v[2:3], v[4:5]
	ds_load_b128 v[2:5], v1 offset:720
	scratch_load_b128 v[34:37], off, off offset:336
	v_fma_f64 v[149:150], v[141:142], v[6:7], v[149:150]
	v_fma_f64 v[155:156], v[139:140], v[6:7], -v[8:9]
	scratch_load_b128 v[139:142], off, off offset:352
	ds_load_b128 v[6:9], v1 offset:736
	s_waitcnt vmcnt(9) lgkmcnt(1)
	v_mul_f64 v[153:154], v[2:3], v[12:13]
	v_mul_f64 v[12:13], v[4:5], v[12:13]
	s_waitcnt vmcnt(8) lgkmcnt(0)
	v_mul_f64 v[157:158], v[6:7], v[16:17]
	v_mul_f64 v[16:17], v[8:9], v[16:17]
	v_add_f64 v[147:148], v[147:148], 0
	v_add_f64 v[151:152], v[151:152], 0
	v_fma_f64 v[153:154], v[4:5], v[10:11], v[153:154]
	v_fma_f64 v[159:160], v[2:3], v[10:11], -v[12:13]
	ds_load_b128 v[2:5], v1 offset:752
	scratch_load_b128 v[10:13], off, off offset:368
	v_add_f64 v[147:148], v[147:148], v[155:156]
	v_add_f64 v[149:150], v[151:152], v[149:150]
	v_fma_f64 v[155:156], v[8:9], v[14:15], v[157:158]
	v_fma_f64 v[157:158], v[6:7], v[14:15], -v[16:17]
	scratch_load_b128 v[14:17], off, off offset:384
	ds_load_b128 v[6:9], v1 offset:768
	s_waitcnt vmcnt(9) lgkmcnt(1)
	v_mul_f64 v[151:152], v[2:3], v[20:21]
	v_mul_f64 v[20:21], v[4:5], v[20:21]
	v_add_f64 v[147:148], v[147:148], v[159:160]
	v_add_f64 v[149:150], v[149:150], v[153:154]
	s_waitcnt vmcnt(8) lgkmcnt(0)
	v_mul_f64 v[153:154], v[6:7], v[24:25]
	v_mul_f64 v[24:25], v[8:9], v[24:25]
	v_fma_f64 v[151:152], v[4:5], v[18:19], v[151:152]
	v_fma_f64 v[159:160], v[2:3], v[18:19], -v[20:21]
	ds_load_b128 v[2:5], v1 offset:784
	scratch_load_b128 v[18:21], off, off offset:400
	v_add_f64 v[147:148], v[147:148], v[157:158]
	v_add_f64 v[149:150], v[149:150], v[155:156]
	v_fma_f64 v[153:154], v[8:9], v[22:23], v[153:154]
	v_fma_f64 v[157:158], v[6:7], v[22:23], -v[24:25]
	ds_load_b128 v[6:9], v1 offset:800
	s_waitcnt vmcnt(8) lgkmcnt(1)
	v_mul_f64 v[155:156], v[2:3], v[28:29]
	v_mul_f64 v[28:29], v[4:5], v[28:29]
	scratch_load_b128 v[22:25], off, off offset:416
	v_add_f64 v[147:148], v[147:148], v[159:160]
	v_add_f64 v[149:150], v[149:150], v[151:152]
	s_waitcnt vmcnt(8) lgkmcnt(0)
	v_mul_f64 v[151:152], v[6:7], v[32:33]
	v_mul_f64 v[32:33], v[8:9], v[32:33]
	v_fma_f64 v[155:156], v[4:5], v[26:27], v[155:156]
	v_fma_f64 v[159:160], v[2:3], v[26:27], -v[28:29]
	scratch_load_b128 v[26:29], off, off offset:432
	ds_load_b128 v[2:5], v1 offset:816
	v_add_f64 v[147:148], v[147:148], v[157:158]
	v_add_f64 v[149:150], v[149:150], v[153:154]
	v_fma_f64 v[151:152], v[8:9], v[30:31], v[151:152]
	v_fma_f64 v[157:158], v[6:7], v[30:31], -v[32:33]
	ds_load_b128 v[6:9], v1 offset:832
	s_waitcnt vmcnt(8) lgkmcnt(1)
	v_mul_f64 v[153:154], v[2:3], v[40:41]
	v_mul_f64 v[40:41], v[4:5], v[40:41]
	scratch_load_b128 v[30:33], off, off offset:448
	v_add_f64 v[147:148], v[147:148], v[159:160]
	v_add_f64 v[149:150], v[149:150], v[155:156]
	s_waitcnt vmcnt(8) lgkmcnt(0)
	v_mul_f64 v[155:156], v[6:7], v[145:146]
	v_mul_f64 v[145:146], v[8:9], v[145:146]
	v_fma_f64 v[153:154], v[4:5], v[38:39], v[153:154]
	v_fma_f64 v[159:160], v[2:3], v[38:39], -v[40:41]
	scratch_load_b128 v[38:41], off, off offset:464
	ds_load_b128 v[2:5], v1 offset:848
	v_add_f64 v[147:148], v[147:148], v[157:158]
	v_add_f64 v[149:150], v[149:150], v[151:152]
	v_fma_f64 v[155:156], v[8:9], v[143:144], v[155:156]
	v_fma_f64 v[157:158], v[6:7], v[143:144], -v[145:146]
	ds_load_b128 v[6:9], v1 offset:864
	scratch_load_b128 v[143:146], off, off offset:480
	s_waitcnt vmcnt(9) lgkmcnt(1)
	v_mul_f64 v[151:152], v[2:3], v[36:37]
	v_mul_f64 v[36:37], v[4:5], v[36:37]
	v_add_f64 v[147:148], v[147:148], v[159:160]
	v_add_f64 v[149:150], v[149:150], v[153:154]
	s_waitcnt vmcnt(8) lgkmcnt(0)
	v_mul_f64 v[153:154], v[6:7], v[141:142]
	v_mul_f64 v[141:142], v[8:9], v[141:142]
	v_fma_f64 v[151:152], v[4:5], v[34:35], v[151:152]
	v_fma_f64 v[159:160], v[2:3], v[34:35], -v[36:37]
	scratch_load_b128 v[34:37], off, off offset:496
	ds_load_b128 v[2:5], v1 offset:880
	v_add_f64 v[147:148], v[147:148], v[157:158]
	v_add_f64 v[149:150], v[149:150], v[155:156]
	v_fma_f64 v[153:154], v[8:9], v[139:140], v[153:154]
	v_fma_f64 v[139:140], v[6:7], v[139:140], -v[141:142]
	ds_load_b128 v[6:9], v1 offset:896
	s_waitcnt vmcnt(8) lgkmcnt(1)
	v_mul_f64 v[155:156], v[2:3], v[12:13]
	v_mul_f64 v[12:13], v[4:5], v[12:13]
	v_add_f64 v[141:142], v[147:148], v[159:160]
	v_add_f64 v[147:148], v[149:150], v[151:152]
	s_waitcnt vmcnt(7) lgkmcnt(0)
	v_mul_f64 v[149:150], v[6:7], v[16:17]
	v_mul_f64 v[16:17], v[8:9], v[16:17]
	v_fma_f64 v[151:152], v[4:5], v[10:11], v[155:156]
	v_fma_f64 v[10:11], v[2:3], v[10:11], -v[12:13]
	ds_load_b128 v[2:5], v1 offset:912
	v_add_f64 v[12:13], v[141:142], v[139:140]
	v_add_f64 v[139:140], v[147:148], v[153:154]
	v_fma_f64 v[147:148], v[8:9], v[14:15], v[149:150]
	v_fma_f64 v[14:15], v[6:7], v[14:15], -v[16:17]
	ds_load_b128 v[6:9], v1 offset:928
	s_waitcnt vmcnt(5) lgkmcnt(0)
	v_mul_f64 v[149:150], v[6:7], v[24:25]
	v_mul_f64 v[24:25], v[8:9], v[24:25]
	v_add_f64 v[16:17], v[12:13], v[10:11]
	v_add_f64 v[139:140], v[139:140], v[151:152]
	scratch_load_b128 v[10:13], off, off offset:160
	v_mul_f64 v[141:142], v[2:3], v[20:21]
	v_mul_f64 v[20:21], v[4:5], v[20:21]
	v_add_f64 v[14:15], v[16:17], v[14:15]
	v_add_f64 v[16:17], v[139:140], v[147:148]
	v_fma_f64 v[139:140], v[8:9], v[22:23], v[149:150]
	v_fma_f64 v[141:142], v[4:5], v[18:19], v[141:142]
	v_fma_f64 v[18:19], v[2:3], v[18:19], -v[20:21]
	ds_load_b128 v[2:5], v1 offset:944
	v_fma_f64 v[22:23], v[6:7], v[22:23], -v[24:25]
	ds_load_b128 v[6:9], v1 offset:960
	s_waitcnt vmcnt(5) lgkmcnt(1)
	v_mul_f64 v[20:21], v[2:3], v[28:29]
	v_mul_f64 v[28:29], v[4:5], v[28:29]
	s_waitcnt vmcnt(4) lgkmcnt(0)
	v_mul_f64 v[24:25], v[8:9], v[32:33]
	v_add_f64 v[16:17], v[16:17], v[141:142]
	v_add_f64 v[14:15], v[14:15], v[18:19]
	v_mul_f64 v[18:19], v[6:7], v[32:33]
	v_fma_f64 v[20:21], v[4:5], v[26:27], v[20:21]
	v_fma_f64 v[26:27], v[2:3], v[26:27], -v[28:29]
	ds_load_b128 v[2:5], v1 offset:976
	v_fma_f64 v[24:25], v[6:7], v[30:31], -v[24:25]
	v_add_f64 v[16:17], v[16:17], v[139:140]
	v_add_f64 v[14:15], v[14:15], v[22:23]
	v_fma_f64 v[18:19], v[8:9], v[30:31], v[18:19]
	ds_load_b128 v[6:9], v1 offset:992
	s_waitcnt vmcnt(3) lgkmcnt(1)
	v_mul_f64 v[22:23], v[2:3], v[40:41]
	v_mul_f64 v[28:29], v[4:5], v[40:41]
	v_add_f64 v[16:17], v[16:17], v[20:21]
	v_add_f64 v[14:15], v[14:15], v[26:27]
	s_waitcnt vmcnt(2) lgkmcnt(0)
	v_mul_f64 v[20:21], v[6:7], v[145:146]
	v_mul_f64 v[26:27], v[8:9], v[145:146]
	v_fma_f64 v[22:23], v[4:5], v[38:39], v[22:23]
	v_fma_f64 v[28:29], v[2:3], v[38:39], -v[28:29]
	ds_load_b128 v[2:5], v1 offset:1008
	v_add_f64 v[16:17], v[16:17], v[18:19]
	v_add_f64 v[14:15], v[14:15], v[24:25]
	s_waitcnt vmcnt(1) lgkmcnt(0)
	v_mul_f64 v[18:19], v[2:3], v[36:37]
	v_mul_f64 v[24:25], v[4:5], v[36:37]
	v_fma_f64 v[8:9], v[8:9], v[143:144], v[20:21]
	v_fma_f64 v[6:7], v[6:7], v[143:144], -v[26:27]
	v_add_f64 v[16:17], v[16:17], v[22:23]
	v_add_f64 v[14:15], v[14:15], v[28:29]
	v_fma_f64 v[4:5], v[4:5], v[34:35], v[18:19]
	v_fma_f64 v[2:3], v[2:3], v[34:35], -v[24:25]
	s_delay_alu instid0(VALU_DEP_4) | instskip(NEXT) | instid1(VALU_DEP_4)
	v_add_f64 v[8:9], v[16:17], v[8:9]
	v_add_f64 v[6:7], v[14:15], v[6:7]
	s_delay_alu instid0(VALU_DEP_2) | instskip(NEXT) | instid1(VALU_DEP_2)
	v_add_f64 v[4:5], v[8:9], v[4:5]
	v_add_f64 v[2:3], v[6:7], v[2:3]
	s_waitcnt vmcnt(0)
	s_delay_alu instid0(VALU_DEP_2) | instskip(NEXT) | instid1(VALU_DEP_2)
	v_add_f64 v[4:5], v[12:13], -v[4:5]
	v_add_f64 v[2:3], v[10:11], -v[2:3]
	scratch_store_b128 off, v[2:5], off offset:160
	v_cmpx_lt_u32_e32 9, v106
	s_cbranch_execz .LBB95_187
; %bb.186:
	scratch_load_b128 v[5:8], v129, off
	v_mov_b32_e32 v2, v1
	v_mov_b32_e32 v3, v1
	;; [unrolled: 1-line block ×3, first 2 shown]
	scratch_store_b128 off, v[1:4], off offset:144
	s_waitcnt vmcnt(0)
	ds_store_b128 v138, v[5:8]
.LBB95_187:
	s_or_b32 exec_lo, exec_lo, s2
	s_waitcnt lgkmcnt(0)
	s_waitcnt_vscnt null, 0x0
	s_barrier
	buffer_gl0_inv
	s_clause 0x7
	scratch_load_b128 v[2:5], off, off offset:160
	scratch_load_b128 v[6:9], off, off offset:176
	;; [unrolled: 1-line block ×8, first 2 shown]
	ds_load_b128 v[34:37], v1 offset:672
	ds_load_b128 v[139:142], v1 offset:688
	s_clause 0x1
	scratch_load_b128 v[38:41], off, off offset:288
	scratch_load_b128 v[143:146], off, off offset:304
	s_mov_b32 s2, exec_lo
	s_waitcnt vmcnt(9) lgkmcnt(1)
	v_mul_f64 v[147:148], v[36:37], v[4:5]
	v_mul_f64 v[4:5], v[34:35], v[4:5]
	s_waitcnt vmcnt(8) lgkmcnt(0)
	v_mul_f64 v[149:150], v[139:140], v[8:9]
	v_mul_f64 v[8:9], v[141:142], v[8:9]
	s_delay_alu instid0(VALU_DEP_4) | instskip(NEXT) | instid1(VALU_DEP_4)
	v_fma_f64 v[147:148], v[34:35], v[2:3], -v[147:148]
	v_fma_f64 v[151:152], v[36:37], v[2:3], v[4:5]
	ds_load_b128 v[2:5], v1 offset:704
	scratch_load_b128 v[34:37], off, off offset:320
	v_fma_f64 v[149:150], v[141:142], v[6:7], v[149:150]
	v_fma_f64 v[155:156], v[139:140], v[6:7], -v[8:9]
	scratch_load_b128 v[139:142], off, off offset:336
	ds_load_b128 v[6:9], v1 offset:720
	s_waitcnt vmcnt(9) lgkmcnt(1)
	v_mul_f64 v[153:154], v[2:3], v[12:13]
	v_mul_f64 v[12:13], v[4:5], v[12:13]
	s_waitcnt vmcnt(8) lgkmcnt(0)
	v_mul_f64 v[157:158], v[6:7], v[16:17]
	v_mul_f64 v[16:17], v[8:9], v[16:17]
	v_add_f64 v[147:148], v[147:148], 0
	v_add_f64 v[151:152], v[151:152], 0
	v_fma_f64 v[153:154], v[4:5], v[10:11], v[153:154]
	v_fma_f64 v[159:160], v[2:3], v[10:11], -v[12:13]
	ds_load_b128 v[2:5], v1 offset:736
	scratch_load_b128 v[10:13], off, off offset:352
	v_add_f64 v[147:148], v[147:148], v[155:156]
	v_add_f64 v[149:150], v[151:152], v[149:150]
	v_fma_f64 v[155:156], v[8:9], v[14:15], v[157:158]
	v_fma_f64 v[157:158], v[6:7], v[14:15], -v[16:17]
	scratch_load_b128 v[14:17], off, off offset:368
	ds_load_b128 v[6:9], v1 offset:752
	s_waitcnt vmcnt(9) lgkmcnt(1)
	v_mul_f64 v[151:152], v[2:3], v[20:21]
	v_mul_f64 v[20:21], v[4:5], v[20:21]
	v_add_f64 v[147:148], v[147:148], v[159:160]
	v_add_f64 v[149:150], v[149:150], v[153:154]
	s_waitcnt vmcnt(8) lgkmcnt(0)
	v_mul_f64 v[153:154], v[6:7], v[24:25]
	v_mul_f64 v[24:25], v[8:9], v[24:25]
	v_fma_f64 v[151:152], v[4:5], v[18:19], v[151:152]
	v_fma_f64 v[159:160], v[2:3], v[18:19], -v[20:21]
	ds_load_b128 v[2:5], v1 offset:768
	scratch_load_b128 v[18:21], off, off offset:384
	v_add_f64 v[147:148], v[147:148], v[157:158]
	v_add_f64 v[149:150], v[149:150], v[155:156]
	v_fma_f64 v[153:154], v[8:9], v[22:23], v[153:154]
	v_fma_f64 v[157:158], v[6:7], v[22:23], -v[24:25]
	ds_load_b128 v[6:9], v1 offset:784
	s_waitcnt vmcnt(8) lgkmcnt(1)
	v_mul_f64 v[155:156], v[2:3], v[28:29]
	v_mul_f64 v[28:29], v[4:5], v[28:29]
	scratch_load_b128 v[22:25], off, off offset:400
	v_add_f64 v[147:148], v[147:148], v[159:160]
	v_add_f64 v[149:150], v[149:150], v[151:152]
	s_waitcnt vmcnt(8) lgkmcnt(0)
	v_mul_f64 v[151:152], v[6:7], v[32:33]
	v_mul_f64 v[32:33], v[8:9], v[32:33]
	v_fma_f64 v[155:156], v[4:5], v[26:27], v[155:156]
	v_fma_f64 v[159:160], v[2:3], v[26:27], -v[28:29]
	ds_load_b128 v[2:5], v1 offset:800
	scratch_load_b128 v[26:29], off, off offset:416
	v_add_f64 v[147:148], v[147:148], v[157:158]
	v_add_f64 v[149:150], v[149:150], v[153:154]
	v_fma_f64 v[151:152], v[8:9], v[30:31], v[151:152]
	v_fma_f64 v[157:158], v[6:7], v[30:31], -v[32:33]
	ds_load_b128 v[6:9], v1 offset:816
	s_waitcnt vmcnt(8) lgkmcnt(1)
	v_mul_f64 v[153:154], v[2:3], v[40:41]
	v_mul_f64 v[40:41], v[4:5], v[40:41]
	scratch_load_b128 v[30:33], off, off offset:432
	v_add_f64 v[147:148], v[147:148], v[159:160]
	v_add_f64 v[149:150], v[149:150], v[155:156]
	s_waitcnt vmcnt(8) lgkmcnt(0)
	v_mul_f64 v[155:156], v[6:7], v[145:146]
	v_mul_f64 v[145:146], v[8:9], v[145:146]
	v_fma_f64 v[153:154], v[4:5], v[38:39], v[153:154]
	v_fma_f64 v[159:160], v[2:3], v[38:39], -v[40:41]
	scratch_load_b128 v[38:41], off, off offset:448
	ds_load_b128 v[2:5], v1 offset:832
	v_add_f64 v[147:148], v[147:148], v[157:158]
	v_add_f64 v[149:150], v[149:150], v[151:152]
	v_fma_f64 v[155:156], v[8:9], v[143:144], v[155:156]
	v_fma_f64 v[157:158], v[6:7], v[143:144], -v[145:146]
	ds_load_b128 v[6:9], v1 offset:848
	scratch_load_b128 v[143:146], off, off offset:464
	s_waitcnt vmcnt(9) lgkmcnt(1)
	v_mul_f64 v[151:152], v[2:3], v[36:37]
	v_mul_f64 v[36:37], v[4:5], v[36:37]
	v_add_f64 v[147:148], v[147:148], v[159:160]
	v_add_f64 v[149:150], v[149:150], v[153:154]
	s_waitcnt vmcnt(8) lgkmcnt(0)
	v_mul_f64 v[153:154], v[6:7], v[141:142]
	v_mul_f64 v[141:142], v[8:9], v[141:142]
	v_fma_f64 v[151:152], v[4:5], v[34:35], v[151:152]
	v_fma_f64 v[159:160], v[2:3], v[34:35], -v[36:37]
	scratch_load_b128 v[34:37], off, off offset:480
	ds_load_b128 v[2:5], v1 offset:864
	v_add_f64 v[147:148], v[147:148], v[157:158]
	v_add_f64 v[149:150], v[149:150], v[155:156]
	v_fma_f64 v[153:154], v[8:9], v[139:140], v[153:154]
	v_fma_f64 v[157:158], v[6:7], v[139:140], -v[141:142]
	ds_load_b128 v[6:9], v1 offset:880
	s_waitcnt vmcnt(8) lgkmcnt(1)
	v_mul_f64 v[155:156], v[2:3], v[12:13]
	v_mul_f64 v[12:13], v[4:5], v[12:13]
	scratch_load_b128 v[139:142], off, off offset:496
	v_add_f64 v[147:148], v[147:148], v[159:160]
	v_add_f64 v[149:150], v[149:150], v[151:152]
	s_waitcnt vmcnt(8) lgkmcnt(0)
	v_mul_f64 v[151:152], v[6:7], v[16:17]
	v_mul_f64 v[16:17], v[8:9], v[16:17]
	v_fma_f64 v[155:156], v[4:5], v[10:11], v[155:156]
	v_fma_f64 v[10:11], v[2:3], v[10:11], -v[12:13]
	ds_load_b128 v[2:5], v1 offset:896
	v_add_f64 v[12:13], v[147:148], v[157:158]
	v_add_f64 v[147:148], v[149:150], v[153:154]
	v_fma_f64 v[151:152], v[8:9], v[14:15], v[151:152]
	v_fma_f64 v[14:15], v[6:7], v[14:15], -v[16:17]
	ds_load_b128 v[6:9], v1 offset:912
	s_waitcnt vmcnt(7) lgkmcnt(1)
	v_mul_f64 v[149:150], v[2:3], v[20:21]
	v_mul_f64 v[20:21], v[4:5], v[20:21]
	v_add_f64 v[10:11], v[12:13], v[10:11]
	v_add_f64 v[12:13], v[147:148], v[155:156]
	s_delay_alu instid0(VALU_DEP_4) | instskip(NEXT) | instid1(VALU_DEP_4)
	v_fma_f64 v[147:148], v[4:5], v[18:19], v[149:150]
	v_fma_f64 v[18:19], v[2:3], v[18:19], -v[20:21]
	ds_load_b128 v[2:5], v1 offset:928
	v_add_f64 v[14:15], v[10:11], v[14:15]
	v_add_f64 v[20:21], v[12:13], v[151:152]
	scratch_load_b128 v[10:13], off, off offset:144
	s_waitcnt vmcnt(7) lgkmcnt(1)
	v_mul_f64 v[16:17], v[6:7], v[24:25]
	v_mul_f64 v[24:25], v[8:9], v[24:25]
	v_add_f64 v[14:15], v[14:15], v[18:19]
	v_add_f64 v[18:19], v[20:21], v[147:148]
	s_delay_alu instid0(VALU_DEP_4) | instskip(NEXT) | instid1(VALU_DEP_4)
	v_fma_f64 v[16:17], v[8:9], v[22:23], v[16:17]
	v_fma_f64 v[22:23], v[6:7], v[22:23], -v[24:25]
	ds_load_b128 v[6:9], v1 offset:944
	s_waitcnt vmcnt(6) lgkmcnt(1)
	v_mul_f64 v[149:150], v[2:3], v[28:29]
	v_mul_f64 v[28:29], v[4:5], v[28:29]
	s_waitcnt vmcnt(5) lgkmcnt(0)
	v_mul_f64 v[20:21], v[6:7], v[32:33]
	v_mul_f64 v[24:25], v[8:9], v[32:33]
	v_add_f64 v[16:17], v[18:19], v[16:17]
	v_add_f64 v[14:15], v[14:15], v[22:23]
	v_fma_f64 v[32:33], v[4:5], v[26:27], v[149:150]
	v_fma_f64 v[26:27], v[2:3], v[26:27], -v[28:29]
	ds_load_b128 v[2:5], v1 offset:960
	v_fma_f64 v[20:21], v[8:9], v[30:31], v[20:21]
	v_fma_f64 v[24:25], v[6:7], v[30:31], -v[24:25]
	ds_load_b128 v[6:9], v1 offset:976
	s_waitcnt vmcnt(4) lgkmcnt(1)
	v_mul_f64 v[18:19], v[2:3], v[40:41]
	v_mul_f64 v[22:23], v[4:5], v[40:41]
	v_add_f64 v[16:17], v[16:17], v[32:33]
	v_add_f64 v[14:15], v[14:15], v[26:27]
	s_waitcnt vmcnt(3) lgkmcnt(0)
	v_mul_f64 v[26:27], v[6:7], v[145:146]
	v_mul_f64 v[28:29], v[8:9], v[145:146]
	v_fma_f64 v[18:19], v[4:5], v[38:39], v[18:19]
	v_fma_f64 v[22:23], v[2:3], v[38:39], -v[22:23]
	ds_load_b128 v[2:5], v1 offset:992
	v_add_f64 v[16:17], v[16:17], v[20:21]
	v_add_f64 v[14:15], v[14:15], v[24:25]
	v_fma_f64 v[26:27], v[8:9], v[143:144], v[26:27]
	v_fma_f64 v[28:29], v[6:7], v[143:144], -v[28:29]
	ds_load_b128 v[6:9], v1 offset:1008
	s_waitcnt vmcnt(2) lgkmcnt(1)
	v_mul_f64 v[20:21], v[2:3], v[36:37]
	v_mul_f64 v[24:25], v[4:5], v[36:37]
	v_add_f64 v[16:17], v[16:17], v[18:19]
	v_add_f64 v[14:15], v[14:15], v[22:23]
	s_waitcnt vmcnt(1) lgkmcnt(0)
	v_mul_f64 v[18:19], v[6:7], v[141:142]
	v_mul_f64 v[22:23], v[8:9], v[141:142]
	v_fma_f64 v[4:5], v[4:5], v[34:35], v[20:21]
	v_fma_f64 v[1:2], v[2:3], v[34:35], -v[24:25]
	v_add_f64 v[16:17], v[16:17], v[26:27]
	v_add_f64 v[14:15], v[14:15], v[28:29]
	v_fma_f64 v[8:9], v[8:9], v[139:140], v[18:19]
	v_fma_f64 v[6:7], v[6:7], v[139:140], -v[22:23]
	s_delay_alu instid0(VALU_DEP_4) | instskip(NEXT) | instid1(VALU_DEP_4)
	v_add_f64 v[3:4], v[16:17], v[4:5]
	v_add_f64 v[1:2], v[14:15], v[1:2]
	s_delay_alu instid0(VALU_DEP_2) | instskip(NEXT) | instid1(VALU_DEP_2)
	v_add_f64 v[3:4], v[3:4], v[8:9]
	v_add_f64 v[1:2], v[1:2], v[6:7]
	s_waitcnt vmcnt(0)
	s_delay_alu instid0(VALU_DEP_2) | instskip(NEXT) | instid1(VALU_DEP_2)
	v_add_f64 v[3:4], v[12:13], -v[3:4]
	v_add_f64 v[1:2], v[10:11], -v[1:2]
	scratch_store_b128 off, v[1:4], off offset:144
	v_cmpx_lt_u32_e32 8, v106
	s_cbranch_execz .LBB95_189
; %bb.188:
	scratch_load_b128 v[1:4], v130, off
	v_mov_b32_e32 v5, 0
	s_delay_alu instid0(VALU_DEP_1)
	v_mov_b32_e32 v6, v5
	v_mov_b32_e32 v7, v5
	v_mov_b32_e32 v8, v5
	scratch_store_b128 off, v[5:8], off offset:128
	s_waitcnt vmcnt(0)
	ds_store_b128 v138, v[1:4]
.LBB95_189:
	s_or_b32 exec_lo, exec_lo, s2
	s_waitcnt lgkmcnt(0)
	s_waitcnt_vscnt null, 0x0
	s_barrier
	buffer_gl0_inv
	s_clause 0x7
	scratch_load_b128 v[2:5], off, off offset:144
	scratch_load_b128 v[6:9], off, off offset:160
	;; [unrolled: 1-line block ×8, first 2 shown]
	v_mov_b32_e32 v1, 0
	s_clause 0x1
	scratch_load_b128 v[38:41], off, off offset:272
	scratch_load_b128 v[143:146], off, off offset:288
	s_mov_b32 s2, exec_lo
	ds_load_b128 v[34:37], v1 offset:656
	ds_load_b128 v[139:142], v1 offset:672
	s_waitcnt vmcnt(9) lgkmcnt(1)
	v_mul_f64 v[147:148], v[36:37], v[4:5]
	v_mul_f64 v[4:5], v[34:35], v[4:5]
	s_waitcnt vmcnt(8) lgkmcnt(0)
	v_mul_f64 v[149:150], v[139:140], v[8:9]
	v_mul_f64 v[8:9], v[141:142], v[8:9]
	s_delay_alu instid0(VALU_DEP_4) | instskip(NEXT) | instid1(VALU_DEP_4)
	v_fma_f64 v[147:148], v[34:35], v[2:3], -v[147:148]
	v_fma_f64 v[151:152], v[36:37], v[2:3], v[4:5]
	ds_load_b128 v[2:5], v1 offset:688
	scratch_load_b128 v[34:37], off, off offset:304
	v_fma_f64 v[149:150], v[141:142], v[6:7], v[149:150]
	v_fma_f64 v[155:156], v[139:140], v[6:7], -v[8:9]
	scratch_load_b128 v[139:142], off, off offset:320
	ds_load_b128 v[6:9], v1 offset:704
	s_waitcnt vmcnt(9) lgkmcnt(1)
	v_mul_f64 v[153:154], v[2:3], v[12:13]
	v_mul_f64 v[12:13], v[4:5], v[12:13]
	s_waitcnt vmcnt(8) lgkmcnt(0)
	v_mul_f64 v[157:158], v[6:7], v[16:17]
	v_mul_f64 v[16:17], v[8:9], v[16:17]
	v_add_f64 v[147:148], v[147:148], 0
	v_add_f64 v[151:152], v[151:152], 0
	v_fma_f64 v[153:154], v[4:5], v[10:11], v[153:154]
	v_fma_f64 v[159:160], v[2:3], v[10:11], -v[12:13]
	ds_load_b128 v[2:5], v1 offset:720
	scratch_load_b128 v[10:13], off, off offset:336
	v_add_f64 v[147:148], v[147:148], v[155:156]
	v_add_f64 v[149:150], v[151:152], v[149:150]
	v_fma_f64 v[155:156], v[8:9], v[14:15], v[157:158]
	v_fma_f64 v[157:158], v[6:7], v[14:15], -v[16:17]
	scratch_load_b128 v[14:17], off, off offset:352
	ds_load_b128 v[6:9], v1 offset:736
	s_waitcnt vmcnt(9) lgkmcnt(1)
	v_mul_f64 v[151:152], v[2:3], v[20:21]
	v_mul_f64 v[20:21], v[4:5], v[20:21]
	v_add_f64 v[147:148], v[147:148], v[159:160]
	v_add_f64 v[149:150], v[149:150], v[153:154]
	s_waitcnt vmcnt(8) lgkmcnt(0)
	v_mul_f64 v[153:154], v[6:7], v[24:25]
	v_mul_f64 v[24:25], v[8:9], v[24:25]
	v_fma_f64 v[151:152], v[4:5], v[18:19], v[151:152]
	v_fma_f64 v[159:160], v[2:3], v[18:19], -v[20:21]
	ds_load_b128 v[2:5], v1 offset:752
	scratch_load_b128 v[18:21], off, off offset:368
	v_add_f64 v[147:148], v[147:148], v[157:158]
	v_add_f64 v[149:150], v[149:150], v[155:156]
	v_fma_f64 v[153:154], v[8:9], v[22:23], v[153:154]
	v_fma_f64 v[157:158], v[6:7], v[22:23], -v[24:25]
	scratch_load_b128 v[22:25], off, off offset:384
	ds_load_b128 v[6:9], v1 offset:768
	s_waitcnt vmcnt(9) lgkmcnt(1)
	v_mul_f64 v[155:156], v[2:3], v[28:29]
	v_mul_f64 v[28:29], v[4:5], v[28:29]
	v_add_f64 v[147:148], v[147:148], v[159:160]
	v_add_f64 v[149:150], v[149:150], v[151:152]
	s_waitcnt vmcnt(8) lgkmcnt(0)
	v_mul_f64 v[151:152], v[6:7], v[32:33]
	v_mul_f64 v[32:33], v[8:9], v[32:33]
	v_fma_f64 v[155:156], v[4:5], v[26:27], v[155:156]
	v_fma_f64 v[159:160], v[2:3], v[26:27], -v[28:29]
	ds_load_b128 v[2:5], v1 offset:784
	scratch_load_b128 v[26:29], off, off offset:400
	v_add_f64 v[147:148], v[147:148], v[157:158]
	v_add_f64 v[149:150], v[149:150], v[153:154]
	v_fma_f64 v[151:152], v[8:9], v[30:31], v[151:152]
	v_fma_f64 v[157:158], v[6:7], v[30:31], -v[32:33]
	ds_load_b128 v[6:9], v1 offset:800
	s_waitcnt vmcnt(8) lgkmcnt(1)
	v_mul_f64 v[153:154], v[2:3], v[40:41]
	v_mul_f64 v[40:41], v[4:5], v[40:41]
	scratch_load_b128 v[30:33], off, off offset:416
	v_add_f64 v[147:148], v[147:148], v[159:160]
	v_add_f64 v[149:150], v[149:150], v[155:156]
	s_waitcnt vmcnt(8) lgkmcnt(0)
	v_mul_f64 v[155:156], v[6:7], v[145:146]
	v_mul_f64 v[145:146], v[8:9], v[145:146]
	v_fma_f64 v[153:154], v[4:5], v[38:39], v[153:154]
	v_fma_f64 v[159:160], v[2:3], v[38:39], -v[40:41]
	scratch_load_b128 v[38:41], off, off offset:432
	ds_load_b128 v[2:5], v1 offset:816
	v_add_f64 v[147:148], v[147:148], v[157:158]
	v_add_f64 v[149:150], v[149:150], v[151:152]
	v_fma_f64 v[155:156], v[8:9], v[143:144], v[155:156]
	v_fma_f64 v[157:158], v[6:7], v[143:144], -v[145:146]
	ds_load_b128 v[6:9], v1 offset:832
	scratch_load_b128 v[143:146], off, off offset:448
	s_waitcnt vmcnt(9) lgkmcnt(1)
	v_mul_f64 v[151:152], v[2:3], v[36:37]
	v_mul_f64 v[36:37], v[4:5], v[36:37]
	v_add_f64 v[147:148], v[147:148], v[159:160]
	v_add_f64 v[149:150], v[149:150], v[153:154]
	s_waitcnt vmcnt(8) lgkmcnt(0)
	v_mul_f64 v[153:154], v[6:7], v[141:142]
	v_mul_f64 v[141:142], v[8:9], v[141:142]
	v_fma_f64 v[151:152], v[4:5], v[34:35], v[151:152]
	v_fma_f64 v[159:160], v[2:3], v[34:35], -v[36:37]
	scratch_load_b128 v[34:37], off, off offset:464
	ds_load_b128 v[2:5], v1 offset:848
	v_add_f64 v[147:148], v[147:148], v[157:158]
	v_add_f64 v[149:150], v[149:150], v[155:156]
	v_fma_f64 v[153:154], v[8:9], v[139:140], v[153:154]
	v_fma_f64 v[157:158], v[6:7], v[139:140], -v[141:142]
	ds_load_b128 v[6:9], v1 offset:864
	s_waitcnt vmcnt(8) lgkmcnt(1)
	v_mul_f64 v[155:156], v[2:3], v[12:13]
	v_mul_f64 v[12:13], v[4:5], v[12:13]
	scratch_load_b128 v[139:142], off, off offset:480
	v_add_f64 v[147:148], v[147:148], v[159:160]
	v_add_f64 v[149:150], v[149:150], v[151:152]
	s_waitcnt vmcnt(8) lgkmcnt(0)
	v_mul_f64 v[151:152], v[6:7], v[16:17]
	v_mul_f64 v[16:17], v[8:9], v[16:17]
	v_fma_f64 v[155:156], v[4:5], v[10:11], v[155:156]
	v_fma_f64 v[159:160], v[2:3], v[10:11], -v[12:13]
	scratch_load_b128 v[10:13], off, off offset:496
	ds_load_b128 v[2:5], v1 offset:880
	v_add_f64 v[147:148], v[147:148], v[157:158]
	v_add_f64 v[149:150], v[149:150], v[153:154]
	v_fma_f64 v[151:152], v[8:9], v[14:15], v[151:152]
	v_fma_f64 v[14:15], v[6:7], v[14:15], -v[16:17]
	ds_load_b128 v[6:9], v1 offset:896
	s_waitcnt vmcnt(8) lgkmcnt(1)
	v_mul_f64 v[153:154], v[2:3], v[20:21]
	v_mul_f64 v[20:21], v[4:5], v[20:21]
	v_add_f64 v[16:17], v[147:148], v[159:160]
	v_add_f64 v[147:148], v[149:150], v[155:156]
	s_waitcnt vmcnt(7) lgkmcnt(0)
	v_mul_f64 v[149:150], v[6:7], v[24:25]
	v_mul_f64 v[24:25], v[8:9], v[24:25]
	v_fma_f64 v[153:154], v[4:5], v[18:19], v[153:154]
	v_fma_f64 v[18:19], v[2:3], v[18:19], -v[20:21]
	ds_load_b128 v[2:5], v1 offset:912
	v_add_f64 v[14:15], v[16:17], v[14:15]
	v_add_f64 v[16:17], v[147:148], v[151:152]
	v_fma_f64 v[147:148], v[8:9], v[22:23], v[149:150]
	v_fma_f64 v[22:23], v[6:7], v[22:23], -v[24:25]
	ds_load_b128 v[6:9], v1 offset:928
	s_waitcnt vmcnt(5) lgkmcnt(0)
	v_mul_f64 v[149:150], v[6:7], v[32:33]
	v_mul_f64 v[32:33], v[8:9], v[32:33]
	v_add_f64 v[18:19], v[14:15], v[18:19]
	v_add_f64 v[24:25], v[16:17], v[153:154]
	scratch_load_b128 v[14:17], off, off offset:128
	v_mul_f64 v[20:21], v[2:3], v[28:29]
	v_mul_f64 v[28:29], v[4:5], v[28:29]
	v_add_f64 v[18:19], v[18:19], v[22:23]
	v_add_f64 v[22:23], v[24:25], v[147:148]
	s_delay_alu instid0(VALU_DEP_4) | instskip(NEXT) | instid1(VALU_DEP_4)
	v_fma_f64 v[20:21], v[4:5], v[26:27], v[20:21]
	v_fma_f64 v[26:27], v[2:3], v[26:27], -v[28:29]
	ds_load_b128 v[2:5], v1 offset:944
	s_waitcnt vmcnt(5) lgkmcnt(0)
	v_mul_f64 v[24:25], v[2:3], v[40:41]
	v_mul_f64 v[28:29], v[4:5], v[40:41]
	v_fma_f64 v[40:41], v[8:9], v[30:31], v[149:150]
	v_fma_f64 v[30:31], v[6:7], v[30:31], -v[32:33]
	ds_load_b128 v[6:9], v1 offset:960
	v_add_f64 v[20:21], v[22:23], v[20:21]
	v_add_f64 v[18:19], v[18:19], v[26:27]
	v_fma_f64 v[24:25], v[4:5], v[38:39], v[24:25]
	v_fma_f64 v[28:29], v[2:3], v[38:39], -v[28:29]
	ds_load_b128 v[2:5], v1 offset:976
	s_waitcnt vmcnt(4) lgkmcnt(1)
	v_mul_f64 v[22:23], v[6:7], v[145:146]
	v_mul_f64 v[26:27], v[8:9], v[145:146]
	v_add_f64 v[20:21], v[20:21], v[40:41]
	v_add_f64 v[18:19], v[18:19], v[30:31]
	s_waitcnt vmcnt(3) lgkmcnt(0)
	v_mul_f64 v[30:31], v[2:3], v[36:37]
	v_mul_f64 v[32:33], v[4:5], v[36:37]
	v_fma_f64 v[22:23], v[8:9], v[143:144], v[22:23]
	v_fma_f64 v[26:27], v[6:7], v[143:144], -v[26:27]
	ds_load_b128 v[6:9], v1 offset:992
	v_add_f64 v[20:21], v[20:21], v[24:25]
	v_add_f64 v[18:19], v[18:19], v[28:29]
	v_fma_f64 v[30:31], v[4:5], v[34:35], v[30:31]
	v_fma_f64 v[32:33], v[2:3], v[34:35], -v[32:33]
	ds_load_b128 v[2:5], v1 offset:1008
	s_waitcnt vmcnt(2) lgkmcnt(1)
	v_mul_f64 v[24:25], v[6:7], v[141:142]
	v_mul_f64 v[28:29], v[8:9], v[141:142]
	v_add_f64 v[20:21], v[20:21], v[22:23]
	v_add_f64 v[18:19], v[18:19], v[26:27]
	s_waitcnt vmcnt(1) lgkmcnt(0)
	v_mul_f64 v[22:23], v[2:3], v[12:13]
	v_mul_f64 v[12:13], v[4:5], v[12:13]
	v_fma_f64 v[8:9], v[8:9], v[139:140], v[24:25]
	v_fma_f64 v[6:7], v[6:7], v[139:140], -v[28:29]
	v_add_f64 v[20:21], v[20:21], v[30:31]
	v_add_f64 v[18:19], v[18:19], v[32:33]
	v_fma_f64 v[4:5], v[4:5], v[10:11], v[22:23]
	v_fma_f64 v[2:3], v[2:3], v[10:11], -v[12:13]
	s_delay_alu instid0(VALU_DEP_4) | instskip(NEXT) | instid1(VALU_DEP_4)
	v_add_f64 v[8:9], v[20:21], v[8:9]
	v_add_f64 v[6:7], v[18:19], v[6:7]
	s_delay_alu instid0(VALU_DEP_2) | instskip(NEXT) | instid1(VALU_DEP_2)
	v_add_f64 v[4:5], v[8:9], v[4:5]
	v_add_f64 v[2:3], v[6:7], v[2:3]
	s_waitcnt vmcnt(0)
	s_delay_alu instid0(VALU_DEP_2) | instskip(NEXT) | instid1(VALU_DEP_2)
	v_add_f64 v[4:5], v[16:17], -v[4:5]
	v_add_f64 v[2:3], v[14:15], -v[2:3]
	scratch_store_b128 off, v[2:5], off offset:128
	v_cmpx_lt_u32_e32 7, v106
	s_cbranch_execz .LBB95_191
; %bb.190:
	scratch_load_b128 v[5:8], v132, off
	v_mov_b32_e32 v2, v1
	v_mov_b32_e32 v3, v1
	;; [unrolled: 1-line block ×3, first 2 shown]
	scratch_store_b128 off, v[1:4], off offset:112
	s_waitcnt vmcnt(0)
	ds_store_b128 v138, v[5:8]
.LBB95_191:
	s_or_b32 exec_lo, exec_lo, s2
	s_waitcnt lgkmcnt(0)
	s_waitcnt_vscnt null, 0x0
	s_barrier
	buffer_gl0_inv
	s_clause 0x7
	scratch_load_b128 v[2:5], off, off offset:128
	scratch_load_b128 v[6:9], off, off offset:144
	;; [unrolled: 1-line block ×8, first 2 shown]
	ds_load_b128 v[34:37], v1 offset:640
	ds_load_b128 v[139:142], v1 offset:656
	s_clause 0x1
	scratch_load_b128 v[38:41], off, off offset:256
	scratch_load_b128 v[143:146], off, off offset:272
	s_mov_b32 s2, exec_lo
	s_waitcnt vmcnt(9) lgkmcnt(1)
	v_mul_f64 v[147:148], v[36:37], v[4:5]
	v_mul_f64 v[4:5], v[34:35], v[4:5]
	s_waitcnt vmcnt(8) lgkmcnt(0)
	v_mul_f64 v[149:150], v[139:140], v[8:9]
	v_mul_f64 v[8:9], v[141:142], v[8:9]
	s_delay_alu instid0(VALU_DEP_4) | instskip(NEXT) | instid1(VALU_DEP_4)
	v_fma_f64 v[147:148], v[34:35], v[2:3], -v[147:148]
	v_fma_f64 v[151:152], v[36:37], v[2:3], v[4:5]
	ds_load_b128 v[2:5], v1 offset:672
	scratch_load_b128 v[34:37], off, off offset:288
	v_fma_f64 v[149:150], v[141:142], v[6:7], v[149:150]
	v_fma_f64 v[155:156], v[139:140], v[6:7], -v[8:9]
	scratch_load_b128 v[139:142], off, off offset:304
	ds_load_b128 v[6:9], v1 offset:688
	s_waitcnt vmcnt(9) lgkmcnt(1)
	v_mul_f64 v[153:154], v[2:3], v[12:13]
	v_mul_f64 v[12:13], v[4:5], v[12:13]
	s_waitcnt vmcnt(8) lgkmcnt(0)
	v_mul_f64 v[157:158], v[6:7], v[16:17]
	v_mul_f64 v[16:17], v[8:9], v[16:17]
	v_add_f64 v[147:148], v[147:148], 0
	v_add_f64 v[151:152], v[151:152], 0
	v_fma_f64 v[153:154], v[4:5], v[10:11], v[153:154]
	v_fma_f64 v[159:160], v[2:3], v[10:11], -v[12:13]
	ds_load_b128 v[2:5], v1 offset:704
	scratch_load_b128 v[10:13], off, off offset:320
	v_add_f64 v[147:148], v[147:148], v[155:156]
	v_add_f64 v[149:150], v[151:152], v[149:150]
	v_fma_f64 v[155:156], v[8:9], v[14:15], v[157:158]
	v_fma_f64 v[157:158], v[6:7], v[14:15], -v[16:17]
	scratch_load_b128 v[14:17], off, off offset:336
	ds_load_b128 v[6:9], v1 offset:720
	s_waitcnt vmcnt(9) lgkmcnt(1)
	v_mul_f64 v[151:152], v[2:3], v[20:21]
	v_mul_f64 v[20:21], v[4:5], v[20:21]
	v_add_f64 v[147:148], v[147:148], v[159:160]
	v_add_f64 v[149:150], v[149:150], v[153:154]
	s_waitcnt vmcnt(8) lgkmcnt(0)
	v_mul_f64 v[153:154], v[6:7], v[24:25]
	v_mul_f64 v[24:25], v[8:9], v[24:25]
	v_fma_f64 v[151:152], v[4:5], v[18:19], v[151:152]
	v_fma_f64 v[159:160], v[2:3], v[18:19], -v[20:21]
	ds_load_b128 v[2:5], v1 offset:736
	scratch_load_b128 v[18:21], off, off offset:352
	v_add_f64 v[147:148], v[147:148], v[157:158]
	v_add_f64 v[149:150], v[149:150], v[155:156]
	v_fma_f64 v[153:154], v[8:9], v[22:23], v[153:154]
	v_fma_f64 v[157:158], v[6:7], v[22:23], -v[24:25]
	scratch_load_b128 v[22:25], off, off offset:368
	ds_load_b128 v[6:9], v1 offset:752
	s_waitcnt vmcnt(9) lgkmcnt(1)
	v_mul_f64 v[155:156], v[2:3], v[28:29]
	v_mul_f64 v[28:29], v[4:5], v[28:29]
	v_add_f64 v[147:148], v[147:148], v[159:160]
	v_add_f64 v[149:150], v[149:150], v[151:152]
	s_waitcnt vmcnt(8) lgkmcnt(0)
	v_mul_f64 v[151:152], v[6:7], v[32:33]
	v_mul_f64 v[32:33], v[8:9], v[32:33]
	v_fma_f64 v[155:156], v[4:5], v[26:27], v[155:156]
	v_fma_f64 v[159:160], v[2:3], v[26:27], -v[28:29]
	ds_load_b128 v[2:5], v1 offset:768
	scratch_load_b128 v[26:29], off, off offset:384
	v_add_f64 v[147:148], v[147:148], v[157:158]
	v_add_f64 v[149:150], v[149:150], v[153:154]
	v_fma_f64 v[151:152], v[8:9], v[30:31], v[151:152]
	v_fma_f64 v[157:158], v[6:7], v[30:31], -v[32:33]
	ds_load_b128 v[6:9], v1 offset:784
	s_waitcnt vmcnt(8) lgkmcnt(1)
	v_mul_f64 v[153:154], v[2:3], v[40:41]
	v_mul_f64 v[40:41], v[4:5], v[40:41]
	scratch_load_b128 v[30:33], off, off offset:400
	v_add_f64 v[147:148], v[147:148], v[159:160]
	v_add_f64 v[149:150], v[149:150], v[155:156]
	s_waitcnt vmcnt(8) lgkmcnt(0)
	v_mul_f64 v[155:156], v[6:7], v[145:146]
	v_mul_f64 v[145:146], v[8:9], v[145:146]
	v_fma_f64 v[153:154], v[4:5], v[38:39], v[153:154]
	v_fma_f64 v[159:160], v[2:3], v[38:39], -v[40:41]
	ds_load_b128 v[2:5], v1 offset:800
	scratch_load_b128 v[38:41], off, off offset:416
	v_add_f64 v[147:148], v[147:148], v[157:158]
	v_add_f64 v[149:150], v[149:150], v[151:152]
	v_fma_f64 v[155:156], v[8:9], v[143:144], v[155:156]
	v_fma_f64 v[157:158], v[6:7], v[143:144], -v[145:146]
	ds_load_b128 v[6:9], v1 offset:816
	scratch_load_b128 v[143:146], off, off offset:432
	s_waitcnt vmcnt(9) lgkmcnt(1)
	v_mul_f64 v[151:152], v[2:3], v[36:37]
	v_mul_f64 v[36:37], v[4:5], v[36:37]
	v_add_f64 v[147:148], v[147:148], v[159:160]
	v_add_f64 v[149:150], v[149:150], v[153:154]
	s_waitcnt vmcnt(8) lgkmcnt(0)
	v_mul_f64 v[153:154], v[6:7], v[141:142]
	v_mul_f64 v[141:142], v[8:9], v[141:142]
	v_fma_f64 v[151:152], v[4:5], v[34:35], v[151:152]
	v_fma_f64 v[159:160], v[2:3], v[34:35], -v[36:37]
	scratch_load_b128 v[34:37], off, off offset:448
	ds_load_b128 v[2:5], v1 offset:832
	v_add_f64 v[147:148], v[147:148], v[157:158]
	v_add_f64 v[149:150], v[149:150], v[155:156]
	v_fma_f64 v[153:154], v[8:9], v[139:140], v[153:154]
	v_fma_f64 v[157:158], v[6:7], v[139:140], -v[141:142]
	ds_load_b128 v[6:9], v1 offset:848
	s_waitcnt vmcnt(8) lgkmcnt(1)
	v_mul_f64 v[155:156], v[2:3], v[12:13]
	v_mul_f64 v[12:13], v[4:5], v[12:13]
	scratch_load_b128 v[139:142], off, off offset:464
	v_add_f64 v[147:148], v[147:148], v[159:160]
	v_add_f64 v[149:150], v[149:150], v[151:152]
	s_waitcnt vmcnt(8) lgkmcnt(0)
	v_mul_f64 v[151:152], v[6:7], v[16:17]
	v_mul_f64 v[16:17], v[8:9], v[16:17]
	v_fma_f64 v[155:156], v[4:5], v[10:11], v[155:156]
	v_fma_f64 v[159:160], v[2:3], v[10:11], -v[12:13]
	scratch_load_b128 v[10:13], off, off offset:480
	ds_load_b128 v[2:5], v1 offset:864
	v_add_f64 v[147:148], v[147:148], v[157:158]
	v_add_f64 v[149:150], v[149:150], v[153:154]
	v_fma_f64 v[151:152], v[8:9], v[14:15], v[151:152]
	v_fma_f64 v[157:158], v[6:7], v[14:15], -v[16:17]
	ds_load_b128 v[6:9], v1 offset:880
	s_waitcnt vmcnt(8) lgkmcnt(1)
	v_mul_f64 v[153:154], v[2:3], v[20:21]
	v_mul_f64 v[20:21], v[4:5], v[20:21]
	scratch_load_b128 v[14:17], off, off offset:496
	v_add_f64 v[147:148], v[147:148], v[159:160]
	v_add_f64 v[149:150], v[149:150], v[155:156]
	s_waitcnt vmcnt(8) lgkmcnt(0)
	v_mul_f64 v[155:156], v[6:7], v[24:25]
	v_mul_f64 v[24:25], v[8:9], v[24:25]
	v_fma_f64 v[153:154], v[4:5], v[18:19], v[153:154]
	v_fma_f64 v[18:19], v[2:3], v[18:19], -v[20:21]
	ds_load_b128 v[2:5], v1 offset:896
	v_add_f64 v[20:21], v[147:148], v[157:158]
	v_add_f64 v[147:148], v[149:150], v[151:152]
	v_fma_f64 v[151:152], v[8:9], v[22:23], v[155:156]
	v_fma_f64 v[22:23], v[6:7], v[22:23], -v[24:25]
	ds_load_b128 v[6:9], v1 offset:912
	s_waitcnt vmcnt(7) lgkmcnt(1)
	v_mul_f64 v[149:150], v[2:3], v[28:29]
	v_mul_f64 v[28:29], v[4:5], v[28:29]
	v_add_f64 v[18:19], v[20:21], v[18:19]
	v_add_f64 v[20:21], v[147:148], v[153:154]
	s_delay_alu instid0(VALU_DEP_4) | instskip(NEXT) | instid1(VALU_DEP_4)
	v_fma_f64 v[147:148], v[4:5], v[26:27], v[149:150]
	v_fma_f64 v[26:27], v[2:3], v[26:27], -v[28:29]
	ds_load_b128 v[2:5], v1 offset:928
	v_add_f64 v[22:23], v[18:19], v[22:23]
	v_add_f64 v[28:29], v[20:21], v[151:152]
	scratch_load_b128 v[18:21], off, off offset:112
	s_waitcnt vmcnt(7) lgkmcnt(1)
	v_mul_f64 v[24:25], v[6:7], v[32:33]
	v_mul_f64 v[32:33], v[8:9], v[32:33]
	v_add_f64 v[22:23], v[22:23], v[26:27]
	v_add_f64 v[26:27], v[28:29], v[147:148]
	s_delay_alu instid0(VALU_DEP_4) | instskip(NEXT) | instid1(VALU_DEP_4)
	v_fma_f64 v[24:25], v[8:9], v[30:31], v[24:25]
	v_fma_f64 v[30:31], v[6:7], v[30:31], -v[32:33]
	ds_load_b128 v[6:9], v1 offset:944
	s_waitcnt vmcnt(6) lgkmcnt(1)
	v_mul_f64 v[149:150], v[2:3], v[40:41]
	v_mul_f64 v[40:41], v[4:5], v[40:41]
	s_waitcnt vmcnt(5) lgkmcnt(0)
	v_mul_f64 v[28:29], v[6:7], v[145:146]
	v_mul_f64 v[32:33], v[8:9], v[145:146]
	v_add_f64 v[24:25], v[26:27], v[24:25]
	v_add_f64 v[22:23], v[22:23], v[30:31]
	v_fma_f64 v[145:146], v[4:5], v[38:39], v[149:150]
	v_fma_f64 v[38:39], v[2:3], v[38:39], -v[40:41]
	ds_load_b128 v[2:5], v1 offset:960
	v_fma_f64 v[28:29], v[8:9], v[143:144], v[28:29]
	v_fma_f64 v[32:33], v[6:7], v[143:144], -v[32:33]
	ds_load_b128 v[6:9], v1 offset:976
	s_waitcnt vmcnt(4) lgkmcnt(1)
	v_mul_f64 v[26:27], v[2:3], v[36:37]
	v_mul_f64 v[30:31], v[4:5], v[36:37]
	v_add_f64 v[24:25], v[24:25], v[145:146]
	v_add_f64 v[22:23], v[22:23], v[38:39]
	s_waitcnt vmcnt(3) lgkmcnt(0)
	v_mul_f64 v[36:37], v[6:7], v[141:142]
	v_mul_f64 v[38:39], v[8:9], v[141:142]
	v_fma_f64 v[26:27], v[4:5], v[34:35], v[26:27]
	v_fma_f64 v[30:31], v[2:3], v[34:35], -v[30:31]
	ds_load_b128 v[2:5], v1 offset:992
	v_add_f64 v[24:25], v[24:25], v[28:29]
	v_add_f64 v[22:23], v[22:23], v[32:33]
	v_fma_f64 v[32:33], v[8:9], v[139:140], v[36:37]
	v_fma_f64 v[34:35], v[6:7], v[139:140], -v[38:39]
	ds_load_b128 v[6:9], v1 offset:1008
	s_waitcnt vmcnt(2) lgkmcnt(1)
	v_mul_f64 v[28:29], v[2:3], v[12:13]
	v_mul_f64 v[12:13], v[4:5], v[12:13]
	v_add_f64 v[24:25], v[24:25], v[26:27]
	v_add_f64 v[22:23], v[22:23], v[30:31]
	s_waitcnt vmcnt(1) lgkmcnt(0)
	v_mul_f64 v[26:27], v[6:7], v[16:17]
	v_mul_f64 v[16:17], v[8:9], v[16:17]
	v_fma_f64 v[4:5], v[4:5], v[10:11], v[28:29]
	v_fma_f64 v[1:2], v[2:3], v[10:11], -v[12:13]
	v_add_f64 v[12:13], v[24:25], v[32:33]
	v_add_f64 v[10:11], v[22:23], v[34:35]
	v_fma_f64 v[8:9], v[8:9], v[14:15], v[26:27]
	v_fma_f64 v[6:7], v[6:7], v[14:15], -v[16:17]
	s_delay_alu instid0(VALU_DEP_4) | instskip(NEXT) | instid1(VALU_DEP_4)
	v_add_f64 v[3:4], v[12:13], v[4:5]
	v_add_f64 v[1:2], v[10:11], v[1:2]
	s_delay_alu instid0(VALU_DEP_2) | instskip(NEXT) | instid1(VALU_DEP_2)
	v_add_f64 v[3:4], v[3:4], v[8:9]
	v_add_f64 v[1:2], v[1:2], v[6:7]
	s_waitcnt vmcnt(0)
	s_delay_alu instid0(VALU_DEP_2) | instskip(NEXT) | instid1(VALU_DEP_2)
	v_add_f64 v[3:4], v[20:21], -v[3:4]
	v_add_f64 v[1:2], v[18:19], -v[1:2]
	scratch_store_b128 off, v[1:4], off offset:112
	v_cmpx_lt_u32_e32 6, v106
	s_cbranch_execz .LBB95_193
; %bb.192:
	scratch_load_b128 v[1:4], v131, off
	v_mov_b32_e32 v5, 0
	s_delay_alu instid0(VALU_DEP_1)
	v_mov_b32_e32 v6, v5
	v_mov_b32_e32 v7, v5
	;; [unrolled: 1-line block ×3, first 2 shown]
	scratch_store_b128 off, v[5:8], off offset:96
	s_waitcnt vmcnt(0)
	ds_store_b128 v138, v[1:4]
.LBB95_193:
	s_or_b32 exec_lo, exec_lo, s2
	s_waitcnt lgkmcnt(0)
	s_waitcnt_vscnt null, 0x0
	s_barrier
	buffer_gl0_inv
	s_clause 0x7
	scratch_load_b128 v[2:5], off, off offset:112
	scratch_load_b128 v[6:9], off, off offset:128
	;; [unrolled: 1-line block ×8, first 2 shown]
	v_mov_b32_e32 v1, 0
	s_clause 0x1
	scratch_load_b128 v[38:41], off, off offset:240
	scratch_load_b128 v[143:146], off, off offset:256
	s_mov_b32 s2, exec_lo
	ds_load_b128 v[34:37], v1 offset:624
	ds_load_b128 v[139:142], v1 offset:640
	s_waitcnt vmcnt(9) lgkmcnt(1)
	v_mul_f64 v[147:148], v[36:37], v[4:5]
	v_mul_f64 v[4:5], v[34:35], v[4:5]
	s_waitcnt vmcnt(8) lgkmcnt(0)
	v_mul_f64 v[149:150], v[139:140], v[8:9]
	v_mul_f64 v[8:9], v[141:142], v[8:9]
	s_delay_alu instid0(VALU_DEP_4) | instskip(NEXT) | instid1(VALU_DEP_4)
	v_fma_f64 v[147:148], v[34:35], v[2:3], -v[147:148]
	v_fma_f64 v[151:152], v[36:37], v[2:3], v[4:5]
	ds_load_b128 v[2:5], v1 offset:656
	scratch_load_b128 v[34:37], off, off offset:272
	v_fma_f64 v[149:150], v[141:142], v[6:7], v[149:150]
	v_fma_f64 v[155:156], v[139:140], v[6:7], -v[8:9]
	scratch_load_b128 v[139:142], off, off offset:288
	ds_load_b128 v[6:9], v1 offset:672
	s_waitcnt vmcnt(9) lgkmcnt(1)
	v_mul_f64 v[153:154], v[2:3], v[12:13]
	v_mul_f64 v[12:13], v[4:5], v[12:13]
	s_waitcnt vmcnt(8) lgkmcnt(0)
	v_mul_f64 v[157:158], v[6:7], v[16:17]
	v_mul_f64 v[16:17], v[8:9], v[16:17]
	v_add_f64 v[147:148], v[147:148], 0
	v_add_f64 v[151:152], v[151:152], 0
	v_fma_f64 v[153:154], v[4:5], v[10:11], v[153:154]
	v_fma_f64 v[159:160], v[2:3], v[10:11], -v[12:13]
	ds_load_b128 v[2:5], v1 offset:688
	scratch_load_b128 v[10:13], off, off offset:304
	v_add_f64 v[147:148], v[147:148], v[155:156]
	v_add_f64 v[149:150], v[151:152], v[149:150]
	v_fma_f64 v[155:156], v[8:9], v[14:15], v[157:158]
	v_fma_f64 v[157:158], v[6:7], v[14:15], -v[16:17]
	scratch_load_b128 v[14:17], off, off offset:320
	ds_load_b128 v[6:9], v1 offset:704
	s_waitcnt vmcnt(9) lgkmcnt(1)
	v_mul_f64 v[151:152], v[2:3], v[20:21]
	v_mul_f64 v[20:21], v[4:5], v[20:21]
	v_add_f64 v[147:148], v[147:148], v[159:160]
	v_add_f64 v[149:150], v[149:150], v[153:154]
	s_waitcnt vmcnt(8) lgkmcnt(0)
	v_mul_f64 v[153:154], v[6:7], v[24:25]
	v_mul_f64 v[24:25], v[8:9], v[24:25]
	v_fma_f64 v[151:152], v[4:5], v[18:19], v[151:152]
	v_fma_f64 v[159:160], v[2:3], v[18:19], -v[20:21]
	ds_load_b128 v[2:5], v1 offset:720
	scratch_load_b128 v[18:21], off, off offset:336
	v_add_f64 v[147:148], v[147:148], v[157:158]
	v_add_f64 v[149:150], v[149:150], v[155:156]
	v_fma_f64 v[153:154], v[8:9], v[22:23], v[153:154]
	v_fma_f64 v[157:158], v[6:7], v[22:23], -v[24:25]
	scratch_load_b128 v[22:25], off, off offset:352
	ds_load_b128 v[6:9], v1 offset:736
	s_waitcnt vmcnt(9) lgkmcnt(1)
	v_mul_f64 v[155:156], v[2:3], v[28:29]
	v_mul_f64 v[28:29], v[4:5], v[28:29]
	v_add_f64 v[147:148], v[147:148], v[159:160]
	v_add_f64 v[149:150], v[149:150], v[151:152]
	s_waitcnt vmcnt(8) lgkmcnt(0)
	v_mul_f64 v[151:152], v[6:7], v[32:33]
	v_mul_f64 v[32:33], v[8:9], v[32:33]
	;; [unrolled: 18-line block ×3, first 2 shown]
	v_fma_f64 v[153:154], v[4:5], v[38:39], v[153:154]
	v_fma_f64 v[159:160], v[2:3], v[38:39], -v[40:41]
	ds_load_b128 v[2:5], v1 offset:784
	scratch_load_b128 v[38:41], off, off offset:400
	v_add_f64 v[147:148], v[147:148], v[157:158]
	v_add_f64 v[149:150], v[149:150], v[151:152]
	v_fma_f64 v[155:156], v[8:9], v[143:144], v[155:156]
	v_fma_f64 v[157:158], v[6:7], v[143:144], -v[145:146]
	ds_load_b128 v[6:9], v1 offset:800
	scratch_load_b128 v[143:146], off, off offset:416
	s_waitcnt vmcnt(9) lgkmcnt(1)
	v_mul_f64 v[151:152], v[2:3], v[36:37]
	v_mul_f64 v[36:37], v[4:5], v[36:37]
	v_add_f64 v[147:148], v[147:148], v[159:160]
	v_add_f64 v[149:150], v[149:150], v[153:154]
	s_waitcnt vmcnt(8) lgkmcnt(0)
	v_mul_f64 v[153:154], v[6:7], v[141:142]
	v_mul_f64 v[141:142], v[8:9], v[141:142]
	v_fma_f64 v[151:152], v[4:5], v[34:35], v[151:152]
	v_fma_f64 v[159:160], v[2:3], v[34:35], -v[36:37]
	scratch_load_b128 v[34:37], off, off offset:432
	ds_load_b128 v[2:5], v1 offset:816
	v_add_f64 v[147:148], v[147:148], v[157:158]
	v_add_f64 v[149:150], v[149:150], v[155:156]
	v_fma_f64 v[153:154], v[8:9], v[139:140], v[153:154]
	v_fma_f64 v[157:158], v[6:7], v[139:140], -v[141:142]
	ds_load_b128 v[6:9], v1 offset:832
	s_waitcnt vmcnt(8) lgkmcnt(1)
	v_mul_f64 v[155:156], v[2:3], v[12:13]
	v_mul_f64 v[12:13], v[4:5], v[12:13]
	scratch_load_b128 v[139:142], off, off offset:448
	v_add_f64 v[147:148], v[147:148], v[159:160]
	v_add_f64 v[149:150], v[149:150], v[151:152]
	s_waitcnt vmcnt(8) lgkmcnt(0)
	v_mul_f64 v[151:152], v[6:7], v[16:17]
	v_mul_f64 v[16:17], v[8:9], v[16:17]
	v_fma_f64 v[155:156], v[4:5], v[10:11], v[155:156]
	v_fma_f64 v[159:160], v[2:3], v[10:11], -v[12:13]
	scratch_load_b128 v[10:13], off, off offset:464
	ds_load_b128 v[2:5], v1 offset:848
	v_add_f64 v[147:148], v[147:148], v[157:158]
	v_add_f64 v[149:150], v[149:150], v[153:154]
	v_fma_f64 v[151:152], v[8:9], v[14:15], v[151:152]
	v_fma_f64 v[157:158], v[6:7], v[14:15], -v[16:17]
	ds_load_b128 v[6:9], v1 offset:864
	s_waitcnt vmcnt(8) lgkmcnt(1)
	v_mul_f64 v[153:154], v[2:3], v[20:21]
	v_mul_f64 v[20:21], v[4:5], v[20:21]
	scratch_load_b128 v[14:17], off, off offset:480
	v_add_f64 v[147:148], v[147:148], v[159:160]
	v_add_f64 v[149:150], v[149:150], v[155:156]
	s_waitcnt vmcnt(8) lgkmcnt(0)
	v_mul_f64 v[155:156], v[6:7], v[24:25]
	v_mul_f64 v[24:25], v[8:9], v[24:25]
	v_fma_f64 v[153:154], v[4:5], v[18:19], v[153:154]
	v_fma_f64 v[159:160], v[2:3], v[18:19], -v[20:21]
	scratch_load_b128 v[18:21], off, off offset:496
	ds_load_b128 v[2:5], v1 offset:880
	v_add_f64 v[147:148], v[147:148], v[157:158]
	v_add_f64 v[149:150], v[149:150], v[151:152]
	v_fma_f64 v[155:156], v[8:9], v[22:23], v[155:156]
	v_fma_f64 v[22:23], v[6:7], v[22:23], -v[24:25]
	ds_load_b128 v[6:9], v1 offset:896
	s_waitcnt vmcnt(8) lgkmcnt(1)
	v_mul_f64 v[151:152], v[2:3], v[28:29]
	v_mul_f64 v[28:29], v[4:5], v[28:29]
	v_add_f64 v[24:25], v[147:148], v[159:160]
	v_add_f64 v[147:148], v[149:150], v[153:154]
	s_waitcnt vmcnt(7) lgkmcnt(0)
	v_mul_f64 v[149:150], v[6:7], v[32:33]
	v_mul_f64 v[32:33], v[8:9], v[32:33]
	v_fma_f64 v[151:152], v[4:5], v[26:27], v[151:152]
	v_fma_f64 v[26:27], v[2:3], v[26:27], -v[28:29]
	ds_load_b128 v[2:5], v1 offset:912
	v_add_f64 v[22:23], v[24:25], v[22:23]
	v_add_f64 v[24:25], v[147:148], v[155:156]
	v_fma_f64 v[147:148], v[8:9], v[30:31], v[149:150]
	v_fma_f64 v[30:31], v[6:7], v[30:31], -v[32:33]
	ds_load_b128 v[6:9], v1 offset:928
	s_waitcnt vmcnt(5) lgkmcnt(0)
	v_mul_f64 v[149:150], v[6:7], v[145:146]
	v_mul_f64 v[145:146], v[8:9], v[145:146]
	v_add_f64 v[26:27], v[22:23], v[26:27]
	v_add_f64 v[32:33], v[24:25], v[151:152]
	scratch_load_b128 v[22:25], off, off offset:96
	v_mul_f64 v[28:29], v[2:3], v[40:41]
	v_mul_f64 v[40:41], v[4:5], v[40:41]
	v_add_f64 v[26:27], v[26:27], v[30:31]
	v_add_f64 v[30:31], v[32:33], v[147:148]
	s_delay_alu instid0(VALU_DEP_4) | instskip(NEXT) | instid1(VALU_DEP_4)
	v_fma_f64 v[28:29], v[4:5], v[38:39], v[28:29]
	v_fma_f64 v[38:39], v[2:3], v[38:39], -v[40:41]
	ds_load_b128 v[2:5], v1 offset:944
	v_fma_f64 v[40:41], v[8:9], v[143:144], v[149:150]
	v_fma_f64 v[143:144], v[6:7], v[143:144], -v[145:146]
	ds_load_b128 v[6:9], v1 offset:960
	s_waitcnt vmcnt(5) lgkmcnt(1)
	v_mul_f64 v[32:33], v[2:3], v[36:37]
	v_mul_f64 v[36:37], v[4:5], v[36:37]
	v_add_f64 v[28:29], v[30:31], v[28:29]
	v_add_f64 v[26:27], v[26:27], v[38:39]
	s_waitcnt vmcnt(4) lgkmcnt(0)
	v_mul_f64 v[30:31], v[6:7], v[141:142]
	v_mul_f64 v[38:39], v[8:9], v[141:142]
	v_fma_f64 v[32:33], v[4:5], v[34:35], v[32:33]
	v_fma_f64 v[34:35], v[2:3], v[34:35], -v[36:37]
	ds_load_b128 v[2:5], v1 offset:976
	v_add_f64 v[28:29], v[28:29], v[40:41]
	v_add_f64 v[26:27], v[26:27], v[143:144]
	v_fma_f64 v[30:31], v[8:9], v[139:140], v[30:31]
	v_fma_f64 v[38:39], v[6:7], v[139:140], -v[38:39]
	ds_load_b128 v[6:9], v1 offset:992
	s_waitcnt vmcnt(3) lgkmcnt(1)
	v_mul_f64 v[36:37], v[2:3], v[12:13]
	v_mul_f64 v[12:13], v[4:5], v[12:13]
	v_add_f64 v[28:29], v[28:29], v[32:33]
	v_add_f64 v[26:27], v[26:27], v[34:35]
	s_waitcnt vmcnt(2) lgkmcnt(0)
	v_mul_f64 v[32:33], v[6:7], v[16:17]
	v_mul_f64 v[16:17], v[8:9], v[16:17]
	v_fma_f64 v[34:35], v[4:5], v[10:11], v[36:37]
	v_fma_f64 v[10:11], v[2:3], v[10:11], -v[12:13]
	ds_load_b128 v[2:5], v1 offset:1008
	v_add_f64 v[12:13], v[26:27], v[38:39]
	v_add_f64 v[26:27], v[28:29], v[30:31]
	s_waitcnt vmcnt(1) lgkmcnt(0)
	v_mul_f64 v[28:29], v[2:3], v[20:21]
	v_mul_f64 v[20:21], v[4:5], v[20:21]
	v_fma_f64 v[8:9], v[8:9], v[14:15], v[32:33]
	v_fma_f64 v[6:7], v[6:7], v[14:15], -v[16:17]
	v_add_f64 v[10:11], v[12:13], v[10:11]
	v_add_f64 v[12:13], v[26:27], v[34:35]
	v_fma_f64 v[4:5], v[4:5], v[18:19], v[28:29]
	v_fma_f64 v[2:3], v[2:3], v[18:19], -v[20:21]
	s_delay_alu instid0(VALU_DEP_4) | instskip(NEXT) | instid1(VALU_DEP_4)
	v_add_f64 v[6:7], v[10:11], v[6:7]
	v_add_f64 v[8:9], v[12:13], v[8:9]
	s_delay_alu instid0(VALU_DEP_2) | instskip(NEXT) | instid1(VALU_DEP_2)
	v_add_f64 v[2:3], v[6:7], v[2:3]
	v_add_f64 v[4:5], v[8:9], v[4:5]
	s_waitcnt vmcnt(0)
	s_delay_alu instid0(VALU_DEP_2) | instskip(NEXT) | instid1(VALU_DEP_2)
	v_add_f64 v[2:3], v[22:23], -v[2:3]
	v_add_f64 v[4:5], v[24:25], -v[4:5]
	scratch_store_b128 off, v[2:5], off offset:96
	v_cmpx_lt_u32_e32 5, v106
	s_cbranch_execz .LBB95_195
; %bb.194:
	scratch_load_b128 v[5:8], v133, off
	v_mov_b32_e32 v2, v1
	v_mov_b32_e32 v3, v1
	;; [unrolled: 1-line block ×3, first 2 shown]
	scratch_store_b128 off, v[1:4], off offset:80
	s_waitcnt vmcnt(0)
	ds_store_b128 v138, v[5:8]
.LBB95_195:
	s_or_b32 exec_lo, exec_lo, s2
	s_waitcnt lgkmcnt(0)
	s_waitcnt_vscnt null, 0x0
	s_barrier
	buffer_gl0_inv
	s_clause 0x7
	scratch_load_b128 v[2:5], off, off offset:96
	scratch_load_b128 v[6:9], off, off offset:112
	;; [unrolled: 1-line block ×8, first 2 shown]
	ds_load_b128 v[38:41], v1 offset:608
	ds_load_b128 v[139:142], v1 offset:624
	s_clause 0x1
	scratch_load_b128 v[34:37], off, off offset:224
	scratch_load_b128 v[143:146], off, off offset:240
	s_mov_b32 s2, exec_lo
	s_waitcnt vmcnt(9) lgkmcnt(1)
	v_mul_f64 v[147:148], v[40:41], v[4:5]
	v_mul_f64 v[4:5], v[38:39], v[4:5]
	s_waitcnt vmcnt(8) lgkmcnt(0)
	v_mul_f64 v[149:150], v[139:140], v[8:9]
	v_mul_f64 v[8:9], v[141:142], v[8:9]
	s_delay_alu instid0(VALU_DEP_4) | instskip(NEXT) | instid1(VALU_DEP_4)
	v_fma_f64 v[147:148], v[38:39], v[2:3], -v[147:148]
	v_fma_f64 v[151:152], v[40:41], v[2:3], v[4:5]
	ds_load_b128 v[2:5], v1 offset:640
	scratch_load_b128 v[38:41], off, off offset:256
	v_fma_f64 v[149:150], v[141:142], v[6:7], v[149:150]
	v_fma_f64 v[155:156], v[139:140], v[6:7], -v[8:9]
	scratch_load_b128 v[139:142], off, off offset:272
	ds_load_b128 v[6:9], v1 offset:656
	s_waitcnt vmcnt(9) lgkmcnt(1)
	v_mul_f64 v[153:154], v[2:3], v[12:13]
	v_mul_f64 v[12:13], v[4:5], v[12:13]
	s_waitcnt vmcnt(8) lgkmcnt(0)
	v_mul_f64 v[157:158], v[6:7], v[16:17]
	v_mul_f64 v[16:17], v[8:9], v[16:17]
	v_add_f64 v[147:148], v[147:148], 0
	v_add_f64 v[151:152], v[151:152], 0
	v_fma_f64 v[153:154], v[4:5], v[10:11], v[153:154]
	v_fma_f64 v[159:160], v[2:3], v[10:11], -v[12:13]
	ds_load_b128 v[2:5], v1 offset:672
	scratch_load_b128 v[10:13], off, off offset:288
	v_add_f64 v[147:148], v[147:148], v[155:156]
	v_add_f64 v[149:150], v[151:152], v[149:150]
	v_fma_f64 v[155:156], v[8:9], v[14:15], v[157:158]
	v_fma_f64 v[157:158], v[6:7], v[14:15], -v[16:17]
	scratch_load_b128 v[14:17], off, off offset:304
	ds_load_b128 v[6:9], v1 offset:688
	s_waitcnt vmcnt(9) lgkmcnt(1)
	v_mul_f64 v[151:152], v[2:3], v[20:21]
	v_mul_f64 v[20:21], v[4:5], v[20:21]
	v_add_f64 v[147:148], v[147:148], v[159:160]
	v_add_f64 v[149:150], v[149:150], v[153:154]
	s_waitcnt vmcnt(8) lgkmcnt(0)
	v_mul_f64 v[153:154], v[6:7], v[24:25]
	v_mul_f64 v[24:25], v[8:9], v[24:25]
	v_fma_f64 v[151:152], v[4:5], v[18:19], v[151:152]
	v_fma_f64 v[159:160], v[2:3], v[18:19], -v[20:21]
	ds_load_b128 v[2:5], v1 offset:704
	scratch_load_b128 v[18:21], off, off offset:320
	v_add_f64 v[147:148], v[147:148], v[157:158]
	v_add_f64 v[149:150], v[149:150], v[155:156]
	v_fma_f64 v[153:154], v[8:9], v[22:23], v[153:154]
	v_fma_f64 v[157:158], v[6:7], v[22:23], -v[24:25]
	scratch_load_b128 v[22:25], off, off offset:336
	ds_load_b128 v[6:9], v1 offset:720
	s_waitcnt vmcnt(9) lgkmcnt(1)
	v_mul_f64 v[155:156], v[2:3], v[28:29]
	v_mul_f64 v[28:29], v[4:5], v[28:29]
	v_add_f64 v[147:148], v[147:148], v[159:160]
	v_add_f64 v[149:150], v[149:150], v[151:152]
	s_waitcnt vmcnt(8) lgkmcnt(0)
	v_mul_f64 v[151:152], v[6:7], v[32:33]
	v_mul_f64 v[32:33], v[8:9], v[32:33]
	;; [unrolled: 18-line block ×3, first 2 shown]
	v_fma_f64 v[153:154], v[4:5], v[34:35], v[153:154]
	v_fma_f64 v[159:160], v[2:3], v[34:35], -v[36:37]
	ds_load_b128 v[2:5], v1 offset:768
	scratch_load_b128 v[34:37], off, off offset:384
	v_add_f64 v[147:148], v[147:148], v[157:158]
	v_add_f64 v[149:150], v[149:150], v[151:152]
	v_fma_f64 v[155:156], v[8:9], v[143:144], v[155:156]
	v_fma_f64 v[157:158], v[6:7], v[143:144], -v[145:146]
	ds_load_b128 v[6:9], v1 offset:784
	scratch_load_b128 v[143:146], off, off offset:400
	s_waitcnt vmcnt(9) lgkmcnt(1)
	v_mul_f64 v[151:152], v[2:3], v[40:41]
	v_mul_f64 v[40:41], v[4:5], v[40:41]
	v_add_f64 v[147:148], v[147:148], v[159:160]
	v_add_f64 v[149:150], v[149:150], v[153:154]
	s_waitcnt vmcnt(8) lgkmcnt(0)
	v_mul_f64 v[153:154], v[6:7], v[141:142]
	v_mul_f64 v[141:142], v[8:9], v[141:142]
	v_fma_f64 v[151:152], v[4:5], v[38:39], v[151:152]
	v_fma_f64 v[159:160], v[2:3], v[38:39], -v[40:41]
	ds_load_b128 v[2:5], v1 offset:800
	scratch_load_b128 v[38:41], off, off offset:416
	v_add_f64 v[147:148], v[147:148], v[157:158]
	v_add_f64 v[149:150], v[149:150], v[155:156]
	v_fma_f64 v[153:154], v[8:9], v[139:140], v[153:154]
	v_fma_f64 v[157:158], v[6:7], v[139:140], -v[141:142]
	ds_load_b128 v[6:9], v1 offset:816
	s_waitcnt vmcnt(8) lgkmcnt(1)
	v_mul_f64 v[155:156], v[2:3], v[12:13]
	v_mul_f64 v[12:13], v[4:5], v[12:13]
	scratch_load_b128 v[139:142], off, off offset:432
	v_add_f64 v[147:148], v[147:148], v[159:160]
	v_add_f64 v[149:150], v[149:150], v[151:152]
	s_waitcnt vmcnt(8) lgkmcnt(0)
	v_mul_f64 v[151:152], v[6:7], v[16:17]
	v_mul_f64 v[16:17], v[8:9], v[16:17]
	v_fma_f64 v[155:156], v[4:5], v[10:11], v[155:156]
	v_fma_f64 v[159:160], v[2:3], v[10:11], -v[12:13]
	scratch_load_b128 v[10:13], off, off offset:448
	ds_load_b128 v[2:5], v1 offset:832
	v_add_f64 v[147:148], v[147:148], v[157:158]
	v_add_f64 v[149:150], v[149:150], v[153:154]
	v_fma_f64 v[151:152], v[8:9], v[14:15], v[151:152]
	v_fma_f64 v[157:158], v[6:7], v[14:15], -v[16:17]
	ds_load_b128 v[6:9], v1 offset:848
	s_waitcnt vmcnt(8) lgkmcnt(1)
	v_mul_f64 v[153:154], v[2:3], v[20:21]
	v_mul_f64 v[20:21], v[4:5], v[20:21]
	scratch_load_b128 v[14:17], off, off offset:464
	v_add_f64 v[147:148], v[147:148], v[159:160]
	v_add_f64 v[149:150], v[149:150], v[155:156]
	s_waitcnt vmcnt(8) lgkmcnt(0)
	v_mul_f64 v[155:156], v[6:7], v[24:25]
	v_mul_f64 v[24:25], v[8:9], v[24:25]
	v_fma_f64 v[153:154], v[4:5], v[18:19], v[153:154]
	v_fma_f64 v[159:160], v[2:3], v[18:19], -v[20:21]
	scratch_load_b128 v[18:21], off, off offset:480
	ds_load_b128 v[2:5], v1 offset:864
	v_add_f64 v[147:148], v[147:148], v[157:158]
	v_add_f64 v[149:150], v[149:150], v[151:152]
	v_fma_f64 v[155:156], v[8:9], v[22:23], v[155:156]
	v_fma_f64 v[157:158], v[6:7], v[22:23], -v[24:25]
	ds_load_b128 v[6:9], v1 offset:880
	s_waitcnt vmcnt(8) lgkmcnt(1)
	v_mul_f64 v[151:152], v[2:3], v[28:29]
	v_mul_f64 v[28:29], v[4:5], v[28:29]
	scratch_load_b128 v[22:25], off, off offset:496
	v_add_f64 v[147:148], v[147:148], v[159:160]
	v_add_f64 v[149:150], v[149:150], v[153:154]
	s_waitcnt vmcnt(8) lgkmcnt(0)
	v_mul_f64 v[153:154], v[6:7], v[32:33]
	v_mul_f64 v[32:33], v[8:9], v[32:33]
	v_fma_f64 v[151:152], v[4:5], v[26:27], v[151:152]
	v_fma_f64 v[26:27], v[2:3], v[26:27], -v[28:29]
	ds_load_b128 v[2:5], v1 offset:896
	v_add_f64 v[28:29], v[147:148], v[157:158]
	v_add_f64 v[147:148], v[149:150], v[155:156]
	v_fma_f64 v[153:154], v[8:9], v[30:31], v[153:154]
	v_fma_f64 v[30:31], v[6:7], v[30:31], -v[32:33]
	ds_load_b128 v[6:9], v1 offset:912
	s_waitcnt vmcnt(7) lgkmcnt(1)
	v_mul_f64 v[149:150], v[2:3], v[36:37]
	v_mul_f64 v[36:37], v[4:5], v[36:37]
	v_add_f64 v[26:27], v[28:29], v[26:27]
	v_add_f64 v[28:29], v[147:148], v[151:152]
	s_delay_alu instid0(VALU_DEP_4) | instskip(NEXT) | instid1(VALU_DEP_4)
	v_fma_f64 v[147:148], v[4:5], v[34:35], v[149:150]
	v_fma_f64 v[34:35], v[2:3], v[34:35], -v[36:37]
	ds_load_b128 v[2:5], v1 offset:928
	v_add_f64 v[30:31], v[26:27], v[30:31]
	v_add_f64 v[36:37], v[28:29], v[153:154]
	scratch_load_b128 v[26:29], off, off offset:80
	s_waitcnt vmcnt(7) lgkmcnt(1)
	v_mul_f64 v[32:33], v[6:7], v[145:146]
	v_mul_f64 v[145:146], v[8:9], v[145:146]
	v_add_f64 v[30:31], v[30:31], v[34:35]
	v_add_f64 v[34:35], v[36:37], v[147:148]
	s_delay_alu instid0(VALU_DEP_4) | instskip(NEXT) | instid1(VALU_DEP_4)
	v_fma_f64 v[32:33], v[8:9], v[143:144], v[32:33]
	v_fma_f64 v[143:144], v[6:7], v[143:144], -v[145:146]
	ds_load_b128 v[6:9], v1 offset:944
	s_waitcnt vmcnt(6) lgkmcnt(1)
	v_mul_f64 v[149:150], v[2:3], v[40:41]
	v_mul_f64 v[40:41], v[4:5], v[40:41]
	s_waitcnt vmcnt(5) lgkmcnt(0)
	v_mul_f64 v[36:37], v[6:7], v[141:142]
	v_mul_f64 v[141:142], v[8:9], v[141:142]
	v_add_f64 v[32:33], v[34:35], v[32:33]
	v_add_f64 v[30:31], v[30:31], v[143:144]
	v_fma_f64 v[145:146], v[4:5], v[38:39], v[149:150]
	v_fma_f64 v[38:39], v[2:3], v[38:39], -v[40:41]
	ds_load_b128 v[2:5], v1 offset:960
	v_fma_f64 v[36:37], v[8:9], v[139:140], v[36:37]
	v_fma_f64 v[40:41], v[6:7], v[139:140], -v[141:142]
	ds_load_b128 v[6:9], v1 offset:976
	s_waitcnt vmcnt(4) lgkmcnt(1)
	v_mul_f64 v[34:35], v[2:3], v[12:13]
	v_mul_f64 v[12:13], v[4:5], v[12:13]
	v_add_f64 v[32:33], v[32:33], v[145:146]
	v_add_f64 v[30:31], v[30:31], v[38:39]
	s_waitcnt vmcnt(3) lgkmcnt(0)
	v_mul_f64 v[38:39], v[6:7], v[16:17]
	v_mul_f64 v[16:17], v[8:9], v[16:17]
	v_fma_f64 v[34:35], v[4:5], v[10:11], v[34:35]
	v_fma_f64 v[10:11], v[2:3], v[10:11], -v[12:13]
	ds_load_b128 v[2:5], v1 offset:992
	v_add_f64 v[12:13], v[30:31], v[40:41]
	v_add_f64 v[30:31], v[32:33], v[36:37]
	v_fma_f64 v[36:37], v[8:9], v[14:15], v[38:39]
	v_fma_f64 v[14:15], v[6:7], v[14:15], -v[16:17]
	ds_load_b128 v[6:9], v1 offset:1008
	s_waitcnt vmcnt(2) lgkmcnt(1)
	v_mul_f64 v[32:33], v[2:3], v[20:21]
	v_mul_f64 v[20:21], v[4:5], v[20:21]
	s_waitcnt vmcnt(1) lgkmcnt(0)
	v_mul_f64 v[16:17], v[6:7], v[24:25]
	v_mul_f64 v[24:25], v[8:9], v[24:25]
	v_add_f64 v[10:11], v[12:13], v[10:11]
	v_add_f64 v[12:13], v[30:31], v[34:35]
	v_fma_f64 v[4:5], v[4:5], v[18:19], v[32:33]
	v_fma_f64 v[1:2], v[2:3], v[18:19], -v[20:21]
	v_fma_f64 v[8:9], v[8:9], v[22:23], v[16:17]
	v_fma_f64 v[6:7], v[6:7], v[22:23], -v[24:25]
	v_add_f64 v[10:11], v[10:11], v[14:15]
	v_add_f64 v[12:13], v[12:13], v[36:37]
	s_delay_alu instid0(VALU_DEP_2) | instskip(NEXT) | instid1(VALU_DEP_2)
	v_add_f64 v[1:2], v[10:11], v[1:2]
	v_add_f64 v[3:4], v[12:13], v[4:5]
	s_delay_alu instid0(VALU_DEP_2) | instskip(NEXT) | instid1(VALU_DEP_2)
	v_add_f64 v[1:2], v[1:2], v[6:7]
	v_add_f64 v[3:4], v[3:4], v[8:9]
	s_waitcnt vmcnt(0)
	s_delay_alu instid0(VALU_DEP_2) | instskip(NEXT) | instid1(VALU_DEP_2)
	v_add_f64 v[1:2], v[26:27], -v[1:2]
	v_add_f64 v[3:4], v[28:29], -v[3:4]
	scratch_store_b128 off, v[1:4], off offset:80
	v_cmpx_lt_u32_e32 4, v106
	s_cbranch_execz .LBB95_197
; %bb.196:
	scratch_load_b128 v[1:4], v107, off
	v_mov_b32_e32 v5, 0
	s_delay_alu instid0(VALU_DEP_1)
	v_mov_b32_e32 v6, v5
	v_mov_b32_e32 v7, v5
	;; [unrolled: 1-line block ×3, first 2 shown]
	scratch_store_b128 off, v[5:8], off offset:64
	s_waitcnt vmcnt(0)
	ds_store_b128 v138, v[1:4]
.LBB95_197:
	s_or_b32 exec_lo, exec_lo, s2
	s_waitcnt lgkmcnt(0)
	s_waitcnt_vscnt null, 0x0
	s_barrier
	buffer_gl0_inv
	s_clause 0x7
	scratch_load_b128 v[2:5], off, off offset:80
	scratch_load_b128 v[6:9], off, off offset:96
	;; [unrolled: 1-line block ×8, first 2 shown]
	v_mov_b32_e32 v1, 0
	s_clause 0x1
	scratch_load_b128 v[34:37], off, off offset:208
	scratch_load_b128 v[143:146], off, off offset:224
	s_mov_b32 s2, exec_lo
	ds_load_b128 v[38:41], v1 offset:592
	ds_load_b128 v[139:142], v1 offset:608
	s_waitcnt vmcnt(9) lgkmcnt(1)
	v_mul_f64 v[147:148], v[40:41], v[4:5]
	v_mul_f64 v[4:5], v[38:39], v[4:5]
	s_waitcnt vmcnt(8) lgkmcnt(0)
	v_mul_f64 v[149:150], v[139:140], v[8:9]
	v_mul_f64 v[8:9], v[141:142], v[8:9]
	s_delay_alu instid0(VALU_DEP_4) | instskip(NEXT) | instid1(VALU_DEP_4)
	v_fma_f64 v[147:148], v[38:39], v[2:3], -v[147:148]
	v_fma_f64 v[151:152], v[40:41], v[2:3], v[4:5]
	ds_load_b128 v[2:5], v1 offset:624
	scratch_load_b128 v[38:41], off, off offset:240
	v_fma_f64 v[149:150], v[141:142], v[6:7], v[149:150]
	v_fma_f64 v[155:156], v[139:140], v[6:7], -v[8:9]
	scratch_load_b128 v[139:142], off, off offset:256
	ds_load_b128 v[6:9], v1 offset:640
	s_waitcnt vmcnt(9) lgkmcnt(1)
	v_mul_f64 v[153:154], v[2:3], v[12:13]
	v_mul_f64 v[12:13], v[4:5], v[12:13]
	s_waitcnt vmcnt(8) lgkmcnt(0)
	v_mul_f64 v[157:158], v[6:7], v[16:17]
	v_mul_f64 v[16:17], v[8:9], v[16:17]
	v_add_f64 v[147:148], v[147:148], 0
	v_add_f64 v[151:152], v[151:152], 0
	v_fma_f64 v[153:154], v[4:5], v[10:11], v[153:154]
	v_fma_f64 v[159:160], v[2:3], v[10:11], -v[12:13]
	ds_load_b128 v[2:5], v1 offset:656
	scratch_load_b128 v[10:13], off, off offset:272
	v_add_f64 v[147:148], v[147:148], v[155:156]
	v_add_f64 v[149:150], v[151:152], v[149:150]
	v_fma_f64 v[155:156], v[8:9], v[14:15], v[157:158]
	v_fma_f64 v[157:158], v[6:7], v[14:15], -v[16:17]
	scratch_load_b128 v[14:17], off, off offset:288
	ds_load_b128 v[6:9], v1 offset:672
	s_waitcnt vmcnt(9) lgkmcnt(1)
	v_mul_f64 v[151:152], v[2:3], v[20:21]
	v_mul_f64 v[20:21], v[4:5], v[20:21]
	v_add_f64 v[147:148], v[147:148], v[159:160]
	v_add_f64 v[149:150], v[149:150], v[153:154]
	s_waitcnt vmcnt(8) lgkmcnt(0)
	v_mul_f64 v[153:154], v[6:7], v[24:25]
	v_mul_f64 v[24:25], v[8:9], v[24:25]
	v_fma_f64 v[151:152], v[4:5], v[18:19], v[151:152]
	v_fma_f64 v[159:160], v[2:3], v[18:19], -v[20:21]
	ds_load_b128 v[2:5], v1 offset:688
	scratch_load_b128 v[18:21], off, off offset:304
	v_add_f64 v[147:148], v[147:148], v[157:158]
	v_add_f64 v[149:150], v[149:150], v[155:156]
	v_fma_f64 v[153:154], v[8:9], v[22:23], v[153:154]
	v_fma_f64 v[157:158], v[6:7], v[22:23], -v[24:25]
	scratch_load_b128 v[22:25], off, off offset:320
	ds_load_b128 v[6:9], v1 offset:704
	s_waitcnt vmcnt(9) lgkmcnt(1)
	v_mul_f64 v[155:156], v[2:3], v[28:29]
	v_mul_f64 v[28:29], v[4:5], v[28:29]
	v_add_f64 v[147:148], v[147:148], v[159:160]
	v_add_f64 v[149:150], v[149:150], v[151:152]
	s_waitcnt vmcnt(8) lgkmcnt(0)
	v_mul_f64 v[151:152], v[6:7], v[32:33]
	v_mul_f64 v[32:33], v[8:9], v[32:33]
	;; [unrolled: 18-line block ×4, first 2 shown]
	v_fma_f64 v[151:152], v[4:5], v[38:39], v[151:152]
	v_fma_f64 v[159:160], v[2:3], v[38:39], -v[40:41]
	ds_load_b128 v[2:5], v1 offset:784
	scratch_load_b128 v[38:41], off, off offset:400
	v_add_f64 v[147:148], v[147:148], v[157:158]
	v_add_f64 v[149:150], v[149:150], v[155:156]
	v_fma_f64 v[153:154], v[8:9], v[139:140], v[153:154]
	v_fma_f64 v[157:158], v[6:7], v[139:140], -v[141:142]
	ds_load_b128 v[6:9], v1 offset:800
	s_waitcnt vmcnt(8) lgkmcnt(1)
	v_mul_f64 v[155:156], v[2:3], v[12:13]
	v_mul_f64 v[12:13], v[4:5], v[12:13]
	scratch_load_b128 v[139:142], off, off offset:416
	v_add_f64 v[147:148], v[147:148], v[159:160]
	v_add_f64 v[149:150], v[149:150], v[151:152]
	s_waitcnt vmcnt(8) lgkmcnt(0)
	v_mul_f64 v[151:152], v[6:7], v[16:17]
	v_mul_f64 v[16:17], v[8:9], v[16:17]
	v_fma_f64 v[155:156], v[4:5], v[10:11], v[155:156]
	v_fma_f64 v[159:160], v[2:3], v[10:11], -v[12:13]
	scratch_load_b128 v[10:13], off, off offset:432
	ds_load_b128 v[2:5], v1 offset:816
	v_add_f64 v[147:148], v[147:148], v[157:158]
	v_add_f64 v[149:150], v[149:150], v[153:154]
	v_fma_f64 v[151:152], v[8:9], v[14:15], v[151:152]
	v_fma_f64 v[157:158], v[6:7], v[14:15], -v[16:17]
	ds_load_b128 v[6:9], v1 offset:832
	s_waitcnt vmcnt(8) lgkmcnt(1)
	v_mul_f64 v[153:154], v[2:3], v[20:21]
	v_mul_f64 v[20:21], v[4:5], v[20:21]
	scratch_load_b128 v[14:17], off, off offset:448
	v_add_f64 v[147:148], v[147:148], v[159:160]
	v_add_f64 v[149:150], v[149:150], v[155:156]
	s_waitcnt vmcnt(8) lgkmcnt(0)
	v_mul_f64 v[155:156], v[6:7], v[24:25]
	v_mul_f64 v[24:25], v[8:9], v[24:25]
	v_fma_f64 v[153:154], v[4:5], v[18:19], v[153:154]
	v_fma_f64 v[159:160], v[2:3], v[18:19], -v[20:21]
	scratch_load_b128 v[18:21], off, off offset:464
	ds_load_b128 v[2:5], v1 offset:848
	;; [unrolled: 18-line block ×3, first 2 shown]
	v_add_f64 v[147:148], v[147:148], v[157:158]
	v_add_f64 v[149:150], v[149:150], v[155:156]
	v_fma_f64 v[153:154], v[8:9], v[30:31], v[153:154]
	v_fma_f64 v[30:31], v[6:7], v[30:31], -v[32:33]
	ds_load_b128 v[6:9], v1 offset:896
	s_waitcnt vmcnt(8) lgkmcnt(1)
	v_mul_f64 v[155:156], v[2:3], v[36:37]
	v_mul_f64 v[36:37], v[4:5], v[36:37]
	v_add_f64 v[32:33], v[147:148], v[159:160]
	v_add_f64 v[147:148], v[149:150], v[151:152]
	s_waitcnt vmcnt(7) lgkmcnt(0)
	v_mul_f64 v[149:150], v[6:7], v[145:146]
	v_mul_f64 v[145:146], v[8:9], v[145:146]
	v_fma_f64 v[151:152], v[4:5], v[34:35], v[155:156]
	v_fma_f64 v[34:35], v[2:3], v[34:35], -v[36:37]
	ds_load_b128 v[2:5], v1 offset:912
	v_add_f64 v[30:31], v[32:33], v[30:31]
	v_add_f64 v[32:33], v[147:148], v[153:154]
	v_fma_f64 v[147:148], v[8:9], v[143:144], v[149:150]
	v_fma_f64 v[143:144], v[6:7], v[143:144], -v[145:146]
	ds_load_b128 v[6:9], v1 offset:928
	s_waitcnt vmcnt(5) lgkmcnt(0)
	v_mul_f64 v[149:150], v[6:7], v[141:142]
	v_mul_f64 v[141:142], v[8:9], v[141:142]
	v_add_f64 v[34:35], v[30:31], v[34:35]
	v_add_f64 v[145:146], v[32:33], v[151:152]
	scratch_load_b128 v[30:33], off, off offset:64
	v_mul_f64 v[36:37], v[2:3], v[40:41]
	v_mul_f64 v[40:41], v[4:5], v[40:41]
	v_add_f64 v[34:35], v[34:35], v[143:144]
	s_delay_alu instid0(VALU_DEP_3) | instskip(NEXT) | instid1(VALU_DEP_3)
	v_fma_f64 v[36:37], v[4:5], v[38:39], v[36:37]
	v_fma_f64 v[38:39], v[2:3], v[38:39], -v[40:41]
	v_add_f64 v[40:41], v[145:146], v[147:148]
	ds_load_b128 v[2:5], v1 offset:944
	v_fma_f64 v[145:146], v[8:9], v[139:140], v[149:150]
	v_fma_f64 v[139:140], v[6:7], v[139:140], -v[141:142]
	ds_load_b128 v[6:9], v1 offset:960
	s_waitcnt vmcnt(5) lgkmcnt(1)
	v_mul_f64 v[143:144], v[2:3], v[12:13]
	v_mul_f64 v[12:13], v[4:5], v[12:13]
	v_add_f64 v[34:35], v[34:35], v[38:39]
	v_add_f64 v[36:37], v[40:41], v[36:37]
	s_waitcnt vmcnt(4) lgkmcnt(0)
	v_mul_f64 v[38:39], v[6:7], v[16:17]
	v_mul_f64 v[16:17], v[8:9], v[16:17]
	v_fma_f64 v[40:41], v[4:5], v[10:11], v[143:144]
	v_fma_f64 v[10:11], v[2:3], v[10:11], -v[12:13]
	ds_load_b128 v[2:5], v1 offset:976
	v_add_f64 v[12:13], v[34:35], v[139:140]
	v_add_f64 v[34:35], v[36:37], v[145:146]
	v_fma_f64 v[38:39], v[8:9], v[14:15], v[38:39]
	v_fma_f64 v[14:15], v[6:7], v[14:15], -v[16:17]
	ds_load_b128 v[6:9], v1 offset:992
	s_waitcnt vmcnt(3) lgkmcnt(1)
	v_mul_f64 v[36:37], v[2:3], v[20:21]
	v_mul_f64 v[20:21], v[4:5], v[20:21]
	s_waitcnt vmcnt(2) lgkmcnt(0)
	v_mul_f64 v[16:17], v[6:7], v[24:25]
	v_mul_f64 v[24:25], v[8:9], v[24:25]
	v_add_f64 v[10:11], v[12:13], v[10:11]
	v_add_f64 v[12:13], v[34:35], v[40:41]
	v_fma_f64 v[34:35], v[4:5], v[18:19], v[36:37]
	v_fma_f64 v[18:19], v[2:3], v[18:19], -v[20:21]
	ds_load_b128 v[2:5], v1 offset:1008
	v_fma_f64 v[8:9], v[8:9], v[22:23], v[16:17]
	v_fma_f64 v[6:7], v[6:7], v[22:23], -v[24:25]
	s_waitcnt vmcnt(1) lgkmcnt(0)
	v_mul_f64 v[20:21], v[4:5], v[28:29]
	v_add_f64 v[10:11], v[10:11], v[14:15]
	v_add_f64 v[12:13], v[12:13], v[38:39]
	v_mul_f64 v[14:15], v[2:3], v[28:29]
	s_delay_alu instid0(VALU_DEP_4) | instskip(NEXT) | instid1(VALU_DEP_4)
	v_fma_f64 v[2:3], v[2:3], v[26:27], -v[20:21]
	v_add_f64 v[10:11], v[10:11], v[18:19]
	s_delay_alu instid0(VALU_DEP_4) | instskip(NEXT) | instid1(VALU_DEP_4)
	v_add_f64 v[12:13], v[12:13], v[34:35]
	v_fma_f64 v[4:5], v[4:5], v[26:27], v[14:15]
	s_delay_alu instid0(VALU_DEP_3) | instskip(NEXT) | instid1(VALU_DEP_3)
	v_add_f64 v[6:7], v[10:11], v[6:7]
	v_add_f64 v[8:9], v[12:13], v[8:9]
	s_delay_alu instid0(VALU_DEP_2) | instskip(NEXT) | instid1(VALU_DEP_2)
	v_add_f64 v[2:3], v[6:7], v[2:3]
	v_add_f64 v[4:5], v[8:9], v[4:5]
	s_waitcnt vmcnt(0)
	s_delay_alu instid0(VALU_DEP_2) | instskip(NEXT) | instid1(VALU_DEP_2)
	v_add_f64 v[2:3], v[30:31], -v[2:3]
	v_add_f64 v[4:5], v[32:33], -v[4:5]
	scratch_store_b128 off, v[2:5], off offset:64
	v_cmpx_lt_u32_e32 3, v106
	s_cbranch_execz .LBB95_199
; %bb.198:
	scratch_load_b128 v[5:8], v109, off
	v_mov_b32_e32 v2, v1
	v_mov_b32_e32 v3, v1
	;; [unrolled: 1-line block ×3, first 2 shown]
	scratch_store_b128 off, v[1:4], off offset:48
	s_waitcnt vmcnt(0)
	ds_store_b128 v138, v[5:8]
.LBB95_199:
	s_or_b32 exec_lo, exec_lo, s2
	s_waitcnt lgkmcnt(0)
	s_waitcnt_vscnt null, 0x0
	s_barrier
	buffer_gl0_inv
	s_clause 0x7
	scratch_load_b128 v[2:5], off, off offset:64
	scratch_load_b128 v[6:9], off, off offset:80
	;; [unrolled: 1-line block ×8, first 2 shown]
	ds_load_b128 v[38:41], v1 offset:576
	ds_load_b128 v[139:142], v1 offset:592
	s_clause 0x1
	scratch_load_b128 v[34:37], off, off offset:192
	scratch_load_b128 v[143:146], off, off offset:208
	s_mov_b32 s2, exec_lo
	s_waitcnt vmcnt(9) lgkmcnt(1)
	v_mul_f64 v[147:148], v[40:41], v[4:5]
	v_mul_f64 v[4:5], v[38:39], v[4:5]
	s_waitcnt vmcnt(8) lgkmcnt(0)
	v_mul_f64 v[149:150], v[139:140], v[8:9]
	v_mul_f64 v[8:9], v[141:142], v[8:9]
	s_delay_alu instid0(VALU_DEP_4) | instskip(NEXT) | instid1(VALU_DEP_4)
	v_fma_f64 v[147:148], v[38:39], v[2:3], -v[147:148]
	v_fma_f64 v[151:152], v[40:41], v[2:3], v[4:5]
	ds_load_b128 v[2:5], v1 offset:608
	scratch_load_b128 v[38:41], off, off offset:224
	v_fma_f64 v[149:150], v[141:142], v[6:7], v[149:150]
	v_fma_f64 v[155:156], v[139:140], v[6:7], -v[8:9]
	scratch_load_b128 v[139:142], off, off offset:240
	ds_load_b128 v[6:9], v1 offset:624
	s_waitcnt vmcnt(9) lgkmcnt(1)
	v_mul_f64 v[153:154], v[2:3], v[12:13]
	v_mul_f64 v[12:13], v[4:5], v[12:13]
	s_waitcnt vmcnt(8) lgkmcnt(0)
	v_mul_f64 v[157:158], v[6:7], v[16:17]
	v_mul_f64 v[16:17], v[8:9], v[16:17]
	v_add_f64 v[147:148], v[147:148], 0
	v_add_f64 v[151:152], v[151:152], 0
	v_fma_f64 v[153:154], v[4:5], v[10:11], v[153:154]
	v_fma_f64 v[159:160], v[2:3], v[10:11], -v[12:13]
	ds_load_b128 v[2:5], v1 offset:640
	scratch_load_b128 v[10:13], off, off offset:256
	v_add_f64 v[147:148], v[147:148], v[155:156]
	v_add_f64 v[149:150], v[151:152], v[149:150]
	v_fma_f64 v[155:156], v[8:9], v[14:15], v[157:158]
	v_fma_f64 v[157:158], v[6:7], v[14:15], -v[16:17]
	scratch_load_b128 v[14:17], off, off offset:272
	ds_load_b128 v[6:9], v1 offset:656
	s_waitcnt vmcnt(9) lgkmcnt(1)
	v_mul_f64 v[151:152], v[2:3], v[20:21]
	v_mul_f64 v[20:21], v[4:5], v[20:21]
	v_add_f64 v[147:148], v[147:148], v[159:160]
	v_add_f64 v[149:150], v[149:150], v[153:154]
	s_waitcnt vmcnt(8) lgkmcnt(0)
	v_mul_f64 v[153:154], v[6:7], v[24:25]
	v_mul_f64 v[24:25], v[8:9], v[24:25]
	v_fma_f64 v[151:152], v[4:5], v[18:19], v[151:152]
	v_fma_f64 v[159:160], v[2:3], v[18:19], -v[20:21]
	ds_load_b128 v[2:5], v1 offset:672
	scratch_load_b128 v[18:21], off, off offset:288
	v_add_f64 v[147:148], v[147:148], v[157:158]
	v_add_f64 v[149:150], v[149:150], v[155:156]
	v_fma_f64 v[153:154], v[8:9], v[22:23], v[153:154]
	v_fma_f64 v[157:158], v[6:7], v[22:23], -v[24:25]
	scratch_load_b128 v[22:25], off, off offset:304
	ds_load_b128 v[6:9], v1 offset:688
	s_waitcnt vmcnt(9) lgkmcnt(1)
	v_mul_f64 v[155:156], v[2:3], v[28:29]
	v_mul_f64 v[28:29], v[4:5], v[28:29]
	v_add_f64 v[147:148], v[147:148], v[159:160]
	v_add_f64 v[149:150], v[149:150], v[151:152]
	s_waitcnt vmcnt(8) lgkmcnt(0)
	v_mul_f64 v[151:152], v[6:7], v[32:33]
	v_mul_f64 v[32:33], v[8:9], v[32:33]
	;; [unrolled: 18-line block ×4, first 2 shown]
	v_fma_f64 v[151:152], v[4:5], v[38:39], v[151:152]
	v_fma_f64 v[159:160], v[2:3], v[38:39], -v[40:41]
	ds_load_b128 v[2:5], v1 offset:768
	scratch_load_b128 v[38:41], off, off offset:384
	v_add_f64 v[147:148], v[147:148], v[157:158]
	v_add_f64 v[149:150], v[149:150], v[155:156]
	v_fma_f64 v[153:154], v[8:9], v[139:140], v[153:154]
	v_fma_f64 v[157:158], v[6:7], v[139:140], -v[141:142]
	ds_load_b128 v[6:9], v1 offset:784
	s_waitcnt vmcnt(8) lgkmcnt(1)
	v_mul_f64 v[155:156], v[2:3], v[12:13]
	v_mul_f64 v[12:13], v[4:5], v[12:13]
	scratch_load_b128 v[139:142], off, off offset:400
	v_add_f64 v[147:148], v[147:148], v[159:160]
	v_add_f64 v[149:150], v[149:150], v[151:152]
	s_waitcnt vmcnt(8) lgkmcnt(0)
	v_mul_f64 v[151:152], v[6:7], v[16:17]
	v_mul_f64 v[16:17], v[8:9], v[16:17]
	v_fma_f64 v[155:156], v[4:5], v[10:11], v[155:156]
	v_fma_f64 v[159:160], v[2:3], v[10:11], -v[12:13]
	ds_load_b128 v[2:5], v1 offset:800
	scratch_load_b128 v[10:13], off, off offset:416
	v_add_f64 v[147:148], v[147:148], v[157:158]
	v_add_f64 v[149:150], v[149:150], v[153:154]
	v_fma_f64 v[151:152], v[8:9], v[14:15], v[151:152]
	v_fma_f64 v[157:158], v[6:7], v[14:15], -v[16:17]
	ds_load_b128 v[6:9], v1 offset:816
	s_waitcnt vmcnt(8) lgkmcnt(1)
	v_mul_f64 v[153:154], v[2:3], v[20:21]
	v_mul_f64 v[20:21], v[4:5], v[20:21]
	scratch_load_b128 v[14:17], off, off offset:432
	v_add_f64 v[147:148], v[147:148], v[159:160]
	v_add_f64 v[149:150], v[149:150], v[155:156]
	s_waitcnt vmcnt(8) lgkmcnt(0)
	v_mul_f64 v[155:156], v[6:7], v[24:25]
	v_mul_f64 v[24:25], v[8:9], v[24:25]
	v_fma_f64 v[153:154], v[4:5], v[18:19], v[153:154]
	v_fma_f64 v[159:160], v[2:3], v[18:19], -v[20:21]
	scratch_load_b128 v[18:21], off, off offset:448
	ds_load_b128 v[2:5], v1 offset:832
	v_add_f64 v[147:148], v[147:148], v[157:158]
	v_add_f64 v[149:150], v[149:150], v[151:152]
	v_fma_f64 v[155:156], v[8:9], v[22:23], v[155:156]
	v_fma_f64 v[157:158], v[6:7], v[22:23], -v[24:25]
	ds_load_b128 v[6:9], v1 offset:848
	s_waitcnt vmcnt(8) lgkmcnt(1)
	v_mul_f64 v[151:152], v[2:3], v[28:29]
	v_mul_f64 v[28:29], v[4:5], v[28:29]
	scratch_load_b128 v[22:25], off, off offset:464
	v_add_f64 v[147:148], v[147:148], v[159:160]
	v_add_f64 v[149:150], v[149:150], v[153:154]
	s_waitcnt vmcnt(8) lgkmcnt(0)
	v_mul_f64 v[153:154], v[6:7], v[32:33]
	v_mul_f64 v[32:33], v[8:9], v[32:33]
	v_fma_f64 v[151:152], v[4:5], v[26:27], v[151:152]
	v_fma_f64 v[159:160], v[2:3], v[26:27], -v[28:29]
	scratch_load_b128 v[26:29], off, off offset:480
	ds_load_b128 v[2:5], v1 offset:864
	v_add_f64 v[147:148], v[147:148], v[157:158]
	v_add_f64 v[149:150], v[149:150], v[155:156]
	v_fma_f64 v[153:154], v[8:9], v[30:31], v[153:154]
	v_fma_f64 v[157:158], v[6:7], v[30:31], -v[32:33]
	ds_load_b128 v[6:9], v1 offset:880
	s_waitcnt vmcnt(8) lgkmcnt(1)
	v_mul_f64 v[155:156], v[2:3], v[36:37]
	v_mul_f64 v[36:37], v[4:5], v[36:37]
	scratch_load_b128 v[30:33], off, off offset:496
	v_add_f64 v[147:148], v[147:148], v[159:160]
	v_add_f64 v[149:150], v[149:150], v[151:152]
	s_waitcnt vmcnt(8) lgkmcnt(0)
	v_mul_f64 v[151:152], v[6:7], v[145:146]
	v_mul_f64 v[145:146], v[8:9], v[145:146]
	v_fma_f64 v[155:156], v[4:5], v[34:35], v[155:156]
	v_fma_f64 v[34:35], v[2:3], v[34:35], -v[36:37]
	ds_load_b128 v[2:5], v1 offset:896
	v_add_f64 v[36:37], v[147:148], v[157:158]
	v_add_f64 v[147:148], v[149:150], v[153:154]
	v_fma_f64 v[151:152], v[8:9], v[143:144], v[151:152]
	v_fma_f64 v[143:144], v[6:7], v[143:144], -v[145:146]
	ds_load_b128 v[6:9], v1 offset:912
	s_waitcnt vmcnt(7) lgkmcnt(1)
	v_mul_f64 v[149:150], v[2:3], v[40:41]
	v_mul_f64 v[40:41], v[4:5], v[40:41]
	v_add_f64 v[34:35], v[36:37], v[34:35]
	v_add_f64 v[36:37], v[147:148], v[155:156]
	s_delay_alu instid0(VALU_DEP_4) | instskip(NEXT) | instid1(VALU_DEP_4)
	v_fma_f64 v[147:148], v[4:5], v[38:39], v[149:150]
	v_fma_f64 v[38:39], v[2:3], v[38:39], -v[40:41]
	ds_load_b128 v[2:5], v1 offset:928
	v_add_f64 v[40:41], v[34:35], v[143:144]
	v_add_f64 v[143:144], v[36:37], v[151:152]
	scratch_load_b128 v[34:37], off, off offset:48
	s_waitcnt vmcnt(7) lgkmcnt(1)
	v_mul_f64 v[145:146], v[6:7], v[141:142]
	v_mul_f64 v[141:142], v[8:9], v[141:142]
	v_add_f64 v[38:39], v[40:41], v[38:39]
	v_add_f64 v[40:41], v[143:144], v[147:148]
	s_delay_alu instid0(VALU_DEP_4) | instskip(NEXT) | instid1(VALU_DEP_4)
	v_fma_f64 v[145:146], v[8:9], v[139:140], v[145:146]
	v_fma_f64 v[139:140], v[6:7], v[139:140], -v[141:142]
	ds_load_b128 v[6:9], v1 offset:944
	s_waitcnt vmcnt(6) lgkmcnt(1)
	v_mul_f64 v[149:150], v[2:3], v[12:13]
	v_mul_f64 v[12:13], v[4:5], v[12:13]
	s_waitcnt vmcnt(5) lgkmcnt(0)
	v_mul_f64 v[141:142], v[6:7], v[16:17]
	v_mul_f64 v[16:17], v[8:9], v[16:17]
	s_delay_alu instid0(VALU_DEP_4) | instskip(NEXT) | instid1(VALU_DEP_4)
	v_fma_f64 v[143:144], v[4:5], v[10:11], v[149:150]
	v_fma_f64 v[10:11], v[2:3], v[10:11], -v[12:13]
	v_add_f64 v[12:13], v[38:39], v[139:140]
	v_add_f64 v[38:39], v[40:41], v[145:146]
	ds_load_b128 v[2:5], v1 offset:960
	v_fma_f64 v[139:140], v[8:9], v[14:15], v[141:142]
	v_fma_f64 v[14:15], v[6:7], v[14:15], -v[16:17]
	ds_load_b128 v[6:9], v1 offset:976
	s_waitcnt vmcnt(4) lgkmcnt(1)
	v_mul_f64 v[40:41], v[2:3], v[20:21]
	v_mul_f64 v[20:21], v[4:5], v[20:21]
	v_add_f64 v[10:11], v[12:13], v[10:11]
	v_add_f64 v[12:13], v[38:39], v[143:144]
	s_waitcnt vmcnt(3) lgkmcnt(0)
	v_mul_f64 v[16:17], v[6:7], v[24:25]
	v_mul_f64 v[24:25], v[8:9], v[24:25]
	v_fma_f64 v[38:39], v[4:5], v[18:19], v[40:41]
	v_fma_f64 v[18:19], v[2:3], v[18:19], -v[20:21]
	ds_load_b128 v[2:5], v1 offset:992
	v_add_f64 v[10:11], v[10:11], v[14:15]
	v_add_f64 v[12:13], v[12:13], v[139:140]
	v_fma_f64 v[16:17], v[8:9], v[22:23], v[16:17]
	v_fma_f64 v[22:23], v[6:7], v[22:23], -v[24:25]
	ds_load_b128 v[6:9], v1 offset:1008
	s_waitcnt vmcnt(2) lgkmcnt(1)
	v_mul_f64 v[14:15], v[2:3], v[28:29]
	v_mul_f64 v[20:21], v[4:5], v[28:29]
	s_waitcnt vmcnt(1) lgkmcnt(0)
	v_mul_f64 v[24:25], v[8:9], v[32:33]
	v_add_f64 v[10:11], v[10:11], v[18:19]
	v_add_f64 v[12:13], v[12:13], v[38:39]
	v_mul_f64 v[18:19], v[6:7], v[32:33]
	v_fma_f64 v[4:5], v[4:5], v[26:27], v[14:15]
	v_fma_f64 v[1:2], v[2:3], v[26:27], -v[20:21]
	v_fma_f64 v[6:7], v[6:7], v[30:31], -v[24:25]
	v_add_f64 v[10:11], v[10:11], v[22:23]
	v_add_f64 v[12:13], v[12:13], v[16:17]
	v_fma_f64 v[8:9], v[8:9], v[30:31], v[18:19]
	s_delay_alu instid0(VALU_DEP_3) | instskip(NEXT) | instid1(VALU_DEP_3)
	v_add_f64 v[1:2], v[10:11], v[1:2]
	v_add_f64 v[3:4], v[12:13], v[4:5]
	s_delay_alu instid0(VALU_DEP_2) | instskip(NEXT) | instid1(VALU_DEP_2)
	v_add_f64 v[1:2], v[1:2], v[6:7]
	v_add_f64 v[3:4], v[3:4], v[8:9]
	s_waitcnt vmcnt(0)
	s_delay_alu instid0(VALU_DEP_2) | instskip(NEXT) | instid1(VALU_DEP_2)
	v_add_f64 v[1:2], v[34:35], -v[1:2]
	v_add_f64 v[3:4], v[36:37], -v[3:4]
	scratch_store_b128 off, v[1:4], off offset:48
	v_cmpx_lt_u32_e32 2, v106
	s_cbranch_execz .LBB95_201
; %bb.200:
	scratch_load_b128 v[1:4], v108, off
	v_mov_b32_e32 v5, 0
	s_delay_alu instid0(VALU_DEP_1)
	v_mov_b32_e32 v6, v5
	v_mov_b32_e32 v7, v5
	;; [unrolled: 1-line block ×3, first 2 shown]
	scratch_store_b128 off, v[5:8], off offset:32
	s_waitcnt vmcnt(0)
	ds_store_b128 v138, v[1:4]
.LBB95_201:
	s_or_b32 exec_lo, exec_lo, s2
	s_waitcnt lgkmcnt(0)
	s_waitcnt_vscnt null, 0x0
	s_barrier
	buffer_gl0_inv
	s_clause 0x7
	scratch_load_b128 v[2:5], off, off offset:48
	scratch_load_b128 v[6:9], off, off offset:64
	;; [unrolled: 1-line block ×8, first 2 shown]
	v_mov_b32_e32 v1, 0
	s_clause 0x1
	scratch_load_b128 v[34:37], off, off offset:176
	scratch_load_b128 v[143:146], off, off offset:192
	s_mov_b32 s2, exec_lo
	ds_load_b128 v[38:41], v1 offset:560
	ds_load_b128 v[139:142], v1 offset:576
	s_waitcnt vmcnt(9) lgkmcnt(1)
	v_mul_f64 v[147:148], v[40:41], v[4:5]
	v_mul_f64 v[4:5], v[38:39], v[4:5]
	s_waitcnt vmcnt(8) lgkmcnt(0)
	v_mul_f64 v[149:150], v[139:140], v[8:9]
	v_mul_f64 v[8:9], v[141:142], v[8:9]
	s_delay_alu instid0(VALU_DEP_4) | instskip(NEXT) | instid1(VALU_DEP_4)
	v_fma_f64 v[147:148], v[38:39], v[2:3], -v[147:148]
	v_fma_f64 v[151:152], v[40:41], v[2:3], v[4:5]
	ds_load_b128 v[2:5], v1 offset:592
	scratch_load_b128 v[38:41], off, off offset:208
	v_fma_f64 v[149:150], v[141:142], v[6:7], v[149:150]
	v_fma_f64 v[155:156], v[139:140], v[6:7], -v[8:9]
	scratch_load_b128 v[139:142], off, off offset:224
	ds_load_b128 v[6:9], v1 offset:608
	s_waitcnt vmcnt(9) lgkmcnt(1)
	v_mul_f64 v[153:154], v[2:3], v[12:13]
	v_mul_f64 v[12:13], v[4:5], v[12:13]
	s_waitcnt vmcnt(8) lgkmcnt(0)
	v_mul_f64 v[157:158], v[6:7], v[16:17]
	v_mul_f64 v[16:17], v[8:9], v[16:17]
	v_add_f64 v[147:148], v[147:148], 0
	v_add_f64 v[151:152], v[151:152], 0
	v_fma_f64 v[153:154], v[4:5], v[10:11], v[153:154]
	v_fma_f64 v[159:160], v[2:3], v[10:11], -v[12:13]
	ds_load_b128 v[2:5], v1 offset:624
	scratch_load_b128 v[10:13], off, off offset:240
	v_add_f64 v[147:148], v[147:148], v[155:156]
	v_add_f64 v[149:150], v[151:152], v[149:150]
	v_fma_f64 v[155:156], v[8:9], v[14:15], v[157:158]
	v_fma_f64 v[157:158], v[6:7], v[14:15], -v[16:17]
	scratch_load_b128 v[14:17], off, off offset:256
	ds_load_b128 v[6:9], v1 offset:640
	s_waitcnt vmcnt(9) lgkmcnt(1)
	v_mul_f64 v[151:152], v[2:3], v[20:21]
	v_mul_f64 v[20:21], v[4:5], v[20:21]
	v_add_f64 v[147:148], v[147:148], v[159:160]
	v_add_f64 v[149:150], v[149:150], v[153:154]
	s_waitcnt vmcnt(8) lgkmcnt(0)
	v_mul_f64 v[153:154], v[6:7], v[24:25]
	v_mul_f64 v[24:25], v[8:9], v[24:25]
	v_fma_f64 v[151:152], v[4:5], v[18:19], v[151:152]
	v_fma_f64 v[159:160], v[2:3], v[18:19], -v[20:21]
	ds_load_b128 v[2:5], v1 offset:656
	scratch_load_b128 v[18:21], off, off offset:272
	v_add_f64 v[147:148], v[147:148], v[157:158]
	v_add_f64 v[149:150], v[149:150], v[155:156]
	v_fma_f64 v[153:154], v[8:9], v[22:23], v[153:154]
	v_fma_f64 v[157:158], v[6:7], v[22:23], -v[24:25]
	scratch_load_b128 v[22:25], off, off offset:288
	ds_load_b128 v[6:9], v1 offset:672
	s_waitcnt vmcnt(9) lgkmcnt(1)
	v_mul_f64 v[155:156], v[2:3], v[28:29]
	v_mul_f64 v[28:29], v[4:5], v[28:29]
	v_add_f64 v[147:148], v[147:148], v[159:160]
	v_add_f64 v[149:150], v[149:150], v[151:152]
	s_waitcnt vmcnt(8) lgkmcnt(0)
	v_mul_f64 v[151:152], v[6:7], v[32:33]
	v_mul_f64 v[32:33], v[8:9], v[32:33]
	;; [unrolled: 18-line block ×5, first 2 shown]
	v_fma_f64 v[155:156], v[4:5], v[10:11], v[155:156]
	v_fma_f64 v[159:160], v[2:3], v[10:11], -v[12:13]
	ds_load_b128 v[2:5], v1 offset:784
	scratch_load_b128 v[10:13], off, off offset:400
	v_add_f64 v[147:148], v[147:148], v[157:158]
	v_add_f64 v[149:150], v[149:150], v[153:154]
	v_fma_f64 v[151:152], v[8:9], v[14:15], v[151:152]
	v_fma_f64 v[157:158], v[6:7], v[14:15], -v[16:17]
	ds_load_b128 v[6:9], v1 offset:800
	s_waitcnt vmcnt(8) lgkmcnt(1)
	v_mul_f64 v[153:154], v[2:3], v[20:21]
	v_mul_f64 v[20:21], v[4:5], v[20:21]
	scratch_load_b128 v[14:17], off, off offset:416
	v_add_f64 v[147:148], v[147:148], v[159:160]
	v_add_f64 v[149:150], v[149:150], v[155:156]
	s_waitcnt vmcnt(8) lgkmcnt(0)
	v_mul_f64 v[155:156], v[6:7], v[24:25]
	v_mul_f64 v[24:25], v[8:9], v[24:25]
	v_fma_f64 v[153:154], v[4:5], v[18:19], v[153:154]
	v_fma_f64 v[159:160], v[2:3], v[18:19], -v[20:21]
	scratch_load_b128 v[18:21], off, off offset:432
	ds_load_b128 v[2:5], v1 offset:816
	v_add_f64 v[147:148], v[147:148], v[157:158]
	v_add_f64 v[149:150], v[149:150], v[151:152]
	v_fma_f64 v[155:156], v[8:9], v[22:23], v[155:156]
	v_fma_f64 v[157:158], v[6:7], v[22:23], -v[24:25]
	ds_load_b128 v[6:9], v1 offset:832
	s_waitcnt vmcnt(8) lgkmcnt(1)
	v_mul_f64 v[151:152], v[2:3], v[28:29]
	v_mul_f64 v[28:29], v[4:5], v[28:29]
	scratch_load_b128 v[22:25], off, off offset:448
	v_add_f64 v[147:148], v[147:148], v[159:160]
	v_add_f64 v[149:150], v[149:150], v[153:154]
	s_waitcnt vmcnt(8) lgkmcnt(0)
	v_mul_f64 v[153:154], v[6:7], v[32:33]
	v_mul_f64 v[32:33], v[8:9], v[32:33]
	v_fma_f64 v[151:152], v[4:5], v[26:27], v[151:152]
	v_fma_f64 v[159:160], v[2:3], v[26:27], -v[28:29]
	scratch_load_b128 v[26:29], off, off offset:464
	ds_load_b128 v[2:5], v1 offset:848
	;; [unrolled: 18-line block ×3, first 2 shown]
	v_add_f64 v[147:148], v[147:148], v[157:158]
	v_add_f64 v[149:150], v[149:150], v[153:154]
	v_fma_f64 v[151:152], v[8:9], v[143:144], v[151:152]
	v_fma_f64 v[143:144], v[6:7], v[143:144], -v[145:146]
	ds_load_b128 v[6:9], v1 offset:896
	s_waitcnt vmcnt(8) lgkmcnt(1)
	v_mul_f64 v[153:154], v[2:3], v[40:41]
	v_mul_f64 v[40:41], v[4:5], v[40:41]
	v_add_f64 v[145:146], v[147:148], v[159:160]
	v_add_f64 v[147:148], v[149:150], v[155:156]
	s_waitcnt vmcnt(7) lgkmcnt(0)
	v_mul_f64 v[149:150], v[6:7], v[141:142]
	v_mul_f64 v[141:142], v[8:9], v[141:142]
	v_fma_f64 v[153:154], v[4:5], v[38:39], v[153:154]
	v_fma_f64 v[38:39], v[2:3], v[38:39], -v[40:41]
	ds_load_b128 v[2:5], v1 offset:912
	v_add_f64 v[40:41], v[145:146], v[143:144]
	v_add_f64 v[143:144], v[147:148], v[151:152]
	v_fma_f64 v[147:148], v[8:9], v[139:140], v[149:150]
	v_fma_f64 v[139:140], v[6:7], v[139:140], -v[141:142]
	ds_load_b128 v[6:9], v1 offset:928
	s_waitcnt vmcnt(5) lgkmcnt(0)
	v_mul_f64 v[149:150], v[6:7], v[16:17]
	v_mul_f64 v[16:17], v[8:9], v[16:17]
	v_add_f64 v[141:142], v[40:41], v[38:39]
	v_add_f64 v[143:144], v[143:144], v[153:154]
	scratch_load_b128 v[38:41], off, off offset:32
	v_mul_f64 v[145:146], v[2:3], v[12:13]
	v_mul_f64 v[12:13], v[4:5], v[12:13]
	s_delay_alu instid0(VALU_DEP_2) | instskip(NEXT) | instid1(VALU_DEP_2)
	v_fma_f64 v[145:146], v[4:5], v[10:11], v[145:146]
	v_fma_f64 v[10:11], v[2:3], v[10:11], -v[12:13]
	v_add_f64 v[12:13], v[141:142], v[139:140]
	v_add_f64 v[139:140], v[143:144], v[147:148]
	ds_load_b128 v[2:5], v1 offset:944
	v_fma_f64 v[143:144], v[8:9], v[14:15], v[149:150]
	v_fma_f64 v[14:15], v[6:7], v[14:15], -v[16:17]
	ds_load_b128 v[6:9], v1 offset:960
	s_waitcnt vmcnt(5) lgkmcnt(1)
	v_mul_f64 v[141:142], v[2:3], v[20:21]
	v_mul_f64 v[20:21], v[4:5], v[20:21]
	s_waitcnt vmcnt(4) lgkmcnt(0)
	v_mul_f64 v[16:17], v[6:7], v[24:25]
	v_mul_f64 v[24:25], v[8:9], v[24:25]
	v_add_f64 v[10:11], v[12:13], v[10:11]
	v_add_f64 v[12:13], v[139:140], v[145:146]
	v_fma_f64 v[139:140], v[4:5], v[18:19], v[141:142]
	v_fma_f64 v[18:19], v[2:3], v[18:19], -v[20:21]
	ds_load_b128 v[2:5], v1 offset:976
	v_fma_f64 v[16:17], v[8:9], v[22:23], v[16:17]
	v_fma_f64 v[22:23], v[6:7], v[22:23], -v[24:25]
	ds_load_b128 v[6:9], v1 offset:992
	v_add_f64 v[10:11], v[10:11], v[14:15]
	v_add_f64 v[12:13], v[12:13], v[143:144]
	s_waitcnt vmcnt(3) lgkmcnt(1)
	v_mul_f64 v[14:15], v[2:3], v[28:29]
	v_mul_f64 v[20:21], v[4:5], v[28:29]
	s_waitcnt vmcnt(2) lgkmcnt(0)
	v_mul_f64 v[24:25], v[8:9], v[32:33]
	v_add_f64 v[10:11], v[10:11], v[18:19]
	v_add_f64 v[12:13], v[12:13], v[139:140]
	v_mul_f64 v[18:19], v[6:7], v[32:33]
	v_fma_f64 v[14:15], v[4:5], v[26:27], v[14:15]
	v_fma_f64 v[20:21], v[2:3], v[26:27], -v[20:21]
	ds_load_b128 v[2:5], v1 offset:1008
	v_fma_f64 v[6:7], v[6:7], v[30:31], -v[24:25]
	v_add_f64 v[10:11], v[10:11], v[22:23]
	v_add_f64 v[12:13], v[12:13], v[16:17]
	s_waitcnt vmcnt(1) lgkmcnt(0)
	v_mul_f64 v[16:17], v[2:3], v[36:37]
	v_mul_f64 v[22:23], v[4:5], v[36:37]
	v_fma_f64 v[8:9], v[8:9], v[30:31], v[18:19]
	v_add_f64 v[10:11], v[10:11], v[20:21]
	v_add_f64 v[12:13], v[12:13], v[14:15]
	v_fma_f64 v[4:5], v[4:5], v[34:35], v[16:17]
	v_fma_f64 v[2:3], v[2:3], v[34:35], -v[22:23]
	s_delay_alu instid0(VALU_DEP_4) | instskip(NEXT) | instid1(VALU_DEP_4)
	v_add_f64 v[6:7], v[10:11], v[6:7]
	v_add_f64 v[8:9], v[12:13], v[8:9]
	s_delay_alu instid0(VALU_DEP_2) | instskip(NEXT) | instid1(VALU_DEP_2)
	v_add_f64 v[2:3], v[6:7], v[2:3]
	v_add_f64 v[4:5], v[8:9], v[4:5]
	s_waitcnt vmcnt(0)
	s_delay_alu instid0(VALU_DEP_2) | instskip(NEXT) | instid1(VALU_DEP_2)
	v_add_f64 v[2:3], v[38:39], -v[2:3]
	v_add_f64 v[4:5], v[40:41], -v[4:5]
	scratch_store_b128 off, v[2:5], off offset:32
	v_cmpx_lt_u32_e32 1, v106
	s_cbranch_execz .LBB95_203
; %bb.202:
	scratch_load_b128 v[5:8], v110, off
	v_mov_b32_e32 v2, v1
	v_mov_b32_e32 v3, v1
	;; [unrolled: 1-line block ×3, first 2 shown]
	scratch_store_b128 off, v[1:4], off offset:16
	s_waitcnt vmcnt(0)
	ds_store_b128 v138, v[5:8]
.LBB95_203:
	s_or_b32 exec_lo, exec_lo, s2
	s_waitcnt lgkmcnt(0)
	s_waitcnt_vscnt null, 0x0
	s_barrier
	buffer_gl0_inv
	s_clause 0x7
	scratch_load_b128 v[2:5], off, off offset:32
	scratch_load_b128 v[6:9], off, off offset:48
	;; [unrolled: 1-line block ×8, first 2 shown]
	ds_load_b128 v[38:41], v1 offset:544
	ds_load_b128 v[139:142], v1 offset:560
	s_clause 0x1
	scratch_load_b128 v[34:37], off, off offset:160
	scratch_load_b128 v[143:146], off, off offset:176
	s_mov_b32 s2, exec_lo
	s_waitcnt vmcnt(9) lgkmcnt(1)
	v_mul_f64 v[147:148], v[40:41], v[4:5]
	v_mul_f64 v[4:5], v[38:39], v[4:5]
	s_waitcnt vmcnt(8) lgkmcnt(0)
	v_mul_f64 v[149:150], v[139:140], v[8:9]
	v_mul_f64 v[8:9], v[141:142], v[8:9]
	s_delay_alu instid0(VALU_DEP_4) | instskip(NEXT) | instid1(VALU_DEP_4)
	v_fma_f64 v[147:148], v[38:39], v[2:3], -v[147:148]
	v_fma_f64 v[151:152], v[40:41], v[2:3], v[4:5]
	ds_load_b128 v[2:5], v1 offset:576
	scratch_load_b128 v[38:41], off, off offset:192
	v_fma_f64 v[149:150], v[141:142], v[6:7], v[149:150]
	v_fma_f64 v[155:156], v[139:140], v[6:7], -v[8:9]
	scratch_load_b128 v[139:142], off, off offset:208
	ds_load_b128 v[6:9], v1 offset:592
	s_waitcnt vmcnt(9) lgkmcnt(1)
	v_mul_f64 v[153:154], v[2:3], v[12:13]
	v_mul_f64 v[12:13], v[4:5], v[12:13]
	s_waitcnt vmcnt(8) lgkmcnt(0)
	v_mul_f64 v[157:158], v[6:7], v[16:17]
	v_mul_f64 v[16:17], v[8:9], v[16:17]
	v_add_f64 v[147:148], v[147:148], 0
	v_add_f64 v[151:152], v[151:152], 0
	v_fma_f64 v[153:154], v[4:5], v[10:11], v[153:154]
	v_fma_f64 v[159:160], v[2:3], v[10:11], -v[12:13]
	scratch_load_b128 v[10:13], off, off offset:224
	ds_load_b128 v[2:5], v1 offset:608
	v_add_f64 v[147:148], v[147:148], v[155:156]
	v_add_f64 v[149:150], v[151:152], v[149:150]
	v_fma_f64 v[155:156], v[8:9], v[14:15], v[157:158]
	v_fma_f64 v[157:158], v[6:7], v[14:15], -v[16:17]
	ds_load_b128 v[6:9], v1 offset:624
	scratch_load_b128 v[14:17], off, off offset:240
	s_waitcnt vmcnt(9) lgkmcnt(1)
	v_mul_f64 v[151:152], v[2:3], v[20:21]
	v_mul_f64 v[20:21], v[4:5], v[20:21]
	v_add_f64 v[147:148], v[147:148], v[159:160]
	v_add_f64 v[149:150], v[149:150], v[153:154]
	s_waitcnt vmcnt(8) lgkmcnt(0)
	v_mul_f64 v[153:154], v[6:7], v[24:25]
	v_mul_f64 v[24:25], v[8:9], v[24:25]
	v_fma_f64 v[151:152], v[4:5], v[18:19], v[151:152]
	v_fma_f64 v[159:160], v[2:3], v[18:19], -v[20:21]
	ds_load_b128 v[2:5], v1 offset:640
	scratch_load_b128 v[18:21], off, off offset:256
	v_add_f64 v[147:148], v[147:148], v[157:158]
	v_add_f64 v[149:150], v[149:150], v[155:156]
	v_fma_f64 v[153:154], v[8:9], v[22:23], v[153:154]
	v_fma_f64 v[157:158], v[6:7], v[22:23], -v[24:25]
	scratch_load_b128 v[22:25], off, off offset:272
	ds_load_b128 v[6:9], v1 offset:656
	s_waitcnt vmcnt(9) lgkmcnt(1)
	v_mul_f64 v[155:156], v[2:3], v[28:29]
	v_mul_f64 v[28:29], v[4:5], v[28:29]
	v_add_f64 v[147:148], v[147:148], v[159:160]
	v_add_f64 v[149:150], v[149:150], v[151:152]
	s_waitcnt vmcnt(8) lgkmcnt(0)
	v_mul_f64 v[151:152], v[6:7], v[32:33]
	v_mul_f64 v[32:33], v[8:9], v[32:33]
	v_fma_f64 v[155:156], v[4:5], v[26:27], v[155:156]
	v_fma_f64 v[159:160], v[2:3], v[26:27], -v[28:29]
	ds_load_b128 v[2:5], v1 offset:672
	scratch_load_b128 v[26:29], off, off offset:288
	v_add_f64 v[147:148], v[147:148], v[157:158]
	v_add_f64 v[149:150], v[149:150], v[153:154]
	v_fma_f64 v[151:152], v[8:9], v[30:31], v[151:152]
	v_fma_f64 v[157:158], v[6:7], v[30:31], -v[32:33]
	scratch_load_b128 v[30:33], off, off offset:304
	ds_load_b128 v[6:9], v1 offset:688
	;; [unrolled: 18-line block ×3, first 2 shown]
	s_waitcnt vmcnt(9) lgkmcnt(1)
	v_mul_f64 v[151:152], v[2:3], v[40:41]
	v_mul_f64 v[40:41], v[4:5], v[40:41]
	v_add_f64 v[147:148], v[147:148], v[159:160]
	v_add_f64 v[149:150], v[149:150], v[153:154]
	s_waitcnt vmcnt(8) lgkmcnt(0)
	v_mul_f64 v[153:154], v[6:7], v[141:142]
	v_mul_f64 v[141:142], v[8:9], v[141:142]
	v_fma_f64 v[151:152], v[4:5], v[38:39], v[151:152]
	v_fma_f64 v[159:160], v[2:3], v[38:39], -v[40:41]
	ds_load_b128 v[2:5], v1 offset:736
	scratch_load_b128 v[38:41], off, off offset:352
	v_add_f64 v[147:148], v[147:148], v[157:158]
	v_add_f64 v[149:150], v[149:150], v[155:156]
	v_fma_f64 v[153:154], v[8:9], v[139:140], v[153:154]
	v_fma_f64 v[157:158], v[6:7], v[139:140], -v[141:142]
	ds_load_b128 v[6:9], v1 offset:752
	s_waitcnt vmcnt(8) lgkmcnt(1)
	v_mul_f64 v[155:156], v[2:3], v[12:13]
	v_mul_f64 v[12:13], v[4:5], v[12:13]
	scratch_load_b128 v[139:142], off, off offset:368
	v_add_f64 v[147:148], v[147:148], v[159:160]
	v_add_f64 v[149:150], v[149:150], v[151:152]
	s_waitcnt vmcnt(8) lgkmcnt(0)
	v_mul_f64 v[151:152], v[6:7], v[16:17]
	v_mul_f64 v[16:17], v[8:9], v[16:17]
	v_fma_f64 v[155:156], v[4:5], v[10:11], v[155:156]
	v_fma_f64 v[159:160], v[2:3], v[10:11], -v[12:13]
	scratch_load_b128 v[10:13], off, off offset:384
	ds_load_b128 v[2:5], v1 offset:768
	v_add_f64 v[147:148], v[147:148], v[157:158]
	v_add_f64 v[149:150], v[149:150], v[153:154]
	v_fma_f64 v[151:152], v[8:9], v[14:15], v[151:152]
	v_fma_f64 v[157:158], v[6:7], v[14:15], -v[16:17]
	ds_load_b128 v[6:9], v1 offset:784
	s_waitcnt vmcnt(8) lgkmcnt(1)
	v_mul_f64 v[153:154], v[2:3], v[20:21]
	v_mul_f64 v[20:21], v[4:5], v[20:21]
	scratch_load_b128 v[14:17], off, off offset:400
	v_add_f64 v[147:148], v[147:148], v[159:160]
	v_add_f64 v[149:150], v[149:150], v[155:156]
	s_waitcnt vmcnt(8) lgkmcnt(0)
	v_mul_f64 v[155:156], v[6:7], v[24:25]
	v_mul_f64 v[24:25], v[8:9], v[24:25]
	v_fma_f64 v[153:154], v[4:5], v[18:19], v[153:154]
	v_fma_f64 v[159:160], v[2:3], v[18:19], -v[20:21]
	scratch_load_b128 v[18:21], off, off offset:416
	ds_load_b128 v[2:5], v1 offset:800
	;; [unrolled: 18-line block ×4, first 2 shown]
	v_add_f64 v[147:148], v[147:148], v[157:158]
	v_add_f64 v[149:150], v[149:150], v[153:154]
	v_fma_f64 v[151:152], v[8:9], v[143:144], v[151:152]
	v_fma_f64 v[157:158], v[6:7], v[143:144], -v[145:146]
	ds_load_b128 v[6:9], v1 offset:880
	s_waitcnt vmcnt(8) lgkmcnt(1)
	v_mul_f64 v[153:154], v[2:3], v[40:41]
	v_mul_f64 v[40:41], v[4:5], v[40:41]
	scratch_load_b128 v[143:146], off, off offset:496
	v_add_f64 v[147:148], v[147:148], v[159:160]
	v_add_f64 v[149:150], v[149:150], v[155:156]
	v_fma_f64 v[153:154], v[4:5], v[38:39], v[153:154]
	v_fma_f64 v[38:39], v[2:3], v[38:39], -v[40:41]
	ds_load_b128 v[2:5], v1 offset:896
	v_add_f64 v[40:41], v[147:148], v[157:158]
	v_add_f64 v[147:148], v[149:150], v[151:152]
	s_waitcnt vmcnt(7) lgkmcnt(0)
	v_mul_f64 v[149:150], v[2:3], v[12:13]
	v_mul_f64 v[12:13], v[4:5], v[12:13]
	s_delay_alu instid0(VALU_DEP_4) | instskip(NEXT) | instid1(VALU_DEP_4)
	v_add_f64 v[38:39], v[40:41], v[38:39]
	v_add_f64 v[40:41], v[147:148], v[153:154]
	s_delay_alu instid0(VALU_DEP_4) | instskip(NEXT) | instid1(VALU_DEP_4)
	v_fma_f64 v[147:148], v[4:5], v[10:11], v[149:150]
	v_fma_f64 v[149:150], v[2:3], v[10:11], -v[12:13]
	scratch_load_b128 v[10:13], off, off offset:16
	v_mul_f64 v[155:156], v[6:7], v[141:142]
	v_mul_f64 v[141:142], v[8:9], v[141:142]
	ds_load_b128 v[2:5], v1 offset:928
	v_fma_f64 v[151:152], v[8:9], v[139:140], v[155:156]
	v_fma_f64 v[139:140], v[6:7], v[139:140], -v[141:142]
	ds_load_b128 v[6:9], v1 offset:912
	s_waitcnt vmcnt(7) lgkmcnt(0)
	v_mul_f64 v[141:142], v[6:7], v[16:17]
	v_mul_f64 v[16:17], v[8:9], v[16:17]
	v_add_f64 v[40:41], v[40:41], v[151:152]
	v_add_f64 v[38:39], v[38:39], v[139:140]
	s_waitcnt vmcnt(6)
	v_mul_f64 v[139:140], v[2:3], v[20:21]
	v_mul_f64 v[20:21], v[4:5], v[20:21]
	v_fma_f64 v[141:142], v[8:9], v[14:15], v[141:142]
	v_fma_f64 v[14:15], v[6:7], v[14:15], -v[16:17]
	ds_load_b128 v[6:9], v1 offset:944
	v_add_f64 v[16:17], v[38:39], v[149:150]
	v_add_f64 v[38:39], v[40:41], v[147:148]
	v_fma_f64 v[139:140], v[4:5], v[18:19], v[139:140]
	v_fma_f64 v[18:19], v[2:3], v[18:19], -v[20:21]
	ds_load_b128 v[2:5], v1 offset:960
	s_waitcnt vmcnt(5) lgkmcnt(1)
	v_mul_f64 v[40:41], v[6:7], v[24:25]
	v_mul_f64 v[24:25], v[8:9], v[24:25]
	s_waitcnt vmcnt(4) lgkmcnt(0)
	v_mul_f64 v[20:21], v[2:3], v[28:29]
	v_mul_f64 v[28:29], v[4:5], v[28:29]
	v_add_f64 v[14:15], v[16:17], v[14:15]
	v_add_f64 v[16:17], v[38:39], v[141:142]
	v_fma_f64 v[38:39], v[8:9], v[22:23], v[40:41]
	v_fma_f64 v[22:23], v[6:7], v[22:23], -v[24:25]
	ds_load_b128 v[6:9], v1 offset:976
	v_fma_f64 v[20:21], v[4:5], v[26:27], v[20:21]
	v_fma_f64 v[26:27], v[2:3], v[26:27], -v[28:29]
	ds_load_b128 v[2:5], v1 offset:992
	s_waitcnt vmcnt(3) lgkmcnt(1)
	v_mul_f64 v[24:25], v[8:9], v[32:33]
	v_add_f64 v[14:15], v[14:15], v[18:19]
	v_add_f64 v[16:17], v[16:17], v[139:140]
	v_mul_f64 v[18:19], v[6:7], v[32:33]
	s_waitcnt vmcnt(2) lgkmcnt(0)
	v_mul_f64 v[28:29], v[4:5], v[36:37]
	v_fma_f64 v[24:25], v[6:7], v[30:31], -v[24:25]
	v_add_f64 v[14:15], v[14:15], v[22:23]
	v_add_f64 v[16:17], v[16:17], v[38:39]
	v_mul_f64 v[22:23], v[2:3], v[36:37]
	v_fma_f64 v[18:19], v[8:9], v[30:31], v[18:19]
	ds_load_b128 v[6:9], v1 offset:1008
	v_fma_f64 v[1:2], v[2:3], v[34:35], -v[28:29]
	v_add_f64 v[14:15], v[14:15], v[26:27]
	v_add_f64 v[16:17], v[16:17], v[20:21]
	s_waitcnt vmcnt(1) lgkmcnt(0)
	v_mul_f64 v[20:21], v[6:7], v[145:146]
	v_mul_f64 v[26:27], v[8:9], v[145:146]
	v_fma_f64 v[4:5], v[4:5], v[34:35], v[22:23]
	v_add_f64 v[14:15], v[14:15], v[24:25]
	v_add_f64 v[16:17], v[16:17], v[18:19]
	v_fma_f64 v[8:9], v[8:9], v[143:144], v[20:21]
	v_fma_f64 v[6:7], v[6:7], v[143:144], -v[26:27]
	s_delay_alu instid0(VALU_DEP_4) | instskip(NEXT) | instid1(VALU_DEP_4)
	v_add_f64 v[1:2], v[14:15], v[1:2]
	v_add_f64 v[3:4], v[16:17], v[4:5]
	s_delay_alu instid0(VALU_DEP_2) | instskip(NEXT) | instid1(VALU_DEP_2)
	v_add_f64 v[1:2], v[1:2], v[6:7]
	v_add_f64 v[3:4], v[3:4], v[8:9]
	s_waitcnt vmcnt(0)
	s_delay_alu instid0(VALU_DEP_2) | instskip(NEXT) | instid1(VALU_DEP_2)
	v_add_f64 v[1:2], v[10:11], -v[1:2]
	v_add_f64 v[3:4], v[12:13], -v[3:4]
	scratch_store_b128 off, v[1:4], off offset:16
	v_cmpx_ne_u32_e32 0, v106
	s_cbranch_execz .LBB95_205
; %bb.204:
	scratch_load_b128 v[1:4], off, off
	v_mov_b32_e32 v5, 0
	s_delay_alu instid0(VALU_DEP_1)
	v_mov_b32_e32 v6, v5
	v_mov_b32_e32 v7, v5
	;; [unrolled: 1-line block ×3, first 2 shown]
	scratch_store_b128 off, v[5:8], off
	s_waitcnt vmcnt(0)
	ds_store_b128 v138, v[1:4]
.LBB95_205:
	s_or_b32 exec_lo, exec_lo, s2
	s_waitcnt lgkmcnt(0)
	s_waitcnt_vscnt null, 0x0
	s_barrier
	buffer_gl0_inv
	s_clause 0x7
	scratch_load_b128 v[1:4], off, off offset:16
	scratch_load_b128 v[5:8], off, off offset:32
	;; [unrolled: 1-line block ×8, first 2 shown]
	v_mov_b32_e32 v41, 0
	s_and_b32 vcc_lo, exec_lo, s14
	ds_load_b128 v[37:40], v41 offset:528
	s_clause 0x1
	scratch_load_b128 v[33:36], off, off offset:144
	scratch_load_b128 v[138:141], off, off
	ds_load_b128 v[142:145], v41 offset:544
	scratch_load_b128 v[146:149], off, off offset:160
	s_waitcnt vmcnt(10) lgkmcnt(1)
	v_mul_f64 v[150:151], v[39:40], v[3:4]
	v_mul_f64 v[3:4], v[37:38], v[3:4]
	s_delay_alu instid0(VALU_DEP_2) | instskip(NEXT) | instid1(VALU_DEP_2)
	v_fma_f64 v[156:157], v[37:38], v[1:2], -v[150:151]
	v_fma_f64 v[158:159], v[39:40], v[1:2], v[3:4]
	scratch_load_b128 v[37:40], off, off offset:176
	ds_load_b128 v[1:4], v41 offset:560
	s_waitcnt vmcnt(10) lgkmcnt(1)
	v_mul_f64 v[154:155], v[142:143], v[7:8]
	v_mul_f64 v[7:8], v[144:145], v[7:8]
	ds_load_b128 v[150:153], v41 offset:576
	s_waitcnt vmcnt(9) lgkmcnt(1)
	v_mul_f64 v[160:161], v[1:2], v[11:12]
	v_mul_f64 v[11:12], v[3:4], v[11:12]
	v_fma_f64 v[144:145], v[144:145], v[5:6], v[154:155]
	v_fma_f64 v[142:143], v[142:143], v[5:6], -v[7:8]
	v_add_f64 v[154:155], v[156:157], 0
	v_add_f64 v[156:157], v[158:159], 0
	scratch_load_b128 v[5:8], off, off offset:192
	v_fma_f64 v[160:161], v[3:4], v[9:10], v[160:161]
	v_fma_f64 v[162:163], v[1:2], v[9:10], -v[11:12]
	scratch_load_b128 v[9:12], off, off offset:208
	ds_load_b128 v[1:4], v41 offset:592
	s_waitcnt vmcnt(10) lgkmcnt(1)
	v_mul_f64 v[158:159], v[150:151], v[15:16]
	v_mul_f64 v[15:16], v[152:153], v[15:16]
	v_add_f64 v[154:155], v[154:155], v[142:143]
	v_add_f64 v[156:157], v[156:157], v[144:145]
	s_waitcnt vmcnt(9) lgkmcnt(0)
	v_mul_f64 v[164:165], v[1:2], v[19:20]
	v_mul_f64 v[19:20], v[3:4], v[19:20]
	ds_load_b128 v[142:145], v41 offset:608
	v_fma_f64 v[152:153], v[152:153], v[13:14], v[158:159]
	v_fma_f64 v[150:151], v[150:151], v[13:14], -v[15:16]
	scratch_load_b128 v[13:16], off, off offset:224
	v_add_f64 v[154:155], v[154:155], v[162:163]
	v_add_f64 v[156:157], v[156:157], v[160:161]
	v_fma_f64 v[160:161], v[3:4], v[17:18], v[164:165]
	v_fma_f64 v[162:163], v[1:2], v[17:18], -v[19:20]
	scratch_load_b128 v[17:20], off, off offset:240
	ds_load_b128 v[1:4], v41 offset:624
	s_waitcnt vmcnt(10) lgkmcnt(1)
	v_mul_f64 v[158:159], v[142:143], v[23:24]
	v_mul_f64 v[23:24], v[144:145], v[23:24]
	s_waitcnt vmcnt(9) lgkmcnt(0)
	v_mul_f64 v[164:165], v[1:2], v[27:28]
	v_mul_f64 v[27:28], v[3:4], v[27:28]
	v_add_f64 v[154:155], v[154:155], v[150:151]
	v_add_f64 v[156:157], v[156:157], v[152:153]
	ds_load_b128 v[150:153], v41 offset:640
	v_fma_f64 v[144:145], v[144:145], v[21:22], v[158:159]
	v_fma_f64 v[142:143], v[142:143], v[21:22], -v[23:24]
	scratch_load_b128 v[21:24], off, off offset:256
	v_add_f64 v[154:155], v[154:155], v[162:163]
	v_add_f64 v[156:157], v[156:157], v[160:161]
	v_fma_f64 v[160:161], v[3:4], v[25:26], v[164:165]
	v_fma_f64 v[162:163], v[1:2], v[25:26], -v[27:28]
	scratch_load_b128 v[25:28], off, off offset:272
	ds_load_b128 v[1:4], v41 offset:656
	s_waitcnt vmcnt(10) lgkmcnt(1)
	v_mul_f64 v[158:159], v[150:151], v[31:32]
	v_mul_f64 v[31:32], v[152:153], v[31:32]
	s_waitcnt vmcnt(9) lgkmcnt(0)
	v_mul_f64 v[164:165], v[1:2], v[35:36]
	v_mul_f64 v[35:36], v[3:4], v[35:36]
	v_add_f64 v[154:155], v[154:155], v[142:143]
	v_add_f64 v[156:157], v[156:157], v[144:145]
	ds_load_b128 v[142:145], v41 offset:672
	v_fma_f64 v[152:153], v[152:153], v[29:30], v[158:159]
	v_fma_f64 v[150:151], v[150:151], v[29:30], -v[31:32]
	scratch_load_b128 v[29:32], off, off offset:288
	v_add_f64 v[154:155], v[154:155], v[162:163]
	v_add_f64 v[156:157], v[156:157], v[160:161]
	v_fma_f64 v[162:163], v[3:4], v[33:34], v[164:165]
	v_fma_f64 v[164:165], v[1:2], v[33:34], -v[35:36]
	scratch_load_b128 v[33:36], off, off offset:304
	ds_load_b128 v[1:4], v41 offset:688
	s_waitcnt vmcnt(9) lgkmcnt(1)
	v_mul_f64 v[158:159], v[142:143], v[148:149]
	v_mul_f64 v[160:161], v[144:145], v[148:149]
	v_add_f64 v[154:155], v[154:155], v[150:151]
	v_add_f64 v[152:153], v[156:157], v[152:153]
	ds_load_b128 v[148:151], v41 offset:704
	v_fma_f64 v[158:159], v[144:145], v[146:147], v[158:159]
	v_fma_f64 v[146:147], v[142:143], v[146:147], -v[160:161]
	scratch_load_b128 v[142:145], off, off offset:320
	s_waitcnt vmcnt(9) lgkmcnt(1)
	v_mul_f64 v[156:157], v[1:2], v[39:40]
	v_mul_f64 v[39:40], v[3:4], v[39:40]
	v_add_f64 v[154:155], v[154:155], v[164:165]
	v_add_f64 v[152:153], v[152:153], v[162:163]
	s_delay_alu instid0(VALU_DEP_4) | instskip(NEXT) | instid1(VALU_DEP_4)
	v_fma_f64 v[156:157], v[3:4], v[37:38], v[156:157]
	v_fma_f64 v[162:163], v[1:2], v[37:38], -v[39:40]
	scratch_load_b128 v[37:40], off, off offset:336
	ds_load_b128 v[1:4], v41 offset:720
	s_waitcnt vmcnt(9) lgkmcnt(1)
	v_mul_f64 v[160:161], v[148:149], v[7:8]
	v_mul_f64 v[7:8], v[150:151], v[7:8]
	s_waitcnt vmcnt(8) lgkmcnt(0)
	v_mul_f64 v[164:165], v[1:2], v[11:12]
	v_mul_f64 v[11:12], v[3:4], v[11:12]
	v_add_f64 v[146:147], v[154:155], v[146:147]
	v_add_f64 v[158:159], v[152:153], v[158:159]
	ds_load_b128 v[152:155], v41 offset:736
	v_fma_f64 v[150:151], v[150:151], v[5:6], v[160:161]
	v_fma_f64 v[148:149], v[148:149], v[5:6], -v[7:8]
	scratch_load_b128 v[5:8], off, off offset:352
	v_fma_f64 v[160:161], v[3:4], v[9:10], v[164:165]
	v_add_f64 v[146:147], v[146:147], v[162:163]
	v_add_f64 v[156:157], v[158:159], v[156:157]
	v_fma_f64 v[162:163], v[1:2], v[9:10], -v[11:12]
	scratch_load_b128 v[9:12], off, off offset:368
	ds_load_b128 v[1:4], v41 offset:752
	s_waitcnt vmcnt(9) lgkmcnt(1)
	v_mul_f64 v[158:159], v[152:153], v[15:16]
	v_mul_f64 v[15:16], v[154:155], v[15:16]
	v_add_f64 v[164:165], v[146:147], v[148:149]
	v_add_f64 v[150:151], v[156:157], v[150:151]
	s_waitcnt vmcnt(8) lgkmcnt(0)
	v_mul_f64 v[156:157], v[1:2], v[19:20]
	v_mul_f64 v[19:20], v[3:4], v[19:20]
	ds_load_b128 v[146:149], v41 offset:768
	v_fma_f64 v[154:155], v[154:155], v[13:14], v[158:159]
	v_fma_f64 v[152:153], v[152:153], v[13:14], -v[15:16]
	scratch_load_b128 v[13:16], off, off offset:384
	v_add_f64 v[158:159], v[164:165], v[162:163]
	v_add_f64 v[150:151], v[150:151], v[160:161]
	v_fma_f64 v[156:157], v[3:4], v[17:18], v[156:157]
	v_fma_f64 v[162:163], v[1:2], v[17:18], -v[19:20]
	scratch_load_b128 v[17:20], off, off offset:400
	ds_load_b128 v[1:4], v41 offset:784
	s_waitcnt vmcnt(9) lgkmcnt(1)
	v_mul_f64 v[160:161], v[146:147], v[23:24]
	v_mul_f64 v[23:24], v[148:149], v[23:24]
	s_waitcnt vmcnt(8) lgkmcnt(0)
	v_mul_f64 v[164:165], v[1:2], v[27:28]
	v_mul_f64 v[27:28], v[3:4], v[27:28]
	v_add_f64 v[158:159], v[158:159], v[152:153]
	v_add_f64 v[154:155], v[150:151], v[154:155]
	ds_load_b128 v[150:153], v41 offset:800
	v_fma_f64 v[148:149], v[148:149], v[21:22], v[160:161]
	v_fma_f64 v[146:147], v[146:147], v[21:22], -v[23:24]
	scratch_load_b128 v[21:24], off, off offset:416
	v_fma_f64 v[160:161], v[3:4], v[25:26], v[164:165]
	v_add_f64 v[158:159], v[158:159], v[162:163]
	v_add_f64 v[154:155], v[154:155], v[156:157]
	v_fma_f64 v[162:163], v[1:2], v[25:26], -v[27:28]
	scratch_load_b128 v[25:28], off, off offset:432
	ds_load_b128 v[1:4], v41 offset:816
	s_waitcnt vmcnt(9) lgkmcnt(1)
	v_mul_f64 v[156:157], v[150:151], v[31:32]
	v_mul_f64 v[31:32], v[152:153], v[31:32]
	s_waitcnt vmcnt(8) lgkmcnt(0)
	v_mul_f64 v[164:165], v[1:2], v[35:36]
	v_mul_f64 v[35:36], v[3:4], v[35:36]
	v_add_f64 v[158:159], v[158:159], v[146:147]
	v_add_f64 v[154:155], v[154:155], v[148:149]
	ds_load_b128 v[146:149], v41 offset:832
	v_fma_f64 v[152:153], v[152:153], v[29:30], v[156:157]
	v_fma_f64 v[150:151], v[150:151], v[29:30], -v[31:32]
	scratch_load_b128 v[29:32], off, off offset:448
	v_add_f64 v[156:157], v[158:159], v[162:163]
	v_add_f64 v[154:155], v[154:155], v[160:161]
	v_fma_f64 v[160:161], v[3:4], v[33:34], v[164:165]
	v_fma_f64 v[162:163], v[1:2], v[33:34], -v[35:36]
	scratch_load_b128 v[33:36], off, off offset:464
	ds_load_b128 v[1:4], v41 offset:848
	s_waitcnt vmcnt(9) lgkmcnt(1)
	v_mul_f64 v[158:159], v[146:147], v[144:145]
	v_mul_f64 v[144:145], v[148:149], v[144:145]
	s_waitcnt vmcnt(8) lgkmcnt(0)
	v_mul_f64 v[164:165], v[1:2], v[39:40]
	v_mul_f64 v[39:40], v[3:4], v[39:40]
	v_add_f64 v[156:157], v[156:157], v[150:151]
	v_add_f64 v[154:155], v[154:155], v[152:153]
	ds_load_b128 v[150:153], v41 offset:864
	v_fma_f64 v[148:149], v[148:149], v[142:143], v[158:159]
	v_fma_f64 v[146:147], v[146:147], v[142:143], -v[144:145]
	scratch_load_b128 v[142:145], off, off offset:480
	v_add_f64 v[156:157], v[156:157], v[162:163]
	v_add_f64 v[154:155], v[154:155], v[160:161]
	v_fma_f64 v[160:161], v[3:4], v[37:38], v[164:165]
	v_fma_f64 v[162:163], v[1:2], v[37:38], -v[39:40]
	scratch_load_b128 v[37:40], off, off offset:496
	ds_load_b128 v[1:4], v41 offset:880
	s_waitcnt vmcnt(9) lgkmcnt(1)
	v_mul_f64 v[158:159], v[150:151], v[7:8]
	v_mul_f64 v[7:8], v[152:153], v[7:8]
	s_waitcnt vmcnt(8) lgkmcnt(0)
	v_mul_f64 v[164:165], v[1:2], v[11:12]
	v_mul_f64 v[11:12], v[3:4], v[11:12]
	v_add_f64 v[156:157], v[156:157], v[146:147]
	v_add_f64 v[154:155], v[154:155], v[148:149]
	ds_load_b128 v[146:149], v41 offset:896
	v_fma_f64 v[152:153], v[152:153], v[5:6], v[158:159]
	v_fma_f64 v[5:6], v[150:151], v[5:6], -v[7:8]
	v_add_f64 v[7:8], v[156:157], v[162:163]
	v_add_f64 v[150:151], v[154:155], v[160:161]
	s_waitcnt vmcnt(7) lgkmcnt(0)
	v_mul_f64 v[154:155], v[146:147], v[15:16]
	v_mul_f64 v[15:16], v[148:149], v[15:16]
	v_fma_f64 v[156:157], v[3:4], v[9:10], v[164:165]
	v_fma_f64 v[9:10], v[1:2], v[9:10], -v[11:12]
	v_add_f64 v[11:12], v[7:8], v[5:6]
	v_add_f64 v[150:151], v[150:151], v[152:153]
	ds_load_b128 v[1:4], v41 offset:912
	ds_load_b128 v[5:8], v41 offset:928
	v_fma_f64 v[148:149], v[148:149], v[13:14], v[154:155]
	v_fma_f64 v[13:14], v[146:147], v[13:14], -v[15:16]
	s_waitcnt vmcnt(6) lgkmcnt(1)
	v_mul_f64 v[152:153], v[1:2], v[19:20]
	v_mul_f64 v[19:20], v[3:4], v[19:20]
	s_waitcnt vmcnt(5) lgkmcnt(0)
	v_mul_f64 v[15:16], v[5:6], v[23:24]
	v_mul_f64 v[23:24], v[7:8], v[23:24]
	v_add_f64 v[9:10], v[11:12], v[9:10]
	v_add_f64 v[11:12], v[150:151], v[156:157]
	v_fma_f64 v[146:147], v[3:4], v[17:18], v[152:153]
	v_fma_f64 v[17:18], v[1:2], v[17:18], -v[19:20]
	v_fma_f64 v[7:8], v[7:8], v[21:22], v[15:16]
	v_fma_f64 v[5:6], v[5:6], v[21:22], -v[23:24]
	v_add_f64 v[13:14], v[9:10], v[13:14]
	v_add_f64 v[19:20], v[11:12], v[148:149]
	ds_load_b128 v[1:4], v41 offset:944
	ds_load_b128 v[9:12], v41 offset:960
	s_waitcnt vmcnt(4) lgkmcnt(1)
	v_mul_f64 v[148:149], v[1:2], v[27:28]
	v_mul_f64 v[27:28], v[3:4], v[27:28]
	v_add_f64 v[13:14], v[13:14], v[17:18]
	v_add_f64 v[15:16], v[19:20], v[146:147]
	s_waitcnt vmcnt(3) lgkmcnt(0)
	v_mul_f64 v[17:18], v[9:10], v[31:32]
	v_mul_f64 v[19:20], v[11:12], v[31:32]
	v_fma_f64 v[21:22], v[3:4], v[25:26], v[148:149]
	v_fma_f64 v[23:24], v[1:2], v[25:26], -v[27:28]
	v_add_f64 v[13:14], v[13:14], v[5:6]
	v_add_f64 v[15:16], v[15:16], v[7:8]
	ds_load_b128 v[1:4], v41 offset:976
	ds_load_b128 v[5:8], v41 offset:992
	v_fma_f64 v[11:12], v[11:12], v[29:30], v[17:18]
	v_fma_f64 v[9:10], v[9:10], v[29:30], -v[19:20]
	s_waitcnt vmcnt(2) lgkmcnt(1)
	v_mul_f64 v[25:26], v[1:2], v[35:36]
	v_mul_f64 v[27:28], v[3:4], v[35:36]
	s_waitcnt vmcnt(1) lgkmcnt(0)
	v_mul_f64 v[17:18], v[5:6], v[144:145]
	v_mul_f64 v[19:20], v[7:8], v[144:145]
	v_add_f64 v[13:14], v[13:14], v[23:24]
	v_add_f64 v[15:16], v[15:16], v[21:22]
	v_fma_f64 v[21:22], v[3:4], v[33:34], v[25:26]
	v_fma_f64 v[23:24], v[1:2], v[33:34], -v[27:28]
	ds_load_b128 v[1:4], v41 offset:1008
	v_fma_f64 v[7:8], v[7:8], v[142:143], v[17:18]
	v_fma_f64 v[5:6], v[5:6], v[142:143], -v[19:20]
	v_add_f64 v[9:10], v[13:14], v[9:10]
	v_add_f64 v[11:12], v[15:16], v[11:12]
	s_waitcnt vmcnt(0) lgkmcnt(0)
	v_mul_f64 v[13:14], v[1:2], v[39:40]
	v_mul_f64 v[15:16], v[3:4], v[39:40]
	s_delay_alu instid0(VALU_DEP_4) | instskip(NEXT) | instid1(VALU_DEP_4)
	v_add_f64 v[9:10], v[9:10], v[23:24]
	v_add_f64 v[11:12], v[11:12], v[21:22]
	s_delay_alu instid0(VALU_DEP_4) | instskip(NEXT) | instid1(VALU_DEP_4)
	v_fma_f64 v[3:4], v[3:4], v[37:38], v[13:14]
	v_fma_f64 v[1:2], v[1:2], v[37:38], -v[15:16]
	s_delay_alu instid0(VALU_DEP_4) | instskip(NEXT) | instid1(VALU_DEP_4)
	v_add_f64 v[5:6], v[9:10], v[5:6]
	v_add_f64 v[7:8], v[11:12], v[7:8]
	s_delay_alu instid0(VALU_DEP_2) | instskip(NEXT) | instid1(VALU_DEP_2)
	v_add_f64 v[1:2], v[5:6], v[1:2]
	v_add_f64 v[3:4], v[7:8], v[3:4]
	s_delay_alu instid0(VALU_DEP_2) | instskip(NEXT) | instid1(VALU_DEP_2)
	v_add_f64 v[1:2], v[138:139], -v[1:2]
	v_add_f64 v[3:4], v[140:141], -v[3:4]
	scratch_store_b128 off, v[1:4], off
	s_cbranch_vccz .LBB95_269
; %bb.206:
	v_dual_mov_b32 v1, s8 :: v_dual_mov_b32 v2, s9
	s_load_b64 s[0:1], s[0:1], 0x4
	flat_load_b32 v1, v[1:2] offset:120
	v_bfe_u32 v2, v0, 10, 10
	v_bfe_u32 v0, v0, 20, 10
	s_waitcnt lgkmcnt(0)
	s_lshr_b32 s0, s0, 16
	s_delay_alu instid0(VALU_DEP_2) | instskip(SKIP_1) | instid1(SALU_CYCLE_1)
	v_mul_u32_u24_e32 v2, s1, v2
	s_mul_i32 s0, s0, s1
	v_mul_u32_u24_e32 v3, s0, v106
	s_mov_b32 s0, exec_lo
	s_delay_alu instid0(VALU_DEP_1) | instskip(NEXT) | instid1(VALU_DEP_1)
	v_add3_u32 v0, v3, v2, v0
	v_lshl_add_u32 v0, v0, 4, 0x408
	s_waitcnt vmcnt(0)
	v_cmpx_ne_u32_e32 31, v1
	s_cbranch_execz .LBB95_208
; %bb.207:
	v_lshl_add_u32 v9, v1, 4, 0
	s_clause 0x1
	scratch_load_b128 v[1:4], v112, off
	scratch_load_b128 v[5:8], v9, off offset:-16
	s_waitcnt vmcnt(1)
	ds_store_2addr_b64 v0, v[1:2], v[3:4] offset1:1
	s_waitcnt vmcnt(0)
	s_clause 0x1
	scratch_store_b128 v112, v[5:8], off
	scratch_store_b128 v9, v[1:4], off offset:-16
.LBB95_208:
	s_or_b32 exec_lo, exec_lo, s0
	v_dual_mov_b32 v1, s8 :: v_dual_mov_b32 v2, s9
	s_mov_b32 s0, exec_lo
	flat_load_b32 v1, v[1:2] offset:116
	s_waitcnt vmcnt(0) lgkmcnt(0)
	v_cmpx_ne_u32_e32 30, v1
	s_cbranch_execz .LBB95_210
; %bb.209:
	v_lshl_add_u32 v9, v1, 4, 0
	s_clause 0x1
	scratch_load_b128 v[1:4], v113, off
	scratch_load_b128 v[5:8], v9, off offset:-16
	s_waitcnt vmcnt(1)
	ds_store_2addr_b64 v0, v[1:2], v[3:4] offset1:1
	s_waitcnt vmcnt(0)
	s_clause 0x1
	scratch_store_b128 v113, v[5:8], off
	scratch_store_b128 v9, v[1:4], off offset:-16
.LBB95_210:
	s_or_b32 exec_lo, exec_lo, s0
	v_dual_mov_b32 v1, s8 :: v_dual_mov_b32 v2, s9
	s_mov_b32 s0, exec_lo
	flat_load_b32 v1, v[1:2] offset:112
	s_waitcnt vmcnt(0) lgkmcnt(0)
	;; [unrolled: 19-line block ×29, first 2 shown]
	v_cmpx_ne_u32_e32 2, v1
	s_cbranch_execz .LBB95_266
; %bb.265:
	v_lshl_add_u32 v9, v1, 4, 0
	s_clause 0x1
	scratch_load_b128 v[1:4], v110, off
	scratch_load_b128 v[5:8], v9, off offset:-16
	s_waitcnt vmcnt(1)
	ds_store_2addr_b64 v0, v[1:2], v[3:4] offset1:1
	s_waitcnt vmcnt(0)
	s_clause 0x1
	scratch_store_b128 v110, v[5:8], off
	scratch_store_b128 v9, v[1:4], off offset:-16
.LBB95_266:
	s_or_b32 exec_lo, exec_lo, s0
	v_dual_mov_b32 v1, s8 :: v_dual_mov_b32 v2, s9
	s_mov_b32 s0, exec_lo
	flat_load_b32 v1, v[1:2]
	s_waitcnt vmcnt(0) lgkmcnt(0)
	v_cmpx_ne_u32_e32 1, v1
	s_cbranch_execz .LBB95_268
; %bb.267:
	v_lshl_add_u32 v9, v1, 4, 0
	scratch_load_b128 v[1:4], off, off
	scratch_load_b128 v[5:8], v9, off offset:-16
	s_waitcnt vmcnt(1)
	ds_store_2addr_b64 v0, v[1:2], v[3:4] offset1:1
	s_waitcnt vmcnt(0)
	scratch_store_b128 off, v[5:8], off
	scratch_store_b128 v9, v[1:4], off offset:-16
.LBB95_268:
	s_or_b32 exec_lo, exec_lo, s0
.LBB95_269:
	scratch_load_b128 v[0:3], off, off
	s_clause 0x14
	scratch_load_b128 v[4:7], v110, off
	scratch_load_b128 v[8:11], v108, off
	;; [unrolled: 1-line block ×21, first 2 shown]
	s_waitcnt vmcnt(21)
	global_store_b128 v[44:45], v[0:3], off
	s_clause 0x1
	scratch_load_b128 v[0:3], v119, off
	scratch_load_b128 v[119:122], v120, off
	s_waitcnt vmcnt(22)
	global_store_b128 v[42:43], v[4:7], off
	s_clause 0x1
	scratch_load_b128 v[4:7], v118, off
	scratch_load_b128 v[40:43], v117, off
	;; [unrolled: 5-line block ×5, first 2 shown]
	s_waitcnt vmcnt(26)
	global_store_b128 v[52:53], v[20:23], off
	s_waitcnt vmcnt(25)
	global_store_b128 v[54:55], v[24:27], off
	;; [unrolled: 2-line block ×27, first 2 shown]
	s_endpgm
	.section	.rodata,"a",@progbits
	.p2align	6, 0x0
	.amdhsa_kernel _ZN9rocsolver6v33100L18getri_kernel_smallILi32E19rocblas_complex_numIdEPKPS3_EEvT1_iilPiilS8_bb
		.amdhsa_group_segment_fixed_size 2056
		.amdhsa_private_segment_fixed_size 528
		.amdhsa_kernarg_size 60
		.amdhsa_user_sgpr_count 15
		.amdhsa_user_sgpr_dispatch_ptr 1
		.amdhsa_user_sgpr_queue_ptr 0
		.amdhsa_user_sgpr_kernarg_segment_ptr 1
		.amdhsa_user_sgpr_dispatch_id 0
		.amdhsa_user_sgpr_private_segment_size 0
		.amdhsa_wavefront_size32 1
		.amdhsa_uses_dynamic_stack 0
		.amdhsa_enable_private_segment 1
		.amdhsa_system_sgpr_workgroup_id_x 1
		.amdhsa_system_sgpr_workgroup_id_y 0
		.amdhsa_system_sgpr_workgroup_id_z 0
		.amdhsa_system_sgpr_workgroup_info 0
		.amdhsa_system_vgpr_workitem_id 2
		.amdhsa_next_free_vgpr 178
		.amdhsa_next_free_sgpr 39
		.amdhsa_reserve_vcc 1
		.amdhsa_float_round_mode_32 0
		.amdhsa_float_round_mode_16_64 0
		.amdhsa_float_denorm_mode_32 3
		.amdhsa_float_denorm_mode_16_64 3
		.amdhsa_dx10_clamp 1
		.amdhsa_ieee_mode 1
		.amdhsa_fp16_overflow 0
		.amdhsa_workgroup_processor_mode 1
		.amdhsa_memory_ordered 1
		.amdhsa_forward_progress 0
		.amdhsa_shared_vgpr_count 0
		.amdhsa_exception_fp_ieee_invalid_op 0
		.amdhsa_exception_fp_denorm_src 0
		.amdhsa_exception_fp_ieee_div_zero 0
		.amdhsa_exception_fp_ieee_overflow 0
		.amdhsa_exception_fp_ieee_underflow 0
		.amdhsa_exception_fp_ieee_inexact 0
		.amdhsa_exception_int_div_zero 0
	.end_amdhsa_kernel
	.section	.text._ZN9rocsolver6v33100L18getri_kernel_smallILi32E19rocblas_complex_numIdEPKPS3_EEvT1_iilPiilS8_bb,"axG",@progbits,_ZN9rocsolver6v33100L18getri_kernel_smallILi32E19rocblas_complex_numIdEPKPS3_EEvT1_iilPiilS8_bb,comdat
.Lfunc_end95:
	.size	_ZN9rocsolver6v33100L18getri_kernel_smallILi32E19rocblas_complex_numIdEPKPS3_EEvT1_iilPiilS8_bb, .Lfunc_end95-_ZN9rocsolver6v33100L18getri_kernel_smallILi32E19rocblas_complex_numIdEPKPS3_EEvT1_iilPiilS8_bb
                                        ; -- End function
	.section	.AMDGPU.csdata,"",@progbits
; Kernel info:
; codeLenInByte = 53860
; NumSgprs: 41
; NumVgprs: 178
; ScratchSize: 528
; MemoryBound: 0
; FloatMode: 240
; IeeeMode: 1
; LDSByteSize: 2056 bytes/workgroup (compile time only)
; SGPRBlocks: 5
; VGPRBlocks: 22
; NumSGPRsForWavesPerEU: 41
; NumVGPRsForWavesPerEU: 178
; Occupancy: 8
; WaveLimiterHint : 1
; COMPUTE_PGM_RSRC2:SCRATCH_EN: 1
; COMPUTE_PGM_RSRC2:USER_SGPR: 15
; COMPUTE_PGM_RSRC2:TRAP_HANDLER: 0
; COMPUTE_PGM_RSRC2:TGID_X_EN: 1
; COMPUTE_PGM_RSRC2:TGID_Y_EN: 0
; COMPUTE_PGM_RSRC2:TGID_Z_EN: 0
; COMPUTE_PGM_RSRC2:TIDIG_COMP_CNT: 2
	.section	.text._ZN9rocsolver6v33100L18getri_kernel_smallILi33E19rocblas_complex_numIdEPKPS3_EEvT1_iilPiilS8_bb,"axG",@progbits,_ZN9rocsolver6v33100L18getri_kernel_smallILi33E19rocblas_complex_numIdEPKPS3_EEvT1_iilPiilS8_bb,comdat
	.globl	_ZN9rocsolver6v33100L18getri_kernel_smallILi33E19rocblas_complex_numIdEPKPS3_EEvT1_iilPiilS8_bb ; -- Begin function _ZN9rocsolver6v33100L18getri_kernel_smallILi33E19rocblas_complex_numIdEPKPS3_EEvT1_iilPiilS8_bb
	.p2align	8
	.type	_ZN9rocsolver6v33100L18getri_kernel_smallILi33E19rocblas_complex_numIdEPKPS3_EEvT1_iilPiilS8_bb,@function
_ZN9rocsolver6v33100L18getri_kernel_smallILi33E19rocblas_complex_numIdEPKPS3_EEvT1_iilPiilS8_bb: ; @_ZN9rocsolver6v33100L18getri_kernel_smallILi33E19rocblas_complex_numIdEPKPS3_EEvT1_iilPiilS8_bb
; %bb.0:
	v_and_b32_e32 v108, 0x3ff, v0
	s_mov_b32 s4, exec_lo
	s_delay_alu instid0(VALU_DEP_1)
	v_cmpx_gt_u32_e32 33, v108
	s_cbranch_execz .LBB96_146
; %bb.1:
	s_mov_b32 s10, s15
	s_clause 0x2
	s_load_b32 s15, s[2:3], 0x38
	s_load_b64 s[8:9], s[2:3], 0x0
	s_load_b128 s[4:7], s[2:3], 0x28
	s_waitcnt lgkmcnt(0)
	s_bitcmp1_b32 s15, 8
	s_cselect_b32 s14, -1, 0
	s_ashr_i32 s11, s10, 31
	s_delay_alu instid0(SALU_CYCLE_1) | instskip(NEXT) | instid1(SALU_CYCLE_1)
	s_lshl_b64 s[12:13], s[10:11], 3
	s_add_u32 s8, s8, s12
	s_addc_u32 s9, s9, s13
	s_load_b64 s[12:13], s[8:9], 0x0
	s_bfe_u32 s8, s15, 0x10008
	s_delay_alu instid0(SALU_CYCLE_1)
	s_cmp_eq_u32 s8, 0
                                        ; implicit-def: $sgpr8_sgpr9
	s_cbranch_scc1 .LBB96_3
; %bb.2:
	s_clause 0x1
	s_load_b32 s8, s[2:3], 0x20
	s_load_b64 s[16:17], s[2:3], 0x18
	s_mul_i32 s5, s10, s5
	s_mul_hi_u32 s9, s10, s4
	s_mul_i32 s18, s11, s4
	s_add_i32 s5, s9, s5
	s_mul_i32 s4, s10, s4
	s_add_i32 s5, s5, s18
	s_delay_alu instid0(SALU_CYCLE_1)
	s_lshl_b64 s[4:5], s[4:5], 2
	s_waitcnt lgkmcnt(0)
	s_ashr_i32 s9, s8, 31
	s_add_u32 s16, s16, s4
	s_addc_u32 s17, s17, s5
	s_lshl_b64 s[4:5], s[8:9], 2
	s_delay_alu instid0(SALU_CYCLE_1)
	s_add_u32 s8, s16, s4
	s_addc_u32 s9, s17, s5
.LBB96_3:
	s_load_b64 s[2:3], s[2:3], 0x8
	v_lshlrev_b32_e32 v21, 4, v108
	s_movk_i32 s18, 0xc0
	s_movk_i32 s19, 0xd0
	;; [unrolled: 1-line block ×18, first 2 shown]
	s_waitcnt lgkmcnt(0)
	v_add3_u32 v5, s3, s3, v108
	s_ashr_i32 s5, s2, 31
	s_mov_b32 s4, s2
	s_mov_b32 s16, s3
	s_lshl_b64 s[4:5], s[4:5], 4
	v_add_nc_u32_e32 v7, s3, v5
	v_ashrrev_i32_e32 v6, 31, v5
	s_add_u32 s4, s12, s4
	s_addc_u32 s5, s13, s5
	v_add_co_u32 v42, s2, s4, v21
	v_add_nc_u32_e32 v9, s3, v7
	v_ashrrev_i32_e32 v8, 31, v7
	s_ashr_i32 s17, s3, 31
	v_add_co_ci_u32_e64 v43, null, s5, 0, s2
	s_delay_alu instid0(VALU_DEP_3)
	v_add_nc_u32_e32 v13, s3, v9
	v_lshlrev_b64 v[5:6], 4, v[5:6]
	s_lshl_b64 s[12:13], s[16:17], 4
	v_ashrrev_i32_e32 v10, 31, v9
	v_add_co_u32 v44, vcc_lo, v42, s12
	v_add_nc_u32_e32 v19, s3, v13
	v_lshlrev_b64 v[15:16], 4, v[7:8]
	v_ashrrev_i32_e32 v14, 31, v13
	v_add_co_ci_u32_e32 v45, vcc_lo, s13, v43, vcc_lo
	s_delay_alu instid0(VALU_DEP_4)
	v_add_nc_u32_e32 v22, s3, v19
	v_add_co_u32 v46, vcc_lo, s4, v5
	v_lshlrev_b64 v[17:18], 4, v[9:10]
	v_ashrrev_i32_e32 v20, 31, v19
	v_add_co_ci_u32_e32 v47, vcc_lo, s5, v6, vcc_lo
	v_add_co_u32 v48, vcc_lo, s4, v15
	v_lshlrev_b64 v[13:14], 4, v[13:14]
	v_add_nc_u32_e32 v38, s3, v22
	v_add_co_ci_u32_e32 v49, vcc_lo, s5, v16, vcc_lo
	v_add_co_u32 v50, vcc_lo, s4, v17
	v_lshlrev_b64 v[26:27], 4, v[19:20]
	v_ashrrev_i32_e32 v23, 31, v22
	v_add_co_ci_u32_e32 v51, vcc_lo, s5, v18, vcc_lo
	v_add_co_u32 v52, vcc_lo, s4, v13
	v_ashrrev_i32_e32 v39, 31, v38
	v_add_co_ci_u32_e32 v53, vcc_lo, s5, v14, vcc_lo
	v_lshlrev_b64 v[28:29], 4, v[22:23]
	v_add_co_u32 v54, vcc_lo, s4, v26
	v_add_co_ci_u32_e32 v55, vcc_lo, s5, v27, vcc_lo
	v_lshlrev_b64 v[26:27], 4, v[38:39]
	s_delay_alu instid0(VALU_DEP_4)
	v_add_co_u32 v56, vcc_lo, s4, v28
	v_add_co_ci_u32_e32 v57, vcc_lo, s5, v29, vcc_lo
	global_load_b128 v[1:4], v21, s[4:5]
	v_add_co_u32 v58, vcc_lo, s4, v26
	v_add_co_ci_u32_e32 v59, vcc_lo, s5, v27, vcc_lo
	s_clause 0x7
	global_load_b128 v[5:8], v[44:45], off
	global_load_b128 v[9:12], v[46:47], off
	;; [unrolled: 1-line block ×8, first 2 shown]
	v_add_nc_u32_e32 v38, s3, v38
	s_movk_i32 s2, 0x50
	s_movk_i32 s12, 0x80
	;; [unrolled: 1-line block ×4, first 2 shown]
	v_add_nc_u32_e32 v40, s3, v38
	v_ashrrev_i32_e32 v39, 31, v38
	s_movk_i32 s17, 0xb0
	s_movk_i32 s37, 0x1e0
	;; [unrolled: 1-line block ×3, first 2 shown]
	v_add_nc_u32_e32 v62, s3, v40
	v_ashrrev_i32_e32 v41, 31, v40
	v_lshlrev_b64 v[38:39], 4, v[38:39]
	s_movk_i32 s39, 0x200
	v_add_nc_u32_e64 v118, 0, 16
	v_add_nc_u32_e32 v64, s3, v62
	v_ashrrev_i32_e32 v63, 31, v62
	v_lshlrev_b64 v[40:41], 4, v[40:41]
	v_add_co_u32 v60, vcc_lo, s4, v38
	s_delay_alu instid0(VALU_DEP_4) | instskip(SKIP_3) | instid1(VALU_DEP_4)
	v_add_nc_u32_e32 v66, s3, v64
	v_ashrrev_i32_e32 v65, 31, v64
	v_add_co_ci_u32_e32 v61, vcc_lo, s5, v39, vcc_lo
	v_lshlrev_b64 v[38:39], 4, v[62:63]
	v_add_nc_u32_e32 v70, s3, v66
	v_ashrrev_i32_e32 v67, 31, v66
	v_add_co_u32 v62, vcc_lo, s4, v40
	v_lshlrev_b64 v[68:69], 4, v[64:65]
	s_delay_alu instid0(VALU_DEP_4)
	v_add_nc_u32_e32 v74, s3, v70
	v_add_co_ci_u32_e32 v63, vcc_lo, s5, v41, vcc_lo
	v_add_co_u32 v64, vcc_lo, s4, v38
	v_lshlrev_b64 v[72:73], 4, v[66:67]
	v_add_co_ci_u32_e32 v65, vcc_lo, s5, v39, vcc_lo
	v_add_co_u32 v66, vcc_lo, s4, v68
	v_ashrrev_i32_e32 v75, 31, v74
	v_add_nc_u32_e32 v76, s3, v74
	v_add_co_ci_u32_e32 v67, vcc_lo, s5, v69, vcc_lo
	v_ashrrev_i32_e32 v71, 31, v70
	v_add_co_u32 v68, vcc_lo, s4, v72
	v_add_co_ci_u32_e32 v69, vcc_lo, s5, v73, vcc_lo
	v_lshlrev_b64 v[72:73], 4, v[74:75]
	v_add_nc_u32_e32 v74, s3, v76
	v_lshlrev_b64 v[70:71], 4, v[70:71]
	v_ashrrev_i32_e32 v77, 31, v76
	s_clause 0x3
	global_load_b128 v[38:41], v[60:61], off
	global_load_b128 v[114:117], v[62:63], off
	global_load_b128 v[119:122], v[64:65], off
	global_load_b128 v[123:126], v[66:67], off
	v_add_nc_u32_e32 v78, s3, v74
	v_ashrrev_i32_e32 v75, 31, v74
	v_add_co_u32 v70, vcc_lo, s4, v70
	v_lshlrev_b64 v[76:77], 4, v[76:77]
	s_delay_alu instid0(VALU_DEP_4)
	v_add_nc_u32_e32 v82, s3, v78
	v_add_co_ci_u32_e32 v71, vcc_lo, s5, v71, vcc_lo
	v_add_co_u32 v72, vcc_lo, s4, v72
	v_lshlrev_b64 v[80:81], 4, v[74:75]
	v_add_co_ci_u32_e32 v73, vcc_lo, s5, v73, vcc_lo
	v_add_co_u32 v74, vcc_lo, s4, v76
	v_ashrrev_i32_e32 v83, 31, v82
	v_add_nc_u32_e32 v84, s3, v82
	v_add_co_ci_u32_e32 v75, vcc_lo, s5, v77, vcc_lo
	v_ashrrev_i32_e32 v79, 31, v78
	v_add_co_u32 v76, vcc_lo, s4, v80
	v_add_co_ci_u32_e32 v77, vcc_lo, s5, v81, vcc_lo
	v_lshlrev_b64 v[80:81], 4, v[82:83]
	v_add_nc_u32_e32 v82, s3, v84
	v_lshlrev_b64 v[78:79], 4, v[78:79]
	v_ashrrev_i32_e32 v85, 31, v84
	s_clause 0x3
	global_load_b128 v[141:144], v[68:69], off
	global_load_b128 v[145:148], v[70:71], off
	global_load_b128 v[149:152], v[72:73], off
	global_load_b128 v[153:156], v[74:75], off
	;; [unrolled: 26-line block ×3, first 2 shown]
	v_add_nc_u32_e32 v94, s3, v90
	v_ashrrev_i32_e32 v91, 31, v90
	v_add_co_u32 v86, vcc_lo, s4, v86
	v_lshlrev_b64 v[92:93], 4, v[92:93]
	s_delay_alu instid0(VALU_DEP_4)
	v_add_nc_u32_e32 v98, s3, v94
	v_add_co_ci_u32_e32 v87, vcc_lo, s5, v87, vcc_lo
	v_add_co_u32 v88, vcc_lo, s4, v88
	v_lshlrev_b64 v[96:97], 4, v[90:91]
	v_add_co_ci_u32_e32 v89, vcc_lo, s5, v89, vcc_lo
	v_add_co_u32 v90, vcc_lo, s4, v92
	v_ashrrev_i32_e32 v99, 31, v98
	v_add_nc_u32_e32 v100, s3, v98
	v_add_co_ci_u32_e32 v91, vcc_lo, s5, v93, vcc_lo
	v_add_co_u32 v92, vcc_lo, s4, v96
	v_ashrrev_i32_e32 v95, 31, v94
	v_add_co_ci_u32_e32 v93, vcc_lo, s5, v97, vcc_lo
	v_lshlrev_b64 v[96:97], 4, v[98:99]
	v_add_nc_u32_e32 v98, s3, v100
	s_delay_alu instid0(VALU_DEP_4)
	v_lshlrev_b64 v[94:95], 4, v[94:95]
	v_ashrrev_i32_e32 v101, 31, v100
	s_clause 0x1
	global_load_b128 v[173:176], v[84:85], off
	global_load_b128 v[177:180], v[86:87], off
	v_add_nc_u32_e64 v113, 0, 32
	v_add_nc_u32_e32 v102, s3, v98
	v_ashrrev_i32_e32 v99, 31, v98
	v_add_co_u32 v94, vcc_lo, s4, v94
	v_lshlrev_b64 v[100:101], 4, v[100:101]
	s_delay_alu instid0(VALU_DEP_4)
	v_add_nc_u32_e32 v106, s3, v102
	v_add_co_ci_u32_e32 v95, vcc_lo, s5, v95, vcc_lo
	v_add_co_u32 v96, vcc_lo, s4, v96
	v_lshlrev_b64 v[104:105], 4, v[98:99]
	v_ashrrev_i32_e32 v103, 31, v102
	v_add_nc_u32_e32 v109, s3, v106
	v_add_co_ci_u32_e32 v97, vcc_lo, s5, v97, vcc_lo
	v_add_co_u32 v98, vcc_lo, s4, v100
	v_ashrrev_i32_e32 v107, 31, v106
	v_add_co_ci_u32_e32 v99, vcc_lo, s5, v101, vcc_lo
	v_lshlrev_b64 v[102:103], 4, v[102:103]
	v_add_co_u32 v100, vcc_lo, s4, v104
	v_ashrrev_i32_e32 v110, 31, v109
	v_add_co_ci_u32_e32 v101, vcc_lo, s5, v105, vcc_lo
	v_lshlrev_b64 v[104:105], 4, v[106:107]
	v_add_co_u32 v102, vcc_lo, s4, v102
	s_delay_alu instid0(VALU_DEP_4) | instskip(SKIP_1) | instid1(VALU_DEP_4)
	v_lshlrev_b64 v[106:107], 4, v[109:110]
	v_add_co_ci_u32_e32 v103, vcc_lo, s5, v103, vcc_lo
	v_add_co_u32 v104, vcc_lo, s4, v104
	v_add_co_ci_u32_e32 v105, vcc_lo, s5, v105, vcc_lo
	s_delay_alu instid0(VALU_DEP_4)
	v_add_co_u32 v106, vcc_lo, s4, v106
	v_add_co_ci_u32_e32 v107, vcc_lo, s5, v107, vcc_lo
	s_movk_i32 s4, 0x60
	s_movk_i32 s5, 0x70
	v_add_nc_u32_e64 v112, 0, 48
	v_add_nc_u32_e64 v109, 0, 64
	;; [unrolled: 1-line block ×18, first 2 shown]
	s_mov_b32 s3, -1
	s_bitcmp0_b32 s15, 0
	s_waitcnt vmcnt(22)
	scratch_store_b128 off, v[1:4], off
	s_clause 0x1
	global_load_b128 v[1:4], v[88:89], off
	global_load_b128 v[181:184], v[90:91], off
	s_waitcnt vmcnt(23)
	scratch_store_b128 off, v[5:8], off offset:16
	s_waitcnt vmcnt(22)
	scratch_store_b128 off, v[9:12], off offset:32
	s_clause 0x1
	global_load_b128 v[5:8], v[92:93], off
	global_load_b128 v[9:12], v[94:95], off
	s_waitcnt vmcnt(23)
	scratch_store_b128 off, v[13:16], off offset:48
	s_waitcnt vmcnt(22)
	scratch_store_b128 off, v[17:20], off offset:64
	;; [unrolled: 7-line block ×5, first 2 shown]
	s_waitcnt vmcnt(21)
	scratch_store_b128 off, v[119:122], off offset:176
	s_waitcnt vmcnt(20)
	scratch_store_b128 off, v[123:126], off offset:192
	v_add_nc_u32_e64 v117, s25, 0
	v_add_nc_u32_e64 v116, s26, 0
	;; [unrolled: 1-line block ×12, first 2 shown]
	s_waitcnt vmcnt(19)
	scratch_store_b128 off, v[141:144], off offset:208
	s_waitcnt vmcnt(18)
	scratch_store_b128 off, v[145:148], off offset:224
	;; [unrolled: 2-line block ×20, first 2 shown]
	s_cbranch_scc1 .LBB96_144
; %bb.4:
	v_cmp_eq_u32_e64 s2, 0, v108
	s_delay_alu instid0(VALU_DEP_1)
	s_and_saveexec_b32 s3, s2
	s_cbranch_execz .LBB96_6
; %bb.5:
	v_mov_b32_e32 v1, 0
	ds_store_b32 v1, v1 offset:1056
.LBB96_6:
	s_or_b32 exec_lo, exec_lo, s3
	s_waitcnt lgkmcnt(0)
	s_waitcnt_vscnt null, 0x0
	s_barrier
	buffer_gl0_inv
	scratch_load_b128 v[1:4], v21, off
	s_waitcnt vmcnt(0)
	v_cmp_eq_f64_e32 vcc_lo, 0, v[1:2]
	v_cmp_eq_f64_e64 s3, 0, v[3:4]
	s_delay_alu instid0(VALU_DEP_1) | instskip(NEXT) | instid1(SALU_CYCLE_1)
	s_and_b32 s3, vcc_lo, s3
	s_and_saveexec_b32 s4, s3
	s_cbranch_execz .LBB96_10
; %bb.7:
	v_mov_b32_e32 v1, 0
	s_mov_b32 s5, 0
	ds_load_b32 v2, v1 offset:1056
	s_waitcnt lgkmcnt(0)
	v_readfirstlane_b32 s3, v2
	v_add_nc_u32_e32 v2, 1, v108
	s_delay_alu instid0(VALU_DEP_2) | instskip(NEXT) | instid1(VALU_DEP_1)
	s_cmp_eq_u32 s3, 0
	v_cmp_gt_i32_e32 vcc_lo, s3, v2
	s_cselect_b32 s12, -1, 0
	s_delay_alu instid0(SALU_CYCLE_1) | instskip(NEXT) | instid1(SALU_CYCLE_1)
	s_or_b32 s12, s12, vcc_lo
	s_and_b32 exec_lo, exec_lo, s12
	s_cbranch_execz .LBB96_10
; %bb.8:
	v_mov_b32_e32 v3, s3
.LBB96_9:                               ; =>This Inner Loop Header: Depth=1
	ds_cmpstore_rtn_b32 v3, v1, v2, v3 offset:1056
	s_waitcnt lgkmcnt(0)
	v_cmp_ne_u32_e32 vcc_lo, 0, v3
	v_cmp_le_i32_e64 s3, v3, v2
	s_delay_alu instid0(VALU_DEP_1) | instskip(NEXT) | instid1(SALU_CYCLE_1)
	s_and_b32 s3, vcc_lo, s3
	s_and_b32 s3, exec_lo, s3
	s_delay_alu instid0(SALU_CYCLE_1) | instskip(NEXT) | instid1(SALU_CYCLE_1)
	s_or_b32 s5, s3, s5
	s_and_not1_b32 exec_lo, exec_lo, s5
	s_cbranch_execnz .LBB96_9
.LBB96_10:
	s_or_b32 exec_lo, exec_lo, s4
	v_mov_b32_e32 v1, 0
	s_barrier
	buffer_gl0_inv
	ds_load_b32 v2, v1 offset:1056
	s_and_saveexec_b32 s3, s2
	s_cbranch_execz .LBB96_12
; %bb.11:
	s_lshl_b64 s[4:5], s[10:11], 2
	s_delay_alu instid0(SALU_CYCLE_1)
	s_add_u32 s4, s6, s4
	s_addc_u32 s5, s7, s5
	s_waitcnt lgkmcnt(0)
	global_store_b32 v1, v2, s[4:5]
.LBB96_12:
	s_or_b32 exec_lo, exec_lo, s3
	s_waitcnt lgkmcnt(0)
	v_cmp_ne_u32_e32 vcc_lo, 0, v2
	s_mov_b32 s3, 0
	s_cbranch_vccnz .LBB96_144
; %bb.13:
	v_add_nc_u32_e32 v13, 0, v21
                                        ; implicit-def: $vgpr9_vgpr10
	scratch_load_b128 v[1:4], v13, off
	s_waitcnt vmcnt(0)
	v_cmp_gt_f64_e32 vcc_lo, 0, v[1:2]
	v_xor_b32_e32 v6, 0x80000000, v2
	v_xor_b32_e32 v7, 0x80000000, v4
	s_delay_alu instid0(VALU_DEP_2) | instskip(SKIP_1) | instid1(VALU_DEP_3)
	v_cndmask_b32_e32 v6, v2, v6, vcc_lo
	v_cmp_gt_f64_e32 vcc_lo, 0, v[3:4]
	v_dual_mov_b32 v5, v1 :: v_dual_cndmask_b32 v8, v4, v7
	v_mov_b32_e32 v7, v3
	s_delay_alu instid0(VALU_DEP_1) | instskip(SKIP_1) | instid1(SALU_CYCLE_1)
	v_cmp_ngt_f64_e32 vcc_lo, v[5:6], v[7:8]
                                        ; implicit-def: $vgpr5_vgpr6
	s_and_saveexec_b32 s3, vcc_lo
	s_xor_b32 s3, exec_lo, s3
	s_cbranch_execz .LBB96_15
; %bb.14:
	v_div_scale_f64 v[5:6], null, v[3:4], v[3:4], v[1:2]
	v_div_scale_f64 v[11:12], vcc_lo, v[1:2], v[3:4], v[1:2]
	s_delay_alu instid0(VALU_DEP_2) | instskip(SKIP_2) | instid1(VALU_DEP_1)
	v_rcp_f64_e32 v[7:8], v[5:6]
	s_waitcnt_depctr 0xfff
	v_fma_f64 v[9:10], -v[5:6], v[7:8], 1.0
	v_fma_f64 v[7:8], v[7:8], v[9:10], v[7:8]
	s_delay_alu instid0(VALU_DEP_1) | instskip(NEXT) | instid1(VALU_DEP_1)
	v_fma_f64 v[9:10], -v[5:6], v[7:8], 1.0
	v_fma_f64 v[7:8], v[7:8], v[9:10], v[7:8]
	s_delay_alu instid0(VALU_DEP_1) | instskip(NEXT) | instid1(VALU_DEP_1)
	v_mul_f64 v[9:10], v[11:12], v[7:8]
	v_fma_f64 v[5:6], -v[5:6], v[9:10], v[11:12]
	s_delay_alu instid0(VALU_DEP_1) | instskip(NEXT) | instid1(VALU_DEP_1)
	v_div_fmas_f64 v[5:6], v[5:6], v[7:8], v[9:10]
	v_div_fixup_f64 v[5:6], v[5:6], v[3:4], v[1:2]
	s_delay_alu instid0(VALU_DEP_1) | instskip(NEXT) | instid1(VALU_DEP_1)
	v_fma_f64 v[1:2], v[1:2], v[5:6], v[3:4]
	v_div_scale_f64 v[3:4], null, v[1:2], v[1:2], 1.0
	v_div_scale_f64 v[11:12], vcc_lo, 1.0, v[1:2], 1.0
	s_delay_alu instid0(VALU_DEP_2) | instskip(SKIP_2) | instid1(VALU_DEP_1)
	v_rcp_f64_e32 v[7:8], v[3:4]
	s_waitcnt_depctr 0xfff
	v_fma_f64 v[9:10], -v[3:4], v[7:8], 1.0
	v_fma_f64 v[7:8], v[7:8], v[9:10], v[7:8]
	s_delay_alu instid0(VALU_DEP_1) | instskip(NEXT) | instid1(VALU_DEP_1)
	v_fma_f64 v[9:10], -v[3:4], v[7:8], 1.0
	v_fma_f64 v[7:8], v[7:8], v[9:10], v[7:8]
	s_delay_alu instid0(VALU_DEP_1) | instskip(NEXT) | instid1(VALU_DEP_1)
	v_mul_f64 v[9:10], v[11:12], v[7:8]
	v_fma_f64 v[3:4], -v[3:4], v[9:10], v[11:12]
	s_delay_alu instid0(VALU_DEP_1) | instskip(NEXT) | instid1(VALU_DEP_1)
	v_div_fmas_f64 v[3:4], v[3:4], v[7:8], v[9:10]
	v_div_fixup_f64 v[7:8], v[3:4], v[1:2], 1.0
                                        ; implicit-def: $vgpr1_vgpr2
	s_delay_alu instid0(VALU_DEP_1) | instskip(SKIP_1) | instid1(VALU_DEP_2)
	v_mul_f64 v[5:6], v[5:6], v[7:8]
	v_xor_b32_e32 v8, 0x80000000, v8
	v_xor_b32_e32 v10, 0x80000000, v6
	s_delay_alu instid0(VALU_DEP_3)
	v_mov_b32_e32 v9, v5
.LBB96_15:
	s_and_not1_saveexec_b32 s3, s3
	s_cbranch_execz .LBB96_17
; %bb.16:
	v_div_scale_f64 v[5:6], null, v[1:2], v[1:2], v[3:4]
	v_div_scale_f64 v[11:12], vcc_lo, v[3:4], v[1:2], v[3:4]
	s_delay_alu instid0(VALU_DEP_2) | instskip(SKIP_2) | instid1(VALU_DEP_1)
	v_rcp_f64_e32 v[7:8], v[5:6]
	s_waitcnt_depctr 0xfff
	v_fma_f64 v[9:10], -v[5:6], v[7:8], 1.0
	v_fma_f64 v[7:8], v[7:8], v[9:10], v[7:8]
	s_delay_alu instid0(VALU_DEP_1) | instskip(NEXT) | instid1(VALU_DEP_1)
	v_fma_f64 v[9:10], -v[5:6], v[7:8], 1.0
	v_fma_f64 v[7:8], v[7:8], v[9:10], v[7:8]
	s_delay_alu instid0(VALU_DEP_1) | instskip(NEXT) | instid1(VALU_DEP_1)
	v_mul_f64 v[9:10], v[11:12], v[7:8]
	v_fma_f64 v[5:6], -v[5:6], v[9:10], v[11:12]
	s_delay_alu instid0(VALU_DEP_1) | instskip(NEXT) | instid1(VALU_DEP_1)
	v_div_fmas_f64 v[5:6], v[5:6], v[7:8], v[9:10]
	v_div_fixup_f64 v[7:8], v[5:6], v[1:2], v[3:4]
	s_delay_alu instid0(VALU_DEP_1) | instskip(NEXT) | instid1(VALU_DEP_1)
	v_fma_f64 v[1:2], v[3:4], v[7:8], v[1:2]
	v_div_scale_f64 v[3:4], null, v[1:2], v[1:2], 1.0
	s_delay_alu instid0(VALU_DEP_1) | instskip(SKIP_2) | instid1(VALU_DEP_1)
	v_rcp_f64_e32 v[5:6], v[3:4]
	s_waitcnt_depctr 0xfff
	v_fma_f64 v[9:10], -v[3:4], v[5:6], 1.0
	v_fma_f64 v[5:6], v[5:6], v[9:10], v[5:6]
	s_delay_alu instid0(VALU_DEP_1) | instskip(NEXT) | instid1(VALU_DEP_1)
	v_fma_f64 v[9:10], -v[3:4], v[5:6], 1.0
	v_fma_f64 v[5:6], v[5:6], v[9:10], v[5:6]
	v_div_scale_f64 v[9:10], vcc_lo, 1.0, v[1:2], 1.0
	s_delay_alu instid0(VALU_DEP_1) | instskip(NEXT) | instid1(VALU_DEP_1)
	v_mul_f64 v[11:12], v[9:10], v[5:6]
	v_fma_f64 v[3:4], -v[3:4], v[11:12], v[9:10]
	s_delay_alu instid0(VALU_DEP_1) | instskip(NEXT) | instid1(VALU_DEP_1)
	v_div_fmas_f64 v[3:4], v[3:4], v[5:6], v[11:12]
	v_div_fixup_f64 v[5:6], v[3:4], v[1:2], 1.0
	s_delay_alu instid0(VALU_DEP_1)
	v_mul_f64 v[7:8], v[7:8], -v[5:6]
	v_xor_b32_e32 v10, 0x80000000, v6
	v_mov_b32_e32 v9, v5
.LBB96_17:
	s_or_b32 exec_lo, exec_lo, s3
	scratch_store_b128 v13, v[5:8], off
	scratch_load_b128 v[1:4], v118, off
	v_xor_b32_e32 v12, 0x80000000, v8
	v_mov_b32_e32 v11, v7
	v_add_nc_u32_e32 v5, 0x210, v21
	ds_store_b128 v21, v[9:12]
	s_waitcnt vmcnt(0)
	ds_store_b128 v21, v[1:4] offset:528
	s_waitcnt lgkmcnt(0)
	s_waitcnt_vscnt null, 0x0
	s_barrier
	buffer_gl0_inv
	s_and_saveexec_b32 s3, s2
	s_cbranch_execz .LBB96_19
; %bb.18:
	scratch_load_b128 v[1:4], v13, off
	ds_load_b128 v[6:9], v5
	v_mov_b32_e32 v10, 0
	ds_load_b128 v[14:17], v10 offset:16
	s_waitcnt vmcnt(0) lgkmcnt(1)
	v_mul_f64 v[10:11], v[6:7], v[3:4]
	v_mul_f64 v[3:4], v[8:9], v[3:4]
	s_delay_alu instid0(VALU_DEP_2) | instskip(NEXT) | instid1(VALU_DEP_2)
	v_fma_f64 v[8:9], v[8:9], v[1:2], v[10:11]
	v_fma_f64 v[1:2], v[6:7], v[1:2], -v[3:4]
	s_delay_alu instid0(VALU_DEP_2) | instskip(NEXT) | instid1(VALU_DEP_2)
	v_add_f64 v[3:4], v[8:9], 0
	v_add_f64 v[1:2], v[1:2], 0
	s_waitcnt lgkmcnt(0)
	s_delay_alu instid0(VALU_DEP_2) | instskip(NEXT) | instid1(VALU_DEP_2)
	v_mul_f64 v[6:7], v[3:4], v[16:17]
	v_mul_f64 v[8:9], v[1:2], v[16:17]
	s_delay_alu instid0(VALU_DEP_2) | instskip(NEXT) | instid1(VALU_DEP_2)
	v_fma_f64 v[1:2], v[1:2], v[14:15], -v[6:7]
	v_fma_f64 v[3:4], v[3:4], v[14:15], v[8:9]
	scratch_store_b128 off, v[1:4], off offset:16
.LBB96_19:
	s_or_b32 exec_lo, exec_lo, s3
	s_waitcnt_vscnt null, 0x0
	s_barrier
	buffer_gl0_inv
	scratch_load_b128 v[1:4], v113, off
	s_mov_b32 s3, exec_lo
	s_waitcnt vmcnt(0)
	ds_store_b128 v5, v[1:4]
	s_waitcnt lgkmcnt(0)
	s_barrier
	buffer_gl0_inv
	v_cmpx_gt_u32_e32 2, v108
	s_cbranch_execz .LBB96_23
; %bb.20:
	scratch_load_b128 v[1:4], v13, off
	ds_load_b128 v[6:9], v5
	s_waitcnt vmcnt(0) lgkmcnt(0)
	v_mul_f64 v[10:11], v[8:9], v[3:4]
	v_mul_f64 v[3:4], v[6:7], v[3:4]
	s_delay_alu instid0(VALU_DEP_2) | instskip(NEXT) | instid1(VALU_DEP_2)
	v_fma_f64 v[6:7], v[6:7], v[1:2], -v[10:11]
	v_fma_f64 v[3:4], v[8:9], v[1:2], v[3:4]
	s_delay_alu instid0(VALU_DEP_2) | instskip(NEXT) | instid1(VALU_DEP_2)
	v_add_f64 v[1:2], v[6:7], 0
	v_add_f64 v[3:4], v[3:4], 0
	s_and_saveexec_b32 s4, s2
	s_cbranch_execz .LBB96_22
; %bb.21:
	scratch_load_b128 v[6:9], off, off offset:16
	v_mov_b32_e32 v10, 0
	ds_load_b128 v[14:17], v10 offset:544
	s_waitcnt vmcnt(0) lgkmcnt(0)
	v_mul_f64 v[10:11], v[14:15], v[8:9]
	v_mul_f64 v[8:9], v[16:17], v[8:9]
	s_delay_alu instid0(VALU_DEP_2) | instskip(NEXT) | instid1(VALU_DEP_2)
	v_fma_f64 v[10:11], v[16:17], v[6:7], v[10:11]
	v_fma_f64 v[6:7], v[14:15], v[6:7], -v[8:9]
	s_delay_alu instid0(VALU_DEP_2) | instskip(NEXT) | instid1(VALU_DEP_2)
	v_add_f64 v[3:4], v[3:4], v[10:11]
	v_add_f64 v[1:2], v[1:2], v[6:7]
.LBB96_22:
	s_or_b32 exec_lo, exec_lo, s4
	v_mov_b32_e32 v6, 0
	ds_load_b128 v[6:9], v6 offset:32
	s_waitcnt lgkmcnt(0)
	v_mul_f64 v[10:11], v[3:4], v[8:9]
	v_mul_f64 v[8:9], v[1:2], v[8:9]
	s_delay_alu instid0(VALU_DEP_2) | instskip(NEXT) | instid1(VALU_DEP_2)
	v_fma_f64 v[1:2], v[1:2], v[6:7], -v[10:11]
	v_fma_f64 v[3:4], v[3:4], v[6:7], v[8:9]
	scratch_store_b128 off, v[1:4], off offset:32
.LBB96_23:
	s_or_b32 exec_lo, exec_lo, s3
	s_waitcnt_vscnt null, 0x0
	s_barrier
	buffer_gl0_inv
	scratch_load_b128 v[1:4], v112, off
	v_add_nc_u32_e32 v6, -1, v108
	s_mov_b32 s2, exec_lo
	s_waitcnt vmcnt(0)
	ds_store_b128 v5, v[1:4]
	s_waitcnt lgkmcnt(0)
	s_barrier
	buffer_gl0_inv
	v_cmpx_gt_u32_e32 3, v108
	s_cbranch_execz .LBB96_27
; %bb.24:
	v_dual_mov_b32 v1, 0 :: v_dual_add_nc_u32 v8, 0x210, v21
	v_dual_mov_b32 v2, 0 :: v_dual_add_nc_u32 v7, -1, v108
	v_or_b32_e32 v9, 8, v13
	s_mov_b32 s3, 0
	s_delay_alu instid0(VALU_DEP_2)
	v_dual_mov_b32 v4, v2 :: v_dual_mov_b32 v3, v1
	.p2align	6
.LBB96_25:                              ; =>This Inner Loop Header: Depth=1
	scratch_load_b128 v[14:17], v9, off offset:-8
	ds_load_b128 v[22:25], v8
	v_add_nc_u32_e32 v7, 1, v7
	v_add_nc_u32_e32 v8, 16, v8
	;; [unrolled: 1-line block ×3, first 2 shown]
	s_delay_alu instid0(VALU_DEP_3) | instskip(SKIP_4) | instid1(VALU_DEP_2)
	v_cmp_lt_u32_e32 vcc_lo, 1, v7
	s_or_b32 s3, vcc_lo, s3
	s_waitcnt vmcnt(0) lgkmcnt(0)
	v_mul_f64 v[10:11], v[24:25], v[16:17]
	v_mul_f64 v[16:17], v[22:23], v[16:17]
	v_fma_f64 v[10:11], v[22:23], v[14:15], -v[10:11]
	s_delay_alu instid0(VALU_DEP_2) | instskip(NEXT) | instid1(VALU_DEP_2)
	v_fma_f64 v[14:15], v[24:25], v[14:15], v[16:17]
	v_add_f64 v[3:4], v[3:4], v[10:11]
	s_delay_alu instid0(VALU_DEP_2)
	v_add_f64 v[1:2], v[1:2], v[14:15]
	s_and_not1_b32 exec_lo, exec_lo, s3
	s_cbranch_execnz .LBB96_25
; %bb.26:
	s_or_b32 exec_lo, exec_lo, s3
	v_mov_b32_e32 v7, 0
	ds_load_b128 v[7:10], v7 offset:48
	s_waitcnt lgkmcnt(0)
	v_mul_f64 v[11:12], v[1:2], v[9:10]
	v_mul_f64 v[14:15], v[3:4], v[9:10]
	s_delay_alu instid0(VALU_DEP_2) | instskip(NEXT) | instid1(VALU_DEP_2)
	v_fma_f64 v[9:10], v[3:4], v[7:8], -v[11:12]
	v_fma_f64 v[11:12], v[1:2], v[7:8], v[14:15]
	scratch_store_b128 off, v[9:12], off offset:48
.LBB96_27:
	s_or_b32 exec_lo, exec_lo, s2
	s_waitcnt_vscnt null, 0x0
	s_barrier
	buffer_gl0_inv
	scratch_load_b128 v[1:4], v109, off
	s_mov_b32 s2, exec_lo
	s_waitcnt vmcnt(0)
	ds_store_b128 v5, v[1:4]
	s_waitcnt lgkmcnt(0)
	s_barrier
	buffer_gl0_inv
	v_cmpx_gt_u32_e32 4, v108
	s_cbranch_execz .LBB96_31
; %bb.28:
	v_dual_mov_b32 v1, 0 :: v_dual_add_nc_u32 v8, 0x210, v21
	v_dual_mov_b32 v2, 0 :: v_dual_add_nc_u32 v7, -1, v108
	v_or_b32_e32 v9, 8, v13
	s_mov_b32 s3, 0
	s_delay_alu instid0(VALU_DEP_2)
	v_dual_mov_b32 v4, v2 :: v_dual_mov_b32 v3, v1
	.p2align	6
.LBB96_29:                              ; =>This Inner Loop Header: Depth=1
	scratch_load_b128 v[14:17], v9, off offset:-8
	ds_load_b128 v[22:25], v8
	v_add_nc_u32_e32 v7, 1, v7
	v_add_nc_u32_e32 v8, 16, v8
	;; [unrolled: 1-line block ×3, first 2 shown]
	s_delay_alu instid0(VALU_DEP_3) | instskip(SKIP_4) | instid1(VALU_DEP_2)
	v_cmp_lt_u32_e32 vcc_lo, 2, v7
	s_or_b32 s3, vcc_lo, s3
	s_waitcnt vmcnt(0) lgkmcnt(0)
	v_mul_f64 v[10:11], v[24:25], v[16:17]
	v_mul_f64 v[16:17], v[22:23], v[16:17]
	v_fma_f64 v[10:11], v[22:23], v[14:15], -v[10:11]
	s_delay_alu instid0(VALU_DEP_2) | instskip(NEXT) | instid1(VALU_DEP_2)
	v_fma_f64 v[14:15], v[24:25], v[14:15], v[16:17]
	v_add_f64 v[3:4], v[3:4], v[10:11]
	s_delay_alu instid0(VALU_DEP_2)
	v_add_f64 v[1:2], v[1:2], v[14:15]
	s_and_not1_b32 exec_lo, exec_lo, s3
	s_cbranch_execnz .LBB96_29
; %bb.30:
	s_or_b32 exec_lo, exec_lo, s3
	v_mov_b32_e32 v7, 0
	ds_load_b128 v[7:10], v7 offset:64
	s_waitcnt lgkmcnt(0)
	v_mul_f64 v[11:12], v[1:2], v[9:10]
	v_mul_f64 v[14:15], v[3:4], v[9:10]
	s_delay_alu instid0(VALU_DEP_2) | instskip(NEXT) | instid1(VALU_DEP_2)
	v_fma_f64 v[9:10], v[3:4], v[7:8], -v[11:12]
	v_fma_f64 v[11:12], v[1:2], v[7:8], v[14:15]
	scratch_store_b128 off, v[9:12], off offset:64
.LBB96_31:
	s_or_b32 exec_lo, exec_lo, s2
	s_waitcnt_vscnt null, 0x0
	s_barrier
	buffer_gl0_inv
	scratch_load_b128 v[1:4], v140, off
	s_mov_b32 s2, exec_lo
	s_waitcnt vmcnt(0)
	ds_store_b128 v5, v[1:4]
	s_waitcnt lgkmcnt(0)
	s_barrier
	buffer_gl0_inv
	v_cmpx_gt_u32_e32 5, v108
	s_cbranch_execz .LBB96_35
; %bb.32:
	v_dual_mov_b32 v1, 0 :: v_dual_add_nc_u32 v8, 0x210, v21
	v_dual_mov_b32 v2, 0 :: v_dual_add_nc_u32 v7, -1, v108
	v_or_b32_e32 v9, 8, v13
	s_mov_b32 s3, 0
	s_delay_alu instid0(VALU_DEP_2)
	v_dual_mov_b32 v4, v2 :: v_dual_mov_b32 v3, v1
	.p2align	6
.LBB96_33:                              ; =>This Inner Loop Header: Depth=1
	scratch_load_b128 v[14:17], v9, off offset:-8
	ds_load_b128 v[22:25], v8
	v_add_nc_u32_e32 v7, 1, v7
	v_add_nc_u32_e32 v8, 16, v8
	;; [unrolled: 1-line block ×3, first 2 shown]
	s_delay_alu instid0(VALU_DEP_3) | instskip(SKIP_4) | instid1(VALU_DEP_2)
	v_cmp_lt_u32_e32 vcc_lo, 3, v7
	s_or_b32 s3, vcc_lo, s3
	s_waitcnt vmcnt(0) lgkmcnt(0)
	v_mul_f64 v[10:11], v[24:25], v[16:17]
	v_mul_f64 v[16:17], v[22:23], v[16:17]
	v_fma_f64 v[10:11], v[22:23], v[14:15], -v[10:11]
	s_delay_alu instid0(VALU_DEP_2) | instskip(NEXT) | instid1(VALU_DEP_2)
	v_fma_f64 v[14:15], v[24:25], v[14:15], v[16:17]
	v_add_f64 v[3:4], v[3:4], v[10:11]
	s_delay_alu instid0(VALU_DEP_2)
	v_add_f64 v[1:2], v[1:2], v[14:15]
	s_and_not1_b32 exec_lo, exec_lo, s3
	s_cbranch_execnz .LBB96_33
; %bb.34:
	s_or_b32 exec_lo, exec_lo, s3
	v_mov_b32_e32 v7, 0
	ds_load_b128 v[7:10], v7 offset:80
	s_waitcnt lgkmcnt(0)
	v_mul_f64 v[11:12], v[1:2], v[9:10]
	v_mul_f64 v[14:15], v[3:4], v[9:10]
	s_delay_alu instid0(VALU_DEP_2) | instskip(NEXT) | instid1(VALU_DEP_2)
	v_fma_f64 v[9:10], v[3:4], v[7:8], -v[11:12]
	v_fma_f64 v[11:12], v[1:2], v[7:8], v[14:15]
	scratch_store_b128 off, v[9:12], off offset:80
.LBB96_35:
	s_or_b32 exec_lo, exec_lo, s2
	s_waitcnt_vscnt null, 0x0
	s_barrier
	buffer_gl0_inv
	scratch_load_b128 v[1:4], v139, off
	s_mov_b32 s2, exec_lo
	s_waitcnt vmcnt(0)
	ds_store_b128 v5, v[1:4]
	s_waitcnt lgkmcnt(0)
	s_barrier
	buffer_gl0_inv
	v_cmpx_gt_u32_e32 6, v108
	s_cbranch_execz .LBB96_39
; %bb.36:
	v_dual_mov_b32 v1, 0 :: v_dual_add_nc_u32 v8, 0x210, v21
	v_dual_mov_b32 v2, 0 :: v_dual_add_nc_u32 v7, -1, v108
	v_or_b32_e32 v9, 8, v13
	s_mov_b32 s3, 0
	s_delay_alu instid0(VALU_DEP_2)
	v_dual_mov_b32 v4, v2 :: v_dual_mov_b32 v3, v1
	.p2align	6
.LBB96_37:                              ; =>This Inner Loop Header: Depth=1
	scratch_load_b128 v[14:17], v9, off offset:-8
	ds_load_b128 v[22:25], v8
	v_add_nc_u32_e32 v7, 1, v7
	v_add_nc_u32_e32 v8, 16, v8
	;; [unrolled: 1-line block ×3, first 2 shown]
	s_delay_alu instid0(VALU_DEP_3) | instskip(SKIP_4) | instid1(VALU_DEP_2)
	v_cmp_lt_u32_e32 vcc_lo, 4, v7
	s_or_b32 s3, vcc_lo, s3
	s_waitcnt vmcnt(0) lgkmcnt(0)
	v_mul_f64 v[10:11], v[24:25], v[16:17]
	v_mul_f64 v[16:17], v[22:23], v[16:17]
	v_fma_f64 v[10:11], v[22:23], v[14:15], -v[10:11]
	s_delay_alu instid0(VALU_DEP_2) | instskip(NEXT) | instid1(VALU_DEP_2)
	v_fma_f64 v[14:15], v[24:25], v[14:15], v[16:17]
	v_add_f64 v[3:4], v[3:4], v[10:11]
	s_delay_alu instid0(VALU_DEP_2)
	v_add_f64 v[1:2], v[1:2], v[14:15]
	s_and_not1_b32 exec_lo, exec_lo, s3
	s_cbranch_execnz .LBB96_37
; %bb.38:
	s_or_b32 exec_lo, exec_lo, s3
	v_mov_b32_e32 v7, 0
	ds_load_b128 v[7:10], v7 offset:96
	s_waitcnt lgkmcnt(0)
	v_mul_f64 v[11:12], v[1:2], v[9:10]
	v_mul_f64 v[14:15], v[3:4], v[9:10]
	s_delay_alu instid0(VALU_DEP_2) | instskip(NEXT) | instid1(VALU_DEP_2)
	v_fma_f64 v[9:10], v[3:4], v[7:8], -v[11:12]
	v_fma_f64 v[11:12], v[1:2], v[7:8], v[14:15]
	scratch_store_b128 off, v[9:12], off offset:96
.LBB96_39:
	s_or_b32 exec_lo, exec_lo, s2
	s_waitcnt_vscnt null, 0x0
	s_barrier
	buffer_gl0_inv
	scratch_load_b128 v[1:4], v138, off
	s_mov_b32 s2, exec_lo
	s_waitcnt vmcnt(0)
	ds_store_b128 v5, v[1:4]
	s_waitcnt lgkmcnt(0)
	s_barrier
	buffer_gl0_inv
	v_cmpx_gt_u32_e32 7, v108
	s_cbranch_execz .LBB96_43
; %bb.40:
	v_dual_mov_b32 v1, 0 :: v_dual_add_nc_u32 v8, 0x210, v21
	v_dual_mov_b32 v2, 0 :: v_dual_add_nc_u32 v7, -1, v108
	v_or_b32_e32 v9, 8, v13
	s_mov_b32 s3, 0
	s_delay_alu instid0(VALU_DEP_2)
	v_dual_mov_b32 v4, v2 :: v_dual_mov_b32 v3, v1
	.p2align	6
.LBB96_41:                              ; =>This Inner Loop Header: Depth=1
	scratch_load_b128 v[14:17], v9, off offset:-8
	ds_load_b128 v[22:25], v8
	v_add_nc_u32_e32 v7, 1, v7
	v_add_nc_u32_e32 v8, 16, v8
	;; [unrolled: 1-line block ×3, first 2 shown]
	s_delay_alu instid0(VALU_DEP_3) | instskip(SKIP_4) | instid1(VALU_DEP_2)
	v_cmp_lt_u32_e32 vcc_lo, 5, v7
	s_or_b32 s3, vcc_lo, s3
	s_waitcnt vmcnt(0) lgkmcnt(0)
	v_mul_f64 v[10:11], v[24:25], v[16:17]
	v_mul_f64 v[16:17], v[22:23], v[16:17]
	v_fma_f64 v[10:11], v[22:23], v[14:15], -v[10:11]
	s_delay_alu instid0(VALU_DEP_2) | instskip(NEXT) | instid1(VALU_DEP_2)
	v_fma_f64 v[14:15], v[24:25], v[14:15], v[16:17]
	v_add_f64 v[3:4], v[3:4], v[10:11]
	s_delay_alu instid0(VALU_DEP_2)
	v_add_f64 v[1:2], v[1:2], v[14:15]
	s_and_not1_b32 exec_lo, exec_lo, s3
	s_cbranch_execnz .LBB96_41
; %bb.42:
	s_or_b32 exec_lo, exec_lo, s3
	v_mov_b32_e32 v7, 0
	ds_load_b128 v[7:10], v7 offset:112
	s_waitcnt lgkmcnt(0)
	v_mul_f64 v[11:12], v[1:2], v[9:10]
	v_mul_f64 v[14:15], v[3:4], v[9:10]
	s_delay_alu instid0(VALU_DEP_2) | instskip(NEXT) | instid1(VALU_DEP_2)
	v_fma_f64 v[9:10], v[3:4], v[7:8], -v[11:12]
	v_fma_f64 v[11:12], v[1:2], v[7:8], v[14:15]
	scratch_store_b128 off, v[9:12], off offset:112
.LBB96_43:
	s_or_b32 exec_lo, exec_lo, s2
	s_waitcnt_vscnt null, 0x0
	s_barrier
	buffer_gl0_inv
	scratch_load_b128 v[1:4], v136, off
	s_mov_b32 s2, exec_lo
	s_waitcnt vmcnt(0)
	ds_store_b128 v5, v[1:4]
	s_waitcnt lgkmcnt(0)
	s_barrier
	buffer_gl0_inv
	v_cmpx_gt_u32_e32 8, v108
	s_cbranch_execz .LBB96_47
; %bb.44:
	v_dual_mov_b32 v1, 0 :: v_dual_add_nc_u32 v8, 0x210, v21
	v_dual_mov_b32 v2, 0 :: v_dual_add_nc_u32 v7, -1, v108
	v_or_b32_e32 v9, 8, v13
	s_mov_b32 s3, 0
	s_delay_alu instid0(VALU_DEP_2)
	v_dual_mov_b32 v4, v2 :: v_dual_mov_b32 v3, v1
	.p2align	6
.LBB96_45:                              ; =>This Inner Loop Header: Depth=1
	scratch_load_b128 v[14:17], v9, off offset:-8
	ds_load_b128 v[22:25], v8
	v_add_nc_u32_e32 v7, 1, v7
	v_add_nc_u32_e32 v8, 16, v8
	;; [unrolled: 1-line block ×3, first 2 shown]
	s_delay_alu instid0(VALU_DEP_3) | instskip(SKIP_4) | instid1(VALU_DEP_2)
	v_cmp_lt_u32_e32 vcc_lo, 6, v7
	s_or_b32 s3, vcc_lo, s3
	s_waitcnt vmcnt(0) lgkmcnt(0)
	v_mul_f64 v[10:11], v[24:25], v[16:17]
	v_mul_f64 v[16:17], v[22:23], v[16:17]
	v_fma_f64 v[10:11], v[22:23], v[14:15], -v[10:11]
	s_delay_alu instid0(VALU_DEP_2) | instskip(NEXT) | instid1(VALU_DEP_2)
	v_fma_f64 v[14:15], v[24:25], v[14:15], v[16:17]
	v_add_f64 v[3:4], v[3:4], v[10:11]
	s_delay_alu instid0(VALU_DEP_2)
	v_add_f64 v[1:2], v[1:2], v[14:15]
	s_and_not1_b32 exec_lo, exec_lo, s3
	s_cbranch_execnz .LBB96_45
; %bb.46:
	s_or_b32 exec_lo, exec_lo, s3
	v_mov_b32_e32 v7, 0
	ds_load_b128 v[7:10], v7 offset:128
	s_waitcnt lgkmcnt(0)
	v_mul_f64 v[11:12], v[1:2], v[9:10]
	v_mul_f64 v[14:15], v[3:4], v[9:10]
	s_delay_alu instid0(VALU_DEP_2) | instskip(NEXT) | instid1(VALU_DEP_2)
	v_fma_f64 v[9:10], v[3:4], v[7:8], -v[11:12]
	v_fma_f64 v[11:12], v[1:2], v[7:8], v[14:15]
	scratch_store_b128 off, v[9:12], off offset:128
.LBB96_47:
	s_or_b32 exec_lo, exec_lo, s2
	s_waitcnt_vscnt null, 0x0
	s_barrier
	buffer_gl0_inv
	scratch_load_b128 v[1:4], v137, off
	s_mov_b32 s2, exec_lo
	s_waitcnt vmcnt(0)
	ds_store_b128 v5, v[1:4]
	s_waitcnt lgkmcnt(0)
	s_barrier
	buffer_gl0_inv
	v_cmpx_gt_u32_e32 9, v108
	s_cbranch_execz .LBB96_51
; %bb.48:
	v_dual_mov_b32 v1, 0 :: v_dual_add_nc_u32 v8, 0x210, v21
	v_dual_mov_b32 v2, 0 :: v_dual_add_nc_u32 v7, -1, v108
	v_or_b32_e32 v9, 8, v13
	s_mov_b32 s3, 0
	s_delay_alu instid0(VALU_DEP_2)
	v_dual_mov_b32 v4, v2 :: v_dual_mov_b32 v3, v1
	.p2align	6
.LBB96_49:                              ; =>This Inner Loop Header: Depth=1
	scratch_load_b128 v[14:17], v9, off offset:-8
	ds_load_b128 v[22:25], v8
	v_add_nc_u32_e32 v7, 1, v7
	v_add_nc_u32_e32 v8, 16, v8
	;; [unrolled: 1-line block ×3, first 2 shown]
	s_delay_alu instid0(VALU_DEP_3) | instskip(SKIP_4) | instid1(VALU_DEP_2)
	v_cmp_lt_u32_e32 vcc_lo, 7, v7
	s_or_b32 s3, vcc_lo, s3
	s_waitcnt vmcnt(0) lgkmcnt(0)
	v_mul_f64 v[10:11], v[24:25], v[16:17]
	v_mul_f64 v[16:17], v[22:23], v[16:17]
	v_fma_f64 v[10:11], v[22:23], v[14:15], -v[10:11]
	s_delay_alu instid0(VALU_DEP_2) | instskip(NEXT) | instid1(VALU_DEP_2)
	v_fma_f64 v[14:15], v[24:25], v[14:15], v[16:17]
	v_add_f64 v[3:4], v[3:4], v[10:11]
	s_delay_alu instid0(VALU_DEP_2)
	v_add_f64 v[1:2], v[1:2], v[14:15]
	s_and_not1_b32 exec_lo, exec_lo, s3
	s_cbranch_execnz .LBB96_49
; %bb.50:
	s_or_b32 exec_lo, exec_lo, s3
	v_mov_b32_e32 v7, 0
	ds_load_b128 v[7:10], v7 offset:144
	s_waitcnt lgkmcnt(0)
	v_mul_f64 v[11:12], v[1:2], v[9:10]
	v_mul_f64 v[14:15], v[3:4], v[9:10]
	s_delay_alu instid0(VALU_DEP_2) | instskip(NEXT) | instid1(VALU_DEP_2)
	v_fma_f64 v[9:10], v[3:4], v[7:8], -v[11:12]
	v_fma_f64 v[11:12], v[1:2], v[7:8], v[14:15]
	scratch_store_b128 off, v[9:12], off offset:144
.LBB96_51:
	s_or_b32 exec_lo, exec_lo, s2
	s_waitcnt_vscnt null, 0x0
	s_barrier
	buffer_gl0_inv
	scratch_load_b128 v[1:4], v135, off
	s_mov_b32 s2, exec_lo
	s_waitcnt vmcnt(0)
	ds_store_b128 v5, v[1:4]
	s_waitcnt lgkmcnt(0)
	s_barrier
	buffer_gl0_inv
	v_cmpx_gt_u32_e32 10, v108
	s_cbranch_execz .LBB96_55
; %bb.52:
	v_dual_mov_b32 v1, 0 :: v_dual_add_nc_u32 v8, 0x210, v21
	v_dual_mov_b32 v2, 0 :: v_dual_add_nc_u32 v7, -1, v108
	v_or_b32_e32 v9, 8, v13
	s_mov_b32 s3, 0
	s_delay_alu instid0(VALU_DEP_2)
	v_dual_mov_b32 v4, v2 :: v_dual_mov_b32 v3, v1
	.p2align	6
.LBB96_53:                              ; =>This Inner Loop Header: Depth=1
	scratch_load_b128 v[14:17], v9, off offset:-8
	ds_load_b128 v[22:25], v8
	v_add_nc_u32_e32 v7, 1, v7
	v_add_nc_u32_e32 v8, 16, v8
	;; [unrolled: 1-line block ×3, first 2 shown]
	s_delay_alu instid0(VALU_DEP_3) | instskip(SKIP_4) | instid1(VALU_DEP_2)
	v_cmp_lt_u32_e32 vcc_lo, 8, v7
	s_or_b32 s3, vcc_lo, s3
	s_waitcnt vmcnt(0) lgkmcnt(0)
	v_mul_f64 v[10:11], v[24:25], v[16:17]
	v_mul_f64 v[16:17], v[22:23], v[16:17]
	v_fma_f64 v[10:11], v[22:23], v[14:15], -v[10:11]
	s_delay_alu instid0(VALU_DEP_2) | instskip(NEXT) | instid1(VALU_DEP_2)
	v_fma_f64 v[14:15], v[24:25], v[14:15], v[16:17]
	v_add_f64 v[3:4], v[3:4], v[10:11]
	s_delay_alu instid0(VALU_DEP_2)
	v_add_f64 v[1:2], v[1:2], v[14:15]
	s_and_not1_b32 exec_lo, exec_lo, s3
	s_cbranch_execnz .LBB96_53
; %bb.54:
	s_or_b32 exec_lo, exec_lo, s3
	v_mov_b32_e32 v7, 0
	ds_load_b128 v[7:10], v7 offset:160
	s_waitcnt lgkmcnt(0)
	v_mul_f64 v[11:12], v[1:2], v[9:10]
	v_mul_f64 v[14:15], v[3:4], v[9:10]
	s_delay_alu instid0(VALU_DEP_2) | instskip(NEXT) | instid1(VALU_DEP_2)
	v_fma_f64 v[9:10], v[3:4], v[7:8], -v[11:12]
	v_fma_f64 v[11:12], v[1:2], v[7:8], v[14:15]
	scratch_store_b128 off, v[9:12], off offset:160
.LBB96_55:
	s_or_b32 exec_lo, exec_lo, s2
	s_waitcnt_vscnt null, 0x0
	s_barrier
	buffer_gl0_inv
	scratch_load_b128 v[1:4], v134, off
	s_mov_b32 s2, exec_lo
	s_waitcnt vmcnt(0)
	ds_store_b128 v5, v[1:4]
	s_waitcnt lgkmcnt(0)
	s_barrier
	buffer_gl0_inv
	v_cmpx_gt_u32_e32 11, v108
	s_cbranch_execz .LBB96_59
; %bb.56:
	v_dual_mov_b32 v1, 0 :: v_dual_add_nc_u32 v8, 0x210, v21
	v_dual_mov_b32 v2, 0 :: v_dual_add_nc_u32 v7, -1, v108
	v_or_b32_e32 v9, 8, v13
	s_mov_b32 s3, 0
	s_delay_alu instid0(VALU_DEP_2)
	v_dual_mov_b32 v4, v2 :: v_dual_mov_b32 v3, v1
	.p2align	6
.LBB96_57:                              ; =>This Inner Loop Header: Depth=1
	scratch_load_b128 v[14:17], v9, off offset:-8
	ds_load_b128 v[22:25], v8
	v_add_nc_u32_e32 v7, 1, v7
	v_add_nc_u32_e32 v8, 16, v8
	;; [unrolled: 1-line block ×3, first 2 shown]
	s_delay_alu instid0(VALU_DEP_3) | instskip(SKIP_4) | instid1(VALU_DEP_2)
	v_cmp_lt_u32_e32 vcc_lo, 9, v7
	s_or_b32 s3, vcc_lo, s3
	s_waitcnt vmcnt(0) lgkmcnt(0)
	v_mul_f64 v[10:11], v[24:25], v[16:17]
	v_mul_f64 v[16:17], v[22:23], v[16:17]
	v_fma_f64 v[10:11], v[22:23], v[14:15], -v[10:11]
	s_delay_alu instid0(VALU_DEP_2) | instskip(NEXT) | instid1(VALU_DEP_2)
	v_fma_f64 v[14:15], v[24:25], v[14:15], v[16:17]
	v_add_f64 v[3:4], v[3:4], v[10:11]
	s_delay_alu instid0(VALU_DEP_2)
	v_add_f64 v[1:2], v[1:2], v[14:15]
	s_and_not1_b32 exec_lo, exec_lo, s3
	s_cbranch_execnz .LBB96_57
; %bb.58:
	s_or_b32 exec_lo, exec_lo, s3
	v_mov_b32_e32 v7, 0
	ds_load_b128 v[7:10], v7 offset:176
	s_waitcnt lgkmcnt(0)
	v_mul_f64 v[11:12], v[1:2], v[9:10]
	v_mul_f64 v[14:15], v[3:4], v[9:10]
	s_delay_alu instid0(VALU_DEP_2) | instskip(NEXT) | instid1(VALU_DEP_2)
	v_fma_f64 v[9:10], v[3:4], v[7:8], -v[11:12]
	v_fma_f64 v[11:12], v[1:2], v[7:8], v[14:15]
	scratch_store_b128 off, v[9:12], off offset:176
.LBB96_59:
	s_or_b32 exec_lo, exec_lo, s2
	s_waitcnt_vscnt null, 0x0
	s_barrier
	buffer_gl0_inv
	scratch_load_b128 v[1:4], v132, off
	s_mov_b32 s2, exec_lo
	s_waitcnt vmcnt(0)
	ds_store_b128 v5, v[1:4]
	s_waitcnt lgkmcnt(0)
	s_barrier
	buffer_gl0_inv
	v_cmpx_gt_u32_e32 12, v108
	s_cbranch_execz .LBB96_63
; %bb.60:
	v_dual_mov_b32 v1, 0 :: v_dual_add_nc_u32 v8, 0x210, v21
	v_dual_mov_b32 v2, 0 :: v_dual_add_nc_u32 v7, -1, v108
	v_or_b32_e32 v9, 8, v13
	s_mov_b32 s3, 0
	s_delay_alu instid0(VALU_DEP_2)
	v_dual_mov_b32 v4, v2 :: v_dual_mov_b32 v3, v1
	.p2align	6
.LBB96_61:                              ; =>This Inner Loop Header: Depth=1
	scratch_load_b128 v[14:17], v9, off offset:-8
	ds_load_b128 v[22:25], v8
	v_add_nc_u32_e32 v7, 1, v7
	v_add_nc_u32_e32 v8, 16, v8
	;; [unrolled: 1-line block ×3, first 2 shown]
	s_delay_alu instid0(VALU_DEP_3) | instskip(SKIP_4) | instid1(VALU_DEP_2)
	v_cmp_lt_u32_e32 vcc_lo, 10, v7
	s_or_b32 s3, vcc_lo, s3
	s_waitcnt vmcnt(0) lgkmcnt(0)
	v_mul_f64 v[10:11], v[24:25], v[16:17]
	v_mul_f64 v[16:17], v[22:23], v[16:17]
	v_fma_f64 v[10:11], v[22:23], v[14:15], -v[10:11]
	s_delay_alu instid0(VALU_DEP_2) | instskip(NEXT) | instid1(VALU_DEP_2)
	v_fma_f64 v[14:15], v[24:25], v[14:15], v[16:17]
	v_add_f64 v[3:4], v[3:4], v[10:11]
	s_delay_alu instid0(VALU_DEP_2)
	v_add_f64 v[1:2], v[1:2], v[14:15]
	s_and_not1_b32 exec_lo, exec_lo, s3
	s_cbranch_execnz .LBB96_61
; %bb.62:
	s_or_b32 exec_lo, exec_lo, s3
	v_mov_b32_e32 v7, 0
	ds_load_b128 v[7:10], v7 offset:192
	s_waitcnt lgkmcnt(0)
	v_mul_f64 v[11:12], v[1:2], v[9:10]
	v_mul_f64 v[14:15], v[3:4], v[9:10]
	s_delay_alu instid0(VALU_DEP_2) | instskip(NEXT) | instid1(VALU_DEP_2)
	v_fma_f64 v[9:10], v[3:4], v[7:8], -v[11:12]
	v_fma_f64 v[11:12], v[1:2], v[7:8], v[14:15]
	scratch_store_b128 off, v[9:12], off offset:192
.LBB96_63:
	s_or_b32 exec_lo, exec_lo, s2
	s_waitcnt_vscnt null, 0x0
	s_barrier
	buffer_gl0_inv
	scratch_load_b128 v[1:4], v133, off
	s_mov_b32 s2, exec_lo
	s_waitcnt vmcnt(0)
	ds_store_b128 v5, v[1:4]
	s_waitcnt lgkmcnt(0)
	s_barrier
	buffer_gl0_inv
	v_cmpx_gt_u32_e32 13, v108
	s_cbranch_execz .LBB96_67
; %bb.64:
	v_dual_mov_b32 v1, 0 :: v_dual_add_nc_u32 v8, 0x210, v21
	v_dual_mov_b32 v2, 0 :: v_dual_add_nc_u32 v7, -1, v108
	v_or_b32_e32 v9, 8, v13
	s_mov_b32 s3, 0
	s_delay_alu instid0(VALU_DEP_2)
	v_dual_mov_b32 v4, v2 :: v_dual_mov_b32 v3, v1
	.p2align	6
.LBB96_65:                              ; =>This Inner Loop Header: Depth=1
	scratch_load_b128 v[14:17], v9, off offset:-8
	ds_load_b128 v[22:25], v8
	v_add_nc_u32_e32 v7, 1, v7
	v_add_nc_u32_e32 v8, 16, v8
	;; [unrolled: 1-line block ×3, first 2 shown]
	s_delay_alu instid0(VALU_DEP_3) | instskip(SKIP_4) | instid1(VALU_DEP_2)
	v_cmp_lt_u32_e32 vcc_lo, 11, v7
	s_or_b32 s3, vcc_lo, s3
	s_waitcnt vmcnt(0) lgkmcnt(0)
	v_mul_f64 v[10:11], v[24:25], v[16:17]
	v_mul_f64 v[16:17], v[22:23], v[16:17]
	v_fma_f64 v[10:11], v[22:23], v[14:15], -v[10:11]
	s_delay_alu instid0(VALU_DEP_2) | instskip(NEXT) | instid1(VALU_DEP_2)
	v_fma_f64 v[14:15], v[24:25], v[14:15], v[16:17]
	v_add_f64 v[3:4], v[3:4], v[10:11]
	s_delay_alu instid0(VALU_DEP_2)
	v_add_f64 v[1:2], v[1:2], v[14:15]
	s_and_not1_b32 exec_lo, exec_lo, s3
	s_cbranch_execnz .LBB96_65
; %bb.66:
	s_or_b32 exec_lo, exec_lo, s3
	v_mov_b32_e32 v7, 0
	ds_load_b128 v[7:10], v7 offset:208
	s_waitcnt lgkmcnt(0)
	v_mul_f64 v[11:12], v[1:2], v[9:10]
	v_mul_f64 v[14:15], v[3:4], v[9:10]
	s_delay_alu instid0(VALU_DEP_2) | instskip(NEXT) | instid1(VALU_DEP_2)
	v_fma_f64 v[9:10], v[3:4], v[7:8], -v[11:12]
	v_fma_f64 v[11:12], v[1:2], v[7:8], v[14:15]
	scratch_store_b128 off, v[9:12], off offset:208
.LBB96_67:
	s_or_b32 exec_lo, exec_lo, s2
	s_waitcnt_vscnt null, 0x0
	s_barrier
	buffer_gl0_inv
	scratch_load_b128 v[1:4], v131, off
	s_mov_b32 s2, exec_lo
	s_waitcnt vmcnt(0)
	ds_store_b128 v5, v[1:4]
	s_waitcnt lgkmcnt(0)
	s_barrier
	buffer_gl0_inv
	v_cmpx_gt_u32_e32 14, v108
	s_cbranch_execz .LBB96_71
; %bb.68:
	v_dual_mov_b32 v1, 0 :: v_dual_add_nc_u32 v8, 0x210, v21
	v_dual_mov_b32 v2, 0 :: v_dual_add_nc_u32 v7, -1, v108
	v_or_b32_e32 v9, 8, v13
	s_mov_b32 s3, 0
	s_delay_alu instid0(VALU_DEP_2)
	v_dual_mov_b32 v4, v2 :: v_dual_mov_b32 v3, v1
	.p2align	6
.LBB96_69:                              ; =>This Inner Loop Header: Depth=1
	scratch_load_b128 v[14:17], v9, off offset:-8
	ds_load_b128 v[22:25], v8
	v_add_nc_u32_e32 v7, 1, v7
	v_add_nc_u32_e32 v8, 16, v8
	;; [unrolled: 1-line block ×3, first 2 shown]
	s_delay_alu instid0(VALU_DEP_3) | instskip(SKIP_4) | instid1(VALU_DEP_2)
	v_cmp_lt_u32_e32 vcc_lo, 12, v7
	s_or_b32 s3, vcc_lo, s3
	s_waitcnt vmcnt(0) lgkmcnt(0)
	v_mul_f64 v[10:11], v[24:25], v[16:17]
	v_mul_f64 v[16:17], v[22:23], v[16:17]
	v_fma_f64 v[10:11], v[22:23], v[14:15], -v[10:11]
	s_delay_alu instid0(VALU_DEP_2) | instskip(NEXT) | instid1(VALU_DEP_2)
	v_fma_f64 v[14:15], v[24:25], v[14:15], v[16:17]
	v_add_f64 v[3:4], v[3:4], v[10:11]
	s_delay_alu instid0(VALU_DEP_2)
	v_add_f64 v[1:2], v[1:2], v[14:15]
	s_and_not1_b32 exec_lo, exec_lo, s3
	s_cbranch_execnz .LBB96_69
; %bb.70:
	s_or_b32 exec_lo, exec_lo, s3
	v_mov_b32_e32 v7, 0
	ds_load_b128 v[7:10], v7 offset:224
	s_waitcnt lgkmcnt(0)
	v_mul_f64 v[11:12], v[1:2], v[9:10]
	v_mul_f64 v[14:15], v[3:4], v[9:10]
	s_delay_alu instid0(VALU_DEP_2) | instskip(NEXT) | instid1(VALU_DEP_2)
	v_fma_f64 v[9:10], v[3:4], v[7:8], -v[11:12]
	v_fma_f64 v[11:12], v[1:2], v[7:8], v[14:15]
	scratch_store_b128 off, v[9:12], off offset:224
.LBB96_71:
	s_or_b32 exec_lo, exec_lo, s2
	s_waitcnt_vscnt null, 0x0
	s_barrier
	buffer_gl0_inv
	scratch_load_b128 v[1:4], v130, off
	s_mov_b32 s2, exec_lo
	s_waitcnt vmcnt(0)
	ds_store_b128 v5, v[1:4]
	s_waitcnt lgkmcnt(0)
	s_barrier
	buffer_gl0_inv
	v_cmpx_gt_u32_e32 15, v108
	s_cbranch_execz .LBB96_75
; %bb.72:
	v_dual_mov_b32 v1, 0 :: v_dual_add_nc_u32 v8, 0x210, v21
	v_dual_mov_b32 v2, 0 :: v_dual_add_nc_u32 v7, -1, v108
	v_or_b32_e32 v9, 8, v13
	s_mov_b32 s3, 0
	s_delay_alu instid0(VALU_DEP_2)
	v_dual_mov_b32 v4, v2 :: v_dual_mov_b32 v3, v1
	.p2align	6
.LBB96_73:                              ; =>This Inner Loop Header: Depth=1
	scratch_load_b128 v[14:17], v9, off offset:-8
	ds_load_b128 v[22:25], v8
	v_add_nc_u32_e32 v7, 1, v7
	v_add_nc_u32_e32 v8, 16, v8
	;; [unrolled: 1-line block ×3, first 2 shown]
	s_delay_alu instid0(VALU_DEP_3) | instskip(SKIP_4) | instid1(VALU_DEP_2)
	v_cmp_lt_u32_e32 vcc_lo, 13, v7
	s_or_b32 s3, vcc_lo, s3
	s_waitcnt vmcnt(0) lgkmcnt(0)
	v_mul_f64 v[10:11], v[24:25], v[16:17]
	v_mul_f64 v[16:17], v[22:23], v[16:17]
	v_fma_f64 v[10:11], v[22:23], v[14:15], -v[10:11]
	s_delay_alu instid0(VALU_DEP_2) | instskip(NEXT) | instid1(VALU_DEP_2)
	v_fma_f64 v[14:15], v[24:25], v[14:15], v[16:17]
	v_add_f64 v[3:4], v[3:4], v[10:11]
	s_delay_alu instid0(VALU_DEP_2)
	v_add_f64 v[1:2], v[1:2], v[14:15]
	s_and_not1_b32 exec_lo, exec_lo, s3
	s_cbranch_execnz .LBB96_73
; %bb.74:
	s_or_b32 exec_lo, exec_lo, s3
	v_mov_b32_e32 v7, 0
	ds_load_b128 v[7:10], v7 offset:240
	s_waitcnt lgkmcnt(0)
	v_mul_f64 v[11:12], v[1:2], v[9:10]
	v_mul_f64 v[14:15], v[3:4], v[9:10]
	s_delay_alu instid0(VALU_DEP_2) | instskip(NEXT) | instid1(VALU_DEP_2)
	v_fma_f64 v[9:10], v[3:4], v[7:8], -v[11:12]
	v_fma_f64 v[11:12], v[1:2], v[7:8], v[14:15]
	scratch_store_b128 off, v[9:12], off offset:240
.LBB96_75:
	s_or_b32 exec_lo, exec_lo, s2
	s_waitcnt_vscnt null, 0x0
	s_barrier
	buffer_gl0_inv
	scratch_load_b128 v[1:4], v128, off
	s_mov_b32 s2, exec_lo
	s_waitcnt vmcnt(0)
	ds_store_b128 v5, v[1:4]
	s_waitcnt lgkmcnt(0)
	s_barrier
	buffer_gl0_inv
	v_cmpx_gt_u32_e32 16, v108
	s_cbranch_execz .LBB96_79
; %bb.76:
	v_dual_mov_b32 v1, 0 :: v_dual_add_nc_u32 v8, 0x210, v21
	v_dual_mov_b32 v2, 0 :: v_dual_add_nc_u32 v7, -1, v108
	v_or_b32_e32 v9, 8, v13
	s_mov_b32 s3, 0
	s_delay_alu instid0(VALU_DEP_2)
	v_dual_mov_b32 v4, v2 :: v_dual_mov_b32 v3, v1
	.p2align	6
.LBB96_77:                              ; =>This Inner Loop Header: Depth=1
	scratch_load_b128 v[14:17], v9, off offset:-8
	ds_load_b128 v[22:25], v8
	v_add_nc_u32_e32 v7, 1, v7
	v_add_nc_u32_e32 v8, 16, v8
	;; [unrolled: 1-line block ×3, first 2 shown]
	s_delay_alu instid0(VALU_DEP_3) | instskip(SKIP_4) | instid1(VALU_DEP_2)
	v_cmp_lt_u32_e32 vcc_lo, 14, v7
	s_or_b32 s3, vcc_lo, s3
	s_waitcnt vmcnt(0) lgkmcnt(0)
	v_mul_f64 v[10:11], v[24:25], v[16:17]
	v_mul_f64 v[16:17], v[22:23], v[16:17]
	v_fma_f64 v[10:11], v[22:23], v[14:15], -v[10:11]
	s_delay_alu instid0(VALU_DEP_2) | instskip(NEXT) | instid1(VALU_DEP_2)
	v_fma_f64 v[14:15], v[24:25], v[14:15], v[16:17]
	v_add_f64 v[3:4], v[3:4], v[10:11]
	s_delay_alu instid0(VALU_DEP_2)
	v_add_f64 v[1:2], v[1:2], v[14:15]
	s_and_not1_b32 exec_lo, exec_lo, s3
	s_cbranch_execnz .LBB96_77
; %bb.78:
	s_or_b32 exec_lo, exec_lo, s3
	v_mov_b32_e32 v7, 0
	ds_load_b128 v[7:10], v7 offset:256
	s_waitcnt lgkmcnt(0)
	v_mul_f64 v[11:12], v[1:2], v[9:10]
	v_mul_f64 v[14:15], v[3:4], v[9:10]
	s_delay_alu instid0(VALU_DEP_2) | instskip(NEXT) | instid1(VALU_DEP_2)
	v_fma_f64 v[9:10], v[3:4], v[7:8], -v[11:12]
	v_fma_f64 v[11:12], v[1:2], v[7:8], v[14:15]
	scratch_store_b128 off, v[9:12], off offset:256
.LBB96_79:
	s_or_b32 exec_lo, exec_lo, s2
	s_waitcnt_vscnt null, 0x0
	s_barrier
	buffer_gl0_inv
	scratch_load_b128 v[1:4], v129, off
	s_mov_b32 s2, exec_lo
	s_waitcnt vmcnt(0)
	ds_store_b128 v5, v[1:4]
	s_waitcnt lgkmcnt(0)
	s_barrier
	buffer_gl0_inv
	v_cmpx_gt_u32_e32 17, v108
	s_cbranch_execz .LBB96_83
; %bb.80:
	v_dual_mov_b32 v1, 0 :: v_dual_add_nc_u32 v8, 0x210, v21
	v_dual_mov_b32 v2, 0 :: v_dual_add_nc_u32 v7, -1, v108
	v_or_b32_e32 v9, 8, v13
	s_mov_b32 s3, 0
	s_delay_alu instid0(VALU_DEP_2)
	v_dual_mov_b32 v4, v2 :: v_dual_mov_b32 v3, v1
	.p2align	6
.LBB96_81:                              ; =>This Inner Loop Header: Depth=1
	scratch_load_b128 v[14:17], v9, off offset:-8
	ds_load_b128 v[22:25], v8
	v_add_nc_u32_e32 v7, 1, v7
	v_add_nc_u32_e32 v8, 16, v8
	;; [unrolled: 1-line block ×3, first 2 shown]
	s_delay_alu instid0(VALU_DEP_3) | instskip(SKIP_4) | instid1(VALU_DEP_2)
	v_cmp_lt_u32_e32 vcc_lo, 15, v7
	s_or_b32 s3, vcc_lo, s3
	s_waitcnt vmcnt(0) lgkmcnt(0)
	v_mul_f64 v[10:11], v[24:25], v[16:17]
	v_mul_f64 v[16:17], v[22:23], v[16:17]
	v_fma_f64 v[10:11], v[22:23], v[14:15], -v[10:11]
	s_delay_alu instid0(VALU_DEP_2) | instskip(NEXT) | instid1(VALU_DEP_2)
	v_fma_f64 v[14:15], v[24:25], v[14:15], v[16:17]
	v_add_f64 v[3:4], v[3:4], v[10:11]
	s_delay_alu instid0(VALU_DEP_2)
	v_add_f64 v[1:2], v[1:2], v[14:15]
	s_and_not1_b32 exec_lo, exec_lo, s3
	s_cbranch_execnz .LBB96_81
; %bb.82:
	s_or_b32 exec_lo, exec_lo, s3
	v_mov_b32_e32 v7, 0
	ds_load_b128 v[7:10], v7 offset:272
	s_waitcnt lgkmcnt(0)
	v_mul_f64 v[11:12], v[1:2], v[9:10]
	v_mul_f64 v[14:15], v[3:4], v[9:10]
	s_delay_alu instid0(VALU_DEP_2) | instskip(NEXT) | instid1(VALU_DEP_2)
	v_fma_f64 v[9:10], v[3:4], v[7:8], -v[11:12]
	v_fma_f64 v[11:12], v[1:2], v[7:8], v[14:15]
	scratch_store_b128 off, v[9:12], off offset:272
.LBB96_83:
	s_or_b32 exec_lo, exec_lo, s2
	s_waitcnt_vscnt null, 0x0
	s_barrier
	buffer_gl0_inv
	scratch_load_b128 v[1:4], v127, off
	s_mov_b32 s2, exec_lo
	s_waitcnt vmcnt(0)
	ds_store_b128 v5, v[1:4]
	s_waitcnt lgkmcnt(0)
	s_barrier
	buffer_gl0_inv
	v_cmpx_gt_u32_e32 18, v108
	s_cbranch_execz .LBB96_87
; %bb.84:
	v_dual_mov_b32 v1, 0 :: v_dual_add_nc_u32 v8, 0x210, v21
	v_dual_mov_b32 v2, 0 :: v_dual_add_nc_u32 v7, -1, v108
	v_or_b32_e32 v9, 8, v13
	s_mov_b32 s3, 0
	s_delay_alu instid0(VALU_DEP_2)
	v_dual_mov_b32 v4, v2 :: v_dual_mov_b32 v3, v1
	.p2align	6
.LBB96_85:                              ; =>This Inner Loop Header: Depth=1
	scratch_load_b128 v[14:17], v9, off offset:-8
	ds_load_b128 v[22:25], v8
	v_add_nc_u32_e32 v7, 1, v7
	v_add_nc_u32_e32 v8, 16, v8
	;; [unrolled: 1-line block ×3, first 2 shown]
	s_delay_alu instid0(VALU_DEP_3) | instskip(SKIP_4) | instid1(VALU_DEP_2)
	v_cmp_lt_u32_e32 vcc_lo, 16, v7
	s_or_b32 s3, vcc_lo, s3
	s_waitcnt vmcnt(0) lgkmcnt(0)
	v_mul_f64 v[10:11], v[24:25], v[16:17]
	v_mul_f64 v[16:17], v[22:23], v[16:17]
	v_fma_f64 v[10:11], v[22:23], v[14:15], -v[10:11]
	s_delay_alu instid0(VALU_DEP_2) | instskip(NEXT) | instid1(VALU_DEP_2)
	v_fma_f64 v[14:15], v[24:25], v[14:15], v[16:17]
	v_add_f64 v[3:4], v[3:4], v[10:11]
	s_delay_alu instid0(VALU_DEP_2)
	v_add_f64 v[1:2], v[1:2], v[14:15]
	s_and_not1_b32 exec_lo, exec_lo, s3
	s_cbranch_execnz .LBB96_85
; %bb.86:
	s_or_b32 exec_lo, exec_lo, s3
	v_mov_b32_e32 v7, 0
	ds_load_b128 v[7:10], v7 offset:288
	s_waitcnt lgkmcnt(0)
	v_mul_f64 v[11:12], v[1:2], v[9:10]
	v_mul_f64 v[14:15], v[3:4], v[9:10]
	s_delay_alu instid0(VALU_DEP_2) | instskip(NEXT) | instid1(VALU_DEP_2)
	v_fma_f64 v[9:10], v[3:4], v[7:8], -v[11:12]
	v_fma_f64 v[11:12], v[1:2], v[7:8], v[14:15]
	scratch_store_b128 off, v[9:12], off offset:288
.LBB96_87:
	s_or_b32 exec_lo, exec_lo, s2
	s_waitcnt_vscnt null, 0x0
	s_barrier
	buffer_gl0_inv
	scratch_load_b128 v[1:4], v117, off
	s_mov_b32 s2, exec_lo
	s_waitcnt vmcnt(0)
	ds_store_b128 v5, v[1:4]
	s_waitcnt lgkmcnt(0)
	s_barrier
	buffer_gl0_inv
	v_cmpx_gt_u32_e32 19, v108
	s_cbranch_execz .LBB96_91
; %bb.88:
	v_dual_mov_b32 v1, 0 :: v_dual_add_nc_u32 v8, 0x210, v21
	v_dual_mov_b32 v2, 0 :: v_dual_add_nc_u32 v7, -1, v108
	v_or_b32_e32 v9, 8, v13
	s_mov_b32 s3, 0
	s_delay_alu instid0(VALU_DEP_2)
	v_dual_mov_b32 v4, v2 :: v_dual_mov_b32 v3, v1
	.p2align	6
.LBB96_89:                              ; =>This Inner Loop Header: Depth=1
	scratch_load_b128 v[14:17], v9, off offset:-8
	ds_load_b128 v[22:25], v8
	v_add_nc_u32_e32 v7, 1, v7
	v_add_nc_u32_e32 v8, 16, v8
	;; [unrolled: 1-line block ×3, first 2 shown]
	s_delay_alu instid0(VALU_DEP_3) | instskip(SKIP_4) | instid1(VALU_DEP_2)
	v_cmp_lt_u32_e32 vcc_lo, 17, v7
	s_or_b32 s3, vcc_lo, s3
	s_waitcnt vmcnt(0) lgkmcnt(0)
	v_mul_f64 v[10:11], v[24:25], v[16:17]
	v_mul_f64 v[16:17], v[22:23], v[16:17]
	v_fma_f64 v[10:11], v[22:23], v[14:15], -v[10:11]
	s_delay_alu instid0(VALU_DEP_2) | instskip(NEXT) | instid1(VALU_DEP_2)
	v_fma_f64 v[14:15], v[24:25], v[14:15], v[16:17]
	v_add_f64 v[3:4], v[3:4], v[10:11]
	s_delay_alu instid0(VALU_DEP_2)
	v_add_f64 v[1:2], v[1:2], v[14:15]
	s_and_not1_b32 exec_lo, exec_lo, s3
	s_cbranch_execnz .LBB96_89
; %bb.90:
	s_or_b32 exec_lo, exec_lo, s3
	v_mov_b32_e32 v7, 0
	ds_load_b128 v[7:10], v7 offset:304
	s_waitcnt lgkmcnt(0)
	v_mul_f64 v[11:12], v[1:2], v[9:10]
	v_mul_f64 v[14:15], v[3:4], v[9:10]
	s_delay_alu instid0(VALU_DEP_2) | instskip(NEXT) | instid1(VALU_DEP_2)
	v_fma_f64 v[9:10], v[3:4], v[7:8], -v[11:12]
	v_fma_f64 v[11:12], v[1:2], v[7:8], v[14:15]
	scratch_store_b128 off, v[9:12], off offset:304
.LBB96_91:
	s_or_b32 exec_lo, exec_lo, s2
	s_waitcnt_vscnt null, 0x0
	s_barrier
	buffer_gl0_inv
	scratch_load_b128 v[1:4], v116, off
	s_mov_b32 s2, exec_lo
	s_waitcnt vmcnt(0)
	ds_store_b128 v5, v[1:4]
	s_waitcnt lgkmcnt(0)
	s_barrier
	buffer_gl0_inv
	v_cmpx_gt_u32_e32 20, v108
	s_cbranch_execz .LBB96_95
; %bb.92:
	v_dual_mov_b32 v1, 0 :: v_dual_add_nc_u32 v8, 0x210, v21
	v_dual_mov_b32 v2, 0 :: v_dual_add_nc_u32 v7, -1, v108
	v_or_b32_e32 v9, 8, v13
	s_mov_b32 s3, 0
	s_delay_alu instid0(VALU_DEP_2)
	v_dual_mov_b32 v4, v2 :: v_dual_mov_b32 v3, v1
	.p2align	6
.LBB96_93:                              ; =>This Inner Loop Header: Depth=1
	scratch_load_b128 v[14:17], v9, off offset:-8
	ds_load_b128 v[22:25], v8
	v_add_nc_u32_e32 v7, 1, v7
	v_add_nc_u32_e32 v8, 16, v8
	;; [unrolled: 1-line block ×3, first 2 shown]
	s_delay_alu instid0(VALU_DEP_3) | instskip(SKIP_4) | instid1(VALU_DEP_2)
	v_cmp_lt_u32_e32 vcc_lo, 18, v7
	s_or_b32 s3, vcc_lo, s3
	s_waitcnt vmcnt(0) lgkmcnt(0)
	v_mul_f64 v[10:11], v[24:25], v[16:17]
	v_mul_f64 v[16:17], v[22:23], v[16:17]
	v_fma_f64 v[10:11], v[22:23], v[14:15], -v[10:11]
	s_delay_alu instid0(VALU_DEP_2) | instskip(NEXT) | instid1(VALU_DEP_2)
	v_fma_f64 v[14:15], v[24:25], v[14:15], v[16:17]
	v_add_f64 v[3:4], v[3:4], v[10:11]
	s_delay_alu instid0(VALU_DEP_2)
	v_add_f64 v[1:2], v[1:2], v[14:15]
	s_and_not1_b32 exec_lo, exec_lo, s3
	s_cbranch_execnz .LBB96_93
; %bb.94:
	s_or_b32 exec_lo, exec_lo, s3
	v_mov_b32_e32 v7, 0
	ds_load_b128 v[7:10], v7 offset:320
	s_waitcnt lgkmcnt(0)
	v_mul_f64 v[11:12], v[1:2], v[9:10]
	v_mul_f64 v[14:15], v[3:4], v[9:10]
	s_delay_alu instid0(VALU_DEP_2) | instskip(NEXT) | instid1(VALU_DEP_2)
	v_fma_f64 v[9:10], v[3:4], v[7:8], -v[11:12]
	v_fma_f64 v[11:12], v[1:2], v[7:8], v[14:15]
	scratch_store_b128 off, v[9:12], off offset:320
.LBB96_95:
	s_or_b32 exec_lo, exec_lo, s2
	s_waitcnt_vscnt null, 0x0
	s_barrier
	buffer_gl0_inv
	scratch_load_b128 v[1:4], v126, off
	s_mov_b32 s2, exec_lo
	s_waitcnt vmcnt(0)
	ds_store_b128 v5, v[1:4]
	s_waitcnt lgkmcnt(0)
	s_barrier
	buffer_gl0_inv
	v_cmpx_gt_u32_e32 21, v108
	s_cbranch_execz .LBB96_99
; %bb.96:
	v_dual_mov_b32 v1, 0 :: v_dual_add_nc_u32 v8, 0x210, v21
	v_dual_mov_b32 v2, 0 :: v_dual_add_nc_u32 v7, -1, v108
	v_or_b32_e32 v9, 8, v13
	s_mov_b32 s3, 0
	s_delay_alu instid0(VALU_DEP_2)
	v_dual_mov_b32 v4, v2 :: v_dual_mov_b32 v3, v1
	.p2align	6
.LBB96_97:                              ; =>This Inner Loop Header: Depth=1
	scratch_load_b128 v[14:17], v9, off offset:-8
	ds_load_b128 v[22:25], v8
	v_add_nc_u32_e32 v7, 1, v7
	v_add_nc_u32_e32 v8, 16, v8
	;; [unrolled: 1-line block ×3, first 2 shown]
	s_delay_alu instid0(VALU_DEP_3) | instskip(SKIP_4) | instid1(VALU_DEP_2)
	v_cmp_lt_u32_e32 vcc_lo, 19, v7
	s_or_b32 s3, vcc_lo, s3
	s_waitcnt vmcnt(0) lgkmcnt(0)
	v_mul_f64 v[10:11], v[24:25], v[16:17]
	v_mul_f64 v[16:17], v[22:23], v[16:17]
	v_fma_f64 v[10:11], v[22:23], v[14:15], -v[10:11]
	s_delay_alu instid0(VALU_DEP_2) | instskip(NEXT) | instid1(VALU_DEP_2)
	v_fma_f64 v[14:15], v[24:25], v[14:15], v[16:17]
	v_add_f64 v[3:4], v[3:4], v[10:11]
	s_delay_alu instid0(VALU_DEP_2)
	v_add_f64 v[1:2], v[1:2], v[14:15]
	s_and_not1_b32 exec_lo, exec_lo, s3
	s_cbranch_execnz .LBB96_97
; %bb.98:
	s_or_b32 exec_lo, exec_lo, s3
	v_mov_b32_e32 v7, 0
	ds_load_b128 v[7:10], v7 offset:336
	s_waitcnt lgkmcnt(0)
	v_mul_f64 v[11:12], v[1:2], v[9:10]
	v_mul_f64 v[14:15], v[3:4], v[9:10]
	s_delay_alu instid0(VALU_DEP_2) | instskip(NEXT) | instid1(VALU_DEP_2)
	v_fma_f64 v[9:10], v[3:4], v[7:8], -v[11:12]
	v_fma_f64 v[11:12], v[1:2], v[7:8], v[14:15]
	scratch_store_b128 off, v[9:12], off offset:336
.LBB96_99:
	s_or_b32 exec_lo, exec_lo, s2
	s_waitcnt_vscnt null, 0x0
	s_barrier
	buffer_gl0_inv
	scratch_load_b128 v[1:4], v125, off
	s_mov_b32 s2, exec_lo
	s_waitcnt vmcnt(0)
	ds_store_b128 v5, v[1:4]
	s_waitcnt lgkmcnt(0)
	s_barrier
	buffer_gl0_inv
	v_cmpx_gt_u32_e32 22, v108
	s_cbranch_execz .LBB96_103
; %bb.100:
	v_dual_mov_b32 v1, 0 :: v_dual_add_nc_u32 v8, 0x210, v21
	v_dual_mov_b32 v2, 0 :: v_dual_add_nc_u32 v7, -1, v108
	v_or_b32_e32 v9, 8, v13
	s_mov_b32 s3, 0
	s_delay_alu instid0(VALU_DEP_2)
	v_dual_mov_b32 v4, v2 :: v_dual_mov_b32 v3, v1
	.p2align	6
.LBB96_101:                             ; =>This Inner Loop Header: Depth=1
	scratch_load_b128 v[14:17], v9, off offset:-8
	ds_load_b128 v[22:25], v8
	v_add_nc_u32_e32 v7, 1, v7
	v_add_nc_u32_e32 v8, 16, v8
	;; [unrolled: 1-line block ×3, first 2 shown]
	s_delay_alu instid0(VALU_DEP_3) | instskip(SKIP_4) | instid1(VALU_DEP_2)
	v_cmp_lt_u32_e32 vcc_lo, 20, v7
	s_or_b32 s3, vcc_lo, s3
	s_waitcnt vmcnt(0) lgkmcnt(0)
	v_mul_f64 v[10:11], v[24:25], v[16:17]
	v_mul_f64 v[16:17], v[22:23], v[16:17]
	v_fma_f64 v[10:11], v[22:23], v[14:15], -v[10:11]
	s_delay_alu instid0(VALU_DEP_2) | instskip(NEXT) | instid1(VALU_DEP_2)
	v_fma_f64 v[14:15], v[24:25], v[14:15], v[16:17]
	v_add_f64 v[3:4], v[3:4], v[10:11]
	s_delay_alu instid0(VALU_DEP_2)
	v_add_f64 v[1:2], v[1:2], v[14:15]
	s_and_not1_b32 exec_lo, exec_lo, s3
	s_cbranch_execnz .LBB96_101
; %bb.102:
	s_or_b32 exec_lo, exec_lo, s3
	v_mov_b32_e32 v7, 0
	ds_load_b128 v[7:10], v7 offset:352
	s_waitcnt lgkmcnt(0)
	v_mul_f64 v[11:12], v[1:2], v[9:10]
	v_mul_f64 v[14:15], v[3:4], v[9:10]
	s_delay_alu instid0(VALU_DEP_2) | instskip(NEXT) | instid1(VALU_DEP_2)
	v_fma_f64 v[9:10], v[3:4], v[7:8], -v[11:12]
	v_fma_f64 v[11:12], v[1:2], v[7:8], v[14:15]
	scratch_store_b128 off, v[9:12], off offset:352
.LBB96_103:
	s_or_b32 exec_lo, exec_lo, s2
	s_waitcnt_vscnt null, 0x0
	s_barrier
	buffer_gl0_inv
	scratch_load_b128 v[1:4], v124, off
	s_mov_b32 s2, exec_lo
	s_waitcnt vmcnt(0)
	ds_store_b128 v5, v[1:4]
	s_waitcnt lgkmcnt(0)
	s_barrier
	buffer_gl0_inv
	v_cmpx_gt_u32_e32 23, v108
	s_cbranch_execz .LBB96_107
; %bb.104:
	v_dual_mov_b32 v1, 0 :: v_dual_add_nc_u32 v8, 0x210, v21
	v_dual_mov_b32 v2, 0 :: v_dual_add_nc_u32 v7, -1, v108
	v_or_b32_e32 v9, 8, v13
	s_mov_b32 s3, 0
	s_delay_alu instid0(VALU_DEP_2)
	v_dual_mov_b32 v4, v2 :: v_dual_mov_b32 v3, v1
	.p2align	6
.LBB96_105:                             ; =>This Inner Loop Header: Depth=1
	scratch_load_b128 v[14:17], v9, off offset:-8
	ds_load_b128 v[22:25], v8
	v_add_nc_u32_e32 v7, 1, v7
	v_add_nc_u32_e32 v8, 16, v8
	;; [unrolled: 1-line block ×3, first 2 shown]
	s_delay_alu instid0(VALU_DEP_3) | instskip(SKIP_4) | instid1(VALU_DEP_2)
	v_cmp_lt_u32_e32 vcc_lo, 21, v7
	s_or_b32 s3, vcc_lo, s3
	s_waitcnt vmcnt(0) lgkmcnt(0)
	v_mul_f64 v[10:11], v[24:25], v[16:17]
	v_mul_f64 v[16:17], v[22:23], v[16:17]
	v_fma_f64 v[10:11], v[22:23], v[14:15], -v[10:11]
	s_delay_alu instid0(VALU_DEP_2) | instskip(NEXT) | instid1(VALU_DEP_2)
	v_fma_f64 v[14:15], v[24:25], v[14:15], v[16:17]
	v_add_f64 v[3:4], v[3:4], v[10:11]
	s_delay_alu instid0(VALU_DEP_2)
	v_add_f64 v[1:2], v[1:2], v[14:15]
	s_and_not1_b32 exec_lo, exec_lo, s3
	s_cbranch_execnz .LBB96_105
; %bb.106:
	s_or_b32 exec_lo, exec_lo, s3
	v_mov_b32_e32 v7, 0
	ds_load_b128 v[7:10], v7 offset:368
	s_waitcnt lgkmcnt(0)
	v_mul_f64 v[11:12], v[1:2], v[9:10]
	v_mul_f64 v[14:15], v[3:4], v[9:10]
	s_delay_alu instid0(VALU_DEP_2) | instskip(NEXT) | instid1(VALU_DEP_2)
	v_fma_f64 v[9:10], v[3:4], v[7:8], -v[11:12]
	v_fma_f64 v[11:12], v[1:2], v[7:8], v[14:15]
	scratch_store_b128 off, v[9:12], off offset:368
.LBB96_107:
	s_or_b32 exec_lo, exec_lo, s2
	s_waitcnt_vscnt null, 0x0
	s_barrier
	buffer_gl0_inv
	scratch_load_b128 v[1:4], v123, off
	s_mov_b32 s2, exec_lo
	s_waitcnt vmcnt(0)
	ds_store_b128 v5, v[1:4]
	s_waitcnt lgkmcnt(0)
	s_barrier
	buffer_gl0_inv
	v_cmpx_gt_u32_e32 24, v108
	s_cbranch_execz .LBB96_111
; %bb.108:
	v_dual_mov_b32 v1, 0 :: v_dual_add_nc_u32 v8, 0x210, v21
	v_dual_mov_b32 v2, 0 :: v_dual_add_nc_u32 v7, -1, v108
	v_or_b32_e32 v9, 8, v13
	s_mov_b32 s3, 0
	s_delay_alu instid0(VALU_DEP_2)
	v_dual_mov_b32 v4, v2 :: v_dual_mov_b32 v3, v1
	.p2align	6
.LBB96_109:                             ; =>This Inner Loop Header: Depth=1
	scratch_load_b128 v[14:17], v9, off offset:-8
	ds_load_b128 v[22:25], v8
	v_add_nc_u32_e32 v7, 1, v7
	v_add_nc_u32_e32 v8, 16, v8
	;; [unrolled: 1-line block ×3, first 2 shown]
	s_delay_alu instid0(VALU_DEP_3) | instskip(SKIP_4) | instid1(VALU_DEP_2)
	v_cmp_lt_u32_e32 vcc_lo, 22, v7
	s_or_b32 s3, vcc_lo, s3
	s_waitcnt vmcnt(0) lgkmcnt(0)
	v_mul_f64 v[10:11], v[24:25], v[16:17]
	v_mul_f64 v[16:17], v[22:23], v[16:17]
	v_fma_f64 v[10:11], v[22:23], v[14:15], -v[10:11]
	s_delay_alu instid0(VALU_DEP_2) | instskip(NEXT) | instid1(VALU_DEP_2)
	v_fma_f64 v[14:15], v[24:25], v[14:15], v[16:17]
	v_add_f64 v[3:4], v[3:4], v[10:11]
	s_delay_alu instid0(VALU_DEP_2)
	v_add_f64 v[1:2], v[1:2], v[14:15]
	s_and_not1_b32 exec_lo, exec_lo, s3
	s_cbranch_execnz .LBB96_109
; %bb.110:
	s_or_b32 exec_lo, exec_lo, s3
	v_mov_b32_e32 v7, 0
	ds_load_b128 v[7:10], v7 offset:384
	s_waitcnt lgkmcnt(0)
	v_mul_f64 v[11:12], v[1:2], v[9:10]
	v_mul_f64 v[14:15], v[3:4], v[9:10]
	s_delay_alu instid0(VALU_DEP_2) | instskip(NEXT) | instid1(VALU_DEP_2)
	v_fma_f64 v[9:10], v[3:4], v[7:8], -v[11:12]
	v_fma_f64 v[11:12], v[1:2], v[7:8], v[14:15]
	scratch_store_b128 off, v[9:12], off offset:384
.LBB96_111:
	s_or_b32 exec_lo, exec_lo, s2
	s_waitcnt_vscnt null, 0x0
	s_barrier
	buffer_gl0_inv
	scratch_load_b128 v[1:4], v122, off
	s_mov_b32 s2, exec_lo
	s_waitcnt vmcnt(0)
	ds_store_b128 v5, v[1:4]
	s_waitcnt lgkmcnt(0)
	s_barrier
	buffer_gl0_inv
	v_cmpx_gt_u32_e32 25, v108
	s_cbranch_execz .LBB96_115
; %bb.112:
	v_dual_mov_b32 v1, 0 :: v_dual_add_nc_u32 v8, 0x210, v21
	v_dual_mov_b32 v2, 0 :: v_dual_add_nc_u32 v7, -1, v108
	v_or_b32_e32 v9, 8, v13
	s_mov_b32 s3, 0
	s_delay_alu instid0(VALU_DEP_2)
	v_dual_mov_b32 v4, v2 :: v_dual_mov_b32 v3, v1
	.p2align	6
.LBB96_113:                             ; =>This Inner Loop Header: Depth=1
	scratch_load_b128 v[14:17], v9, off offset:-8
	ds_load_b128 v[22:25], v8
	v_add_nc_u32_e32 v7, 1, v7
	v_add_nc_u32_e32 v8, 16, v8
	;; [unrolled: 1-line block ×3, first 2 shown]
	s_delay_alu instid0(VALU_DEP_3) | instskip(SKIP_4) | instid1(VALU_DEP_2)
	v_cmp_lt_u32_e32 vcc_lo, 23, v7
	s_or_b32 s3, vcc_lo, s3
	s_waitcnt vmcnt(0) lgkmcnt(0)
	v_mul_f64 v[10:11], v[24:25], v[16:17]
	v_mul_f64 v[16:17], v[22:23], v[16:17]
	v_fma_f64 v[10:11], v[22:23], v[14:15], -v[10:11]
	s_delay_alu instid0(VALU_DEP_2) | instskip(NEXT) | instid1(VALU_DEP_2)
	v_fma_f64 v[14:15], v[24:25], v[14:15], v[16:17]
	v_add_f64 v[3:4], v[3:4], v[10:11]
	s_delay_alu instid0(VALU_DEP_2)
	v_add_f64 v[1:2], v[1:2], v[14:15]
	s_and_not1_b32 exec_lo, exec_lo, s3
	s_cbranch_execnz .LBB96_113
; %bb.114:
	s_or_b32 exec_lo, exec_lo, s3
	v_mov_b32_e32 v7, 0
	ds_load_b128 v[7:10], v7 offset:400
	s_waitcnt lgkmcnt(0)
	v_mul_f64 v[11:12], v[1:2], v[9:10]
	v_mul_f64 v[14:15], v[3:4], v[9:10]
	s_delay_alu instid0(VALU_DEP_2) | instskip(NEXT) | instid1(VALU_DEP_2)
	v_fma_f64 v[9:10], v[3:4], v[7:8], -v[11:12]
	v_fma_f64 v[11:12], v[1:2], v[7:8], v[14:15]
	scratch_store_b128 off, v[9:12], off offset:400
.LBB96_115:
	s_or_b32 exec_lo, exec_lo, s2
	s_waitcnt_vscnt null, 0x0
	s_barrier
	buffer_gl0_inv
	scratch_load_b128 v[1:4], v121, off
	s_mov_b32 s2, exec_lo
	s_waitcnt vmcnt(0)
	ds_store_b128 v5, v[1:4]
	s_waitcnt lgkmcnt(0)
	s_barrier
	buffer_gl0_inv
	v_cmpx_gt_u32_e32 26, v108
	s_cbranch_execz .LBB96_119
; %bb.116:
	v_dual_mov_b32 v1, 0 :: v_dual_add_nc_u32 v8, 0x210, v21
	v_dual_mov_b32 v2, 0 :: v_dual_add_nc_u32 v7, -1, v108
	v_or_b32_e32 v9, 8, v13
	s_mov_b32 s3, 0
	s_delay_alu instid0(VALU_DEP_2)
	v_dual_mov_b32 v4, v2 :: v_dual_mov_b32 v3, v1
	.p2align	6
.LBB96_117:                             ; =>This Inner Loop Header: Depth=1
	scratch_load_b128 v[14:17], v9, off offset:-8
	ds_load_b128 v[22:25], v8
	v_add_nc_u32_e32 v7, 1, v7
	v_add_nc_u32_e32 v8, 16, v8
	;; [unrolled: 1-line block ×3, first 2 shown]
	s_delay_alu instid0(VALU_DEP_3) | instskip(SKIP_4) | instid1(VALU_DEP_2)
	v_cmp_lt_u32_e32 vcc_lo, 24, v7
	s_or_b32 s3, vcc_lo, s3
	s_waitcnt vmcnt(0) lgkmcnt(0)
	v_mul_f64 v[10:11], v[24:25], v[16:17]
	v_mul_f64 v[16:17], v[22:23], v[16:17]
	v_fma_f64 v[10:11], v[22:23], v[14:15], -v[10:11]
	s_delay_alu instid0(VALU_DEP_2) | instskip(NEXT) | instid1(VALU_DEP_2)
	v_fma_f64 v[14:15], v[24:25], v[14:15], v[16:17]
	v_add_f64 v[3:4], v[3:4], v[10:11]
	s_delay_alu instid0(VALU_DEP_2)
	v_add_f64 v[1:2], v[1:2], v[14:15]
	s_and_not1_b32 exec_lo, exec_lo, s3
	s_cbranch_execnz .LBB96_117
; %bb.118:
	s_or_b32 exec_lo, exec_lo, s3
	v_mov_b32_e32 v7, 0
	ds_load_b128 v[7:10], v7 offset:416
	s_waitcnt lgkmcnt(0)
	v_mul_f64 v[11:12], v[1:2], v[9:10]
	v_mul_f64 v[14:15], v[3:4], v[9:10]
	s_delay_alu instid0(VALU_DEP_2) | instskip(NEXT) | instid1(VALU_DEP_2)
	v_fma_f64 v[9:10], v[3:4], v[7:8], -v[11:12]
	v_fma_f64 v[11:12], v[1:2], v[7:8], v[14:15]
	scratch_store_b128 off, v[9:12], off offset:416
.LBB96_119:
	s_or_b32 exec_lo, exec_lo, s2
	s_waitcnt_vscnt null, 0x0
	s_barrier
	buffer_gl0_inv
	scratch_load_b128 v[1:4], v120, off
	s_mov_b32 s2, exec_lo
	s_waitcnt vmcnt(0)
	ds_store_b128 v5, v[1:4]
	s_waitcnt lgkmcnt(0)
	s_barrier
	buffer_gl0_inv
	v_cmpx_gt_u32_e32 27, v108
	s_cbranch_execz .LBB96_123
; %bb.120:
	v_dual_mov_b32 v1, 0 :: v_dual_add_nc_u32 v8, 0x210, v21
	v_dual_mov_b32 v2, 0 :: v_dual_add_nc_u32 v7, -1, v108
	v_or_b32_e32 v9, 8, v13
	s_mov_b32 s3, 0
	s_delay_alu instid0(VALU_DEP_2)
	v_dual_mov_b32 v4, v2 :: v_dual_mov_b32 v3, v1
	.p2align	6
.LBB96_121:                             ; =>This Inner Loop Header: Depth=1
	scratch_load_b128 v[14:17], v9, off offset:-8
	ds_load_b128 v[22:25], v8
	v_add_nc_u32_e32 v7, 1, v7
	v_add_nc_u32_e32 v8, 16, v8
	;; [unrolled: 1-line block ×3, first 2 shown]
	s_delay_alu instid0(VALU_DEP_3) | instskip(SKIP_4) | instid1(VALU_DEP_2)
	v_cmp_lt_u32_e32 vcc_lo, 25, v7
	s_or_b32 s3, vcc_lo, s3
	s_waitcnt vmcnt(0) lgkmcnt(0)
	v_mul_f64 v[10:11], v[24:25], v[16:17]
	v_mul_f64 v[16:17], v[22:23], v[16:17]
	v_fma_f64 v[10:11], v[22:23], v[14:15], -v[10:11]
	s_delay_alu instid0(VALU_DEP_2) | instskip(NEXT) | instid1(VALU_DEP_2)
	v_fma_f64 v[14:15], v[24:25], v[14:15], v[16:17]
	v_add_f64 v[3:4], v[3:4], v[10:11]
	s_delay_alu instid0(VALU_DEP_2)
	v_add_f64 v[1:2], v[1:2], v[14:15]
	s_and_not1_b32 exec_lo, exec_lo, s3
	s_cbranch_execnz .LBB96_121
; %bb.122:
	s_or_b32 exec_lo, exec_lo, s3
	v_mov_b32_e32 v7, 0
	ds_load_b128 v[7:10], v7 offset:432
	s_waitcnt lgkmcnt(0)
	v_mul_f64 v[11:12], v[1:2], v[9:10]
	v_mul_f64 v[14:15], v[3:4], v[9:10]
	s_delay_alu instid0(VALU_DEP_2) | instskip(NEXT) | instid1(VALU_DEP_2)
	v_fma_f64 v[9:10], v[3:4], v[7:8], -v[11:12]
	v_fma_f64 v[11:12], v[1:2], v[7:8], v[14:15]
	scratch_store_b128 off, v[9:12], off offset:432
.LBB96_123:
	s_or_b32 exec_lo, exec_lo, s2
	s_waitcnt_vscnt null, 0x0
	s_barrier
	buffer_gl0_inv
	scratch_load_b128 v[1:4], v119, off
	s_mov_b32 s2, exec_lo
	s_waitcnt vmcnt(0)
	ds_store_b128 v5, v[1:4]
	s_waitcnt lgkmcnt(0)
	s_barrier
	buffer_gl0_inv
	v_cmpx_gt_u32_e32 28, v108
	s_cbranch_execz .LBB96_127
; %bb.124:
	v_dual_mov_b32 v1, 0 :: v_dual_add_nc_u32 v8, 0x210, v21
	v_dual_mov_b32 v2, 0 :: v_dual_add_nc_u32 v7, -1, v108
	v_or_b32_e32 v9, 8, v13
	s_mov_b32 s3, 0
	s_delay_alu instid0(VALU_DEP_2)
	v_dual_mov_b32 v4, v2 :: v_dual_mov_b32 v3, v1
	.p2align	6
.LBB96_125:                             ; =>This Inner Loop Header: Depth=1
	scratch_load_b128 v[14:17], v9, off offset:-8
	ds_load_b128 v[22:25], v8
	v_add_nc_u32_e32 v7, 1, v7
	v_add_nc_u32_e32 v8, 16, v8
	;; [unrolled: 1-line block ×3, first 2 shown]
	s_delay_alu instid0(VALU_DEP_3) | instskip(SKIP_4) | instid1(VALU_DEP_2)
	v_cmp_lt_u32_e32 vcc_lo, 26, v7
	s_or_b32 s3, vcc_lo, s3
	s_waitcnt vmcnt(0) lgkmcnt(0)
	v_mul_f64 v[10:11], v[24:25], v[16:17]
	v_mul_f64 v[16:17], v[22:23], v[16:17]
	v_fma_f64 v[10:11], v[22:23], v[14:15], -v[10:11]
	s_delay_alu instid0(VALU_DEP_2) | instskip(NEXT) | instid1(VALU_DEP_2)
	v_fma_f64 v[14:15], v[24:25], v[14:15], v[16:17]
	v_add_f64 v[3:4], v[3:4], v[10:11]
	s_delay_alu instid0(VALU_DEP_2)
	v_add_f64 v[1:2], v[1:2], v[14:15]
	s_and_not1_b32 exec_lo, exec_lo, s3
	s_cbranch_execnz .LBB96_125
; %bb.126:
	s_or_b32 exec_lo, exec_lo, s3
	v_mov_b32_e32 v7, 0
	ds_load_b128 v[7:10], v7 offset:448
	s_waitcnt lgkmcnt(0)
	v_mul_f64 v[11:12], v[1:2], v[9:10]
	v_mul_f64 v[14:15], v[3:4], v[9:10]
	s_delay_alu instid0(VALU_DEP_2) | instskip(NEXT) | instid1(VALU_DEP_2)
	v_fma_f64 v[9:10], v[3:4], v[7:8], -v[11:12]
	v_fma_f64 v[11:12], v[1:2], v[7:8], v[14:15]
	scratch_store_b128 off, v[9:12], off offset:448
.LBB96_127:
	s_or_b32 exec_lo, exec_lo, s2
	s_waitcnt_vscnt null, 0x0
	s_barrier
	buffer_gl0_inv
	scratch_load_b128 v[1:4], v115, off
	s_mov_b32 s2, exec_lo
	s_waitcnt vmcnt(0)
	ds_store_b128 v5, v[1:4]
	s_waitcnt lgkmcnt(0)
	s_barrier
	buffer_gl0_inv
	v_cmpx_gt_u32_e32 29, v108
	s_cbranch_execz .LBB96_131
; %bb.128:
	v_dual_mov_b32 v1, 0 :: v_dual_add_nc_u32 v8, 0x210, v21
	v_dual_mov_b32 v2, 0 :: v_dual_add_nc_u32 v7, -1, v108
	v_or_b32_e32 v9, 8, v13
	s_mov_b32 s3, 0
	s_delay_alu instid0(VALU_DEP_2)
	v_dual_mov_b32 v4, v2 :: v_dual_mov_b32 v3, v1
	.p2align	6
.LBB96_129:                             ; =>This Inner Loop Header: Depth=1
	scratch_load_b128 v[14:17], v9, off offset:-8
	ds_load_b128 v[22:25], v8
	v_add_nc_u32_e32 v7, 1, v7
	v_add_nc_u32_e32 v8, 16, v8
	;; [unrolled: 1-line block ×3, first 2 shown]
	s_delay_alu instid0(VALU_DEP_3) | instskip(SKIP_4) | instid1(VALU_DEP_2)
	v_cmp_lt_u32_e32 vcc_lo, 27, v7
	s_or_b32 s3, vcc_lo, s3
	s_waitcnt vmcnt(0) lgkmcnt(0)
	v_mul_f64 v[10:11], v[24:25], v[16:17]
	v_mul_f64 v[16:17], v[22:23], v[16:17]
	v_fma_f64 v[10:11], v[22:23], v[14:15], -v[10:11]
	s_delay_alu instid0(VALU_DEP_2) | instskip(NEXT) | instid1(VALU_DEP_2)
	v_fma_f64 v[14:15], v[24:25], v[14:15], v[16:17]
	v_add_f64 v[3:4], v[3:4], v[10:11]
	s_delay_alu instid0(VALU_DEP_2)
	v_add_f64 v[1:2], v[1:2], v[14:15]
	s_and_not1_b32 exec_lo, exec_lo, s3
	s_cbranch_execnz .LBB96_129
; %bb.130:
	s_or_b32 exec_lo, exec_lo, s3
	v_mov_b32_e32 v7, 0
	ds_load_b128 v[7:10], v7 offset:464
	s_waitcnt lgkmcnt(0)
	v_mul_f64 v[11:12], v[1:2], v[9:10]
	v_mul_f64 v[14:15], v[3:4], v[9:10]
	s_delay_alu instid0(VALU_DEP_2) | instskip(NEXT) | instid1(VALU_DEP_2)
	v_fma_f64 v[9:10], v[3:4], v[7:8], -v[11:12]
	v_fma_f64 v[11:12], v[1:2], v[7:8], v[14:15]
	scratch_store_b128 off, v[9:12], off offset:464
.LBB96_131:
	s_or_b32 exec_lo, exec_lo, s2
	s_waitcnt_vscnt null, 0x0
	s_barrier
	buffer_gl0_inv
	scratch_load_b128 v[1:4], v114, off
	s_mov_b32 s2, exec_lo
	s_waitcnt vmcnt(0)
	ds_store_b128 v5, v[1:4]
	s_waitcnt lgkmcnt(0)
	s_barrier
	buffer_gl0_inv
	v_cmpx_gt_u32_e32 30, v108
	s_cbranch_execz .LBB96_135
; %bb.132:
	v_dual_mov_b32 v1, 0 :: v_dual_add_nc_u32 v8, 0x210, v21
	v_dual_mov_b32 v2, 0 :: v_dual_add_nc_u32 v7, -1, v108
	v_or_b32_e32 v9, 8, v13
	s_mov_b32 s3, 0
	s_delay_alu instid0(VALU_DEP_2)
	v_dual_mov_b32 v4, v2 :: v_dual_mov_b32 v3, v1
	.p2align	6
.LBB96_133:                             ; =>This Inner Loop Header: Depth=1
	scratch_load_b128 v[14:17], v9, off offset:-8
	ds_load_b128 v[22:25], v8
	v_add_nc_u32_e32 v7, 1, v7
	v_add_nc_u32_e32 v8, 16, v8
	v_add_nc_u32_e32 v9, 16, v9
	s_delay_alu instid0(VALU_DEP_3) | instskip(SKIP_4) | instid1(VALU_DEP_2)
	v_cmp_lt_u32_e32 vcc_lo, 28, v7
	s_or_b32 s3, vcc_lo, s3
	s_waitcnt vmcnt(0) lgkmcnt(0)
	v_mul_f64 v[10:11], v[24:25], v[16:17]
	v_mul_f64 v[16:17], v[22:23], v[16:17]
	v_fma_f64 v[10:11], v[22:23], v[14:15], -v[10:11]
	s_delay_alu instid0(VALU_DEP_2) | instskip(NEXT) | instid1(VALU_DEP_2)
	v_fma_f64 v[14:15], v[24:25], v[14:15], v[16:17]
	v_add_f64 v[3:4], v[3:4], v[10:11]
	s_delay_alu instid0(VALU_DEP_2)
	v_add_f64 v[1:2], v[1:2], v[14:15]
	s_and_not1_b32 exec_lo, exec_lo, s3
	s_cbranch_execnz .LBB96_133
; %bb.134:
	s_or_b32 exec_lo, exec_lo, s3
	v_mov_b32_e32 v7, 0
	ds_load_b128 v[7:10], v7 offset:480
	s_waitcnt lgkmcnt(0)
	v_mul_f64 v[11:12], v[1:2], v[9:10]
	v_mul_f64 v[14:15], v[3:4], v[9:10]
	s_delay_alu instid0(VALU_DEP_2) | instskip(NEXT) | instid1(VALU_DEP_2)
	v_fma_f64 v[9:10], v[3:4], v[7:8], -v[11:12]
	v_fma_f64 v[11:12], v[1:2], v[7:8], v[14:15]
	scratch_store_b128 off, v[9:12], off offset:480
.LBB96_135:
	s_or_b32 exec_lo, exec_lo, s2
	s_waitcnt_vscnt null, 0x0
	s_barrier
	buffer_gl0_inv
	scratch_load_b128 v[1:4], v111, off
	s_mov_b32 s2, exec_lo
	s_waitcnt vmcnt(0)
	ds_store_b128 v5, v[1:4]
	s_waitcnt lgkmcnt(0)
	s_barrier
	buffer_gl0_inv
	v_cmpx_gt_u32_e32 31, v108
	s_cbranch_execz .LBB96_139
; %bb.136:
	v_dual_mov_b32 v1, 0 :: v_dual_add_nc_u32 v8, 0x210, v21
	v_dual_mov_b32 v2, 0 :: v_dual_add_nc_u32 v7, -1, v108
	v_or_b32_e32 v9, 8, v13
	s_mov_b32 s3, 0
	s_delay_alu instid0(VALU_DEP_2)
	v_dual_mov_b32 v4, v2 :: v_dual_mov_b32 v3, v1
	.p2align	6
.LBB96_137:                             ; =>This Inner Loop Header: Depth=1
	scratch_load_b128 v[14:17], v9, off offset:-8
	ds_load_b128 v[18:21], v8
	v_add_nc_u32_e32 v7, 1, v7
	v_add_nc_u32_e32 v8, 16, v8
	;; [unrolled: 1-line block ×3, first 2 shown]
	s_delay_alu instid0(VALU_DEP_3) | instskip(SKIP_4) | instid1(VALU_DEP_2)
	v_cmp_lt_u32_e32 vcc_lo, 29, v7
	s_or_b32 s3, vcc_lo, s3
	s_waitcnt vmcnt(0) lgkmcnt(0)
	v_mul_f64 v[10:11], v[20:21], v[16:17]
	v_mul_f64 v[16:17], v[18:19], v[16:17]
	v_fma_f64 v[10:11], v[18:19], v[14:15], -v[10:11]
	s_delay_alu instid0(VALU_DEP_2) | instskip(NEXT) | instid1(VALU_DEP_2)
	v_fma_f64 v[14:15], v[20:21], v[14:15], v[16:17]
	v_add_f64 v[3:4], v[3:4], v[10:11]
	s_delay_alu instid0(VALU_DEP_2)
	v_add_f64 v[1:2], v[1:2], v[14:15]
	s_and_not1_b32 exec_lo, exec_lo, s3
	s_cbranch_execnz .LBB96_137
; %bb.138:
	s_or_b32 exec_lo, exec_lo, s3
	v_mov_b32_e32 v7, 0
	ds_load_b128 v[7:10], v7 offset:496
	s_waitcnt lgkmcnt(0)
	v_mul_f64 v[11:12], v[1:2], v[9:10]
	v_mul_f64 v[14:15], v[3:4], v[9:10]
	s_delay_alu instid0(VALU_DEP_2) | instskip(NEXT) | instid1(VALU_DEP_2)
	v_fma_f64 v[9:10], v[3:4], v[7:8], -v[11:12]
	v_fma_f64 v[11:12], v[1:2], v[7:8], v[14:15]
	scratch_store_b128 off, v[9:12], off offset:496
.LBB96_139:
	s_or_b32 exec_lo, exec_lo, s2
	s_waitcnt_vscnt null, 0x0
	s_barrier
	buffer_gl0_inv
	scratch_load_b128 v[1:4], v110, off
	s_mov_b32 s2, exec_lo
	s_waitcnt vmcnt(0)
	ds_store_b128 v5, v[1:4]
	s_waitcnt lgkmcnt(0)
	s_barrier
	buffer_gl0_inv
	v_cmpx_ne_u32_e32 32, v108
	s_cbranch_execz .LBB96_143
; %bb.140:
	v_mov_b32_e32 v1, 0
	v_mov_b32_e32 v2, 0
	v_or_b32_e32 v7, 8, v13
	s_mov_b32 s3, 0
	s_delay_alu instid0(VALU_DEP_2)
	v_dual_mov_b32 v4, v2 :: v_dual_mov_b32 v3, v1
	.p2align	6
.LBB96_141:                             ; =>This Inner Loop Header: Depth=1
	scratch_load_b128 v[8:11], v7, off offset:-8
	ds_load_b128 v[12:15], v5
	v_add_nc_u32_e32 v6, 1, v6
	v_add_nc_u32_e32 v5, 16, v5
	;; [unrolled: 1-line block ×3, first 2 shown]
	s_delay_alu instid0(VALU_DEP_3) | instskip(SKIP_4) | instid1(VALU_DEP_2)
	v_cmp_lt_u32_e32 vcc_lo, 30, v6
	s_or_b32 s3, vcc_lo, s3
	s_waitcnt vmcnt(0) lgkmcnt(0)
	v_mul_f64 v[16:17], v[14:15], v[10:11]
	v_mul_f64 v[10:11], v[12:13], v[10:11]
	v_fma_f64 v[12:13], v[12:13], v[8:9], -v[16:17]
	s_delay_alu instid0(VALU_DEP_2) | instskip(NEXT) | instid1(VALU_DEP_2)
	v_fma_f64 v[8:9], v[14:15], v[8:9], v[10:11]
	v_add_f64 v[3:4], v[3:4], v[12:13]
	s_delay_alu instid0(VALU_DEP_2)
	v_add_f64 v[1:2], v[1:2], v[8:9]
	s_and_not1_b32 exec_lo, exec_lo, s3
	s_cbranch_execnz .LBB96_141
; %bb.142:
	s_or_b32 exec_lo, exec_lo, s3
	v_mov_b32_e32 v5, 0
	ds_load_b128 v[5:8], v5 offset:512
	s_waitcnt lgkmcnt(0)
	v_mul_f64 v[9:10], v[1:2], v[7:8]
	v_mul_f64 v[7:8], v[3:4], v[7:8]
	s_delay_alu instid0(VALU_DEP_2) | instskip(NEXT) | instid1(VALU_DEP_2)
	v_fma_f64 v[3:4], v[3:4], v[5:6], -v[9:10]
	v_fma_f64 v[5:6], v[1:2], v[5:6], v[7:8]
	scratch_store_b128 off, v[3:6], off offset:512
.LBB96_143:
	s_or_b32 exec_lo, exec_lo, s2
	s_mov_b32 s3, -1
	s_waitcnt_vscnt null, 0x0
	s_barrier
	buffer_gl0_inv
.LBB96_144:
	s_and_b32 vcc_lo, exec_lo, s3
	s_cbranch_vccz .LBB96_146
; %bb.145:
	s_lshl_b64 s[2:3], s[10:11], 2
	v_mov_b32_e32 v1, 0
	s_add_u32 s2, s6, s2
	s_addc_u32 s3, s7, s3
	global_load_b32 v1, v1, s[2:3]
	s_waitcnt vmcnt(0)
	v_cmp_ne_u32_e32 vcc_lo, 0, v1
	s_cbranch_vccz .LBB96_147
.LBB96_146:
	s_endpgm
.LBB96_147:
	v_lshl_add_u32 v141, v108, 4, 0x210
	s_mov_b32 s2, exec_lo
	v_cmpx_eq_u32_e32 32, v108
	s_cbranch_execz .LBB96_149
; %bb.148:
	scratch_load_b128 v[1:4], v111, off
	v_mov_b32_e32 v5, 0
	s_delay_alu instid0(VALU_DEP_1)
	v_mov_b32_e32 v6, v5
	v_mov_b32_e32 v7, v5
	;; [unrolled: 1-line block ×3, first 2 shown]
	scratch_store_b128 off, v[5:8], off offset:496
	s_waitcnt vmcnt(0)
	ds_store_b128 v141, v[1:4]
.LBB96_149:
	s_or_b32 exec_lo, exec_lo, s2
	s_waitcnt lgkmcnt(0)
	s_waitcnt_vscnt null, 0x0
	s_barrier
	buffer_gl0_inv
	s_clause 0x1
	scratch_load_b128 v[2:5], off, off offset:512
	scratch_load_b128 v[6:9], off, off offset:496
	v_mov_b32_e32 v1, 0
	s_mov_b32 s2, exec_lo
	ds_load_b128 v[10:13], v1 offset:1040
	s_waitcnt vmcnt(1) lgkmcnt(0)
	v_mul_f64 v[14:15], v[12:13], v[4:5]
	v_mul_f64 v[4:5], v[10:11], v[4:5]
	s_delay_alu instid0(VALU_DEP_2) | instskip(NEXT) | instid1(VALU_DEP_2)
	v_fma_f64 v[10:11], v[10:11], v[2:3], -v[14:15]
	v_fma_f64 v[2:3], v[12:13], v[2:3], v[4:5]
	s_delay_alu instid0(VALU_DEP_2) | instskip(NEXT) | instid1(VALU_DEP_2)
	v_add_f64 v[4:5], v[10:11], 0
	v_add_f64 v[10:11], v[2:3], 0
	s_waitcnt vmcnt(0)
	s_delay_alu instid0(VALU_DEP_2) | instskip(NEXT) | instid1(VALU_DEP_2)
	v_add_f64 v[2:3], v[6:7], -v[4:5]
	v_add_f64 v[4:5], v[8:9], -v[10:11]
	scratch_store_b128 off, v[2:5], off offset:496
	v_cmpx_lt_u32_e32 30, v108
	s_cbranch_execz .LBB96_151
; %bb.150:
	scratch_load_b128 v[5:8], v114, off
	v_mov_b32_e32 v2, v1
	v_mov_b32_e32 v3, v1
	;; [unrolled: 1-line block ×3, first 2 shown]
	scratch_store_b128 off, v[1:4], off offset:480
	s_waitcnt vmcnt(0)
	ds_store_b128 v141, v[5:8]
.LBB96_151:
	s_or_b32 exec_lo, exec_lo, s2
	s_waitcnt lgkmcnt(0)
	s_waitcnt_vscnt null, 0x0
	s_barrier
	buffer_gl0_inv
	s_clause 0x2
	scratch_load_b128 v[2:5], off, off offset:496
	scratch_load_b128 v[6:9], off, off offset:512
	;; [unrolled: 1-line block ×3, first 2 shown]
	ds_load_b128 v[14:17], v1 offset:1024
	ds_load_b128 v[18:21], v1 offset:1040
	s_mov_b32 s2, exec_lo
	s_waitcnt vmcnt(2) lgkmcnt(1)
	v_mul_f64 v[22:23], v[16:17], v[4:5]
	v_mul_f64 v[4:5], v[14:15], v[4:5]
	s_waitcnt vmcnt(1) lgkmcnt(0)
	v_mul_f64 v[24:25], v[18:19], v[8:9]
	v_mul_f64 v[8:9], v[20:21], v[8:9]
	s_delay_alu instid0(VALU_DEP_4) | instskip(NEXT) | instid1(VALU_DEP_4)
	v_fma_f64 v[14:15], v[14:15], v[2:3], -v[22:23]
	v_fma_f64 v[1:2], v[16:17], v[2:3], v[4:5]
	s_delay_alu instid0(VALU_DEP_4) | instskip(NEXT) | instid1(VALU_DEP_4)
	v_fma_f64 v[3:4], v[20:21], v[6:7], v[24:25]
	v_fma_f64 v[5:6], v[18:19], v[6:7], -v[8:9]
	s_delay_alu instid0(VALU_DEP_4) | instskip(NEXT) | instid1(VALU_DEP_4)
	v_add_f64 v[7:8], v[14:15], 0
	v_add_f64 v[1:2], v[1:2], 0
	s_delay_alu instid0(VALU_DEP_2) | instskip(NEXT) | instid1(VALU_DEP_2)
	v_add_f64 v[5:6], v[7:8], v[5:6]
	v_add_f64 v[3:4], v[1:2], v[3:4]
	s_waitcnt vmcnt(0)
	s_delay_alu instid0(VALU_DEP_2) | instskip(NEXT) | instid1(VALU_DEP_2)
	v_add_f64 v[1:2], v[10:11], -v[5:6]
	v_add_f64 v[3:4], v[12:13], -v[3:4]
	scratch_store_b128 off, v[1:4], off offset:480
	v_cmpx_lt_u32_e32 29, v108
	s_cbranch_execz .LBB96_153
; %bb.152:
	scratch_load_b128 v[1:4], v115, off
	v_mov_b32_e32 v5, 0
	s_delay_alu instid0(VALU_DEP_1)
	v_mov_b32_e32 v6, v5
	v_mov_b32_e32 v7, v5
	;; [unrolled: 1-line block ×3, first 2 shown]
	scratch_store_b128 off, v[5:8], off offset:464
	s_waitcnt vmcnt(0)
	ds_store_b128 v141, v[1:4]
.LBB96_153:
	s_or_b32 exec_lo, exec_lo, s2
	s_waitcnt lgkmcnt(0)
	s_waitcnt_vscnt null, 0x0
	s_barrier
	buffer_gl0_inv
	s_clause 0x3
	scratch_load_b128 v[2:5], off, off offset:480
	scratch_load_b128 v[6:9], off, off offset:496
	;; [unrolled: 1-line block ×4, first 2 shown]
	v_mov_b32_e32 v1, 0
	ds_load_b128 v[18:21], v1 offset:1008
	ds_load_b128 v[22:25], v1 offset:1024
	s_mov_b32 s2, exec_lo
	s_waitcnt vmcnt(3) lgkmcnt(1)
	v_mul_f64 v[26:27], v[20:21], v[4:5]
	v_mul_f64 v[4:5], v[18:19], v[4:5]
	s_waitcnt vmcnt(2) lgkmcnt(0)
	v_mul_f64 v[28:29], v[22:23], v[8:9]
	v_mul_f64 v[8:9], v[24:25], v[8:9]
	s_delay_alu instid0(VALU_DEP_4) | instskip(NEXT) | instid1(VALU_DEP_4)
	v_fma_f64 v[18:19], v[18:19], v[2:3], -v[26:27]
	v_fma_f64 v[20:21], v[20:21], v[2:3], v[4:5]
	ds_load_b128 v[2:5], v1 offset:1040
	v_fma_f64 v[24:25], v[24:25], v[6:7], v[28:29]
	v_fma_f64 v[6:7], v[22:23], v[6:7], -v[8:9]
	s_waitcnt vmcnt(1) lgkmcnt(0)
	v_mul_f64 v[26:27], v[2:3], v[12:13]
	v_mul_f64 v[12:13], v[4:5], v[12:13]
	v_add_f64 v[8:9], v[18:19], 0
	v_add_f64 v[18:19], v[20:21], 0
	s_delay_alu instid0(VALU_DEP_4) | instskip(NEXT) | instid1(VALU_DEP_4)
	v_fma_f64 v[4:5], v[4:5], v[10:11], v[26:27]
	v_fma_f64 v[2:3], v[2:3], v[10:11], -v[12:13]
	s_delay_alu instid0(VALU_DEP_4) | instskip(NEXT) | instid1(VALU_DEP_4)
	v_add_f64 v[6:7], v[8:9], v[6:7]
	v_add_f64 v[8:9], v[18:19], v[24:25]
	s_delay_alu instid0(VALU_DEP_2) | instskip(NEXT) | instid1(VALU_DEP_2)
	v_add_f64 v[2:3], v[6:7], v[2:3]
	v_add_f64 v[4:5], v[8:9], v[4:5]
	s_waitcnt vmcnt(0)
	s_delay_alu instid0(VALU_DEP_2) | instskip(NEXT) | instid1(VALU_DEP_2)
	v_add_f64 v[2:3], v[14:15], -v[2:3]
	v_add_f64 v[4:5], v[16:17], -v[4:5]
	scratch_store_b128 off, v[2:5], off offset:464
	v_cmpx_lt_u32_e32 28, v108
	s_cbranch_execz .LBB96_155
; %bb.154:
	scratch_load_b128 v[5:8], v119, off
	v_mov_b32_e32 v2, v1
	v_mov_b32_e32 v3, v1
	;; [unrolled: 1-line block ×3, first 2 shown]
	scratch_store_b128 off, v[1:4], off offset:448
	s_waitcnt vmcnt(0)
	ds_store_b128 v141, v[5:8]
.LBB96_155:
	s_or_b32 exec_lo, exec_lo, s2
	s_waitcnt lgkmcnt(0)
	s_waitcnt_vscnt null, 0x0
	s_barrier
	buffer_gl0_inv
	s_clause 0x4
	scratch_load_b128 v[2:5], off, off offset:464
	scratch_load_b128 v[6:9], off, off offset:480
	;; [unrolled: 1-line block ×5, first 2 shown]
	ds_load_b128 v[22:25], v1 offset:992
	ds_load_b128 v[26:29], v1 offset:1008
	s_mov_b32 s2, exec_lo
	s_waitcnt vmcnt(4) lgkmcnt(1)
	v_mul_f64 v[30:31], v[24:25], v[4:5]
	v_mul_f64 v[4:5], v[22:23], v[4:5]
	s_waitcnt vmcnt(3) lgkmcnt(0)
	v_mul_f64 v[32:33], v[26:27], v[8:9]
	v_mul_f64 v[8:9], v[28:29], v[8:9]
	s_delay_alu instid0(VALU_DEP_4) | instskip(NEXT) | instid1(VALU_DEP_4)
	v_fma_f64 v[30:31], v[22:23], v[2:3], -v[30:31]
	v_fma_f64 v[34:35], v[24:25], v[2:3], v[4:5]
	ds_load_b128 v[2:5], v1 offset:1024
	ds_load_b128 v[22:25], v1 offset:1040
	v_fma_f64 v[28:29], v[28:29], v[6:7], v[32:33]
	v_fma_f64 v[6:7], v[26:27], v[6:7], -v[8:9]
	s_waitcnt vmcnt(2) lgkmcnt(1)
	v_mul_f64 v[36:37], v[2:3], v[12:13]
	v_mul_f64 v[12:13], v[4:5], v[12:13]
	v_add_f64 v[8:9], v[30:31], 0
	v_add_f64 v[26:27], v[34:35], 0
	s_waitcnt vmcnt(1) lgkmcnt(0)
	v_mul_f64 v[30:31], v[22:23], v[16:17]
	v_mul_f64 v[16:17], v[24:25], v[16:17]
	v_fma_f64 v[4:5], v[4:5], v[10:11], v[36:37]
	v_fma_f64 v[1:2], v[2:3], v[10:11], -v[12:13]
	v_add_f64 v[6:7], v[8:9], v[6:7]
	v_add_f64 v[8:9], v[26:27], v[28:29]
	v_fma_f64 v[10:11], v[24:25], v[14:15], v[30:31]
	v_fma_f64 v[12:13], v[22:23], v[14:15], -v[16:17]
	s_delay_alu instid0(VALU_DEP_4) | instskip(NEXT) | instid1(VALU_DEP_4)
	v_add_f64 v[1:2], v[6:7], v[1:2]
	v_add_f64 v[3:4], v[8:9], v[4:5]
	s_delay_alu instid0(VALU_DEP_2) | instskip(NEXT) | instid1(VALU_DEP_2)
	v_add_f64 v[1:2], v[1:2], v[12:13]
	v_add_f64 v[3:4], v[3:4], v[10:11]
	s_waitcnt vmcnt(0)
	s_delay_alu instid0(VALU_DEP_2) | instskip(NEXT) | instid1(VALU_DEP_2)
	v_add_f64 v[1:2], v[18:19], -v[1:2]
	v_add_f64 v[3:4], v[20:21], -v[3:4]
	scratch_store_b128 off, v[1:4], off offset:448
	v_cmpx_lt_u32_e32 27, v108
	s_cbranch_execz .LBB96_157
; %bb.156:
	scratch_load_b128 v[1:4], v120, off
	v_mov_b32_e32 v5, 0
	s_delay_alu instid0(VALU_DEP_1)
	v_mov_b32_e32 v6, v5
	v_mov_b32_e32 v7, v5
	;; [unrolled: 1-line block ×3, first 2 shown]
	scratch_store_b128 off, v[5:8], off offset:432
	s_waitcnt vmcnt(0)
	ds_store_b128 v141, v[1:4]
.LBB96_157:
	s_or_b32 exec_lo, exec_lo, s2
	s_waitcnt lgkmcnt(0)
	s_waitcnt_vscnt null, 0x0
	s_barrier
	buffer_gl0_inv
	s_clause 0x5
	scratch_load_b128 v[2:5], off, off offset:448
	scratch_load_b128 v[6:9], off, off offset:464
	;; [unrolled: 1-line block ×6, first 2 shown]
	v_mov_b32_e32 v1, 0
	ds_load_b128 v[26:29], v1 offset:976
	ds_load_b128 v[30:33], v1 offset:992
	s_mov_b32 s2, exec_lo
	s_waitcnt vmcnt(5) lgkmcnt(1)
	v_mul_f64 v[34:35], v[28:29], v[4:5]
	v_mul_f64 v[4:5], v[26:27], v[4:5]
	s_waitcnt vmcnt(4) lgkmcnt(0)
	v_mul_f64 v[36:37], v[30:31], v[8:9]
	v_mul_f64 v[8:9], v[32:33], v[8:9]
	s_delay_alu instid0(VALU_DEP_4) | instskip(NEXT) | instid1(VALU_DEP_4)
	v_fma_f64 v[34:35], v[26:27], v[2:3], -v[34:35]
	v_fma_f64 v[38:39], v[28:29], v[2:3], v[4:5]
	ds_load_b128 v[2:5], v1 offset:1008
	ds_load_b128 v[26:29], v1 offset:1024
	v_fma_f64 v[32:33], v[32:33], v[6:7], v[36:37]
	v_fma_f64 v[6:7], v[30:31], v[6:7], -v[8:9]
	s_waitcnt vmcnt(3) lgkmcnt(1)
	v_mul_f64 v[40:41], v[2:3], v[12:13]
	v_mul_f64 v[12:13], v[4:5], v[12:13]
	v_add_f64 v[8:9], v[34:35], 0
	v_add_f64 v[30:31], v[38:39], 0
	s_waitcnt vmcnt(2) lgkmcnt(0)
	v_mul_f64 v[34:35], v[26:27], v[16:17]
	v_mul_f64 v[16:17], v[28:29], v[16:17]
	v_fma_f64 v[36:37], v[4:5], v[10:11], v[40:41]
	v_fma_f64 v[10:11], v[2:3], v[10:11], -v[12:13]
	ds_load_b128 v[2:5], v1 offset:1040
	v_add_f64 v[6:7], v[8:9], v[6:7]
	v_add_f64 v[8:9], v[30:31], v[32:33]
	v_fma_f64 v[28:29], v[28:29], v[14:15], v[34:35]
	v_fma_f64 v[14:15], v[26:27], v[14:15], -v[16:17]
	s_waitcnt vmcnt(1) lgkmcnt(0)
	v_mul_f64 v[12:13], v[2:3], v[20:21]
	v_mul_f64 v[20:21], v[4:5], v[20:21]
	v_add_f64 v[6:7], v[6:7], v[10:11]
	v_add_f64 v[8:9], v[8:9], v[36:37]
	s_delay_alu instid0(VALU_DEP_4) | instskip(NEXT) | instid1(VALU_DEP_4)
	v_fma_f64 v[4:5], v[4:5], v[18:19], v[12:13]
	v_fma_f64 v[2:3], v[2:3], v[18:19], -v[20:21]
	s_delay_alu instid0(VALU_DEP_4) | instskip(NEXT) | instid1(VALU_DEP_4)
	v_add_f64 v[6:7], v[6:7], v[14:15]
	v_add_f64 v[8:9], v[8:9], v[28:29]
	s_delay_alu instid0(VALU_DEP_2) | instskip(NEXT) | instid1(VALU_DEP_2)
	v_add_f64 v[2:3], v[6:7], v[2:3]
	v_add_f64 v[4:5], v[8:9], v[4:5]
	s_waitcnt vmcnt(0)
	s_delay_alu instid0(VALU_DEP_2) | instskip(NEXT) | instid1(VALU_DEP_2)
	v_add_f64 v[2:3], v[22:23], -v[2:3]
	v_add_f64 v[4:5], v[24:25], -v[4:5]
	scratch_store_b128 off, v[2:5], off offset:432
	v_cmpx_lt_u32_e32 26, v108
	s_cbranch_execz .LBB96_159
; %bb.158:
	scratch_load_b128 v[5:8], v121, off
	v_mov_b32_e32 v2, v1
	v_mov_b32_e32 v3, v1
	;; [unrolled: 1-line block ×3, first 2 shown]
	scratch_store_b128 off, v[1:4], off offset:416
	s_waitcnt vmcnt(0)
	ds_store_b128 v141, v[5:8]
.LBB96_159:
	s_or_b32 exec_lo, exec_lo, s2
	s_waitcnt lgkmcnt(0)
	s_waitcnt_vscnt null, 0x0
	s_barrier
	buffer_gl0_inv
	s_clause 0x5
	scratch_load_b128 v[2:5], off, off offset:432
	scratch_load_b128 v[6:9], off, off offset:448
	;; [unrolled: 1-line block ×6, first 2 shown]
	ds_load_b128 v[26:29], v1 offset:960
	ds_load_b128 v[34:37], v1 offset:976
	scratch_load_b128 v[30:33], off, off offset:416
	s_mov_b32 s2, exec_lo
	s_waitcnt vmcnt(6) lgkmcnt(1)
	v_mul_f64 v[38:39], v[28:29], v[4:5]
	v_mul_f64 v[4:5], v[26:27], v[4:5]
	s_waitcnt vmcnt(5) lgkmcnt(0)
	v_mul_f64 v[40:41], v[34:35], v[8:9]
	v_mul_f64 v[8:9], v[36:37], v[8:9]
	s_delay_alu instid0(VALU_DEP_4) | instskip(NEXT) | instid1(VALU_DEP_4)
	v_fma_f64 v[38:39], v[26:27], v[2:3], -v[38:39]
	v_fma_f64 v[142:143], v[28:29], v[2:3], v[4:5]
	ds_load_b128 v[2:5], v1 offset:992
	ds_load_b128 v[26:29], v1 offset:1008
	v_fma_f64 v[36:37], v[36:37], v[6:7], v[40:41]
	v_fma_f64 v[6:7], v[34:35], v[6:7], -v[8:9]
	s_waitcnt vmcnt(4) lgkmcnt(1)
	v_mul_f64 v[144:145], v[2:3], v[12:13]
	v_mul_f64 v[12:13], v[4:5], v[12:13]
	v_add_f64 v[8:9], v[38:39], 0
	v_add_f64 v[34:35], v[142:143], 0
	s_waitcnt vmcnt(3) lgkmcnt(0)
	v_mul_f64 v[38:39], v[26:27], v[16:17]
	v_mul_f64 v[16:17], v[28:29], v[16:17]
	v_fma_f64 v[40:41], v[4:5], v[10:11], v[144:145]
	v_fma_f64 v[10:11], v[2:3], v[10:11], -v[12:13]
	v_add_f64 v[12:13], v[8:9], v[6:7]
	v_add_f64 v[34:35], v[34:35], v[36:37]
	ds_load_b128 v[2:5], v1 offset:1024
	ds_load_b128 v[6:9], v1 offset:1040
	v_fma_f64 v[28:29], v[28:29], v[14:15], v[38:39]
	v_fma_f64 v[14:15], v[26:27], v[14:15], -v[16:17]
	s_waitcnt vmcnt(2) lgkmcnt(1)
	v_mul_f64 v[36:37], v[2:3], v[20:21]
	v_mul_f64 v[20:21], v[4:5], v[20:21]
	s_waitcnt vmcnt(1) lgkmcnt(0)
	v_mul_f64 v[16:17], v[6:7], v[24:25]
	v_mul_f64 v[24:25], v[8:9], v[24:25]
	v_add_f64 v[10:11], v[12:13], v[10:11]
	v_add_f64 v[12:13], v[34:35], v[40:41]
	v_fma_f64 v[4:5], v[4:5], v[18:19], v[36:37]
	v_fma_f64 v[1:2], v[2:3], v[18:19], -v[20:21]
	v_fma_f64 v[8:9], v[8:9], v[22:23], v[16:17]
	v_fma_f64 v[6:7], v[6:7], v[22:23], -v[24:25]
	v_add_f64 v[10:11], v[10:11], v[14:15]
	v_add_f64 v[12:13], v[12:13], v[28:29]
	s_delay_alu instid0(VALU_DEP_2) | instskip(NEXT) | instid1(VALU_DEP_2)
	v_add_f64 v[1:2], v[10:11], v[1:2]
	v_add_f64 v[3:4], v[12:13], v[4:5]
	s_delay_alu instid0(VALU_DEP_2) | instskip(NEXT) | instid1(VALU_DEP_2)
	v_add_f64 v[1:2], v[1:2], v[6:7]
	v_add_f64 v[3:4], v[3:4], v[8:9]
	s_waitcnt vmcnt(0)
	s_delay_alu instid0(VALU_DEP_2) | instskip(NEXT) | instid1(VALU_DEP_2)
	v_add_f64 v[1:2], v[30:31], -v[1:2]
	v_add_f64 v[3:4], v[32:33], -v[3:4]
	scratch_store_b128 off, v[1:4], off offset:416
	v_cmpx_lt_u32_e32 25, v108
	s_cbranch_execz .LBB96_161
; %bb.160:
	scratch_load_b128 v[1:4], v122, off
	v_mov_b32_e32 v5, 0
	s_delay_alu instid0(VALU_DEP_1)
	v_mov_b32_e32 v6, v5
	v_mov_b32_e32 v7, v5
	;; [unrolled: 1-line block ×3, first 2 shown]
	scratch_store_b128 off, v[5:8], off offset:400
	s_waitcnt vmcnt(0)
	ds_store_b128 v141, v[1:4]
.LBB96_161:
	s_or_b32 exec_lo, exec_lo, s2
	s_waitcnt lgkmcnt(0)
	s_waitcnt_vscnt null, 0x0
	s_barrier
	buffer_gl0_inv
	s_clause 0x6
	scratch_load_b128 v[2:5], off, off offset:416
	scratch_load_b128 v[6:9], off, off offset:432
	;; [unrolled: 1-line block ×7, first 2 shown]
	v_mov_b32_e32 v1, 0
	scratch_load_b128 v[34:37], off, off offset:400
	s_mov_b32 s2, exec_lo
	ds_load_b128 v[30:33], v1 offset:944
	ds_load_b128 v[38:41], v1 offset:960
	s_waitcnt vmcnt(7) lgkmcnt(1)
	v_mul_f64 v[142:143], v[32:33], v[4:5]
	v_mul_f64 v[4:5], v[30:31], v[4:5]
	s_waitcnt vmcnt(6) lgkmcnt(0)
	v_mul_f64 v[144:145], v[38:39], v[8:9]
	v_mul_f64 v[8:9], v[40:41], v[8:9]
	s_delay_alu instid0(VALU_DEP_4) | instskip(NEXT) | instid1(VALU_DEP_4)
	v_fma_f64 v[142:143], v[30:31], v[2:3], -v[142:143]
	v_fma_f64 v[146:147], v[32:33], v[2:3], v[4:5]
	ds_load_b128 v[2:5], v1 offset:976
	ds_load_b128 v[30:33], v1 offset:992
	v_fma_f64 v[40:41], v[40:41], v[6:7], v[144:145]
	v_fma_f64 v[6:7], v[38:39], v[6:7], -v[8:9]
	s_waitcnt vmcnt(5) lgkmcnt(1)
	v_mul_f64 v[148:149], v[2:3], v[12:13]
	v_mul_f64 v[12:13], v[4:5], v[12:13]
	v_add_f64 v[8:9], v[142:143], 0
	v_add_f64 v[38:39], v[146:147], 0
	s_waitcnt vmcnt(4) lgkmcnt(0)
	v_mul_f64 v[142:143], v[30:31], v[16:17]
	v_mul_f64 v[16:17], v[32:33], v[16:17]
	v_fma_f64 v[144:145], v[4:5], v[10:11], v[148:149]
	v_fma_f64 v[10:11], v[2:3], v[10:11], -v[12:13]
	v_add_f64 v[12:13], v[8:9], v[6:7]
	v_add_f64 v[38:39], v[38:39], v[40:41]
	ds_load_b128 v[2:5], v1 offset:1008
	ds_load_b128 v[6:9], v1 offset:1024
	v_fma_f64 v[32:33], v[32:33], v[14:15], v[142:143]
	v_fma_f64 v[14:15], v[30:31], v[14:15], -v[16:17]
	s_waitcnt vmcnt(3) lgkmcnt(1)
	v_mul_f64 v[40:41], v[2:3], v[20:21]
	v_mul_f64 v[20:21], v[4:5], v[20:21]
	s_waitcnt vmcnt(2) lgkmcnt(0)
	v_mul_f64 v[16:17], v[6:7], v[24:25]
	v_mul_f64 v[24:25], v[8:9], v[24:25]
	v_add_f64 v[10:11], v[12:13], v[10:11]
	v_add_f64 v[12:13], v[38:39], v[144:145]
	v_fma_f64 v[30:31], v[4:5], v[18:19], v[40:41]
	v_fma_f64 v[18:19], v[2:3], v[18:19], -v[20:21]
	ds_load_b128 v[2:5], v1 offset:1040
	v_fma_f64 v[8:9], v[8:9], v[22:23], v[16:17]
	v_fma_f64 v[6:7], v[6:7], v[22:23], -v[24:25]
	v_add_f64 v[10:11], v[10:11], v[14:15]
	v_add_f64 v[12:13], v[12:13], v[32:33]
	s_waitcnt vmcnt(1) lgkmcnt(0)
	v_mul_f64 v[14:15], v[2:3], v[28:29]
	v_mul_f64 v[20:21], v[4:5], v[28:29]
	s_delay_alu instid0(VALU_DEP_4) | instskip(NEXT) | instid1(VALU_DEP_4)
	v_add_f64 v[10:11], v[10:11], v[18:19]
	v_add_f64 v[12:13], v[12:13], v[30:31]
	s_delay_alu instid0(VALU_DEP_4) | instskip(NEXT) | instid1(VALU_DEP_4)
	v_fma_f64 v[4:5], v[4:5], v[26:27], v[14:15]
	v_fma_f64 v[2:3], v[2:3], v[26:27], -v[20:21]
	s_delay_alu instid0(VALU_DEP_4) | instskip(NEXT) | instid1(VALU_DEP_4)
	v_add_f64 v[6:7], v[10:11], v[6:7]
	v_add_f64 v[8:9], v[12:13], v[8:9]
	s_delay_alu instid0(VALU_DEP_2) | instskip(NEXT) | instid1(VALU_DEP_2)
	v_add_f64 v[2:3], v[6:7], v[2:3]
	v_add_f64 v[4:5], v[8:9], v[4:5]
	s_waitcnt vmcnt(0)
	s_delay_alu instid0(VALU_DEP_2) | instskip(NEXT) | instid1(VALU_DEP_2)
	v_add_f64 v[2:3], v[34:35], -v[2:3]
	v_add_f64 v[4:5], v[36:37], -v[4:5]
	scratch_store_b128 off, v[2:5], off offset:400
	v_cmpx_lt_u32_e32 24, v108
	s_cbranch_execz .LBB96_163
; %bb.162:
	scratch_load_b128 v[5:8], v123, off
	v_mov_b32_e32 v2, v1
	v_mov_b32_e32 v3, v1
	;; [unrolled: 1-line block ×3, first 2 shown]
	scratch_store_b128 off, v[1:4], off offset:384
	s_waitcnt vmcnt(0)
	ds_store_b128 v141, v[5:8]
.LBB96_163:
	s_or_b32 exec_lo, exec_lo, s2
	s_waitcnt lgkmcnt(0)
	s_waitcnt_vscnt null, 0x0
	s_barrier
	buffer_gl0_inv
	s_clause 0x7
	scratch_load_b128 v[2:5], off, off offset:400
	scratch_load_b128 v[6:9], off, off offset:416
	;; [unrolled: 1-line block ×8, first 2 shown]
	ds_load_b128 v[34:37], v1 offset:928
	ds_load_b128 v[38:41], v1 offset:944
	scratch_load_b128 v[142:145], off, off offset:384
	s_mov_b32 s2, exec_lo
	s_waitcnt vmcnt(8) lgkmcnt(1)
	v_mul_f64 v[146:147], v[36:37], v[4:5]
	v_mul_f64 v[4:5], v[34:35], v[4:5]
	s_waitcnt vmcnt(7) lgkmcnt(0)
	v_mul_f64 v[148:149], v[38:39], v[8:9]
	v_mul_f64 v[8:9], v[40:41], v[8:9]
	s_delay_alu instid0(VALU_DEP_4) | instskip(NEXT) | instid1(VALU_DEP_4)
	v_fma_f64 v[146:147], v[34:35], v[2:3], -v[146:147]
	v_fma_f64 v[150:151], v[36:37], v[2:3], v[4:5]
	ds_load_b128 v[2:5], v1 offset:960
	ds_load_b128 v[34:37], v1 offset:976
	v_fma_f64 v[40:41], v[40:41], v[6:7], v[148:149]
	v_fma_f64 v[6:7], v[38:39], v[6:7], -v[8:9]
	s_waitcnt vmcnt(6) lgkmcnt(1)
	v_mul_f64 v[152:153], v[2:3], v[12:13]
	v_mul_f64 v[12:13], v[4:5], v[12:13]
	v_add_f64 v[8:9], v[146:147], 0
	v_add_f64 v[38:39], v[150:151], 0
	s_waitcnt vmcnt(5) lgkmcnt(0)
	v_mul_f64 v[146:147], v[34:35], v[16:17]
	v_mul_f64 v[16:17], v[36:37], v[16:17]
	v_fma_f64 v[148:149], v[4:5], v[10:11], v[152:153]
	v_fma_f64 v[10:11], v[2:3], v[10:11], -v[12:13]
	v_add_f64 v[12:13], v[8:9], v[6:7]
	v_add_f64 v[38:39], v[38:39], v[40:41]
	ds_load_b128 v[2:5], v1 offset:992
	ds_load_b128 v[6:9], v1 offset:1008
	v_fma_f64 v[36:37], v[36:37], v[14:15], v[146:147]
	v_fma_f64 v[14:15], v[34:35], v[14:15], -v[16:17]
	s_waitcnt vmcnt(4) lgkmcnt(1)
	v_mul_f64 v[40:41], v[2:3], v[20:21]
	v_mul_f64 v[20:21], v[4:5], v[20:21]
	s_waitcnt vmcnt(3) lgkmcnt(0)
	v_mul_f64 v[16:17], v[6:7], v[24:25]
	v_mul_f64 v[24:25], v[8:9], v[24:25]
	v_add_f64 v[10:11], v[12:13], v[10:11]
	v_add_f64 v[12:13], v[38:39], v[148:149]
	v_fma_f64 v[34:35], v[4:5], v[18:19], v[40:41]
	v_fma_f64 v[18:19], v[2:3], v[18:19], -v[20:21]
	v_fma_f64 v[8:9], v[8:9], v[22:23], v[16:17]
	v_fma_f64 v[6:7], v[6:7], v[22:23], -v[24:25]
	v_add_f64 v[14:15], v[10:11], v[14:15]
	v_add_f64 v[20:21], v[12:13], v[36:37]
	ds_load_b128 v[2:5], v1 offset:1024
	ds_load_b128 v[10:13], v1 offset:1040
	s_waitcnt vmcnt(2) lgkmcnt(1)
	v_mul_f64 v[36:37], v[2:3], v[28:29]
	v_mul_f64 v[28:29], v[4:5], v[28:29]
	v_add_f64 v[14:15], v[14:15], v[18:19]
	v_add_f64 v[16:17], v[20:21], v[34:35]
	s_waitcnt vmcnt(1) lgkmcnt(0)
	v_mul_f64 v[18:19], v[10:11], v[32:33]
	v_mul_f64 v[20:21], v[12:13], v[32:33]
	v_fma_f64 v[4:5], v[4:5], v[26:27], v[36:37]
	v_fma_f64 v[1:2], v[2:3], v[26:27], -v[28:29]
	v_add_f64 v[6:7], v[14:15], v[6:7]
	v_add_f64 v[8:9], v[16:17], v[8:9]
	v_fma_f64 v[12:13], v[12:13], v[30:31], v[18:19]
	v_fma_f64 v[10:11], v[10:11], v[30:31], -v[20:21]
	s_delay_alu instid0(VALU_DEP_4) | instskip(NEXT) | instid1(VALU_DEP_4)
	v_add_f64 v[1:2], v[6:7], v[1:2]
	v_add_f64 v[3:4], v[8:9], v[4:5]
	s_delay_alu instid0(VALU_DEP_2) | instskip(NEXT) | instid1(VALU_DEP_2)
	v_add_f64 v[1:2], v[1:2], v[10:11]
	v_add_f64 v[3:4], v[3:4], v[12:13]
	s_waitcnt vmcnt(0)
	s_delay_alu instid0(VALU_DEP_2) | instskip(NEXT) | instid1(VALU_DEP_2)
	v_add_f64 v[1:2], v[142:143], -v[1:2]
	v_add_f64 v[3:4], v[144:145], -v[3:4]
	scratch_store_b128 off, v[1:4], off offset:384
	v_cmpx_lt_u32_e32 23, v108
	s_cbranch_execz .LBB96_165
; %bb.164:
	scratch_load_b128 v[1:4], v124, off
	v_mov_b32_e32 v5, 0
	s_delay_alu instid0(VALU_DEP_1)
	v_mov_b32_e32 v6, v5
	v_mov_b32_e32 v7, v5
	;; [unrolled: 1-line block ×3, first 2 shown]
	scratch_store_b128 off, v[5:8], off offset:368
	s_waitcnt vmcnt(0)
	ds_store_b128 v141, v[1:4]
.LBB96_165:
	s_or_b32 exec_lo, exec_lo, s2
	s_waitcnt lgkmcnt(0)
	s_waitcnt_vscnt null, 0x0
	s_barrier
	buffer_gl0_inv
	s_clause 0x7
	scratch_load_b128 v[2:5], off, off offset:384
	scratch_load_b128 v[6:9], off, off offset:400
	;; [unrolled: 1-line block ×8, first 2 shown]
	v_mov_b32_e32 v1, 0
	s_mov_b32 s2, exec_lo
	ds_load_b128 v[34:37], v1 offset:912
	s_clause 0x1
	scratch_load_b128 v[38:41], off, off offset:512
	scratch_load_b128 v[142:145], off, off offset:368
	ds_load_b128 v[146:149], v1 offset:928
	s_waitcnt vmcnt(9) lgkmcnt(1)
	v_mul_f64 v[150:151], v[36:37], v[4:5]
	v_mul_f64 v[4:5], v[34:35], v[4:5]
	s_waitcnt vmcnt(8) lgkmcnt(0)
	v_mul_f64 v[152:153], v[146:147], v[8:9]
	v_mul_f64 v[8:9], v[148:149], v[8:9]
	s_delay_alu instid0(VALU_DEP_4) | instskip(NEXT) | instid1(VALU_DEP_4)
	v_fma_f64 v[150:151], v[34:35], v[2:3], -v[150:151]
	v_fma_f64 v[154:155], v[36:37], v[2:3], v[4:5]
	ds_load_b128 v[2:5], v1 offset:944
	ds_load_b128 v[34:37], v1 offset:960
	v_fma_f64 v[148:149], v[148:149], v[6:7], v[152:153]
	v_fma_f64 v[6:7], v[146:147], v[6:7], -v[8:9]
	s_waitcnt vmcnt(7) lgkmcnt(1)
	v_mul_f64 v[156:157], v[2:3], v[12:13]
	v_mul_f64 v[12:13], v[4:5], v[12:13]
	v_add_f64 v[8:9], v[150:151], 0
	v_add_f64 v[146:147], v[154:155], 0
	s_waitcnt vmcnt(6) lgkmcnt(0)
	v_mul_f64 v[150:151], v[34:35], v[16:17]
	v_mul_f64 v[16:17], v[36:37], v[16:17]
	v_fma_f64 v[152:153], v[4:5], v[10:11], v[156:157]
	v_fma_f64 v[10:11], v[2:3], v[10:11], -v[12:13]
	v_add_f64 v[12:13], v[8:9], v[6:7]
	v_add_f64 v[146:147], v[146:147], v[148:149]
	ds_load_b128 v[2:5], v1 offset:976
	ds_load_b128 v[6:9], v1 offset:992
	v_fma_f64 v[36:37], v[36:37], v[14:15], v[150:151]
	v_fma_f64 v[14:15], v[34:35], v[14:15], -v[16:17]
	s_waitcnt vmcnt(5) lgkmcnt(1)
	v_mul_f64 v[148:149], v[2:3], v[20:21]
	v_mul_f64 v[20:21], v[4:5], v[20:21]
	s_waitcnt vmcnt(4) lgkmcnt(0)
	v_mul_f64 v[16:17], v[6:7], v[24:25]
	v_mul_f64 v[24:25], v[8:9], v[24:25]
	v_add_f64 v[10:11], v[12:13], v[10:11]
	v_add_f64 v[12:13], v[146:147], v[152:153]
	v_fma_f64 v[34:35], v[4:5], v[18:19], v[148:149]
	v_fma_f64 v[18:19], v[2:3], v[18:19], -v[20:21]
	v_fma_f64 v[8:9], v[8:9], v[22:23], v[16:17]
	v_fma_f64 v[6:7], v[6:7], v[22:23], -v[24:25]
	v_add_f64 v[14:15], v[10:11], v[14:15]
	v_add_f64 v[20:21], v[12:13], v[36:37]
	ds_load_b128 v[2:5], v1 offset:1008
	ds_load_b128 v[10:13], v1 offset:1024
	s_waitcnt vmcnt(3) lgkmcnt(1)
	v_mul_f64 v[36:37], v[2:3], v[28:29]
	v_mul_f64 v[28:29], v[4:5], v[28:29]
	v_add_f64 v[14:15], v[14:15], v[18:19]
	v_add_f64 v[16:17], v[20:21], v[34:35]
	s_waitcnt vmcnt(2) lgkmcnt(0)
	v_mul_f64 v[18:19], v[10:11], v[32:33]
	v_mul_f64 v[20:21], v[12:13], v[32:33]
	v_fma_f64 v[22:23], v[4:5], v[26:27], v[36:37]
	v_fma_f64 v[24:25], v[2:3], v[26:27], -v[28:29]
	ds_load_b128 v[2:5], v1 offset:1040
	v_add_f64 v[6:7], v[14:15], v[6:7]
	v_add_f64 v[8:9], v[16:17], v[8:9]
	v_fma_f64 v[12:13], v[12:13], v[30:31], v[18:19]
	v_fma_f64 v[10:11], v[10:11], v[30:31], -v[20:21]
	s_waitcnt vmcnt(1) lgkmcnt(0)
	v_mul_f64 v[14:15], v[2:3], v[40:41]
	v_mul_f64 v[16:17], v[4:5], v[40:41]
	v_add_f64 v[6:7], v[6:7], v[24:25]
	v_add_f64 v[8:9], v[8:9], v[22:23]
	s_delay_alu instid0(VALU_DEP_4) | instskip(NEXT) | instid1(VALU_DEP_4)
	v_fma_f64 v[4:5], v[4:5], v[38:39], v[14:15]
	v_fma_f64 v[2:3], v[2:3], v[38:39], -v[16:17]
	s_delay_alu instid0(VALU_DEP_4) | instskip(NEXT) | instid1(VALU_DEP_4)
	v_add_f64 v[6:7], v[6:7], v[10:11]
	v_add_f64 v[8:9], v[8:9], v[12:13]
	s_delay_alu instid0(VALU_DEP_2) | instskip(NEXT) | instid1(VALU_DEP_2)
	v_add_f64 v[2:3], v[6:7], v[2:3]
	v_add_f64 v[4:5], v[8:9], v[4:5]
	s_waitcnt vmcnt(0)
	s_delay_alu instid0(VALU_DEP_2) | instskip(NEXT) | instid1(VALU_DEP_2)
	v_add_f64 v[2:3], v[142:143], -v[2:3]
	v_add_f64 v[4:5], v[144:145], -v[4:5]
	scratch_store_b128 off, v[2:5], off offset:368
	v_cmpx_lt_u32_e32 22, v108
	s_cbranch_execz .LBB96_167
; %bb.166:
	scratch_load_b128 v[5:8], v125, off
	v_mov_b32_e32 v2, v1
	v_mov_b32_e32 v3, v1
	;; [unrolled: 1-line block ×3, first 2 shown]
	scratch_store_b128 off, v[1:4], off offset:352
	s_waitcnt vmcnt(0)
	ds_store_b128 v141, v[5:8]
.LBB96_167:
	s_or_b32 exec_lo, exec_lo, s2
	s_waitcnt lgkmcnt(0)
	s_waitcnt_vscnt null, 0x0
	s_barrier
	buffer_gl0_inv
	s_clause 0x8
	scratch_load_b128 v[2:5], off, off offset:368
	scratch_load_b128 v[6:9], off, off offset:384
	;; [unrolled: 1-line block ×9, first 2 shown]
	ds_load_b128 v[38:41], v1 offset:896
	ds_load_b128 v[142:145], v1 offset:912
	s_clause 0x1
	scratch_load_b128 v[146:149], off, off offset:352
	scratch_load_b128 v[150:153], off, off offset:512
	s_mov_b32 s2, exec_lo
	s_waitcnt vmcnt(10) lgkmcnt(1)
	v_mul_f64 v[154:155], v[40:41], v[4:5]
	v_mul_f64 v[4:5], v[38:39], v[4:5]
	s_waitcnt vmcnt(9) lgkmcnt(0)
	v_mul_f64 v[156:157], v[142:143], v[8:9]
	v_mul_f64 v[8:9], v[144:145], v[8:9]
	s_delay_alu instid0(VALU_DEP_4) | instskip(NEXT) | instid1(VALU_DEP_4)
	v_fma_f64 v[154:155], v[38:39], v[2:3], -v[154:155]
	v_fma_f64 v[158:159], v[40:41], v[2:3], v[4:5]
	ds_load_b128 v[2:5], v1 offset:928
	ds_load_b128 v[38:41], v1 offset:944
	v_fma_f64 v[144:145], v[144:145], v[6:7], v[156:157]
	v_fma_f64 v[6:7], v[142:143], v[6:7], -v[8:9]
	s_waitcnt vmcnt(8) lgkmcnt(1)
	v_mul_f64 v[160:161], v[2:3], v[12:13]
	v_mul_f64 v[12:13], v[4:5], v[12:13]
	v_add_f64 v[8:9], v[154:155], 0
	v_add_f64 v[142:143], v[158:159], 0
	s_waitcnt vmcnt(7) lgkmcnt(0)
	v_mul_f64 v[154:155], v[38:39], v[16:17]
	v_mul_f64 v[16:17], v[40:41], v[16:17]
	v_fma_f64 v[156:157], v[4:5], v[10:11], v[160:161]
	v_fma_f64 v[10:11], v[2:3], v[10:11], -v[12:13]
	v_add_f64 v[12:13], v[8:9], v[6:7]
	v_add_f64 v[142:143], v[142:143], v[144:145]
	ds_load_b128 v[2:5], v1 offset:960
	ds_load_b128 v[6:9], v1 offset:976
	v_fma_f64 v[40:41], v[40:41], v[14:15], v[154:155]
	v_fma_f64 v[14:15], v[38:39], v[14:15], -v[16:17]
	s_waitcnt vmcnt(6) lgkmcnt(1)
	v_mul_f64 v[144:145], v[2:3], v[20:21]
	v_mul_f64 v[20:21], v[4:5], v[20:21]
	s_waitcnt vmcnt(5) lgkmcnt(0)
	v_mul_f64 v[16:17], v[6:7], v[24:25]
	v_mul_f64 v[24:25], v[8:9], v[24:25]
	v_add_f64 v[10:11], v[12:13], v[10:11]
	v_add_f64 v[12:13], v[142:143], v[156:157]
	v_fma_f64 v[38:39], v[4:5], v[18:19], v[144:145]
	v_fma_f64 v[18:19], v[2:3], v[18:19], -v[20:21]
	v_fma_f64 v[8:9], v[8:9], v[22:23], v[16:17]
	v_fma_f64 v[6:7], v[6:7], v[22:23], -v[24:25]
	v_add_f64 v[14:15], v[10:11], v[14:15]
	v_add_f64 v[20:21], v[12:13], v[40:41]
	ds_load_b128 v[2:5], v1 offset:992
	ds_load_b128 v[10:13], v1 offset:1008
	s_waitcnt vmcnt(4) lgkmcnt(1)
	v_mul_f64 v[40:41], v[2:3], v[28:29]
	v_mul_f64 v[28:29], v[4:5], v[28:29]
	v_add_f64 v[14:15], v[14:15], v[18:19]
	v_add_f64 v[16:17], v[20:21], v[38:39]
	s_waitcnt vmcnt(3) lgkmcnt(0)
	v_mul_f64 v[18:19], v[10:11], v[32:33]
	v_mul_f64 v[20:21], v[12:13], v[32:33]
	v_fma_f64 v[22:23], v[4:5], v[26:27], v[40:41]
	v_fma_f64 v[24:25], v[2:3], v[26:27], -v[28:29]
	v_add_f64 v[14:15], v[14:15], v[6:7]
	v_add_f64 v[16:17], v[16:17], v[8:9]
	ds_load_b128 v[2:5], v1 offset:1024
	ds_load_b128 v[6:9], v1 offset:1040
	v_fma_f64 v[12:13], v[12:13], v[30:31], v[18:19]
	v_fma_f64 v[10:11], v[10:11], v[30:31], -v[20:21]
	s_waitcnt vmcnt(2) lgkmcnt(1)
	v_mul_f64 v[26:27], v[2:3], v[36:37]
	v_mul_f64 v[28:29], v[4:5], v[36:37]
	s_waitcnt vmcnt(0) lgkmcnt(0)
	v_mul_f64 v[18:19], v[6:7], v[152:153]
	v_mul_f64 v[20:21], v[8:9], v[152:153]
	v_add_f64 v[14:15], v[14:15], v[24:25]
	v_add_f64 v[16:17], v[16:17], v[22:23]
	v_fma_f64 v[4:5], v[4:5], v[34:35], v[26:27]
	v_fma_f64 v[1:2], v[2:3], v[34:35], -v[28:29]
	v_fma_f64 v[8:9], v[8:9], v[150:151], v[18:19]
	v_fma_f64 v[6:7], v[6:7], v[150:151], -v[20:21]
	v_add_f64 v[10:11], v[14:15], v[10:11]
	v_add_f64 v[12:13], v[16:17], v[12:13]
	s_delay_alu instid0(VALU_DEP_2) | instskip(NEXT) | instid1(VALU_DEP_2)
	v_add_f64 v[1:2], v[10:11], v[1:2]
	v_add_f64 v[3:4], v[12:13], v[4:5]
	s_delay_alu instid0(VALU_DEP_2) | instskip(NEXT) | instid1(VALU_DEP_2)
	;; [unrolled: 3-line block ×3, first 2 shown]
	v_add_f64 v[1:2], v[146:147], -v[1:2]
	v_add_f64 v[3:4], v[148:149], -v[3:4]
	scratch_store_b128 off, v[1:4], off offset:352
	v_cmpx_lt_u32_e32 21, v108
	s_cbranch_execz .LBB96_169
; %bb.168:
	scratch_load_b128 v[1:4], v126, off
	v_mov_b32_e32 v5, 0
	s_delay_alu instid0(VALU_DEP_1)
	v_mov_b32_e32 v6, v5
	v_mov_b32_e32 v7, v5
	v_mov_b32_e32 v8, v5
	scratch_store_b128 off, v[5:8], off offset:336
	s_waitcnt vmcnt(0)
	ds_store_b128 v141, v[1:4]
.LBB96_169:
	s_or_b32 exec_lo, exec_lo, s2
	s_waitcnt lgkmcnt(0)
	s_waitcnt_vscnt null, 0x0
	s_barrier
	buffer_gl0_inv
	s_clause 0x7
	scratch_load_b128 v[2:5], off, off offset:352
	scratch_load_b128 v[6:9], off, off offset:368
	;; [unrolled: 1-line block ×8, first 2 shown]
	v_mov_b32_e32 v1, 0
	s_mov_b32 s2, exec_lo
	ds_load_b128 v[34:37], v1 offset:880
	s_clause 0x1
	scratch_load_b128 v[38:41], off, off offset:480
	scratch_load_b128 v[142:145], off, off offset:336
	ds_load_b128 v[146:149], v1 offset:896
	scratch_load_b128 v[150:153], off, off offset:496
	s_waitcnt vmcnt(10) lgkmcnt(1)
	v_mul_f64 v[154:155], v[36:37], v[4:5]
	v_mul_f64 v[4:5], v[34:35], v[4:5]
	s_delay_alu instid0(VALU_DEP_2) | instskip(NEXT) | instid1(VALU_DEP_2)
	v_fma_f64 v[160:161], v[34:35], v[2:3], -v[154:155]
	v_fma_f64 v[162:163], v[36:37], v[2:3], v[4:5]
	scratch_load_b128 v[34:37], off, off offset:512
	ds_load_b128 v[2:5], v1 offset:912
	s_waitcnt vmcnt(10) lgkmcnt(1)
	v_mul_f64 v[158:159], v[146:147], v[8:9]
	v_mul_f64 v[8:9], v[148:149], v[8:9]
	ds_load_b128 v[154:157], v1 offset:928
	s_waitcnt vmcnt(9) lgkmcnt(1)
	v_mul_f64 v[164:165], v[2:3], v[12:13]
	v_mul_f64 v[12:13], v[4:5], v[12:13]
	v_fma_f64 v[148:149], v[148:149], v[6:7], v[158:159]
	v_fma_f64 v[6:7], v[146:147], v[6:7], -v[8:9]
	v_add_f64 v[8:9], v[160:161], 0
	v_add_f64 v[146:147], v[162:163], 0
	s_waitcnt vmcnt(8) lgkmcnt(0)
	v_mul_f64 v[158:159], v[154:155], v[16:17]
	v_mul_f64 v[16:17], v[156:157], v[16:17]
	v_fma_f64 v[160:161], v[4:5], v[10:11], v[164:165]
	v_fma_f64 v[10:11], v[2:3], v[10:11], -v[12:13]
	v_add_f64 v[12:13], v[8:9], v[6:7]
	v_add_f64 v[146:147], v[146:147], v[148:149]
	ds_load_b128 v[2:5], v1 offset:944
	ds_load_b128 v[6:9], v1 offset:960
	v_fma_f64 v[156:157], v[156:157], v[14:15], v[158:159]
	v_fma_f64 v[14:15], v[154:155], v[14:15], -v[16:17]
	s_waitcnt vmcnt(7) lgkmcnt(1)
	v_mul_f64 v[148:149], v[2:3], v[20:21]
	v_mul_f64 v[20:21], v[4:5], v[20:21]
	s_waitcnt vmcnt(6) lgkmcnt(0)
	v_mul_f64 v[16:17], v[6:7], v[24:25]
	v_mul_f64 v[24:25], v[8:9], v[24:25]
	v_add_f64 v[10:11], v[12:13], v[10:11]
	v_add_f64 v[12:13], v[146:147], v[160:161]
	v_fma_f64 v[146:147], v[4:5], v[18:19], v[148:149]
	v_fma_f64 v[18:19], v[2:3], v[18:19], -v[20:21]
	v_fma_f64 v[8:9], v[8:9], v[22:23], v[16:17]
	v_fma_f64 v[6:7], v[6:7], v[22:23], -v[24:25]
	v_add_f64 v[14:15], v[10:11], v[14:15]
	v_add_f64 v[20:21], v[12:13], v[156:157]
	ds_load_b128 v[2:5], v1 offset:976
	ds_load_b128 v[10:13], v1 offset:992
	s_waitcnt vmcnt(5) lgkmcnt(1)
	v_mul_f64 v[148:149], v[2:3], v[28:29]
	v_mul_f64 v[28:29], v[4:5], v[28:29]
	v_add_f64 v[14:15], v[14:15], v[18:19]
	v_add_f64 v[16:17], v[20:21], v[146:147]
	s_waitcnt vmcnt(4) lgkmcnt(0)
	v_mul_f64 v[18:19], v[10:11], v[32:33]
	v_mul_f64 v[20:21], v[12:13], v[32:33]
	v_fma_f64 v[22:23], v[4:5], v[26:27], v[148:149]
	v_fma_f64 v[24:25], v[2:3], v[26:27], -v[28:29]
	v_add_f64 v[14:15], v[14:15], v[6:7]
	v_add_f64 v[16:17], v[16:17], v[8:9]
	ds_load_b128 v[2:5], v1 offset:1008
	ds_load_b128 v[6:9], v1 offset:1024
	v_fma_f64 v[12:13], v[12:13], v[30:31], v[18:19]
	v_fma_f64 v[10:11], v[10:11], v[30:31], -v[20:21]
	s_waitcnt vmcnt(3) lgkmcnt(1)
	v_mul_f64 v[26:27], v[2:3], v[40:41]
	v_mul_f64 v[28:29], v[4:5], v[40:41]
	s_waitcnt vmcnt(1) lgkmcnt(0)
	v_mul_f64 v[18:19], v[6:7], v[152:153]
	v_mul_f64 v[20:21], v[8:9], v[152:153]
	v_add_f64 v[14:15], v[14:15], v[24:25]
	v_add_f64 v[16:17], v[16:17], v[22:23]
	v_fma_f64 v[22:23], v[4:5], v[38:39], v[26:27]
	v_fma_f64 v[24:25], v[2:3], v[38:39], -v[28:29]
	ds_load_b128 v[2:5], v1 offset:1040
	v_fma_f64 v[8:9], v[8:9], v[150:151], v[18:19]
	v_fma_f64 v[6:7], v[6:7], v[150:151], -v[20:21]
	v_add_f64 v[10:11], v[14:15], v[10:11]
	v_add_f64 v[12:13], v[16:17], v[12:13]
	s_waitcnt vmcnt(0) lgkmcnt(0)
	v_mul_f64 v[14:15], v[2:3], v[36:37]
	v_mul_f64 v[16:17], v[4:5], v[36:37]
	s_delay_alu instid0(VALU_DEP_4) | instskip(NEXT) | instid1(VALU_DEP_4)
	v_add_f64 v[10:11], v[10:11], v[24:25]
	v_add_f64 v[12:13], v[12:13], v[22:23]
	s_delay_alu instid0(VALU_DEP_4) | instskip(NEXT) | instid1(VALU_DEP_4)
	v_fma_f64 v[4:5], v[4:5], v[34:35], v[14:15]
	v_fma_f64 v[2:3], v[2:3], v[34:35], -v[16:17]
	s_delay_alu instid0(VALU_DEP_4) | instskip(NEXT) | instid1(VALU_DEP_4)
	v_add_f64 v[6:7], v[10:11], v[6:7]
	v_add_f64 v[8:9], v[12:13], v[8:9]
	s_delay_alu instid0(VALU_DEP_2) | instskip(NEXT) | instid1(VALU_DEP_2)
	v_add_f64 v[2:3], v[6:7], v[2:3]
	v_add_f64 v[4:5], v[8:9], v[4:5]
	s_delay_alu instid0(VALU_DEP_2) | instskip(NEXT) | instid1(VALU_DEP_2)
	v_add_f64 v[2:3], v[142:143], -v[2:3]
	v_add_f64 v[4:5], v[144:145], -v[4:5]
	scratch_store_b128 off, v[2:5], off offset:336
	v_cmpx_lt_u32_e32 20, v108
	s_cbranch_execz .LBB96_171
; %bb.170:
	scratch_load_b128 v[5:8], v116, off
	v_mov_b32_e32 v2, v1
	v_mov_b32_e32 v3, v1
	;; [unrolled: 1-line block ×3, first 2 shown]
	scratch_store_b128 off, v[1:4], off offset:320
	s_waitcnt vmcnt(0)
	ds_store_b128 v141, v[5:8]
.LBB96_171:
	s_or_b32 exec_lo, exec_lo, s2
	s_waitcnt lgkmcnt(0)
	s_waitcnt_vscnt null, 0x0
	s_barrier
	buffer_gl0_inv
	s_clause 0x8
	scratch_load_b128 v[2:5], off, off offset:336
	scratch_load_b128 v[6:9], off, off offset:352
	;; [unrolled: 1-line block ×9, first 2 shown]
	ds_load_b128 v[38:41], v1 offset:864
	ds_load_b128 v[142:145], v1 offset:880
	s_clause 0x1
	scratch_load_b128 v[146:149], off, off offset:320
	scratch_load_b128 v[150:153], off, off offset:480
	s_mov_b32 s2, exec_lo
	s_waitcnt vmcnt(10) lgkmcnt(1)
	v_mul_f64 v[154:155], v[40:41], v[4:5]
	v_mul_f64 v[4:5], v[38:39], v[4:5]
	s_waitcnt vmcnt(9) lgkmcnt(0)
	v_mul_f64 v[158:159], v[142:143], v[8:9]
	v_mul_f64 v[8:9], v[144:145], v[8:9]
	s_delay_alu instid0(VALU_DEP_4) | instskip(NEXT) | instid1(VALU_DEP_4)
	v_fma_f64 v[160:161], v[38:39], v[2:3], -v[154:155]
	v_fma_f64 v[162:163], v[40:41], v[2:3], v[4:5]
	ds_load_b128 v[2:5], v1 offset:896
	ds_load_b128 v[154:157], v1 offset:912
	scratch_load_b128 v[38:41], off, off offset:496
	v_fma_f64 v[144:145], v[144:145], v[6:7], v[158:159]
	v_fma_f64 v[142:143], v[142:143], v[6:7], -v[8:9]
	scratch_load_b128 v[6:9], off, off offset:512
	s_waitcnt vmcnt(10) lgkmcnt(1)
	v_mul_f64 v[164:165], v[2:3], v[12:13]
	v_mul_f64 v[12:13], v[4:5], v[12:13]
	v_add_f64 v[158:159], v[160:161], 0
	v_add_f64 v[160:161], v[162:163], 0
	s_waitcnt vmcnt(9) lgkmcnt(0)
	v_mul_f64 v[162:163], v[154:155], v[16:17]
	v_mul_f64 v[16:17], v[156:157], v[16:17]
	v_fma_f64 v[164:165], v[4:5], v[10:11], v[164:165]
	v_fma_f64 v[166:167], v[2:3], v[10:11], -v[12:13]
	ds_load_b128 v[2:5], v1 offset:928
	ds_load_b128 v[10:13], v1 offset:944
	v_add_f64 v[142:143], v[158:159], v[142:143]
	v_add_f64 v[144:145], v[160:161], v[144:145]
	v_fma_f64 v[156:157], v[156:157], v[14:15], v[162:163]
	v_fma_f64 v[14:15], v[154:155], v[14:15], -v[16:17]
	s_waitcnt vmcnt(8) lgkmcnt(1)
	v_mul_f64 v[158:159], v[2:3], v[20:21]
	v_mul_f64 v[20:21], v[4:5], v[20:21]
	v_add_f64 v[16:17], v[142:143], v[166:167]
	v_add_f64 v[142:143], v[144:145], v[164:165]
	s_waitcnt vmcnt(7) lgkmcnt(0)
	v_mul_f64 v[144:145], v[10:11], v[24:25]
	v_mul_f64 v[24:25], v[12:13], v[24:25]
	v_fma_f64 v[154:155], v[4:5], v[18:19], v[158:159]
	v_fma_f64 v[18:19], v[2:3], v[18:19], -v[20:21]
	v_add_f64 v[20:21], v[16:17], v[14:15]
	v_add_f64 v[142:143], v[142:143], v[156:157]
	ds_load_b128 v[2:5], v1 offset:960
	ds_load_b128 v[14:17], v1 offset:976
	v_fma_f64 v[12:13], v[12:13], v[22:23], v[144:145]
	v_fma_f64 v[10:11], v[10:11], v[22:23], -v[24:25]
	s_waitcnt vmcnt(6) lgkmcnt(1)
	v_mul_f64 v[156:157], v[2:3], v[28:29]
	v_mul_f64 v[28:29], v[4:5], v[28:29]
	s_waitcnt vmcnt(5) lgkmcnt(0)
	v_mul_f64 v[22:23], v[14:15], v[32:33]
	v_mul_f64 v[24:25], v[16:17], v[32:33]
	v_add_f64 v[18:19], v[20:21], v[18:19]
	v_add_f64 v[20:21], v[142:143], v[154:155]
	v_fma_f64 v[32:33], v[4:5], v[26:27], v[156:157]
	v_fma_f64 v[26:27], v[2:3], v[26:27], -v[28:29]
	v_fma_f64 v[16:17], v[16:17], v[30:31], v[22:23]
	v_fma_f64 v[14:15], v[14:15], v[30:31], -v[24:25]
	v_add_f64 v[18:19], v[18:19], v[10:11]
	v_add_f64 v[20:21], v[20:21], v[12:13]
	ds_load_b128 v[2:5], v1 offset:992
	ds_load_b128 v[10:13], v1 offset:1008
	s_waitcnt vmcnt(4) lgkmcnt(1)
	v_mul_f64 v[28:29], v[2:3], v[36:37]
	v_mul_f64 v[36:37], v[4:5], v[36:37]
	s_waitcnt vmcnt(2) lgkmcnt(0)
	v_mul_f64 v[22:23], v[10:11], v[152:153]
	v_mul_f64 v[24:25], v[12:13], v[152:153]
	v_add_f64 v[18:19], v[18:19], v[26:27]
	v_add_f64 v[20:21], v[20:21], v[32:33]
	v_fma_f64 v[26:27], v[4:5], v[34:35], v[28:29]
	v_fma_f64 v[28:29], v[2:3], v[34:35], -v[36:37]
	v_fma_f64 v[12:13], v[12:13], v[150:151], v[22:23]
	v_fma_f64 v[10:11], v[10:11], v[150:151], -v[24:25]
	v_add_f64 v[18:19], v[18:19], v[14:15]
	v_add_f64 v[20:21], v[20:21], v[16:17]
	ds_load_b128 v[2:5], v1 offset:1024
	ds_load_b128 v[14:17], v1 offset:1040
	s_waitcnt vmcnt(1) lgkmcnt(1)
	v_mul_f64 v[30:31], v[2:3], v[40:41]
	v_mul_f64 v[32:33], v[4:5], v[40:41]
	s_waitcnt vmcnt(0) lgkmcnt(0)
	v_mul_f64 v[22:23], v[14:15], v[8:9]
	v_mul_f64 v[8:9], v[16:17], v[8:9]
	v_add_f64 v[18:19], v[18:19], v[28:29]
	v_add_f64 v[20:21], v[20:21], v[26:27]
	v_fma_f64 v[4:5], v[4:5], v[38:39], v[30:31]
	v_fma_f64 v[1:2], v[2:3], v[38:39], -v[32:33]
	v_fma_f64 v[16:17], v[16:17], v[6:7], v[22:23]
	v_fma_f64 v[6:7], v[14:15], v[6:7], -v[8:9]
	v_add_f64 v[10:11], v[18:19], v[10:11]
	v_add_f64 v[12:13], v[20:21], v[12:13]
	s_delay_alu instid0(VALU_DEP_2) | instskip(NEXT) | instid1(VALU_DEP_2)
	v_add_f64 v[1:2], v[10:11], v[1:2]
	v_add_f64 v[3:4], v[12:13], v[4:5]
	s_delay_alu instid0(VALU_DEP_2) | instskip(NEXT) | instid1(VALU_DEP_2)
	;; [unrolled: 3-line block ×3, first 2 shown]
	v_add_f64 v[1:2], v[146:147], -v[1:2]
	v_add_f64 v[3:4], v[148:149], -v[3:4]
	scratch_store_b128 off, v[1:4], off offset:320
	v_cmpx_lt_u32_e32 19, v108
	s_cbranch_execz .LBB96_173
; %bb.172:
	scratch_load_b128 v[1:4], v117, off
	v_mov_b32_e32 v5, 0
	s_delay_alu instid0(VALU_DEP_1)
	v_mov_b32_e32 v6, v5
	v_mov_b32_e32 v7, v5
	;; [unrolled: 1-line block ×3, first 2 shown]
	scratch_store_b128 off, v[5:8], off offset:304
	s_waitcnt vmcnt(0)
	ds_store_b128 v141, v[1:4]
.LBB96_173:
	s_or_b32 exec_lo, exec_lo, s2
	s_waitcnt lgkmcnt(0)
	s_waitcnt_vscnt null, 0x0
	s_barrier
	buffer_gl0_inv
	s_clause 0x7
	scratch_load_b128 v[2:5], off, off offset:320
	scratch_load_b128 v[6:9], off, off offset:336
	;; [unrolled: 1-line block ×8, first 2 shown]
	v_mov_b32_e32 v1, 0
	s_clause 0x1
	scratch_load_b128 v[38:41], off, off offset:448
	scratch_load_b128 v[146:149], off, off offset:464
	s_mov_b32 s2, exec_lo
	ds_load_b128 v[34:37], v1 offset:848
	ds_load_b128 v[142:145], v1 offset:864
	s_waitcnt vmcnt(9) lgkmcnt(1)
	v_mul_f64 v[150:151], v[36:37], v[4:5]
	v_mul_f64 v[4:5], v[34:35], v[4:5]
	s_waitcnt vmcnt(8) lgkmcnt(0)
	v_mul_f64 v[152:153], v[142:143], v[8:9]
	v_mul_f64 v[8:9], v[144:145], v[8:9]
	s_delay_alu instid0(VALU_DEP_4) | instskip(NEXT) | instid1(VALU_DEP_4)
	v_fma_f64 v[150:151], v[34:35], v[2:3], -v[150:151]
	v_fma_f64 v[154:155], v[36:37], v[2:3], v[4:5]
	ds_load_b128 v[2:5], v1 offset:880
	scratch_load_b128 v[34:37], off, off offset:480
	v_fma_f64 v[152:153], v[144:145], v[6:7], v[152:153]
	v_fma_f64 v[158:159], v[142:143], v[6:7], -v[8:9]
	ds_load_b128 v[6:9], v1 offset:896
	scratch_load_b128 v[142:145], off, off offset:496
	s_waitcnt vmcnt(9) lgkmcnt(1)
	v_mul_f64 v[156:157], v[2:3], v[12:13]
	v_mul_f64 v[12:13], v[4:5], v[12:13]
	s_waitcnt vmcnt(8) lgkmcnt(0)
	v_mul_f64 v[160:161], v[6:7], v[16:17]
	v_mul_f64 v[16:17], v[8:9], v[16:17]
	v_add_f64 v[150:151], v[150:151], 0
	v_add_f64 v[154:155], v[154:155], 0
	v_fma_f64 v[156:157], v[4:5], v[10:11], v[156:157]
	v_fma_f64 v[162:163], v[2:3], v[10:11], -v[12:13]
	scratch_load_b128 v[10:13], off, off offset:512
	ds_load_b128 v[2:5], v1 offset:912
	v_add_f64 v[150:151], v[150:151], v[158:159]
	v_add_f64 v[152:153], v[154:155], v[152:153]
	v_fma_f64 v[158:159], v[8:9], v[14:15], v[160:161]
	v_fma_f64 v[14:15], v[6:7], v[14:15], -v[16:17]
	ds_load_b128 v[6:9], v1 offset:928
	s_waitcnt vmcnt(8) lgkmcnt(1)
	v_mul_f64 v[154:155], v[2:3], v[20:21]
	v_mul_f64 v[20:21], v[4:5], v[20:21]
	v_add_f64 v[16:17], v[150:151], v[162:163]
	v_add_f64 v[150:151], v[152:153], v[156:157]
	s_waitcnt vmcnt(7) lgkmcnt(0)
	v_mul_f64 v[152:153], v[6:7], v[24:25]
	v_mul_f64 v[24:25], v[8:9], v[24:25]
	v_fma_f64 v[154:155], v[4:5], v[18:19], v[154:155]
	v_fma_f64 v[18:19], v[2:3], v[18:19], -v[20:21]
	ds_load_b128 v[2:5], v1 offset:944
	v_add_f64 v[14:15], v[16:17], v[14:15]
	v_add_f64 v[16:17], v[150:151], v[158:159]
	v_fma_f64 v[150:151], v[8:9], v[22:23], v[152:153]
	v_fma_f64 v[22:23], v[6:7], v[22:23], -v[24:25]
	ds_load_b128 v[6:9], v1 offset:960
	s_waitcnt vmcnt(6) lgkmcnt(1)
	v_mul_f64 v[20:21], v[2:3], v[28:29]
	v_mul_f64 v[28:29], v[4:5], v[28:29]
	s_waitcnt vmcnt(5) lgkmcnt(0)
	v_mul_f64 v[152:153], v[6:7], v[32:33]
	v_mul_f64 v[32:33], v[8:9], v[32:33]
	v_add_f64 v[18:19], v[14:15], v[18:19]
	v_add_f64 v[24:25], v[16:17], v[154:155]
	scratch_load_b128 v[14:17], off, off offset:304
	v_fma_f64 v[20:21], v[4:5], v[26:27], v[20:21]
	v_fma_f64 v[26:27], v[2:3], v[26:27], -v[28:29]
	ds_load_b128 v[2:5], v1 offset:976
	s_waitcnt vmcnt(5) lgkmcnt(0)
	v_mul_f64 v[28:29], v[4:5], v[40:41]
	v_add_f64 v[18:19], v[18:19], v[22:23]
	v_add_f64 v[22:23], v[24:25], v[150:151]
	v_mul_f64 v[24:25], v[2:3], v[40:41]
	v_fma_f64 v[40:41], v[8:9], v[30:31], v[152:153]
	v_fma_f64 v[30:31], v[6:7], v[30:31], -v[32:33]
	ds_load_b128 v[6:9], v1 offset:992
	v_fma_f64 v[28:29], v[2:3], v[38:39], -v[28:29]
	v_add_f64 v[18:19], v[18:19], v[26:27]
	v_add_f64 v[20:21], v[22:23], v[20:21]
	v_fma_f64 v[24:25], v[4:5], v[38:39], v[24:25]
	ds_load_b128 v[2:5], v1 offset:1008
	s_waitcnt vmcnt(4) lgkmcnt(1)
	v_mul_f64 v[22:23], v[6:7], v[148:149]
	v_mul_f64 v[26:27], v[8:9], v[148:149]
	v_add_f64 v[18:19], v[18:19], v[30:31]
	v_add_f64 v[20:21], v[20:21], v[40:41]
	s_delay_alu instid0(VALU_DEP_4) | instskip(NEXT) | instid1(VALU_DEP_4)
	v_fma_f64 v[22:23], v[8:9], v[146:147], v[22:23]
	v_fma_f64 v[26:27], v[6:7], v[146:147], -v[26:27]
	ds_load_b128 v[6:9], v1 offset:1024
	s_waitcnt vmcnt(3) lgkmcnt(1)
	v_mul_f64 v[30:31], v[2:3], v[36:37]
	v_mul_f64 v[32:33], v[4:5], v[36:37]
	v_add_f64 v[18:19], v[18:19], v[28:29]
	v_add_f64 v[20:21], v[20:21], v[24:25]
	s_delay_alu instid0(VALU_DEP_4) | instskip(NEXT) | instid1(VALU_DEP_4)
	v_fma_f64 v[30:31], v[4:5], v[34:35], v[30:31]
	v_fma_f64 v[32:33], v[2:3], v[34:35], -v[32:33]
	ds_load_b128 v[2:5], v1 offset:1040
	s_waitcnt vmcnt(2) lgkmcnt(1)
	v_mul_f64 v[24:25], v[6:7], v[144:145]
	v_mul_f64 v[28:29], v[8:9], v[144:145]
	v_add_f64 v[18:19], v[18:19], v[26:27]
	v_add_f64 v[20:21], v[20:21], v[22:23]
	s_waitcnt vmcnt(1) lgkmcnt(0)
	v_mul_f64 v[22:23], v[2:3], v[12:13]
	v_mul_f64 v[12:13], v[4:5], v[12:13]
	v_fma_f64 v[8:9], v[8:9], v[142:143], v[24:25]
	v_fma_f64 v[6:7], v[6:7], v[142:143], -v[28:29]
	v_add_f64 v[18:19], v[18:19], v[32:33]
	v_add_f64 v[20:21], v[20:21], v[30:31]
	v_fma_f64 v[4:5], v[4:5], v[10:11], v[22:23]
	v_fma_f64 v[2:3], v[2:3], v[10:11], -v[12:13]
	s_delay_alu instid0(VALU_DEP_4) | instskip(NEXT) | instid1(VALU_DEP_4)
	v_add_f64 v[6:7], v[18:19], v[6:7]
	v_add_f64 v[8:9], v[20:21], v[8:9]
	s_delay_alu instid0(VALU_DEP_2) | instskip(NEXT) | instid1(VALU_DEP_2)
	v_add_f64 v[2:3], v[6:7], v[2:3]
	v_add_f64 v[4:5], v[8:9], v[4:5]
	s_waitcnt vmcnt(0)
	s_delay_alu instid0(VALU_DEP_2) | instskip(NEXT) | instid1(VALU_DEP_2)
	v_add_f64 v[2:3], v[14:15], -v[2:3]
	v_add_f64 v[4:5], v[16:17], -v[4:5]
	scratch_store_b128 off, v[2:5], off offset:304
	v_cmpx_lt_u32_e32 18, v108
	s_cbranch_execz .LBB96_175
; %bb.174:
	scratch_load_b128 v[5:8], v127, off
	v_mov_b32_e32 v2, v1
	v_mov_b32_e32 v3, v1
	;; [unrolled: 1-line block ×3, first 2 shown]
	scratch_store_b128 off, v[1:4], off offset:288
	s_waitcnt vmcnt(0)
	ds_store_b128 v141, v[5:8]
.LBB96_175:
	s_or_b32 exec_lo, exec_lo, s2
	s_waitcnt lgkmcnt(0)
	s_waitcnt_vscnt null, 0x0
	s_barrier
	buffer_gl0_inv
	s_clause 0x7
	scratch_load_b128 v[2:5], off, off offset:304
	scratch_load_b128 v[6:9], off, off offset:320
	;; [unrolled: 1-line block ×8, first 2 shown]
	ds_load_b128 v[34:37], v1 offset:832
	ds_load_b128 v[142:145], v1 offset:848
	s_clause 0x1
	scratch_load_b128 v[38:41], off, off offset:432
	scratch_load_b128 v[146:149], off, off offset:448
	s_mov_b32 s2, exec_lo
	s_waitcnt vmcnt(9) lgkmcnt(1)
	v_mul_f64 v[150:151], v[36:37], v[4:5]
	v_mul_f64 v[4:5], v[34:35], v[4:5]
	s_waitcnt vmcnt(8) lgkmcnt(0)
	v_mul_f64 v[152:153], v[142:143], v[8:9]
	v_mul_f64 v[8:9], v[144:145], v[8:9]
	s_delay_alu instid0(VALU_DEP_4) | instskip(NEXT) | instid1(VALU_DEP_4)
	v_fma_f64 v[150:151], v[34:35], v[2:3], -v[150:151]
	v_fma_f64 v[154:155], v[36:37], v[2:3], v[4:5]
	scratch_load_b128 v[34:37], off, off offset:464
	ds_load_b128 v[2:5], v1 offset:864
	v_fma_f64 v[152:153], v[144:145], v[6:7], v[152:153]
	v_fma_f64 v[158:159], v[142:143], v[6:7], -v[8:9]
	ds_load_b128 v[6:9], v1 offset:880
	scratch_load_b128 v[142:145], off, off offset:480
	s_waitcnt vmcnt(9) lgkmcnt(1)
	v_mul_f64 v[156:157], v[2:3], v[12:13]
	v_mul_f64 v[12:13], v[4:5], v[12:13]
	s_waitcnt vmcnt(8) lgkmcnt(0)
	v_mul_f64 v[160:161], v[6:7], v[16:17]
	v_mul_f64 v[16:17], v[8:9], v[16:17]
	v_add_f64 v[150:151], v[150:151], 0
	v_add_f64 v[154:155], v[154:155], 0
	v_fma_f64 v[156:157], v[4:5], v[10:11], v[156:157]
	v_fma_f64 v[162:163], v[2:3], v[10:11], -v[12:13]
	scratch_load_b128 v[10:13], off, off offset:496
	ds_load_b128 v[2:5], v1 offset:896
	v_add_f64 v[150:151], v[150:151], v[158:159]
	v_add_f64 v[152:153], v[154:155], v[152:153]
	v_fma_f64 v[158:159], v[8:9], v[14:15], v[160:161]
	v_fma_f64 v[160:161], v[6:7], v[14:15], -v[16:17]
	ds_load_b128 v[6:9], v1 offset:912
	scratch_load_b128 v[14:17], off, off offset:512
	s_waitcnt vmcnt(9) lgkmcnt(1)
	v_mul_f64 v[154:155], v[2:3], v[20:21]
	v_mul_f64 v[20:21], v[4:5], v[20:21]
	v_add_f64 v[150:151], v[150:151], v[162:163]
	v_add_f64 v[152:153], v[152:153], v[156:157]
	s_waitcnt vmcnt(8) lgkmcnt(0)
	v_mul_f64 v[156:157], v[6:7], v[24:25]
	v_mul_f64 v[24:25], v[8:9], v[24:25]
	v_fma_f64 v[154:155], v[4:5], v[18:19], v[154:155]
	v_fma_f64 v[18:19], v[2:3], v[18:19], -v[20:21]
	ds_load_b128 v[2:5], v1 offset:928
	v_add_f64 v[20:21], v[150:151], v[160:161]
	v_add_f64 v[150:151], v[152:153], v[158:159]
	v_fma_f64 v[156:157], v[8:9], v[22:23], v[156:157]
	v_fma_f64 v[22:23], v[6:7], v[22:23], -v[24:25]
	ds_load_b128 v[6:9], v1 offset:944
	s_waitcnt vmcnt(7) lgkmcnt(1)
	v_mul_f64 v[152:153], v[2:3], v[28:29]
	v_mul_f64 v[28:29], v[4:5], v[28:29]
	s_waitcnt vmcnt(6) lgkmcnt(0)
	v_mul_f64 v[24:25], v[6:7], v[32:33]
	v_mul_f64 v[32:33], v[8:9], v[32:33]
	v_add_f64 v[18:19], v[20:21], v[18:19]
	v_add_f64 v[20:21], v[150:151], v[154:155]
	v_fma_f64 v[150:151], v[4:5], v[26:27], v[152:153]
	v_fma_f64 v[26:27], v[2:3], v[26:27], -v[28:29]
	ds_load_b128 v[2:5], v1 offset:960
	v_fma_f64 v[24:25], v[8:9], v[30:31], v[24:25]
	v_fma_f64 v[30:31], v[6:7], v[30:31], -v[32:33]
	ds_load_b128 v[6:9], v1 offset:976
	v_add_f64 v[22:23], v[18:19], v[22:23]
	v_add_f64 v[28:29], v[20:21], v[156:157]
	scratch_load_b128 v[18:21], off, off offset:288
	s_waitcnt vmcnt(6) lgkmcnt(1)
	v_mul_f64 v[152:153], v[2:3], v[40:41]
	v_mul_f64 v[40:41], v[4:5], v[40:41]
	s_waitcnt vmcnt(5) lgkmcnt(0)
	v_mul_f64 v[32:33], v[8:9], v[148:149]
	v_add_f64 v[22:23], v[22:23], v[26:27]
	v_add_f64 v[26:27], v[28:29], v[150:151]
	v_mul_f64 v[28:29], v[6:7], v[148:149]
	v_fma_f64 v[148:149], v[4:5], v[38:39], v[152:153]
	v_fma_f64 v[38:39], v[2:3], v[38:39], -v[40:41]
	ds_load_b128 v[2:5], v1 offset:992
	v_fma_f64 v[32:33], v[6:7], v[146:147], -v[32:33]
	v_add_f64 v[22:23], v[22:23], v[30:31]
	v_add_f64 v[24:25], v[26:27], v[24:25]
	v_fma_f64 v[28:29], v[8:9], v[146:147], v[28:29]
	ds_load_b128 v[6:9], v1 offset:1008
	s_waitcnt vmcnt(4) lgkmcnt(1)
	v_mul_f64 v[26:27], v[2:3], v[36:37]
	v_mul_f64 v[30:31], v[4:5], v[36:37]
	s_waitcnt vmcnt(3) lgkmcnt(0)
	v_mul_f64 v[36:37], v[6:7], v[144:145]
	v_add_f64 v[22:23], v[22:23], v[38:39]
	v_add_f64 v[24:25], v[24:25], v[148:149]
	v_mul_f64 v[38:39], v[8:9], v[144:145]
	v_fma_f64 v[26:27], v[4:5], v[34:35], v[26:27]
	v_fma_f64 v[30:31], v[2:3], v[34:35], -v[30:31]
	ds_load_b128 v[2:5], v1 offset:1024
	v_add_f64 v[22:23], v[22:23], v[32:33]
	v_add_f64 v[24:25], v[24:25], v[28:29]
	v_fma_f64 v[32:33], v[8:9], v[142:143], v[36:37]
	v_fma_f64 v[34:35], v[6:7], v[142:143], -v[38:39]
	ds_load_b128 v[6:9], v1 offset:1040
	s_waitcnt vmcnt(2) lgkmcnt(1)
	v_mul_f64 v[28:29], v[2:3], v[12:13]
	v_mul_f64 v[12:13], v[4:5], v[12:13]
	v_add_f64 v[22:23], v[22:23], v[30:31]
	v_add_f64 v[24:25], v[24:25], v[26:27]
	s_waitcnt vmcnt(1) lgkmcnt(0)
	v_mul_f64 v[26:27], v[6:7], v[16:17]
	v_mul_f64 v[16:17], v[8:9], v[16:17]
	v_fma_f64 v[4:5], v[4:5], v[10:11], v[28:29]
	v_fma_f64 v[1:2], v[2:3], v[10:11], -v[12:13]
	v_add_f64 v[10:11], v[22:23], v[34:35]
	v_add_f64 v[12:13], v[24:25], v[32:33]
	v_fma_f64 v[8:9], v[8:9], v[14:15], v[26:27]
	v_fma_f64 v[6:7], v[6:7], v[14:15], -v[16:17]
	s_delay_alu instid0(VALU_DEP_4) | instskip(NEXT) | instid1(VALU_DEP_4)
	v_add_f64 v[1:2], v[10:11], v[1:2]
	v_add_f64 v[3:4], v[12:13], v[4:5]
	s_delay_alu instid0(VALU_DEP_2) | instskip(NEXT) | instid1(VALU_DEP_2)
	v_add_f64 v[1:2], v[1:2], v[6:7]
	v_add_f64 v[3:4], v[3:4], v[8:9]
	s_waitcnt vmcnt(0)
	s_delay_alu instid0(VALU_DEP_2) | instskip(NEXT) | instid1(VALU_DEP_2)
	v_add_f64 v[1:2], v[18:19], -v[1:2]
	v_add_f64 v[3:4], v[20:21], -v[3:4]
	scratch_store_b128 off, v[1:4], off offset:288
	v_cmpx_lt_u32_e32 17, v108
	s_cbranch_execz .LBB96_177
; %bb.176:
	scratch_load_b128 v[1:4], v129, off
	v_mov_b32_e32 v5, 0
	s_delay_alu instid0(VALU_DEP_1)
	v_mov_b32_e32 v6, v5
	v_mov_b32_e32 v7, v5
	;; [unrolled: 1-line block ×3, first 2 shown]
	scratch_store_b128 off, v[5:8], off offset:272
	s_waitcnt vmcnt(0)
	ds_store_b128 v141, v[1:4]
.LBB96_177:
	s_or_b32 exec_lo, exec_lo, s2
	s_waitcnt lgkmcnt(0)
	s_waitcnt_vscnt null, 0x0
	s_barrier
	buffer_gl0_inv
	s_clause 0x7
	scratch_load_b128 v[2:5], off, off offset:288
	scratch_load_b128 v[6:9], off, off offset:304
	;; [unrolled: 1-line block ×8, first 2 shown]
	v_mov_b32_e32 v1, 0
	s_clause 0x1
	scratch_load_b128 v[38:41], off, off offset:416
	scratch_load_b128 v[146:149], off, off offset:432
	s_mov_b32 s2, exec_lo
	ds_load_b128 v[34:37], v1 offset:816
	ds_load_b128 v[142:145], v1 offset:832
	s_waitcnt vmcnt(9) lgkmcnt(1)
	v_mul_f64 v[150:151], v[36:37], v[4:5]
	v_mul_f64 v[4:5], v[34:35], v[4:5]
	s_waitcnt vmcnt(8) lgkmcnt(0)
	v_mul_f64 v[152:153], v[142:143], v[8:9]
	v_mul_f64 v[8:9], v[144:145], v[8:9]
	s_delay_alu instid0(VALU_DEP_4) | instskip(NEXT) | instid1(VALU_DEP_4)
	v_fma_f64 v[150:151], v[34:35], v[2:3], -v[150:151]
	v_fma_f64 v[154:155], v[36:37], v[2:3], v[4:5]
	ds_load_b128 v[2:5], v1 offset:848
	scratch_load_b128 v[34:37], off, off offset:448
	v_fma_f64 v[152:153], v[144:145], v[6:7], v[152:153]
	v_fma_f64 v[158:159], v[142:143], v[6:7], -v[8:9]
	ds_load_b128 v[6:9], v1 offset:864
	scratch_load_b128 v[142:145], off, off offset:464
	s_waitcnt vmcnt(9) lgkmcnt(1)
	v_mul_f64 v[156:157], v[2:3], v[12:13]
	v_mul_f64 v[12:13], v[4:5], v[12:13]
	s_waitcnt vmcnt(8) lgkmcnt(0)
	v_mul_f64 v[160:161], v[6:7], v[16:17]
	v_mul_f64 v[16:17], v[8:9], v[16:17]
	v_add_f64 v[150:151], v[150:151], 0
	v_add_f64 v[154:155], v[154:155], 0
	v_fma_f64 v[156:157], v[4:5], v[10:11], v[156:157]
	v_fma_f64 v[162:163], v[2:3], v[10:11], -v[12:13]
	scratch_load_b128 v[10:13], off, off offset:480
	ds_load_b128 v[2:5], v1 offset:880
	v_add_f64 v[150:151], v[150:151], v[158:159]
	v_add_f64 v[152:153], v[154:155], v[152:153]
	v_fma_f64 v[158:159], v[8:9], v[14:15], v[160:161]
	v_fma_f64 v[160:161], v[6:7], v[14:15], -v[16:17]
	ds_load_b128 v[6:9], v1 offset:896
	scratch_load_b128 v[14:17], off, off offset:496
	s_waitcnt vmcnt(9) lgkmcnt(1)
	v_mul_f64 v[154:155], v[2:3], v[20:21]
	v_mul_f64 v[20:21], v[4:5], v[20:21]
	v_add_f64 v[150:151], v[150:151], v[162:163]
	v_add_f64 v[152:153], v[152:153], v[156:157]
	s_waitcnt vmcnt(8) lgkmcnt(0)
	v_mul_f64 v[156:157], v[6:7], v[24:25]
	v_mul_f64 v[24:25], v[8:9], v[24:25]
	v_fma_f64 v[154:155], v[4:5], v[18:19], v[154:155]
	v_fma_f64 v[162:163], v[2:3], v[18:19], -v[20:21]
	scratch_load_b128 v[18:21], off, off offset:512
	ds_load_b128 v[2:5], v1 offset:912
	v_add_f64 v[150:151], v[150:151], v[160:161]
	v_add_f64 v[152:153], v[152:153], v[158:159]
	v_fma_f64 v[156:157], v[8:9], v[22:23], v[156:157]
	v_fma_f64 v[22:23], v[6:7], v[22:23], -v[24:25]
	ds_load_b128 v[6:9], v1 offset:928
	s_waitcnt vmcnt(8) lgkmcnt(1)
	v_mul_f64 v[158:159], v[2:3], v[28:29]
	v_mul_f64 v[28:29], v[4:5], v[28:29]
	v_add_f64 v[24:25], v[150:151], v[162:163]
	v_add_f64 v[150:151], v[152:153], v[154:155]
	s_waitcnt vmcnt(7) lgkmcnt(0)
	v_mul_f64 v[152:153], v[6:7], v[32:33]
	v_mul_f64 v[32:33], v[8:9], v[32:33]
	v_fma_f64 v[154:155], v[4:5], v[26:27], v[158:159]
	v_fma_f64 v[26:27], v[2:3], v[26:27], -v[28:29]
	ds_load_b128 v[2:5], v1 offset:944
	v_add_f64 v[22:23], v[24:25], v[22:23]
	v_add_f64 v[24:25], v[150:151], v[156:157]
	v_fma_f64 v[150:151], v[8:9], v[30:31], v[152:153]
	v_fma_f64 v[30:31], v[6:7], v[30:31], -v[32:33]
	ds_load_b128 v[6:9], v1 offset:960
	s_waitcnt vmcnt(5) lgkmcnt(0)
	v_mul_f64 v[152:153], v[6:7], v[148:149]
	v_mul_f64 v[148:149], v[8:9], v[148:149]
	v_add_f64 v[26:27], v[22:23], v[26:27]
	v_add_f64 v[32:33], v[24:25], v[154:155]
	scratch_load_b128 v[22:25], off, off offset:272
	v_mul_f64 v[28:29], v[2:3], v[40:41]
	v_mul_f64 v[40:41], v[4:5], v[40:41]
	v_add_f64 v[26:27], v[26:27], v[30:31]
	v_add_f64 v[30:31], v[32:33], v[150:151]
	s_delay_alu instid0(VALU_DEP_4) | instskip(NEXT) | instid1(VALU_DEP_4)
	v_fma_f64 v[28:29], v[4:5], v[38:39], v[28:29]
	v_fma_f64 v[38:39], v[2:3], v[38:39], -v[40:41]
	ds_load_b128 v[2:5], v1 offset:976
	v_fma_f64 v[40:41], v[8:9], v[146:147], v[152:153]
	v_fma_f64 v[146:147], v[6:7], v[146:147], -v[148:149]
	ds_load_b128 v[6:9], v1 offset:992
	s_waitcnt vmcnt(5) lgkmcnt(1)
	v_mul_f64 v[32:33], v[2:3], v[36:37]
	v_mul_f64 v[36:37], v[4:5], v[36:37]
	v_add_f64 v[28:29], v[30:31], v[28:29]
	v_add_f64 v[26:27], v[26:27], v[38:39]
	s_waitcnt vmcnt(4) lgkmcnt(0)
	v_mul_f64 v[30:31], v[6:7], v[144:145]
	v_mul_f64 v[38:39], v[8:9], v[144:145]
	v_fma_f64 v[32:33], v[4:5], v[34:35], v[32:33]
	v_fma_f64 v[34:35], v[2:3], v[34:35], -v[36:37]
	ds_load_b128 v[2:5], v1 offset:1008
	v_add_f64 v[28:29], v[28:29], v[40:41]
	v_add_f64 v[26:27], v[26:27], v[146:147]
	v_fma_f64 v[30:31], v[8:9], v[142:143], v[30:31]
	v_fma_f64 v[38:39], v[6:7], v[142:143], -v[38:39]
	ds_load_b128 v[6:9], v1 offset:1024
	s_waitcnt vmcnt(3) lgkmcnt(1)
	v_mul_f64 v[36:37], v[2:3], v[12:13]
	v_mul_f64 v[12:13], v[4:5], v[12:13]
	v_add_f64 v[28:29], v[28:29], v[32:33]
	v_add_f64 v[26:27], v[26:27], v[34:35]
	s_waitcnt vmcnt(2) lgkmcnt(0)
	v_mul_f64 v[32:33], v[6:7], v[16:17]
	v_mul_f64 v[16:17], v[8:9], v[16:17]
	v_fma_f64 v[34:35], v[4:5], v[10:11], v[36:37]
	v_fma_f64 v[10:11], v[2:3], v[10:11], -v[12:13]
	ds_load_b128 v[2:5], v1 offset:1040
	v_add_f64 v[12:13], v[26:27], v[38:39]
	v_add_f64 v[26:27], v[28:29], v[30:31]
	s_waitcnt vmcnt(1) lgkmcnt(0)
	v_mul_f64 v[28:29], v[2:3], v[20:21]
	v_mul_f64 v[20:21], v[4:5], v[20:21]
	v_fma_f64 v[8:9], v[8:9], v[14:15], v[32:33]
	v_fma_f64 v[6:7], v[6:7], v[14:15], -v[16:17]
	v_add_f64 v[10:11], v[12:13], v[10:11]
	v_add_f64 v[12:13], v[26:27], v[34:35]
	v_fma_f64 v[4:5], v[4:5], v[18:19], v[28:29]
	v_fma_f64 v[2:3], v[2:3], v[18:19], -v[20:21]
	s_delay_alu instid0(VALU_DEP_4) | instskip(NEXT) | instid1(VALU_DEP_4)
	v_add_f64 v[6:7], v[10:11], v[6:7]
	v_add_f64 v[8:9], v[12:13], v[8:9]
	s_delay_alu instid0(VALU_DEP_2) | instskip(NEXT) | instid1(VALU_DEP_2)
	v_add_f64 v[2:3], v[6:7], v[2:3]
	v_add_f64 v[4:5], v[8:9], v[4:5]
	s_waitcnt vmcnt(0)
	s_delay_alu instid0(VALU_DEP_2) | instskip(NEXT) | instid1(VALU_DEP_2)
	v_add_f64 v[2:3], v[22:23], -v[2:3]
	v_add_f64 v[4:5], v[24:25], -v[4:5]
	scratch_store_b128 off, v[2:5], off offset:272
	v_cmpx_lt_u32_e32 16, v108
	s_cbranch_execz .LBB96_179
; %bb.178:
	scratch_load_b128 v[5:8], v128, off
	v_mov_b32_e32 v2, v1
	v_mov_b32_e32 v3, v1
	;; [unrolled: 1-line block ×3, first 2 shown]
	scratch_store_b128 off, v[1:4], off offset:256
	s_waitcnt vmcnt(0)
	ds_store_b128 v141, v[5:8]
.LBB96_179:
	s_or_b32 exec_lo, exec_lo, s2
	s_waitcnt lgkmcnt(0)
	s_waitcnt_vscnt null, 0x0
	s_barrier
	buffer_gl0_inv
	s_clause 0x7
	scratch_load_b128 v[2:5], off, off offset:272
	scratch_load_b128 v[6:9], off, off offset:288
	;; [unrolled: 1-line block ×8, first 2 shown]
	ds_load_b128 v[34:37], v1 offset:800
	ds_load_b128 v[142:145], v1 offset:816
	s_clause 0x1
	scratch_load_b128 v[38:41], off, off offset:400
	scratch_load_b128 v[146:149], off, off offset:416
	s_mov_b32 s2, exec_lo
	s_waitcnt vmcnt(9) lgkmcnt(1)
	v_mul_f64 v[150:151], v[36:37], v[4:5]
	v_mul_f64 v[4:5], v[34:35], v[4:5]
	s_waitcnt vmcnt(8) lgkmcnt(0)
	v_mul_f64 v[152:153], v[142:143], v[8:9]
	v_mul_f64 v[8:9], v[144:145], v[8:9]
	s_delay_alu instid0(VALU_DEP_4) | instskip(NEXT) | instid1(VALU_DEP_4)
	v_fma_f64 v[150:151], v[34:35], v[2:3], -v[150:151]
	v_fma_f64 v[154:155], v[36:37], v[2:3], v[4:5]
	ds_load_b128 v[2:5], v1 offset:832
	scratch_load_b128 v[34:37], off, off offset:432
	v_fma_f64 v[152:153], v[144:145], v[6:7], v[152:153]
	v_fma_f64 v[158:159], v[142:143], v[6:7], -v[8:9]
	ds_load_b128 v[6:9], v1 offset:848
	scratch_load_b128 v[142:145], off, off offset:448
	s_waitcnt vmcnt(9) lgkmcnt(1)
	v_mul_f64 v[156:157], v[2:3], v[12:13]
	v_mul_f64 v[12:13], v[4:5], v[12:13]
	s_waitcnt vmcnt(8) lgkmcnt(0)
	v_mul_f64 v[160:161], v[6:7], v[16:17]
	v_mul_f64 v[16:17], v[8:9], v[16:17]
	v_add_f64 v[150:151], v[150:151], 0
	v_add_f64 v[154:155], v[154:155], 0
	v_fma_f64 v[156:157], v[4:5], v[10:11], v[156:157]
	v_fma_f64 v[162:163], v[2:3], v[10:11], -v[12:13]
	scratch_load_b128 v[10:13], off, off offset:464
	ds_load_b128 v[2:5], v1 offset:864
	v_add_f64 v[150:151], v[150:151], v[158:159]
	v_add_f64 v[152:153], v[154:155], v[152:153]
	v_fma_f64 v[158:159], v[8:9], v[14:15], v[160:161]
	v_fma_f64 v[160:161], v[6:7], v[14:15], -v[16:17]
	ds_load_b128 v[6:9], v1 offset:880
	scratch_load_b128 v[14:17], off, off offset:480
	s_waitcnt vmcnt(9) lgkmcnt(1)
	v_mul_f64 v[154:155], v[2:3], v[20:21]
	v_mul_f64 v[20:21], v[4:5], v[20:21]
	v_add_f64 v[150:151], v[150:151], v[162:163]
	v_add_f64 v[152:153], v[152:153], v[156:157]
	s_waitcnt vmcnt(8) lgkmcnt(0)
	v_mul_f64 v[156:157], v[6:7], v[24:25]
	v_mul_f64 v[24:25], v[8:9], v[24:25]
	v_fma_f64 v[154:155], v[4:5], v[18:19], v[154:155]
	v_fma_f64 v[162:163], v[2:3], v[18:19], -v[20:21]
	scratch_load_b128 v[18:21], off, off offset:496
	ds_load_b128 v[2:5], v1 offset:896
	v_add_f64 v[150:151], v[150:151], v[160:161]
	v_add_f64 v[152:153], v[152:153], v[158:159]
	v_fma_f64 v[156:157], v[8:9], v[22:23], v[156:157]
	v_fma_f64 v[160:161], v[6:7], v[22:23], -v[24:25]
	ds_load_b128 v[6:9], v1 offset:912
	s_waitcnt vmcnt(8) lgkmcnt(1)
	v_mul_f64 v[158:159], v[2:3], v[28:29]
	v_mul_f64 v[28:29], v[4:5], v[28:29]
	scratch_load_b128 v[22:25], off, off offset:512
	v_add_f64 v[150:151], v[150:151], v[162:163]
	v_add_f64 v[152:153], v[152:153], v[154:155]
	s_waitcnt vmcnt(8) lgkmcnt(0)
	v_mul_f64 v[154:155], v[6:7], v[32:33]
	v_mul_f64 v[32:33], v[8:9], v[32:33]
	v_fma_f64 v[158:159], v[4:5], v[26:27], v[158:159]
	v_fma_f64 v[26:27], v[2:3], v[26:27], -v[28:29]
	ds_load_b128 v[2:5], v1 offset:928
	v_add_f64 v[28:29], v[150:151], v[160:161]
	v_add_f64 v[150:151], v[152:153], v[156:157]
	v_fma_f64 v[154:155], v[8:9], v[30:31], v[154:155]
	v_fma_f64 v[30:31], v[6:7], v[30:31], -v[32:33]
	ds_load_b128 v[6:9], v1 offset:944
	s_waitcnt vmcnt(7) lgkmcnt(1)
	v_mul_f64 v[152:153], v[2:3], v[40:41]
	v_mul_f64 v[40:41], v[4:5], v[40:41]
	v_add_f64 v[26:27], v[28:29], v[26:27]
	v_add_f64 v[28:29], v[150:151], v[158:159]
	s_delay_alu instid0(VALU_DEP_4) | instskip(NEXT) | instid1(VALU_DEP_4)
	v_fma_f64 v[150:151], v[4:5], v[38:39], v[152:153]
	v_fma_f64 v[38:39], v[2:3], v[38:39], -v[40:41]
	ds_load_b128 v[2:5], v1 offset:960
	v_add_f64 v[30:31], v[26:27], v[30:31]
	v_add_f64 v[40:41], v[28:29], v[154:155]
	scratch_load_b128 v[26:29], off, off offset:256
	s_waitcnt vmcnt(7) lgkmcnt(1)
	v_mul_f64 v[32:33], v[6:7], v[148:149]
	v_mul_f64 v[148:149], v[8:9], v[148:149]
	v_add_f64 v[30:31], v[30:31], v[38:39]
	v_add_f64 v[38:39], v[40:41], v[150:151]
	s_delay_alu instid0(VALU_DEP_4) | instskip(NEXT) | instid1(VALU_DEP_4)
	v_fma_f64 v[32:33], v[8:9], v[146:147], v[32:33]
	v_fma_f64 v[146:147], v[6:7], v[146:147], -v[148:149]
	ds_load_b128 v[6:9], v1 offset:976
	s_waitcnt vmcnt(6) lgkmcnt(1)
	v_mul_f64 v[152:153], v[2:3], v[36:37]
	v_mul_f64 v[36:37], v[4:5], v[36:37]
	s_waitcnt vmcnt(5) lgkmcnt(0)
	v_mul_f64 v[40:41], v[6:7], v[144:145]
	v_mul_f64 v[144:145], v[8:9], v[144:145]
	v_add_f64 v[32:33], v[38:39], v[32:33]
	v_add_f64 v[30:31], v[30:31], v[146:147]
	v_fma_f64 v[148:149], v[4:5], v[34:35], v[152:153]
	v_fma_f64 v[34:35], v[2:3], v[34:35], -v[36:37]
	ds_load_b128 v[2:5], v1 offset:992
	v_fma_f64 v[38:39], v[8:9], v[142:143], v[40:41]
	v_fma_f64 v[40:41], v[6:7], v[142:143], -v[144:145]
	ds_load_b128 v[6:9], v1 offset:1008
	s_waitcnt vmcnt(4) lgkmcnt(1)
	v_mul_f64 v[36:37], v[2:3], v[12:13]
	v_mul_f64 v[12:13], v[4:5], v[12:13]
	v_add_f64 v[32:33], v[32:33], v[148:149]
	v_add_f64 v[30:31], v[30:31], v[34:35]
	s_waitcnt vmcnt(3) lgkmcnt(0)
	v_mul_f64 v[34:35], v[6:7], v[16:17]
	v_mul_f64 v[16:17], v[8:9], v[16:17]
	v_fma_f64 v[36:37], v[4:5], v[10:11], v[36:37]
	v_fma_f64 v[10:11], v[2:3], v[10:11], -v[12:13]
	ds_load_b128 v[2:5], v1 offset:1024
	v_add_f64 v[12:13], v[30:31], v[40:41]
	v_add_f64 v[30:31], v[32:33], v[38:39]
	v_fma_f64 v[34:35], v[8:9], v[14:15], v[34:35]
	v_fma_f64 v[14:15], v[6:7], v[14:15], -v[16:17]
	ds_load_b128 v[6:9], v1 offset:1040
	s_waitcnt vmcnt(2) lgkmcnt(1)
	v_mul_f64 v[32:33], v[2:3], v[20:21]
	v_mul_f64 v[20:21], v[4:5], v[20:21]
	s_waitcnt vmcnt(1) lgkmcnt(0)
	v_mul_f64 v[16:17], v[6:7], v[24:25]
	v_mul_f64 v[24:25], v[8:9], v[24:25]
	v_add_f64 v[10:11], v[12:13], v[10:11]
	v_add_f64 v[12:13], v[30:31], v[36:37]
	v_fma_f64 v[4:5], v[4:5], v[18:19], v[32:33]
	v_fma_f64 v[1:2], v[2:3], v[18:19], -v[20:21]
	v_fma_f64 v[8:9], v[8:9], v[22:23], v[16:17]
	v_fma_f64 v[6:7], v[6:7], v[22:23], -v[24:25]
	v_add_f64 v[10:11], v[10:11], v[14:15]
	v_add_f64 v[12:13], v[12:13], v[34:35]
	s_delay_alu instid0(VALU_DEP_2) | instskip(NEXT) | instid1(VALU_DEP_2)
	v_add_f64 v[1:2], v[10:11], v[1:2]
	v_add_f64 v[3:4], v[12:13], v[4:5]
	s_delay_alu instid0(VALU_DEP_2) | instskip(NEXT) | instid1(VALU_DEP_2)
	v_add_f64 v[1:2], v[1:2], v[6:7]
	v_add_f64 v[3:4], v[3:4], v[8:9]
	s_waitcnt vmcnt(0)
	s_delay_alu instid0(VALU_DEP_2) | instskip(NEXT) | instid1(VALU_DEP_2)
	v_add_f64 v[1:2], v[26:27], -v[1:2]
	v_add_f64 v[3:4], v[28:29], -v[3:4]
	scratch_store_b128 off, v[1:4], off offset:256
	v_cmpx_lt_u32_e32 15, v108
	s_cbranch_execz .LBB96_181
; %bb.180:
	scratch_load_b128 v[1:4], v130, off
	v_mov_b32_e32 v5, 0
	s_delay_alu instid0(VALU_DEP_1)
	v_mov_b32_e32 v6, v5
	v_mov_b32_e32 v7, v5
	;; [unrolled: 1-line block ×3, first 2 shown]
	scratch_store_b128 off, v[5:8], off offset:240
	s_waitcnt vmcnt(0)
	ds_store_b128 v141, v[1:4]
.LBB96_181:
	s_or_b32 exec_lo, exec_lo, s2
	s_waitcnt lgkmcnt(0)
	s_waitcnt_vscnt null, 0x0
	s_barrier
	buffer_gl0_inv
	s_clause 0x7
	scratch_load_b128 v[2:5], off, off offset:256
	scratch_load_b128 v[6:9], off, off offset:272
	;; [unrolled: 1-line block ×8, first 2 shown]
	v_mov_b32_e32 v1, 0
	s_clause 0x1
	scratch_load_b128 v[38:41], off, off offset:384
	scratch_load_b128 v[146:149], off, off offset:400
	s_mov_b32 s2, exec_lo
	ds_load_b128 v[34:37], v1 offset:784
	ds_load_b128 v[142:145], v1 offset:800
	s_waitcnt vmcnt(9) lgkmcnt(1)
	v_mul_f64 v[150:151], v[36:37], v[4:5]
	v_mul_f64 v[4:5], v[34:35], v[4:5]
	s_waitcnt vmcnt(8) lgkmcnt(0)
	v_mul_f64 v[152:153], v[142:143], v[8:9]
	v_mul_f64 v[8:9], v[144:145], v[8:9]
	s_delay_alu instid0(VALU_DEP_4) | instskip(NEXT) | instid1(VALU_DEP_4)
	v_fma_f64 v[150:151], v[34:35], v[2:3], -v[150:151]
	v_fma_f64 v[154:155], v[36:37], v[2:3], v[4:5]
	ds_load_b128 v[2:5], v1 offset:816
	scratch_load_b128 v[34:37], off, off offset:416
	v_fma_f64 v[152:153], v[144:145], v[6:7], v[152:153]
	v_fma_f64 v[158:159], v[142:143], v[6:7], -v[8:9]
	ds_load_b128 v[6:9], v1 offset:832
	scratch_load_b128 v[142:145], off, off offset:432
	s_waitcnt vmcnt(9) lgkmcnt(1)
	v_mul_f64 v[156:157], v[2:3], v[12:13]
	v_mul_f64 v[12:13], v[4:5], v[12:13]
	s_waitcnt vmcnt(8) lgkmcnt(0)
	v_mul_f64 v[160:161], v[6:7], v[16:17]
	v_mul_f64 v[16:17], v[8:9], v[16:17]
	v_add_f64 v[150:151], v[150:151], 0
	v_add_f64 v[154:155], v[154:155], 0
	v_fma_f64 v[156:157], v[4:5], v[10:11], v[156:157]
	v_fma_f64 v[162:163], v[2:3], v[10:11], -v[12:13]
	scratch_load_b128 v[10:13], off, off offset:448
	ds_load_b128 v[2:5], v1 offset:848
	v_add_f64 v[150:151], v[150:151], v[158:159]
	v_add_f64 v[152:153], v[154:155], v[152:153]
	v_fma_f64 v[158:159], v[8:9], v[14:15], v[160:161]
	v_fma_f64 v[160:161], v[6:7], v[14:15], -v[16:17]
	ds_load_b128 v[6:9], v1 offset:864
	scratch_load_b128 v[14:17], off, off offset:464
	s_waitcnt vmcnt(9) lgkmcnt(1)
	v_mul_f64 v[154:155], v[2:3], v[20:21]
	v_mul_f64 v[20:21], v[4:5], v[20:21]
	v_add_f64 v[150:151], v[150:151], v[162:163]
	v_add_f64 v[152:153], v[152:153], v[156:157]
	s_waitcnt vmcnt(8) lgkmcnt(0)
	v_mul_f64 v[156:157], v[6:7], v[24:25]
	v_mul_f64 v[24:25], v[8:9], v[24:25]
	v_fma_f64 v[154:155], v[4:5], v[18:19], v[154:155]
	v_fma_f64 v[162:163], v[2:3], v[18:19], -v[20:21]
	scratch_load_b128 v[18:21], off, off offset:480
	ds_load_b128 v[2:5], v1 offset:880
	v_add_f64 v[150:151], v[150:151], v[160:161]
	v_add_f64 v[152:153], v[152:153], v[158:159]
	v_fma_f64 v[156:157], v[8:9], v[22:23], v[156:157]
	v_fma_f64 v[160:161], v[6:7], v[22:23], -v[24:25]
	ds_load_b128 v[6:9], v1 offset:896
	s_waitcnt vmcnt(8) lgkmcnt(1)
	v_mul_f64 v[158:159], v[2:3], v[28:29]
	v_mul_f64 v[28:29], v[4:5], v[28:29]
	scratch_load_b128 v[22:25], off, off offset:496
	v_add_f64 v[150:151], v[150:151], v[162:163]
	v_add_f64 v[152:153], v[152:153], v[154:155]
	s_waitcnt vmcnt(8) lgkmcnt(0)
	v_mul_f64 v[154:155], v[6:7], v[32:33]
	v_mul_f64 v[32:33], v[8:9], v[32:33]
	v_fma_f64 v[158:159], v[4:5], v[26:27], v[158:159]
	v_fma_f64 v[162:163], v[2:3], v[26:27], -v[28:29]
	scratch_load_b128 v[26:29], off, off offset:512
	ds_load_b128 v[2:5], v1 offset:912
	v_add_f64 v[150:151], v[150:151], v[160:161]
	v_add_f64 v[152:153], v[152:153], v[156:157]
	v_fma_f64 v[154:155], v[8:9], v[30:31], v[154:155]
	v_fma_f64 v[30:31], v[6:7], v[30:31], -v[32:33]
	ds_load_b128 v[6:9], v1 offset:928
	s_waitcnt vmcnt(8) lgkmcnt(1)
	v_mul_f64 v[156:157], v[2:3], v[40:41]
	v_mul_f64 v[40:41], v[4:5], v[40:41]
	v_add_f64 v[32:33], v[150:151], v[162:163]
	v_add_f64 v[150:151], v[152:153], v[158:159]
	s_waitcnt vmcnt(7) lgkmcnt(0)
	v_mul_f64 v[152:153], v[6:7], v[148:149]
	v_mul_f64 v[148:149], v[8:9], v[148:149]
	v_fma_f64 v[156:157], v[4:5], v[38:39], v[156:157]
	v_fma_f64 v[38:39], v[2:3], v[38:39], -v[40:41]
	ds_load_b128 v[2:5], v1 offset:944
	v_add_f64 v[30:31], v[32:33], v[30:31]
	v_add_f64 v[32:33], v[150:151], v[154:155]
	v_fma_f64 v[150:151], v[8:9], v[146:147], v[152:153]
	v_fma_f64 v[146:147], v[6:7], v[146:147], -v[148:149]
	ds_load_b128 v[6:9], v1 offset:960
	s_waitcnt vmcnt(5) lgkmcnt(0)
	v_mul_f64 v[152:153], v[6:7], v[144:145]
	v_mul_f64 v[144:145], v[8:9], v[144:145]
	v_add_f64 v[38:39], v[30:31], v[38:39]
	v_add_f64 v[148:149], v[32:33], v[156:157]
	scratch_load_b128 v[30:33], off, off offset:240
	v_mul_f64 v[40:41], v[2:3], v[36:37]
	v_mul_f64 v[36:37], v[4:5], v[36:37]
	s_delay_alu instid0(VALU_DEP_2) | instskip(NEXT) | instid1(VALU_DEP_2)
	v_fma_f64 v[40:41], v[4:5], v[34:35], v[40:41]
	v_fma_f64 v[34:35], v[2:3], v[34:35], -v[36:37]
	v_add_f64 v[36:37], v[38:39], v[146:147]
	v_add_f64 v[38:39], v[148:149], v[150:151]
	ds_load_b128 v[2:5], v1 offset:976
	v_fma_f64 v[148:149], v[8:9], v[142:143], v[152:153]
	v_fma_f64 v[142:143], v[6:7], v[142:143], -v[144:145]
	ds_load_b128 v[6:9], v1 offset:992
	s_waitcnt vmcnt(5) lgkmcnt(1)
	v_mul_f64 v[146:147], v[2:3], v[12:13]
	v_mul_f64 v[12:13], v[4:5], v[12:13]
	v_add_f64 v[34:35], v[36:37], v[34:35]
	v_add_f64 v[36:37], v[38:39], v[40:41]
	s_waitcnt vmcnt(4) lgkmcnt(0)
	v_mul_f64 v[38:39], v[6:7], v[16:17]
	v_mul_f64 v[16:17], v[8:9], v[16:17]
	v_fma_f64 v[40:41], v[4:5], v[10:11], v[146:147]
	v_fma_f64 v[10:11], v[2:3], v[10:11], -v[12:13]
	ds_load_b128 v[2:5], v1 offset:1008
	v_add_f64 v[12:13], v[34:35], v[142:143]
	v_add_f64 v[34:35], v[36:37], v[148:149]
	v_fma_f64 v[38:39], v[8:9], v[14:15], v[38:39]
	v_fma_f64 v[14:15], v[6:7], v[14:15], -v[16:17]
	ds_load_b128 v[6:9], v1 offset:1024
	s_waitcnt vmcnt(3) lgkmcnt(1)
	v_mul_f64 v[36:37], v[2:3], v[20:21]
	v_mul_f64 v[20:21], v[4:5], v[20:21]
	s_waitcnt vmcnt(2) lgkmcnt(0)
	v_mul_f64 v[16:17], v[6:7], v[24:25]
	v_mul_f64 v[24:25], v[8:9], v[24:25]
	v_add_f64 v[10:11], v[12:13], v[10:11]
	v_add_f64 v[12:13], v[34:35], v[40:41]
	v_fma_f64 v[34:35], v[4:5], v[18:19], v[36:37]
	v_fma_f64 v[18:19], v[2:3], v[18:19], -v[20:21]
	ds_load_b128 v[2:5], v1 offset:1040
	v_fma_f64 v[8:9], v[8:9], v[22:23], v[16:17]
	v_fma_f64 v[6:7], v[6:7], v[22:23], -v[24:25]
	s_waitcnt vmcnt(1) lgkmcnt(0)
	v_mul_f64 v[20:21], v[4:5], v[28:29]
	v_add_f64 v[10:11], v[10:11], v[14:15]
	v_add_f64 v[12:13], v[12:13], v[38:39]
	v_mul_f64 v[14:15], v[2:3], v[28:29]
	s_delay_alu instid0(VALU_DEP_4) | instskip(NEXT) | instid1(VALU_DEP_4)
	v_fma_f64 v[2:3], v[2:3], v[26:27], -v[20:21]
	v_add_f64 v[10:11], v[10:11], v[18:19]
	s_delay_alu instid0(VALU_DEP_4) | instskip(NEXT) | instid1(VALU_DEP_4)
	v_add_f64 v[12:13], v[12:13], v[34:35]
	v_fma_f64 v[4:5], v[4:5], v[26:27], v[14:15]
	s_delay_alu instid0(VALU_DEP_3) | instskip(NEXT) | instid1(VALU_DEP_3)
	v_add_f64 v[6:7], v[10:11], v[6:7]
	v_add_f64 v[8:9], v[12:13], v[8:9]
	s_delay_alu instid0(VALU_DEP_2) | instskip(NEXT) | instid1(VALU_DEP_2)
	v_add_f64 v[2:3], v[6:7], v[2:3]
	v_add_f64 v[4:5], v[8:9], v[4:5]
	s_waitcnt vmcnt(0)
	s_delay_alu instid0(VALU_DEP_2) | instskip(NEXT) | instid1(VALU_DEP_2)
	v_add_f64 v[2:3], v[30:31], -v[2:3]
	v_add_f64 v[4:5], v[32:33], -v[4:5]
	scratch_store_b128 off, v[2:5], off offset:240
	v_cmpx_lt_u32_e32 14, v108
	s_cbranch_execz .LBB96_183
; %bb.182:
	scratch_load_b128 v[5:8], v131, off
	v_mov_b32_e32 v2, v1
	v_mov_b32_e32 v3, v1
	;; [unrolled: 1-line block ×3, first 2 shown]
	scratch_store_b128 off, v[1:4], off offset:224
	s_waitcnt vmcnt(0)
	ds_store_b128 v141, v[5:8]
.LBB96_183:
	s_or_b32 exec_lo, exec_lo, s2
	s_waitcnt lgkmcnt(0)
	s_waitcnt_vscnt null, 0x0
	s_barrier
	buffer_gl0_inv
	s_clause 0x7
	scratch_load_b128 v[2:5], off, off offset:240
	scratch_load_b128 v[6:9], off, off offset:256
	scratch_load_b128 v[10:13], off, off offset:272
	scratch_load_b128 v[14:17], off, off offset:288
	scratch_load_b128 v[18:21], off, off offset:304
	scratch_load_b128 v[22:25], off, off offset:320
	scratch_load_b128 v[26:29], off, off offset:336
	scratch_load_b128 v[30:33], off, off offset:352
	ds_load_b128 v[34:37], v1 offset:768
	ds_load_b128 v[142:145], v1 offset:784
	s_clause 0x1
	scratch_load_b128 v[38:41], off, off offset:368
	scratch_load_b128 v[146:149], off, off offset:384
	s_mov_b32 s2, exec_lo
	s_waitcnt vmcnt(9) lgkmcnt(1)
	v_mul_f64 v[150:151], v[36:37], v[4:5]
	v_mul_f64 v[4:5], v[34:35], v[4:5]
	s_waitcnt vmcnt(8) lgkmcnt(0)
	v_mul_f64 v[152:153], v[142:143], v[8:9]
	v_mul_f64 v[8:9], v[144:145], v[8:9]
	s_delay_alu instid0(VALU_DEP_4) | instskip(NEXT) | instid1(VALU_DEP_4)
	v_fma_f64 v[150:151], v[34:35], v[2:3], -v[150:151]
	v_fma_f64 v[154:155], v[36:37], v[2:3], v[4:5]
	scratch_load_b128 v[34:37], off, off offset:400
	ds_load_b128 v[2:5], v1 offset:800
	v_fma_f64 v[152:153], v[144:145], v[6:7], v[152:153]
	v_fma_f64 v[158:159], v[142:143], v[6:7], -v[8:9]
	ds_load_b128 v[6:9], v1 offset:816
	scratch_load_b128 v[142:145], off, off offset:416
	s_waitcnt vmcnt(9) lgkmcnt(1)
	v_mul_f64 v[156:157], v[2:3], v[12:13]
	v_mul_f64 v[12:13], v[4:5], v[12:13]
	s_waitcnt vmcnt(8) lgkmcnt(0)
	v_mul_f64 v[160:161], v[6:7], v[16:17]
	v_mul_f64 v[16:17], v[8:9], v[16:17]
	v_add_f64 v[150:151], v[150:151], 0
	v_add_f64 v[154:155], v[154:155], 0
	v_fma_f64 v[156:157], v[4:5], v[10:11], v[156:157]
	v_fma_f64 v[162:163], v[2:3], v[10:11], -v[12:13]
	scratch_load_b128 v[10:13], off, off offset:432
	ds_load_b128 v[2:5], v1 offset:832
	v_add_f64 v[150:151], v[150:151], v[158:159]
	v_add_f64 v[152:153], v[154:155], v[152:153]
	v_fma_f64 v[158:159], v[8:9], v[14:15], v[160:161]
	v_fma_f64 v[160:161], v[6:7], v[14:15], -v[16:17]
	ds_load_b128 v[6:9], v1 offset:848
	scratch_load_b128 v[14:17], off, off offset:448
	s_waitcnt vmcnt(9) lgkmcnt(1)
	v_mul_f64 v[154:155], v[2:3], v[20:21]
	v_mul_f64 v[20:21], v[4:5], v[20:21]
	v_add_f64 v[150:151], v[150:151], v[162:163]
	v_add_f64 v[152:153], v[152:153], v[156:157]
	s_waitcnt vmcnt(8) lgkmcnt(0)
	v_mul_f64 v[156:157], v[6:7], v[24:25]
	v_mul_f64 v[24:25], v[8:9], v[24:25]
	v_fma_f64 v[154:155], v[4:5], v[18:19], v[154:155]
	v_fma_f64 v[162:163], v[2:3], v[18:19], -v[20:21]
	scratch_load_b128 v[18:21], off, off offset:464
	ds_load_b128 v[2:5], v1 offset:864
	v_add_f64 v[150:151], v[150:151], v[160:161]
	v_add_f64 v[152:153], v[152:153], v[158:159]
	v_fma_f64 v[156:157], v[8:9], v[22:23], v[156:157]
	v_fma_f64 v[160:161], v[6:7], v[22:23], -v[24:25]
	ds_load_b128 v[6:9], v1 offset:880
	s_waitcnt vmcnt(8) lgkmcnt(1)
	v_mul_f64 v[158:159], v[2:3], v[28:29]
	v_mul_f64 v[28:29], v[4:5], v[28:29]
	scratch_load_b128 v[22:25], off, off offset:480
	v_add_f64 v[150:151], v[150:151], v[162:163]
	v_add_f64 v[152:153], v[152:153], v[154:155]
	s_waitcnt vmcnt(8) lgkmcnt(0)
	v_mul_f64 v[154:155], v[6:7], v[32:33]
	v_mul_f64 v[32:33], v[8:9], v[32:33]
	v_fma_f64 v[158:159], v[4:5], v[26:27], v[158:159]
	v_fma_f64 v[162:163], v[2:3], v[26:27], -v[28:29]
	scratch_load_b128 v[26:29], off, off offset:496
	ds_load_b128 v[2:5], v1 offset:896
	v_add_f64 v[150:151], v[150:151], v[160:161]
	v_add_f64 v[152:153], v[152:153], v[156:157]
	v_fma_f64 v[154:155], v[8:9], v[30:31], v[154:155]
	v_fma_f64 v[160:161], v[6:7], v[30:31], -v[32:33]
	ds_load_b128 v[6:9], v1 offset:912
	s_waitcnt vmcnt(8) lgkmcnt(1)
	v_mul_f64 v[156:157], v[2:3], v[40:41]
	v_mul_f64 v[40:41], v[4:5], v[40:41]
	scratch_load_b128 v[30:33], off, off offset:512
	v_add_f64 v[150:151], v[150:151], v[162:163]
	v_add_f64 v[152:153], v[152:153], v[158:159]
	v_fma_f64 v[156:157], v[4:5], v[38:39], v[156:157]
	v_fma_f64 v[38:39], v[2:3], v[38:39], -v[40:41]
	ds_load_b128 v[2:5], v1 offset:928
	v_add_f64 v[40:41], v[150:151], v[160:161]
	v_add_f64 v[150:151], v[152:153], v[154:155]
	s_waitcnt vmcnt(7) lgkmcnt(0)
	v_mul_f64 v[152:153], v[2:3], v[36:37]
	v_mul_f64 v[36:37], v[4:5], v[36:37]
	s_delay_alu instid0(VALU_DEP_4) | instskip(NEXT) | instid1(VALU_DEP_4)
	v_add_f64 v[38:39], v[40:41], v[38:39]
	v_add_f64 v[40:41], v[150:151], v[156:157]
	s_delay_alu instid0(VALU_DEP_4) | instskip(NEXT) | instid1(VALU_DEP_4)
	v_fma_f64 v[150:151], v[4:5], v[34:35], v[152:153]
	v_fma_f64 v[152:153], v[2:3], v[34:35], -v[36:37]
	scratch_load_b128 v[34:37], off, off offset:224
	v_mul_f64 v[158:159], v[6:7], v[148:149]
	v_mul_f64 v[148:149], v[8:9], v[148:149]
	ds_load_b128 v[2:5], v1 offset:960
	v_fma_f64 v[154:155], v[8:9], v[146:147], v[158:159]
	v_fma_f64 v[146:147], v[6:7], v[146:147], -v[148:149]
	ds_load_b128 v[6:9], v1 offset:944
	s_waitcnt vmcnt(7) lgkmcnt(0)
	v_mul_f64 v[148:149], v[6:7], v[144:145]
	v_mul_f64 v[144:145], v[8:9], v[144:145]
	v_add_f64 v[40:41], v[40:41], v[154:155]
	v_add_f64 v[38:39], v[38:39], v[146:147]
	s_waitcnt vmcnt(6)
	v_mul_f64 v[146:147], v[2:3], v[12:13]
	v_mul_f64 v[12:13], v[4:5], v[12:13]
	v_fma_f64 v[148:149], v[8:9], v[142:143], v[148:149]
	v_fma_f64 v[142:143], v[6:7], v[142:143], -v[144:145]
	ds_load_b128 v[6:9], v1 offset:976
	v_add_f64 v[40:41], v[40:41], v[150:151]
	v_add_f64 v[38:39], v[38:39], v[152:153]
	v_fma_f64 v[146:147], v[4:5], v[10:11], v[146:147]
	v_fma_f64 v[10:11], v[2:3], v[10:11], -v[12:13]
	ds_load_b128 v[2:5], v1 offset:992
	s_waitcnt vmcnt(5) lgkmcnt(1)
	v_mul_f64 v[144:145], v[6:7], v[16:17]
	v_mul_f64 v[16:17], v[8:9], v[16:17]
	v_add_f64 v[12:13], v[38:39], v[142:143]
	v_add_f64 v[38:39], v[40:41], v[148:149]
	s_waitcnt vmcnt(4) lgkmcnt(0)
	v_mul_f64 v[40:41], v[2:3], v[20:21]
	v_mul_f64 v[20:21], v[4:5], v[20:21]
	v_fma_f64 v[142:143], v[8:9], v[14:15], v[144:145]
	v_fma_f64 v[14:15], v[6:7], v[14:15], -v[16:17]
	ds_load_b128 v[6:9], v1 offset:1008
	v_add_f64 v[10:11], v[12:13], v[10:11]
	v_add_f64 v[12:13], v[38:39], v[146:147]
	v_fma_f64 v[38:39], v[4:5], v[18:19], v[40:41]
	v_fma_f64 v[18:19], v[2:3], v[18:19], -v[20:21]
	ds_load_b128 v[2:5], v1 offset:1024
	s_waitcnt vmcnt(3) lgkmcnt(1)
	v_mul_f64 v[16:17], v[6:7], v[24:25]
	v_mul_f64 v[24:25], v[8:9], v[24:25]
	s_waitcnt vmcnt(2) lgkmcnt(0)
	v_mul_f64 v[20:21], v[4:5], v[28:29]
	v_add_f64 v[10:11], v[10:11], v[14:15]
	v_add_f64 v[12:13], v[12:13], v[142:143]
	v_mul_f64 v[14:15], v[2:3], v[28:29]
	v_fma_f64 v[16:17], v[8:9], v[22:23], v[16:17]
	v_fma_f64 v[22:23], v[6:7], v[22:23], -v[24:25]
	ds_load_b128 v[6:9], v1 offset:1040
	v_fma_f64 v[1:2], v[2:3], v[26:27], -v[20:21]
	s_waitcnt vmcnt(1) lgkmcnt(0)
	v_mul_f64 v[24:25], v[8:9], v[32:33]
	v_add_f64 v[10:11], v[10:11], v[18:19]
	v_add_f64 v[12:13], v[12:13], v[38:39]
	v_mul_f64 v[18:19], v[6:7], v[32:33]
	v_fma_f64 v[4:5], v[4:5], v[26:27], v[14:15]
	v_fma_f64 v[6:7], v[6:7], v[30:31], -v[24:25]
	v_add_f64 v[10:11], v[10:11], v[22:23]
	v_add_f64 v[12:13], v[12:13], v[16:17]
	v_fma_f64 v[8:9], v[8:9], v[30:31], v[18:19]
	s_delay_alu instid0(VALU_DEP_3) | instskip(NEXT) | instid1(VALU_DEP_3)
	v_add_f64 v[1:2], v[10:11], v[1:2]
	v_add_f64 v[3:4], v[12:13], v[4:5]
	s_delay_alu instid0(VALU_DEP_2) | instskip(NEXT) | instid1(VALU_DEP_2)
	v_add_f64 v[1:2], v[1:2], v[6:7]
	v_add_f64 v[3:4], v[3:4], v[8:9]
	s_waitcnt vmcnt(0)
	s_delay_alu instid0(VALU_DEP_2) | instskip(NEXT) | instid1(VALU_DEP_2)
	v_add_f64 v[1:2], v[34:35], -v[1:2]
	v_add_f64 v[3:4], v[36:37], -v[3:4]
	scratch_store_b128 off, v[1:4], off offset:224
	v_cmpx_lt_u32_e32 13, v108
	s_cbranch_execz .LBB96_185
; %bb.184:
	scratch_load_b128 v[1:4], v133, off
	v_mov_b32_e32 v5, 0
	s_delay_alu instid0(VALU_DEP_1)
	v_mov_b32_e32 v6, v5
	v_mov_b32_e32 v7, v5
	;; [unrolled: 1-line block ×3, first 2 shown]
	scratch_store_b128 off, v[5:8], off offset:208
	s_waitcnt vmcnt(0)
	ds_store_b128 v141, v[1:4]
.LBB96_185:
	s_or_b32 exec_lo, exec_lo, s2
	s_waitcnt lgkmcnt(0)
	s_waitcnt_vscnt null, 0x0
	s_barrier
	buffer_gl0_inv
	s_clause 0x7
	scratch_load_b128 v[2:5], off, off offset:224
	scratch_load_b128 v[6:9], off, off offset:240
	;; [unrolled: 1-line block ×8, first 2 shown]
	v_mov_b32_e32 v1, 0
	s_clause 0x1
	scratch_load_b128 v[38:41], off, off offset:352
	scratch_load_b128 v[146:149], off, off offset:368
	s_mov_b32 s2, exec_lo
	ds_load_b128 v[34:37], v1 offset:752
	ds_load_b128 v[142:145], v1 offset:768
	s_waitcnt vmcnt(9) lgkmcnt(1)
	v_mul_f64 v[150:151], v[36:37], v[4:5]
	v_mul_f64 v[4:5], v[34:35], v[4:5]
	s_waitcnt vmcnt(8) lgkmcnt(0)
	v_mul_f64 v[152:153], v[142:143], v[8:9]
	v_mul_f64 v[8:9], v[144:145], v[8:9]
	s_delay_alu instid0(VALU_DEP_4) | instskip(NEXT) | instid1(VALU_DEP_4)
	v_fma_f64 v[150:151], v[34:35], v[2:3], -v[150:151]
	v_fma_f64 v[154:155], v[36:37], v[2:3], v[4:5]
	ds_load_b128 v[2:5], v1 offset:784
	scratch_load_b128 v[34:37], off, off offset:384
	v_fma_f64 v[152:153], v[144:145], v[6:7], v[152:153]
	v_fma_f64 v[158:159], v[142:143], v[6:7], -v[8:9]
	scratch_load_b128 v[142:145], off, off offset:400
	ds_load_b128 v[6:9], v1 offset:800
	s_waitcnt vmcnt(9) lgkmcnt(1)
	v_mul_f64 v[156:157], v[2:3], v[12:13]
	v_mul_f64 v[12:13], v[4:5], v[12:13]
	s_waitcnt vmcnt(8) lgkmcnt(0)
	v_mul_f64 v[160:161], v[6:7], v[16:17]
	v_mul_f64 v[16:17], v[8:9], v[16:17]
	v_add_f64 v[150:151], v[150:151], 0
	v_add_f64 v[154:155], v[154:155], 0
	v_fma_f64 v[156:157], v[4:5], v[10:11], v[156:157]
	v_fma_f64 v[162:163], v[2:3], v[10:11], -v[12:13]
	ds_load_b128 v[2:5], v1 offset:816
	scratch_load_b128 v[10:13], off, off offset:416
	v_add_f64 v[150:151], v[150:151], v[158:159]
	v_add_f64 v[152:153], v[154:155], v[152:153]
	v_fma_f64 v[158:159], v[8:9], v[14:15], v[160:161]
	v_fma_f64 v[160:161], v[6:7], v[14:15], -v[16:17]
	ds_load_b128 v[6:9], v1 offset:832
	scratch_load_b128 v[14:17], off, off offset:432
	s_waitcnt vmcnt(9) lgkmcnt(1)
	v_mul_f64 v[154:155], v[2:3], v[20:21]
	v_mul_f64 v[20:21], v[4:5], v[20:21]
	v_add_f64 v[150:151], v[150:151], v[162:163]
	v_add_f64 v[152:153], v[152:153], v[156:157]
	s_waitcnt vmcnt(8) lgkmcnt(0)
	v_mul_f64 v[156:157], v[6:7], v[24:25]
	v_mul_f64 v[24:25], v[8:9], v[24:25]
	v_fma_f64 v[154:155], v[4:5], v[18:19], v[154:155]
	v_fma_f64 v[162:163], v[2:3], v[18:19], -v[20:21]
	scratch_load_b128 v[18:21], off, off offset:448
	ds_load_b128 v[2:5], v1 offset:848
	v_add_f64 v[150:151], v[150:151], v[160:161]
	v_add_f64 v[152:153], v[152:153], v[158:159]
	v_fma_f64 v[156:157], v[8:9], v[22:23], v[156:157]
	v_fma_f64 v[160:161], v[6:7], v[22:23], -v[24:25]
	ds_load_b128 v[6:9], v1 offset:864
	s_waitcnt vmcnt(8) lgkmcnt(1)
	v_mul_f64 v[158:159], v[2:3], v[28:29]
	v_mul_f64 v[28:29], v[4:5], v[28:29]
	scratch_load_b128 v[22:25], off, off offset:464
	v_add_f64 v[150:151], v[150:151], v[162:163]
	v_add_f64 v[152:153], v[152:153], v[154:155]
	s_waitcnt vmcnt(8) lgkmcnt(0)
	v_mul_f64 v[154:155], v[6:7], v[32:33]
	v_mul_f64 v[32:33], v[8:9], v[32:33]
	v_fma_f64 v[158:159], v[4:5], v[26:27], v[158:159]
	v_fma_f64 v[162:163], v[2:3], v[26:27], -v[28:29]
	scratch_load_b128 v[26:29], off, off offset:480
	ds_load_b128 v[2:5], v1 offset:880
	v_add_f64 v[150:151], v[150:151], v[160:161]
	v_add_f64 v[152:153], v[152:153], v[156:157]
	v_fma_f64 v[154:155], v[8:9], v[30:31], v[154:155]
	v_fma_f64 v[160:161], v[6:7], v[30:31], -v[32:33]
	ds_load_b128 v[6:9], v1 offset:896
	s_waitcnt vmcnt(8) lgkmcnt(1)
	v_mul_f64 v[156:157], v[2:3], v[40:41]
	v_mul_f64 v[40:41], v[4:5], v[40:41]
	scratch_load_b128 v[30:33], off, off offset:496
	v_add_f64 v[150:151], v[150:151], v[162:163]
	v_add_f64 v[152:153], v[152:153], v[158:159]
	s_waitcnt vmcnt(8) lgkmcnt(0)
	v_mul_f64 v[158:159], v[6:7], v[148:149]
	v_mul_f64 v[148:149], v[8:9], v[148:149]
	v_fma_f64 v[156:157], v[4:5], v[38:39], v[156:157]
	v_fma_f64 v[162:163], v[2:3], v[38:39], -v[40:41]
	scratch_load_b128 v[38:41], off, off offset:512
	ds_load_b128 v[2:5], v1 offset:912
	v_add_f64 v[150:151], v[150:151], v[160:161]
	v_add_f64 v[152:153], v[152:153], v[154:155]
	v_fma_f64 v[158:159], v[8:9], v[146:147], v[158:159]
	v_fma_f64 v[146:147], v[6:7], v[146:147], -v[148:149]
	ds_load_b128 v[6:9], v1 offset:928
	s_waitcnt vmcnt(8) lgkmcnt(1)
	v_mul_f64 v[154:155], v[2:3], v[36:37]
	v_mul_f64 v[36:37], v[4:5], v[36:37]
	v_add_f64 v[148:149], v[150:151], v[162:163]
	v_add_f64 v[150:151], v[152:153], v[156:157]
	s_waitcnt vmcnt(7) lgkmcnt(0)
	v_mul_f64 v[152:153], v[6:7], v[144:145]
	v_mul_f64 v[144:145], v[8:9], v[144:145]
	v_fma_f64 v[154:155], v[4:5], v[34:35], v[154:155]
	v_fma_f64 v[34:35], v[2:3], v[34:35], -v[36:37]
	ds_load_b128 v[2:5], v1 offset:944
	v_add_f64 v[36:37], v[148:149], v[146:147]
	v_add_f64 v[146:147], v[150:151], v[158:159]
	v_fma_f64 v[150:151], v[8:9], v[142:143], v[152:153]
	v_fma_f64 v[142:143], v[6:7], v[142:143], -v[144:145]
	ds_load_b128 v[6:9], v1 offset:960
	s_waitcnt vmcnt(5) lgkmcnt(0)
	v_mul_f64 v[152:153], v[6:7], v[16:17]
	v_mul_f64 v[16:17], v[8:9], v[16:17]
	v_add_f64 v[144:145], v[36:37], v[34:35]
	v_add_f64 v[146:147], v[146:147], v[154:155]
	scratch_load_b128 v[34:37], off, off offset:208
	v_mul_f64 v[148:149], v[2:3], v[12:13]
	v_mul_f64 v[12:13], v[4:5], v[12:13]
	s_delay_alu instid0(VALU_DEP_2) | instskip(NEXT) | instid1(VALU_DEP_2)
	v_fma_f64 v[148:149], v[4:5], v[10:11], v[148:149]
	v_fma_f64 v[10:11], v[2:3], v[10:11], -v[12:13]
	v_add_f64 v[12:13], v[144:145], v[142:143]
	v_add_f64 v[142:143], v[146:147], v[150:151]
	ds_load_b128 v[2:5], v1 offset:976
	v_fma_f64 v[146:147], v[8:9], v[14:15], v[152:153]
	v_fma_f64 v[14:15], v[6:7], v[14:15], -v[16:17]
	ds_load_b128 v[6:9], v1 offset:992
	s_waitcnt vmcnt(5) lgkmcnt(1)
	v_mul_f64 v[144:145], v[2:3], v[20:21]
	v_mul_f64 v[20:21], v[4:5], v[20:21]
	s_waitcnt vmcnt(4) lgkmcnt(0)
	v_mul_f64 v[16:17], v[6:7], v[24:25]
	v_mul_f64 v[24:25], v[8:9], v[24:25]
	v_add_f64 v[10:11], v[12:13], v[10:11]
	v_add_f64 v[12:13], v[142:143], v[148:149]
	v_fma_f64 v[142:143], v[4:5], v[18:19], v[144:145]
	v_fma_f64 v[18:19], v[2:3], v[18:19], -v[20:21]
	ds_load_b128 v[2:5], v1 offset:1008
	v_fma_f64 v[16:17], v[8:9], v[22:23], v[16:17]
	v_fma_f64 v[22:23], v[6:7], v[22:23], -v[24:25]
	ds_load_b128 v[6:9], v1 offset:1024
	v_add_f64 v[10:11], v[10:11], v[14:15]
	v_add_f64 v[12:13], v[12:13], v[146:147]
	s_waitcnt vmcnt(3) lgkmcnt(1)
	v_mul_f64 v[14:15], v[2:3], v[28:29]
	v_mul_f64 v[20:21], v[4:5], v[28:29]
	s_waitcnt vmcnt(2) lgkmcnt(0)
	v_mul_f64 v[24:25], v[8:9], v[32:33]
	v_add_f64 v[10:11], v[10:11], v[18:19]
	v_add_f64 v[12:13], v[12:13], v[142:143]
	v_mul_f64 v[18:19], v[6:7], v[32:33]
	v_fma_f64 v[14:15], v[4:5], v[26:27], v[14:15]
	v_fma_f64 v[20:21], v[2:3], v[26:27], -v[20:21]
	ds_load_b128 v[2:5], v1 offset:1040
	v_fma_f64 v[6:7], v[6:7], v[30:31], -v[24:25]
	v_add_f64 v[10:11], v[10:11], v[22:23]
	v_add_f64 v[12:13], v[12:13], v[16:17]
	s_waitcnt vmcnt(1) lgkmcnt(0)
	v_mul_f64 v[16:17], v[2:3], v[40:41]
	v_mul_f64 v[22:23], v[4:5], v[40:41]
	v_fma_f64 v[8:9], v[8:9], v[30:31], v[18:19]
	v_add_f64 v[10:11], v[10:11], v[20:21]
	v_add_f64 v[12:13], v[12:13], v[14:15]
	v_fma_f64 v[4:5], v[4:5], v[38:39], v[16:17]
	v_fma_f64 v[2:3], v[2:3], v[38:39], -v[22:23]
	s_delay_alu instid0(VALU_DEP_4) | instskip(NEXT) | instid1(VALU_DEP_4)
	v_add_f64 v[6:7], v[10:11], v[6:7]
	v_add_f64 v[8:9], v[12:13], v[8:9]
	s_delay_alu instid0(VALU_DEP_2) | instskip(NEXT) | instid1(VALU_DEP_2)
	v_add_f64 v[2:3], v[6:7], v[2:3]
	v_add_f64 v[4:5], v[8:9], v[4:5]
	s_waitcnt vmcnt(0)
	s_delay_alu instid0(VALU_DEP_2) | instskip(NEXT) | instid1(VALU_DEP_2)
	v_add_f64 v[2:3], v[34:35], -v[2:3]
	v_add_f64 v[4:5], v[36:37], -v[4:5]
	scratch_store_b128 off, v[2:5], off offset:208
	v_cmpx_lt_u32_e32 12, v108
	s_cbranch_execz .LBB96_187
; %bb.186:
	scratch_load_b128 v[5:8], v132, off
	v_mov_b32_e32 v2, v1
	v_mov_b32_e32 v3, v1
	v_mov_b32_e32 v4, v1
	scratch_store_b128 off, v[1:4], off offset:192
	s_waitcnt vmcnt(0)
	ds_store_b128 v141, v[5:8]
.LBB96_187:
	s_or_b32 exec_lo, exec_lo, s2
	s_waitcnt lgkmcnt(0)
	s_waitcnt_vscnt null, 0x0
	s_barrier
	buffer_gl0_inv
	s_clause 0x7
	scratch_load_b128 v[2:5], off, off offset:208
	scratch_load_b128 v[6:9], off, off offset:224
	;; [unrolled: 1-line block ×8, first 2 shown]
	ds_load_b128 v[34:37], v1 offset:736
	ds_load_b128 v[142:145], v1 offset:752
	s_clause 0x1
	scratch_load_b128 v[38:41], off, off offset:336
	scratch_load_b128 v[146:149], off, off offset:352
	s_mov_b32 s2, exec_lo
	s_waitcnt vmcnt(9) lgkmcnt(1)
	v_mul_f64 v[150:151], v[36:37], v[4:5]
	v_mul_f64 v[4:5], v[34:35], v[4:5]
	s_waitcnt vmcnt(8) lgkmcnt(0)
	v_mul_f64 v[152:153], v[142:143], v[8:9]
	v_mul_f64 v[8:9], v[144:145], v[8:9]
	s_delay_alu instid0(VALU_DEP_4) | instskip(NEXT) | instid1(VALU_DEP_4)
	v_fma_f64 v[150:151], v[34:35], v[2:3], -v[150:151]
	v_fma_f64 v[154:155], v[36:37], v[2:3], v[4:5]
	ds_load_b128 v[2:5], v1 offset:768
	scratch_load_b128 v[34:37], off, off offset:368
	v_fma_f64 v[152:153], v[144:145], v[6:7], v[152:153]
	v_fma_f64 v[158:159], v[142:143], v[6:7], -v[8:9]
	ds_load_b128 v[6:9], v1 offset:784
	scratch_load_b128 v[142:145], off, off offset:384
	s_waitcnt vmcnt(9) lgkmcnt(1)
	v_mul_f64 v[156:157], v[2:3], v[12:13]
	v_mul_f64 v[12:13], v[4:5], v[12:13]
	s_waitcnt vmcnt(8) lgkmcnt(0)
	v_mul_f64 v[160:161], v[6:7], v[16:17]
	v_mul_f64 v[16:17], v[8:9], v[16:17]
	v_add_f64 v[150:151], v[150:151], 0
	v_add_f64 v[154:155], v[154:155], 0
	v_fma_f64 v[156:157], v[4:5], v[10:11], v[156:157]
	v_fma_f64 v[162:163], v[2:3], v[10:11], -v[12:13]
	scratch_load_b128 v[10:13], off, off offset:400
	ds_load_b128 v[2:5], v1 offset:800
	v_add_f64 v[150:151], v[150:151], v[158:159]
	v_add_f64 v[152:153], v[154:155], v[152:153]
	v_fma_f64 v[158:159], v[8:9], v[14:15], v[160:161]
	v_fma_f64 v[160:161], v[6:7], v[14:15], -v[16:17]
	ds_load_b128 v[6:9], v1 offset:816
	scratch_load_b128 v[14:17], off, off offset:416
	s_waitcnt vmcnt(9) lgkmcnt(1)
	v_mul_f64 v[154:155], v[2:3], v[20:21]
	v_mul_f64 v[20:21], v[4:5], v[20:21]
	v_add_f64 v[150:151], v[150:151], v[162:163]
	v_add_f64 v[152:153], v[152:153], v[156:157]
	s_waitcnt vmcnt(8) lgkmcnt(0)
	v_mul_f64 v[156:157], v[6:7], v[24:25]
	v_mul_f64 v[24:25], v[8:9], v[24:25]
	v_fma_f64 v[154:155], v[4:5], v[18:19], v[154:155]
	v_fma_f64 v[162:163], v[2:3], v[18:19], -v[20:21]
	scratch_load_b128 v[18:21], off, off offset:432
	ds_load_b128 v[2:5], v1 offset:832
	v_add_f64 v[150:151], v[150:151], v[160:161]
	v_add_f64 v[152:153], v[152:153], v[158:159]
	v_fma_f64 v[156:157], v[8:9], v[22:23], v[156:157]
	v_fma_f64 v[160:161], v[6:7], v[22:23], -v[24:25]
	ds_load_b128 v[6:9], v1 offset:848
	s_waitcnt vmcnt(8) lgkmcnt(1)
	v_mul_f64 v[158:159], v[2:3], v[28:29]
	v_mul_f64 v[28:29], v[4:5], v[28:29]
	scratch_load_b128 v[22:25], off, off offset:448
	v_add_f64 v[150:151], v[150:151], v[162:163]
	v_add_f64 v[152:153], v[152:153], v[154:155]
	s_waitcnt vmcnt(8) lgkmcnt(0)
	v_mul_f64 v[154:155], v[6:7], v[32:33]
	v_mul_f64 v[32:33], v[8:9], v[32:33]
	v_fma_f64 v[158:159], v[4:5], v[26:27], v[158:159]
	v_fma_f64 v[162:163], v[2:3], v[26:27], -v[28:29]
	scratch_load_b128 v[26:29], off, off offset:464
	ds_load_b128 v[2:5], v1 offset:864
	v_add_f64 v[150:151], v[150:151], v[160:161]
	v_add_f64 v[152:153], v[152:153], v[156:157]
	v_fma_f64 v[154:155], v[8:9], v[30:31], v[154:155]
	v_fma_f64 v[160:161], v[6:7], v[30:31], -v[32:33]
	ds_load_b128 v[6:9], v1 offset:880
	s_waitcnt vmcnt(8) lgkmcnt(1)
	v_mul_f64 v[156:157], v[2:3], v[40:41]
	v_mul_f64 v[40:41], v[4:5], v[40:41]
	scratch_load_b128 v[30:33], off, off offset:480
	v_add_f64 v[150:151], v[150:151], v[162:163]
	v_add_f64 v[152:153], v[152:153], v[158:159]
	s_waitcnt vmcnt(8) lgkmcnt(0)
	v_mul_f64 v[158:159], v[6:7], v[148:149]
	v_mul_f64 v[148:149], v[8:9], v[148:149]
	v_fma_f64 v[156:157], v[4:5], v[38:39], v[156:157]
	v_fma_f64 v[162:163], v[2:3], v[38:39], -v[40:41]
	scratch_load_b128 v[38:41], off, off offset:496
	ds_load_b128 v[2:5], v1 offset:896
	v_add_f64 v[150:151], v[150:151], v[160:161]
	v_add_f64 v[152:153], v[152:153], v[154:155]
	v_fma_f64 v[158:159], v[8:9], v[146:147], v[158:159]
	v_fma_f64 v[160:161], v[6:7], v[146:147], -v[148:149]
	ds_load_b128 v[6:9], v1 offset:912
	scratch_load_b128 v[146:149], off, off offset:512
	s_waitcnt vmcnt(9) lgkmcnt(1)
	v_mul_f64 v[154:155], v[2:3], v[36:37]
	v_mul_f64 v[36:37], v[4:5], v[36:37]
	v_add_f64 v[150:151], v[150:151], v[162:163]
	v_add_f64 v[152:153], v[152:153], v[156:157]
	s_delay_alu instid0(VALU_DEP_4) | instskip(NEXT) | instid1(VALU_DEP_4)
	v_fma_f64 v[154:155], v[4:5], v[34:35], v[154:155]
	v_fma_f64 v[34:35], v[2:3], v[34:35], -v[36:37]
	ds_load_b128 v[2:5], v1 offset:928
	v_add_f64 v[36:37], v[150:151], v[160:161]
	v_add_f64 v[150:151], v[152:153], v[158:159]
	s_waitcnt vmcnt(7) lgkmcnt(0)
	v_mul_f64 v[152:153], v[2:3], v[12:13]
	v_mul_f64 v[12:13], v[4:5], v[12:13]
	s_delay_alu instid0(VALU_DEP_4) | instskip(NEXT) | instid1(VALU_DEP_4)
	v_add_f64 v[34:35], v[36:37], v[34:35]
	v_add_f64 v[36:37], v[150:151], v[154:155]
	s_delay_alu instid0(VALU_DEP_4) | instskip(NEXT) | instid1(VALU_DEP_4)
	v_fma_f64 v[150:151], v[4:5], v[10:11], v[152:153]
	v_fma_f64 v[152:153], v[2:3], v[10:11], -v[12:13]
	scratch_load_b128 v[10:13], off, off offset:192
	v_mul_f64 v[156:157], v[6:7], v[144:145]
	v_mul_f64 v[144:145], v[8:9], v[144:145]
	ds_load_b128 v[2:5], v1 offset:960
	v_fma_f64 v[156:157], v[8:9], v[142:143], v[156:157]
	v_fma_f64 v[142:143], v[6:7], v[142:143], -v[144:145]
	ds_load_b128 v[6:9], v1 offset:944
	s_waitcnt vmcnt(7) lgkmcnt(0)
	v_mul_f64 v[144:145], v[6:7], v[16:17]
	v_mul_f64 v[16:17], v[8:9], v[16:17]
	v_add_f64 v[36:37], v[36:37], v[156:157]
	v_add_f64 v[34:35], v[34:35], v[142:143]
	s_waitcnt vmcnt(6)
	v_mul_f64 v[142:143], v[2:3], v[20:21]
	v_mul_f64 v[20:21], v[4:5], v[20:21]
	v_fma_f64 v[144:145], v[8:9], v[14:15], v[144:145]
	v_fma_f64 v[14:15], v[6:7], v[14:15], -v[16:17]
	ds_load_b128 v[6:9], v1 offset:976
	v_add_f64 v[16:17], v[34:35], v[152:153]
	v_add_f64 v[34:35], v[36:37], v[150:151]
	v_fma_f64 v[142:143], v[4:5], v[18:19], v[142:143]
	v_fma_f64 v[18:19], v[2:3], v[18:19], -v[20:21]
	ds_load_b128 v[2:5], v1 offset:992
	s_waitcnt vmcnt(5) lgkmcnt(1)
	v_mul_f64 v[36:37], v[6:7], v[24:25]
	v_mul_f64 v[24:25], v[8:9], v[24:25]
	s_waitcnt vmcnt(4) lgkmcnt(0)
	v_mul_f64 v[20:21], v[2:3], v[28:29]
	v_mul_f64 v[28:29], v[4:5], v[28:29]
	v_add_f64 v[14:15], v[16:17], v[14:15]
	v_add_f64 v[16:17], v[34:35], v[144:145]
	v_fma_f64 v[34:35], v[8:9], v[22:23], v[36:37]
	v_fma_f64 v[22:23], v[6:7], v[22:23], -v[24:25]
	ds_load_b128 v[6:9], v1 offset:1008
	v_fma_f64 v[20:21], v[4:5], v[26:27], v[20:21]
	v_fma_f64 v[26:27], v[2:3], v[26:27], -v[28:29]
	ds_load_b128 v[2:5], v1 offset:1024
	s_waitcnt vmcnt(3) lgkmcnt(1)
	v_mul_f64 v[24:25], v[8:9], v[32:33]
	v_add_f64 v[14:15], v[14:15], v[18:19]
	v_add_f64 v[16:17], v[16:17], v[142:143]
	v_mul_f64 v[18:19], v[6:7], v[32:33]
	s_waitcnt vmcnt(2) lgkmcnt(0)
	v_mul_f64 v[28:29], v[4:5], v[40:41]
	v_fma_f64 v[24:25], v[6:7], v[30:31], -v[24:25]
	v_add_f64 v[14:15], v[14:15], v[22:23]
	v_add_f64 v[16:17], v[16:17], v[34:35]
	v_mul_f64 v[22:23], v[2:3], v[40:41]
	v_fma_f64 v[18:19], v[8:9], v[30:31], v[18:19]
	ds_load_b128 v[6:9], v1 offset:1040
	v_fma_f64 v[1:2], v[2:3], v[38:39], -v[28:29]
	v_add_f64 v[14:15], v[14:15], v[26:27]
	v_add_f64 v[16:17], v[16:17], v[20:21]
	s_waitcnt vmcnt(1) lgkmcnt(0)
	v_mul_f64 v[20:21], v[6:7], v[148:149]
	v_mul_f64 v[26:27], v[8:9], v[148:149]
	v_fma_f64 v[4:5], v[4:5], v[38:39], v[22:23]
	v_add_f64 v[14:15], v[14:15], v[24:25]
	v_add_f64 v[16:17], v[16:17], v[18:19]
	v_fma_f64 v[8:9], v[8:9], v[146:147], v[20:21]
	v_fma_f64 v[6:7], v[6:7], v[146:147], -v[26:27]
	s_delay_alu instid0(VALU_DEP_4) | instskip(NEXT) | instid1(VALU_DEP_4)
	v_add_f64 v[1:2], v[14:15], v[1:2]
	v_add_f64 v[3:4], v[16:17], v[4:5]
	s_delay_alu instid0(VALU_DEP_2) | instskip(NEXT) | instid1(VALU_DEP_2)
	v_add_f64 v[1:2], v[1:2], v[6:7]
	v_add_f64 v[3:4], v[3:4], v[8:9]
	s_waitcnt vmcnt(0)
	s_delay_alu instid0(VALU_DEP_2) | instskip(NEXT) | instid1(VALU_DEP_2)
	v_add_f64 v[1:2], v[10:11], -v[1:2]
	v_add_f64 v[3:4], v[12:13], -v[3:4]
	scratch_store_b128 off, v[1:4], off offset:192
	v_cmpx_lt_u32_e32 11, v108
	s_cbranch_execz .LBB96_189
; %bb.188:
	scratch_load_b128 v[1:4], v134, off
	v_mov_b32_e32 v5, 0
	s_delay_alu instid0(VALU_DEP_1)
	v_mov_b32_e32 v6, v5
	v_mov_b32_e32 v7, v5
	v_mov_b32_e32 v8, v5
	scratch_store_b128 off, v[5:8], off offset:176
	s_waitcnt vmcnt(0)
	ds_store_b128 v141, v[1:4]
.LBB96_189:
	s_or_b32 exec_lo, exec_lo, s2
	s_waitcnt lgkmcnt(0)
	s_waitcnt_vscnt null, 0x0
	s_barrier
	buffer_gl0_inv
	s_clause 0x7
	scratch_load_b128 v[2:5], off, off offset:192
	scratch_load_b128 v[6:9], off, off offset:208
	;; [unrolled: 1-line block ×8, first 2 shown]
	v_mov_b32_e32 v1, 0
	s_clause 0x1
	scratch_load_b128 v[38:41], off, off offset:320
	scratch_load_b128 v[146:149], off, off offset:336
	s_mov_b32 s2, exec_lo
	ds_load_b128 v[34:37], v1 offset:720
	ds_load_b128 v[142:145], v1 offset:736
	s_waitcnt vmcnt(9) lgkmcnt(1)
	v_mul_f64 v[150:151], v[36:37], v[4:5]
	v_mul_f64 v[4:5], v[34:35], v[4:5]
	s_waitcnt vmcnt(8) lgkmcnt(0)
	v_mul_f64 v[152:153], v[142:143], v[8:9]
	v_mul_f64 v[8:9], v[144:145], v[8:9]
	s_delay_alu instid0(VALU_DEP_4) | instskip(NEXT) | instid1(VALU_DEP_4)
	v_fma_f64 v[150:151], v[34:35], v[2:3], -v[150:151]
	v_fma_f64 v[154:155], v[36:37], v[2:3], v[4:5]
	ds_load_b128 v[2:5], v1 offset:752
	scratch_load_b128 v[34:37], off, off offset:352
	v_fma_f64 v[152:153], v[144:145], v[6:7], v[152:153]
	v_fma_f64 v[158:159], v[142:143], v[6:7], -v[8:9]
	scratch_load_b128 v[142:145], off, off offset:368
	ds_load_b128 v[6:9], v1 offset:768
	s_waitcnt vmcnt(9) lgkmcnt(1)
	v_mul_f64 v[156:157], v[2:3], v[12:13]
	v_mul_f64 v[12:13], v[4:5], v[12:13]
	s_waitcnt vmcnt(8) lgkmcnt(0)
	v_mul_f64 v[160:161], v[6:7], v[16:17]
	v_mul_f64 v[16:17], v[8:9], v[16:17]
	v_add_f64 v[150:151], v[150:151], 0
	v_add_f64 v[154:155], v[154:155], 0
	v_fma_f64 v[156:157], v[4:5], v[10:11], v[156:157]
	v_fma_f64 v[162:163], v[2:3], v[10:11], -v[12:13]
	ds_load_b128 v[2:5], v1 offset:784
	scratch_load_b128 v[10:13], off, off offset:384
	v_add_f64 v[150:151], v[150:151], v[158:159]
	v_add_f64 v[152:153], v[154:155], v[152:153]
	v_fma_f64 v[158:159], v[8:9], v[14:15], v[160:161]
	v_fma_f64 v[160:161], v[6:7], v[14:15], -v[16:17]
	scratch_load_b128 v[14:17], off, off offset:400
	ds_load_b128 v[6:9], v1 offset:800
	s_waitcnt vmcnt(9) lgkmcnt(1)
	v_mul_f64 v[154:155], v[2:3], v[20:21]
	v_mul_f64 v[20:21], v[4:5], v[20:21]
	v_add_f64 v[150:151], v[150:151], v[162:163]
	v_add_f64 v[152:153], v[152:153], v[156:157]
	s_waitcnt vmcnt(8) lgkmcnt(0)
	v_mul_f64 v[156:157], v[6:7], v[24:25]
	v_mul_f64 v[24:25], v[8:9], v[24:25]
	v_fma_f64 v[154:155], v[4:5], v[18:19], v[154:155]
	v_fma_f64 v[162:163], v[2:3], v[18:19], -v[20:21]
	ds_load_b128 v[2:5], v1 offset:816
	scratch_load_b128 v[18:21], off, off offset:416
	v_add_f64 v[150:151], v[150:151], v[160:161]
	v_add_f64 v[152:153], v[152:153], v[158:159]
	v_fma_f64 v[156:157], v[8:9], v[22:23], v[156:157]
	v_fma_f64 v[160:161], v[6:7], v[22:23], -v[24:25]
	ds_load_b128 v[6:9], v1 offset:832
	s_waitcnt vmcnt(8) lgkmcnt(1)
	v_mul_f64 v[158:159], v[2:3], v[28:29]
	v_mul_f64 v[28:29], v[4:5], v[28:29]
	scratch_load_b128 v[22:25], off, off offset:432
	v_add_f64 v[150:151], v[150:151], v[162:163]
	v_add_f64 v[152:153], v[152:153], v[154:155]
	s_waitcnt vmcnt(8) lgkmcnt(0)
	v_mul_f64 v[154:155], v[6:7], v[32:33]
	v_mul_f64 v[32:33], v[8:9], v[32:33]
	v_fma_f64 v[158:159], v[4:5], v[26:27], v[158:159]
	v_fma_f64 v[162:163], v[2:3], v[26:27], -v[28:29]
	scratch_load_b128 v[26:29], off, off offset:448
	ds_load_b128 v[2:5], v1 offset:848
	v_add_f64 v[150:151], v[150:151], v[160:161]
	v_add_f64 v[152:153], v[152:153], v[156:157]
	v_fma_f64 v[154:155], v[8:9], v[30:31], v[154:155]
	v_fma_f64 v[160:161], v[6:7], v[30:31], -v[32:33]
	ds_load_b128 v[6:9], v1 offset:864
	s_waitcnt vmcnt(8) lgkmcnt(1)
	v_mul_f64 v[156:157], v[2:3], v[40:41]
	v_mul_f64 v[40:41], v[4:5], v[40:41]
	scratch_load_b128 v[30:33], off, off offset:464
	v_add_f64 v[150:151], v[150:151], v[162:163]
	v_add_f64 v[152:153], v[152:153], v[158:159]
	s_waitcnt vmcnt(8) lgkmcnt(0)
	v_mul_f64 v[158:159], v[6:7], v[148:149]
	v_mul_f64 v[148:149], v[8:9], v[148:149]
	v_fma_f64 v[156:157], v[4:5], v[38:39], v[156:157]
	v_fma_f64 v[162:163], v[2:3], v[38:39], -v[40:41]
	scratch_load_b128 v[38:41], off, off offset:480
	ds_load_b128 v[2:5], v1 offset:880
	v_add_f64 v[150:151], v[150:151], v[160:161]
	v_add_f64 v[152:153], v[152:153], v[154:155]
	v_fma_f64 v[158:159], v[8:9], v[146:147], v[158:159]
	v_fma_f64 v[160:161], v[6:7], v[146:147], -v[148:149]
	ds_load_b128 v[6:9], v1 offset:896
	scratch_load_b128 v[146:149], off, off offset:496
	s_waitcnt vmcnt(9) lgkmcnt(1)
	v_mul_f64 v[154:155], v[2:3], v[36:37]
	v_mul_f64 v[36:37], v[4:5], v[36:37]
	v_add_f64 v[150:151], v[150:151], v[162:163]
	v_add_f64 v[152:153], v[152:153], v[156:157]
	s_waitcnt vmcnt(8) lgkmcnt(0)
	v_mul_f64 v[156:157], v[6:7], v[144:145]
	v_mul_f64 v[144:145], v[8:9], v[144:145]
	v_fma_f64 v[154:155], v[4:5], v[34:35], v[154:155]
	v_fma_f64 v[162:163], v[2:3], v[34:35], -v[36:37]
	scratch_load_b128 v[34:37], off, off offset:512
	ds_load_b128 v[2:5], v1 offset:912
	v_add_f64 v[150:151], v[150:151], v[160:161]
	v_add_f64 v[152:153], v[152:153], v[158:159]
	v_fma_f64 v[156:157], v[8:9], v[142:143], v[156:157]
	v_fma_f64 v[142:143], v[6:7], v[142:143], -v[144:145]
	ds_load_b128 v[6:9], v1 offset:928
	s_waitcnt vmcnt(8) lgkmcnt(1)
	v_mul_f64 v[158:159], v[2:3], v[12:13]
	v_mul_f64 v[12:13], v[4:5], v[12:13]
	v_add_f64 v[144:145], v[150:151], v[162:163]
	v_add_f64 v[150:151], v[152:153], v[154:155]
	s_waitcnt vmcnt(7) lgkmcnt(0)
	v_mul_f64 v[152:153], v[6:7], v[16:17]
	v_mul_f64 v[16:17], v[8:9], v[16:17]
	v_fma_f64 v[154:155], v[4:5], v[10:11], v[158:159]
	v_fma_f64 v[10:11], v[2:3], v[10:11], -v[12:13]
	ds_load_b128 v[2:5], v1 offset:944
	v_add_f64 v[12:13], v[144:145], v[142:143]
	v_add_f64 v[142:143], v[150:151], v[156:157]
	v_fma_f64 v[150:151], v[8:9], v[14:15], v[152:153]
	v_fma_f64 v[14:15], v[6:7], v[14:15], -v[16:17]
	ds_load_b128 v[6:9], v1 offset:960
	s_waitcnt vmcnt(5) lgkmcnt(0)
	v_mul_f64 v[152:153], v[6:7], v[24:25]
	v_mul_f64 v[24:25], v[8:9], v[24:25]
	v_add_f64 v[16:17], v[12:13], v[10:11]
	v_add_f64 v[142:143], v[142:143], v[154:155]
	scratch_load_b128 v[10:13], off, off offset:176
	v_mul_f64 v[144:145], v[2:3], v[20:21]
	v_mul_f64 v[20:21], v[4:5], v[20:21]
	v_add_f64 v[14:15], v[16:17], v[14:15]
	v_add_f64 v[16:17], v[142:143], v[150:151]
	v_fma_f64 v[142:143], v[8:9], v[22:23], v[152:153]
	v_fma_f64 v[144:145], v[4:5], v[18:19], v[144:145]
	v_fma_f64 v[18:19], v[2:3], v[18:19], -v[20:21]
	ds_load_b128 v[2:5], v1 offset:976
	v_fma_f64 v[22:23], v[6:7], v[22:23], -v[24:25]
	ds_load_b128 v[6:9], v1 offset:992
	s_waitcnt vmcnt(5) lgkmcnt(1)
	v_mul_f64 v[20:21], v[2:3], v[28:29]
	v_mul_f64 v[28:29], v[4:5], v[28:29]
	s_waitcnt vmcnt(4) lgkmcnt(0)
	v_mul_f64 v[24:25], v[8:9], v[32:33]
	v_add_f64 v[16:17], v[16:17], v[144:145]
	v_add_f64 v[14:15], v[14:15], v[18:19]
	v_mul_f64 v[18:19], v[6:7], v[32:33]
	v_fma_f64 v[20:21], v[4:5], v[26:27], v[20:21]
	v_fma_f64 v[26:27], v[2:3], v[26:27], -v[28:29]
	ds_load_b128 v[2:5], v1 offset:1008
	v_fma_f64 v[24:25], v[6:7], v[30:31], -v[24:25]
	v_add_f64 v[16:17], v[16:17], v[142:143]
	v_add_f64 v[14:15], v[14:15], v[22:23]
	v_fma_f64 v[18:19], v[8:9], v[30:31], v[18:19]
	ds_load_b128 v[6:9], v1 offset:1024
	s_waitcnt vmcnt(3) lgkmcnt(1)
	v_mul_f64 v[22:23], v[2:3], v[40:41]
	v_mul_f64 v[28:29], v[4:5], v[40:41]
	v_add_f64 v[16:17], v[16:17], v[20:21]
	v_add_f64 v[14:15], v[14:15], v[26:27]
	s_waitcnt vmcnt(2) lgkmcnt(0)
	v_mul_f64 v[20:21], v[6:7], v[148:149]
	v_mul_f64 v[26:27], v[8:9], v[148:149]
	v_fma_f64 v[22:23], v[4:5], v[38:39], v[22:23]
	v_fma_f64 v[28:29], v[2:3], v[38:39], -v[28:29]
	ds_load_b128 v[2:5], v1 offset:1040
	v_add_f64 v[16:17], v[16:17], v[18:19]
	v_add_f64 v[14:15], v[14:15], v[24:25]
	s_waitcnt vmcnt(1) lgkmcnt(0)
	v_mul_f64 v[18:19], v[2:3], v[36:37]
	v_mul_f64 v[24:25], v[4:5], v[36:37]
	v_fma_f64 v[8:9], v[8:9], v[146:147], v[20:21]
	v_fma_f64 v[6:7], v[6:7], v[146:147], -v[26:27]
	v_add_f64 v[16:17], v[16:17], v[22:23]
	v_add_f64 v[14:15], v[14:15], v[28:29]
	v_fma_f64 v[4:5], v[4:5], v[34:35], v[18:19]
	v_fma_f64 v[2:3], v[2:3], v[34:35], -v[24:25]
	s_delay_alu instid0(VALU_DEP_4) | instskip(NEXT) | instid1(VALU_DEP_4)
	v_add_f64 v[8:9], v[16:17], v[8:9]
	v_add_f64 v[6:7], v[14:15], v[6:7]
	s_delay_alu instid0(VALU_DEP_2) | instskip(NEXT) | instid1(VALU_DEP_2)
	v_add_f64 v[4:5], v[8:9], v[4:5]
	v_add_f64 v[2:3], v[6:7], v[2:3]
	s_waitcnt vmcnt(0)
	s_delay_alu instid0(VALU_DEP_2) | instskip(NEXT) | instid1(VALU_DEP_2)
	v_add_f64 v[4:5], v[12:13], -v[4:5]
	v_add_f64 v[2:3], v[10:11], -v[2:3]
	scratch_store_b128 off, v[2:5], off offset:176
	v_cmpx_lt_u32_e32 10, v108
	s_cbranch_execz .LBB96_191
; %bb.190:
	scratch_load_b128 v[5:8], v135, off
	v_mov_b32_e32 v2, v1
	v_mov_b32_e32 v3, v1
	;; [unrolled: 1-line block ×3, first 2 shown]
	scratch_store_b128 off, v[1:4], off offset:160
	s_waitcnt vmcnt(0)
	ds_store_b128 v141, v[5:8]
.LBB96_191:
	s_or_b32 exec_lo, exec_lo, s2
	s_waitcnt lgkmcnt(0)
	s_waitcnt_vscnt null, 0x0
	s_barrier
	buffer_gl0_inv
	s_clause 0x7
	scratch_load_b128 v[2:5], off, off offset:176
	scratch_load_b128 v[6:9], off, off offset:192
	;; [unrolled: 1-line block ×8, first 2 shown]
	ds_load_b128 v[34:37], v1 offset:704
	ds_load_b128 v[142:145], v1 offset:720
	s_clause 0x1
	scratch_load_b128 v[38:41], off, off offset:304
	scratch_load_b128 v[146:149], off, off offset:320
	s_mov_b32 s2, exec_lo
	s_waitcnt vmcnt(9) lgkmcnt(1)
	v_mul_f64 v[150:151], v[36:37], v[4:5]
	v_mul_f64 v[4:5], v[34:35], v[4:5]
	s_waitcnt vmcnt(8) lgkmcnt(0)
	v_mul_f64 v[152:153], v[142:143], v[8:9]
	v_mul_f64 v[8:9], v[144:145], v[8:9]
	s_delay_alu instid0(VALU_DEP_4) | instskip(NEXT) | instid1(VALU_DEP_4)
	v_fma_f64 v[150:151], v[34:35], v[2:3], -v[150:151]
	v_fma_f64 v[154:155], v[36:37], v[2:3], v[4:5]
	ds_load_b128 v[2:5], v1 offset:736
	scratch_load_b128 v[34:37], off, off offset:336
	v_fma_f64 v[152:153], v[144:145], v[6:7], v[152:153]
	v_fma_f64 v[158:159], v[142:143], v[6:7], -v[8:9]
	scratch_load_b128 v[142:145], off, off offset:352
	ds_load_b128 v[6:9], v1 offset:752
	s_waitcnt vmcnt(9) lgkmcnt(1)
	v_mul_f64 v[156:157], v[2:3], v[12:13]
	v_mul_f64 v[12:13], v[4:5], v[12:13]
	s_waitcnt vmcnt(8) lgkmcnt(0)
	v_mul_f64 v[160:161], v[6:7], v[16:17]
	v_mul_f64 v[16:17], v[8:9], v[16:17]
	v_add_f64 v[150:151], v[150:151], 0
	v_add_f64 v[154:155], v[154:155], 0
	v_fma_f64 v[156:157], v[4:5], v[10:11], v[156:157]
	v_fma_f64 v[162:163], v[2:3], v[10:11], -v[12:13]
	ds_load_b128 v[2:5], v1 offset:768
	scratch_load_b128 v[10:13], off, off offset:368
	v_add_f64 v[150:151], v[150:151], v[158:159]
	v_add_f64 v[152:153], v[154:155], v[152:153]
	v_fma_f64 v[158:159], v[8:9], v[14:15], v[160:161]
	v_fma_f64 v[160:161], v[6:7], v[14:15], -v[16:17]
	scratch_load_b128 v[14:17], off, off offset:384
	ds_load_b128 v[6:9], v1 offset:784
	s_waitcnt vmcnt(9) lgkmcnt(1)
	v_mul_f64 v[154:155], v[2:3], v[20:21]
	v_mul_f64 v[20:21], v[4:5], v[20:21]
	v_add_f64 v[150:151], v[150:151], v[162:163]
	v_add_f64 v[152:153], v[152:153], v[156:157]
	s_waitcnt vmcnt(8) lgkmcnt(0)
	v_mul_f64 v[156:157], v[6:7], v[24:25]
	v_mul_f64 v[24:25], v[8:9], v[24:25]
	v_fma_f64 v[154:155], v[4:5], v[18:19], v[154:155]
	v_fma_f64 v[162:163], v[2:3], v[18:19], -v[20:21]
	ds_load_b128 v[2:5], v1 offset:800
	scratch_load_b128 v[18:21], off, off offset:400
	v_add_f64 v[150:151], v[150:151], v[160:161]
	v_add_f64 v[152:153], v[152:153], v[158:159]
	v_fma_f64 v[156:157], v[8:9], v[22:23], v[156:157]
	v_fma_f64 v[160:161], v[6:7], v[22:23], -v[24:25]
	ds_load_b128 v[6:9], v1 offset:816
	s_waitcnt vmcnt(8) lgkmcnt(1)
	v_mul_f64 v[158:159], v[2:3], v[28:29]
	v_mul_f64 v[28:29], v[4:5], v[28:29]
	scratch_load_b128 v[22:25], off, off offset:416
	v_add_f64 v[150:151], v[150:151], v[162:163]
	v_add_f64 v[152:153], v[152:153], v[154:155]
	s_waitcnt vmcnt(8) lgkmcnt(0)
	v_mul_f64 v[154:155], v[6:7], v[32:33]
	v_mul_f64 v[32:33], v[8:9], v[32:33]
	v_fma_f64 v[158:159], v[4:5], v[26:27], v[158:159]
	v_fma_f64 v[162:163], v[2:3], v[26:27], -v[28:29]
	ds_load_b128 v[2:5], v1 offset:832
	scratch_load_b128 v[26:29], off, off offset:432
	v_add_f64 v[150:151], v[150:151], v[160:161]
	v_add_f64 v[152:153], v[152:153], v[156:157]
	v_fma_f64 v[154:155], v[8:9], v[30:31], v[154:155]
	v_fma_f64 v[160:161], v[6:7], v[30:31], -v[32:33]
	ds_load_b128 v[6:9], v1 offset:848
	s_waitcnt vmcnt(8) lgkmcnt(1)
	v_mul_f64 v[156:157], v[2:3], v[40:41]
	v_mul_f64 v[40:41], v[4:5], v[40:41]
	scratch_load_b128 v[30:33], off, off offset:448
	v_add_f64 v[150:151], v[150:151], v[162:163]
	v_add_f64 v[152:153], v[152:153], v[158:159]
	s_waitcnt vmcnt(8) lgkmcnt(0)
	v_mul_f64 v[158:159], v[6:7], v[148:149]
	v_mul_f64 v[148:149], v[8:9], v[148:149]
	v_fma_f64 v[156:157], v[4:5], v[38:39], v[156:157]
	v_fma_f64 v[162:163], v[2:3], v[38:39], -v[40:41]
	scratch_load_b128 v[38:41], off, off offset:464
	ds_load_b128 v[2:5], v1 offset:864
	v_add_f64 v[150:151], v[150:151], v[160:161]
	v_add_f64 v[152:153], v[152:153], v[154:155]
	v_fma_f64 v[158:159], v[8:9], v[146:147], v[158:159]
	v_fma_f64 v[160:161], v[6:7], v[146:147], -v[148:149]
	ds_load_b128 v[6:9], v1 offset:880
	scratch_load_b128 v[146:149], off, off offset:480
	s_waitcnt vmcnt(9) lgkmcnt(1)
	v_mul_f64 v[154:155], v[2:3], v[36:37]
	v_mul_f64 v[36:37], v[4:5], v[36:37]
	v_add_f64 v[150:151], v[150:151], v[162:163]
	v_add_f64 v[152:153], v[152:153], v[156:157]
	s_waitcnt vmcnt(8) lgkmcnt(0)
	v_mul_f64 v[156:157], v[6:7], v[144:145]
	v_mul_f64 v[144:145], v[8:9], v[144:145]
	v_fma_f64 v[154:155], v[4:5], v[34:35], v[154:155]
	v_fma_f64 v[162:163], v[2:3], v[34:35], -v[36:37]
	scratch_load_b128 v[34:37], off, off offset:496
	ds_load_b128 v[2:5], v1 offset:896
	v_add_f64 v[150:151], v[150:151], v[160:161]
	v_add_f64 v[152:153], v[152:153], v[158:159]
	v_fma_f64 v[156:157], v[8:9], v[142:143], v[156:157]
	v_fma_f64 v[160:161], v[6:7], v[142:143], -v[144:145]
	ds_load_b128 v[6:9], v1 offset:912
	s_waitcnt vmcnt(8) lgkmcnt(1)
	v_mul_f64 v[158:159], v[2:3], v[12:13]
	v_mul_f64 v[12:13], v[4:5], v[12:13]
	scratch_load_b128 v[142:145], off, off offset:512
	v_add_f64 v[150:151], v[150:151], v[162:163]
	v_add_f64 v[152:153], v[152:153], v[154:155]
	s_waitcnt vmcnt(8) lgkmcnt(0)
	v_mul_f64 v[154:155], v[6:7], v[16:17]
	v_mul_f64 v[16:17], v[8:9], v[16:17]
	v_fma_f64 v[158:159], v[4:5], v[10:11], v[158:159]
	v_fma_f64 v[10:11], v[2:3], v[10:11], -v[12:13]
	ds_load_b128 v[2:5], v1 offset:928
	v_add_f64 v[12:13], v[150:151], v[160:161]
	v_add_f64 v[150:151], v[152:153], v[156:157]
	v_fma_f64 v[154:155], v[8:9], v[14:15], v[154:155]
	v_fma_f64 v[14:15], v[6:7], v[14:15], -v[16:17]
	ds_load_b128 v[6:9], v1 offset:944
	s_waitcnt vmcnt(7) lgkmcnt(1)
	v_mul_f64 v[152:153], v[2:3], v[20:21]
	v_mul_f64 v[20:21], v[4:5], v[20:21]
	v_add_f64 v[10:11], v[12:13], v[10:11]
	v_add_f64 v[12:13], v[150:151], v[158:159]
	s_delay_alu instid0(VALU_DEP_4) | instskip(NEXT) | instid1(VALU_DEP_4)
	v_fma_f64 v[150:151], v[4:5], v[18:19], v[152:153]
	v_fma_f64 v[18:19], v[2:3], v[18:19], -v[20:21]
	ds_load_b128 v[2:5], v1 offset:960
	v_add_f64 v[14:15], v[10:11], v[14:15]
	v_add_f64 v[20:21], v[12:13], v[154:155]
	scratch_load_b128 v[10:13], off, off offset:160
	s_waitcnt vmcnt(7) lgkmcnt(1)
	v_mul_f64 v[16:17], v[6:7], v[24:25]
	v_mul_f64 v[24:25], v[8:9], v[24:25]
	v_add_f64 v[14:15], v[14:15], v[18:19]
	v_add_f64 v[18:19], v[20:21], v[150:151]
	s_delay_alu instid0(VALU_DEP_4) | instskip(NEXT) | instid1(VALU_DEP_4)
	v_fma_f64 v[16:17], v[8:9], v[22:23], v[16:17]
	v_fma_f64 v[22:23], v[6:7], v[22:23], -v[24:25]
	ds_load_b128 v[6:9], v1 offset:976
	s_waitcnt vmcnt(6) lgkmcnt(1)
	v_mul_f64 v[152:153], v[2:3], v[28:29]
	v_mul_f64 v[28:29], v[4:5], v[28:29]
	s_waitcnt vmcnt(5) lgkmcnt(0)
	v_mul_f64 v[20:21], v[6:7], v[32:33]
	v_mul_f64 v[24:25], v[8:9], v[32:33]
	v_add_f64 v[16:17], v[18:19], v[16:17]
	v_add_f64 v[14:15], v[14:15], v[22:23]
	v_fma_f64 v[32:33], v[4:5], v[26:27], v[152:153]
	v_fma_f64 v[26:27], v[2:3], v[26:27], -v[28:29]
	ds_load_b128 v[2:5], v1 offset:992
	v_fma_f64 v[20:21], v[8:9], v[30:31], v[20:21]
	v_fma_f64 v[24:25], v[6:7], v[30:31], -v[24:25]
	ds_load_b128 v[6:9], v1 offset:1008
	s_waitcnt vmcnt(4) lgkmcnt(1)
	v_mul_f64 v[18:19], v[2:3], v[40:41]
	v_mul_f64 v[22:23], v[4:5], v[40:41]
	v_add_f64 v[16:17], v[16:17], v[32:33]
	v_add_f64 v[14:15], v[14:15], v[26:27]
	s_waitcnt vmcnt(3) lgkmcnt(0)
	v_mul_f64 v[26:27], v[6:7], v[148:149]
	v_mul_f64 v[28:29], v[8:9], v[148:149]
	v_fma_f64 v[18:19], v[4:5], v[38:39], v[18:19]
	v_fma_f64 v[22:23], v[2:3], v[38:39], -v[22:23]
	ds_load_b128 v[2:5], v1 offset:1024
	v_add_f64 v[16:17], v[16:17], v[20:21]
	v_add_f64 v[14:15], v[14:15], v[24:25]
	v_fma_f64 v[26:27], v[8:9], v[146:147], v[26:27]
	v_fma_f64 v[28:29], v[6:7], v[146:147], -v[28:29]
	ds_load_b128 v[6:9], v1 offset:1040
	s_waitcnt vmcnt(2) lgkmcnt(1)
	v_mul_f64 v[20:21], v[2:3], v[36:37]
	v_mul_f64 v[24:25], v[4:5], v[36:37]
	v_add_f64 v[16:17], v[16:17], v[18:19]
	v_add_f64 v[14:15], v[14:15], v[22:23]
	s_waitcnt vmcnt(1) lgkmcnt(0)
	v_mul_f64 v[18:19], v[6:7], v[144:145]
	v_mul_f64 v[22:23], v[8:9], v[144:145]
	v_fma_f64 v[4:5], v[4:5], v[34:35], v[20:21]
	v_fma_f64 v[1:2], v[2:3], v[34:35], -v[24:25]
	v_add_f64 v[16:17], v[16:17], v[26:27]
	v_add_f64 v[14:15], v[14:15], v[28:29]
	v_fma_f64 v[8:9], v[8:9], v[142:143], v[18:19]
	v_fma_f64 v[6:7], v[6:7], v[142:143], -v[22:23]
	s_delay_alu instid0(VALU_DEP_4) | instskip(NEXT) | instid1(VALU_DEP_4)
	v_add_f64 v[3:4], v[16:17], v[4:5]
	v_add_f64 v[1:2], v[14:15], v[1:2]
	s_delay_alu instid0(VALU_DEP_2) | instskip(NEXT) | instid1(VALU_DEP_2)
	v_add_f64 v[3:4], v[3:4], v[8:9]
	v_add_f64 v[1:2], v[1:2], v[6:7]
	s_waitcnt vmcnt(0)
	s_delay_alu instid0(VALU_DEP_2) | instskip(NEXT) | instid1(VALU_DEP_2)
	v_add_f64 v[3:4], v[12:13], -v[3:4]
	v_add_f64 v[1:2], v[10:11], -v[1:2]
	scratch_store_b128 off, v[1:4], off offset:160
	v_cmpx_lt_u32_e32 9, v108
	s_cbranch_execz .LBB96_193
; %bb.192:
	scratch_load_b128 v[1:4], v137, off
	v_mov_b32_e32 v5, 0
	s_delay_alu instid0(VALU_DEP_1)
	v_mov_b32_e32 v6, v5
	v_mov_b32_e32 v7, v5
	;; [unrolled: 1-line block ×3, first 2 shown]
	scratch_store_b128 off, v[5:8], off offset:144
	s_waitcnt vmcnt(0)
	ds_store_b128 v141, v[1:4]
.LBB96_193:
	s_or_b32 exec_lo, exec_lo, s2
	s_waitcnt lgkmcnt(0)
	s_waitcnt_vscnt null, 0x0
	s_barrier
	buffer_gl0_inv
	s_clause 0x7
	scratch_load_b128 v[2:5], off, off offset:160
	scratch_load_b128 v[6:9], off, off offset:176
	scratch_load_b128 v[10:13], off, off offset:192
	scratch_load_b128 v[14:17], off, off offset:208
	scratch_load_b128 v[18:21], off, off offset:224
	scratch_load_b128 v[22:25], off, off offset:240
	scratch_load_b128 v[26:29], off, off offset:256
	scratch_load_b128 v[30:33], off, off offset:272
	v_mov_b32_e32 v1, 0
	s_clause 0x1
	scratch_load_b128 v[38:41], off, off offset:288
	scratch_load_b128 v[146:149], off, off offset:304
	s_mov_b32 s2, exec_lo
	ds_load_b128 v[34:37], v1 offset:688
	ds_load_b128 v[142:145], v1 offset:704
	s_waitcnt vmcnt(9) lgkmcnt(1)
	v_mul_f64 v[150:151], v[36:37], v[4:5]
	v_mul_f64 v[4:5], v[34:35], v[4:5]
	s_waitcnt vmcnt(8) lgkmcnt(0)
	v_mul_f64 v[152:153], v[142:143], v[8:9]
	v_mul_f64 v[8:9], v[144:145], v[8:9]
	s_delay_alu instid0(VALU_DEP_4) | instskip(NEXT) | instid1(VALU_DEP_4)
	v_fma_f64 v[150:151], v[34:35], v[2:3], -v[150:151]
	v_fma_f64 v[154:155], v[36:37], v[2:3], v[4:5]
	ds_load_b128 v[2:5], v1 offset:720
	scratch_load_b128 v[34:37], off, off offset:320
	v_fma_f64 v[152:153], v[144:145], v[6:7], v[152:153]
	v_fma_f64 v[158:159], v[142:143], v[6:7], -v[8:9]
	scratch_load_b128 v[142:145], off, off offset:336
	ds_load_b128 v[6:9], v1 offset:736
	s_waitcnt vmcnt(9) lgkmcnt(1)
	v_mul_f64 v[156:157], v[2:3], v[12:13]
	v_mul_f64 v[12:13], v[4:5], v[12:13]
	s_waitcnt vmcnt(8) lgkmcnt(0)
	v_mul_f64 v[160:161], v[6:7], v[16:17]
	v_mul_f64 v[16:17], v[8:9], v[16:17]
	v_add_f64 v[150:151], v[150:151], 0
	v_add_f64 v[154:155], v[154:155], 0
	v_fma_f64 v[156:157], v[4:5], v[10:11], v[156:157]
	v_fma_f64 v[162:163], v[2:3], v[10:11], -v[12:13]
	ds_load_b128 v[2:5], v1 offset:752
	scratch_load_b128 v[10:13], off, off offset:352
	v_add_f64 v[150:151], v[150:151], v[158:159]
	v_add_f64 v[152:153], v[154:155], v[152:153]
	v_fma_f64 v[158:159], v[8:9], v[14:15], v[160:161]
	v_fma_f64 v[160:161], v[6:7], v[14:15], -v[16:17]
	scratch_load_b128 v[14:17], off, off offset:368
	ds_load_b128 v[6:9], v1 offset:768
	s_waitcnt vmcnt(9) lgkmcnt(1)
	v_mul_f64 v[154:155], v[2:3], v[20:21]
	v_mul_f64 v[20:21], v[4:5], v[20:21]
	v_add_f64 v[150:151], v[150:151], v[162:163]
	v_add_f64 v[152:153], v[152:153], v[156:157]
	s_waitcnt vmcnt(8) lgkmcnt(0)
	v_mul_f64 v[156:157], v[6:7], v[24:25]
	v_mul_f64 v[24:25], v[8:9], v[24:25]
	v_fma_f64 v[154:155], v[4:5], v[18:19], v[154:155]
	v_fma_f64 v[162:163], v[2:3], v[18:19], -v[20:21]
	ds_load_b128 v[2:5], v1 offset:784
	scratch_load_b128 v[18:21], off, off offset:384
	v_add_f64 v[150:151], v[150:151], v[160:161]
	v_add_f64 v[152:153], v[152:153], v[158:159]
	v_fma_f64 v[156:157], v[8:9], v[22:23], v[156:157]
	v_fma_f64 v[160:161], v[6:7], v[22:23], -v[24:25]
	scratch_load_b128 v[22:25], off, off offset:400
	ds_load_b128 v[6:9], v1 offset:800
	s_waitcnt vmcnt(9) lgkmcnt(1)
	v_mul_f64 v[158:159], v[2:3], v[28:29]
	v_mul_f64 v[28:29], v[4:5], v[28:29]
	v_add_f64 v[150:151], v[150:151], v[162:163]
	v_add_f64 v[152:153], v[152:153], v[154:155]
	s_waitcnt vmcnt(8) lgkmcnt(0)
	v_mul_f64 v[154:155], v[6:7], v[32:33]
	v_mul_f64 v[32:33], v[8:9], v[32:33]
	v_fma_f64 v[158:159], v[4:5], v[26:27], v[158:159]
	v_fma_f64 v[162:163], v[2:3], v[26:27], -v[28:29]
	ds_load_b128 v[2:5], v1 offset:816
	scratch_load_b128 v[26:29], off, off offset:416
	v_add_f64 v[150:151], v[150:151], v[160:161]
	v_add_f64 v[152:153], v[152:153], v[156:157]
	v_fma_f64 v[154:155], v[8:9], v[30:31], v[154:155]
	v_fma_f64 v[160:161], v[6:7], v[30:31], -v[32:33]
	ds_load_b128 v[6:9], v1 offset:832
	s_waitcnt vmcnt(8) lgkmcnt(1)
	v_mul_f64 v[156:157], v[2:3], v[40:41]
	v_mul_f64 v[40:41], v[4:5], v[40:41]
	scratch_load_b128 v[30:33], off, off offset:432
	v_add_f64 v[150:151], v[150:151], v[162:163]
	v_add_f64 v[152:153], v[152:153], v[158:159]
	s_waitcnt vmcnt(8) lgkmcnt(0)
	v_mul_f64 v[158:159], v[6:7], v[148:149]
	v_mul_f64 v[148:149], v[8:9], v[148:149]
	v_fma_f64 v[156:157], v[4:5], v[38:39], v[156:157]
	v_fma_f64 v[162:163], v[2:3], v[38:39], -v[40:41]
	scratch_load_b128 v[38:41], off, off offset:448
	ds_load_b128 v[2:5], v1 offset:848
	v_add_f64 v[150:151], v[150:151], v[160:161]
	v_add_f64 v[152:153], v[152:153], v[154:155]
	v_fma_f64 v[158:159], v[8:9], v[146:147], v[158:159]
	v_fma_f64 v[160:161], v[6:7], v[146:147], -v[148:149]
	ds_load_b128 v[6:9], v1 offset:864
	scratch_load_b128 v[146:149], off, off offset:464
	s_waitcnt vmcnt(9) lgkmcnt(1)
	v_mul_f64 v[154:155], v[2:3], v[36:37]
	v_mul_f64 v[36:37], v[4:5], v[36:37]
	v_add_f64 v[150:151], v[150:151], v[162:163]
	v_add_f64 v[152:153], v[152:153], v[156:157]
	s_waitcnt vmcnt(8) lgkmcnt(0)
	v_mul_f64 v[156:157], v[6:7], v[144:145]
	v_mul_f64 v[144:145], v[8:9], v[144:145]
	v_fma_f64 v[154:155], v[4:5], v[34:35], v[154:155]
	v_fma_f64 v[162:163], v[2:3], v[34:35], -v[36:37]
	scratch_load_b128 v[34:37], off, off offset:480
	ds_load_b128 v[2:5], v1 offset:880
	v_add_f64 v[150:151], v[150:151], v[160:161]
	v_add_f64 v[152:153], v[152:153], v[158:159]
	v_fma_f64 v[156:157], v[8:9], v[142:143], v[156:157]
	v_fma_f64 v[160:161], v[6:7], v[142:143], -v[144:145]
	ds_load_b128 v[6:9], v1 offset:896
	s_waitcnt vmcnt(8) lgkmcnt(1)
	v_mul_f64 v[158:159], v[2:3], v[12:13]
	v_mul_f64 v[12:13], v[4:5], v[12:13]
	scratch_load_b128 v[142:145], off, off offset:496
	v_add_f64 v[150:151], v[150:151], v[162:163]
	v_add_f64 v[152:153], v[152:153], v[154:155]
	s_waitcnt vmcnt(8) lgkmcnt(0)
	v_mul_f64 v[154:155], v[6:7], v[16:17]
	v_mul_f64 v[16:17], v[8:9], v[16:17]
	v_fma_f64 v[158:159], v[4:5], v[10:11], v[158:159]
	v_fma_f64 v[162:163], v[2:3], v[10:11], -v[12:13]
	scratch_load_b128 v[10:13], off, off offset:512
	ds_load_b128 v[2:5], v1 offset:912
	v_add_f64 v[150:151], v[150:151], v[160:161]
	v_add_f64 v[152:153], v[152:153], v[156:157]
	v_fma_f64 v[154:155], v[8:9], v[14:15], v[154:155]
	v_fma_f64 v[14:15], v[6:7], v[14:15], -v[16:17]
	ds_load_b128 v[6:9], v1 offset:928
	s_waitcnt vmcnt(8) lgkmcnt(1)
	v_mul_f64 v[156:157], v[2:3], v[20:21]
	v_mul_f64 v[20:21], v[4:5], v[20:21]
	v_add_f64 v[16:17], v[150:151], v[162:163]
	v_add_f64 v[150:151], v[152:153], v[158:159]
	s_waitcnt vmcnt(7) lgkmcnt(0)
	v_mul_f64 v[152:153], v[6:7], v[24:25]
	v_mul_f64 v[24:25], v[8:9], v[24:25]
	v_fma_f64 v[156:157], v[4:5], v[18:19], v[156:157]
	v_fma_f64 v[18:19], v[2:3], v[18:19], -v[20:21]
	ds_load_b128 v[2:5], v1 offset:944
	v_add_f64 v[14:15], v[16:17], v[14:15]
	v_add_f64 v[16:17], v[150:151], v[154:155]
	v_fma_f64 v[150:151], v[8:9], v[22:23], v[152:153]
	v_fma_f64 v[22:23], v[6:7], v[22:23], -v[24:25]
	ds_load_b128 v[6:9], v1 offset:960
	s_waitcnt vmcnt(5) lgkmcnt(0)
	v_mul_f64 v[152:153], v[6:7], v[32:33]
	v_mul_f64 v[32:33], v[8:9], v[32:33]
	v_add_f64 v[18:19], v[14:15], v[18:19]
	v_add_f64 v[24:25], v[16:17], v[156:157]
	scratch_load_b128 v[14:17], off, off offset:144
	v_mul_f64 v[20:21], v[2:3], v[28:29]
	v_mul_f64 v[28:29], v[4:5], v[28:29]
	v_add_f64 v[18:19], v[18:19], v[22:23]
	v_add_f64 v[22:23], v[24:25], v[150:151]
	s_delay_alu instid0(VALU_DEP_4) | instskip(NEXT) | instid1(VALU_DEP_4)
	v_fma_f64 v[20:21], v[4:5], v[26:27], v[20:21]
	v_fma_f64 v[26:27], v[2:3], v[26:27], -v[28:29]
	ds_load_b128 v[2:5], v1 offset:976
	s_waitcnt vmcnt(5) lgkmcnt(0)
	v_mul_f64 v[24:25], v[2:3], v[40:41]
	v_mul_f64 v[28:29], v[4:5], v[40:41]
	v_fma_f64 v[40:41], v[8:9], v[30:31], v[152:153]
	v_fma_f64 v[30:31], v[6:7], v[30:31], -v[32:33]
	ds_load_b128 v[6:9], v1 offset:992
	v_add_f64 v[20:21], v[22:23], v[20:21]
	v_add_f64 v[18:19], v[18:19], v[26:27]
	v_fma_f64 v[24:25], v[4:5], v[38:39], v[24:25]
	v_fma_f64 v[28:29], v[2:3], v[38:39], -v[28:29]
	ds_load_b128 v[2:5], v1 offset:1008
	s_waitcnt vmcnt(4) lgkmcnt(1)
	v_mul_f64 v[22:23], v[6:7], v[148:149]
	v_mul_f64 v[26:27], v[8:9], v[148:149]
	v_add_f64 v[20:21], v[20:21], v[40:41]
	v_add_f64 v[18:19], v[18:19], v[30:31]
	s_waitcnt vmcnt(3) lgkmcnt(0)
	v_mul_f64 v[30:31], v[2:3], v[36:37]
	v_mul_f64 v[32:33], v[4:5], v[36:37]
	v_fma_f64 v[22:23], v[8:9], v[146:147], v[22:23]
	v_fma_f64 v[26:27], v[6:7], v[146:147], -v[26:27]
	ds_load_b128 v[6:9], v1 offset:1024
	v_add_f64 v[20:21], v[20:21], v[24:25]
	v_add_f64 v[18:19], v[18:19], v[28:29]
	v_fma_f64 v[30:31], v[4:5], v[34:35], v[30:31]
	v_fma_f64 v[32:33], v[2:3], v[34:35], -v[32:33]
	ds_load_b128 v[2:5], v1 offset:1040
	s_waitcnt vmcnt(2) lgkmcnt(1)
	v_mul_f64 v[24:25], v[6:7], v[144:145]
	v_mul_f64 v[28:29], v[8:9], v[144:145]
	v_add_f64 v[20:21], v[20:21], v[22:23]
	v_add_f64 v[18:19], v[18:19], v[26:27]
	s_waitcnt vmcnt(1) lgkmcnt(0)
	v_mul_f64 v[22:23], v[2:3], v[12:13]
	v_mul_f64 v[12:13], v[4:5], v[12:13]
	v_fma_f64 v[8:9], v[8:9], v[142:143], v[24:25]
	v_fma_f64 v[6:7], v[6:7], v[142:143], -v[28:29]
	v_add_f64 v[20:21], v[20:21], v[30:31]
	v_add_f64 v[18:19], v[18:19], v[32:33]
	v_fma_f64 v[4:5], v[4:5], v[10:11], v[22:23]
	v_fma_f64 v[2:3], v[2:3], v[10:11], -v[12:13]
	s_delay_alu instid0(VALU_DEP_4) | instskip(NEXT) | instid1(VALU_DEP_4)
	v_add_f64 v[8:9], v[20:21], v[8:9]
	v_add_f64 v[6:7], v[18:19], v[6:7]
	s_delay_alu instid0(VALU_DEP_2) | instskip(NEXT) | instid1(VALU_DEP_2)
	v_add_f64 v[4:5], v[8:9], v[4:5]
	v_add_f64 v[2:3], v[6:7], v[2:3]
	s_waitcnt vmcnt(0)
	s_delay_alu instid0(VALU_DEP_2) | instskip(NEXT) | instid1(VALU_DEP_2)
	v_add_f64 v[4:5], v[16:17], -v[4:5]
	v_add_f64 v[2:3], v[14:15], -v[2:3]
	scratch_store_b128 off, v[2:5], off offset:144
	v_cmpx_lt_u32_e32 8, v108
	s_cbranch_execz .LBB96_195
; %bb.194:
	scratch_load_b128 v[5:8], v136, off
	v_mov_b32_e32 v2, v1
	v_mov_b32_e32 v3, v1
	v_mov_b32_e32 v4, v1
	scratch_store_b128 off, v[1:4], off offset:128
	s_waitcnt vmcnt(0)
	ds_store_b128 v141, v[5:8]
.LBB96_195:
	s_or_b32 exec_lo, exec_lo, s2
	s_waitcnt lgkmcnt(0)
	s_waitcnt_vscnt null, 0x0
	s_barrier
	buffer_gl0_inv
	s_clause 0x7
	scratch_load_b128 v[2:5], off, off offset:144
	scratch_load_b128 v[6:9], off, off offset:160
	;; [unrolled: 1-line block ×8, first 2 shown]
	ds_load_b128 v[34:37], v1 offset:672
	ds_load_b128 v[142:145], v1 offset:688
	s_clause 0x1
	scratch_load_b128 v[38:41], off, off offset:272
	scratch_load_b128 v[146:149], off, off offset:288
	s_mov_b32 s2, exec_lo
	s_waitcnt vmcnt(9) lgkmcnt(1)
	v_mul_f64 v[150:151], v[36:37], v[4:5]
	v_mul_f64 v[4:5], v[34:35], v[4:5]
	s_waitcnt vmcnt(8) lgkmcnt(0)
	v_mul_f64 v[152:153], v[142:143], v[8:9]
	v_mul_f64 v[8:9], v[144:145], v[8:9]
	s_delay_alu instid0(VALU_DEP_4) | instskip(NEXT) | instid1(VALU_DEP_4)
	v_fma_f64 v[150:151], v[34:35], v[2:3], -v[150:151]
	v_fma_f64 v[154:155], v[36:37], v[2:3], v[4:5]
	ds_load_b128 v[2:5], v1 offset:704
	scratch_load_b128 v[34:37], off, off offset:304
	v_fma_f64 v[152:153], v[144:145], v[6:7], v[152:153]
	v_fma_f64 v[158:159], v[142:143], v[6:7], -v[8:9]
	scratch_load_b128 v[142:145], off, off offset:320
	ds_load_b128 v[6:9], v1 offset:720
	s_waitcnt vmcnt(9) lgkmcnt(1)
	v_mul_f64 v[156:157], v[2:3], v[12:13]
	v_mul_f64 v[12:13], v[4:5], v[12:13]
	s_waitcnt vmcnt(8) lgkmcnt(0)
	v_mul_f64 v[160:161], v[6:7], v[16:17]
	v_mul_f64 v[16:17], v[8:9], v[16:17]
	v_add_f64 v[150:151], v[150:151], 0
	v_add_f64 v[154:155], v[154:155], 0
	v_fma_f64 v[156:157], v[4:5], v[10:11], v[156:157]
	v_fma_f64 v[162:163], v[2:3], v[10:11], -v[12:13]
	ds_load_b128 v[2:5], v1 offset:736
	scratch_load_b128 v[10:13], off, off offset:336
	v_add_f64 v[150:151], v[150:151], v[158:159]
	v_add_f64 v[152:153], v[154:155], v[152:153]
	v_fma_f64 v[158:159], v[8:9], v[14:15], v[160:161]
	v_fma_f64 v[160:161], v[6:7], v[14:15], -v[16:17]
	scratch_load_b128 v[14:17], off, off offset:352
	ds_load_b128 v[6:9], v1 offset:752
	s_waitcnt vmcnt(9) lgkmcnt(1)
	v_mul_f64 v[154:155], v[2:3], v[20:21]
	v_mul_f64 v[20:21], v[4:5], v[20:21]
	v_add_f64 v[150:151], v[150:151], v[162:163]
	v_add_f64 v[152:153], v[152:153], v[156:157]
	s_waitcnt vmcnt(8) lgkmcnt(0)
	v_mul_f64 v[156:157], v[6:7], v[24:25]
	v_mul_f64 v[24:25], v[8:9], v[24:25]
	v_fma_f64 v[154:155], v[4:5], v[18:19], v[154:155]
	v_fma_f64 v[162:163], v[2:3], v[18:19], -v[20:21]
	ds_load_b128 v[2:5], v1 offset:768
	scratch_load_b128 v[18:21], off, off offset:368
	v_add_f64 v[150:151], v[150:151], v[160:161]
	v_add_f64 v[152:153], v[152:153], v[158:159]
	v_fma_f64 v[156:157], v[8:9], v[22:23], v[156:157]
	v_fma_f64 v[160:161], v[6:7], v[22:23], -v[24:25]
	scratch_load_b128 v[22:25], off, off offset:384
	ds_load_b128 v[6:9], v1 offset:784
	s_waitcnt vmcnt(9) lgkmcnt(1)
	v_mul_f64 v[158:159], v[2:3], v[28:29]
	v_mul_f64 v[28:29], v[4:5], v[28:29]
	v_add_f64 v[150:151], v[150:151], v[162:163]
	v_add_f64 v[152:153], v[152:153], v[154:155]
	s_waitcnt vmcnt(8) lgkmcnt(0)
	v_mul_f64 v[154:155], v[6:7], v[32:33]
	v_mul_f64 v[32:33], v[8:9], v[32:33]
	v_fma_f64 v[158:159], v[4:5], v[26:27], v[158:159]
	v_fma_f64 v[162:163], v[2:3], v[26:27], -v[28:29]
	ds_load_b128 v[2:5], v1 offset:800
	scratch_load_b128 v[26:29], off, off offset:400
	v_add_f64 v[150:151], v[150:151], v[160:161]
	v_add_f64 v[152:153], v[152:153], v[156:157]
	v_fma_f64 v[154:155], v[8:9], v[30:31], v[154:155]
	v_fma_f64 v[160:161], v[6:7], v[30:31], -v[32:33]
	ds_load_b128 v[6:9], v1 offset:816
	s_waitcnt vmcnt(8) lgkmcnt(1)
	v_mul_f64 v[156:157], v[2:3], v[40:41]
	v_mul_f64 v[40:41], v[4:5], v[40:41]
	scratch_load_b128 v[30:33], off, off offset:416
	v_add_f64 v[150:151], v[150:151], v[162:163]
	v_add_f64 v[152:153], v[152:153], v[158:159]
	s_waitcnt vmcnt(8) lgkmcnt(0)
	v_mul_f64 v[158:159], v[6:7], v[148:149]
	v_mul_f64 v[148:149], v[8:9], v[148:149]
	v_fma_f64 v[156:157], v[4:5], v[38:39], v[156:157]
	v_fma_f64 v[162:163], v[2:3], v[38:39], -v[40:41]
	ds_load_b128 v[2:5], v1 offset:832
	scratch_load_b128 v[38:41], off, off offset:432
	v_add_f64 v[150:151], v[150:151], v[160:161]
	v_add_f64 v[152:153], v[152:153], v[154:155]
	v_fma_f64 v[158:159], v[8:9], v[146:147], v[158:159]
	v_fma_f64 v[160:161], v[6:7], v[146:147], -v[148:149]
	ds_load_b128 v[6:9], v1 offset:848
	scratch_load_b128 v[146:149], off, off offset:448
	s_waitcnt vmcnt(9) lgkmcnt(1)
	v_mul_f64 v[154:155], v[2:3], v[36:37]
	v_mul_f64 v[36:37], v[4:5], v[36:37]
	v_add_f64 v[150:151], v[150:151], v[162:163]
	v_add_f64 v[152:153], v[152:153], v[156:157]
	s_waitcnt vmcnt(8) lgkmcnt(0)
	v_mul_f64 v[156:157], v[6:7], v[144:145]
	v_mul_f64 v[144:145], v[8:9], v[144:145]
	v_fma_f64 v[154:155], v[4:5], v[34:35], v[154:155]
	v_fma_f64 v[162:163], v[2:3], v[34:35], -v[36:37]
	scratch_load_b128 v[34:37], off, off offset:464
	ds_load_b128 v[2:5], v1 offset:864
	v_add_f64 v[150:151], v[150:151], v[160:161]
	v_add_f64 v[152:153], v[152:153], v[158:159]
	v_fma_f64 v[156:157], v[8:9], v[142:143], v[156:157]
	v_fma_f64 v[160:161], v[6:7], v[142:143], -v[144:145]
	ds_load_b128 v[6:9], v1 offset:880
	s_waitcnt vmcnt(8) lgkmcnt(1)
	v_mul_f64 v[158:159], v[2:3], v[12:13]
	v_mul_f64 v[12:13], v[4:5], v[12:13]
	scratch_load_b128 v[142:145], off, off offset:480
	v_add_f64 v[150:151], v[150:151], v[162:163]
	v_add_f64 v[152:153], v[152:153], v[154:155]
	s_waitcnt vmcnt(8) lgkmcnt(0)
	v_mul_f64 v[154:155], v[6:7], v[16:17]
	v_mul_f64 v[16:17], v[8:9], v[16:17]
	v_fma_f64 v[158:159], v[4:5], v[10:11], v[158:159]
	v_fma_f64 v[162:163], v[2:3], v[10:11], -v[12:13]
	scratch_load_b128 v[10:13], off, off offset:496
	ds_load_b128 v[2:5], v1 offset:896
	v_add_f64 v[150:151], v[150:151], v[160:161]
	v_add_f64 v[152:153], v[152:153], v[156:157]
	v_fma_f64 v[154:155], v[8:9], v[14:15], v[154:155]
	v_fma_f64 v[160:161], v[6:7], v[14:15], -v[16:17]
	ds_load_b128 v[6:9], v1 offset:912
	s_waitcnt vmcnt(8) lgkmcnt(1)
	v_mul_f64 v[156:157], v[2:3], v[20:21]
	v_mul_f64 v[20:21], v[4:5], v[20:21]
	scratch_load_b128 v[14:17], off, off offset:512
	v_add_f64 v[150:151], v[150:151], v[162:163]
	v_add_f64 v[152:153], v[152:153], v[158:159]
	s_waitcnt vmcnt(8) lgkmcnt(0)
	v_mul_f64 v[158:159], v[6:7], v[24:25]
	v_mul_f64 v[24:25], v[8:9], v[24:25]
	v_fma_f64 v[156:157], v[4:5], v[18:19], v[156:157]
	v_fma_f64 v[18:19], v[2:3], v[18:19], -v[20:21]
	ds_load_b128 v[2:5], v1 offset:928
	v_add_f64 v[20:21], v[150:151], v[160:161]
	v_add_f64 v[150:151], v[152:153], v[154:155]
	v_fma_f64 v[154:155], v[8:9], v[22:23], v[158:159]
	v_fma_f64 v[22:23], v[6:7], v[22:23], -v[24:25]
	ds_load_b128 v[6:9], v1 offset:944
	s_waitcnt vmcnt(7) lgkmcnt(1)
	v_mul_f64 v[152:153], v[2:3], v[28:29]
	v_mul_f64 v[28:29], v[4:5], v[28:29]
	v_add_f64 v[18:19], v[20:21], v[18:19]
	v_add_f64 v[20:21], v[150:151], v[156:157]
	s_delay_alu instid0(VALU_DEP_4) | instskip(NEXT) | instid1(VALU_DEP_4)
	v_fma_f64 v[150:151], v[4:5], v[26:27], v[152:153]
	v_fma_f64 v[26:27], v[2:3], v[26:27], -v[28:29]
	ds_load_b128 v[2:5], v1 offset:960
	v_add_f64 v[22:23], v[18:19], v[22:23]
	v_add_f64 v[28:29], v[20:21], v[154:155]
	scratch_load_b128 v[18:21], off, off offset:128
	s_waitcnt vmcnt(7) lgkmcnt(1)
	v_mul_f64 v[24:25], v[6:7], v[32:33]
	v_mul_f64 v[32:33], v[8:9], v[32:33]
	v_add_f64 v[22:23], v[22:23], v[26:27]
	v_add_f64 v[26:27], v[28:29], v[150:151]
	s_delay_alu instid0(VALU_DEP_4) | instskip(NEXT) | instid1(VALU_DEP_4)
	v_fma_f64 v[24:25], v[8:9], v[30:31], v[24:25]
	v_fma_f64 v[30:31], v[6:7], v[30:31], -v[32:33]
	ds_load_b128 v[6:9], v1 offset:976
	s_waitcnt vmcnt(6) lgkmcnt(1)
	v_mul_f64 v[152:153], v[2:3], v[40:41]
	v_mul_f64 v[40:41], v[4:5], v[40:41]
	s_waitcnt vmcnt(5) lgkmcnt(0)
	v_mul_f64 v[28:29], v[6:7], v[148:149]
	v_mul_f64 v[32:33], v[8:9], v[148:149]
	v_add_f64 v[24:25], v[26:27], v[24:25]
	v_add_f64 v[22:23], v[22:23], v[30:31]
	v_fma_f64 v[148:149], v[4:5], v[38:39], v[152:153]
	v_fma_f64 v[38:39], v[2:3], v[38:39], -v[40:41]
	ds_load_b128 v[2:5], v1 offset:992
	v_fma_f64 v[28:29], v[8:9], v[146:147], v[28:29]
	v_fma_f64 v[32:33], v[6:7], v[146:147], -v[32:33]
	ds_load_b128 v[6:9], v1 offset:1008
	s_waitcnt vmcnt(4) lgkmcnt(1)
	v_mul_f64 v[26:27], v[2:3], v[36:37]
	v_mul_f64 v[30:31], v[4:5], v[36:37]
	v_add_f64 v[24:25], v[24:25], v[148:149]
	v_add_f64 v[22:23], v[22:23], v[38:39]
	s_waitcnt vmcnt(3) lgkmcnt(0)
	v_mul_f64 v[36:37], v[6:7], v[144:145]
	v_mul_f64 v[38:39], v[8:9], v[144:145]
	v_fma_f64 v[26:27], v[4:5], v[34:35], v[26:27]
	v_fma_f64 v[30:31], v[2:3], v[34:35], -v[30:31]
	ds_load_b128 v[2:5], v1 offset:1024
	v_add_f64 v[24:25], v[24:25], v[28:29]
	v_add_f64 v[22:23], v[22:23], v[32:33]
	v_fma_f64 v[32:33], v[8:9], v[142:143], v[36:37]
	v_fma_f64 v[34:35], v[6:7], v[142:143], -v[38:39]
	ds_load_b128 v[6:9], v1 offset:1040
	s_waitcnt vmcnt(2) lgkmcnt(1)
	v_mul_f64 v[28:29], v[2:3], v[12:13]
	v_mul_f64 v[12:13], v[4:5], v[12:13]
	v_add_f64 v[24:25], v[24:25], v[26:27]
	v_add_f64 v[22:23], v[22:23], v[30:31]
	s_waitcnt vmcnt(1) lgkmcnt(0)
	v_mul_f64 v[26:27], v[6:7], v[16:17]
	v_mul_f64 v[16:17], v[8:9], v[16:17]
	v_fma_f64 v[4:5], v[4:5], v[10:11], v[28:29]
	v_fma_f64 v[1:2], v[2:3], v[10:11], -v[12:13]
	v_add_f64 v[12:13], v[24:25], v[32:33]
	v_add_f64 v[10:11], v[22:23], v[34:35]
	v_fma_f64 v[8:9], v[8:9], v[14:15], v[26:27]
	v_fma_f64 v[6:7], v[6:7], v[14:15], -v[16:17]
	s_delay_alu instid0(VALU_DEP_4) | instskip(NEXT) | instid1(VALU_DEP_4)
	v_add_f64 v[3:4], v[12:13], v[4:5]
	v_add_f64 v[1:2], v[10:11], v[1:2]
	s_delay_alu instid0(VALU_DEP_2) | instskip(NEXT) | instid1(VALU_DEP_2)
	v_add_f64 v[3:4], v[3:4], v[8:9]
	v_add_f64 v[1:2], v[1:2], v[6:7]
	s_waitcnt vmcnt(0)
	s_delay_alu instid0(VALU_DEP_2) | instskip(NEXT) | instid1(VALU_DEP_2)
	v_add_f64 v[3:4], v[20:21], -v[3:4]
	v_add_f64 v[1:2], v[18:19], -v[1:2]
	scratch_store_b128 off, v[1:4], off offset:128
	v_cmpx_lt_u32_e32 7, v108
	s_cbranch_execz .LBB96_197
; %bb.196:
	scratch_load_b128 v[1:4], v138, off
	v_mov_b32_e32 v5, 0
	s_delay_alu instid0(VALU_DEP_1)
	v_mov_b32_e32 v6, v5
	v_mov_b32_e32 v7, v5
	;; [unrolled: 1-line block ×3, first 2 shown]
	scratch_store_b128 off, v[5:8], off offset:112
	s_waitcnt vmcnt(0)
	ds_store_b128 v141, v[1:4]
.LBB96_197:
	s_or_b32 exec_lo, exec_lo, s2
	s_waitcnt lgkmcnt(0)
	s_waitcnt_vscnt null, 0x0
	s_barrier
	buffer_gl0_inv
	s_clause 0x7
	scratch_load_b128 v[2:5], off, off offset:128
	scratch_load_b128 v[6:9], off, off offset:144
	;; [unrolled: 1-line block ×8, first 2 shown]
	v_mov_b32_e32 v1, 0
	s_clause 0x1
	scratch_load_b128 v[38:41], off, off offset:256
	scratch_load_b128 v[146:149], off, off offset:272
	s_mov_b32 s2, exec_lo
	ds_load_b128 v[34:37], v1 offset:656
	ds_load_b128 v[142:145], v1 offset:672
	s_waitcnt vmcnt(9) lgkmcnt(1)
	v_mul_f64 v[150:151], v[36:37], v[4:5]
	v_mul_f64 v[4:5], v[34:35], v[4:5]
	s_waitcnt vmcnt(8) lgkmcnt(0)
	v_mul_f64 v[152:153], v[142:143], v[8:9]
	v_mul_f64 v[8:9], v[144:145], v[8:9]
	s_delay_alu instid0(VALU_DEP_4) | instskip(NEXT) | instid1(VALU_DEP_4)
	v_fma_f64 v[150:151], v[34:35], v[2:3], -v[150:151]
	v_fma_f64 v[154:155], v[36:37], v[2:3], v[4:5]
	ds_load_b128 v[2:5], v1 offset:688
	scratch_load_b128 v[34:37], off, off offset:288
	v_fma_f64 v[152:153], v[144:145], v[6:7], v[152:153]
	v_fma_f64 v[158:159], v[142:143], v[6:7], -v[8:9]
	scratch_load_b128 v[142:145], off, off offset:304
	ds_load_b128 v[6:9], v1 offset:704
	s_waitcnt vmcnt(9) lgkmcnt(1)
	v_mul_f64 v[156:157], v[2:3], v[12:13]
	v_mul_f64 v[12:13], v[4:5], v[12:13]
	s_waitcnt vmcnt(8) lgkmcnt(0)
	v_mul_f64 v[160:161], v[6:7], v[16:17]
	v_mul_f64 v[16:17], v[8:9], v[16:17]
	v_add_f64 v[150:151], v[150:151], 0
	v_add_f64 v[154:155], v[154:155], 0
	v_fma_f64 v[156:157], v[4:5], v[10:11], v[156:157]
	v_fma_f64 v[162:163], v[2:3], v[10:11], -v[12:13]
	ds_load_b128 v[2:5], v1 offset:720
	scratch_load_b128 v[10:13], off, off offset:320
	v_add_f64 v[150:151], v[150:151], v[158:159]
	v_add_f64 v[152:153], v[154:155], v[152:153]
	v_fma_f64 v[158:159], v[8:9], v[14:15], v[160:161]
	v_fma_f64 v[160:161], v[6:7], v[14:15], -v[16:17]
	scratch_load_b128 v[14:17], off, off offset:336
	ds_load_b128 v[6:9], v1 offset:736
	s_waitcnt vmcnt(9) lgkmcnt(1)
	v_mul_f64 v[154:155], v[2:3], v[20:21]
	v_mul_f64 v[20:21], v[4:5], v[20:21]
	v_add_f64 v[150:151], v[150:151], v[162:163]
	v_add_f64 v[152:153], v[152:153], v[156:157]
	s_waitcnt vmcnt(8) lgkmcnt(0)
	v_mul_f64 v[156:157], v[6:7], v[24:25]
	v_mul_f64 v[24:25], v[8:9], v[24:25]
	v_fma_f64 v[154:155], v[4:5], v[18:19], v[154:155]
	v_fma_f64 v[162:163], v[2:3], v[18:19], -v[20:21]
	ds_load_b128 v[2:5], v1 offset:752
	scratch_load_b128 v[18:21], off, off offset:352
	v_add_f64 v[150:151], v[150:151], v[160:161]
	v_add_f64 v[152:153], v[152:153], v[158:159]
	v_fma_f64 v[156:157], v[8:9], v[22:23], v[156:157]
	v_fma_f64 v[160:161], v[6:7], v[22:23], -v[24:25]
	scratch_load_b128 v[22:25], off, off offset:368
	ds_load_b128 v[6:9], v1 offset:768
	s_waitcnt vmcnt(9) lgkmcnt(1)
	v_mul_f64 v[158:159], v[2:3], v[28:29]
	v_mul_f64 v[28:29], v[4:5], v[28:29]
	v_add_f64 v[150:151], v[150:151], v[162:163]
	v_add_f64 v[152:153], v[152:153], v[154:155]
	s_waitcnt vmcnt(8) lgkmcnt(0)
	v_mul_f64 v[154:155], v[6:7], v[32:33]
	v_mul_f64 v[32:33], v[8:9], v[32:33]
	v_fma_f64 v[158:159], v[4:5], v[26:27], v[158:159]
	v_fma_f64 v[162:163], v[2:3], v[26:27], -v[28:29]
	ds_load_b128 v[2:5], v1 offset:784
	scratch_load_b128 v[26:29], off, off offset:384
	v_add_f64 v[150:151], v[150:151], v[160:161]
	v_add_f64 v[152:153], v[152:153], v[156:157]
	v_fma_f64 v[154:155], v[8:9], v[30:31], v[154:155]
	v_fma_f64 v[160:161], v[6:7], v[30:31], -v[32:33]
	scratch_load_b128 v[30:33], off, off offset:400
	ds_load_b128 v[6:9], v1 offset:800
	s_waitcnt vmcnt(9) lgkmcnt(1)
	v_mul_f64 v[156:157], v[2:3], v[40:41]
	v_mul_f64 v[40:41], v[4:5], v[40:41]
	v_add_f64 v[150:151], v[150:151], v[162:163]
	v_add_f64 v[152:153], v[152:153], v[158:159]
	s_waitcnt vmcnt(8) lgkmcnt(0)
	v_mul_f64 v[158:159], v[6:7], v[148:149]
	v_mul_f64 v[148:149], v[8:9], v[148:149]
	v_fma_f64 v[156:157], v[4:5], v[38:39], v[156:157]
	v_fma_f64 v[162:163], v[2:3], v[38:39], -v[40:41]
	ds_load_b128 v[2:5], v1 offset:816
	scratch_load_b128 v[38:41], off, off offset:416
	v_add_f64 v[150:151], v[150:151], v[160:161]
	v_add_f64 v[152:153], v[152:153], v[154:155]
	v_fma_f64 v[158:159], v[8:9], v[146:147], v[158:159]
	v_fma_f64 v[160:161], v[6:7], v[146:147], -v[148:149]
	ds_load_b128 v[6:9], v1 offset:832
	scratch_load_b128 v[146:149], off, off offset:432
	s_waitcnt vmcnt(9) lgkmcnt(1)
	v_mul_f64 v[154:155], v[2:3], v[36:37]
	v_mul_f64 v[36:37], v[4:5], v[36:37]
	v_add_f64 v[150:151], v[150:151], v[162:163]
	v_add_f64 v[152:153], v[152:153], v[156:157]
	s_waitcnt vmcnt(8) lgkmcnt(0)
	v_mul_f64 v[156:157], v[6:7], v[144:145]
	v_mul_f64 v[144:145], v[8:9], v[144:145]
	v_fma_f64 v[154:155], v[4:5], v[34:35], v[154:155]
	v_fma_f64 v[162:163], v[2:3], v[34:35], -v[36:37]
	scratch_load_b128 v[34:37], off, off offset:448
	ds_load_b128 v[2:5], v1 offset:848
	v_add_f64 v[150:151], v[150:151], v[160:161]
	v_add_f64 v[152:153], v[152:153], v[158:159]
	v_fma_f64 v[156:157], v[8:9], v[142:143], v[156:157]
	v_fma_f64 v[160:161], v[6:7], v[142:143], -v[144:145]
	ds_load_b128 v[6:9], v1 offset:864
	s_waitcnt vmcnt(8) lgkmcnt(1)
	v_mul_f64 v[158:159], v[2:3], v[12:13]
	v_mul_f64 v[12:13], v[4:5], v[12:13]
	scratch_load_b128 v[142:145], off, off offset:464
	v_add_f64 v[150:151], v[150:151], v[162:163]
	v_add_f64 v[152:153], v[152:153], v[154:155]
	s_waitcnt vmcnt(8) lgkmcnt(0)
	v_mul_f64 v[154:155], v[6:7], v[16:17]
	v_mul_f64 v[16:17], v[8:9], v[16:17]
	v_fma_f64 v[158:159], v[4:5], v[10:11], v[158:159]
	v_fma_f64 v[162:163], v[2:3], v[10:11], -v[12:13]
	scratch_load_b128 v[10:13], off, off offset:480
	ds_load_b128 v[2:5], v1 offset:880
	v_add_f64 v[150:151], v[150:151], v[160:161]
	v_add_f64 v[152:153], v[152:153], v[156:157]
	v_fma_f64 v[154:155], v[8:9], v[14:15], v[154:155]
	v_fma_f64 v[160:161], v[6:7], v[14:15], -v[16:17]
	ds_load_b128 v[6:9], v1 offset:896
	s_waitcnt vmcnt(8) lgkmcnt(1)
	v_mul_f64 v[156:157], v[2:3], v[20:21]
	v_mul_f64 v[20:21], v[4:5], v[20:21]
	scratch_load_b128 v[14:17], off, off offset:496
	v_add_f64 v[150:151], v[150:151], v[162:163]
	v_add_f64 v[152:153], v[152:153], v[158:159]
	s_waitcnt vmcnt(8) lgkmcnt(0)
	v_mul_f64 v[158:159], v[6:7], v[24:25]
	v_mul_f64 v[24:25], v[8:9], v[24:25]
	v_fma_f64 v[156:157], v[4:5], v[18:19], v[156:157]
	v_fma_f64 v[162:163], v[2:3], v[18:19], -v[20:21]
	scratch_load_b128 v[18:21], off, off offset:512
	ds_load_b128 v[2:5], v1 offset:912
	v_add_f64 v[150:151], v[150:151], v[160:161]
	v_add_f64 v[152:153], v[152:153], v[154:155]
	v_fma_f64 v[158:159], v[8:9], v[22:23], v[158:159]
	v_fma_f64 v[22:23], v[6:7], v[22:23], -v[24:25]
	ds_load_b128 v[6:9], v1 offset:928
	s_waitcnt vmcnt(8) lgkmcnt(1)
	v_mul_f64 v[154:155], v[2:3], v[28:29]
	v_mul_f64 v[28:29], v[4:5], v[28:29]
	v_add_f64 v[24:25], v[150:151], v[162:163]
	v_add_f64 v[150:151], v[152:153], v[156:157]
	s_waitcnt vmcnt(7) lgkmcnt(0)
	v_mul_f64 v[152:153], v[6:7], v[32:33]
	v_mul_f64 v[32:33], v[8:9], v[32:33]
	v_fma_f64 v[154:155], v[4:5], v[26:27], v[154:155]
	v_fma_f64 v[26:27], v[2:3], v[26:27], -v[28:29]
	ds_load_b128 v[2:5], v1 offset:944
	v_add_f64 v[22:23], v[24:25], v[22:23]
	v_add_f64 v[24:25], v[150:151], v[158:159]
	v_fma_f64 v[150:151], v[8:9], v[30:31], v[152:153]
	v_fma_f64 v[30:31], v[6:7], v[30:31], -v[32:33]
	ds_load_b128 v[6:9], v1 offset:960
	s_waitcnt vmcnt(5) lgkmcnt(0)
	v_mul_f64 v[152:153], v[6:7], v[148:149]
	v_mul_f64 v[148:149], v[8:9], v[148:149]
	v_add_f64 v[26:27], v[22:23], v[26:27]
	v_add_f64 v[32:33], v[24:25], v[154:155]
	scratch_load_b128 v[22:25], off, off offset:112
	v_mul_f64 v[28:29], v[2:3], v[40:41]
	v_mul_f64 v[40:41], v[4:5], v[40:41]
	v_add_f64 v[26:27], v[26:27], v[30:31]
	v_add_f64 v[30:31], v[32:33], v[150:151]
	s_delay_alu instid0(VALU_DEP_4) | instskip(NEXT) | instid1(VALU_DEP_4)
	v_fma_f64 v[28:29], v[4:5], v[38:39], v[28:29]
	v_fma_f64 v[38:39], v[2:3], v[38:39], -v[40:41]
	ds_load_b128 v[2:5], v1 offset:976
	v_fma_f64 v[40:41], v[8:9], v[146:147], v[152:153]
	v_fma_f64 v[146:147], v[6:7], v[146:147], -v[148:149]
	ds_load_b128 v[6:9], v1 offset:992
	s_waitcnt vmcnt(5) lgkmcnt(1)
	v_mul_f64 v[32:33], v[2:3], v[36:37]
	v_mul_f64 v[36:37], v[4:5], v[36:37]
	v_add_f64 v[28:29], v[30:31], v[28:29]
	v_add_f64 v[26:27], v[26:27], v[38:39]
	s_waitcnt vmcnt(4) lgkmcnt(0)
	v_mul_f64 v[30:31], v[6:7], v[144:145]
	v_mul_f64 v[38:39], v[8:9], v[144:145]
	v_fma_f64 v[32:33], v[4:5], v[34:35], v[32:33]
	v_fma_f64 v[34:35], v[2:3], v[34:35], -v[36:37]
	ds_load_b128 v[2:5], v1 offset:1008
	v_add_f64 v[28:29], v[28:29], v[40:41]
	v_add_f64 v[26:27], v[26:27], v[146:147]
	v_fma_f64 v[30:31], v[8:9], v[142:143], v[30:31]
	v_fma_f64 v[38:39], v[6:7], v[142:143], -v[38:39]
	ds_load_b128 v[6:9], v1 offset:1024
	s_waitcnt vmcnt(3) lgkmcnt(1)
	v_mul_f64 v[36:37], v[2:3], v[12:13]
	v_mul_f64 v[12:13], v[4:5], v[12:13]
	v_add_f64 v[28:29], v[28:29], v[32:33]
	v_add_f64 v[26:27], v[26:27], v[34:35]
	s_waitcnt vmcnt(2) lgkmcnt(0)
	v_mul_f64 v[32:33], v[6:7], v[16:17]
	v_mul_f64 v[16:17], v[8:9], v[16:17]
	v_fma_f64 v[34:35], v[4:5], v[10:11], v[36:37]
	v_fma_f64 v[10:11], v[2:3], v[10:11], -v[12:13]
	ds_load_b128 v[2:5], v1 offset:1040
	v_add_f64 v[12:13], v[26:27], v[38:39]
	v_add_f64 v[26:27], v[28:29], v[30:31]
	s_waitcnt vmcnt(1) lgkmcnt(0)
	v_mul_f64 v[28:29], v[2:3], v[20:21]
	v_mul_f64 v[20:21], v[4:5], v[20:21]
	v_fma_f64 v[8:9], v[8:9], v[14:15], v[32:33]
	v_fma_f64 v[6:7], v[6:7], v[14:15], -v[16:17]
	v_add_f64 v[10:11], v[12:13], v[10:11]
	v_add_f64 v[12:13], v[26:27], v[34:35]
	v_fma_f64 v[4:5], v[4:5], v[18:19], v[28:29]
	v_fma_f64 v[2:3], v[2:3], v[18:19], -v[20:21]
	s_delay_alu instid0(VALU_DEP_4) | instskip(NEXT) | instid1(VALU_DEP_4)
	v_add_f64 v[6:7], v[10:11], v[6:7]
	v_add_f64 v[8:9], v[12:13], v[8:9]
	s_delay_alu instid0(VALU_DEP_2) | instskip(NEXT) | instid1(VALU_DEP_2)
	v_add_f64 v[2:3], v[6:7], v[2:3]
	v_add_f64 v[4:5], v[8:9], v[4:5]
	s_waitcnt vmcnt(0)
	s_delay_alu instid0(VALU_DEP_2) | instskip(NEXT) | instid1(VALU_DEP_2)
	v_add_f64 v[2:3], v[22:23], -v[2:3]
	v_add_f64 v[4:5], v[24:25], -v[4:5]
	scratch_store_b128 off, v[2:5], off offset:112
	v_cmpx_lt_u32_e32 6, v108
	s_cbranch_execz .LBB96_199
; %bb.198:
	scratch_load_b128 v[5:8], v139, off
	v_mov_b32_e32 v2, v1
	v_mov_b32_e32 v3, v1
	;; [unrolled: 1-line block ×3, first 2 shown]
	scratch_store_b128 off, v[1:4], off offset:96
	s_waitcnt vmcnt(0)
	ds_store_b128 v141, v[5:8]
.LBB96_199:
	s_or_b32 exec_lo, exec_lo, s2
	s_waitcnt lgkmcnt(0)
	s_waitcnt_vscnt null, 0x0
	s_barrier
	buffer_gl0_inv
	s_clause 0x7
	scratch_load_b128 v[2:5], off, off offset:112
	scratch_load_b128 v[6:9], off, off offset:128
	;; [unrolled: 1-line block ×8, first 2 shown]
	ds_load_b128 v[38:41], v1 offset:640
	ds_load_b128 v[142:145], v1 offset:656
	s_clause 0x1
	scratch_load_b128 v[34:37], off, off offset:240
	scratch_load_b128 v[146:149], off, off offset:256
	s_mov_b32 s2, exec_lo
	s_waitcnt vmcnt(9) lgkmcnt(1)
	v_mul_f64 v[150:151], v[40:41], v[4:5]
	v_mul_f64 v[4:5], v[38:39], v[4:5]
	s_waitcnt vmcnt(8) lgkmcnt(0)
	v_mul_f64 v[152:153], v[142:143], v[8:9]
	v_mul_f64 v[8:9], v[144:145], v[8:9]
	s_delay_alu instid0(VALU_DEP_4) | instskip(NEXT) | instid1(VALU_DEP_4)
	v_fma_f64 v[150:151], v[38:39], v[2:3], -v[150:151]
	v_fma_f64 v[154:155], v[40:41], v[2:3], v[4:5]
	ds_load_b128 v[2:5], v1 offset:672
	scratch_load_b128 v[38:41], off, off offset:272
	v_fma_f64 v[152:153], v[144:145], v[6:7], v[152:153]
	v_fma_f64 v[158:159], v[142:143], v[6:7], -v[8:9]
	scratch_load_b128 v[142:145], off, off offset:288
	ds_load_b128 v[6:9], v1 offset:688
	s_waitcnt vmcnt(9) lgkmcnt(1)
	v_mul_f64 v[156:157], v[2:3], v[12:13]
	v_mul_f64 v[12:13], v[4:5], v[12:13]
	s_waitcnt vmcnt(8) lgkmcnt(0)
	v_mul_f64 v[160:161], v[6:7], v[16:17]
	v_mul_f64 v[16:17], v[8:9], v[16:17]
	v_add_f64 v[150:151], v[150:151], 0
	v_add_f64 v[154:155], v[154:155], 0
	v_fma_f64 v[156:157], v[4:5], v[10:11], v[156:157]
	v_fma_f64 v[162:163], v[2:3], v[10:11], -v[12:13]
	ds_load_b128 v[2:5], v1 offset:704
	scratch_load_b128 v[10:13], off, off offset:304
	v_add_f64 v[150:151], v[150:151], v[158:159]
	v_add_f64 v[152:153], v[154:155], v[152:153]
	v_fma_f64 v[158:159], v[8:9], v[14:15], v[160:161]
	v_fma_f64 v[160:161], v[6:7], v[14:15], -v[16:17]
	scratch_load_b128 v[14:17], off, off offset:320
	ds_load_b128 v[6:9], v1 offset:720
	s_waitcnt vmcnt(9) lgkmcnt(1)
	v_mul_f64 v[154:155], v[2:3], v[20:21]
	v_mul_f64 v[20:21], v[4:5], v[20:21]
	v_add_f64 v[150:151], v[150:151], v[162:163]
	v_add_f64 v[152:153], v[152:153], v[156:157]
	s_waitcnt vmcnt(8) lgkmcnt(0)
	v_mul_f64 v[156:157], v[6:7], v[24:25]
	v_mul_f64 v[24:25], v[8:9], v[24:25]
	v_fma_f64 v[154:155], v[4:5], v[18:19], v[154:155]
	v_fma_f64 v[162:163], v[2:3], v[18:19], -v[20:21]
	ds_load_b128 v[2:5], v1 offset:736
	scratch_load_b128 v[18:21], off, off offset:336
	v_add_f64 v[150:151], v[150:151], v[160:161]
	v_add_f64 v[152:153], v[152:153], v[158:159]
	v_fma_f64 v[156:157], v[8:9], v[22:23], v[156:157]
	v_fma_f64 v[160:161], v[6:7], v[22:23], -v[24:25]
	scratch_load_b128 v[22:25], off, off offset:352
	ds_load_b128 v[6:9], v1 offset:752
	s_waitcnt vmcnt(9) lgkmcnt(1)
	v_mul_f64 v[158:159], v[2:3], v[28:29]
	v_mul_f64 v[28:29], v[4:5], v[28:29]
	v_add_f64 v[150:151], v[150:151], v[162:163]
	v_add_f64 v[152:153], v[152:153], v[154:155]
	s_waitcnt vmcnt(8) lgkmcnt(0)
	v_mul_f64 v[154:155], v[6:7], v[32:33]
	v_mul_f64 v[32:33], v[8:9], v[32:33]
	v_fma_f64 v[158:159], v[4:5], v[26:27], v[158:159]
	v_fma_f64 v[162:163], v[2:3], v[26:27], -v[28:29]
	ds_load_b128 v[2:5], v1 offset:768
	scratch_load_b128 v[26:29], off, off offset:368
	v_add_f64 v[150:151], v[150:151], v[160:161]
	v_add_f64 v[152:153], v[152:153], v[156:157]
	v_fma_f64 v[154:155], v[8:9], v[30:31], v[154:155]
	v_fma_f64 v[160:161], v[6:7], v[30:31], -v[32:33]
	scratch_load_b128 v[30:33], off, off offset:384
	ds_load_b128 v[6:9], v1 offset:784
	s_waitcnt vmcnt(9) lgkmcnt(1)
	v_mul_f64 v[156:157], v[2:3], v[36:37]
	v_mul_f64 v[36:37], v[4:5], v[36:37]
	v_add_f64 v[150:151], v[150:151], v[162:163]
	v_add_f64 v[152:153], v[152:153], v[158:159]
	s_waitcnt vmcnt(8) lgkmcnt(0)
	v_mul_f64 v[158:159], v[6:7], v[148:149]
	v_mul_f64 v[148:149], v[8:9], v[148:149]
	v_fma_f64 v[156:157], v[4:5], v[34:35], v[156:157]
	v_fma_f64 v[162:163], v[2:3], v[34:35], -v[36:37]
	ds_load_b128 v[2:5], v1 offset:800
	scratch_load_b128 v[34:37], off, off offset:400
	v_add_f64 v[150:151], v[150:151], v[160:161]
	v_add_f64 v[152:153], v[152:153], v[154:155]
	v_fma_f64 v[158:159], v[8:9], v[146:147], v[158:159]
	v_fma_f64 v[160:161], v[6:7], v[146:147], -v[148:149]
	ds_load_b128 v[6:9], v1 offset:816
	scratch_load_b128 v[146:149], off, off offset:416
	s_waitcnt vmcnt(9) lgkmcnt(1)
	v_mul_f64 v[154:155], v[2:3], v[40:41]
	v_mul_f64 v[40:41], v[4:5], v[40:41]
	v_add_f64 v[150:151], v[150:151], v[162:163]
	v_add_f64 v[152:153], v[152:153], v[156:157]
	s_waitcnt vmcnt(8) lgkmcnt(0)
	v_mul_f64 v[156:157], v[6:7], v[144:145]
	v_mul_f64 v[144:145], v[8:9], v[144:145]
	v_fma_f64 v[154:155], v[4:5], v[38:39], v[154:155]
	v_fma_f64 v[162:163], v[2:3], v[38:39], -v[40:41]
	ds_load_b128 v[2:5], v1 offset:832
	scratch_load_b128 v[38:41], off, off offset:432
	v_add_f64 v[150:151], v[150:151], v[160:161]
	v_add_f64 v[152:153], v[152:153], v[158:159]
	v_fma_f64 v[156:157], v[8:9], v[142:143], v[156:157]
	v_fma_f64 v[160:161], v[6:7], v[142:143], -v[144:145]
	ds_load_b128 v[6:9], v1 offset:848
	s_waitcnt vmcnt(8) lgkmcnt(1)
	v_mul_f64 v[158:159], v[2:3], v[12:13]
	v_mul_f64 v[12:13], v[4:5], v[12:13]
	scratch_load_b128 v[142:145], off, off offset:448
	v_add_f64 v[150:151], v[150:151], v[162:163]
	v_add_f64 v[152:153], v[152:153], v[154:155]
	s_waitcnt vmcnt(8) lgkmcnt(0)
	v_mul_f64 v[154:155], v[6:7], v[16:17]
	v_mul_f64 v[16:17], v[8:9], v[16:17]
	v_fma_f64 v[158:159], v[4:5], v[10:11], v[158:159]
	v_fma_f64 v[162:163], v[2:3], v[10:11], -v[12:13]
	scratch_load_b128 v[10:13], off, off offset:464
	ds_load_b128 v[2:5], v1 offset:864
	v_add_f64 v[150:151], v[150:151], v[160:161]
	v_add_f64 v[152:153], v[152:153], v[156:157]
	v_fma_f64 v[154:155], v[8:9], v[14:15], v[154:155]
	v_fma_f64 v[160:161], v[6:7], v[14:15], -v[16:17]
	ds_load_b128 v[6:9], v1 offset:880
	s_waitcnt vmcnt(8) lgkmcnt(1)
	v_mul_f64 v[156:157], v[2:3], v[20:21]
	v_mul_f64 v[20:21], v[4:5], v[20:21]
	scratch_load_b128 v[14:17], off, off offset:480
	v_add_f64 v[150:151], v[150:151], v[162:163]
	v_add_f64 v[152:153], v[152:153], v[158:159]
	s_waitcnt vmcnt(8) lgkmcnt(0)
	v_mul_f64 v[158:159], v[6:7], v[24:25]
	v_mul_f64 v[24:25], v[8:9], v[24:25]
	v_fma_f64 v[156:157], v[4:5], v[18:19], v[156:157]
	v_fma_f64 v[162:163], v[2:3], v[18:19], -v[20:21]
	scratch_load_b128 v[18:21], off, off offset:496
	ds_load_b128 v[2:5], v1 offset:896
	v_add_f64 v[150:151], v[150:151], v[160:161]
	v_add_f64 v[152:153], v[152:153], v[154:155]
	v_fma_f64 v[158:159], v[8:9], v[22:23], v[158:159]
	v_fma_f64 v[160:161], v[6:7], v[22:23], -v[24:25]
	ds_load_b128 v[6:9], v1 offset:912
	s_waitcnt vmcnt(8) lgkmcnt(1)
	v_mul_f64 v[154:155], v[2:3], v[28:29]
	v_mul_f64 v[28:29], v[4:5], v[28:29]
	scratch_load_b128 v[22:25], off, off offset:512
	v_add_f64 v[150:151], v[150:151], v[162:163]
	v_add_f64 v[152:153], v[152:153], v[156:157]
	s_waitcnt vmcnt(8) lgkmcnt(0)
	v_mul_f64 v[156:157], v[6:7], v[32:33]
	v_mul_f64 v[32:33], v[8:9], v[32:33]
	v_fma_f64 v[154:155], v[4:5], v[26:27], v[154:155]
	v_fma_f64 v[26:27], v[2:3], v[26:27], -v[28:29]
	ds_load_b128 v[2:5], v1 offset:928
	v_add_f64 v[28:29], v[150:151], v[160:161]
	v_add_f64 v[150:151], v[152:153], v[158:159]
	v_fma_f64 v[156:157], v[8:9], v[30:31], v[156:157]
	v_fma_f64 v[30:31], v[6:7], v[30:31], -v[32:33]
	ds_load_b128 v[6:9], v1 offset:944
	s_waitcnt vmcnt(7) lgkmcnt(1)
	v_mul_f64 v[152:153], v[2:3], v[36:37]
	v_mul_f64 v[36:37], v[4:5], v[36:37]
	v_add_f64 v[26:27], v[28:29], v[26:27]
	v_add_f64 v[28:29], v[150:151], v[154:155]
	s_delay_alu instid0(VALU_DEP_4) | instskip(NEXT) | instid1(VALU_DEP_4)
	v_fma_f64 v[150:151], v[4:5], v[34:35], v[152:153]
	v_fma_f64 v[34:35], v[2:3], v[34:35], -v[36:37]
	ds_load_b128 v[2:5], v1 offset:960
	v_add_f64 v[30:31], v[26:27], v[30:31]
	v_add_f64 v[36:37], v[28:29], v[156:157]
	scratch_load_b128 v[26:29], off, off offset:96
	s_waitcnt vmcnt(7) lgkmcnt(1)
	v_mul_f64 v[32:33], v[6:7], v[148:149]
	v_mul_f64 v[148:149], v[8:9], v[148:149]
	v_add_f64 v[30:31], v[30:31], v[34:35]
	v_add_f64 v[34:35], v[36:37], v[150:151]
	s_delay_alu instid0(VALU_DEP_4) | instskip(NEXT) | instid1(VALU_DEP_4)
	v_fma_f64 v[32:33], v[8:9], v[146:147], v[32:33]
	v_fma_f64 v[146:147], v[6:7], v[146:147], -v[148:149]
	ds_load_b128 v[6:9], v1 offset:976
	s_waitcnt vmcnt(6) lgkmcnt(1)
	v_mul_f64 v[152:153], v[2:3], v[40:41]
	v_mul_f64 v[40:41], v[4:5], v[40:41]
	s_waitcnt vmcnt(5) lgkmcnt(0)
	v_mul_f64 v[36:37], v[6:7], v[144:145]
	v_mul_f64 v[144:145], v[8:9], v[144:145]
	v_add_f64 v[32:33], v[34:35], v[32:33]
	v_add_f64 v[30:31], v[30:31], v[146:147]
	v_fma_f64 v[148:149], v[4:5], v[38:39], v[152:153]
	v_fma_f64 v[38:39], v[2:3], v[38:39], -v[40:41]
	ds_load_b128 v[2:5], v1 offset:992
	v_fma_f64 v[36:37], v[8:9], v[142:143], v[36:37]
	v_fma_f64 v[40:41], v[6:7], v[142:143], -v[144:145]
	ds_load_b128 v[6:9], v1 offset:1008
	s_waitcnt vmcnt(4) lgkmcnt(1)
	v_mul_f64 v[34:35], v[2:3], v[12:13]
	v_mul_f64 v[12:13], v[4:5], v[12:13]
	v_add_f64 v[32:33], v[32:33], v[148:149]
	v_add_f64 v[30:31], v[30:31], v[38:39]
	s_waitcnt vmcnt(3) lgkmcnt(0)
	v_mul_f64 v[38:39], v[6:7], v[16:17]
	v_mul_f64 v[16:17], v[8:9], v[16:17]
	v_fma_f64 v[34:35], v[4:5], v[10:11], v[34:35]
	v_fma_f64 v[10:11], v[2:3], v[10:11], -v[12:13]
	ds_load_b128 v[2:5], v1 offset:1024
	v_add_f64 v[12:13], v[30:31], v[40:41]
	v_add_f64 v[30:31], v[32:33], v[36:37]
	v_fma_f64 v[36:37], v[8:9], v[14:15], v[38:39]
	v_fma_f64 v[14:15], v[6:7], v[14:15], -v[16:17]
	ds_load_b128 v[6:9], v1 offset:1040
	s_waitcnt vmcnt(2) lgkmcnt(1)
	v_mul_f64 v[32:33], v[2:3], v[20:21]
	v_mul_f64 v[20:21], v[4:5], v[20:21]
	s_waitcnt vmcnt(1) lgkmcnt(0)
	v_mul_f64 v[16:17], v[6:7], v[24:25]
	v_mul_f64 v[24:25], v[8:9], v[24:25]
	v_add_f64 v[10:11], v[12:13], v[10:11]
	v_add_f64 v[12:13], v[30:31], v[34:35]
	v_fma_f64 v[4:5], v[4:5], v[18:19], v[32:33]
	v_fma_f64 v[1:2], v[2:3], v[18:19], -v[20:21]
	v_fma_f64 v[8:9], v[8:9], v[22:23], v[16:17]
	v_fma_f64 v[6:7], v[6:7], v[22:23], -v[24:25]
	v_add_f64 v[10:11], v[10:11], v[14:15]
	v_add_f64 v[12:13], v[12:13], v[36:37]
	s_delay_alu instid0(VALU_DEP_2) | instskip(NEXT) | instid1(VALU_DEP_2)
	v_add_f64 v[1:2], v[10:11], v[1:2]
	v_add_f64 v[3:4], v[12:13], v[4:5]
	s_delay_alu instid0(VALU_DEP_2) | instskip(NEXT) | instid1(VALU_DEP_2)
	v_add_f64 v[1:2], v[1:2], v[6:7]
	v_add_f64 v[3:4], v[3:4], v[8:9]
	s_waitcnt vmcnt(0)
	s_delay_alu instid0(VALU_DEP_2) | instskip(NEXT) | instid1(VALU_DEP_2)
	v_add_f64 v[1:2], v[26:27], -v[1:2]
	v_add_f64 v[3:4], v[28:29], -v[3:4]
	scratch_store_b128 off, v[1:4], off offset:96
	v_cmpx_lt_u32_e32 5, v108
	s_cbranch_execz .LBB96_201
; %bb.200:
	scratch_load_b128 v[1:4], v140, off
	v_mov_b32_e32 v5, 0
	s_delay_alu instid0(VALU_DEP_1)
	v_mov_b32_e32 v6, v5
	v_mov_b32_e32 v7, v5
	;; [unrolled: 1-line block ×3, first 2 shown]
	scratch_store_b128 off, v[5:8], off offset:80
	s_waitcnt vmcnt(0)
	ds_store_b128 v141, v[1:4]
.LBB96_201:
	s_or_b32 exec_lo, exec_lo, s2
	s_waitcnt lgkmcnt(0)
	s_waitcnt_vscnt null, 0x0
	s_barrier
	buffer_gl0_inv
	s_clause 0x7
	scratch_load_b128 v[2:5], off, off offset:96
	scratch_load_b128 v[6:9], off, off offset:112
	;; [unrolled: 1-line block ×8, first 2 shown]
	v_mov_b32_e32 v1, 0
	s_clause 0x1
	scratch_load_b128 v[34:37], off, off offset:224
	scratch_load_b128 v[146:149], off, off offset:240
	s_mov_b32 s2, exec_lo
	ds_load_b128 v[38:41], v1 offset:624
	ds_load_b128 v[142:145], v1 offset:640
	s_waitcnt vmcnt(9) lgkmcnt(1)
	v_mul_f64 v[150:151], v[40:41], v[4:5]
	v_mul_f64 v[4:5], v[38:39], v[4:5]
	s_waitcnt vmcnt(8) lgkmcnt(0)
	v_mul_f64 v[152:153], v[142:143], v[8:9]
	v_mul_f64 v[8:9], v[144:145], v[8:9]
	s_delay_alu instid0(VALU_DEP_4) | instskip(NEXT) | instid1(VALU_DEP_4)
	v_fma_f64 v[150:151], v[38:39], v[2:3], -v[150:151]
	v_fma_f64 v[154:155], v[40:41], v[2:3], v[4:5]
	ds_load_b128 v[2:5], v1 offset:656
	scratch_load_b128 v[38:41], off, off offset:256
	v_fma_f64 v[152:153], v[144:145], v[6:7], v[152:153]
	v_fma_f64 v[158:159], v[142:143], v[6:7], -v[8:9]
	scratch_load_b128 v[142:145], off, off offset:272
	ds_load_b128 v[6:9], v1 offset:672
	s_waitcnt vmcnt(9) lgkmcnt(1)
	v_mul_f64 v[156:157], v[2:3], v[12:13]
	v_mul_f64 v[12:13], v[4:5], v[12:13]
	s_waitcnt vmcnt(8) lgkmcnt(0)
	v_mul_f64 v[160:161], v[6:7], v[16:17]
	v_mul_f64 v[16:17], v[8:9], v[16:17]
	v_add_f64 v[150:151], v[150:151], 0
	v_add_f64 v[154:155], v[154:155], 0
	v_fma_f64 v[156:157], v[4:5], v[10:11], v[156:157]
	v_fma_f64 v[162:163], v[2:3], v[10:11], -v[12:13]
	ds_load_b128 v[2:5], v1 offset:688
	scratch_load_b128 v[10:13], off, off offset:288
	v_add_f64 v[150:151], v[150:151], v[158:159]
	v_add_f64 v[152:153], v[154:155], v[152:153]
	v_fma_f64 v[158:159], v[8:9], v[14:15], v[160:161]
	v_fma_f64 v[160:161], v[6:7], v[14:15], -v[16:17]
	scratch_load_b128 v[14:17], off, off offset:304
	ds_load_b128 v[6:9], v1 offset:704
	s_waitcnt vmcnt(9) lgkmcnt(1)
	v_mul_f64 v[154:155], v[2:3], v[20:21]
	v_mul_f64 v[20:21], v[4:5], v[20:21]
	v_add_f64 v[150:151], v[150:151], v[162:163]
	v_add_f64 v[152:153], v[152:153], v[156:157]
	s_waitcnt vmcnt(8) lgkmcnt(0)
	v_mul_f64 v[156:157], v[6:7], v[24:25]
	v_mul_f64 v[24:25], v[8:9], v[24:25]
	v_fma_f64 v[154:155], v[4:5], v[18:19], v[154:155]
	v_fma_f64 v[162:163], v[2:3], v[18:19], -v[20:21]
	ds_load_b128 v[2:5], v1 offset:720
	scratch_load_b128 v[18:21], off, off offset:320
	v_add_f64 v[150:151], v[150:151], v[160:161]
	v_add_f64 v[152:153], v[152:153], v[158:159]
	v_fma_f64 v[156:157], v[8:9], v[22:23], v[156:157]
	v_fma_f64 v[160:161], v[6:7], v[22:23], -v[24:25]
	scratch_load_b128 v[22:25], off, off offset:336
	ds_load_b128 v[6:9], v1 offset:736
	s_waitcnt vmcnt(9) lgkmcnt(1)
	v_mul_f64 v[158:159], v[2:3], v[28:29]
	v_mul_f64 v[28:29], v[4:5], v[28:29]
	v_add_f64 v[150:151], v[150:151], v[162:163]
	v_add_f64 v[152:153], v[152:153], v[154:155]
	s_waitcnt vmcnt(8) lgkmcnt(0)
	v_mul_f64 v[154:155], v[6:7], v[32:33]
	v_mul_f64 v[32:33], v[8:9], v[32:33]
	v_fma_f64 v[158:159], v[4:5], v[26:27], v[158:159]
	v_fma_f64 v[162:163], v[2:3], v[26:27], -v[28:29]
	ds_load_b128 v[2:5], v1 offset:752
	scratch_load_b128 v[26:29], off, off offset:352
	v_add_f64 v[150:151], v[150:151], v[160:161]
	v_add_f64 v[152:153], v[152:153], v[156:157]
	v_fma_f64 v[154:155], v[8:9], v[30:31], v[154:155]
	v_fma_f64 v[160:161], v[6:7], v[30:31], -v[32:33]
	scratch_load_b128 v[30:33], off, off offset:368
	ds_load_b128 v[6:9], v1 offset:768
	s_waitcnt vmcnt(9) lgkmcnt(1)
	v_mul_f64 v[156:157], v[2:3], v[36:37]
	v_mul_f64 v[36:37], v[4:5], v[36:37]
	v_add_f64 v[150:151], v[150:151], v[162:163]
	v_add_f64 v[152:153], v[152:153], v[158:159]
	s_waitcnt vmcnt(8) lgkmcnt(0)
	v_mul_f64 v[158:159], v[6:7], v[148:149]
	v_mul_f64 v[148:149], v[8:9], v[148:149]
	v_fma_f64 v[156:157], v[4:5], v[34:35], v[156:157]
	v_fma_f64 v[162:163], v[2:3], v[34:35], -v[36:37]
	ds_load_b128 v[2:5], v1 offset:784
	scratch_load_b128 v[34:37], off, off offset:384
	v_add_f64 v[150:151], v[150:151], v[160:161]
	v_add_f64 v[152:153], v[152:153], v[154:155]
	v_fma_f64 v[158:159], v[8:9], v[146:147], v[158:159]
	v_fma_f64 v[160:161], v[6:7], v[146:147], -v[148:149]
	scratch_load_b128 v[146:149], off, off offset:400
	ds_load_b128 v[6:9], v1 offset:800
	s_waitcnt vmcnt(9) lgkmcnt(1)
	v_mul_f64 v[154:155], v[2:3], v[40:41]
	v_mul_f64 v[40:41], v[4:5], v[40:41]
	v_add_f64 v[150:151], v[150:151], v[162:163]
	v_add_f64 v[152:153], v[152:153], v[156:157]
	s_waitcnt vmcnt(8) lgkmcnt(0)
	v_mul_f64 v[156:157], v[6:7], v[144:145]
	v_mul_f64 v[144:145], v[8:9], v[144:145]
	v_fma_f64 v[154:155], v[4:5], v[38:39], v[154:155]
	v_fma_f64 v[162:163], v[2:3], v[38:39], -v[40:41]
	ds_load_b128 v[2:5], v1 offset:816
	scratch_load_b128 v[38:41], off, off offset:416
	v_add_f64 v[150:151], v[150:151], v[160:161]
	v_add_f64 v[152:153], v[152:153], v[158:159]
	v_fma_f64 v[156:157], v[8:9], v[142:143], v[156:157]
	v_fma_f64 v[160:161], v[6:7], v[142:143], -v[144:145]
	ds_load_b128 v[6:9], v1 offset:832
	s_waitcnt vmcnt(8) lgkmcnt(1)
	v_mul_f64 v[158:159], v[2:3], v[12:13]
	v_mul_f64 v[12:13], v[4:5], v[12:13]
	scratch_load_b128 v[142:145], off, off offset:432
	v_add_f64 v[150:151], v[150:151], v[162:163]
	v_add_f64 v[152:153], v[152:153], v[154:155]
	s_waitcnt vmcnt(8) lgkmcnt(0)
	v_mul_f64 v[154:155], v[6:7], v[16:17]
	v_mul_f64 v[16:17], v[8:9], v[16:17]
	v_fma_f64 v[158:159], v[4:5], v[10:11], v[158:159]
	v_fma_f64 v[162:163], v[2:3], v[10:11], -v[12:13]
	scratch_load_b128 v[10:13], off, off offset:448
	ds_load_b128 v[2:5], v1 offset:848
	v_add_f64 v[150:151], v[150:151], v[160:161]
	v_add_f64 v[152:153], v[152:153], v[156:157]
	v_fma_f64 v[154:155], v[8:9], v[14:15], v[154:155]
	v_fma_f64 v[160:161], v[6:7], v[14:15], -v[16:17]
	ds_load_b128 v[6:9], v1 offset:864
	s_waitcnt vmcnt(8) lgkmcnt(1)
	v_mul_f64 v[156:157], v[2:3], v[20:21]
	v_mul_f64 v[20:21], v[4:5], v[20:21]
	scratch_load_b128 v[14:17], off, off offset:464
	v_add_f64 v[150:151], v[150:151], v[162:163]
	v_add_f64 v[152:153], v[152:153], v[158:159]
	s_waitcnt vmcnt(8) lgkmcnt(0)
	v_mul_f64 v[158:159], v[6:7], v[24:25]
	v_mul_f64 v[24:25], v[8:9], v[24:25]
	v_fma_f64 v[156:157], v[4:5], v[18:19], v[156:157]
	v_fma_f64 v[162:163], v[2:3], v[18:19], -v[20:21]
	scratch_load_b128 v[18:21], off, off offset:480
	ds_load_b128 v[2:5], v1 offset:880
	;; [unrolled: 18-line block ×3, first 2 shown]
	v_add_f64 v[150:151], v[150:151], v[160:161]
	v_add_f64 v[152:153], v[152:153], v[158:159]
	v_fma_f64 v[156:157], v[8:9], v[30:31], v[156:157]
	v_fma_f64 v[30:31], v[6:7], v[30:31], -v[32:33]
	ds_load_b128 v[6:9], v1 offset:928
	s_waitcnt vmcnt(8) lgkmcnt(1)
	v_mul_f64 v[158:159], v[2:3], v[36:37]
	v_mul_f64 v[36:37], v[4:5], v[36:37]
	v_add_f64 v[32:33], v[150:151], v[162:163]
	v_add_f64 v[150:151], v[152:153], v[154:155]
	s_waitcnt vmcnt(7) lgkmcnt(0)
	v_mul_f64 v[152:153], v[6:7], v[148:149]
	v_mul_f64 v[148:149], v[8:9], v[148:149]
	v_fma_f64 v[154:155], v[4:5], v[34:35], v[158:159]
	v_fma_f64 v[34:35], v[2:3], v[34:35], -v[36:37]
	ds_load_b128 v[2:5], v1 offset:944
	v_add_f64 v[30:31], v[32:33], v[30:31]
	v_add_f64 v[32:33], v[150:151], v[156:157]
	v_fma_f64 v[150:151], v[8:9], v[146:147], v[152:153]
	v_fma_f64 v[146:147], v[6:7], v[146:147], -v[148:149]
	ds_load_b128 v[6:9], v1 offset:960
	s_waitcnt vmcnt(5) lgkmcnt(0)
	v_mul_f64 v[152:153], v[6:7], v[144:145]
	v_mul_f64 v[144:145], v[8:9], v[144:145]
	v_add_f64 v[34:35], v[30:31], v[34:35]
	v_add_f64 v[148:149], v[32:33], v[154:155]
	scratch_load_b128 v[30:33], off, off offset:80
	v_mul_f64 v[36:37], v[2:3], v[40:41]
	v_mul_f64 v[40:41], v[4:5], v[40:41]
	v_add_f64 v[34:35], v[34:35], v[146:147]
	s_delay_alu instid0(VALU_DEP_3) | instskip(NEXT) | instid1(VALU_DEP_3)
	v_fma_f64 v[36:37], v[4:5], v[38:39], v[36:37]
	v_fma_f64 v[38:39], v[2:3], v[38:39], -v[40:41]
	v_add_f64 v[40:41], v[148:149], v[150:151]
	ds_load_b128 v[2:5], v1 offset:976
	v_fma_f64 v[148:149], v[8:9], v[142:143], v[152:153]
	v_fma_f64 v[142:143], v[6:7], v[142:143], -v[144:145]
	ds_load_b128 v[6:9], v1 offset:992
	s_waitcnt vmcnt(5) lgkmcnt(1)
	v_mul_f64 v[146:147], v[2:3], v[12:13]
	v_mul_f64 v[12:13], v[4:5], v[12:13]
	v_add_f64 v[34:35], v[34:35], v[38:39]
	v_add_f64 v[36:37], v[40:41], v[36:37]
	s_waitcnt vmcnt(4) lgkmcnt(0)
	v_mul_f64 v[38:39], v[6:7], v[16:17]
	v_mul_f64 v[16:17], v[8:9], v[16:17]
	v_fma_f64 v[40:41], v[4:5], v[10:11], v[146:147]
	v_fma_f64 v[10:11], v[2:3], v[10:11], -v[12:13]
	ds_load_b128 v[2:5], v1 offset:1008
	v_add_f64 v[12:13], v[34:35], v[142:143]
	v_add_f64 v[34:35], v[36:37], v[148:149]
	v_fma_f64 v[38:39], v[8:9], v[14:15], v[38:39]
	v_fma_f64 v[14:15], v[6:7], v[14:15], -v[16:17]
	ds_load_b128 v[6:9], v1 offset:1024
	s_waitcnt vmcnt(3) lgkmcnt(1)
	v_mul_f64 v[36:37], v[2:3], v[20:21]
	v_mul_f64 v[20:21], v[4:5], v[20:21]
	s_waitcnt vmcnt(2) lgkmcnt(0)
	v_mul_f64 v[16:17], v[6:7], v[24:25]
	v_mul_f64 v[24:25], v[8:9], v[24:25]
	v_add_f64 v[10:11], v[12:13], v[10:11]
	v_add_f64 v[12:13], v[34:35], v[40:41]
	v_fma_f64 v[34:35], v[4:5], v[18:19], v[36:37]
	v_fma_f64 v[18:19], v[2:3], v[18:19], -v[20:21]
	ds_load_b128 v[2:5], v1 offset:1040
	v_fma_f64 v[8:9], v[8:9], v[22:23], v[16:17]
	v_fma_f64 v[6:7], v[6:7], v[22:23], -v[24:25]
	s_waitcnt vmcnt(1) lgkmcnt(0)
	v_mul_f64 v[20:21], v[4:5], v[28:29]
	v_add_f64 v[10:11], v[10:11], v[14:15]
	v_add_f64 v[12:13], v[12:13], v[38:39]
	v_mul_f64 v[14:15], v[2:3], v[28:29]
	s_delay_alu instid0(VALU_DEP_4) | instskip(NEXT) | instid1(VALU_DEP_4)
	v_fma_f64 v[2:3], v[2:3], v[26:27], -v[20:21]
	v_add_f64 v[10:11], v[10:11], v[18:19]
	s_delay_alu instid0(VALU_DEP_4) | instskip(NEXT) | instid1(VALU_DEP_4)
	v_add_f64 v[12:13], v[12:13], v[34:35]
	v_fma_f64 v[4:5], v[4:5], v[26:27], v[14:15]
	s_delay_alu instid0(VALU_DEP_3) | instskip(NEXT) | instid1(VALU_DEP_3)
	v_add_f64 v[6:7], v[10:11], v[6:7]
	v_add_f64 v[8:9], v[12:13], v[8:9]
	s_delay_alu instid0(VALU_DEP_2) | instskip(NEXT) | instid1(VALU_DEP_2)
	v_add_f64 v[2:3], v[6:7], v[2:3]
	v_add_f64 v[4:5], v[8:9], v[4:5]
	s_waitcnt vmcnt(0)
	s_delay_alu instid0(VALU_DEP_2) | instskip(NEXT) | instid1(VALU_DEP_2)
	v_add_f64 v[2:3], v[30:31], -v[2:3]
	v_add_f64 v[4:5], v[32:33], -v[4:5]
	scratch_store_b128 off, v[2:5], off offset:80
	v_cmpx_lt_u32_e32 4, v108
	s_cbranch_execz .LBB96_203
; %bb.202:
	scratch_load_b128 v[5:8], v109, off
	v_mov_b32_e32 v2, v1
	v_mov_b32_e32 v3, v1
	;; [unrolled: 1-line block ×3, first 2 shown]
	scratch_store_b128 off, v[1:4], off offset:64
	s_waitcnt vmcnt(0)
	ds_store_b128 v141, v[5:8]
.LBB96_203:
	s_or_b32 exec_lo, exec_lo, s2
	s_waitcnt lgkmcnt(0)
	s_waitcnt_vscnt null, 0x0
	s_barrier
	buffer_gl0_inv
	s_clause 0x7
	scratch_load_b128 v[2:5], off, off offset:80
	scratch_load_b128 v[6:9], off, off offset:96
	;; [unrolled: 1-line block ×8, first 2 shown]
	ds_load_b128 v[38:41], v1 offset:608
	ds_load_b128 v[142:145], v1 offset:624
	s_clause 0x1
	scratch_load_b128 v[34:37], off, off offset:208
	scratch_load_b128 v[146:149], off, off offset:224
	s_mov_b32 s2, exec_lo
	s_waitcnt vmcnt(9) lgkmcnt(1)
	v_mul_f64 v[150:151], v[40:41], v[4:5]
	v_mul_f64 v[4:5], v[38:39], v[4:5]
	s_waitcnt vmcnt(8) lgkmcnt(0)
	v_mul_f64 v[152:153], v[142:143], v[8:9]
	v_mul_f64 v[8:9], v[144:145], v[8:9]
	s_delay_alu instid0(VALU_DEP_4) | instskip(NEXT) | instid1(VALU_DEP_4)
	v_fma_f64 v[150:151], v[38:39], v[2:3], -v[150:151]
	v_fma_f64 v[154:155], v[40:41], v[2:3], v[4:5]
	ds_load_b128 v[2:5], v1 offset:640
	scratch_load_b128 v[38:41], off, off offset:240
	v_fma_f64 v[152:153], v[144:145], v[6:7], v[152:153]
	v_fma_f64 v[158:159], v[142:143], v[6:7], -v[8:9]
	scratch_load_b128 v[142:145], off, off offset:256
	ds_load_b128 v[6:9], v1 offset:656
	s_waitcnt vmcnt(9) lgkmcnt(1)
	v_mul_f64 v[156:157], v[2:3], v[12:13]
	v_mul_f64 v[12:13], v[4:5], v[12:13]
	s_waitcnt vmcnt(8) lgkmcnt(0)
	v_mul_f64 v[160:161], v[6:7], v[16:17]
	v_mul_f64 v[16:17], v[8:9], v[16:17]
	v_add_f64 v[150:151], v[150:151], 0
	v_add_f64 v[154:155], v[154:155], 0
	v_fma_f64 v[156:157], v[4:5], v[10:11], v[156:157]
	v_fma_f64 v[162:163], v[2:3], v[10:11], -v[12:13]
	ds_load_b128 v[2:5], v1 offset:672
	scratch_load_b128 v[10:13], off, off offset:272
	v_add_f64 v[150:151], v[150:151], v[158:159]
	v_add_f64 v[152:153], v[154:155], v[152:153]
	v_fma_f64 v[158:159], v[8:9], v[14:15], v[160:161]
	v_fma_f64 v[160:161], v[6:7], v[14:15], -v[16:17]
	scratch_load_b128 v[14:17], off, off offset:288
	ds_load_b128 v[6:9], v1 offset:688
	s_waitcnt vmcnt(9) lgkmcnt(1)
	v_mul_f64 v[154:155], v[2:3], v[20:21]
	v_mul_f64 v[20:21], v[4:5], v[20:21]
	v_add_f64 v[150:151], v[150:151], v[162:163]
	v_add_f64 v[152:153], v[152:153], v[156:157]
	s_waitcnt vmcnt(8) lgkmcnt(0)
	v_mul_f64 v[156:157], v[6:7], v[24:25]
	v_mul_f64 v[24:25], v[8:9], v[24:25]
	v_fma_f64 v[154:155], v[4:5], v[18:19], v[154:155]
	v_fma_f64 v[162:163], v[2:3], v[18:19], -v[20:21]
	ds_load_b128 v[2:5], v1 offset:704
	scratch_load_b128 v[18:21], off, off offset:304
	v_add_f64 v[150:151], v[150:151], v[160:161]
	v_add_f64 v[152:153], v[152:153], v[158:159]
	v_fma_f64 v[156:157], v[8:9], v[22:23], v[156:157]
	v_fma_f64 v[160:161], v[6:7], v[22:23], -v[24:25]
	scratch_load_b128 v[22:25], off, off offset:320
	ds_load_b128 v[6:9], v1 offset:720
	s_waitcnt vmcnt(9) lgkmcnt(1)
	v_mul_f64 v[158:159], v[2:3], v[28:29]
	v_mul_f64 v[28:29], v[4:5], v[28:29]
	v_add_f64 v[150:151], v[150:151], v[162:163]
	v_add_f64 v[152:153], v[152:153], v[154:155]
	s_waitcnt vmcnt(8) lgkmcnt(0)
	v_mul_f64 v[154:155], v[6:7], v[32:33]
	v_mul_f64 v[32:33], v[8:9], v[32:33]
	;; [unrolled: 18-line block ×4, first 2 shown]
	v_fma_f64 v[154:155], v[4:5], v[38:39], v[154:155]
	v_fma_f64 v[162:163], v[2:3], v[38:39], -v[40:41]
	ds_load_b128 v[2:5], v1 offset:800
	scratch_load_b128 v[38:41], off, off offset:400
	v_add_f64 v[150:151], v[150:151], v[160:161]
	v_add_f64 v[152:153], v[152:153], v[158:159]
	v_fma_f64 v[156:157], v[8:9], v[142:143], v[156:157]
	v_fma_f64 v[160:161], v[6:7], v[142:143], -v[144:145]
	ds_load_b128 v[6:9], v1 offset:816
	s_waitcnt vmcnt(8) lgkmcnt(1)
	v_mul_f64 v[158:159], v[2:3], v[12:13]
	v_mul_f64 v[12:13], v[4:5], v[12:13]
	scratch_load_b128 v[142:145], off, off offset:416
	v_add_f64 v[150:151], v[150:151], v[162:163]
	v_add_f64 v[152:153], v[152:153], v[154:155]
	s_waitcnt vmcnt(8) lgkmcnt(0)
	v_mul_f64 v[154:155], v[6:7], v[16:17]
	v_mul_f64 v[16:17], v[8:9], v[16:17]
	v_fma_f64 v[158:159], v[4:5], v[10:11], v[158:159]
	v_fma_f64 v[162:163], v[2:3], v[10:11], -v[12:13]
	ds_load_b128 v[2:5], v1 offset:832
	scratch_load_b128 v[10:13], off, off offset:432
	v_add_f64 v[150:151], v[150:151], v[160:161]
	v_add_f64 v[152:153], v[152:153], v[156:157]
	v_fma_f64 v[154:155], v[8:9], v[14:15], v[154:155]
	v_fma_f64 v[160:161], v[6:7], v[14:15], -v[16:17]
	ds_load_b128 v[6:9], v1 offset:848
	s_waitcnt vmcnt(8) lgkmcnt(1)
	v_mul_f64 v[156:157], v[2:3], v[20:21]
	v_mul_f64 v[20:21], v[4:5], v[20:21]
	scratch_load_b128 v[14:17], off, off offset:448
	v_add_f64 v[150:151], v[150:151], v[162:163]
	v_add_f64 v[152:153], v[152:153], v[158:159]
	s_waitcnt vmcnt(8) lgkmcnt(0)
	v_mul_f64 v[158:159], v[6:7], v[24:25]
	v_mul_f64 v[24:25], v[8:9], v[24:25]
	v_fma_f64 v[156:157], v[4:5], v[18:19], v[156:157]
	v_fma_f64 v[162:163], v[2:3], v[18:19], -v[20:21]
	scratch_load_b128 v[18:21], off, off offset:464
	ds_load_b128 v[2:5], v1 offset:864
	v_add_f64 v[150:151], v[150:151], v[160:161]
	v_add_f64 v[152:153], v[152:153], v[154:155]
	v_fma_f64 v[158:159], v[8:9], v[22:23], v[158:159]
	v_fma_f64 v[160:161], v[6:7], v[22:23], -v[24:25]
	ds_load_b128 v[6:9], v1 offset:880
	s_waitcnt vmcnt(8) lgkmcnt(1)
	v_mul_f64 v[154:155], v[2:3], v[28:29]
	v_mul_f64 v[28:29], v[4:5], v[28:29]
	scratch_load_b128 v[22:25], off, off offset:480
	v_add_f64 v[150:151], v[150:151], v[162:163]
	v_add_f64 v[152:153], v[152:153], v[156:157]
	s_waitcnt vmcnt(8) lgkmcnt(0)
	v_mul_f64 v[156:157], v[6:7], v[32:33]
	v_mul_f64 v[32:33], v[8:9], v[32:33]
	v_fma_f64 v[154:155], v[4:5], v[26:27], v[154:155]
	v_fma_f64 v[162:163], v[2:3], v[26:27], -v[28:29]
	scratch_load_b128 v[26:29], off, off offset:496
	ds_load_b128 v[2:5], v1 offset:896
	v_add_f64 v[150:151], v[150:151], v[160:161]
	v_add_f64 v[152:153], v[152:153], v[158:159]
	v_fma_f64 v[156:157], v[8:9], v[30:31], v[156:157]
	v_fma_f64 v[160:161], v[6:7], v[30:31], -v[32:33]
	ds_load_b128 v[6:9], v1 offset:912
	s_waitcnt vmcnt(8) lgkmcnt(1)
	v_mul_f64 v[158:159], v[2:3], v[36:37]
	v_mul_f64 v[36:37], v[4:5], v[36:37]
	scratch_load_b128 v[30:33], off, off offset:512
	v_add_f64 v[150:151], v[150:151], v[162:163]
	v_add_f64 v[152:153], v[152:153], v[154:155]
	s_waitcnt vmcnt(8) lgkmcnt(0)
	v_mul_f64 v[154:155], v[6:7], v[148:149]
	v_mul_f64 v[148:149], v[8:9], v[148:149]
	v_fma_f64 v[158:159], v[4:5], v[34:35], v[158:159]
	v_fma_f64 v[34:35], v[2:3], v[34:35], -v[36:37]
	ds_load_b128 v[2:5], v1 offset:928
	v_add_f64 v[36:37], v[150:151], v[160:161]
	v_add_f64 v[150:151], v[152:153], v[156:157]
	v_fma_f64 v[154:155], v[8:9], v[146:147], v[154:155]
	v_fma_f64 v[146:147], v[6:7], v[146:147], -v[148:149]
	ds_load_b128 v[6:9], v1 offset:944
	s_waitcnt vmcnt(7) lgkmcnt(1)
	v_mul_f64 v[152:153], v[2:3], v[40:41]
	v_mul_f64 v[40:41], v[4:5], v[40:41]
	v_add_f64 v[34:35], v[36:37], v[34:35]
	v_add_f64 v[36:37], v[150:151], v[158:159]
	s_delay_alu instid0(VALU_DEP_4) | instskip(NEXT) | instid1(VALU_DEP_4)
	v_fma_f64 v[150:151], v[4:5], v[38:39], v[152:153]
	v_fma_f64 v[38:39], v[2:3], v[38:39], -v[40:41]
	ds_load_b128 v[2:5], v1 offset:960
	v_add_f64 v[40:41], v[34:35], v[146:147]
	v_add_f64 v[146:147], v[36:37], v[154:155]
	scratch_load_b128 v[34:37], off, off offset:64
	s_waitcnt vmcnt(7) lgkmcnt(1)
	v_mul_f64 v[148:149], v[6:7], v[144:145]
	v_mul_f64 v[144:145], v[8:9], v[144:145]
	v_add_f64 v[38:39], v[40:41], v[38:39]
	v_add_f64 v[40:41], v[146:147], v[150:151]
	s_delay_alu instid0(VALU_DEP_4) | instskip(NEXT) | instid1(VALU_DEP_4)
	v_fma_f64 v[148:149], v[8:9], v[142:143], v[148:149]
	v_fma_f64 v[142:143], v[6:7], v[142:143], -v[144:145]
	ds_load_b128 v[6:9], v1 offset:976
	s_waitcnt vmcnt(6) lgkmcnt(1)
	v_mul_f64 v[152:153], v[2:3], v[12:13]
	v_mul_f64 v[12:13], v[4:5], v[12:13]
	s_waitcnt vmcnt(5) lgkmcnt(0)
	v_mul_f64 v[144:145], v[6:7], v[16:17]
	v_mul_f64 v[16:17], v[8:9], v[16:17]
	s_delay_alu instid0(VALU_DEP_4) | instskip(NEXT) | instid1(VALU_DEP_4)
	v_fma_f64 v[146:147], v[4:5], v[10:11], v[152:153]
	v_fma_f64 v[10:11], v[2:3], v[10:11], -v[12:13]
	v_add_f64 v[12:13], v[38:39], v[142:143]
	v_add_f64 v[38:39], v[40:41], v[148:149]
	ds_load_b128 v[2:5], v1 offset:992
	v_fma_f64 v[142:143], v[8:9], v[14:15], v[144:145]
	v_fma_f64 v[14:15], v[6:7], v[14:15], -v[16:17]
	ds_load_b128 v[6:9], v1 offset:1008
	s_waitcnt vmcnt(4) lgkmcnt(1)
	v_mul_f64 v[40:41], v[2:3], v[20:21]
	v_mul_f64 v[20:21], v[4:5], v[20:21]
	v_add_f64 v[10:11], v[12:13], v[10:11]
	v_add_f64 v[12:13], v[38:39], v[146:147]
	s_waitcnt vmcnt(3) lgkmcnt(0)
	v_mul_f64 v[16:17], v[6:7], v[24:25]
	v_mul_f64 v[24:25], v[8:9], v[24:25]
	v_fma_f64 v[38:39], v[4:5], v[18:19], v[40:41]
	v_fma_f64 v[18:19], v[2:3], v[18:19], -v[20:21]
	ds_load_b128 v[2:5], v1 offset:1024
	v_add_f64 v[10:11], v[10:11], v[14:15]
	v_add_f64 v[12:13], v[12:13], v[142:143]
	v_fma_f64 v[16:17], v[8:9], v[22:23], v[16:17]
	v_fma_f64 v[22:23], v[6:7], v[22:23], -v[24:25]
	ds_load_b128 v[6:9], v1 offset:1040
	s_waitcnt vmcnt(2) lgkmcnt(1)
	v_mul_f64 v[14:15], v[2:3], v[28:29]
	v_mul_f64 v[20:21], v[4:5], v[28:29]
	s_waitcnt vmcnt(1) lgkmcnt(0)
	v_mul_f64 v[24:25], v[8:9], v[32:33]
	v_add_f64 v[10:11], v[10:11], v[18:19]
	v_add_f64 v[12:13], v[12:13], v[38:39]
	v_mul_f64 v[18:19], v[6:7], v[32:33]
	v_fma_f64 v[4:5], v[4:5], v[26:27], v[14:15]
	v_fma_f64 v[1:2], v[2:3], v[26:27], -v[20:21]
	v_fma_f64 v[6:7], v[6:7], v[30:31], -v[24:25]
	v_add_f64 v[10:11], v[10:11], v[22:23]
	v_add_f64 v[12:13], v[12:13], v[16:17]
	v_fma_f64 v[8:9], v[8:9], v[30:31], v[18:19]
	s_delay_alu instid0(VALU_DEP_3) | instskip(NEXT) | instid1(VALU_DEP_3)
	v_add_f64 v[1:2], v[10:11], v[1:2]
	v_add_f64 v[3:4], v[12:13], v[4:5]
	s_delay_alu instid0(VALU_DEP_2) | instskip(NEXT) | instid1(VALU_DEP_2)
	v_add_f64 v[1:2], v[1:2], v[6:7]
	v_add_f64 v[3:4], v[3:4], v[8:9]
	s_waitcnt vmcnt(0)
	s_delay_alu instid0(VALU_DEP_2) | instskip(NEXT) | instid1(VALU_DEP_2)
	v_add_f64 v[1:2], v[34:35], -v[1:2]
	v_add_f64 v[3:4], v[36:37], -v[3:4]
	scratch_store_b128 off, v[1:4], off offset:64
	v_cmpx_lt_u32_e32 3, v108
	s_cbranch_execz .LBB96_205
; %bb.204:
	scratch_load_b128 v[1:4], v112, off
	v_mov_b32_e32 v5, 0
	s_delay_alu instid0(VALU_DEP_1)
	v_mov_b32_e32 v6, v5
	v_mov_b32_e32 v7, v5
	;; [unrolled: 1-line block ×3, first 2 shown]
	scratch_store_b128 off, v[5:8], off offset:48
	s_waitcnt vmcnt(0)
	ds_store_b128 v141, v[1:4]
.LBB96_205:
	s_or_b32 exec_lo, exec_lo, s2
	s_waitcnt lgkmcnt(0)
	s_waitcnt_vscnt null, 0x0
	s_barrier
	buffer_gl0_inv
	s_clause 0x7
	scratch_load_b128 v[2:5], off, off offset:64
	scratch_load_b128 v[6:9], off, off offset:80
	;; [unrolled: 1-line block ×8, first 2 shown]
	v_mov_b32_e32 v1, 0
	s_clause 0x1
	scratch_load_b128 v[34:37], off, off offset:192
	scratch_load_b128 v[146:149], off, off offset:208
	s_mov_b32 s2, exec_lo
	ds_load_b128 v[38:41], v1 offset:592
	ds_load_b128 v[142:145], v1 offset:608
	s_waitcnt vmcnt(9) lgkmcnt(1)
	v_mul_f64 v[150:151], v[40:41], v[4:5]
	v_mul_f64 v[4:5], v[38:39], v[4:5]
	s_waitcnt vmcnt(8) lgkmcnt(0)
	v_mul_f64 v[152:153], v[142:143], v[8:9]
	v_mul_f64 v[8:9], v[144:145], v[8:9]
	s_delay_alu instid0(VALU_DEP_4) | instskip(NEXT) | instid1(VALU_DEP_4)
	v_fma_f64 v[150:151], v[38:39], v[2:3], -v[150:151]
	v_fma_f64 v[154:155], v[40:41], v[2:3], v[4:5]
	ds_load_b128 v[2:5], v1 offset:624
	scratch_load_b128 v[38:41], off, off offset:224
	v_fma_f64 v[152:153], v[144:145], v[6:7], v[152:153]
	v_fma_f64 v[158:159], v[142:143], v[6:7], -v[8:9]
	scratch_load_b128 v[142:145], off, off offset:240
	ds_load_b128 v[6:9], v1 offset:640
	s_waitcnt vmcnt(9) lgkmcnt(1)
	v_mul_f64 v[156:157], v[2:3], v[12:13]
	v_mul_f64 v[12:13], v[4:5], v[12:13]
	s_waitcnt vmcnt(8) lgkmcnt(0)
	v_mul_f64 v[160:161], v[6:7], v[16:17]
	v_mul_f64 v[16:17], v[8:9], v[16:17]
	v_add_f64 v[150:151], v[150:151], 0
	v_add_f64 v[154:155], v[154:155], 0
	v_fma_f64 v[156:157], v[4:5], v[10:11], v[156:157]
	v_fma_f64 v[162:163], v[2:3], v[10:11], -v[12:13]
	ds_load_b128 v[2:5], v1 offset:656
	scratch_load_b128 v[10:13], off, off offset:256
	v_add_f64 v[150:151], v[150:151], v[158:159]
	v_add_f64 v[152:153], v[154:155], v[152:153]
	v_fma_f64 v[158:159], v[8:9], v[14:15], v[160:161]
	v_fma_f64 v[160:161], v[6:7], v[14:15], -v[16:17]
	scratch_load_b128 v[14:17], off, off offset:272
	ds_load_b128 v[6:9], v1 offset:672
	s_waitcnt vmcnt(9) lgkmcnt(1)
	v_mul_f64 v[154:155], v[2:3], v[20:21]
	v_mul_f64 v[20:21], v[4:5], v[20:21]
	v_add_f64 v[150:151], v[150:151], v[162:163]
	v_add_f64 v[152:153], v[152:153], v[156:157]
	s_waitcnt vmcnt(8) lgkmcnt(0)
	v_mul_f64 v[156:157], v[6:7], v[24:25]
	v_mul_f64 v[24:25], v[8:9], v[24:25]
	v_fma_f64 v[154:155], v[4:5], v[18:19], v[154:155]
	v_fma_f64 v[162:163], v[2:3], v[18:19], -v[20:21]
	ds_load_b128 v[2:5], v1 offset:688
	scratch_load_b128 v[18:21], off, off offset:288
	v_add_f64 v[150:151], v[150:151], v[160:161]
	v_add_f64 v[152:153], v[152:153], v[158:159]
	v_fma_f64 v[156:157], v[8:9], v[22:23], v[156:157]
	v_fma_f64 v[160:161], v[6:7], v[22:23], -v[24:25]
	scratch_load_b128 v[22:25], off, off offset:304
	ds_load_b128 v[6:9], v1 offset:704
	s_waitcnt vmcnt(9) lgkmcnt(1)
	v_mul_f64 v[158:159], v[2:3], v[28:29]
	v_mul_f64 v[28:29], v[4:5], v[28:29]
	v_add_f64 v[150:151], v[150:151], v[162:163]
	v_add_f64 v[152:153], v[152:153], v[154:155]
	s_waitcnt vmcnt(8) lgkmcnt(0)
	v_mul_f64 v[154:155], v[6:7], v[32:33]
	v_mul_f64 v[32:33], v[8:9], v[32:33]
	;; [unrolled: 18-line block ×5, first 2 shown]
	v_fma_f64 v[158:159], v[4:5], v[10:11], v[158:159]
	v_fma_f64 v[162:163], v[2:3], v[10:11], -v[12:13]
	ds_load_b128 v[2:5], v1 offset:816
	scratch_load_b128 v[10:13], off, off offset:416
	v_add_f64 v[150:151], v[150:151], v[160:161]
	v_add_f64 v[152:153], v[152:153], v[156:157]
	v_fma_f64 v[154:155], v[8:9], v[14:15], v[154:155]
	v_fma_f64 v[160:161], v[6:7], v[14:15], -v[16:17]
	ds_load_b128 v[6:9], v1 offset:832
	s_waitcnt vmcnt(8) lgkmcnt(1)
	v_mul_f64 v[156:157], v[2:3], v[20:21]
	v_mul_f64 v[20:21], v[4:5], v[20:21]
	scratch_load_b128 v[14:17], off, off offset:432
	v_add_f64 v[150:151], v[150:151], v[162:163]
	v_add_f64 v[152:153], v[152:153], v[158:159]
	s_waitcnt vmcnt(8) lgkmcnt(0)
	v_mul_f64 v[158:159], v[6:7], v[24:25]
	v_mul_f64 v[24:25], v[8:9], v[24:25]
	v_fma_f64 v[156:157], v[4:5], v[18:19], v[156:157]
	v_fma_f64 v[162:163], v[2:3], v[18:19], -v[20:21]
	scratch_load_b128 v[18:21], off, off offset:448
	ds_load_b128 v[2:5], v1 offset:848
	v_add_f64 v[150:151], v[150:151], v[160:161]
	v_add_f64 v[152:153], v[152:153], v[154:155]
	v_fma_f64 v[158:159], v[8:9], v[22:23], v[158:159]
	v_fma_f64 v[160:161], v[6:7], v[22:23], -v[24:25]
	ds_load_b128 v[6:9], v1 offset:864
	s_waitcnt vmcnt(8) lgkmcnt(1)
	v_mul_f64 v[154:155], v[2:3], v[28:29]
	v_mul_f64 v[28:29], v[4:5], v[28:29]
	scratch_load_b128 v[22:25], off, off offset:464
	v_add_f64 v[150:151], v[150:151], v[162:163]
	v_add_f64 v[152:153], v[152:153], v[156:157]
	s_waitcnt vmcnt(8) lgkmcnt(0)
	v_mul_f64 v[156:157], v[6:7], v[32:33]
	v_mul_f64 v[32:33], v[8:9], v[32:33]
	v_fma_f64 v[154:155], v[4:5], v[26:27], v[154:155]
	v_fma_f64 v[162:163], v[2:3], v[26:27], -v[28:29]
	scratch_load_b128 v[26:29], off, off offset:480
	ds_load_b128 v[2:5], v1 offset:880
	;; [unrolled: 18-line block ×3, first 2 shown]
	v_add_f64 v[150:151], v[150:151], v[160:161]
	v_add_f64 v[152:153], v[152:153], v[156:157]
	v_fma_f64 v[154:155], v[8:9], v[146:147], v[154:155]
	v_fma_f64 v[146:147], v[6:7], v[146:147], -v[148:149]
	ds_load_b128 v[6:9], v1 offset:928
	s_waitcnt vmcnt(8) lgkmcnt(1)
	v_mul_f64 v[156:157], v[2:3], v[40:41]
	v_mul_f64 v[40:41], v[4:5], v[40:41]
	v_add_f64 v[148:149], v[150:151], v[162:163]
	v_add_f64 v[150:151], v[152:153], v[158:159]
	s_waitcnt vmcnt(7) lgkmcnt(0)
	v_mul_f64 v[152:153], v[6:7], v[144:145]
	v_mul_f64 v[144:145], v[8:9], v[144:145]
	v_fma_f64 v[156:157], v[4:5], v[38:39], v[156:157]
	v_fma_f64 v[38:39], v[2:3], v[38:39], -v[40:41]
	ds_load_b128 v[2:5], v1 offset:944
	v_add_f64 v[40:41], v[148:149], v[146:147]
	v_add_f64 v[146:147], v[150:151], v[154:155]
	v_fma_f64 v[150:151], v[8:9], v[142:143], v[152:153]
	v_fma_f64 v[142:143], v[6:7], v[142:143], -v[144:145]
	ds_load_b128 v[6:9], v1 offset:960
	s_waitcnt vmcnt(5) lgkmcnt(0)
	v_mul_f64 v[152:153], v[6:7], v[16:17]
	v_mul_f64 v[16:17], v[8:9], v[16:17]
	v_add_f64 v[144:145], v[40:41], v[38:39]
	v_add_f64 v[146:147], v[146:147], v[156:157]
	scratch_load_b128 v[38:41], off, off offset:48
	v_mul_f64 v[148:149], v[2:3], v[12:13]
	v_mul_f64 v[12:13], v[4:5], v[12:13]
	s_delay_alu instid0(VALU_DEP_2) | instskip(NEXT) | instid1(VALU_DEP_2)
	v_fma_f64 v[148:149], v[4:5], v[10:11], v[148:149]
	v_fma_f64 v[10:11], v[2:3], v[10:11], -v[12:13]
	v_add_f64 v[12:13], v[144:145], v[142:143]
	v_add_f64 v[142:143], v[146:147], v[150:151]
	ds_load_b128 v[2:5], v1 offset:976
	v_fma_f64 v[146:147], v[8:9], v[14:15], v[152:153]
	v_fma_f64 v[14:15], v[6:7], v[14:15], -v[16:17]
	ds_load_b128 v[6:9], v1 offset:992
	s_waitcnt vmcnt(5) lgkmcnt(1)
	v_mul_f64 v[144:145], v[2:3], v[20:21]
	v_mul_f64 v[20:21], v[4:5], v[20:21]
	s_waitcnt vmcnt(4) lgkmcnt(0)
	v_mul_f64 v[16:17], v[6:7], v[24:25]
	v_mul_f64 v[24:25], v[8:9], v[24:25]
	v_add_f64 v[10:11], v[12:13], v[10:11]
	v_add_f64 v[12:13], v[142:143], v[148:149]
	v_fma_f64 v[142:143], v[4:5], v[18:19], v[144:145]
	v_fma_f64 v[18:19], v[2:3], v[18:19], -v[20:21]
	ds_load_b128 v[2:5], v1 offset:1008
	v_fma_f64 v[16:17], v[8:9], v[22:23], v[16:17]
	v_fma_f64 v[22:23], v[6:7], v[22:23], -v[24:25]
	ds_load_b128 v[6:9], v1 offset:1024
	v_add_f64 v[10:11], v[10:11], v[14:15]
	v_add_f64 v[12:13], v[12:13], v[146:147]
	s_waitcnt vmcnt(3) lgkmcnt(1)
	v_mul_f64 v[14:15], v[2:3], v[28:29]
	v_mul_f64 v[20:21], v[4:5], v[28:29]
	s_waitcnt vmcnt(2) lgkmcnt(0)
	v_mul_f64 v[24:25], v[8:9], v[32:33]
	v_add_f64 v[10:11], v[10:11], v[18:19]
	v_add_f64 v[12:13], v[12:13], v[142:143]
	v_mul_f64 v[18:19], v[6:7], v[32:33]
	v_fma_f64 v[14:15], v[4:5], v[26:27], v[14:15]
	v_fma_f64 v[20:21], v[2:3], v[26:27], -v[20:21]
	ds_load_b128 v[2:5], v1 offset:1040
	v_fma_f64 v[6:7], v[6:7], v[30:31], -v[24:25]
	v_add_f64 v[10:11], v[10:11], v[22:23]
	v_add_f64 v[12:13], v[12:13], v[16:17]
	s_waitcnt vmcnt(1) lgkmcnt(0)
	v_mul_f64 v[16:17], v[2:3], v[36:37]
	v_mul_f64 v[22:23], v[4:5], v[36:37]
	v_fma_f64 v[8:9], v[8:9], v[30:31], v[18:19]
	v_add_f64 v[10:11], v[10:11], v[20:21]
	v_add_f64 v[12:13], v[12:13], v[14:15]
	v_fma_f64 v[4:5], v[4:5], v[34:35], v[16:17]
	v_fma_f64 v[2:3], v[2:3], v[34:35], -v[22:23]
	s_delay_alu instid0(VALU_DEP_4) | instskip(NEXT) | instid1(VALU_DEP_4)
	v_add_f64 v[6:7], v[10:11], v[6:7]
	v_add_f64 v[8:9], v[12:13], v[8:9]
	s_delay_alu instid0(VALU_DEP_2) | instskip(NEXT) | instid1(VALU_DEP_2)
	v_add_f64 v[2:3], v[6:7], v[2:3]
	v_add_f64 v[4:5], v[8:9], v[4:5]
	s_waitcnt vmcnt(0)
	s_delay_alu instid0(VALU_DEP_2) | instskip(NEXT) | instid1(VALU_DEP_2)
	v_add_f64 v[2:3], v[38:39], -v[2:3]
	v_add_f64 v[4:5], v[40:41], -v[4:5]
	scratch_store_b128 off, v[2:5], off offset:48
	v_cmpx_lt_u32_e32 2, v108
	s_cbranch_execz .LBB96_207
; %bb.206:
	scratch_load_b128 v[5:8], v113, off
	v_mov_b32_e32 v2, v1
	v_mov_b32_e32 v3, v1
	;; [unrolled: 1-line block ×3, first 2 shown]
	scratch_store_b128 off, v[1:4], off offset:32
	s_waitcnt vmcnt(0)
	ds_store_b128 v141, v[5:8]
.LBB96_207:
	s_or_b32 exec_lo, exec_lo, s2
	s_waitcnt lgkmcnt(0)
	s_waitcnt_vscnt null, 0x0
	s_barrier
	buffer_gl0_inv
	s_clause 0x7
	scratch_load_b128 v[2:5], off, off offset:48
	scratch_load_b128 v[6:9], off, off offset:64
	;; [unrolled: 1-line block ×8, first 2 shown]
	ds_load_b128 v[38:41], v1 offset:576
	ds_load_b128 v[142:145], v1 offset:592
	s_clause 0x1
	scratch_load_b128 v[34:37], off, off offset:176
	scratch_load_b128 v[146:149], off, off offset:192
	s_mov_b32 s2, exec_lo
	s_waitcnt vmcnt(9) lgkmcnt(1)
	v_mul_f64 v[150:151], v[40:41], v[4:5]
	v_mul_f64 v[4:5], v[38:39], v[4:5]
	s_waitcnt vmcnt(8) lgkmcnt(0)
	v_mul_f64 v[152:153], v[142:143], v[8:9]
	v_mul_f64 v[8:9], v[144:145], v[8:9]
	s_delay_alu instid0(VALU_DEP_4) | instskip(NEXT) | instid1(VALU_DEP_4)
	v_fma_f64 v[150:151], v[38:39], v[2:3], -v[150:151]
	v_fma_f64 v[154:155], v[40:41], v[2:3], v[4:5]
	ds_load_b128 v[2:5], v1 offset:608
	scratch_load_b128 v[38:41], off, off offset:208
	v_fma_f64 v[152:153], v[144:145], v[6:7], v[152:153]
	v_fma_f64 v[158:159], v[142:143], v[6:7], -v[8:9]
	scratch_load_b128 v[142:145], off, off offset:224
	ds_load_b128 v[6:9], v1 offset:624
	s_waitcnt vmcnt(9) lgkmcnt(1)
	v_mul_f64 v[156:157], v[2:3], v[12:13]
	v_mul_f64 v[12:13], v[4:5], v[12:13]
	s_waitcnt vmcnt(8) lgkmcnt(0)
	v_mul_f64 v[160:161], v[6:7], v[16:17]
	v_mul_f64 v[16:17], v[8:9], v[16:17]
	v_add_f64 v[150:151], v[150:151], 0
	v_add_f64 v[154:155], v[154:155], 0
	v_fma_f64 v[156:157], v[4:5], v[10:11], v[156:157]
	v_fma_f64 v[162:163], v[2:3], v[10:11], -v[12:13]
	scratch_load_b128 v[10:13], off, off offset:240
	ds_load_b128 v[2:5], v1 offset:640
	v_add_f64 v[150:151], v[150:151], v[158:159]
	v_add_f64 v[152:153], v[154:155], v[152:153]
	v_fma_f64 v[158:159], v[8:9], v[14:15], v[160:161]
	v_fma_f64 v[160:161], v[6:7], v[14:15], -v[16:17]
	ds_load_b128 v[6:9], v1 offset:656
	scratch_load_b128 v[14:17], off, off offset:256
	s_waitcnt vmcnt(9) lgkmcnt(1)
	v_mul_f64 v[154:155], v[2:3], v[20:21]
	v_mul_f64 v[20:21], v[4:5], v[20:21]
	v_add_f64 v[150:151], v[150:151], v[162:163]
	v_add_f64 v[152:153], v[152:153], v[156:157]
	s_waitcnt vmcnt(8) lgkmcnt(0)
	v_mul_f64 v[156:157], v[6:7], v[24:25]
	v_mul_f64 v[24:25], v[8:9], v[24:25]
	v_fma_f64 v[154:155], v[4:5], v[18:19], v[154:155]
	v_fma_f64 v[162:163], v[2:3], v[18:19], -v[20:21]
	ds_load_b128 v[2:5], v1 offset:672
	scratch_load_b128 v[18:21], off, off offset:272
	v_add_f64 v[150:151], v[150:151], v[160:161]
	v_add_f64 v[152:153], v[152:153], v[158:159]
	v_fma_f64 v[156:157], v[8:9], v[22:23], v[156:157]
	v_fma_f64 v[160:161], v[6:7], v[22:23], -v[24:25]
	scratch_load_b128 v[22:25], off, off offset:288
	ds_load_b128 v[6:9], v1 offset:688
	s_waitcnt vmcnt(9) lgkmcnt(1)
	v_mul_f64 v[158:159], v[2:3], v[28:29]
	v_mul_f64 v[28:29], v[4:5], v[28:29]
	v_add_f64 v[150:151], v[150:151], v[162:163]
	v_add_f64 v[152:153], v[152:153], v[154:155]
	s_waitcnt vmcnt(8) lgkmcnt(0)
	v_mul_f64 v[154:155], v[6:7], v[32:33]
	v_mul_f64 v[32:33], v[8:9], v[32:33]
	v_fma_f64 v[158:159], v[4:5], v[26:27], v[158:159]
	v_fma_f64 v[162:163], v[2:3], v[26:27], -v[28:29]
	ds_load_b128 v[2:5], v1 offset:704
	scratch_load_b128 v[26:29], off, off offset:304
	v_add_f64 v[150:151], v[150:151], v[160:161]
	v_add_f64 v[152:153], v[152:153], v[156:157]
	v_fma_f64 v[154:155], v[8:9], v[30:31], v[154:155]
	v_fma_f64 v[160:161], v[6:7], v[30:31], -v[32:33]
	scratch_load_b128 v[30:33], off, off offset:320
	ds_load_b128 v[6:9], v1 offset:720
	;; [unrolled: 18-line block ×3, first 2 shown]
	s_waitcnt vmcnt(9) lgkmcnt(1)
	v_mul_f64 v[154:155], v[2:3], v[40:41]
	v_mul_f64 v[40:41], v[4:5], v[40:41]
	v_add_f64 v[150:151], v[150:151], v[162:163]
	v_add_f64 v[152:153], v[152:153], v[156:157]
	s_waitcnt vmcnt(8) lgkmcnt(0)
	v_mul_f64 v[156:157], v[6:7], v[144:145]
	v_mul_f64 v[144:145], v[8:9], v[144:145]
	v_fma_f64 v[154:155], v[4:5], v[38:39], v[154:155]
	v_fma_f64 v[162:163], v[2:3], v[38:39], -v[40:41]
	ds_load_b128 v[2:5], v1 offset:768
	scratch_load_b128 v[38:41], off, off offset:368
	v_add_f64 v[150:151], v[150:151], v[160:161]
	v_add_f64 v[152:153], v[152:153], v[158:159]
	v_fma_f64 v[156:157], v[8:9], v[142:143], v[156:157]
	v_fma_f64 v[160:161], v[6:7], v[142:143], -v[144:145]
	ds_load_b128 v[6:9], v1 offset:784
	s_waitcnt vmcnt(8) lgkmcnt(1)
	v_mul_f64 v[158:159], v[2:3], v[12:13]
	v_mul_f64 v[12:13], v[4:5], v[12:13]
	scratch_load_b128 v[142:145], off, off offset:384
	v_add_f64 v[150:151], v[150:151], v[162:163]
	v_add_f64 v[152:153], v[152:153], v[154:155]
	s_waitcnt vmcnt(8) lgkmcnt(0)
	v_mul_f64 v[154:155], v[6:7], v[16:17]
	v_mul_f64 v[16:17], v[8:9], v[16:17]
	v_fma_f64 v[158:159], v[4:5], v[10:11], v[158:159]
	v_fma_f64 v[162:163], v[2:3], v[10:11], -v[12:13]
	scratch_load_b128 v[10:13], off, off offset:400
	ds_load_b128 v[2:5], v1 offset:800
	v_add_f64 v[150:151], v[150:151], v[160:161]
	v_add_f64 v[152:153], v[152:153], v[156:157]
	v_fma_f64 v[154:155], v[8:9], v[14:15], v[154:155]
	v_fma_f64 v[160:161], v[6:7], v[14:15], -v[16:17]
	ds_load_b128 v[6:9], v1 offset:816
	s_waitcnt vmcnt(8) lgkmcnt(1)
	v_mul_f64 v[156:157], v[2:3], v[20:21]
	v_mul_f64 v[20:21], v[4:5], v[20:21]
	scratch_load_b128 v[14:17], off, off offset:416
	v_add_f64 v[150:151], v[150:151], v[162:163]
	v_add_f64 v[152:153], v[152:153], v[158:159]
	s_waitcnt vmcnt(8) lgkmcnt(0)
	v_mul_f64 v[158:159], v[6:7], v[24:25]
	v_mul_f64 v[24:25], v[8:9], v[24:25]
	v_fma_f64 v[156:157], v[4:5], v[18:19], v[156:157]
	v_fma_f64 v[162:163], v[2:3], v[18:19], -v[20:21]
	scratch_load_b128 v[18:21], off, off offset:432
	ds_load_b128 v[2:5], v1 offset:832
	;; [unrolled: 18-line block ×4, first 2 shown]
	v_add_f64 v[150:151], v[150:151], v[160:161]
	v_add_f64 v[152:153], v[152:153], v[156:157]
	v_fma_f64 v[154:155], v[8:9], v[146:147], v[154:155]
	v_fma_f64 v[160:161], v[6:7], v[146:147], -v[148:149]
	ds_load_b128 v[6:9], v1 offset:912
	s_waitcnt vmcnt(8) lgkmcnt(1)
	v_mul_f64 v[156:157], v[2:3], v[40:41]
	v_mul_f64 v[40:41], v[4:5], v[40:41]
	scratch_load_b128 v[146:149], off, off offset:512
	v_add_f64 v[150:151], v[150:151], v[162:163]
	v_add_f64 v[152:153], v[152:153], v[158:159]
	v_fma_f64 v[156:157], v[4:5], v[38:39], v[156:157]
	v_fma_f64 v[38:39], v[2:3], v[38:39], -v[40:41]
	ds_load_b128 v[2:5], v1 offset:928
	v_add_f64 v[40:41], v[150:151], v[160:161]
	v_add_f64 v[150:151], v[152:153], v[154:155]
	s_waitcnt vmcnt(7) lgkmcnt(0)
	v_mul_f64 v[152:153], v[2:3], v[12:13]
	v_mul_f64 v[12:13], v[4:5], v[12:13]
	s_delay_alu instid0(VALU_DEP_4) | instskip(NEXT) | instid1(VALU_DEP_4)
	v_add_f64 v[38:39], v[40:41], v[38:39]
	v_add_f64 v[40:41], v[150:151], v[156:157]
	s_delay_alu instid0(VALU_DEP_4) | instskip(NEXT) | instid1(VALU_DEP_4)
	v_fma_f64 v[150:151], v[4:5], v[10:11], v[152:153]
	v_fma_f64 v[152:153], v[2:3], v[10:11], -v[12:13]
	scratch_load_b128 v[10:13], off, off offset:32
	v_mul_f64 v[158:159], v[6:7], v[144:145]
	v_mul_f64 v[144:145], v[8:9], v[144:145]
	ds_load_b128 v[2:5], v1 offset:960
	v_fma_f64 v[154:155], v[8:9], v[142:143], v[158:159]
	v_fma_f64 v[142:143], v[6:7], v[142:143], -v[144:145]
	ds_load_b128 v[6:9], v1 offset:944
	s_waitcnt vmcnt(7) lgkmcnt(0)
	v_mul_f64 v[144:145], v[6:7], v[16:17]
	v_mul_f64 v[16:17], v[8:9], v[16:17]
	v_add_f64 v[40:41], v[40:41], v[154:155]
	v_add_f64 v[38:39], v[38:39], v[142:143]
	s_waitcnt vmcnt(6)
	v_mul_f64 v[142:143], v[2:3], v[20:21]
	v_mul_f64 v[20:21], v[4:5], v[20:21]
	v_fma_f64 v[144:145], v[8:9], v[14:15], v[144:145]
	v_fma_f64 v[14:15], v[6:7], v[14:15], -v[16:17]
	ds_load_b128 v[6:9], v1 offset:976
	v_add_f64 v[16:17], v[38:39], v[152:153]
	v_add_f64 v[38:39], v[40:41], v[150:151]
	v_fma_f64 v[142:143], v[4:5], v[18:19], v[142:143]
	v_fma_f64 v[18:19], v[2:3], v[18:19], -v[20:21]
	ds_load_b128 v[2:5], v1 offset:992
	s_waitcnt vmcnt(5) lgkmcnt(1)
	v_mul_f64 v[40:41], v[6:7], v[24:25]
	v_mul_f64 v[24:25], v[8:9], v[24:25]
	s_waitcnt vmcnt(4) lgkmcnt(0)
	v_mul_f64 v[20:21], v[2:3], v[28:29]
	v_mul_f64 v[28:29], v[4:5], v[28:29]
	v_add_f64 v[14:15], v[16:17], v[14:15]
	v_add_f64 v[16:17], v[38:39], v[144:145]
	v_fma_f64 v[38:39], v[8:9], v[22:23], v[40:41]
	v_fma_f64 v[22:23], v[6:7], v[22:23], -v[24:25]
	ds_load_b128 v[6:9], v1 offset:1008
	v_fma_f64 v[20:21], v[4:5], v[26:27], v[20:21]
	v_fma_f64 v[26:27], v[2:3], v[26:27], -v[28:29]
	ds_load_b128 v[2:5], v1 offset:1024
	s_waitcnt vmcnt(3) lgkmcnt(1)
	v_mul_f64 v[24:25], v[8:9], v[32:33]
	v_add_f64 v[14:15], v[14:15], v[18:19]
	v_add_f64 v[16:17], v[16:17], v[142:143]
	v_mul_f64 v[18:19], v[6:7], v[32:33]
	s_waitcnt vmcnt(2) lgkmcnt(0)
	v_mul_f64 v[28:29], v[4:5], v[36:37]
	v_fma_f64 v[24:25], v[6:7], v[30:31], -v[24:25]
	v_add_f64 v[14:15], v[14:15], v[22:23]
	v_add_f64 v[16:17], v[16:17], v[38:39]
	v_mul_f64 v[22:23], v[2:3], v[36:37]
	v_fma_f64 v[18:19], v[8:9], v[30:31], v[18:19]
	ds_load_b128 v[6:9], v1 offset:1040
	v_fma_f64 v[1:2], v[2:3], v[34:35], -v[28:29]
	v_add_f64 v[14:15], v[14:15], v[26:27]
	v_add_f64 v[16:17], v[16:17], v[20:21]
	s_waitcnt vmcnt(1) lgkmcnt(0)
	v_mul_f64 v[20:21], v[6:7], v[148:149]
	v_mul_f64 v[26:27], v[8:9], v[148:149]
	v_fma_f64 v[4:5], v[4:5], v[34:35], v[22:23]
	v_add_f64 v[14:15], v[14:15], v[24:25]
	v_add_f64 v[16:17], v[16:17], v[18:19]
	v_fma_f64 v[8:9], v[8:9], v[146:147], v[20:21]
	v_fma_f64 v[6:7], v[6:7], v[146:147], -v[26:27]
	s_delay_alu instid0(VALU_DEP_4) | instskip(NEXT) | instid1(VALU_DEP_4)
	v_add_f64 v[1:2], v[14:15], v[1:2]
	v_add_f64 v[3:4], v[16:17], v[4:5]
	s_delay_alu instid0(VALU_DEP_2) | instskip(NEXT) | instid1(VALU_DEP_2)
	v_add_f64 v[1:2], v[1:2], v[6:7]
	v_add_f64 v[3:4], v[3:4], v[8:9]
	s_waitcnt vmcnt(0)
	s_delay_alu instid0(VALU_DEP_2) | instskip(NEXT) | instid1(VALU_DEP_2)
	v_add_f64 v[1:2], v[10:11], -v[1:2]
	v_add_f64 v[3:4], v[12:13], -v[3:4]
	scratch_store_b128 off, v[1:4], off offset:32
	v_cmpx_lt_u32_e32 1, v108
	s_cbranch_execz .LBB96_209
; %bb.208:
	scratch_load_b128 v[1:4], v118, off
	v_mov_b32_e32 v5, 0
	s_delay_alu instid0(VALU_DEP_1)
	v_mov_b32_e32 v6, v5
	v_mov_b32_e32 v7, v5
	;; [unrolled: 1-line block ×3, first 2 shown]
	scratch_store_b128 off, v[5:8], off offset:16
	s_waitcnt vmcnt(0)
	ds_store_b128 v141, v[1:4]
.LBB96_209:
	s_or_b32 exec_lo, exec_lo, s2
	s_waitcnt lgkmcnt(0)
	s_waitcnt_vscnt null, 0x0
	s_barrier
	buffer_gl0_inv
	s_clause 0x7
	scratch_load_b128 v[2:5], off, off offset:32
	scratch_load_b128 v[6:9], off, off offset:48
	;; [unrolled: 1-line block ×8, first 2 shown]
	v_mov_b32_e32 v1, 0
	s_clause 0x1
	scratch_load_b128 v[34:37], off, off offset:160
	scratch_load_b128 v[146:149], off, off offset:176
	s_mov_b32 s2, exec_lo
	ds_load_b128 v[38:41], v1 offset:560
	ds_load_b128 v[142:145], v1 offset:576
	s_waitcnt vmcnt(9) lgkmcnt(1)
	v_mul_f64 v[150:151], v[40:41], v[4:5]
	v_mul_f64 v[4:5], v[38:39], v[4:5]
	s_waitcnt vmcnt(8) lgkmcnt(0)
	v_mul_f64 v[152:153], v[142:143], v[8:9]
	v_mul_f64 v[8:9], v[144:145], v[8:9]
	s_delay_alu instid0(VALU_DEP_4) | instskip(NEXT) | instid1(VALU_DEP_4)
	v_fma_f64 v[150:151], v[38:39], v[2:3], -v[150:151]
	v_fma_f64 v[154:155], v[40:41], v[2:3], v[4:5]
	ds_load_b128 v[2:5], v1 offset:592
	scratch_load_b128 v[38:41], off, off offset:192
	v_fma_f64 v[152:153], v[144:145], v[6:7], v[152:153]
	v_fma_f64 v[158:159], v[142:143], v[6:7], -v[8:9]
	scratch_load_b128 v[142:145], off, off offset:208
	ds_load_b128 v[6:9], v1 offset:608
	s_waitcnt vmcnt(9) lgkmcnt(1)
	v_mul_f64 v[156:157], v[2:3], v[12:13]
	v_mul_f64 v[12:13], v[4:5], v[12:13]
	s_waitcnt vmcnt(8) lgkmcnt(0)
	v_mul_f64 v[160:161], v[6:7], v[16:17]
	v_mul_f64 v[16:17], v[8:9], v[16:17]
	v_add_f64 v[150:151], v[150:151], 0
	v_add_f64 v[154:155], v[154:155], 0
	v_fma_f64 v[156:157], v[4:5], v[10:11], v[156:157]
	v_fma_f64 v[162:163], v[2:3], v[10:11], -v[12:13]
	ds_load_b128 v[2:5], v1 offset:624
	scratch_load_b128 v[10:13], off, off offset:224
	v_add_f64 v[150:151], v[150:151], v[158:159]
	v_add_f64 v[152:153], v[154:155], v[152:153]
	v_fma_f64 v[158:159], v[8:9], v[14:15], v[160:161]
	v_fma_f64 v[160:161], v[6:7], v[14:15], -v[16:17]
	scratch_load_b128 v[14:17], off, off offset:240
	ds_load_b128 v[6:9], v1 offset:640
	s_waitcnt vmcnt(9) lgkmcnt(1)
	v_mul_f64 v[154:155], v[2:3], v[20:21]
	v_mul_f64 v[20:21], v[4:5], v[20:21]
	v_add_f64 v[150:151], v[150:151], v[162:163]
	v_add_f64 v[152:153], v[152:153], v[156:157]
	s_waitcnt vmcnt(8) lgkmcnt(0)
	v_mul_f64 v[156:157], v[6:7], v[24:25]
	v_mul_f64 v[24:25], v[8:9], v[24:25]
	v_fma_f64 v[154:155], v[4:5], v[18:19], v[154:155]
	v_fma_f64 v[162:163], v[2:3], v[18:19], -v[20:21]
	ds_load_b128 v[2:5], v1 offset:656
	scratch_load_b128 v[18:21], off, off offset:256
	v_add_f64 v[150:151], v[150:151], v[160:161]
	v_add_f64 v[152:153], v[152:153], v[158:159]
	v_fma_f64 v[156:157], v[8:9], v[22:23], v[156:157]
	v_fma_f64 v[160:161], v[6:7], v[22:23], -v[24:25]
	scratch_load_b128 v[22:25], off, off offset:272
	ds_load_b128 v[6:9], v1 offset:672
	s_waitcnt vmcnt(9) lgkmcnt(1)
	v_mul_f64 v[158:159], v[2:3], v[28:29]
	v_mul_f64 v[28:29], v[4:5], v[28:29]
	v_add_f64 v[150:151], v[150:151], v[162:163]
	v_add_f64 v[152:153], v[152:153], v[154:155]
	s_waitcnt vmcnt(8) lgkmcnt(0)
	v_mul_f64 v[154:155], v[6:7], v[32:33]
	v_mul_f64 v[32:33], v[8:9], v[32:33]
	;; [unrolled: 18-line block ×6, first 2 shown]
	v_fma_f64 v[156:157], v[4:5], v[18:19], v[156:157]
	v_fma_f64 v[162:163], v[2:3], v[18:19], -v[20:21]
	ds_load_b128 v[2:5], v1 offset:816
	scratch_load_b128 v[18:21], off, off offset:416
	v_add_f64 v[150:151], v[150:151], v[160:161]
	v_add_f64 v[152:153], v[152:153], v[154:155]
	v_fma_f64 v[158:159], v[8:9], v[22:23], v[158:159]
	v_fma_f64 v[160:161], v[6:7], v[22:23], -v[24:25]
	ds_load_b128 v[6:9], v1 offset:832
	s_waitcnt vmcnt(8) lgkmcnt(1)
	v_mul_f64 v[154:155], v[2:3], v[28:29]
	v_mul_f64 v[28:29], v[4:5], v[28:29]
	scratch_load_b128 v[22:25], off, off offset:432
	v_add_f64 v[150:151], v[150:151], v[162:163]
	v_add_f64 v[152:153], v[152:153], v[156:157]
	s_waitcnt vmcnt(8) lgkmcnt(0)
	v_mul_f64 v[156:157], v[6:7], v[32:33]
	v_mul_f64 v[32:33], v[8:9], v[32:33]
	v_fma_f64 v[154:155], v[4:5], v[26:27], v[154:155]
	v_fma_f64 v[162:163], v[2:3], v[26:27], -v[28:29]
	scratch_load_b128 v[26:29], off, off offset:448
	ds_load_b128 v[2:5], v1 offset:848
	v_add_f64 v[150:151], v[150:151], v[160:161]
	v_add_f64 v[152:153], v[152:153], v[158:159]
	v_fma_f64 v[156:157], v[8:9], v[30:31], v[156:157]
	v_fma_f64 v[160:161], v[6:7], v[30:31], -v[32:33]
	ds_load_b128 v[6:9], v1 offset:864
	s_waitcnt vmcnt(8) lgkmcnt(1)
	v_mul_f64 v[158:159], v[2:3], v[36:37]
	v_mul_f64 v[36:37], v[4:5], v[36:37]
	scratch_load_b128 v[30:33], off, off offset:464
	v_add_f64 v[150:151], v[150:151], v[162:163]
	v_add_f64 v[152:153], v[152:153], v[154:155]
	s_waitcnt vmcnt(8) lgkmcnt(0)
	v_mul_f64 v[154:155], v[6:7], v[148:149]
	v_mul_f64 v[148:149], v[8:9], v[148:149]
	v_fma_f64 v[158:159], v[4:5], v[34:35], v[158:159]
	v_fma_f64 v[162:163], v[2:3], v[34:35], -v[36:37]
	scratch_load_b128 v[34:37], off, off offset:480
	ds_load_b128 v[2:5], v1 offset:880
	;; [unrolled: 18-line block ×3, first 2 shown]
	v_add_f64 v[150:151], v[150:151], v[160:161]
	v_add_f64 v[152:153], v[152:153], v[154:155]
	v_fma_f64 v[158:159], v[8:9], v[142:143], v[158:159]
	v_fma_f64 v[142:143], v[6:7], v[142:143], -v[144:145]
	ds_load_b128 v[6:9], v1 offset:928
	s_waitcnt vmcnt(8) lgkmcnt(1)
	v_mul_f64 v[154:155], v[2:3], v[12:13]
	v_mul_f64 v[12:13], v[4:5], v[12:13]
	v_add_f64 v[144:145], v[150:151], v[162:163]
	v_add_f64 v[150:151], v[152:153], v[156:157]
	s_waitcnt vmcnt(7) lgkmcnt(0)
	v_mul_f64 v[152:153], v[6:7], v[16:17]
	v_mul_f64 v[16:17], v[8:9], v[16:17]
	v_fma_f64 v[154:155], v[4:5], v[10:11], v[154:155]
	v_fma_f64 v[10:11], v[2:3], v[10:11], -v[12:13]
	ds_load_b128 v[2:5], v1 offset:944
	v_add_f64 v[12:13], v[144:145], v[142:143]
	v_add_f64 v[142:143], v[150:151], v[158:159]
	v_fma_f64 v[150:151], v[8:9], v[14:15], v[152:153]
	v_fma_f64 v[14:15], v[6:7], v[14:15], -v[16:17]
	ds_load_b128 v[6:9], v1 offset:960
	s_waitcnt vmcnt(5) lgkmcnt(0)
	v_mul_f64 v[152:153], v[6:7], v[24:25]
	v_mul_f64 v[24:25], v[8:9], v[24:25]
	v_add_f64 v[16:17], v[12:13], v[10:11]
	v_add_f64 v[142:143], v[142:143], v[154:155]
	scratch_load_b128 v[10:13], off, off offset:16
	v_mul_f64 v[144:145], v[2:3], v[20:21]
	v_mul_f64 v[20:21], v[4:5], v[20:21]
	v_add_f64 v[14:15], v[16:17], v[14:15]
	v_add_f64 v[16:17], v[142:143], v[150:151]
	v_fma_f64 v[142:143], v[8:9], v[22:23], v[152:153]
	v_fma_f64 v[144:145], v[4:5], v[18:19], v[144:145]
	v_fma_f64 v[18:19], v[2:3], v[18:19], -v[20:21]
	ds_load_b128 v[2:5], v1 offset:976
	v_fma_f64 v[22:23], v[6:7], v[22:23], -v[24:25]
	ds_load_b128 v[6:9], v1 offset:992
	s_waitcnt vmcnt(5) lgkmcnt(1)
	v_mul_f64 v[20:21], v[2:3], v[28:29]
	v_mul_f64 v[28:29], v[4:5], v[28:29]
	s_waitcnt vmcnt(4) lgkmcnt(0)
	v_mul_f64 v[24:25], v[8:9], v[32:33]
	v_add_f64 v[16:17], v[16:17], v[144:145]
	v_add_f64 v[14:15], v[14:15], v[18:19]
	v_mul_f64 v[18:19], v[6:7], v[32:33]
	v_fma_f64 v[20:21], v[4:5], v[26:27], v[20:21]
	v_fma_f64 v[26:27], v[2:3], v[26:27], -v[28:29]
	ds_load_b128 v[2:5], v1 offset:1008
	v_fma_f64 v[24:25], v[6:7], v[30:31], -v[24:25]
	v_add_f64 v[16:17], v[16:17], v[142:143]
	v_add_f64 v[14:15], v[14:15], v[22:23]
	v_fma_f64 v[18:19], v[8:9], v[30:31], v[18:19]
	ds_load_b128 v[6:9], v1 offset:1024
	s_waitcnt vmcnt(3) lgkmcnt(1)
	v_mul_f64 v[22:23], v[2:3], v[36:37]
	v_mul_f64 v[28:29], v[4:5], v[36:37]
	v_add_f64 v[16:17], v[16:17], v[20:21]
	v_add_f64 v[14:15], v[14:15], v[26:27]
	s_waitcnt vmcnt(2) lgkmcnt(0)
	v_mul_f64 v[20:21], v[6:7], v[148:149]
	v_mul_f64 v[26:27], v[8:9], v[148:149]
	v_fma_f64 v[22:23], v[4:5], v[34:35], v[22:23]
	v_fma_f64 v[28:29], v[2:3], v[34:35], -v[28:29]
	ds_load_b128 v[2:5], v1 offset:1040
	v_add_f64 v[16:17], v[16:17], v[18:19]
	v_add_f64 v[14:15], v[14:15], v[24:25]
	s_waitcnt vmcnt(1) lgkmcnt(0)
	v_mul_f64 v[18:19], v[2:3], v[40:41]
	v_mul_f64 v[24:25], v[4:5], v[40:41]
	v_fma_f64 v[8:9], v[8:9], v[146:147], v[20:21]
	v_fma_f64 v[6:7], v[6:7], v[146:147], -v[26:27]
	v_add_f64 v[16:17], v[16:17], v[22:23]
	v_add_f64 v[14:15], v[14:15], v[28:29]
	v_fma_f64 v[4:5], v[4:5], v[38:39], v[18:19]
	v_fma_f64 v[2:3], v[2:3], v[38:39], -v[24:25]
	s_delay_alu instid0(VALU_DEP_4) | instskip(NEXT) | instid1(VALU_DEP_4)
	v_add_f64 v[8:9], v[16:17], v[8:9]
	v_add_f64 v[6:7], v[14:15], v[6:7]
	s_delay_alu instid0(VALU_DEP_2) | instskip(NEXT) | instid1(VALU_DEP_2)
	v_add_f64 v[4:5], v[8:9], v[4:5]
	v_add_f64 v[2:3], v[6:7], v[2:3]
	s_waitcnt vmcnt(0)
	s_delay_alu instid0(VALU_DEP_2) | instskip(NEXT) | instid1(VALU_DEP_2)
	v_add_f64 v[4:5], v[12:13], -v[4:5]
	v_add_f64 v[2:3], v[10:11], -v[2:3]
	scratch_store_b128 off, v[2:5], off offset:16
	v_cmpx_ne_u32_e32 0, v108
	s_cbranch_execz .LBB96_211
; %bb.210:
	scratch_load_b128 v[5:8], off, off
	v_mov_b32_e32 v2, v1
	v_mov_b32_e32 v3, v1
	;; [unrolled: 1-line block ×3, first 2 shown]
	scratch_store_b128 off, v[1:4], off
	s_waitcnt vmcnt(0)
	ds_store_b128 v141, v[5:8]
.LBB96_211:
	s_or_b32 exec_lo, exec_lo, s2
	s_waitcnt lgkmcnt(0)
	s_waitcnt_vscnt null, 0x0
	s_barrier
	buffer_gl0_inv
	s_clause 0x7
	scratch_load_b128 v[2:5], off, off offset:16
	scratch_load_b128 v[6:9], off, off offset:32
	;; [unrolled: 1-line block ×8, first 2 shown]
	ds_load_b128 v[38:41], v1 offset:544
	ds_load_b128 v[141:144], v1 offset:560
	s_clause 0x1
	scratch_load_b128 v[34:37], off, off offset:144
	scratch_load_b128 v[145:148], off, off offset:160
	s_and_b32 vcc_lo, exec_lo, s14
	s_waitcnt vmcnt(9) lgkmcnt(1)
	v_mul_f64 v[149:150], v[40:41], v[4:5]
	v_mul_f64 v[4:5], v[38:39], v[4:5]
	s_waitcnt vmcnt(8) lgkmcnt(0)
	v_mul_f64 v[151:152], v[141:142], v[8:9]
	v_mul_f64 v[8:9], v[143:144], v[8:9]
	s_delay_alu instid0(VALU_DEP_4) | instskip(NEXT) | instid1(VALU_DEP_4)
	v_fma_f64 v[149:150], v[38:39], v[2:3], -v[149:150]
	v_fma_f64 v[153:154], v[40:41], v[2:3], v[4:5]
	ds_load_b128 v[2:5], v1 offset:576
	scratch_load_b128 v[38:41], off, off offset:176
	v_fma_f64 v[151:152], v[143:144], v[6:7], v[151:152]
	v_fma_f64 v[157:158], v[141:142], v[6:7], -v[8:9]
	scratch_load_b128 v[141:144], off, off offset:192
	ds_load_b128 v[6:9], v1 offset:592
	s_waitcnt vmcnt(9) lgkmcnt(1)
	v_mul_f64 v[155:156], v[2:3], v[12:13]
	v_mul_f64 v[12:13], v[4:5], v[12:13]
	s_waitcnt vmcnt(8) lgkmcnt(0)
	v_mul_f64 v[159:160], v[6:7], v[16:17]
	v_mul_f64 v[16:17], v[8:9], v[16:17]
	v_add_f64 v[149:150], v[149:150], 0
	v_add_f64 v[153:154], v[153:154], 0
	v_fma_f64 v[155:156], v[4:5], v[10:11], v[155:156]
	v_fma_f64 v[161:162], v[2:3], v[10:11], -v[12:13]
	ds_load_b128 v[2:5], v1 offset:608
	scratch_load_b128 v[10:13], off, off offset:208
	v_add_f64 v[149:150], v[149:150], v[157:158]
	v_add_f64 v[151:152], v[153:154], v[151:152]
	v_fma_f64 v[157:158], v[8:9], v[14:15], v[159:160]
	v_fma_f64 v[159:160], v[6:7], v[14:15], -v[16:17]
	scratch_load_b128 v[14:17], off, off offset:224
	ds_load_b128 v[6:9], v1 offset:624
	s_waitcnt vmcnt(9) lgkmcnt(1)
	v_mul_f64 v[153:154], v[2:3], v[20:21]
	v_mul_f64 v[20:21], v[4:5], v[20:21]
	v_add_f64 v[149:150], v[149:150], v[161:162]
	v_add_f64 v[151:152], v[151:152], v[155:156]
	s_waitcnt vmcnt(8) lgkmcnt(0)
	v_mul_f64 v[155:156], v[6:7], v[24:25]
	v_mul_f64 v[24:25], v[8:9], v[24:25]
	v_fma_f64 v[153:154], v[4:5], v[18:19], v[153:154]
	v_fma_f64 v[161:162], v[2:3], v[18:19], -v[20:21]
	ds_load_b128 v[2:5], v1 offset:640
	scratch_load_b128 v[18:21], off, off offset:240
	v_add_f64 v[149:150], v[149:150], v[159:160]
	v_add_f64 v[151:152], v[151:152], v[157:158]
	v_fma_f64 v[155:156], v[8:9], v[22:23], v[155:156]
	v_fma_f64 v[159:160], v[6:7], v[22:23], -v[24:25]
	scratch_load_b128 v[22:25], off, off offset:256
	ds_load_b128 v[6:9], v1 offset:656
	s_waitcnt vmcnt(9) lgkmcnt(1)
	v_mul_f64 v[157:158], v[2:3], v[28:29]
	v_mul_f64 v[28:29], v[4:5], v[28:29]
	v_add_f64 v[149:150], v[149:150], v[161:162]
	v_add_f64 v[151:152], v[151:152], v[153:154]
	s_waitcnt vmcnt(8) lgkmcnt(0)
	v_mul_f64 v[153:154], v[6:7], v[32:33]
	v_mul_f64 v[32:33], v[8:9], v[32:33]
	;; [unrolled: 18-line block ×6, first 2 shown]
	v_fma_f64 v[155:156], v[4:5], v[18:19], v[155:156]
	v_fma_f64 v[161:162], v[2:3], v[18:19], -v[20:21]
	ds_load_b128 v[2:5], v1 offset:800
	scratch_load_b128 v[18:21], off, off offset:400
	v_add_f64 v[149:150], v[149:150], v[159:160]
	v_add_f64 v[151:152], v[151:152], v[153:154]
	v_fma_f64 v[157:158], v[8:9], v[22:23], v[157:158]
	v_fma_f64 v[159:160], v[6:7], v[22:23], -v[24:25]
	ds_load_b128 v[6:9], v1 offset:816
	s_waitcnt vmcnt(8) lgkmcnt(1)
	v_mul_f64 v[153:154], v[2:3], v[28:29]
	v_mul_f64 v[28:29], v[4:5], v[28:29]
	scratch_load_b128 v[22:25], off, off offset:416
	v_add_f64 v[149:150], v[149:150], v[161:162]
	v_add_f64 v[151:152], v[151:152], v[155:156]
	s_waitcnt vmcnt(8) lgkmcnt(0)
	v_mul_f64 v[155:156], v[6:7], v[32:33]
	v_mul_f64 v[32:33], v[8:9], v[32:33]
	v_fma_f64 v[153:154], v[4:5], v[26:27], v[153:154]
	v_fma_f64 v[161:162], v[2:3], v[26:27], -v[28:29]
	ds_load_b128 v[2:5], v1 offset:832
	scratch_load_b128 v[26:29], off, off offset:432
	v_add_f64 v[149:150], v[149:150], v[159:160]
	v_add_f64 v[151:152], v[151:152], v[157:158]
	v_fma_f64 v[155:156], v[8:9], v[30:31], v[155:156]
	v_fma_f64 v[159:160], v[6:7], v[30:31], -v[32:33]
	ds_load_b128 v[6:9], v1 offset:848
	s_waitcnt vmcnt(8) lgkmcnt(1)
	v_mul_f64 v[157:158], v[2:3], v[36:37]
	v_mul_f64 v[36:37], v[4:5], v[36:37]
	scratch_load_b128 v[30:33], off, off offset:448
	v_add_f64 v[149:150], v[149:150], v[161:162]
	v_add_f64 v[151:152], v[151:152], v[153:154]
	s_waitcnt vmcnt(8) lgkmcnt(0)
	v_mul_f64 v[153:154], v[6:7], v[147:148]
	v_mul_f64 v[147:148], v[8:9], v[147:148]
	v_fma_f64 v[157:158], v[4:5], v[34:35], v[157:158]
	v_fma_f64 v[161:162], v[2:3], v[34:35], -v[36:37]
	scratch_load_b128 v[34:37], off, off offset:464
	ds_load_b128 v[2:5], v1 offset:864
	v_add_f64 v[149:150], v[149:150], v[159:160]
	v_add_f64 v[151:152], v[151:152], v[155:156]
	v_fma_f64 v[153:154], v[8:9], v[145:146], v[153:154]
	v_fma_f64 v[159:160], v[6:7], v[145:146], -v[147:148]
	ds_load_b128 v[6:9], v1 offset:880
	s_waitcnt vmcnt(8) lgkmcnt(1)
	v_mul_f64 v[155:156], v[2:3], v[40:41]
	v_mul_f64 v[40:41], v[4:5], v[40:41]
	scratch_load_b128 v[145:148], off, off offset:480
	v_add_f64 v[149:150], v[149:150], v[161:162]
	v_add_f64 v[151:152], v[151:152], v[157:158]
	s_waitcnt vmcnt(8) lgkmcnt(0)
	v_mul_f64 v[157:158], v[6:7], v[143:144]
	v_mul_f64 v[143:144], v[8:9], v[143:144]
	v_fma_f64 v[155:156], v[4:5], v[38:39], v[155:156]
	v_fma_f64 v[161:162], v[2:3], v[38:39], -v[40:41]
	scratch_load_b128 v[38:41], off, off offset:496
	ds_load_b128 v[2:5], v1 offset:896
	v_add_f64 v[149:150], v[149:150], v[159:160]
	v_add_f64 v[151:152], v[151:152], v[153:154]
	v_fma_f64 v[157:158], v[8:9], v[141:142], v[157:158]
	v_fma_f64 v[159:160], v[6:7], v[141:142], -v[143:144]
	ds_load_b128 v[6:9], v1 offset:912
	s_waitcnt vmcnt(8) lgkmcnt(1)
	v_mul_f64 v[153:154], v[2:3], v[12:13]
	v_mul_f64 v[12:13], v[4:5], v[12:13]
	scratch_load_b128 v[141:144], off, off offset:512
	v_add_f64 v[149:150], v[149:150], v[161:162]
	v_add_f64 v[151:152], v[151:152], v[155:156]
	s_waitcnt vmcnt(8) lgkmcnt(0)
	v_mul_f64 v[155:156], v[6:7], v[16:17]
	v_mul_f64 v[16:17], v[8:9], v[16:17]
	v_fma_f64 v[153:154], v[4:5], v[10:11], v[153:154]
	v_fma_f64 v[10:11], v[2:3], v[10:11], -v[12:13]
	ds_load_b128 v[2:5], v1 offset:928
	v_add_f64 v[12:13], v[149:150], v[159:160]
	v_add_f64 v[149:150], v[151:152], v[157:158]
	v_fma_f64 v[155:156], v[8:9], v[14:15], v[155:156]
	v_fma_f64 v[14:15], v[6:7], v[14:15], -v[16:17]
	ds_load_b128 v[6:9], v1 offset:944
	s_waitcnt vmcnt(7) lgkmcnt(1)
	v_mul_f64 v[151:152], v[2:3], v[20:21]
	v_mul_f64 v[20:21], v[4:5], v[20:21]
	v_add_f64 v[10:11], v[12:13], v[10:11]
	v_add_f64 v[12:13], v[149:150], v[153:154]
	s_delay_alu instid0(VALU_DEP_4) | instskip(NEXT) | instid1(VALU_DEP_4)
	v_fma_f64 v[149:150], v[4:5], v[18:19], v[151:152]
	v_fma_f64 v[18:19], v[2:3], v[18:19], -v[20:21]
	ds_load_b128 v[2:5], v1 offset:960
	v_add_f64 v[14:15], v[10:11], v[14:15]
	v_add_f64 v[20:21], v[12:13], v[155:156]
	scratch_load_b128 v[10:13], off, off
	s_waitcnt vmcnt(7) lgkmcnt(1)
	v_mul_f64 v[16:17], v[6:7], v[24:25]
	v_mul_f64 v[24:25], v[8:9], v[24:25]
	v_add_f64 v[14:15], v[14:15], v[18:19]
	v_add_f64 v[18:19], v[20:21], v[149:150]
	s_delay_alu instid0(VALU_DEP_4) | instskip(NEXT) | instid1(VALU_DEP_4)
	v_fma_f64 v[16:17], v[8:9], v[22:23], v[16:17]
	v_fma_f64 v[22:23], v[6:7], v[22:23], -v[24:25]
	ds_load_b128 v[6:9], v1 offset:976
	s_waitcnt vmcnt(6) lgkmcnt(1)
	v_mul_f64 v[151:152], v[2:3], v[28:29]
	v_mul_f64 v[28:29], v[4:5], v[28:29]
	s_waitcnt vmcnt(5) lgkmcnt(0)
	v_mul_f64 v[20:21], v[6:7], v[32:33]
	v_mul_f64 v[24:25], v[8:9], v[32:33]
	v_add_f64 v[16:17], v[18:19], v[16:17]
	v_add_f64 v[14:15], v[14:15], v[22:23]
	v_fma_f64 v[32:33], v[4:5], v[26:27], v[151:152]
	v_fma_f64 v[26:27], v[2:3], v[26:27], -v[28:29]
	ds_load_b128 v[2:5], v1 offset:992
	v_fma_f64 v[20:21], v[8:9], v[30:31], v[20:21]
	v_fma_f64 v[24:25], v[6:7], v[30:31], -v[24:25]
	ds_load_b128 v[6:9], v1 offset:1008
	s_waitcnt vmcnt(4) lgkmcnt(1)
	v_mul_f64 v[18:19], v[2:3], v[36:37]
	v_mul_f64 v[22:23], v[4:5], v[36:37]
	v_add_f64 v[16:17], v[16:17], v[32:33]
	v_add_f64 v[14:15], v[14:15], v[26:27]
	s_waitcnt vmcnt(3) lgkmcnt(0)
	v_mul_f64 v[26:27], v[6:7], v[147:148]
	v_mul_f64 v[28:29], v[8:9], v[147:148]
	v_fma_f64 v[18:19], v[4:5], v[34:35], v[18:19]
	v_fma_f64 v[22:23], v[2:3], v[34:35], -v[22:23]
	ds_load_b128 v[2:5], v1 offset:1024
	v_add_f64 v[16:17], v[16:17], v[20:21]
	v_add_f64 v[14:15], v[14:15], v[24:25]
	v_fma_f64 v[26:27], v[8:9], v[145:146], v[26:27]
	v_fma_f64 v[28:29], v[6:7], v[145:146], -v[28:29]
	ds_load_b128 v[6:9], v1 offset:1040
	s_waitcnt vmcnt(2) lgkmcnt(1)
	v_mul_f64 v[20:21], v[2:3], v[40:41]
	v_mul_f64 v[24:25], v[4:5], v[40:41]
	v_add_f64 v[16:17], v[16:17], v[18:19]
	v_add_f64 v[14:15], v[14:15], v[22:23]
	s_waitcnt vmcnt(1) lgkmcnt(0)
	v_mul_f64 v[18:19], v[6:7], v[143:144]
	v_mul_f64 v[22:23], v[8:9], v[143:144]
	v_fma_f64 v[4:5], v[4:5], v[38:39], v[20:21]
	v_fma_f64 v[1:2], v[2:3], v[38:39], -v[24:25]
	v_add_f64 v[16:17], v[16:17], v[26:27]
	v_add_f64 v[14:15], v[14:15], v[28:29]
	v_fma_f64 v[8:9], v[8:9], v[141:142], v[18:19]
	v_fma_f64 v[6:7], v[6:7], v[141:142], -v[22:23]
	s_delay_alu instid0(VALU_DEP_4) | instskip(NEXT) | instid1(VALU_DEP_4)
	v_add_f64 v[3:4], v[16:17], v[4:5]
	v_add_f64 v[1:2], v[14:15], v[1:2]
	s_delay_alu instid0(VALU_DEP_2) | instskip(NEXT) | instid1(VALU_DEP_2)
	v_add_f64 v[3:4], v[3:4], v[8:9]
	v_add_f64 v[1:2], v[1:2], v[6:7]
	s_waitcnt vmcnt(0)
	s_delay_alu instid0(VALU_DEP_2) | instskip(NEXT) | instid1(VALU_DEP_2)
	v_add_f64 v[3:4], v[12:13], -v[3:4]
	v_add_f64 v[1:2], v[10:11], -v[1:2]
	scratch_store_b128 off, v[1:4], off
	s_cbranch_vccz .LBB96_277
; %bb.212:
	v_dual_mov_b32 v1, s8 :: v_dual_mov_b32 v2, s9
	s_load_b64 s[0:1], s[0:1], 0x4
	flat_load_b32 v1, v[1:2] offset:124
	v_bfe_u32 v2, v0, 10, 10
	v_bfe_u32 v0, v0, 20, 10
	s_waitcnt lgkmcnt(0)
	s_lshr_b32 s0, s0, 16
	s_delay_alu instid0(VALU_DEP_2) | instskip(SKIP_1) | instid1(SALU_CYCLE_1)
	v_mul_u32_u24_e32 v2, s1, v2
	s_mul_i32 s0, s0, s1
	v_mul_u32_u24_e32 v3, s0, v108
	s_mov_b32 s0, exec_lo
	s_delay_alu instid0(VALU_DEP_1) | instskip(NEXT) | instid1(VALU_DEP_1)
	v_add3_u32 v0, v3, v2, v0
	v_lshl_add_u32 v0, v0, 4, 0x428
	s_waitcnt vmcnt(0)
	v_cmpx_ne_u32_e32 32, v1
	s_cbranch_execz .LBB96_214
; %bb.213:
	v_lshl_add_u32 v9, v1, 4, 0
	s_clause 0x1
	scratch_load_b128 v[1:4], v111, off
	scratch_load_b128 v[5:8], v9, off offset:-16
	s_waitcnt vmcnt(1)
	ds_store_2addr_b64 v0, v[1:2], v[3:4] offset1:1
	s_waitcnt vmcnt(0)
	s_clause 0x1
	scratch_store_b128 v111, v[5:8], off
	scratch_store_b128 v9, v[1:4], off offset:-16
.LBB96_214:
	s_or_b32 exec_lo, exec_lo, s0
	v_dual_mov_b32 v1, s8 :: v_dual_mov_b32 v2, s9
	s_mov_b32 s0, exec_lo
	flat_load_b32 v1, v[1:2] offset:120
	s_waitcnt vmcnt(0) lgkmcnt(0)
	v_cmpx_ne_u32_e32 31, v1
	s_cbranch_execz .LBB96_216
; %bb.215:
	v_lshl_add_u32 v9, v1, 4, 0
	s_clause 0x1
	scratch_load_b128 v[1:4], v114, off
	scratch_load_b128 v[5:8], v9, off offset:-16
	s_waitcnt vmcnt(1)
	ds_store_2addr_b64 v0, v[1:2], v[3:4] offset1:1
	s_waitcnt vmcnt(0)
	s_clause 0x1
	scratch_store_b128 v114, v[5:8], off
	scratch_store_b128 v9, v[1:4], off offset:-16
.LBB96_216:
	s_or_b32 exec_lo, exec_lo, s0
	v_dual_mov_b32 v1, s8 :: v_dual_mov_b32 v2, s9
	s_mov_b32 s0, exec_lo
	flat_load_b32 v1, v[1:2] offset:116
	s_waitcnt vmcnt(0) lgkmcnt(0)
	;; [unrolled: 19-line block ×30, first 2 shown]
	v_cmpx_ne_u32_e32 2, v1
	s_cbranch_execz .LBB96_274
; %bb.273:
	v_lshl_add_u32 v9, v1, 4, 0
	s_clause 0x1
	scratch_load_b128 v[1:4], v118, off
	scratch_load_b128 v[5:8], v9, off offset:-16
	s_waitcnt vmcnt(1)
	ds_store_2addr_b64 v0, v[1:2], v[3:4] offset1:1
	s_waitcnt vmcnt(0)
	s_clause 0x1
	scratch_store_b128 v118, v[5:8], off
	scratch_store_b128 v9, v[1:4], off offset:-16
.LBB96_274:
	s_or_b32 exec_lo, exec_lo, s0
	v_dual_mov_b32 v1, s8 :: v_dual_mov_b32 v2, s9
	s_mov_b32 s0, exec_lo
	flat_load_b32 v1, v[1:2]
	s_waitcnt vmcnt(0) lgkmcnt(0)
	v_cmpx_ne_u32_e32 1, v1
	s_cbranch_execz .LBB96_276
; %bb.275:
	v_lshl_add_u32 v9, v1, 4, 0
	scratch_load_b128 v[1:4], off, off
	scratch_load_b128 v[5:8], v9, off offset:-16
	s_waitcnt vmcnt(1)
	ds_store_2addr_b64 v0, v[1:2], v[3:4] offset1:1
	s_waitcnt vmcnt(0)
	scratch_store_b128 off, v[5:8], off
	scratch_store_b128 v9, v[1:4], off offset:-16
.LBB96_276:
	s_or_b32 exec_lo, exec_lo, s0
.LBB96_277:
	scratch_load_b128 v[0:3], off, off
	s_clause 0x13
	scratch_load_b128 v[4:7], v118, off
	scratch_load_b128 v[8:11], v113, off
	;; [unrolled: 1-line block ×20, first 2 shown]
	s_waitcnt vmcnt(20)
	global_store_b128 v[42:43], v[0:3], off
	s_clause 0x1
	scratch_load_b128 v[0:3], v126, off
	scratch_load_b128 v[40:43], v125, off
	s_waitcnt vmcnt(21)
	global_store_b128 v[44:45], v[4:7], off
	s_clause 0x1
	scratch_load_b128 v[4:7], v124, off
	scratch_load_b128 v[123:126], v123, off
	;; [unrolled: 5-line block ×6, first 2 shown]
	s_waitcnt vmcnt(26)
	global_store_b128 v[54:55], v[24:27], off
	s_waitcnt vmcnt(25)
	global_store_b128 v[56:57], v[28:31], off
	s_waitcnt vmcnt(24)
	global_store_b128 v[58:59], v[32:35], off
	s_waitcnt vmcnt(23)
	global_store_b128 v[60:61], v[36:39], off
	s_waitcnt vmcnt(22)
	global_store_b128 v[62:63], v[135:138], off
	s_waitcnt vmcnt(21)
	global_store_b128 v[64:65], v[139:142], off
	s_waitcnt vmcnt(20)
	global_store_b128 v[66:67], v[143:146], off
	s_waitcnt vmcnt(19)
	global_store_b128 v[68:69], v[147:150], off
	s_waitcnt vmcnt(18)
	global_store_b128 v[70:71], v[131:134], off
	s_waitcnt vmcnt(17)
	global_store_b128 v[72:73], v[151:154], off
	s_waitcnt vmcnt(16)
	global_store_b128 v[74:75], v[155:158], off
	s_waitcnt vmcnt(15)
	global_store_b128 v[76:77], v[159:162], off
	s_waitcnt vmcnt(14)
	global_store_b128 v[78:79], v[127:130], off
	s_waitcnt vmcnt(13)
	global_store_b128 v[80:81], v[163:166], off
	s_waitcnt vmcnt(12)
	global_store_b128 v[82:83], v[167:170], off
	s_waitcnt vmcnt(11)
	global_store_b128 v[84:85], v[0:3], off
	s_waitcnt vmcnt(10)
	global_store_b128 v[86:87], v[40:43], off
	s_waitcnt vmcnt(9)
	global_store_b128 v[88:89], v[4:7], off
	s_waitcnt vmcnt(8)
	global_store_b128 v[90:91], v[123:126], off
	s_waitcnt vmcnt(7)
	global_store_b128 v[92:93], v[8:11], off
	s_waitcnt vmcnt(6)
	global_store_b128 v[94:95], v[44:47], off
	s_waitcnt vmcnt(5)
	global_store_b128 v[96:97], v[12:15], off
	s_waitcnt vmcnt(4)
	global_store_b128 v[98:99], v[116:119], off
	s_waitcnt vmcnt(3)
	global_store_b128 v[100:101], v[16:19], off
	s_waitcnt vmcnt(2)
	global_store_b128 v[102:103], v[48:51], off
	s_waitcnt vmcnt(1)
	global_store_b128 v[104:105], v[20:23], off
	s_waitcnt vmcnt(0)
	global_store_b128 v[106:107], v[108:111], off
	s_endpgm
	.section	.rodata,"a",@progbits
	.p2align	6, 0x0
	.amdhsa_kernel _ZN9rocsolver6v33100L18getri_kernel_smallILi33E19rocblas_complex_numIdEPKPS3_EEvT1_iilPiilS8_bb
		.amdhsa_group_segment_fixed_size 2088
		.amdhsa_private_segment_fixed_size 544
		.amdhsa_kernarg_size 60
		.amdhsa_user_sgpr_count 15
		.amdhsa_user_sgpr_dispatch_ptr 1
		.amdhsa_user_sgpr_queue_ptr 0
		.amdhsa_user_sgpr_kernarg_segment_ptr 1
		.amdhsa_user_sgpr_dispatch_id 0
		.amdhsa_user_sgpr_private_segment_size 0
		.amdhsa_wavefront_size32 1
		.amdhsa_uses_dynamic_stack 0
		.amdhsa_enable_private_segment 1
		.amdhsa_system_sgpr_workgroup_id_x 1
		.amdhsa_system_sgpr_workgroup_id_y 0
		.amdhsa_system_sgpr_workgroup_id_z 0
		.amdhsa_system_sgpr_workgroup_info 0
		.amdhsa_system_vgpr_workitem_id 2
		.amdhsa_next_free_vgpr 185
		.amdhsa_next_free_sgpr 40
		.amdhsa_reserve_vcc 1
		.amdhsa_float_round_mode_32 0
		.amdhsa_float_round_mode_16_64 0
		.amdhsa_float_denorm_mode_32 3
		.amdhsa_float_denorm_mode_16_64 3
		.amdhsa_dx10_clamp 1
		.amdhsa_ieee_mode 1
		.amdhsa_fp16_overflow 0
		.amdhsa_workgroup_processor_mode 1
		.amdhsa_memory_ordered 1
		.amdhsa_forward_progress 0
		.amdhsa_shared_vgpr_count 0
		.amdhsa_exception_fp_ieee_invalid_op 0
		.amdhsa_exception_fp_denorm_src 0
		.amdhsa_exception_fp_ieee_div_zero 0
		.amdhsa_exception_fp_ieee_overflow 0
		.amdhsa_exception_fp_ieee_underflow 0
		.amdhsa_exception_fp_ieee_inexact 0
		.amdhsa_exception_int_div_zero 0
	.end_amdhsa_kernel
	.section	.text._ZN9rocsolver6v33100L18getri_kernel_smallILi33E19rocblas_complex_numIdEPKPS3_EEvT1_iilPiilS8_bb,"axG",@progbits,_ZN9rocsolver6v33100L18getri_kernel_smallILi33E19rocblas_complex_numIdEPKPS3_EEvT1_iilPiilS8_bb,comdat
.Lfunc_end96:
	.size	_ZN9rocsolver6v33100L18getri_kernel_smallILi33E19rocblas_complex_numIdEPKPS3_EEvT1_iilPiilS8_bb, .Lfunc_end96-_ZN9rocsolver6v33100L18getri_kernel_smallILi33E19rocblas_complex_numIdEPKPS3_EEvT1_iilPiilS8_bb
                                        ; -- End function
	.section	.AMDGPU.csdata,"",@progbits
; Kernel info:
; codeLenInByte = 56640
; NumSgprs: 42
; NumVgprs: 185
; ScratchSize: 544
; MemoryBound: 0
; FloatMode: 240
; IeeeMode: 1
; LDSByteSize: 2088 bytes/workgroup (compile time only)
; SGPRBlocks: 5
; VGPRBlocks: 23
; NumSGPRsForWavesPerEU: 42
; NumVGPRsForWavesPerEU: 185
; Occupancy: 8
; WaveLimiterHint : 1
; COMPUTE_PGM_RSRC2:SCRATCH_EN: 1
; COMPUTE_PGM_RSRC2:USER_SGPR: 15
; COMPUTE_PGM_RSRC2:TRAP_HANDLER: 0
; COMPUTE_PGM_RSRC2:TGID_X_EN: 1
; COMPUTE_PGM_RSRC2:TGID_Y_EN: 0
; COMPUTE_PGM_RSRC2:TGID_Z_EN: 0
; COMPUTE_PGM_RSRC2:TIDIG_COMP_CNT: 2
	.section	.text._ZN9rocsolver6v33100L18getri_kernel_smallILi34E19rocblas_complex_numIdEPKPS3_EEvT1_iilPiilS8_bb,"axG",@progbits,_ZN9rocsolver6v33100L18getri_kernel_smallILi34E19rocblas_complex_numIdEPKPS3_EEvT1_iilPiilS8_bb,comdat
	.globl	_ZN9rocsolver6v33100L18getri_kernel_smallILi34E19rocblas_complex_numIdEPKPS3_EEvT1_iilPiilS8_bb ; -- Begin function _ZN9rocsolver6v33100L18getri_kernel_smallILi34E19rocblas_complex_numIdEPKPS3_EEvT1_iilPiilS8_bb
	.p2align	8
	.type	_ZN9rocsolver6v33100L18getri_kernel_smallILi34E19rocblas_complex_numIdEPKPS3_EEvT1_iilPiilS8_bb,@function
_ZN9rocsolver6v33100L18getri_kernel_smallILi34E19rocblas_complex_numIdEPKPS3_EEvT1_iilPiilS8_bb: ; @_ZN9rocsolver6v33100L18getri_kernel_smallILi34E19rocblas_complex_numIdEPKPS3_EEvT1_iilPiilS8_bb
; %bb.0:
	v_and_b32_e32 v110, 0x3ff, v0
	s_mov_b32 s4, exec_lo
	s_delay_alu instid0(VALU_DEP_1)
	v_cmpx_gt_u32_e32 34, v110
	s_cbranch_execz .LBB97_150
; %bb.1:
	s_mov_b32 s10, s15
	s_clause 0x2
	s_load_b32 s15, s[2:3], 0x38
	s_load_b64 s[8:9], s[2:3], 0x0
	s_load_b128 s[4:7], s[2:3], 0x28
	s_waitcnt lgkmcnt(0)
	s_bitcmp1_b32 s15, 8
	s_cselect_b32 s14, -1, 0
	s_ashr_i32 s11, s10, 31
	s_delay_alu instid0(SALU_CYCLE_1) | instskip(NEXT) | instid1(SALU_CYCLE_1)
	s_lshl_b64 s[12:13], s[10:11], 3
	s_add_u32 s8, s8, s12
	s_addc_u32 s9, s9, s13
	s_load_b64 s[12:13], s[8:9], 0x0
	s_bfe_u32 s8, s15, 0x10008
	s_delay_alu instid0(SALU_CYCLE_1)
	s_cmp_eq_u32 s8, 0
                                        ; implicit-def: $sgpr8_sgpr9
	s_cbranch_scc1 .LBB97_3
; %bb.2:
	s_clause 0x1
	s_load_b32 s8, s[2:3], 0x20
	s_load_b64 s[16:17], s[2:3], 0x18
	s_mul_i32 s5, s10, s5
	s_mul_hi_u32 s9, s10, s4
	s_mul_i32 s18, s11, s4
	s_add_i32 s5, s9, s5
	s_mul_i32 s4, s10, s4
	s_add_i32 s5, s5, s18
	s_delay_alu instid0(SALU_CYCLE_1)
	s_lshl_b64 s[4:5], s[4:5], 2
	s_waitcnt lgkmcnt(0)
	s_ashr_i32 s9, s8, 31
	s_add_u32 s16, s16, s4
	s_addc_u32 s17, s17, s5
	s_lshl_b64 s[4:5], s[8:9], 2
	s_delay_alu instid0(SALU_CYCLE_1)
	s_add_u32 s8, s16, s4
	s_addc_u32 s9, s17, s5
.LBB97_3:
	s_load_b64 s[2:3], s[2:3], 0x8
	v_lshlrev_b32_e32 v13, 4, v110
	s_movk_i32 s18, 0xc0
	s_movk_i32 s19, 0xd0
	s_movk_i32 s20, 0xe0
	s_movk_i32 s21, 0xf0
	s_movk_i32 s22, 0x100
	s_movk_i32 s23, 0x110
	s_movk_i32 s24, 0x120
	s_movk_i32 s25, 0x130
	s_movk_i32 s26, 0x140
	s_movk_i32 s27, 0x150
	s_movk_i32 s28, 0x160
	s_movk_i32 s29, 0x170
	s_movk_i32 s30, 0x180
	s_movk_i32 s31, 0x190
	s_movk_i32 s33, 0x1a0
	s_movk_i32 s34, 0x1b0
	s_movk_i32 s35, 0x1c0
	s_movk_i32 s36, 0x1d0
	s_waitcnt lgkmcnt(0)
	v_add3_u32 v5, s3, s3, v110
	s_ashr_i32 s5, s2, 31
	s_mov_b32 s4, s2
	s_mov_b32 s16, s3
	s_lshl_b64 s[4:5], s[4:5], 4
	v_add_nc_u32_e32 v7, s3, v5
	v_ashrrev_i32_e32 v6, 31, v5
	s_add_u32 s4, s12, s4
	s_addc_u32 s5, s13, s5
	v_add_co_u32 v42, s2, s4, v13
	v_add_nc_u32_e32 v14, s3, v7
	v_ashrrev_i32_e32 v8, 31, v7
	s_ashr_i32 s17, s3, 31
	v_add_co_ci_u32_e64 v43, null, s5, 0, s2
	s_delay_alu instid0(VALU_DEP_3)
	v_add_nc_u32_e32 v16, s3, v14
	v_lshlrev_b64 v[5:6], 4, v[5:6]
	s_lshl_b64 s[12:13], s[16:17], 4
	v_ashrrev_i32_e32 v15, 31, v14
	v_add_co_u32 v44, vcc_lo, v42, s12
	v_add_nc_u32_e32 v22, s3, v16
	v_lshlrev_b64 v[18:19], 4, v[7:8]
	v_ashrrev_i32_e32 v17, 31, v16
	v_add_co_ci_u32_e32 v45, vcc_lo, s13, v43, vcc_lo
	s_delay_alu instid0(VALU_DEP_4) | instskip(SKIP_3) | instid1(VALU_DEP_4)
	v_add_nc_u32_e32 v24, s3, v22
	v_add_co_u32 v46, vcc_lo, s4, v5
	v_lshlrev_b64 v[14:15], 4, v[14:15]
	v_ashrrev_i32_e32 v23, 31, v22
	v_add_nc_u32_e32 v30, s3, v24
	v_add_co_ci_u32_e32 v47, vcc_lo, s5, v6, vcc_lo
	v_add_co_u32 v50, vcc_lo, s4, v18
	v_lshlrev_b64 v[26:27], 4, v[16:17]
	v_ashrrev_i32_e32 v25, 31, v24
	v_add_co_ci_u32_e32 v51, vcc_lo, s5, v19, vcc_lo
	v_add_nc_u32_e32 v34, s3, v30
	v_add_co_u32 v48, vcc_lo, s4, v14
	v_lshlrev_b64 v[22:23], 4, v[22:23]
	v_ashrrev_i32_e32 v31, 31, v30
	v_add_co_ci_u32_e32 v49, vcc_lo, s5, v15, vcc_lo
	v_add_co_u32 v52, vcc_lo, s4, v26
	v_lshlrev_b64 v[24:25], 4, v[24:25]
	v_add_nc_u32_e32 v64, s3, v34
	v_add_co_ci_u32_e32 v53, vcc_lo, s5, v27, vcc_lo
	v_add_co_u32 v54, vcc_lo, s4, v22
	v_ashrrev_i32_e32 v35, 31, v34
	v_lshlrev_b64 v[36:37], 4, v[30:31]
	v_add_co_ci_u32_e32 v55, vcc_lo, s5, v23, vcc_lo
	v_add_co_u32 v56, vcc_lo, s4, v24
	v_ashrrev_i32_e32 v65, 31, v64
	v_add_co_ci_u32_e32 v57, vcc_lo, s5, v25, vcc_lo
	v_lshlrev_b64 v[34:35], 4, v[34:35]
	v_add_co_u32 v58, vcc_lo, s4, v36
	v_add_co_ci_u32_e32 v59, vcc_lo, s5, v37, vcc_lo
	v_lshlrev_b64 v[36:37], 4, v[64:65]
	s_delay_alu instid0(VALU_DEP_4)
	v_add_co_u32 v60, vcc_lo, s4, v34
	v_add_co_ci_u32_e32 v61, vcc_lo, s5, v35, vcc_lo
	global_load_b128 v[1:4], v13, s[4:5]
	v_add_co_u32 v62, vcc_lo, s4, v36
	s_clause 0x3
	global_load_b128 v[5:8], v[44:45], off
	global_load_b128 v[9:12], v[46:47], off
	;; [unrolled: 1-line block ×4, first 2 shown]
	v_add_co_ci_u32_e32 v63, vcc_lo, s5, v37, vcc_lo
	s_clause 0x5
	global_load_b128 v[22:25], v[52:53], off
	global_load_b128 v[26:29], v[54:55], off
	;; [unrolled: 1-line block ×6, first 2 shown]
	v_add_nc_u32_e32 v64, s3, v64
	s_movk_i32 s2, 0x50
	s_movk_i32 s12, 0x80
	;; [unrolled: 1-line block ×4, first 2 shown]
	v_add_nc_u32_e32 v66, s3, v64
	v_ashrrev_i32_e32 v65, 31, v64
	s_movk_i32 s17, 0xb0
	s_movk_i32 s37, 0x1e0
	;; [unrolled: 1-line block ×3, first 2 shown]
	v_add_nc_u32_e32 v68, s3, v66
	v_ashrrev_i32_e32 v67, 31, v66
	v_lshlrev_b64 v[64:65], 4, v[64:65]
	s_movk_i32 s39, 0x200
	s_movk_i32 s40, 0x210
	v_add_nc_u32_e32 v70, s3, v68
	v_ashrrev_i32_e32 v69, 31, v68
	v_lshlrev_b64 v[66:67], 4, v[66:67]
	v_add_co_u32 v64, vcc_lo, s4, v64
	s_delay_alu instid0(VALU_DEP_4) | instskip(SKIP_3) | instid1(VALU_DEP_4)
	v_add_nc_u32_e32 v72, s3, v70
	v_ashrrev_i32_e32 v71, 31, v70
	v_lshlrev_b64 v[68:69], 4, v[68:69]
	v_add_co_ci_u32_e32 v65, vcc_lo, s5, v65, vcc_lo
	v_add_nc_u32_e32 v74, s3, v72
	v_ashrrev_i32_e32 v73, 31, v72
	v_add_co_u32 v66, vcc_lo, s4, v66
	v_lshlrev_b64 v[70:71], 4, v[70:71]
	s_delay_alu instid0(VALU_DEP_4) | instskip(SKIP_3) | instid1(VALU_DEP_4)
	v_add_nc_u32_e32 v76, s3, v74
	v_ashrrev_i32_e32 v75, 31, v74
	v_add_co_ci_u32_e32 v67, vcc_lo, s5, v67, vcc_lo
	v_add_co_u32 v68, vcc_lo, s4, v68
	v_add_nc_u32_e32 v78, s3, v76
	v_lshlrev_b64 v[72:73], 4, v[72:73]
	v_ashrrev_i32_e32 v77, 31, v76
	v_add_co_ci_u32_e32 v69, vcc_lo, s5, v69, vcc_lo
	s_delay_alu instid0(VALU_DEP_4) | instskip(SKIP_3) | instid1(VALU_DEP_4)
	v_add_nc_u32_e32 v80, s3, v78
	v_add_co_u32 v70, vcc_lo, s4, v70
	v_lshlrev_b64 v[74:75], 4, v[74:75]
	v_ashrrev_i32_e32 v79, 31, v78
	v_add_nc_u32_e32 v82, s3, v80
	v_add_co_ci_u32_e32 v71, vcc_lo, s5, v71, vcc_lo
	v_add_co_u32 v72, vcc_lo, s4, v72
	s_delay_alu instid0(VALU_DEP_3) | instskip(SKIP_3) | instid1(VALU_DEP_4)
	v_add_nc_u32_e32 v84, s3, v82
	v_lshlrev_b64 v[76:77], 4, v[76:77]
	v_ashrrev_i32_e32 v81, 31, v80
	v_add_co_ci_u32_e32 v73, vcc_lo, s5, v73, vcc_lo
	v_add_nc_u32_e32 v86, s3, v84
	v_add_co_u32 v74, vcc_lo, s4, v74
	v_lshlrev_b64 v[78:79], 4, v[78:79]
	v_ashrrev_i32_e32 v83, 31, v82
	s_delay_alu instid0(VALU_DEP_4) | instskip(SKIP_2) | instid1(VALU_DEP_3)
	v_add_nc_u32_e32 v88, s3, v86
	v_add_co_ci_u32_e32 v75, vcc_lo, s5, v75, vcc_lo
	v_add_co_u32 v76, vcc_lo, s4, v76
	v_add_nc_u32_e32 v90, s3, v88
	v_lshlrev_b64 v[80:81], 4, v[80:81]
	v_ashrrev_i32_e32 v85, 31, v84
	v_add_co_ci_u32_e32 v77, vcc_lo, s5, v77, vcc_lo
	s_delay_alu instid0(VALU_DEP_4) | instskip(SKIP_3) | instid1(VALU_DEP_4)
	v_add_nc_u32_e32 v92, s3, v90
	v_add_co_u32 v78, vcc_lo, s4, v78
	v_lshlrev_b64 v[82:83], 4, v[82:83]
	v_add_co_ci_u32_e32 v79, vcc_lo, s5, v79, vcc_lo
	v_add_nc_u32_e32 v94, s3, v92
	v_add_co_u32 v80, vcc_lo, s4, v80
	v_lshlrev_b64 v[84:85], 4, v[84:85]
	v_ashrrev_i32_e32 v87, 31, v86
	s_delay_alu instid0(VALU_DEP_4) | instskip(SKIP_2) | instid1(VALU_DEP_3)
	v_add_nc_u32_e32 v96, s3, v94
	v_add_co_ci_u32_e32 v81, vcc_lo, s5, v81, vcc_lo
	v_add_co_u32 v82, vcc_lo, s4, v82
	v_add_nc_u32_e32 v98, s3, v96
	v_ashrrev_i32_e32 v89, 31, v88
	v_add_co_ci_u32_e32 v83, vcc_lo, s5, v83, vcc_lo
	v_lshlrev_b64 v[119:120], 4, v[86:87]
	s_delay_alu instid0(VALU_DEP_4) | instskip(SKIP_3) | instid1(VALU_DEP_4)
	v_add_nc_u32_e32 v100, s3, v98
	v_add_co_u32 v86, vcc_lo, s4, v84
	v_ashrrev_i32_e32 v91, 31, v90
	v_add_co_ci_u32_e32 v87, vcc_lo, s5, v85, vcc_lo
	v_add_nc_u32_e32 v102, s3, v100
	v_lshlrev_b64 v[121:122], 4, v[88:89]
	v_ashrrev_i32_e32 v93, 31, v92
	v_ashrrev_i32_e32 v95, 31, v94
	;; [unrolled: 1-line block ×3, first 2 shown]
	v_add_nc_u32_e32 v104, s3, v102
	v_ashrrev_i32_e32 v99, 31, v98
	v_ashrrev_i32_e32 v101, 31, v100
	;; [unrolled: 1-line block ×3, first 2 shown]
	s_clause 0x1
	global_load_b128 v[115:118], v[64:65], off
	global_load_b128 v[123:126], v[66:67], off
	v_add_nc_u32_e32 v106, s3, v104
	v_ashrrev_i32_e32 v105, 31, v104
	s_clause 0x5
	global_load_b128 v[127:130], v[68:69], off
	global_load_b128 v[144:147], v[70:71], off
	;; [unrolled: 1-line block ×6, first 2 shown]
	v_add_nc_u32_e32 v107, s3, v106
	s_clause 0x1
	global_load_b128 v[164:167], v[80:81], off
	global_load_b128 v[168:171], v[82:83], off
	v_add_nc_u32_e64 v143, s2, 0
	v_add_nc_u32_e64 v140, s12, 0
	v_add_nc_u32_e64 v139, s13, 0
	v_ashrrev_i32_e32 v108, 31, v107
	v_add_nc_u32_e64 v137, s16, 0
	v_add_nc_u32_e64 v138, s17, 0
	;; [unrolled: 1-line block ×4, first 2 shown]
	v_lshlrev_b64 v[107:108], 4, v[107:108]
	v_add_nc_u32_e64 v133, s20, 0
	v_add_nc_u32_e64 v134, s21, 0
	;; [unrolled: 1-line block ×4, first 2 shown]
	s_mov_b32 s3, -1
	v_add_co_u32 v84, vcc_lo, s4, v107
	v_add_co_ci_u32_e32 v85, vcc_lo, s5, v108, vcc_lo
	v_add_co_u32 v88, vcc_lo, s4, v119
	v_lshlrev_b64 v[107:108], 4, v[90:91]
	v_add_co_ci_u32_e32 v89, vcc_lo, s5, v120, vcc_lo
	v_add_co_u32 v90, vcc_lo, s4, v121
	v_add_co_ci_u32_e32 v91, vcc_lo, s5, v122, vcc_lo
	v_lshlrev_b64 v[119:120], 4, v[92:93]
	v_add_co_u32 v92, vcc_lo, s4, v107
	v_add_co_ci_u32_e32 v93, vcc_lo, s5, v108, vcc_lo
	v_lshlrev_b64 v[107:108], 4, v[94:95]
	s_delay_alu instid0(VALU_DEP_4) | instskip(SKIP_2) | instid1(VALU_DEP_4)
	v_add_co_u32 v94, vcc_lo, s4, v119
	v_add_co_ci_u32_e32 v95, vcc_lo, s5, v120, vcc_lo
	v_lshlrev_b64 v[119:120], 4, v[96:97]
	v_add_co_u32 v96, vcc_lo, s4, v107
	v_add_co_ci_u32_e32 v97, vcc_lo, s5, v108, vcc_lo
	v_lshlrev_b64 v[107:108], 4, v[98:99]
	s_delay_alu instid0(VALU_DEP_4) | instskip(SKIP_2) | instid1(VALU_DEP_4)
	v_add_co_u32 v98, vcc_lo, s4, v119
	v_add_co_ci_u32_e32 v99, vcc_lo, s5, v120, vcc_lo
	v_lshlrev_b64 v[119:120], 4, v[100:101]
	v_add_co_u32 v100, vcc_lo, s4, v107
	v_add_co_ci_u32_e32 v101, vcc_lo, s5, v108, vcc_lo
	v_lshlrev_b64 v[108:109], 4, v[102:103]
	s_delay_alu instid0(VALU_DEP_4)
	v_add_co_u32 v102, vcc_lo, s4, v119
	v_ashrrev_i32_e32 v107, 31, v106
	v_add_co_ci_u32_e32 v103, vcc_lo, s5, v120, vcc_lo
	v_lshlrev_b64 v[119:120], 4, v[104:105]
	v_add_co_u32 v104, vcc_lo, s4, v108
	v_add_co_ci_u32_e32 v105, vcc_lo, s5, v109, vcc_lo
	v_lshlrev_b64 v[108:109], 4, v[106:107]
	s_delay_alu instid0(VALU_DEP_4)
	v_add_co_u32 v106, vcc_lo, s4, v119
	v_add_co_ci_u32_e32 v107, vcc_lo, s5, v120, vcc_lo
	global_load_b128 v[172:175], v[84:85], off
	v_add_co_u32 v108, vcc_lo, s4, v108
	v_add_co_ci_u32_e32 v109, vcc_lo, s5, v109, vcc_lo
	s_movk_i32 s4, 0x60
	s_movk_i32 s5, 0x70
	v_add_nc_u32_e64 v122, 0, 16
	v_add_nc_u32_e64 v120, 0, 32
	v_add_nc_u32_e64 v121, 0, 48
	v_add_nc_u32_e64 v119, 0, 64
	v_add_nc_u32_e64 v141, s4, 0
	v_add_nc_u32_e64 v142, s5, 0
	s_bitcmp0_b32 s15, 0
	s_waitcnt vmcnt(21)
	scratch_store_b128 off, v[1:4], off
	s_clause 0x1
	global_load_b128 v[1:4], v[86:87], off
	global_load_b128 v[176:179], v[88:89], off
	s_waitcnt vmcnt(22)
	scratch_store_b128 off, v[5:8], off offset:16
	s_waitcnt vmcnt(21)
	scratch_store_b128 off, v[9:12], off offset:32
	s_clause 0x1
	global_load_b128 v[5:8], v[90:91], off
	global_load_b128 v[9:12], v[92:93], off
	s_waitcnt vmcnt(22)
	scratch_store_b128 off, v[14:17], off offset:48
	s_waitcnt vmcnt(21)
	scratch_store_b128 off, v[18:21], off offset:64
	;; [unrolled: 7-line block ×5, first 2 shown]
	s_clause 0x1
	global_load_b128 v[38:41], v[106:107], off
	global_load_b128 v[180:183], v[108:109], off
	v_add_nc_u32_e64 v114, s37, 0
	v_add_nc_u32_e64 v113, s38, 0
	;; [unrolled: 1-line block ×4, first 2 shown]
	s_waitcnt vmcnt(22)
	scratch_store_b128 off, v[115:118], off offset:176
	s_waitcnt vmcnt(21)
	scratch_store_b128 off, v[123:126], off offset:192
	v_add_nc_u32_e64 v125, s28, 0
	s_waitcnt vmcnt(20)
	scratch_store_b128 off, v[127:130], off offset:208
	s_waitcnt vmcnt(19)
	scratch_store_b128 off, v[144:147], off offset:224
	v_add_nc_u32_e64 v129, s24, 0
	v_add_nc_u32_e64 v130, s25, 0
	;; [unrolled: 1-line block ×11, first 2 shown]
	s_waitcnt vmcnt(18)
	scratch_store_b128 off, v[148:151], off offset:240
	s_waitcnt vmcnt(17)
	scratch_store_b128 off, v[152:155], off offset:256
	;; [unrolled: 2-line block ×17, first 2 shown]
	s_waitcnt vmcnt(0)
	s_clause 0x1
	scratch_store_b128 off, v[180:183], off offset:512
	scratch_store_b128 off, v[172:175], off offset:528
	s_cbranch_scc1 .LBB97_148
; %bb.4:
	v_cmp_eq_u32_e64 s2, 0, v110
	s_delay_alu instid0(VALU_DEP_1)
	s_and_saveexec_b32 s3, s2
	s_cbranch_execz .LBB97_6
; %bb.5:
	v_mov_b32_e32 v1, 0
	ds_store_b32 v1, v1 offset:1088
.LBB97_6:
	s_or_b32 exec_lo, exec_lo, s3
	s_waitcnt lgkmcnt(0)
	s_waitcnt_vscnt null, 0x0
	s_barrier
	buffer_gl0_inv
	scratch_load_b128 v[1:4], v13, off
	s_waitcnt vmcnt(0)
	v_cmp_eq_f64_e32 vcc_lo, 0, v[1:2]
	v_cmp_eq_f64_e64 s3, 0, v[3:4]
	s_delay_alu instid0(VALU_DEP_1) | instskip(NEXT) | instid1(SALU_CYCLE_1)
	s_and_b32 s3, vcc_lo, s3
	s_and_saveexec_b32 s4, s3
	s_cbranch_execz .LBB97_10
; %bb.7:
	v_mov_b32_e32 v1, 0
	s_mov_b32 s5, 0
	ds_load_b32 v2, v1 offset:1088
	s_waitcnt lgkmcnt(0)
	v_readfirstlane_b32 s3, v2
	v_add_nc_u32_e32 v2, 1, v110
	s_delay_alu instid0(VALU_DEP_2) | instskip(NEXT) | instid1(VALU_DEP_1)
	s_cmp_eq_u32 s3, 0
	v_cmp_gt_i32_e32 vcc_lo, s3, v2
	s_cselect_b32 s12, -1, 0
	s_delay_alu instid0(SALU_CYCLE_1) | instskip(NEXT) | instid1(SALU_CYCLE_1)
	s_or_b32 s12, s12, vcc_lo
	s_and_b32 exec_lo, exec_lo, s12
	s_cbranch_execz .LBB97_10
; %bb.8:
	v_mov_b32_e32 v3, s3
.LBB97_9:                               ; =>This Inner Loop Header: Depth=1
	ds_cmpstore_rtn_b32 v3, v1, v2, v3 offset:1088
	s_waitcnt lgkmcnt(0)
	v_cmp_ne_u32_e32 vcc_lo, 0, v3
	v_cmp_le_i32_e64 s3, v3, v2
	s_delay_alu instid0(VALU_DEP_1) | instskip(NEXT) | instid1(SALU_CYCLE_1)
	s_and_b32 s3, vcc_lo, s3
	s_and_b32 s3, exec_lo, s3
	s_delay_alu instid0(SALU_CYCLE_1) | instskip(NEXT) | instid1(SALU_CYCLE_1)
	s_or_b32 s5, s3, s5
	s_and_not1_b32 exec_lo, exec_lo, s5
	s_cbranch_execnz .LBB97_9
.LBB97_10:
	s_or_b32 exec_lo, exec_lo, s4
	v_mov_b32_e32 v1, 0
	s_barrier
	buffer_gl0_inv
	ds_load_b32 v2, v1 offset:1088
	s_and_saveexec_b32 s3, s2
	s_cbranch_execz .LBB97_12
; %bb.11:
	s_lshl_b64 s[4:5], s[10:11], 2
	s_delay_alu instid0(SALU_CYCLE_1)
	s_add_u32 s4, s6, s4
	s_addc_u32 s5, s7, s5
	s_waitcnt lgkmcnt(0)
	global_store_b32 v1, v2, s[4:5]
.LBB97_12:
	s_or_b32 exec_lo, exec_lo, s3
	s_waitcnt lgkmcnt(0)
	v_cmp_ne_u32_e32 vcc_lo, 0, v2
	s_mov_b32 s3, 0
	s_cbranch_vccnz .LBB97_148
; %bb.13:
	v_add_nc_u32_e32 v14, 0, v13
                                        ; implicit-def: $vgpr9_vgpr10
	scratch_load_b128 v[1:4], v14, off
	s_waitcnt vmcnt(0)
	v_mov_b32_e32 v5, v1
	v_cmp_gt_f64_e32 vcc_lo, 0, v[1:2]
	v_xor_b32_e32 v6, 0x80000000, v2
	v_xor_b32_e32 v7, 0x80000000, v4
	s_delay_alu instid0(VALU_DEP_2) | instskip(SKIP_1) | instid1(VALU_DEP_3)
	v_cndmask_b32_e32 v6, v2, v6, vcc_lo
	v_cmp_gt_f64_e32 vcc_lo, 0, v[3:4]
	v_dual_cndmask_b32 v8, v4, v7 :: v_dual_mov_b32 v7, v3
	s_delay_alu instid0(VALU_DEP_1) | instskip(SKIP_1) | instid1(SALU_CYCLE_1)
	v_cmp_ngt_f64_e32 vcc_lo, v[5:6], v[7:8]
                                        ; implicit-def: $vgpr5_vgpr6
	s_and_saveexec_b32 s3, vcc_lo
	s_xor_b32 s3, exec_lo, s3
	s_cbranch_execz .LBB97_15
; %bb.14:
	v_div_scale_f64 v[5:6], null, v[3:4], v[3:4], v[1:2]
	v_div_scale_f64 v[11:12], vcc_lo, v[1:2], v[3:4], v[1:2]
	s_delay_alu instid0(VALU_DEP_2) | instskip(SKIP_2) | instid1(VALU_DEP_1)
	v_rcp_f64_e32 v[7:8], v[5:6]
	s_waitcnt_depctr 0xfff
	v_fma_f64 v[9:10], -v[5:6], v[7:8], 1.0
	v_fma_f64 v[7:8], v[7:8], v[9:10], v[7:8]
	s_delay_alu instid0(VALU_DEP_1) | instskip(NEXT) | instid1(VALU_DEP_1)
	v_fma_f64 v[9:10], -v[5:6], v[7:8], 1.0
	v_fma_f64 v[7:8], v[7:8], v[9:10], v[7:8]
	s_delay_alu instid0(VALU_DEP_1) | instskip(NEXT) | instid1(VALU_DEP_1)
	v_mul_f64 v[9:10], v[11:12], v[7:8]
	v_fma_f64 v[5:6], -v[5:6], v[9:10], v[11:12]
	s_delay_alu instid0(VALU_DEP_1) | instskip(NEXT) | instid1(VALU_DEP_1)
	v_div_fmas_f64 v[5:6], v[5:6], v[7:8], v[9:10]
	v_div_fixup_f64 v[5:6], v[5:6], v[3:4], v[1:2]
	s_delay_alu instid0(VALU_DEP_1) | instskip(NEXT) | instid1(VALU_DEP_1)
	v_fma_f64 v[1:2], v[1:2], v[5:6], v[3:4]
	v_div_scale_f64 v[3:4], null, v[1:2], v[1:2], 1.0
	v_div_scale_f64 v[11:12], vcc_lo, 1.0, v[1:2], 1.0
	s_delay_alu instid0(VALU_DEP_2) | instskip(SKIP_2) | instid1(VALU_DEP_1)
	v_rcp_f64_e32 v[7:8], v[3:4]
	s_waitcnt_depctr 0xfff
	v_fma_f64 v[9:10], -v[3:4], v[7:8], 1.0
	v_fma_f64 v[7:8], v[7:8], v[9:10], v[7:8]
	s_delay_alu instid0(VALU_DEP_1) | instskip(NEXT) | instid1(VALU_DEP_1)
	v_fma_f64 v[9:10], -v[3:4], v[7:8], 1.0
	v_fma_f64 v[7:8], v[7:8], v[9:10], v[7:8]
	s_delay_alu instid0(VALU_DEP_1) | instskip(NEXT) | instid1(VALU_DEP_1)
	v_mul_f64 v[9:10], v[11:12], v[7:8]
	v_fma_f64 v[3:4], -v[3:4], v[9:10], v[11:12]
	s_delay_alu instid0(VALU_DEP_1) | instskip(NEXT) | instid1(VALU_DEP_1)
	v_div_fmas_f64 v[3:4], v[3:4], v[7:8], v[9:10]
	v_div_fixup_f64 v[7:8], v[3:4], v[1:2], 1.0
                                        ; implicit-def: $vgpr1_vgpr2
	s_delay_alu instid0(VALU_DEP_1) | instskip(SKIP_1) | instid1(VALU_DEP_2)
	v_mul_f64 v[5:6], v[5:6], v[7:8]
	v_xor_b32_e32 v8, 0x80000000, v8
	v_xor_b32_e32 v10, 0x80000000, v6
	s_delay_alu instid0(VALU_DEP_3)
	v_mov_b32_e32 v9, v5
.LBB97_15:
	s_and_not1_saveexec_b32 s3, s3
	s_cbranch_execz .LBB97_17
; %bb.16:
	v_div_scale_f64 v[5:6], null, v[1:2], v[1:2], v[3:4]
	v_div_scale_f64 v[11:12], vcc_lo, v[3:4], v[1:2], v[3:4]
	s_delay_alu instid0(VALU_DEP_2) | instskip(SKIP_2) | instid1(VALU_DEP_1)
	v_rcp_f64_e32 v[7:8], v[5:6]
	s_waitcnt_depctr 0xfff
	v_fma_f64 v[9:10], -v[5:6], v[7:8], 1.0
	v_fma_f64 v[7:8], v[7:8], v[9:10], v[7:8]
	s_delay_alu instid0(VALU_DEP_1) | instskip(NEXT) | instid1(VALU_DEP_1)
	v_fma_f64 v[9:10], -v[5:6], v[7:8], 1.0
	v_fma_f64 v[7:8], v[7:8], v[9:10], v[7:8]
	s_delay_alu instid0(VALU_DEP_1) | instskip(NEXT) | instid1(VALU_DEP_1)
	v_mul_f64 v[9:10], v[11:12], v[7:8]
	v_fma_f64 v[5:6], -v[5:6], v[9:10], v[11:12]
	s_delay_alu instid0(VALU_DEP_1) | instskip(NEXT) | instid1(VALU_DEP_1)
	v_div_fmas_f64 v[5:6], v[5:6], v[7:8], v[9:10]
	v_div_fixup_f64 v[7:8], v[5:6], v[1:2], v[3:4]
	s_delay_alu instid0(VALU_DEP_1) | instskip(NEXT) | instid1(VALU_DEP_1)
	v_fma_f64 v[1:2], v[3:4], v[7:8], v[1:2]
	v_div_scale_f64 v[3:4], null, v[1:2], v[1:2], 1.0
	s_delay_alu instid0(VALU_DEP_1) | instskip(SKIP_2) | instid1(VALU_DEP_1)
	v_rcp_f64_e32 v[5:6], v[3:4]
	s_waitcnt_depctr 0xfff
	v_fma_f64 v[9:10], -v[3:4], v[5:6], 1.0
	v_fma_f64 v[5:6], v[5:6], v[9:10], v[5:6]
	s_delay_alu instid0(VALU_DEP_1) | instskip(NEXT) | instid1(VALU_DEP_1)
	v_fma_f64 v[9:10], -v[3:4], v[5:6], 1.0
	v_fma_f64 v[5:6], v[5:6], v[9:10], v[5:6]
	v_div_scale_f64 v[9:10], vcc_lo, 1.0, v[1:2], 1.0
	s_delay_alu instid0(VALU_DEP_1) | instskip(NEXT) | instid1(VALU_DEP_1)
	v_mul_f64 v[11:12], v[9:10], v[5:6]
	v_fma_f64 v[3:4], -v[3:4], v[11:12], v[9:10]
	s_delay_alu instid0(VALU_DEP_1) | instskip(NEXT) | instid1(VALU_DEP_1)
	v_div_fmas_f64 v[3:4], v[3:4], v[5:6], v[11:12]
	v_div_fixup_f64 v[5:6], v[3:4], v[1:2], 1.0
	s_delay_alu instid0(VALU_DEP_1)
	v_mul_f64 v[7:8], v[7:8], -v[5:6]
	v_xor_b32_e32 v10, 0x80000000, v6
	v_mov_b32_e32 v9, v5
.LBB97_17:
	s_or_b32 exec_lo, exec_lo, s3
	scratch_store_b128 v14, v[5:8], off
	scratch_load_b128 v[1:4], v122, off
	v_xor_b32_e32 v12, 0x80000000, v8
	v_mov_b32_e32 v11, v7
	v_add_nc_u32_e32 v5, 0x220, v13
	ds_store_b128 v13, v[9:12]
	s_waitcnt vmcnt(0)
	ds_store_b128 v13, v[1:4] offset:544
	s_waitcnt lgkmcnt(0)
	s_waitcnt_vscnt null, 0x0
	s_barrier
	buffer_gl0_inv
	s_and_saveexec_b32 s3, s2
	s_cbranch_execz .LBB97_19
; %bb.18:
	scratch_load_b128 v[1:4], v14, off
	ds_load_b128 v[6:9], v5
	v_mov_b32_e32 v10, 0
	ds_load_b128 v[15:18], v10 offset:16
	s_waitcnt vmcnt(0) lgkmcnt(1)
	v_mul_f64 v[10:11], v[6:7], v[3:4]
	v_mul_f64 v[3:4], v[8:9], v[3:4]
	s_delay_alu instid0(VALU_DEP_2) | instskip(NEXT) | instid1(VALU_DEP_2)
	v_fma_f64 v[8:9], v[8:9], v[1:2], v[10:11]
	v_fma_f64 v[1:2], v[6:7], v[1:2], -v[3:4]
	s_delay_alu instid0(VALU_DEP_2) | instskip(NEXT) | instid1(VALU_DEP_2)
	v_add_f64 v[3:4], v[8:9], 0
	v_add_f64 v[1:2], v[1:2], 0
	s_waitcnt lgkmcnt(0)
	s_delay_alu instid0(VALU_DEP_2) | instskip(NEXT) | instid1(VALU_DEP_2)
	v_mul_f64 v[6:7], v[3:4], v[17:18]
	v_mul_f64 v[8:9], v[1:2], v[17:18]
	s_delay_alu instid0(VALU_DEP_2) | instskip(NEXT) | instid1(VALU_DEP_2)
	v_fma_f64 v[1:2], v[1:2], v[15:16], -v[6:7]
	v_fma_f64 v[3:4], v[3:4], v[15:16], v[8:9]
	scratch_store_b128 off, v[1:4], off offset:16
.LBB97_19:
	s_or_b32 exec_lo, exec_lo, s3
	s_waitcnt_vscnt null, 0x0
	s_barrier
	buffer_gl0_inv
	scratch_load_b128 v[1:4], v120, off
	s_mov_b32 s3, exec_lo
	s_waitcnt vmcnt(0)
	ds_store_b128 v5, v[1:4]
	s_waitcnt lgkmcnt(0)
	s_barrier
	buffer_gl0_inv
	v_cmpx_gt_u32_e32 2, v110
	s_cbranch_execz .LBB97_23
; %bb.20:
	scratch_load_b128 v[1:4], v14, off
	ds_load_b128 v[6:9], v5
	s_waitcnt vmcnt(0) lgkmcnt(0)
	v_mul_f64 v[10:11], v[8:9], v[3:4]
	v_mul_f64 v[3:4], v[6:7], v[3:4]
	s_delay_alu instid0(VALU_DEP_2) | instskip(NEXT) | instid1(VALU_DEP_2)
	v_fma_f64 v[6:7], v[6:7], v[1:2], -v[10:11]
	v_fma_f64 v[3:4], v[8:9], v[1:2], v[3:4]
	s_delay_alu instid0(VALU_DEP_2) | instskip(NEXT) | instid1(VALU_DEP_2)
	v_add_f64 v[1:2], v[6:7], 0
	v_add_f64 v[3:4], v[3:4], 0
	s_and_saveexec_b32 s4, s2
	s_cbranch_execz .LBB97_22
; %bb.21:
	scratch_load_b128 v[6:9], off, off offset:16
	v_mov_b32_e32 v10, 0
	ds_load_b128 v[15:18], v10 offset:560
	s_waitcnt vmcnt(0) lgkmcnt(0)
	v_mul_f64 v[10:11], v[15:16], v[8:9]
	v_mul_f64 v[8:9], v[17:18], v[8:9]
	s_delay_alu instid0(VALU_DEP_2) | instskip(NEXT) | instid1(VALU_DEP_2)
	v_fma_f64 v[10:11], v[17:18], v[6:7], v[10:11]
	v_fma_f64 v[6:7], v[15:16], v[6:7], -v[8:9]
	s_delay_alu instid0(VALU_DEP_2) | instskip(NEXT) | instid1(VALU_DEP_2)
	v_add_f64 v[3:4], v[3:4], v[10:11]
	v_add_f64 v[1:2], v[1:2], v[6:7]
.LBB97_22:
	s_or_b32 exec_lo, exec_lo, s4
	v_mov_b32_e32 v6, 0
	ds_load_b128 v[6:9], v6 offset:32
	s_waitcnt lgkmcnt(0)
	v_mul_f64 v[10:11], v[3:4], v[8:9]
	v_mul_f64 v[8:9], v[1:2], v[8:9]
	s_delay_alu instid0(VALU_DEP_2) | instskip(NEXT) | instid1(VALU_DEP_2)
	v_fma_f64 v[1:2], v[1:2], v[6:7], -v[10:11]
	v_fma_f64 v[3:4], v[3:4], v[6:7], v[8:9]
	scratch_store_b128 off, v[1:4], off offset:32
.LBB97_23:
	s_or_b32 exec_lo, exec_lo, s3
	s_waitcnt_vscnt null, 0x0
	s_barrier
	buffer_gl0_inv
	scratch_load_b128 v[1:4], v121, off
	v_add_nc_u32_e32 v6, -1, v110
	s_mov_b32 s2, exec_lo
	s_waitcnt vmcnt(0)
	ds_store_b128 v5, v[1:4]
	s_waitcnt lgkmcnt(0)
	s_barrier
	buffer_gl0_inv
	v_cmpx_gt_u32_e32 3, v110
	s_cbranch_execz .LBB97_27
; %bb.24:
	v_dual_mov_b32 v1, 0 :: v_dual_add_nc_u32 v8, 0x220, v13
	v_dual_mov_b32 v2, 0 :: v_dual_add_nc_u32 v7, -1, v110
	v_or_b32_e32 v9, 8, v14
	s_mov_b32 s3, 0
	s_delay_alu instid0(VALU_DEP_2)
	v_dual_mov_b32 v4, v2 :: v_dual_mov_b32 v3, v1
	.p2align	6
.LBB97_25:                              ; =>This Inner Loop Header: Depth=1
	scratch_load_b128 v[15:18], v9, off offset:-8
	ds_load_b128 v[19:22], v8
	v_add_nc_u32_e32 v7, 1, v7
	v_add_nc_u32_e32 v8, 16, v8
	;; [unrolled: 1-line block ×3, first 2 shown]
	s_delay_alu instid0(VALU_DEP_3) | instskip(SKIP_4) | instid1(VALU_DEP_2)
	v_cmp_lt_u32_e32 vcc_lo, 1, v7
	s_or_b32 s3, vcc_lo, s3
	s_waitcnt vmcnt(0) lgkmcnt(0)
	v_mul_f64 v[10:11], v[21:22], v[17:18]
	v_mul_f64 v[17:18], v[19:20], v[17:18]
	v_fma_f64 v[10:11], v[19:20], v[15:16], -v[10:11]
	s_delay_alu instid0(VALU_DEP_2) | instskip(NEXT) | instid1(VALU_DEP_2)
	v_fma_f64 v[15:16], v[21:22], v[15:16], v[17:18]
	v_add_f64 v[3:4], v[3:4], v[10:11]
	s_delay_alu instid0(VALU_DEP_2)
	v_add_f64 v[1:2], v[1:2], v[15:16]
	s_and_not1_b32 exec_lo, exec_lo, s3
	s_cbranch_execnz .LBB97_25
; %bb.26:
	s_or_b32 exec_lo, exec_lo, s3
	v_mov_b32_e32 v7, 0
	ds_load_b128 v[7:10], v7 offset:48
	s_waitcnt lgkmcnt(0)
	v_mul_f64 v[11:12], v[1:2], v[9:10]
	v_mul_f64 v[15:16], v[3:4], v[9:10]
	s_delay_alu instid0(VALU_DEP_2) | instskip(NEXT) | instid1(VALU_DEP_2)
	v_fma_f64 v[9:10], v[3:4], v[7:8], -v[11:12]
	v_fma_f64 v[11:12], v[1:2], v[7:8], v[15:16]
	scratch_store_b128 off, v[9:12], off offset:48
.LBB97_27:
	s_or_b32 exec_lo, exec_lo, s2
	s_waitcnt_vscnt null, 0x0
	s_barrier
	buffer_gl0_inv
	scratch_load_b128 v[1:4], v119, off
	s_mov_b32 s2, exec_lo
	s_waitcnt vmcnt(0)
	ds_store_b128 v5, v[1:4]
	s_waitcnt lgkmcnt(0)
	s_barrier
	buffer_gl0_inv
	v_cmpx_gt_u32_e32 4, v110
	s_cbranch_execz .LBB97_31
; %bb.28:
	v_dual_mov_b32 v1, 0 :: v_dual_add_nc_u32 v8, 0x220, v13
	v_dual_mov_b32 v2, 0 :: v_dual_add_nc_u32 v7, -1, v110
	v_or_b32_e32 v9, 8, v14
	s_mov_b32 s3, 0
	s_delay_alu instid0(VALU_DEP_2)
	v_dual_mov_b32 v4, v2 :: v_dual_mov_b32 v3, v1
	.p2align	6
.LBB97_29:                              ; =>This Inner Loop Header: Depth=1
	scratch_load_b128 v[15:18], v9, off offset:-8
	ds_load_b128 v[19:22], v8
	v_add_nc_u32_e32 v7, 1, v7
	v_add_nc_u32_e32 v8, 16, v8
	;; [unrolled: 1-line block ×3, first 2 shown]
	s_delay_alu instid0(VALU_DEP_3) | instskip(SKIP_4) | instid1(VALU_DEP_2)
	v_cmp_lt_u32_e32 vcc_lo, 2, v7
	s_or_b32 s3, vcc_lo, s3
	s_waitcnt vmcnt(0) lgkmcnt(0)
	v_mul_f64 v[10:11], v[21:22], v[17:18]
	v_mul_f64 v[17:18], v[19:20], v[17:18]
	v_fma_f64 v[10:11], v[19:20], v[15:16], -v[10:11]
	s_delay_alu instid0(VALU_DEP_2) | instskip(NEXT) | instid1(VALU_DEP_2)
	v_fma_f64 v[15:16], v[21:22], v[15:16], v[17:18]
	v_add_f64 v[3:4], v[3:4], v[10:11]
	s_delay_alu instid0(VALU_DEP_2)
	v_add_f64 v[1:2], v[1:2], v[15:16]
	s_and_not1_b32 exec_lo, exec_lo, s3
	s_cbranch_execnz .LBB97_29
; %bb.30:
	s_or_b32 exec_lo, exec_lo, s3
	v_mov_b32_e32 v7, 0
	ds_load_b128 v[7:10], v7 offset:64
	s_waitcnt lgkmcnt(0)
	v_mul_f64 v[11:12], v[1:2], v[9:10]
	v_mul_f64 v[15:16], v[3:4], v[9:10]
	s_delay_alu instid0(VALU_DEP_2) | instskip(NEXT) | instid1(VALU_DEP_2)
	v_fma_f64 v[9:10], v[3:4], v[7:8], -v[11:12]
	v_fma_f64 v[11:12], v[1:2], v[7:8], v[15:16]
	scratch_store_b128 off, v[9:12], off offset:64
.LBB97_31:
	s_or_b32 exec_lo, exec_lo, s2
	s_waitcnt_vscnt null, 0x0
	s_barrier
	buffer_gl0_inv
	scratch_load_b128 v[1:4], v143, off
	s_mov_b32 s2, exec_lo
	s_waitcnt vmcnt(0)
	ds_store_b128 v5, v[1:4]
	s_waitcnt lgkmcnt(0)
	s_barrier
	buffer_gl0_inv
	v_cmpx_gt_u32_e32 5, v110
	s_cbranch_execz .LBB97_35
; %bb.32:
	v_dual_mov_b32 v1, 0 :: v_dual_add_nc_u32 v8, 0x220, v13
	v_dual_mov_b32 v2, 0 :: v_dual_add_nc_u32 v7, -1, v110
	v_or_b32_e32 v9, 8, v14
	s_mov_b32 s3, 0
	s_delay_alu instid0(VALU_DEP_2)
	v_dual_mov_b32 v4, v2 :: v_dual_mov_b32 v3, v1
	.p2align	6
.LBB97_33:                              ; =>This Inner Loop Header: Depth=1
	scratch_load_b128 v[15:18], v9, off offset:-8
	ds_load_b128 v[19:22], v8
	v_add_nc_u32_e32 v7, 1, v7
	v_add_nc_u32_e32 v8, 16, v8
	;; [unrolled: 1-line block ×3, first 2 shown]
	s_delay_alu instid0(VALU_DEP_3) | instskip(SKIP_4) | instid1(VALU_DEP_2)
	v_cmp_lt_u32_e32 vcc_lo, 3, v7
	s_or_b32 s3, vcc_lo, s3
	s_waitcnt vmcnt(0) lgkmcnt(0)
	v_mul_f64 v[10:11], v[21:22], v[17:18]
	v_mul_f64 v[17:18], v[19:20], v[17:18]
	v_fma_f64 v[10:11], v[19:20], v[15:16], -v[10:11]
	s_delay_alu instid0(VALU_DEP_2) | instskip(NEXT) | instid1(VALU_DEP_2)
	v_fma_f64 v[15:16], v[21:22], v[15:16], v[17:18]
	v_add_f64 v[3:4], v[3:4], v[10:11]
	s_delay_alu instid0(VALU_DEP_2)
	v_add_f64 v[1:2], v[1:2], v[15:16]
	s_and_not1_b32 exec_lo, exec_lo, s3
	s_cbranch_execnz .LBB97_33
; %bb.34:
	s_or_b32 exec_lo, exec_lo, s3
	v_mov_b32_e32 v7, 0
	ds_load_b128 v[7:10], v7 offset:80
	s_waitcnt lgkmcnt(0)
	v_mul_f64 v[11:12], v[1:2], v[9:10]
	v_mul_f64 v[15:16], v[3:4], v[9:10]
	s_delay_alu instid0(VALU_DEP_2) | instskip(NEXT) | instid1(VALU_DEP_2)
	v_fma_f64 v[9:10], v[3:4], v[7:8], -v[11:12]
	v_fma_f64 v[11:12], v[1:2], v[7:8], v[15:16]
	scratch_store_b128 off, v[9:12], off offset:80
.LBB97_35:
	s_or_b32 exec_lo, exec_lo, s2
	s_waitcnt_vscnt null, 0x0
	s_barrier
	buffer_gl0_inv
	scratch_load_b128 v[1:4], v141, off
	s_mov_b32 s2, exec_lo
	s_waitcnt vmcnt(0)
	ds_store_b128 v5, v[1:4]
	s_waitcnt lgkmcnt(0)
	s_barrier
	buffer_gl0_inv
	v_cmpx_gt_u32_e32 6, v110
	s_cbranch_execz .LBB97_39
; %bb.36:
	v_dual_mov_b32 v1, 0 :: v_dual_add_nc_u32 v8, 0x220, v13
	v_dual_mov_b32 v2, 0 :: v_dual_add_nc_u32 v7, -1, v110
	v_or_b32_e32 v9, 8, v14
	s_mov_b32 s3, 0
	s_delay_alu instid0(VALU_DEP_2)
	v_dual_mov_b32 v4, v2 :: v_dual_mov_b32 v3, v1
	.p2align	6
.LBB97_37:                              ; =>This Inner Loop Header: Depth=1
	scratch_load_b128 v[15:18], v9, off offset:-8
	ds_load_b128 v[19:22], v8
	v_add_nc_u32_e32 v7, 1, v7
	v_add_nc_u32_e32 v8, 16, v8
	;; [unrolled: 1-line block ×3, first 2 shown]
	s_delay_alu instid0(VALU_DEP_3) | instskip(SKIP_4) | instid1(VALU_DEP_2)
	v_cmp_lt_u32_e32 vcc_lo, 4, v7
	s_or_b32 s3, vcc_lo, s3
	s_waitcnt vmcnt(0) lgkmcnt(0)
	v_mul_f64 v[10:11], v[21:22], v[17:18]
	v_mul_f64 v[17:18], v[19:20], v[17:18]
	v_fma_f64 v[10:11], v[19:20], v[15:16], -v[10:11]
	s_delay_alu instid0(VALU_DEP_2) | instskip(NEXT) | instid1(VALU_DEP_2)
	v_fma_f64 v[15:16], v[21:22], v[15:16], v[17:18]
	v_add_f64 v[3:4], v[3:4], v[10:11]
	s_delay_alu instid0(VALU_DEP_2)
	v_add_f64 v[1:2], v[1:2], v[15:16]
	s_and_not1_b32 exec_lo, exec_lo, s3
	s_cbranch_execnz .LBB97_37
; %bb.38:
	s_or_b32 exec_lo, exec_lo, s3
	v_mov_b32_e32 v7, 0
	ds_load_b128 v[7:10], v7 offset:96
	s_waitcnt lgkmcnt(0)
	v_mul_f64 v[11:12], v[1:2], v[9:10]
	v_mul_f64 v[15:16], v[3:4], v[9:10]
	s_delay_alu instid0(VALU_DEP_2) | instskip(NEXT) | instid1(VALU_DEP_2)
	v_fma_f64 v[9:10], v[3:4], v[7:8], -v[11:12]
	v_fma_f64 v[11:12], v[1:2], v[7:8], v[15:16]
	scratch_store_b128 off, v[9:12], off offset:96
.LBB97_39:
	s_or_b32 exec_lo, exec_lo, s2
	s_waitcnt_vscnt null, 0x0
	s_barrier
	buffer_gl0_inv
	scratch_load_b128 v[1:4], v142, off
	s_mov_b32 s2, exec_lo
	s_waitcnt vmcnt(0)
	ds_store_b128 v5, v[1:4]
	s_waitcnt lgkmcnt(0)
	s_barrier
	buffer_gl0_inv
	v_cmpx_gt_u32_e32 7, v110
	s_cbranch_execz .LBB97_43
; %bb.40:
	v_dual_mov_b32 v1, 0 :: v_dual_add_nc_u32 v8, 0x220, v13
	v_dual_mov_b32 v2, 0 :: v_dual_add_nc_u32 v7, -1, v110
	v_or_b32_e32 v9, 8, v14
	s_mov_b32 s3, 0
	s_delay_alu instid0(VALU_DEP_2)
	v_dual_mov_b32 v4, v2 :: v_dual_mov_b32 v3, v1
	.p2align	6
.LBB97_41:                              ; =>This Inner Loop Header: Depth=1
	scratch_load_b128 v[15:18], v9, off offset:-8
	ds_load_b128 v[19:22], v8
	v_add_nc_u32_e32 v7, 1, v7
	v_add_nc_u32_e32 v8, 16, v8
	;; [unrolled: 1-line block ×3, first 2 shown]
	s_delay_alu instid0(VALU_DEP_3) | instskip(SKIP_4) | instid1(VALU_DEP_2)
	v_cmp_lt_u32_e32 vcc_lo, 5, v7
	s_or_b32 s3, vcc_lo, s3
	s_waitcnt vmcnt(0) lgkmcnt(0)
	v_mul_f64 v[10:11], v[21:22], v[17:18]
	v_mul_f64 v[17:18], v[19:20], v[17:18]
	v_fma_f64 v[10:11], v[19:20], v[15:16], -v[10:11]
	s_delay_alu instid0(VALU_DEP_2) | instskip(NEXT) | instid1(VALU_DEP_2)
	v_fma_f64 v[15:16], v[21:22], v[15:16], v[17:18]
	v_add_f64 v[3:4], v[3:4], v[10:11]
	s_delay_alu instid0(VALU_DEP_2)
	v_add_f64 v[1:2], v[1:2], v[15:16]
	s_and_not1_b32 exec_lo, exec_lo, s3
	s_cbranch_execnz .LBB97_41
; %bb.42:
	s_or_b32 exec_lo, exec_lo, s3
	v_mov_b32_e32 v7, 0
	ds_load_b128 v[7:10], v7 offset:112
	s_waitcnt lgkmcnt(0)
	v_mul_f64 v[11:12], v[1:2], v[9:10]
	v_mul_f64 v[15:16], v[3:4], v[9:10]
	s_delay_alu instid0(VALU_DEP_2) | instskip(NEXT) | instid1(VALU_DEP_2)
	v_fma_f64 v[9:10], v[3:4], v[7:8], -v[11:12]
	v_fma_f64 v[11:12], v[1:2], v[7:8], v[15:16]
	scratch_store_b128 off, v[9:12], off offset:112
.LBB97_43:
	s_or_b32 exec_lo, exec_lo, s2
	s_waitcnt_vscnt null, 0x0
	s_barrier
	buffer_gl0_inv
	scratch_load_b128 v[1:4], v140, off
	s_mov_b32 s2, exec_lo
	s_waitcnt vmcnt(0)
	ds_store_b128 v5, v[1:4]
	s_waitcnt lgkmcnt(0)
	s_barrier
	buffer_gl0_inv
	v_cmpx_gt_u32_e32 8, v110
	s_cbranch_execz .LBB97_47
; %bb.44:
	v_dual_mov_b32 v1, 0 :: v_dual_add_nc_u32 v8, 0x220, v13
	v_dual_mov_b32 v2, 0 :: v_dual_add_nc_u32 v7, -1, v110
	v_or_b32_e32 v9, 8, v14
	s_mov_b32 s3, 0
	s_delay_alu instid0(VALU_DEP_2)
	v_dual_mov_b32 v4, v2 :: v_dual_mov_b32 v3, v1
	.p2align	6
.LBB97_45:                              ; =>This Inner Loop Header: Depth=1
	scratch_load_b128 v[15:18], v9, off offset:-8
	ds_load_b128 v[19:22], v8
	v_add_nc_u32_e32 v7, 1, v7
	v_add_nc_u32_e32 v8, 16, v8
	;; [unrolled: 1-line block ×3, first 2 shown]
	s_delay_alu instid0(VALU_DEP_3) | instskip(SKIP_4) | instid1(VALU_DEP_2)
	v_cmp_lt_u32_e32 vcc_lo, 6, v7
	s_or_b32 s3, vcc_lo, s3
	s_waitcnt vmcnt(0) lgkmcnt(0)
	v_mul_f64 v[10:11], v[21:22], v[17:18]
	v_mul_f64 v[17:18], v[19:20], v[17:18]
	v_fma_f64 v[10:11], v[19:20], v[15:16], -v[10:11]
	s_delay_alu instid0(VALU_DEP_2) | instskip(NEXT) | instid1(VALU_DEP_2)
	v_fma_f64 v[15:16], v[21:22], v[15:16], v[17:18]
	v_add_f64 v[3:4], v[3:4], v[10:11]
	s_delay_alu instid0(VALU_DEP_2)
	v_add_f64 v[1:2], v[1:2], v[15:16]
	s_and_not1_b32 exec_lo, exec_lo, s3
	s_cbranch_execnz .LBB97_45
; %bb.46:
	s_or_b32 exec_lo, exec_lo, s3
	v_mov_b32_e32 v7, 0
	ds_load_b128 v[7:10], v7 offset:128
	s_waitcnt lgkmcnt(0)
	v_mul_f64 v[11:12], v[1:2], v[9:10]
	v_mul_f64 v[15:16], v[3:4], v[9:10]
	s_delay_alu instid0(VALU_DEP_2) | instskip(NEXT) | instid1(VALU_DEP_2)
	v_fma_f64 v[9:10], v[3:4], v[7:8], -v[11:12]
	v_fma_f64 v[11:12], v[1:2], v[7:8], v[15:16]
	scratch_store_b128 off, v[9:12], off offset:128
.LBB97_47:
	s_or_b32 exec_lo, exec_lo, s2
	s_waitcnt_vscnt null, 0x0
	s_barrier
	buffer_gl0_inv
	scratch_load_b128 v[1:4], v139, off
	s_mov_b32 s2, exec_lo
	s_waitcnt vmcnt(0)
	ds_store_b128 v5, v[1:4]
	s_waitcnt lgkmcnt(0)
	s_barrier
	buffer_gl0_inv
	v_cmpx_gt_u32_e32 9, v110
	s_cbranch_execz .LBB97_51
; %bb.48:
	v_dual_mov_b32 v1, 0 :: v_dual_add_nc_u32 v8, 0x220, v13
	v_dual_mov_b32 v2, 0 :: v_dual_add_nc_u32 v7, -1, v110
	v_or_b32_e32 v9, 8, v14
	s_mov_b32 s3, 0
	s_delay_alu instid0(VALU_DEP_2)
	v_dual_mov_b32 v4, v2 :: v_dual_mov_b32 v3, v1
	.p2align	6
.LBB97_49:                              ; =>This Inner Loop Header: Depth=1
	scratch_load_b128 v[15:18], v9, off offset:-8
	ds_load_b128 v[19:22], v8
	v_add_nc_u32_e32 v7, 1, v7
	v_add_nc_u32_e32 v8, 16, v8
	;; [unrolled: 1-line block ×3, first 2 shown]
	s_delay_alu instid0(VALU_DEP_3) | instskip(SKIP_4) | instid1(VALU_DEP_2)
	v_cmp_lt_u32_e32 vcc_lo, 7, v7
	s_or_b32 s3, vcc_lo, s3
	s_waitcnt vmcnt(0) lgkmcnt(0)
	v_mul_f64 v[10:11], v[21:22], v[17:18]
	v_mul_f64 v[17:18], v[19:20], v[17:18]
	v_fma_f64 v[10:11], v[19:20], v[15:16], -v[10:11]
	s_delay_alu instid0(VALU_DEP_2) | instskip(NEXT) | instid1(VALU_DEP_2)
	v_fma_f64 v[15:16], v[21:22], v[15:16], v[17:18]
	v_add_f64 v[3:4], v[3:4], v[10:11]
	s_delay_alu instid0(VALU_DEP_2)
	v_add_f64 v[1:2], v[1:2], v[15:16]
	s_and_not1_b32 exec_lo, exec_lo, s3
	s_cbranch_execnz .LBB97_49
; %bb.50:
	s_or_b32 exec_lo, exec_lo, s3
	v_mov_b32_e32 v7, 0
	ds_load_b128 v[7:10], v7 offset:144
	s_waitcnt lgkmcnt(0)
	v_mul_f64 v[11:12], v[1:2], v[9:10]
	v_mul_f64 v[15:16], v[3:4], v[9:10]
	s_delay_alu instid0(VALU_DEP_2) | instskip(NEXT) | instid1(VALU_DEP_2)
	v_fma_f64 v[9:10], v[3:4], v[7:8], -v[11:12]
	v_fma_f64 v[11:12], v[1:2], v[7:8], v[15:16]
	scratch_store_b128 off, v[9:12], off offset:144
.LBB97_51:
	s_or_b32 exec_lo, exec_lo, s2
	s_waitcnt_vscnt null, 0x0
	s_barrier
	buffer_gl0_inv
	scratch_load_b128 v[1:4], v137, off
	s_mov_b32 s2, exec_lo
	s_waitcnt vmcnt(0)
	ds_store_b128 v5, v[1:4]
	s_waitcnt lgkmcnt(0)
	s_barrier
	buffer_gl0_inv
	v_cmpx_gt_u32_e32 10, v110
	s_cbranch_execz .LBB97_55
; %bb.52:
	v_dual_mov_b32 v1, 0 :: v_dual_add_nc_u32 v8, 0x220, v13
	v_dual_mov_b32 v2, 0 :: v_dual_add_nc_u32 v7, -1, v110
	v_or_b32_e32 v9, 8, v14
	s_mov_b32 s3, 0
	s_delay_alu instid0(VALU_DEP_2)
	v_dual_mov_b32 v4, v2 :: v_dual_mov_b32 v3, v1
	.p2align	6
.LBB97_53:                              ; =>This Inner Loop Header: Depth=1
	scratch_load_b128 v[15:18], v9, off offset:-8
	ds_load_b128 v[19:22], v8
	v_add_nc_u32_e32 v7, 1, v7
	v_add_nc_u32_e32 v8, 16, v8
	;; [unrolled: 1-line block ×3, first 2 shown]
	s_delay_alu instid0(VALU_DEP_3) | instskip(SKIP_4) | instid1(VALU_DEP_2)
	v_cmp_lt_u32_e32 vcc_lo, 8, v7
	s_or_b32 s3, vcc_lo, s3
	s_waitcnt vmcnt(0) lgkmcnt(0)
	v_mul_f64 v[10:11], v[21:22], v[17:18]
	v_mul_f64 v[17:18], v[19:20], v[17:18]
	v_fma_f64 v[10:11], v[19:20], v[15:16], -v[10:11]
	s_delay_alu instid0(VALU_DEP_2) | instskip(NEXT) | instid1(VALU_DEP_2)
	v_fma_f64 v[15:16], v[21:22], v[15:16], v[17:18]
	v_add_f64 v[3:4], v[3:4], v[10:11]
	s_delay_alu instid0(VALU_DEP_2)
	v_add_f64 v[1:2], v[1:2], v[15:16]
	s_and_not1_b32 exec_lo, exec_lo, s3
	s_cbranch_execnz .LBB97_53
; %bb.54:
	s_or_b32 exec_lo, exec_lo, s3
	v_mov_b32_e32 v7, 0
	ds_load_b128 v[7:10], v7 offset:160
	s_waitcnt lgkmcnt(0)
	v_mul_f64 v[11:12], v[1:2], v[9:10]
	v_mul_f64 v[15:16], v[3:4], v[9:10]
	s_delay_alu instid0(VALU_DEP_2) | instskip(NEXT) | instid1(VALU_DEP_2)
	v_fma_f64 v[9:10], v[3:4], v[7:8], -v[11:12]
	v_fma_f64 v[11:12], v[1:2], v[7:8], v[15:16]
	scratch_store_b128 off, v[9:12], off offset:160
.LBB97_55:
	s_or_b32 exec_lo, exec_lo, s2
	s_waitcnt_vscnt null, 0x0
	s_barrier
	buffer_gl0_inv
	scratch_load_b128 v[1:4], v138, off
	s_mov_b32 s2, exec_lo
	s_waitcnt vmcnt(0)
	ds_store_b128 v5, v[1:4]
	s_waitcnt lgkmcnt(0)
	s_barrier
	buffer_gl0_inv
	v_cmpx_gt_u32_e32 11, v110
	s_cbranch_execz .LBB97_59
; %bb.56:
	v_dual_mov_b32 v1, 0 :: v_dual_add_nc_u32 v8, 0x220, v13
	v_dual_mov_b32 v2, 0 :: v_dual_add_nc_u32 v7, -1, v110
	v_or_b32_e32 v9, 8, v14
	s_mov_b32 s3, 0
	s_delay_alu instid0(VALU_DEP_2)
	v_dual_mov_b32 v4, v2 :: v_dual_mov_b32 v3, v1
	.p2align	6
.LBB97_57:                              ; =>This Inner Loop Header: Depth=1
	scratch_load_b128 v[15:18], v9, off offset:-8
	ds_load_b128 v[19:22], v8
	v_add_nc_u32_e32 v7, 1, v7
	v_add_nc_u32_e32 v8, 16, v8
	;; [unrolled: 1-line block ×3, first 2 shown]
	s_delay_alu instid0(VALU_DEP_3) | instskip(SKIP_4) | instid1(VALU_DEP_2)
	v_cmp_lt_u32_e32 vcc_lo, 9, v7
	s_or_b32 s3, vcc_lo, s3
	s_waitcnt vmcnt(0) lgkmcnt(0)
	v_mul_f64 v[10:11], v[21:22], v[17:18]
	v_mul_f64 v[17:18], v[19:20], v[17:18]
	v_fma_f64 v[10:11], v[19:20], v[15:16], -v[10:11]
	s_delay_alu instid0(VALU_DEP_2) | instskip(NEXT) | instid1(VALU_DEP_2)
	v_fma_f64 v[15:16], v[21:22], v[15:16], v[17:18]
	v_add_f64 v[3:4], v[3:4], v[10:11]
	s_delay_alu instid0(VALU_DEP_2)
	v_add_f64 v[1:2], v[1:2], v[15:16]
	s_and_not1_b32 exec_lo, exec_lo, s3
	s_cbranch_execnz .LBB97_57
; %bb.58:
	s_or_b32 exec_lo, exec_lo, s3
	v_mov_b32_e32 v7, 0
	ds_load_b128 v[7:10], v7 offset:176
	s_waitcnt lgkmcnt(0)
	v_mul_f64 v[11:12], v[1:2], v[9:10]
	v_mul_f64 v[15:16], v[3:4], v[9:10]
	s_delay_alu instid0(VALU_DEP_2) | instskip(NEXT) | instid1(VALU_DEP_2)
	v_fma_f64 v[9:10], v[3:4], v[7:8], -v[11:12]
	v_fma_f64 v[11:12], v[1:2], v[7:8], v[15:16]
	scratch_store_b128 off, v[9:12], off offset:176
.LBB97_59:
	s_or_b32 exec_lo, exec_lo, s2
	s_waitcnt_vscnt null, 0x0
	s_barrier
	buffer_gl0_inv
	scratch_load_b128 v[1:4], v136, off
	s_mov_b32 s2, exec_lo
	s_waitcnt vmcnt(0)
	ds_store_b128 v5, v[1:4]
	s_waitcnt lgkmcnt(0)
	s_barrier
	buffer_gl0_inv
	v_cmpx_gt_u32_e32 12, v110
	s_cbranch_execz .LBB97_63
; %bb.60:
	v_dual_mov_b32 v1, 0 :: v_dual_add_nc_u32 v8, 0x220, v13
	v_dual_mov_b32 v2, 0 :: v_dual_add_nc_u32 v7, -1, v110
	v_or_b32_e32 v9, 8, v14
	s_mov_b32 s3, 0
	s_delay_alu instid0(VALU_DEP_2)
	v_dual_mov_b32 v4, v2 :: v_dual_mov_b32 v3, v1
	.p2align	6
.LBB97_61:                              ; =>This Inner Loop Header: Depth=1
	scratch_load_b128 v[15:18], v9, off offset:-8
	ds_load_b128 v[19:22], v8
	v_add_nc_u32_e32 v7, 1, v7
	v_add_nc_u32_e32 v8, 16, v8
	v_add_nc_u32_e32 v9, 16, v9
	s_delay_alu instid0(VALU_DEP_3) | instskip(SKIP_4) | instid1(VALU_DEP_2)
	v_cmp_lt_u32_e32 vcc_lo, 10, v7
	s_or_b32 s3, vcc_lo, s3
	s_waitcnt vmcnt(0) lgkmcnt(0)
	v_mul_f64 v[10:11], v[21:22], v[17:18]
	v_mul_f64 v[17:18], v[19:20], v[17:18]
	v_fma_f64 v[10:11], v[19:20], v[15:16], -v[10:11]
	s_delay_alu instid0(VALU_DEP_2) | instskip(NEXT) | instid1(VALU_DEP_2)
	v_fma_f64 v[15:16], v[21:22], v[15:16], v[17:18]
	v_add_f64 v[3:4], v[3:4], v[10:11]
	s_delay_alu instid0(VALU_DEP_2)
	v_add_f64 v[1:2], v[1:2], v[15:16]
	s_and_not1_b32 exec_lo, exec_lo, s3
	s_cbranch_execnz .LBB97_61
; %bb.62:
	s_or_b32 exec_lo, exec_lo, s3
	v_mov_b32_e32 v7, 0
	ds_load_b128 v[7:10], v7 offset:192
	s_waitcnt lgkmcnt(0)
	v_mul_f64 v[11:12], v[1:2], v[9:10]
	v_mul_f64 v[15:16], v[3:4], v[9:10]
	s_delay_alu instid0(VALU_DEP_2) | instskip(NEXT) | instid1(VALU_DEP_2)
	v_fma_f64 v[9:10], v[3:4], v[7:8], -v[11:12]
	v_fma_f64 v[11:12], v[1:2], v[7:8], v[15:16]
	scratch_store_b128 off, v[9:12], off offset:192
.LBB97_63:
	s_or_b32 exec_lo, exec_lo, s2
	s_waitcnt_vscnt null, 0x0
	s_barrier
	buffer_gl0_inv
	scratch_load_b128 v[1:4], v135, off
	s_mov_b32 s2, exec_lo
	s_waitcnt vmcnt(0)
	ds_store_b128 v5, v[1:4]
	s_waitcnt lgkmcnt(0)
	s_barrier
	buffer_gl0_inv
	v_cmpx_gt_u32_e32 13, v110
	s_cbranch_execz .LBB97_67
; %bb.64:
	v_dual_mov_b32 v1, 0 :: v_dual_add_nc_u32 v8, 0x220, v13
	v_dual_mov_b32 v2, 0 :: v_dual_add_nc_u32 v7, -1, v110
	v_or_b32_e32 v9, 8, v14
	s_mov_b32 s3, 0
	s_delay_alu instid0(VALU_DEP_2)
	v_dual_mov_b32 v4, v2 :: v_dual_mov_b32 v3, v1
	.p2align	6
.LBB97_65:                              ; =>This Inner Loop Header: Depth=1
	scratch_load_b128 v[15:18], v9, off offset:-8
	ds_load_b128 v[19:22], v8
	v_add_nc_u32_e32 v7, 1, v7
	v_add_nc_u32_e32 v8, 16, v8
	;; [unrolled: 1-line block ×3, first 2 shown]
	s_delay_alu instid0(VALU_DEP_3) | instskip(SKIP_4) | instid1(VALU_DEP_2)
	v_cmp_lt_u32_e32 vcc_lo, 11, v7
	s_or_b32 s3, vcc_lo, s3
	s_waitcnt vmcnt(0) lgkmcnt(0)
	v_mul_f64 v[10:11], v[21:22], v[17:18]
	v_mul_f64 v[17:18], v[19:20], v[17:18]
	v_fma_f64 v[10:11], v[19:20], v[15:16], -v[10:11]
	s_delay_alu instid0(VALU_DEP_2) | instskip(NEXT) | instid1(VALU_DEP_2)
	v_fma_f64 v[15:16], v[21:22], v[15:16], v[17:18]
	v_add_f64 v[3:4], v[3:4], v[10:11]
	s_delay_alu instid0(VALU_DEP_2)
	v_add_f64 v[1:2], v[1:2], v[15:16]
	s_and_not1_b32 exec_lo, exec_lo, s3
	s_cbranch_execnz .LBB97_65
; %bb.66:
	s_or_b32 exec_lo, exec_lo, s3
	v_mov_b32_e32 v7, 0
	ds_load_b128 v[7:10], v7 offset:208
	s_waitcnt lgkmcnt(0)
	v_mul_f64 v[11:12], v[1:2], v[9:10]
	v_mul_f64 v[15:16], v[3:4], v[9:10]
	s_delay_alu instid0(VALU_DEP_2) | instskip(NEXT) | instid1(VALU_DEP_2)
	v_fma_f64 v[9:10], v[3:4], v[7:8], -v[11:12]
	v_fma_f64 v[11:12], v[1:2], v[7:8], v[15:16]
	scratch_store_b128 off, v[9:12], off offset:208
.LBB97_67:
	s_or_b32 exec_lo, exec_lo, s2
	s_waitcnt_vscnt null, 0x0
	s_barrier
	buffer_gl0_inv
	scratch_load_b128 v[1:4], v133, off
	s_mov_b32 s2, exec_lo
	s_waitcnt vmcnt(0)
	ds_store_b128 v5, v[1:4]
	s_waitcnt lgkmcnt(0)
	s_barrier
	buffer_gl0_inv
	v_cmpx_gt_u32_e32 14, v110
	s_cbranch_execz .LBB97_71
; %bb.68:
	v_dual_mov_b32 v1, 0 :: v_dual_add_nc_u32 v8, 0x220, v13
	v_dual_mov_b32 v2, 0 :: v_dual_add_nc_u32 v7, -1, v110
	v_or_b32_e32 v9, 8, v14
	s_mov_b32 s3, 0
	s_delay_alu instid0(VALU_DEP_2)
	v_dual_mov_b32 v4, v2 :: v_dual_mov_b32 v3, v1
	.p2align	6
.LBB97_69:                              ; =>This Inner Loop Header: Depth=1
	scratch_load_b128 v[15:18], v9, off offset:-8
	ds_load_b128 v[19:22], v8
	v_add_nc_u32_e32 v7, 1, v7
	v_add_nc_u32_e32 v8, 16, v8
	;; [unrolled: 1-line block ×3, first 2 shown]
	s_delay_alu instid0(VALU_DEP_3) | instskip(SKIP_4) | instid1(VALU_DEP_2)
	v_cmp_lt_u32_e32 vcc_lo, 12, v7
	s_or_b32 s3, vcc_lo, s3
	s_waitcnt vmcnt(0) lgkmcnt(0)
	v_mul_f64 v[10:11], v[21:22], v[17:18]
	v_mul_f64 v[17:18], v[19:20], v[17:18]
	v_fma_f64 v[10:11], v[19:20], v[15:16], -v[10:11]
	s_delay_alu instid0(VALU_DEP_2) | instskip(NEXT) | instid1(VALU_DEP_2)
	v_fma_f64 v[15:16], v[21:22], v[15:16], v[17:18]
	v_add_f64 v[3:4], v[3:4], v[10:11]
	s_delay_alu instid0(VALU_DEP_2)
	v_add_f64 v[1:2], v[1:2], v[15:16]
	s_and_not1_b32 exec_lo, exec_lo, s3
	s_cbranch_execnz .LBB97_69
; %bb.70:
	s_or_b32 exec_lo, exec_lo, s3
	v_mov_b32_e32 v7, 0
	ds_load_b128 v[7:10], v7 offset:224
	s_waitcnt lgkmcnt(0)
	v_mul_f64 v[11:12], v[1:2], v[9:10]
	v_mul_f64 v[15:16], v[3:4], v[9:10]
	s_delay_alu instid0(VALU_DEP_2) | instskip(NEXT) | instid1(VALU_DEP_2)
	v_fma_f64 v[9:10], v[3:4], v[7:8], -v[11:12]
	v_fma_f64 v[11:12], v[1:2], v[7:8], v[15:16]
	scratch_store_b128 off, v[9:12], off offset:224
.LBB97_71:
	s_or_b32 exec_lo, exec_lo, s2
	s_waitcnt_vscnt null, 0x0
	s_barrier
	buffer_gl0_inv
	scratch_load_b128 v[1:4], v134, off
	s_mov_b32 s2, exec_lo
	s_waitcnt vmcnt(0)
	ds_store_b128 v5, v[1:4]
	s_waitcnt lgkmcnt(0)
	s_barrier
	buffer_gl0_inv
	v_cmpx_gt_u32_e32 15, v110
	s_cbranch_execz .LBB97_75
; %bb.72:
	v_dual_mov_b32 v1, 0 :: v_dual_add_nc_u32 v8, 0x220, v13
	v_dual_mov_b32 v2, 0 :: v_dual_add_nc_u32 v7, -1, v110
	v_or_b32_e32 v9, 8, v14
	s_mov_b32 s3, 0
	s_delay_alu instid0(VALU_DEP_2)
	v_dual_mov_b32 v4, v2 :: v_dual_mov_b32 v3, v1
	.p2align	6
.LBB97_73:                              ; =>This Inner Loop Header: Depth=1
	scratch_load_b128 v[15:18], v9, off offset:-8
	ds_load_b128 v[19:22], v8
	v_add_nc_u32_e32 v7, 1, v7
	v_add_nc_u32_e32 v8, 16, v8
	;; [unrolled: 1-line block ×3, first 2 shown]
	s_delay_alu instid0(VALU_DEP_3) | instskip(SKIP_4) | instid1(VALU_DEP_2)
	v_cmp_lt_u32_e32 vcc_lo, 13, v7
	s_or_b32 s3, vcc_lo, s3
	s_waitcnt vmcnt(0) lgkmcnt(0)
	v_mul_f64 v[10:11], v[21:22], v[17:18]
	v_mul_f64 v[17:18], v[19:20], v[17:18]
	v_fma_f64 v[10:11], v[19:20], v[15:16], -v[10:11]
	s_delay_alu instid0(VALU_DEP_2) | instskip(NEXT) | instid1(VALU_DEP_2)
	v_fma_f64 v[15:16], v[21:22], v[15:16], v[17:18]
	v_add_f64 v[3:4], v[3:4], v[10:11]
	s_delay_alu instid0(VALU_DEP_2)
	v_add_f64 v[1:2], v[1:2], v[15:16]
	s_and_not1_b32 exec_lo, exec_lo, s3
	s_cbranch_execnz .LBB97_73
; %bb.74:
	s_or_b32 exec_lo, exec_lo, s3
	v_mov_b32_e32 v7, 0
	ds_load_b128 v[7:10], v7 offset:240
	s_waitcnt lgkmcnt(0)
	v_mul_f64 v[11:12], v[1:2], v[9:10]
	v_mul_f64 v[15:16], v[3:4], v[9:10]
	s_delay_alu instid0(VALU_DEP_2) | instskip(NEXT) | instid1(VALU_DEP_2)
	v_fma_f64 v[9:10], v[3:4], v[7:8], -v[11:12]
	v_fma_f64 v[11:12], v[1:2], v[7:8], v[15:16]
	scratch_store_b128 off, v[9:12], off offset:240
.LBB97_75:
	s_or_b32 exec_lo, exec_lo, s2
	s_waitcnt_vscnt null, 0x0
	s_barrier
	buffer_gl0_inv
	scratch_load_b128 v[1:4], v132, off
	s_mov_b32 s2, exec_lo
	s_waitcnt vmcnt(0)
	ds_store_b128 v5, v[1:4]
	s_waitcnt lgkmcnt(0)
	s_barrier
	buffer_gl0_inv
	v_cmpx_gt_u32_e32 16, v110
	s_cbranch_execz .LBB97_79
; %bb.76:
	v_dual_mov_b32 v1, 0 :: v_dual_add_nc_u32 v8, 0x220, v13
	v_dual_mov_b32 v2, 0 :: v_dual_add_nc_u32 v7, -1, v110
	v_or_b32_e32 v9, 8, v14
	s_mov_b32 s3, 0
	s_delay_alu instid0(VALU_DEP_2)
	v_dual_mov_b32 v4, v2 :: v_dual_mov_b32 v3, v1
	.p2align	6
.LBB97_77:                              ; =>This Inner Loop Header: Depth=1
	scratch_load_b128 v[15:18], v9, off offset:-8
	ds_load_b128 v[19:22], v8
	v_add_nc_u32_e32 v7, 1, v7
	v_add_nc_u32_e32 v8, 16, v8
	;; [unrolled: 1-line block ×3, first 2 shown]
	s_delay_alu instid0(VALU_DEP_3) | instskip(SKIP_4) | instid1(VALU_DEP_2)
	v_cmp_lt_u32_e32 vcc_lo, 14, v7
	s_or_b32 s3, vcc_lo, s3
	s_waitcnt vmcnt(0) lgkmcnt(0)
	v_mul_f64 v[10:11], v[21:22], v[17:18]
	v_mul_f64 v[17:18], v[19:20], v[17:18]
	v_fma_f64 v[10:11], v[19:20], v[15:16], -v[10:11]
	s_delay_alu instid0(VALU_DEP_2) | instskip(NEXT) | instid1(VALU_DEP_2)
	v_fma_f64 v[15:16], v[21:22], v[15:16], v[17:18]
	v_add_f64 v[3:4], v[3:4], v[10:11]
	s_delay_alu instid0(VALU_DEP_2)
	v_add_f64 v[1:2], v[1:2], v[15:16]
	s_and_not1_b32 exec_lo, exec_lo, s3
	s_cbranch_execnz .LBB97_77
; %bb.78:
	s_or_b32 exec_lo, exec_lo, s3
	v_mov_b32_e32 v7, 0
	ds_load_b128 v[7:10], v7 offset:256
	s_waitcnt lgkmcnt(0)
	v_mul_f64 v[11:12], v[1:2], v[9:10]
	v_mul_f64 v[15:16], v[3:4], v[9:10]
	s_delay_alu instid0(VALU_DEP_2) | instskip(NEXT) | instid1(VALU_DEP_2)
	v_fma_f64 v[9:10], v[3:4], v[7:8], -v[11:12]
	v_fma_f64 v[11:12], v[1:2], v[7:8], v[15:16]
	scratch_store_b128 off, v[9:12], off offset:256
.LBB97_79:
	s_or_b32 exec_lo, exec_lo, s2
	s_waitcnt_vscnt null, 0x0
	s_barrier
	buffer_gl0_inv
	scratch_load_b128 v[1:4], v131, off
	s_mov_b32 s2, exec_lo
	s_waitcnt vmcnt(0)
	ds_store_b128 v5, v[1:4]
	s_waitcnt lgkmcnt(0)
	s_barrier
	buffer_gl0_inv
	v_cmpx_gt_u32_e32 17, v110
	s_cbranch_execz .LBB97_83
; %bb.80:
	v_dual_mov_b32 v1, 0 :: v_dual_add_nc_u32 v8, 0x220, v13
	v_dual_mov_b32 v2, 0 :: v_dual_add_nc_u32 v7, -1, v110
	v_or_b32_e32 v9, 8, v14
	s_mov_b32 s3, 0
	s_delay_alu instid0(VALU_DEP_2)
	v_dual_mov_b32 v4, v2 :: v_dual_mov_b32 v3, v1
	.p2align	6
.LBB97_81:                              ; =>This Inner Loop Header: Depth=1
	scratch_load_b128 v[15:18], v9, off offset:-8
	ds_load_b128 v[19:22], v8
	v_add_nc_u32_e32 v7, 1, v7
	v_add_nc_u32_e32 v8, 16, v8
	v_add_nc_u32_e32 v9, 16, v9
	s_delay_alu instid0(VALU_DEP_3) | instskip(SKIP_4) | instid1(VALU_DEP_2)
	v_cmp_lt_u32_e32 vcc_lo, 15, v7
	s_or_b32 s3, vcc_lo, s3
	s_waitcnt vmcnt(0) lgkmcnt(0)
	v_mul_f64 v[10:11], v[21:22], v[17:18]
	v_mul_f64 v[17:18], v[19:20], v[17:18]
	v_fma_f64 v[10:11], v[19:20], v[15:16], -v[10:11]
	s_delay_alu instid0(VALU_DEP_2) | instskip(NEXT) | instid1(VALU_DEP_2)
	v_fma_f64 v[15:16], v[21:22], v[15:16], v[17:18]
	v_add_f64 v[3:4], v[3:4], v[10:11]
	s_delay_alu instid0(VALU_DEP_2)
	v_add_f64 v[1:2], v[1:2], v[15:16]
	s_and_not1_b32 exec_lo, exec_lo, s3
	s_cbranch_execnz .LBB97_81
; %bb.82:
	s_or_b32 exec_lo, exec_lo, s3
	v_mov_b32_e32 v7, 0
	ds_load_b128 v[7:10], v7 offset:272
	s_waitcnt lgkmcnt(0)
	v_mul_f64 v[11:12], v[1:2], v[9:10]
	v_mul_f64 v[15:16], v[3:4], v[9:10]
	s_delay_alu instid0(VALU_DEP_2) | instskip(NEXT) | instid1(VALU_DEP_2)
	v_fma_f64 v[9:10], v[3:4], v[7:8], -v[11:12]
	v_fma_f64 v[11:12], v[1:2], v[7:8], v[15:16]
	scratch_store_b128 off, v[9:12], off offset:272
.LBB97_83:
	s_or_b32 exec_lo, exec_lo, s2
	s_waitcnt_vscnt null, 0x0
	s_barrier
	buffer_gl0_inv
	scratch_load_b128 v[1:4], v129, off
	s_mov_b32 s2, exec_lo
	s_waitcnt vmcnt(0)
	ds_store_b128 v5, v[1:4]
	s_waitcnt lgkmcnt(0)
	s_barrier
	buffer_gl0_inv
	v_cmpx_gt_u32_e32 18, v110
	s_cbranch_execz .LBB97_87
; %bb.84:
	v_dual_mov_b32 v1, 0 :: v_dual_add_nc_u32 v8, 0x220, v13
	v_dual_mov_b32 v2, 0 :: v_dual_add_nc_u32 v7, -1, v110
	v_or_b32_e32 v9, 8, v14
	s_mov_b32 s3, 0
	s_delay_alu instid0(VALU_DEP_2)
	v_dual_mov_b32 v4, v2 :: v_dual_mov_b32 v3, v1
	.p2align	6
.LBB97_85:                              ; =>This Inner Loop Header: Depth=1
	scratch_load_b128 v[15:18], v9, off offset:-8
	ds_load_b128 v[19:22], v8
	v_add_nc_u32_e32 v7, 1, v7
	v_add_nc_u32_e32 v8, 16, v8
	;; [unrolled: 1-line block ×3, first 2 shown]
	s_delay_alu instid0(VALU_DEP_3) | instskip(SKIP_4) | instid1(VALU_DEP_2)
	v_cmp_lt_u32_e32 vcc_lo, 16, v7
	s_or_b32 s3, vcc_lo, s3
	s_waitcnt vmcnt(0) lgkmcnt(0)
	v_mul_f64 v[10:11], v[21:22], v[17:18]
	v_mul_f64 v[17:18], v[19:20], v[17:18]
	v_fma_f64 v[10:11], v[19:20], v[15:16], -v[10:11]
	s_delay_alu instid0(VALU_DEP_2) | instskip(NEXT) | instid1(VALU_DEP_2)
	v_fma_f64 v[15:16], v[21:22], v[15:16], v[17:18]
	v_add_f64 v[3:4], v[3:4], v[10:11]
	s_delay_alu instid0(VALU_DEP_2)
	v_add_f64 v[1:2], v[1:2], v[15:16]
	s_and_not1_b32 exec_lo, exec_lo, s3
	s_cbranch_execnz .LBB97_85
; %bb.86:
	s_or_b32 exec_lo, exec_lo, s3
	v_mov_b32_e32 v7, 0
	ds_load_b128 v[7:10], v7 offset:288
	s_waitcnt lgkmcnt(0)
	v_mul_f64 v[11:12], v[1:2], v[9:10]
	v_mul_f64 v[15:16], v[3:4], v[9:10]
	s_delay_alu instid0(VALU_DEP_2) | instskip(NEXT) | instid1(VALU_DEP_2)
	v_fma_f64 v[9:10], v[3:4], v[7:8], -v[11:12]
	v_fma_f64 v[11:12], v[1:2], v[7:8], v[15:16]
	scratch_store_b128 off, v[9:12], off offset:288
.LBB97_87:
	s_or_b32 exec_lo, exec_lo, s2
	s_waitcnt_vscnt null, 0x0
	s_barrier
	buffer_gl0_inv
	scratch_load_b128 v[1:4], v130, off
	s_mov_b32 s2, exec_lo
	s_waitcnt vmcnt(0)
	ds_store_b128 v5, v[1:4]
	s_waitcnt lgkmcnt(0)
	s_barrier
	buffer_gl0_inv
	v_cmpx_gt_u32_e32 19, v110
	s_cbranch_execz .LBB97_91
; %bb.88:
	v_dual_mov_b32 v1, 0 :: v_dual_add_nc_u32 v8, 0x220, v13
	v_dual_mov_b32 v2, 0 :: v_dual_add_nc_u32 v7, -1, v110
	v_or_b32_e32 v9, 8, v14
	s_mov_b32 s3, 0
	s_delay_alu instid0(VALU_DEP_2)
	v_dual_mov_b32 v4, v2 :: v_dual_mov_b32 v3, v1
	.p2align	6
.LBB97_89:                              ; =>This Inner Loop Header: Depth=1
	scratch_load_b128 v[15:18], v9, off offset:-8
	ds_load_b128 v[19:22], v8
	v_add_nc_u32_e32 v7, 1, v7
	v_add_nc_u32_e32 v8, 16, v8
	;; [unrolled: 1-line block ×3, first 2 shown]
	s_delay_alu instid0(VALU_DEP_3) | instskip(SKIP_4) | instid1(VALU_DEP_2)
	v_cmp_lt_u32_e32 vcc_lo, 17, v7
	s_or_b32 s3, vcc_lo, s3
	s_waitcnt vmcnt(0) lgkmcnt(0)
	v_mul_f64 v[10:11], v[21:22], v[17:18]
	v_mul_f64 v[17:18], v[19:20], v[17:18]
	v_fma_f64 v[10:11], v[19:20], v[15:16], -v[10:11]
	s_delay_alu instid0(VALU_DEP_2) | instskip(NEXT) | instid1(VALU_DEP_2)
	v_fma_f64 v[15:16], v[21:22], v[15:16], v[17:18]
	v_add_f64 v[3:4], v[3:4], v[10:11]
	s_delay_alu instid0(VALU_DEP_2)
	v_add_f64 v[1:2], v[1:2], v[15:16]
	s_and_not1_b32 exec_lo, exec_lo, s3
	s_cbranch_execnz .LBB97_89
; %bb.90:
	s_or_b32 exec_lo, exec_lo, s3
	v_mov_b32_e32 v7, 0
	ds_load_b128 v[7:10], v7 offset:304
	s_waitcnt lgkmcnt(0)
	v_mul_f64 v[11:12], v[1:2], v[9:10]
	v_mul_f64 v[15:16], v[3:4], v[9:10]
	s_delay_alu instid0(VALU_DEP_2) | instskip(NEXT) | instid1(VALU_DEP_2)
	v_fma_f64 v[9:10], v[3:4], v[7:8], -v[11:12]
	v_fma_f64 v[11:12], v[1:2], v[7:8], v[15:16]
	scratch_store_b128 off, v[9:12], off offset:304
.LBB97_91:
	s_or_b32 exec_lo, exec_lo, s2
	s_waitcnt_vscnt null, 0x0
	s_barrier
	buffer_gl0_inv
	scratch_load_b128 v[1:4], v128, off
	s_mov_b32 s2, exec_lo
	s_waitcnt vmcnt(0)
	ds_store_b128 v5, v[1:4]
	s_waitcnt lgkmcnt(0)
	s_barrier
	buffer_gl0_inv
	v_cmpx_gt_u32_e32 20, v110
	s_cbranch_execz .LBB97_95
; %bb.92:
	v_dual_mov_b32 v1, 0 :: v_dual_add_nc_u32 v8, 0x220, v13
	v_dual_mov_b32 v2, 0 :: v_dual_add_nc_u32 v7, -1, v110
	v_or_b32_e32 v9, 8, v14
	s_mov_b32 s3, 0
	s_delay_alu instid0(VALU_DEP_2)
	v_dual_mov_b32 v4, v2 :: v_dual_mov_b32 v3, v1
	.p2align	6
.LBB97_93:                              ; =>This Inner Loop Header: Depth=1
	scratch_load_b128 v[15:18], v9, off offset:-8
	ds_load_b128 v[19:22], v8
	v_add_nc_u32_e32 v7, 1, v7
	v_add_nc_u32_e32 v8, 16, v8
	;; [unrolled: 1-line block ×3, first 2 shown]
	s_delay_alu instid0(VALU_DEP_3) | instskip(SKIP_4) | instid1(VALU_DEP_2)
	v_cmp_lt_u32_e32 vcc_lo, 18, v7
	s_or_b32 s3, vcc_lo, s3
	s_waitcnt vmcnt(0) lgkmcnt(0)
	v_mul_f64 v[10:11], v[21:22], v[17:18]
	v_mul_f64 v[17:18], v[19:20], v[17:18]
	v_fma_f64 v[10:11], v[19:20], v[15:16], -v[10:11]
	s_delay_alu instid0(VALU_DEP_2) | instskip(NEXT) | instid1(VALU_DEP_2)
	v_fma_f64 v[15:16], v[21:22], v[15:16], v[17:18]
	v_add_f64 v[3:4], v[3:4], v[10:11]
	s_delay_alu instid0(VALU_DEP_2)
	v_add_f64 v[1:2], v[1:2], v[15:16]
	s_and_not1_b32 exec_lo, exec_lo, s3
	s_cbranch_execnz .LBB97_93
; %bb.94:
	s_or_b32 exec_lo, exec_lo, s3
	v_mov_b32_e32 v7, 0
	ds_load_b128 v[7:10], v7 offset:320
	s_waitcnt lgkmcnt(0)
	v_mul_f64 v[11:12], v[1:2], v[9:10]
	v_mul_f64 v[15:16], v[3:4], v[9:10]
	s_delay_alu instid0(VALU_DEP_2) | instskip(NEXT) | instid1(VALU_DEP_2)
	v_fma_f64 v[9:10], v[3:4], v[7:8], -v[11:12]
	v_fma_f64 v[11:12], v[1:2], v[7:8], v[15:16]
	scratch_store_b128 off, v[9:12], off offset:320
.LBB97_95:
	s_or_b32 exec_lo, exec_lo, s2
	s_waitcnt_vscnt null, 0x0
	s_barrier
	buffer_gl0_inv
	scratch_load_b128 v[1:4], v127, off
	s_mov_b32 s2, exec_lo
	s_waitcnt vmcnt(0)
	ds_store_b128 v5, v[1:4]
	s_waitcnt lgkmcnt(0)
	s_barrier
	buffer_gl0_inv
	v_cmpx_gt_u32_e32 21, v110
	s_cbranch_execz .LBB97_99
; %bb.96:
	v_dual_mov_b32 v1, 0 :: v_dual_add_nc_u32 v8, 0x220, v13
	v_dual_mov_b32 v2, 0 :: v_dual_add_nc_u32 v7, -1, v110
	v_or_b32_e32 v9, 8, v14
	s_mov_b32 s3, 0
	s_delay_alu instid0(VALU_DEP_2)
	v_dual_mov_b32 v4, v2 :: v_dual_mov_b32 v3, v1
	.p2align	6
.LBB97_97:                              ; =>This Inner Loop Header: Depth=1
	scratch_load_b128 v[15:18], v9, off offset:-8
	ds_load_b128 v[19:22], v8
	v_add_nc_u32_e32 v7, 1, v7
	v_add_nc_u32_e32 v8, 16, v8
	;; [unrolled: 1-line block ×3, first 2 shown]
	s_delay_alu instid0(VALU_DEP_3) | instskip(SKIP_4) | instid1(VALU_DEP_2)
	v_cmp_lt_u32_e32 vcc_lo, 19, v7
	s_or_b32 s3, vcc_lo, s3
	s_waitcnt vmcnt(0) lgkmcnt(0)
	v_mul_f64 v[10:11], v[21:22], v[17:18]
	v_mul_f64 v[17:18], v[19:20], v[17:18]
	v_fma_f64 v[10:11], v[19:20], v[15:16], -v[10:11]
	s_delay_alu instid0(VALU_DEP_2) | instskip(NEXT) | instid1(VALU_DEP_2)
	v_fma_f64 v[15:16], v[21:22], v[15:16], v[17:18]
	v_add_f64 v[3:4], v[3:4], v[10:11]
	s_delay_alu instid0(VALU_DEP_2)
	v_add_f64 v[1:2], v[1:2], v[15:16]
	s_and_not1_b32 exec_lo, exec_lo, s3
	s_cbranch_execnz .LBB97_97
; %bb.98:
	s_or_b32 exec_lo, exec_lo, s3
	v_mov_b32_e32 v7, 0
	ds_load_b128 v[7:10], v7 offset:336
	s_waitcnt lgkmcnt(0)
	v_mul_f64 v[11:12], v[1:2], v[9:10]
	v_mul_f64 v[15:16], v[3:4], v[9:10]
	s_delay_alu instid0(VALU_DEP_2) | instskip(NEXT) | instid1(VALU_DEP_2)
	v_fma_f64 v[9:10], v[3:4], v[7:8], -v[11:12]
	v_fma_f64 v[11:12], v[1:2], v[7:8], v[15:16]
	scratch_store_b128 off, v[9:12], off offset:336
.LBB97_99:
	s_or_b32 exec_lo, exec_lo, s2
	s_waitcnt_vscnt null, 0x0
	s_barrier
	buffer_gl0_inv
	scratch_load_b128 v[1:4], v125, off
	s_mov_b32 s2, exec_lo
	s_waitcnt vmcnt(0)
	ds_store_b128 v5, v[1:4]
	s_waitcnt lgkmcnt(0)
	s_barrier
	buffer_gl0_inv
	v_cmpx_gt_u32_e32 22, v110
	s_cbranch_execz .LBB97_103
; %bb.100:
	v_dual_mov_b32 v1, 0 :: v_dual_add_nc_u32 v8, 0x220, v13
	v_dual_mov_b32 v2, 0 :: v_dual_add_nc_u32 v7, -1, v110
	v_or_b32_e32 v9, 8, v14
	s_mov_b32 s3, 0
	s_delay_alu instid0(VALU_DEP_2)
	v_dual_mov_b32 v4, v2 :: v_dual_mov_b32 v3, v1
	.p2align	6
.LBB97_101:                             ; =>This Inner Loop Header: Depth=1
	scratch_load_b128 v[15:18], v9, off offset:-8
	ds_load_b128 v[19:22], v8
	v_add_nc_u32_e32 v7, 1, v7
	v_add_nc_u32_e32 v8, 16, v8
	;; [unrolled: 1-line block ×3, first 2 shown]
	s_delay_alu instid0(VALU_DEP_3) | instskip(SKIP_4) | instid1(VALU_DEP_2)
	v_cmp_lt_u32_e32 vcc_lo, 20, v7
	s_or_b32 s3, vcc_lo, s3
	s_waitcnt vmcnt(0) lgkmcnt(0)
	v_mul_f64 v[10:11], v[21:22], v[17:18]
	v_mul_f64 v[17:18], v[19:20], v[17:18]
	v_fma_f64 v[10:11], v[19:20], v[15:16], -v[10:11]
	s_delay_alu instid0(VALU_DEP_2) | instskip(NEXT) | instid1(VALU_DEP_2)
	v_fma_f64 v[15:16], v[21:22], v[15:16], v[17:18]
	v_add_f64 v[3:4], v[3:4], v[10:11]
	s_delay_alu instid0(VALU_DEP_2)
	v_add_f64 v[1:2], v[1:2], v[15:16]
	s_and_not1_b32 exec_lo, exec_lo, s3
	s_cbranch_execnz .LBB97_101
; %bb.102:
	s_or_b32 exec_lo, exec_lo, s3
	v_mov_b32_e32 v7, 0
	ds_load_b128 v[7:10], v7 offset:352
	s_waitcnt lgkmcnt(0)
	v_mul_f64 v[11:12], v[1:2], v[9:10]
	v_mul_f64 v[15:16], v[3:4], v[9:10]
	s_delay_alu instid0(VALU_DEP_2) | instskip(NEXT) | instid1(VALU_DEP_2)
	v_fma_f64 v[9:10], v[3:4], v[7:8], -v[11:12]
	v_fma_f64 v[11:12], v[1:2], v[7:8], v[15:16]
	scratch_store_b128 off, v[9:12], off offset:352
.LBB97_103:
	s_or_b32 exec_lo, exec_lo, s2
	s_waitcnt_vscnt null, 0x0
	s_barrier
	buffer_gl0_inv
	scratch_load_b128 v[1:4], v126, off
	s_mov_b32 s2, exec_lo
	s_waitcnt vmcnt(0)
	ds_store_b128 v5, v[1:4]
	s_waitcnt lgkmcnt(0)
	s_barrier
	buffer_gl0_inv
	v_cmpx_gt_u32_e32 23, v110
	s_cbranch_execz .LBB97_107
; %bb.104:
	v_dual_mov_b32 v1, 0 :: v_dual_add_nc_u32 v8, 0x220, v13
	v_dual_mov_b32 v2, 0 :: v_dual_add_nc_u32 v7, -1, v110
	v_or_b32_e32 v9, 8, v14
	s_mov_b32 s3, 0
	s_delay_alu instid0(VALU_DEP_2)
	v_dual_mov_b32 v4, v2 :: v_dual_mov_b32 v3, v1
	.p2align	6
.LBB97_105:                             ; =>This Inner Loop Header: Depth=1
	scratch_load_b128 v[15:18], v9, off offset:-8
	ds_load_b128 v[19:22], v8
	v_add_nc_u32_e32 v7, 1, v7
	v_add_nc_u32_e32 v8, 16, v8
	;; [unrolled: 1-line block ×3, first 2 shown]
	s_delay_alu instid0(VALU_DEP_3) | instskip(SKIP_4) | instid1(VALU_DEP_2)
	v_cmp_lt_u32_e32 vcc_lo, 21, v7
	s_or_b32 s3, vcc_lo, s3
	s_waitcnt vmcnt(0) lgkmcnt(0)
	v_mul_f64 v[10:11], v[21:22], v[17:18]
	v_mul_f64 v[17:18], v[19:20], v[17:18]
	v_fma_f64 v[10:11], v[19:20], v[15:16], -v[10:11]
	s_delay_alu instid0(VALU_DEP_2) | instskip(NEXT) | instid1(VALU_DEP_2)
	v_fma_f64 v[15:16], v[21:22], v[15:16], v[17:18]
	v_add_f64 v[3:4], v[3:4], v[10:11]
	s_delay_alu instid0(VALU_DEP_2)
	v_add_f64 v[1:2], v[1:2], v[15:16]
	s_and_not1_b32 exec_lo, exec_lo, s3
	s_cbranch_execnz .LBB97_105
; %bb.106:
	s_or_b32 exec_lo, exec_lo, s3
	v_mov_b32_e32 v7, 0
	ds_load_b128 v[7:10], v7 offset:368
	s_waitcnt lgkmcnt(0)
	v_mul_f64 v[11:12], v[1:2], v[9:10]
	v_mul_f64 v[15:16], v[3:4], v[9:10]
	s_delay_alu instid0(VALU_DEP_2) | instskip(NEXT) | instid1(VALU_DEP_2)
	v_fma_f64 v[9:10], v[3:4], v[7:8], -v[11:12]
	v_fma_f64 v[11:12], v[1:2], v[7:8], v[15:16]
	scratch_store_b128 off, v[9:12], off offset:368
.LBB97_107:
	s_or_b32 exec_lo, exec_lo, s2
	s_waitcnt_vscnt null, 0x0
	s_barrier
	buffer_gl0_inv
	scratch_load_b128 v[1:4], v124, off
	s_mov_b32 s2, exec_lo
	s_waitcnt vmcnt(0)
	ds_store_b128 v5, v[1:4]
	s_waitcnt lgkmcnt(0)
	s_barrier
	buffer_gl0_inv
	v_cmpx_gt_u32_e32 24, v110
	s_cbranch_execz .LBB97_111
; %bb.108:
	v_dual_mov_b32 v1, 0 :: v_dual_add_nc_u32 v8, 0x220, v13
	v_dual_mov_b32 v2, 0 :: v_dual_add_nc_u32 v7, -1, v110
	v_or_b32_e32 v9, 8, v14
	s_mov_b32 s3, 0
	s_delay_alu instid0(VALU_DEP_2)
	v_dual_mov_b32 v4, v2 :: v_dual_mov_b32 v3, v1
	.p2align	6
.LBB97_109:                             ; =>This Inner Loop Header: Depth=1
	scratch_load_b128 v[15:18], v9, off offset:-8
	ds_load_b128 v[19:22], v8
	v_add_nc_u32_e32 v7, 1, v7
	v_add_nc_u32_e32 v8, 16, v8
	v_add_nc_u32_e32 v9, 16, v9
	s_delay_alu instid0(VALU_DEP_3) | instskip(SKIP_4) | instid1(VALU_DEP_2)
	v_cmp_lt_u32_e32 vcc_lo, 22, v7
	s_or_b32 s3, vcc_lo, s3
	s_waitcnt vmcnt(0) lgkmcnt(0)
	v_mul_f64 v[10:11], v[21:22], v[17:18]
	v_mul_f64 v[17:18], v[19:20], v[17:18]
	v_fma_f64 v[10:11], v[19:20], v[15:16], -v[10:11]
	s_delay_alu instid0(VALU_DEP_2) | instskip(NEXT) | instid1(VALU_DEP_2)
	v_fma_f64 v[15:16], v[21:22], v[15:16], v[17:18]
	v_add_f64 v[3:4], v[3:4], v[10:11]
	s_delay_alu instid0(VALU_DEP_2)
	v_add_f64 v[1:2], v[1:2], v[15:16]
	s_and_not1_b32 exec_lo, exec_lo, s3
	s_cbranch_execnz .LBB97_109
; %bb.110:
	s_or_b32 exec_lo, exec_lo, s3
	v_mov_b32_e32 v7, 0
	ds_load_b128 v[7:10], v7 offset:384
	s_waitcnt lgkmcnt(0)
	v_mul_f64 v[11:12], v[1:2], v[9:10]
	v_mul_f64 v[15:16], v[3:4], v[9:10]
	s_delay_alu instid0(VALU_DEP_2) | instskip(NEXT) | instid1(VALU_DEP_2)
	v_fma_f64 v[9:10], v[3:4], v[7:8], -v[11:12]
	v_fma_f64 v[11:12], v[1:2], v[7:8], v[15:16]
	scratch_store_b128 off, v[9:12], off offset:384
.LBB97_111:
	s_or_b32 exec_lo, exec_lo, s2
	s_waitcnt_vscnt null, 0x0
	s_barrier
	buffer_gl0_inv
	scratch_load_b128 v[1:4], v123, off
	s_mov_b32 s2, exec_lo
	s_waitcnt vmcnt(0)
	ds_store_b128 v5, v[1:4]
	s_waitcnt lgkmcnt(0)
	s_barrier
	buffer_gl0_inv
	v_cmpx_gt_u32_e32 25, v110
	s_cbranch_execz .LBB97_115
; %bb.112:
	v_dual_mov_b32 v1, 0 :: v_dual_add_nc_u32 v8, 0x220, v13
	v_dual_mov_b32 v2, 0 :: v_dual_add_nc_u32 v7, -1, v110
	v_or_b32_e32 v9, 8, v14
	s_mov_b32 s3, 0
	s_delay_alu instid0(VALU_DEP_2)
	v_dual_mov_b32 v4, v2 :: v_dual_mov_b32 v3, v1
	.p2align	6
.LBB97_113:                             ; =>This Inner Loop Header: Depth=1
	scratch_load_b128 v[15:18], v9, off offset:-8
	ds_load_b128 v[19:22], v8
	v_add_nc_u32_e32 v7, 1, v7
	v_add_nc_u32_e32 v8, 16, v8
	;; [unrolled: 1-line block ×3, first 2 shown]
	s_delay_alu instid0(VALU_DEP_3) | instskip(SKIP_4) | instid1(VALU_DEP_2)
	v_cmp_lt_u32_e32 vcc_lo, 23, v7
	s_or_b32 s3, vcc_lo, s3
	s_waitcnt vmcnt(0) lgkmcnt(0)
	v_mul_f64 v[10:11], v[21:22], v[17:18]
	v_mul_f64 v[17:18], v[19:20], v[17:18]
	v_fma_f64 v[10:11], v[19:20], v[15:16], -v[10:11]
	s_delay_alu instid0(VALU_DEP_2) | instskip(NEXT) | instid1(VALU_DEP_2)
	v_fma_f64 v[15:16], v[21:22], v[15:16], v[17:18]
	v_add_f64 v[3:4], v[3:4], v[10:11]
	s_delay_alu instid0(VALU_DEP_2)
	v_add_f64 v[1:2], v[1:2], v[15:16]
	s_and_not1_b32 exec_lo, exec_lo, s3
	s_cbranch_execnz .LBB97_113
; %bb.114:
	s_or_b32 exec_lo, exec_lo, s3
	v_mov_b32_e32 v7, 0
	ds_load_b128 v[7:10], v7 offset:400
	s_waitcnt lgkmcnt(0)
	v_mul_f64 v[11:12], v[1:2], v[9:10]
	v_mul_f64 v[15:16], v[3:4], v[9:10]
	s_delay_alu instid0(VALU_DEP_2) | instskip(NEXT) | instid1(VALU_DEP_2)
	v_fma_f64 v[9:10], v[3:4], v[7:8], -v[11:12]
	v_fma_f64 v[11:12], v[1:2], v[7:8], v[15:16]
	scratch_store_b128 off, v[9:12], off offset:400
.LBB97_115:
	s_or_b32 exec_lo, exec_lo, s2
	s_waitcnt_vscnt null, 0x0
	s_barrier
	buffer_gl0_inv
	scratch_load_b128 v[1:4], v118, off
	s_mov_b32 s2, exec_lo
	s_waitcnt vmcnt(0)
	ds_store_b128 v5, v[1:4]
	s_waitcnt lgkmcnt(0)
	s_barrier
	buffer_gl0_inv
	v_cmpx_gt_u32_e32 26, v110
	s_cbranch_execz .LBB97_119
; %bb.116:
	v_dual_mov_b32 v1, 0 :: v_dual_add_nc_u32 v8, 0x220, v13
	v_dual_mov_b32 v2, 0 :: v_dual_add_nc_u32 v7, -1, v110
	v_or_b32_e32 v9, 8, v14
	s_mov_b32 s3, 0
	s_delay_alu instid0(VALU_DEP_2)
	v_dual_mov_b32 v4, v2 :: v_dual_mov_b32 v3, v1
	.p2align	6
.LBB97_117:                             ; =>This Inner Loop Header: Depth=1
	scratch_load_b128 v[15:18], v9, off offset:-8
	ds_load_b128 v[19:22], v8
	v_add_nc_u32_e32 v7, 1, v7
	v_add_nc_u32_e32 v8, 16, v8
	;; [unrolled: 1-line block ×3, first 2 shown]
	s_delay_alu instid0(VALU_DEP_3) | instskip(SKIP_4) | instid1(VALU_DEP_2)
	v_cmp_lt_u32_e32 vcc_lo, 24, v7
	s_or_b32 s3, vcc_lo, s3
	s_waitcnt vmcnt(0) lgkmcnt(0)
	v_mul_f64 v[10:11], v[21:22], v[17:18]
	v_mul_f64 v[17:18], v[19:20], v[17:18]
	v_fma_f64 v[10:11], v[19:20], v[15:16], -v[10:11]
	s_delay_alu instid0(VALU_DEP_2) | instskip(NEXT) | instid1(VALU_DEP_2)
	v_fma_f64 v[15:16], v[21:22], v[15:16], v[17:18]
	v_add_f64 v[3:4], v[3:4], v[10:11]
	s_delay_alu instid0(VALU_DEP_2)
	v_add_f64 v[1:2], v[1:2], v[15:16]
	s_and_not1_b32 exec_lo, exec_lo, s3
	s_cbranch_execnz .LBB97_117
; %bb.118:
	s_or_b32 exec_lo, exec_lo, s3
	v_mov_b32_e32 v7, 0
	ds_load_b128 v[7:10], v7 offset:416
	s_waitcnt lgkmcnt(0)
	v_mul_f64 v[11:12], v[1:2], v[9:10]
	v_mul_f64 v[15:16], v[3:4], v[9:10]
	s_delay_alu instid0(VALU_DEP_2) | instskip(NEXT) | instid1(VALU_DEP_2)
	v_fma_f64 v[9:10], v[3:4], v[7:8], -v[11:12]
	v_fma_f64 v[11:12], v[1:2], v[7:8], v[15:16]
	scratch_store_b128 off, v[9:12], off offset:416
.LBB97_119:
	s_or_b32 exec_lo, exec_lo, s2
	s_waitcnt_vscnt null, 0x0
	s_barrier
	buffer_gl0_inv
	scratch_load_b128 v[1:4], v117, off
	s_mov_b32 s2, exec_lo
	s_waitcnt vmcnt(0)
	ds_store_b128 v5, v[1:4]
	s_waitcnt lgkmcnt(0)
	s_barrier
	buffer_gl0_inv
	v_cmpx_gt_u32_e32 27, v110
	s_cbranch_execz .LBB97_123
; %bb.120:
	v_dual_mov_b32 v1, 0 :: v_dual_add_nc_u32 v8, 0x220, v13
	v_dual_mov_b32 v2, 0 :: v_dual_add_nc_u32 v7, -1, v110
	v_or_b32_e32 v9, 8, v14
	s_mov_b32 s3, 0
	s_delay_alu instid0(VALU_DEP_2)
	v_dual_mov_b32 v4, v2 :: v_dual_mov_b32 v3, v1
	.p2align	6
.LBB97_121:                             ; =>This Inner Loop Header: Depth=1
	scratch_load_b128 v[15:18], v9, off offset:-8
	ds_load_b128 v[19:22], v8
	v_add_nc_u32_e32 v7, 1, v7
	v_add_nc_u32_e32 v8, 16, v8
	;; [unrolled: 1-line block ×3, first 2 shown]
	s_delay_alu instid0(VALU_DEP_3) | instskip(SKIP_4) | instid1(VALU_DEP_2)
	v_cmp_lt_u32_e32 vcc_lo, 25, v7
	s_or_b32 s3, vcc_lo, s3
	s_waitcnt vmcnt(0) lgkmcnt(0)
	v_mul_f64 v[10:11], v[21:22], v[17:18]
	v_mul_f64 v[17:18], v[19:20], v[17:18]
	v_fma_f64 v[10:11], v[19:20], v[15:16], -v[10:11]
	s_delay_alu instid0(VALU_DEP_2) | instskip(NEXT) | instid1(VALU_DEP_2)
	v_fma_f64 v[15:16], v[21:22], v[15:16], v[17:18]
	v_add_f64 v[3:4], v[3:4], v[10:11]
	s_delay_alu instid0(VALU_DEP_2)
	v_add_f64 v[1:2], v[1:2], v[15:16]
	s_and_not1_b32 exec_lo, exec_lo, s3
	s_cbranch_execnz .LBB97_121
; %bb.122:
	s_or_b32 exec_lo, exec_lo, s3
	v_mov_b32_e32 v7, 0
	ds_load_b128 v[7:10], v7 offset:432
	s_waitcnt lgkmcnt(0)
	v_mul_f64 v[11:12], v[1:2], v[9:10]
	v_mul_f64 v[15:16], v[3:4], v[9:10]
	s_delay_alu instid0(VALU_DEP_2) | instskip(NEXT) | instid1(VALU_DEP_2)
	v_fma_f64 v[9:10], v[3:4], v[7:8], -v[11:12]
	v_fma_f64 v[11:12], v[1:2], v[7:8], v[15:16]
	scratch_store_b128 off, v[9:12], off offset:432
.LBB97_123:
	s_or_b32 exec_lo, exec_lo, s2
	s_waitcnt_vscnt null, 0x0
	s_barrier
	buffer_gl0_inv
	scratch_load_b128 v[1:4], v116, off
	s_mov_b32 s2, exec_lo
	s_waitcnt vmcnt(0)
	ds_store_b128 v5, v[1:4]
	s_waitcnt lgkmcnt(0)
	s_barrier
	buffer_gl0_inv
	v_cmpx_gt_u32_e32 28, v110
	s_cbranch_execz .LBB97_127
; %bb.124:
	v_dual_mov_b32 v1, 0 :: v_dual_add_nc_u32 v8, 0x220, v13
	v_dual_mov_b32 v2, 0 :: v_dual_add_nc_u32 v7, -1, v110
	v_or_b32_e32 v9, 8, v14
	s_mov_b32 s3, 0
	s_delay_alu instid0(VALU_DEP_2)
	v_dual_mov_b32 v4, v2 :: v_dual_mov_b32 v3, v1
	.p2align	6
.LBB97_125:                             ; =>This Inner Loop Header: Depth=1
	scratch_load_b128 v[15:18], v9, off offset:-8
	ds_load_b128 v[19:22], v8
	v_add_nc_u32_e32 v7, 1, v7
	v_add_nc_u32_e32 v8, 16, v8
	;; [unrolled: 1-line block ×3, first 2 shown]
	s_delay_alu instid0(VALU_DEP_3) | instskip(SKIP_4) | instid1(VALU_DEP_2)
	v_cmp_lt_u32_e32 vcc_lo, 26, v7
	s_or_b32 s3, vcc_lo, s3
	s_waitcnt vmcnt(0) lgkmcnt(0)
	v_mul_f64 v[10:11], v[21:22], v[17:18]
	v_mul_f64 v[17:18], v[19:20], v[17:18]
	v_fma_f64 v[10:11], v[19:20], v[15:16], -v[10:11]
	s_delay_alu instid0(VALU_DEP_2) | instskip(NEXT) | instid1(VALU_DEP_2)
	v_fma_f64 v[15:16], v[21:22], v[15:16], v[17:18]
	v_add_f64 v[3:4], v[3:4], v[10:11]
	s_delay_alu instid0(VALU_DEP_2)
	v_add_f64 v[1:2], v[1:2], v[15:16]
	s_and_not1_b32 exec_lo, exec_lo, s3
	s_cbranch_execnz .LBB97_125
; %bb.126:
	s_or_b32 exec_lo, exec_lo, s3
	v_mov_b32_e32 v7, 0
	ds_load_b128 v[7:10], v7 offset:448
	s_waitcnt lgkmcnt(0)
	v_mul_f64 v[11:12], v[1:2], v[9:10]
	v_mul_f64 v[15:16], v[3:4], v[9:10]
	s_delay_alu instid0(VALU_DEP_2) | instskip(NEXT) | instid1(VALU_DEP_2)
	v_fma_f64 v[9:10], v[3:4], v[7:8], -v[11:12]
	v_fma_f64 v[11:12], v[1:2], v[7:8], v[15:16]
	scratch_store_b128 off, v[9:12], off offset:448
.LBB97_127:
	s_or_b32 exec_lo, exec_lo, s2
	s_waitcnt_vscnt null, 0x0
	s_barrier
	buffer_gl0_inv
	scratch_load_b128 v[1:4], v115, off
	s_mov_b32 s2, exec_lo
	s_waitcnt vmcnt(0)
	ds_store_b128 v5, v[1:4]
	s_waitcnt lgkmcnt(0)
	s_barrier
	buffer_gl0_inv
	v_cmpx_gt_u32_e32 29, v110
	s_cbranch_execz .LBB97_131
; %bb.128:
	v_dual_mov_b32 v1, 0 :: v_dual_add_nc_u32 v8, 0x220, v13
	v_dual_mov_b32 v2, 0 :: v_dual_add_nc_u32 v7, -1, v110
	v_or_b32_e32 v9, 8, v14
	s_mov_b32 s3, 0
	s_delay_alu instid0(VALU_DEP_2)
	v_dual_mov_b32 v4, v2 :: v_dual_mov_b32 v3, v1
	.p2align	6
.LBB97_129:                             ; =>This Inner Loop Header: Depth=1
	scratch_load_b128 v[15:18], v9, off offset:-8
	ds_load_b128 v[19:22], v8
	v_add_nc_u32_e32 v7, 1, v7
	v_add_nc_u32_e32 v8, 16, v8
	;; [unrolled: 1-line block ×3, first 2 shown]
	s_delay_alu instid0(VALU_DEP_3) | instskip(SKIP_4) | instid1(VALU_DEP_2)
	v_cmp_lt_u32_e32 vcc_lo, 27, v7
	s_or_b32 s3, vcc_lo, s3
	s_waitcnt vmcnt(0) lgkmcnt(0)
	v_mul_f64 v[10:11], v[21:22], v[17:18]
	v_mul_f64 v[17:18], v[19:20], v[17:18]
	v_fma_f64 v[10:11], v[19:20], v[15:16], -v[10:11]
	s_delay_alu instid0(VALU_DEP_2) | instskip(NEXT) | instid1(VALU_DEP_2)
	v_fma_f64 v[15:16], v[21:22], v[15:16], v[17:18]
	v_add_f64 v[3:4], v[3:4], v[10:11]
	s_delay_alu instid0(VALU_DEP_2)
	v_add_f64 v[1:2], v[1:2], v[15:16]
	s_and_not1_b32 exec_lo, exec_lo, s3
	s_cbranch_execnz .LBB97_129
; %bb.130:
	s_or_b32 exec_lo, exec_lo, s3
	v_mov_b32_e32 v7, 0
	ds_load_b128 v[7:10], v7 offset:464
	s_waitcnt lgkmcnt(0)
	v_mul_f64 v[11:12], v[1:2], v[9:10]
	v_mul_f64 v[15:16], v[3:4], v[9:10]
	s_delay_alu instid0(VALU_DEP_2) | instskip(NEXT) | instid1(VALU_DEP_2)
	v_fma_f64 v[9:10], v[3:4], v[7:8], -v[11:12]
	v_fma_f64 v[11:12], v[1:2], v[7:8], v[15:16]
	scratch_store_b128 off, v[9:12], off offset:464
.LBB97_131:
	s_or_b32 exec_lo, exec_lo, s2
	s_waitcnt_vscnt null, 0x0
	s_barrier
	buffer_gl0_inv
	scratch_load_b128 v[1:4], v114, off
	s_mov_b32 s2, exec_lo
	s_waitcnt vmcnt(0)
	ds_store_b128 v5, v[1:4]
	s_waitcnt lgkmcnt(0)
	s_barrier
	buffer_gl0_inv
	v_cmpx_gt_u32_e32 30, v110
	s_cbranch_execz .LBB97_135
; %bb.132:
	v_dual_mov_b32 v1, 0 :: v_dual_add_nc_u32 v8, 0x220, v13
	v_dual_mov_b32 v2, 0 :: v_dual_add_nc_u32 v7, -1, v110
	v_or_b32_e32 v9, 8, v14
	s_mov_b32 s3, 0
	s_delay_alu instid0(VALU_DEP_2)
	v_dual_mov_b32 v4, v2 :: v_dual_mov_b32 v3, v1
	.p2align	6
.LBB97_133:                             ; =>This Inner Loop Header: Depth=1
	scratch_load_b128 v[15:18], v9, off offset:-8
	ds_load_b128 v[19:22], v8
	v_add_nc_u32_e32 v7, 1, v7
	v_add_nc_u32_e32 v8, 16, v8
	;; [unrolled: 1-line block ×3, first 2 shown]
	s_delay_alu instid0(VALU_DEP_3) | instskip(SKIP_4) | instid1(VALU_DEP_2)
	v_cmp_lt_u32_e32 vcc_lo, 28, v7
	s_or_b32 s3, vcc_lo, s3
	s_waitcnt vmcnt(0) lgkmcnt(0)
	v_mul_f64 v[10:11], v[21:22], v[17:18]
	v_mul_f64 v[17:18], v[19:20], v[17:18]
	v_fma_f64 v[10:11], v[19:20], v[15:16], -v[10:11]
	s_delay_alu instid0(VALU_DEP_2) | instskip(NEXT) | instid1(VALU_DEP_2)
	v_fma_f64 v[15:16], v[21:22], v[15:16], v[17:18]
	v_add_f64 v[3:4], v[3:4], v[10:11]
	s_delay_alu instid0(VALU_DEP_2)
	v_add_f64 v[1:2], v[1:2], v[15:16]
	s_and_not1_b32 exec_lo, exec_lo, s3
	s_cbranch_execnz .LBB97_133
; %bb.134:
	s_or_b32 exec_lo, exec_lo, s3
	v_mov_b32_e32 v7, 0
	ds_load_b128 v[7:10], v7 offset:480
	s_waitcnt lgkmcnt(0)
	v_mul_f64 v[11:12], v[1:2], v[9:10]
	v_mul_f64 v[15:16], v[3:4], v[9:10]
	s_delay_alu instid0(VALU_DEP_2) | instskip(NEXT) | instid1(VALU_DEP_2)
	v_fma_f64 v[9:10], v[3:4], v[7:8], -v[11:12]
	v_fma_f64 v[11:12], v[1:2], v[7:8], v[15:16]
	scratch_store_b128 off, v[9:12], off offset:480
.LBB97_135:
	s_or_b32 exec_lo, exec_lo, s2
	s_waitcnt_vscnt null, 0x0
	s_barrier
	buffer_gl0_inv
	scratch_load_b128 v[1:4], v113, off
	s_mov_b32 s2, exec_lo
	s_waitcnt vmcnt(0)
	ds_store_b128 v5, v[1:4]
	s_waitcnt lgkmcnt(0)
	s_barrier
	buffer_gl0_inv
	v_cmpx_gt_u32_e32 31, v110
	s_cbranch_execz .LBB97_139
; %bb.136:
	v_dual_mov_b32 v1, 0 :: v_dual_add_nc_u32 v8, 0x220, v13
	v_dual_mov_b32 v2, 0 :: v_dual_add_nc_u32 v7, -1, v110
	v_or_b32_e32 v9, 8, v14
	s_mov_b32 s3, 0
	s_delay_alu instid0(VALU_DEP_2)
	v_dual_mov_b32 v4, v2 :: v_dual_mov_b32 v3, v1
	.p2align	6
.LBB97_137:                             ; =>This Inner Loop Header: Depth=1
	scratch_load_b128 v[15:18], v9, off offset:-8
	ds_load_b128 v[19:22], v8
	v_add_nc_u32_e32 v7, 1, v7
	v_add_nc_u32_e32 v8, 16, v8
	;; [unrolled: 1-line block ×3, first 2 shown]
	s_delay_alu instid0(VALU_DEP_3) | instskip(SKIP_4) | instid1(VALU_DEP_2)
	v_cmp_lt_u32_e32 vcc_lo, 29, v7
	s_or_b32 s3, vcc_lo, s3
	s_waitcnt vmcnt(0) lgkmcnt(0)
	v_mul_f64 v[10:11], v[21:22], v[17:18]
	v_mul_f64 v[17:18], v[19:20], v[17:18]
	v_fma_f64 v[10:11], v[19:20], v[15:16], -v[10:11]
	s_delay_alu instid0(VALU_DEP_2) | instskip(NEXT) | instid1(VALU_DEP_2)
	v_fma_f64 v[15:16], v[21:22], v[15:16], v[17:18]
	v_add_f64 v[3:4], v[3:4], v[10:11]
	s_delay_alu instid0(VALU_DEP_2)
	v_add_f64 v[1:2], v[1:2], v[15:16]
	s_and_not1_b32 exec_lo, exec_lo, s3
	s_cbranch_execnz .LBB97_137
; %bb.138:
	s_or_b32 exec_lo, exec_lo, s3
	v_mov_b32_e32 v7, 0
	ds_load_b128 v[7:10], v7 offset:496
	s_waitcnt lgkmcnt(0)
	v_mul_f64 v[11:12], v[1:2], v[9:10]
	v_mul_f64 v[15:16], v[3:4], v[9:10]
	s_delay_alu instid0(VALU_DEP_2) | instskip(NEXT) | instid1(VALU_DEP_2)
	v_fma_f64 v[9:10], v[3:4], v[7:8], -v[11:12]
	v_fma_f64 v[11:12], v[1:2], v[7:8], v[15:16]
	scratch_store_b128 off, v[9:12], off offset:496
.LBB97_139:
	s_or_b32 exec_lo, exec_lo, s2
	s_waitcnt_vscnt null, 0x0
	s_barrier
	buffer_gl0_inv
	scratch_load_b128 v[1:4], v112, off
	s_mov_b32 s2, exec_lo
	s_waitcnt vmcnt(0)
	ds_store_b128 v5, v[1:4]
	s_waitcnt lgkmcnt(0)
	s_barrier
	buffer_gl0_inv
	v_cmpx_gt_u32_e32 32, v110
	s_cbranch_execz .LBB97_143
; %bb.140:
	v_dual_mov_b32 v1, 0 :: v_dual_add_nc_u32 v8, 0x220, v13
	v_dual_mov_b32 v2, 0 :: v_dual_add_nc_u32 v7, -1, v110
	v_or_b32_e32 v9, 8, v14
	s_mov_b32 s3, 0
	s_delay_alu instid0(VALU_DEP_2)
	v_dual_mov_b32 v4, v2 :: v_dual_mov_b32 v3, v1
	.p2align	6
.LBB97_141:                             ; =>This Inner Loop Header: Depth=1
	scratch_load_b128 v[10:13], v9, off offset:-8
	ds_load_b128 v[15:18], v8
	v_add_nc_u32_e32 v7, 1, v7
	v_add_nc_u32_e32 v8, 16, v8
	;; [unrolled: 1-line block ×3, first 2 shown]
	s_delay_alu instid0(VALU_DEP_3) | instskip(SKIP_4) | instid1(VALU_DEP_2)
	v_cmp_lt_u32_e32 vcc_lo, 30, v7
	s_or_b32 s3, vcc_lo, s3
	s_waitcnt vmcnt(0) lgkmcnt(0)
	v_mul_f64 v[19:20], v[17:18], v[12:13]
	v_mul_f64 v[12:13], v[15:16], v[12:13]
	v_fma_f64 v[15:16], v[15:16], v[10:11], -v[19:20]
	s_delay_alu instid0(VALU_DEP_2) | instskip(NEXT) | instid1(VALU_DEP_2)
	v_fma_f64 v[10:11], v[17:18], v[10:11], v[12:13]
	v_add_f64 v[3:4], v[3:4], v[15:16]
	s_delay_alu instid0(VALU_DEP_2)
	v_add_f64 v[1:2], v[1:2], v[10:11]
	s_and_not1_b32 exec_lo, exec_lo, s3
	s_cbranch_execnz .LBB97_141
; %bb.142:
	s_or_b32 exec_lo, exec_lo, s3
	v_mov_b32_e32 v7, 0
	ds_load_b128 v[7:10], v7 offset:512
	s_waitcnt lgkmcnt(0)
	v_mul_f64 v[11:12], v[1:2], v[9:10]
	v_mul_f64 v[15:16], v[3:4], v[9:10]
	s_delay_alu instid0(VALU_DEP_2) | instskip(NEXT) | instid1(VALU_DEP_2)
	v_fma_f64 v[9:10], v[3:4], v[7:8], -v[11:12]
	v_fma_f64 v[11:12], v[1:2], v[7:8], v[15:16]
	scratch_store_b128 off, v[9:12], off offset:512
.LBB97_143:
	s_or_b32 exec_lo, exec_lo, s2
	s_waitcnt_vscnt null, 0x0
	s_barrier
	buffer_gl0_inv
	scratch_load_b128 v[1:4], v111, off
	s_mov_b32 s2, exec_lo
	s_waitcnt vmcnt(0)
	ds_store_b128 v5, v[1:4]
	s_waitcnt lgkmcnt(0)
	s_barrier
	buffer_gl0_inv
	v_cmpx_ne_u32_e32 33, v110
	s_cbranch_execz .LBB97_147
; %bb.144:
	v_mov_b32_e32 v1, 0
	v_mov_b32_e32 v2, 0
	v_or_b32_e32 v7, 8, v14
	s_mov_b32 s3, 0
	s_delay_alu instid0(VALU_DEP_2)
	v_dual_mov_b32 v4, v2 :: v_dual_mov_b32 v3, v1
	.p2align	6
.LBB97_145:                             ; =>This Inner Loop Header: Depth=1
	scratch_load_b128 v[8:11], v7, off offset:-8
	ds_load_b128 v[12:15], v5
	v_add_nc_u32_e32 v6, 1, v6
	v_add_nc_u32_e32 v5, 16, v5
	;; [unrolled: 1-line block ×3, first 2 shown]
	s_delay_alu instid0(VALU_DEP_3) | instskip(SKIP_4) | instid1(VALU_DEP_2)
	v_cmp_lt_u32_e32 vcc_lo, 31, v6
	s_or_b32 s3, vcc_lo, s3
	s_waitcnt vmcnt(0) lgkmcnt(0)
	v_mul_f64 v[16:17], v[14:15], v[10:11]
	v_mul_f64 v[10:11], v[12:13], v[10:11]
	v_fma_f64 v[12:13], v[12:13], v[8:9], -v[16:17]
	s_delay_alu instid0(VALU_DEP_2) | instskip(NEXT) | instid1(VALU_DEP_2)
	v_fma_f64 v[8:9], v[14:15], v[8:9], v[10:11]
	v_add_f64 v[3:4], v[3:4], v[12:13]
	s_delay_alu instid0(VALU_DEP_2)
	v_add_f64 v[1:2], v[1:2], v[8:9]
	s_and_not1_b32 exec_lo, exec_lo, s3
	s_cbranch_execnz .LBB97_145
; %bb.146:
	s_or_b32 exec_lo, exec_lo, s3
	v_mov_b32_e32 v5, 0
	ds_load_b128 v[5:8], v5 offset:528
	s_waitcnt lgkmcnt(0)
	v_mul_f64 v[9:10], v[1:2], v[7:8]
	v_mul_f64 v[7:8], v[3:4], v[7:8]
	s_delay_alu instid0(VALU_DEP_2) | instskip(NEXT) | instid1(VALU_DEP_2)
	v_fma_f64 v[3:4], v[3:4], v[5:6], -v[9:10]
	v_fma_f64 v[5:6], v[1:2], v[5:6], v[7:8]
	scratch_store_b128 off, v[3:6], off offset:528
.LBB97_147:
	s_or_b32 exec_lo, exec_lo, s2
	s_mov_b32 s3, -1
	s_waitcnt_vscnt null, 0x0
	s_barrier
	buffer_gl0_inv
.LBB97_148:
	s_and_b32 vcc_lo, exec_lo, s3
	s_cbranch_vccz .LBB97_150
; %bb.149:
	s_lshl_b64 s[2:3], s[10:11], 2
	v_mov_b32_e32 v1, 0
	s_add_u32 s2, s6, s2
	s_addc_u32 s3, s7, s3
	global_load_b32 v1, v1, s[2:3]
	s_waitcnt vmcnt(0)
	v_cmp_ne_u32_e32 vcc_lo, 0, v1
	s_cbranch_vccz .LBB97_151
.LBB97_150:
	s_endpgm
.LBB97_151:
	v_lshl_add_u32 v144, v110, 4, 0x220
	s_mov_b32 s2, exec_lo
	v_cmpx_eq_u32_e32 33, v110
	s_cbranch_execz .LBB97_153
; %bb.152:
	scratch_load_b128 v[1:4], v112, off
	v_mov_b32_e32 v5, 0
	s_delay_alu instid0(VALU_DEP_1)
	v_mov_b32_e32 v6, v5
	v_mov_b32_e32 v7, v5
	;; [unrolled: 1-line block ×3, first 2 shown]
	scratch_store_b128 off, v[5:8], off offset:512
	s_waitcnt vmcnt(0)
	ds_store_b128 v144, v[1:4]
.LBB97_153:
	s_or_b32 exec_lo, exec_lo, s2
	s_waitcnt lgkmcnt(0)
	s_waitcnt_vscnt null, 0x0
	s_barrier
	buffer_gl0_inv
	s_clause 0x1
	scratch_load_b128 v[2:5], off, off offset:528
	scratch_load_b128 v[6:9], off, off offset:512
	v_mov_b32_e32 v1, 0
	s_mov_b32 s2, exec_lo
	ds_load_b128 v[10:13], v1 offset:1072
	s_waitcnt vmcnt(1) lgkmcnt(0)
	v_mul_f64 v[14:15], v[12:13], v[4:5]
	v_mul_f64 v[4:5], v[10:11], v[4:5]
	s_delay_alu instid0(VALU_DEP_2) | instskip(NEXT) | instid1(VALU_DEP_2)
	v_fma_f64 v[10:11], v[10:11], v[2:3], -v[14:15]
	v_fma_f64 v[2:3], v[12:13], v[2:3], v[4:5]
	s_delay_alu instid0(VALU_DEP_2) | instskip(NEXT) | instid1(VALU_DEP_2)
	v_add_f64 v[4:5], v[10:11], 0
	v_add_f64 v[10:11], v[2:3], 0
	s_waitcnt vmcnt(0)
	s_delay_alu instid0(VALU_DEP_2) | instskip(NEXT) | instid1(VALU_DEP_2)
	v_add_f64 v[2:3], v[6:7], -v[4:5]
	v_add_f64 v[4:5], v[8:9], -v[10:11]
	scratch_store_b128 off, v[2:5], off offset:512
	v_cmpx_lt_u32_e32 31, v110
	s_cbranch_execz .LBB97_155
; %bb.154:
	scratch_load_b128 v[5:8], v113, off
	v_mov_b32_e32 v2, v1
	v_mov_b32_e32 v3, v1
	;; [unrolled: 1-line block ×3, first 2 shown]
	scratch_store_b128 off, v[1:4], off offset:496
	s_waitcnt vmcnt(0)
	ds_store_b128 v144, v[5:8]
.LBB97_155:
	s_or_b32 exec_lo, exec_lo, s2
	s_waitcnt lgkmcnt(0)
	s_waitcnt_vscnt null, 0x0
	s_barrier
	buffer_gl0_inv
	s_clause 0x2
	scratch_load_b128 v[2:5], off, off offset:512
	scratch_load_b128 v[6:9], off, off offset:528
	;; [unrolled: 1-line block ×3, first 2 shown]
	ds_load_b128 v[14:17], v1 offset:1056
	ds_load_b128 v[18:21], v1 offset:1072
	s_mov_b32 s2, exec_lo
	s_waitcnt vmcnt(2) lgkmcnt(1)
	v_mul_f64 v[22:23], v[16:17], v[4:5]
	v_mul_f64 v[4:5], v[14:15], v[4:5]
	s_waitcnt vmcnt(1) lgkmcnt(0)
	v_mul_f64 v[24:25], v[18:19], v[8:9]
	v_mul_f64 v[8:9], v[20:21], v[8:9]
	s_delay_alu instid0(VALU_DEP_4) | instskip(NEXT) | instid1(VALU_DEP_4)
	v_fma_f64 v[14:15], v[14:15], v[2:3], -v[22:23]
	v_fma_f64 v[1:2], v[16:17], v[2:3], v[4:5]
	s_delay_alu instid0(VALU_DEP_4) | instskip(NEXT) | instid1(VALU_DEP_4)
	v_fma_f64 v[3:4], v[20:21], v[6:7], v[24:25]
	v_fma_f64 v[5:6], v[18:19], v[6:7], -v[8:9]
	s_delay_alu instid0(VALU_DEP_4) | instskip(NEXT) | instid1(VALU_DEP_4)
	v_add_f64 v[7:8], v[14:15], 0
	v_add_f64 v[1:2], v[1:2], 0
	s_delay_alu instid0(VALU_DEP_2) | instskip(NEXT) | instid1(VALU_DEP_2)
	v_add_f64 v[5:6], v[7:8], v[5:6]
	v_add_f64 v[3:4], v[1:2], v[3:4]
	s_waitcnt vmcnt(0)
	s_delay_alu instid0(VALU_DEP_2) | instskip(NEXT) | instid1(VALU_DEP_2)
	v_add_f64 v[1:2], v[10:11], -v[5:6]
	v_add_f64 v[3:4], v[12:13], -v[3:4]
	scratch_store_b128 off, v[1:4], off offset:496
	v_cmpx_lt_u32_e32 30, v110
	s_cbranch_execz .LBB97_157
; %bb.156:
	scratch_load_b128 v[1:4], v114, off
	v_mov_b32_e32 v5, 0
	s_delay_alu instid0(VALU_DEP_1)
	v_mov_b32_e32 v6, v5
	v_mov_b32_e32 v7, v5
	;; [unrolled: 1-line block ×3, first 2 shown]
	scratch_store_b128 off, v[5:8], off offset:480
	s_waitcnt vmcnt(0)
	ds_store_b128 v144, v[1:4]
.LBB97_157:
	s_or_b32 exec_lo, exec_lo, s2
	s_waitcnt lgkmcnt(0)
	s_waitcnt_vscnt null, 0x0
	s_barrier
	buffer_gl0_inv
	s_clause 0x3
	scratch_load_b128 v[2:5], off, off offset:496
	scratch_load_b128 v[6:9], off, off offset:512
	;; [unrolled: 1-line block ×4, first 2 shown]
	v_mov_b32_e32 v1, 0
	ds_load_b128 v[18:21], v1 offset:1040
	ds_load_b128 v[22:25], v1 offset:1056
	s_mov_b32 s2, exec_lo
	s_waitcnt vmcnt(3) lgkmcnt(1)
	v_mul_f64 v[26:27], v[20:21], v[4:5]
	v_mul_f64 v[4:5], v[18:19], v[4:5]
	s_waitcnt vmcnt(2) lgkmcnt(0)
	v_mul_f64 v[28:29], v[22:23], v[8:9]
	v_mul_f64 v[8:9], v[24:25], v[8:9]
	s_delay_alu instid0(VALU_DEP_4) | instskip(NEXT) | instid1(VALU_DEP_4)
	v_fma_f64 v[18:19], v[18:19], v[2:3], -v[26:27]
	v_fma_f64 v[20:21], v[20:21], v[2:3], v[4:5]
	ds_load_b128 v[2:5], v1 offset:1072
	v_fma_f64 v[24:25], v[24:25], v[6:7], v[28:29]
	v_fma_f64 v[6:7], v[22:23], v[6:7], -v[8:9]
	s_waitcnt vmcnt(1) lgkmcnt(0)
	v_mul_f64 v[26:27], v[2:3], v[12:13]
	v_mul_f64 v[12:13], v[4:5], v[12:13]
	v_add_f64 v[8:9], v[18:19], 0
	v_add_f64 v[18:19], v[20:21], 0
	s_delay_alu instid0(VALU_DEP_4) | instskip(NEXT) | instid1(VALU_DEP_4)
	v_fma_f64 v[4:5], v[4:5], v[10:11], v[26:27]
	v_fma_f64 v[2:3], v[2:3], v[10:11], -v[12:13]
	s_delay_alu instid0(VALU_DEP_4) | instskip(NEXT) | instid1(VALU_DEP_4)
	v_add_f64 v[6:7], v[8:9], v[6:7]
	v_add_f64 v[8:9], v[18:19], v[24:25]
	s_delay_alu instid0(VALU_DEP_2) | instskip(NEXT) | instid1(VALU_DEP_2)
	v_add_f64 v[2:3], v[6:7], v[2:3]
	v_add_f64 v[4:5], v[8:9], v[4:5]
	s_waitcnt vmcnt(0)
	s_delay_alu instid0(VALU_DEP_2) | instskip(NEXT) | instid1(VALU_DEP_2)
	v_add_f64 v[2:3], v[14:15], -v[2:3]
	v_add_f64 v[4:5], v[16:17], -v[4:5]
	scratch_store_b128 off, v[2:5], off offset:480
	v_cmpx_lt_u32_e32 29, v110
	s_cbranch_execz .LBB97_159
; %bb.158:
	scratch_load_b128 v[5:8], v115, off
	v_mov_b32_e32 v2, v1
	v_mov_b32_e32 v3, v1
	;; [unrolled: 1-line block ×3, first 2 shown]
	scratch_store_b128 off, v[1:4], off offset:464
	s_waitcnt vmcnt(0)
	ds_store_b128 v144, v[5:8]
.LBB97_159:
	s_or_b32 exec_lo, exec_lo, s2
	s_waitcnt lgkmcnt(0)
	s_waitcnt_vscnt null, 0x0
	s_barrier
	buffer_gl0_inv
	s_clause 0x4
	scratch_load_b128 v[2:5], off, off offset:480
	scratch_load_b128 v[6:9], off, off offset:496
	;; [unrolled: 1-line block ×5, first 2 shown]
	ds_load_b128 v[22:25], v1 offset:1024
	ds_load_b128 v[26:29], v1 offset:1040
	s_mov_b32 s2, exec_lo
	s_waitcnt vmcnt(4) lgkmcnt(1)
	v_mul_f64 v[30:31], v[24:25], v[4:5]
	v_mul_f64 v[4:5], v[22:23], v[4:5]
	s_waitcnt vmcnt(3) lgkmcnt(0)
	v_mul_f64 v[32:33], v[26:27], v[8:9]
	v_mul_f64 v[8:9], v[28:29], v[8:9]
	s_delay_alu instid0(VALU_DEP_4) | instskip(NEXT) | instid1(VALU_DEP_4)
	v_fma_f64 v[30:31], v[22:23], v[2:3], -v[30:31]
	v_fma_f64 v[34:35], v[24:25], v[2:3], v[4:5]
	ds_load_b128 v[2:5], v1 offset:1056
	ds_load_b128 v[22:25], v1 offset:1072
	v_fma_f64 v[28:29], v[28:29], v[6:7], v[32:33]
	v_fma_f64 v[6:7], v[26:27], v[6:7], -v[8:9]
	s_waitcnt vmcnt(2) lgkmcnt(1)
	v_mul_f64 v[36:37], v[2:3], v[12:13]
	v_mul_f64 v[12:13], v[4:5], v[12:13]
	v_add_f64 v[8:9], v[30:31], 0
	v_add_f64 v[26:27], v[34:35], 0
	s_waitcnt vmcnt(1) lgkmcnt(0)
	v_mul_f64 v[30:31], v[22:23], v[16:17]
	v_mul_f64 v[16:17], v[24:25], v[16:17]
	v_fma_f64 v[4:5], v[4:5], v[10:11], v[36:37]
	v_fma_f64 v[1:2], v[2:3], v[10:11], -v[12:13]
	v_add_f64 v[6:7], v[8:9], v[6:7]
	v_add_f64 v[8:9], v[26:27], v[28:29]
	v_fma_f64 v[10:11], v[24:25], v[14:15], v[30:31]
	v_fma_f64 v[12:13], v[22:23], v[14:15], -v[16:17]
	s_delay_alu instid0(VALU_DEP_4) | instskip(NEXT) | instid1(VALU_DEP_4)
	v_add_f64 v[1:2], v[6:7], v[1:2]
	v_add_f64 v[3:4], v[8:9], v[4:5]
	s_delay_alu instid0(VALU_DEP_2) | instskip(NEXT) | instid1(VALU_DEP_2)
	v_add_f64 v[1:2], v[1:2], v[12:13]
	v_add_f64 v[3:4], v[3:4], v[10:11]
	s_waitcnt vmcnt(0)
	s_delay_alu instid0(VALU_DEP_2) | instskip(NEXT) | instid1(VALU_DEP_2)
	v_add_f64 v[1:2], v[18:19], -v[1:2]
	v_add_f64 v[3:4], v[20:21], -v[3:4]
	scratch_store_b128 off, v[1:4], off offset:464
	v_cmpx_lt_u32_e32 28, v110
	s_cbranch_execz .LBB97_161
; %bb.160:
	scratch_load_b128 v[1:4], v116, off
	v_mov_b32_e32 v5, 0
	s_delay_alu instid0(VALU_DEP_1)
	v_mov_b32_e32 v6, v5
	v_mov_b32_e32 v7, v5
	;; [unrolled: 1-line block ×3, first 2 shown]
	scratch_store_b128 off, v[5:8], off offset:448
	s_waitcnt vmcnt(0)
	ds_store_b128 v144, v[1:4]
.LBB97_161:
	s_or_b32 exec_lo, exec_lo, s2
	s_waitcnt lgkmcnt(0)
	s_waitcnt_vscnt null, 0x0
	s_barrier
	buffer_gl0_inv
	s_clause 0x5
	scratch_load_b128 v[2:5], off, off offset:464
	scratch_load_b128 v[6:9], off, off offset:480
	;; [unrolled: 1-line block ×6, first 2 shown]
	v_mov_b32_e32 v1, 0
	ds_load_b128 v[26:29], v1 offset:1008
	ds_load_b128 v[30:33], v1 offset:1024
	s_mov_b32 s2, exec_lo
	s_waitcnt vmcnt(5) lgkmcnt(1)
	v_mul_f64 v[34:35], v[28:29], v[4:5]
	v_mul_f64 v[4:5], v[26:27], v[4:5]
	s_waitcnt vmcnt(4) lgkmcnt(0)
	v_mul_f64 v[36:37], v[30:31], v[8:9]
	v_mul_f64 v[8:9], v[32:33], v[8:9]
	s_delay_alu instid0(VALU_DEP_4) | instskip(NEXT) | instid1(VALU_DEP_4)
	v_fma_f64 v[34:35], v[26:27], v[2:3], -v[34:35]
	v_fma_f64 v[38:39], v[28:29], v[2:3], v[4:5]
	ds_load_b128 v[2:5], v1 offset:1040
	ds_load_b128 v[26:29], v1 offset:1056
	v_fma_f64 v[32:33], v[32:33], v[6:7], v[36:37]
	v_fma_f64 v[6:7], v[30:31], v[6:7], -v[8:9]
	s_waitcnt vmcnt(3) lgkmcnt(1)
	v_mul_f64 v[40:41], v[2:3], v[12:13]
	v_mul_f64 v[12:13], v[4:5], v[12:13]
	v_add_f64 v[8:9], v[34:35], 0
	v_add_f64 v[30:31], v[38:39], 0
	s_waitcnt vmcnt(2) lgkmcnt(0)
	v_mul_f64 v[34:35], v[26:27], v[16:17]
	v_mul_f64 v[16:17], v[28:29], v[16:17]
	v_fma_f64 v[36:37], v[4:5], v[10:11], v[40:41]
	v_fma_f64 v[10:11], v[2:3], v[10:11], -v[12:13]
	ds_load_b128 v[2:5], v1 offset:1072
	v_add_f64 v[6:7], v[8:9], v[6:7]
	v_add_f64 v[8:9], v[30:31], v[32:33]
	v_fma_f64 v[28:29], v[28:29], v[14:15], v[34:35]
	v_fma_f64 v[14:15], v[26:27], v[14:15], -v[16:17]
	s_waitcnt vmcnt(1) lgkmcnt(0)
	v_mul_f64 v[12:13], v[2:3], v[20:21]
	v_mul_f64 v[20:21], v[4:5], v[20:21]
	v_add_f64 v[6:7], v[6:7], v[10:11]
	v_add_f64 v[8:9], v[8:9], v[36:37]
	s_delay_alu instid0(VALU_DEP_4) | instskip(NEXT) | instid1(VALU_DEP_4)
	v_fma_f64 v[4:5], v[4:5], v[18:19], v[12:13]
	v_fma_f64 v[2:3], v[2:3], v[18:19], -v[20:21]
	s_delay_alu instid0(VALU_DEP_4) | instskip(NEXT) | instid1(VALU_DEP_4)
	v_add_f64 v[6:7], v[6:7], v[14:15]
	v_add_f64 v[8:9], v[8:9], v[28:29]
	s_delay_alu instid0(VALU_DEP_2) | instskip(NEXT) | instid1(VALU_DEP_2)
	v_add_f64 v[2:3], v[6:7], v[2:3]
	v_add_f64 v[4:5], v[8:9], v[4:5]
	s_waitcnt vmcnt(0)
	s_delay_alu instid0(VALU_DEP_2) | instskip(NEXT) | instid1(VALU_DEP_2)
	v_add_f64 v[2:3], v[22:23], -v[2:3]
	v_add_f64 v[4:5], v[24:25], -v[4:5]
	scratch_store_b128 off, v[2:5], off offset:448
	v_cmpx_lt_u32_e32 27, v110
	s_cbranch_execz .LBB97_163
; %bb.162:
	scratch_load_b128 v[5:8], v117, off
	v_mov_b32_e32 v2, v1
	v_mov_b32_e32 v3, v1
	;; [unrolled: 1-line block ×3, first 2 shown]
	scratch_store_b128 off, v[1:4], off offset:432
	s_waitcnt vmcnt(0)
	ds_store_b128 v144, v[5:8]
.LBB97_163:
	s_or_b32 exec_lo, exec_lo, s2
	s_waitcnt lgkmcnt(0)
	s_waitcnt_vscnt null, 0x0
	s_barrier
	buffer_gl0_inv
	s_clause 0x5
	scratch_load_b128 v[2:5], off, off offset:448
	scratch_load_b128 v[6:9], off, off offset:464
	;; [unrolled: 1-line block ×6, first 2 shown]
	ds_load_b128 v[26:29], v1 offset:992
	ds_load_b128 v[34:37], v1 offset:1008
	scratch_load_b128 v[30:33], off, off offset:432
	s_mov_b32 s2, exec_lo
	s_waitcnt vmcnt(6) lgkmcnt(1)
	v_mul_f64 v[38:39], v[28:29], v[4:5]
	v_mul_f64 v[4:5], v[26:27], v[4:5]
	s_waitcnt vmcnt(5) lgkmcnt(0)
	v_mul_f64 v[40:41], v[34:35], v[8:9]
	v_mul_f64 v[8:9], v[36:37], v[8:9]
	s_delay_alu instid0(VALU_DEP_4) | instskip(NEXT) | instid1(VALU_DEP_4)
	v_fma_f64 v[38:39], v[26:27], v[2:3], -v[38:39]
	v_fma_f64 v[145:146], v[28:29], v[2:3], v[4:5]
	ds_load_b128 v[2:5], v1 offset:1024
	ds_load_b128 v[26:29], v1 offset:1040
	v_fma_f64 v[36:37], v[36:37], v[6:7], v[40:41]
	v_fma_f64 v[6:7], v[34:35], v[6:7], -v[8:9]
	s_waitcnt vmcnt(4) lgkmcnt(1)
	v_mul_f64 v[147:148], v[2:3], v[12:13]
	v_mul_f64 v[12:13], v[4:5], v[12:13]
	v_add_f64 v[8:9], v[38:39], 0
	v_add_f64 v[34:35], v[145:146], 0
	s_waitcnt vmcnt(3) lgkmcnt(0)
	v_mul_f64 v[38:39], v[26:27], v[16:17]
	v_mul_f64 v[16:17], v[28:29], v[16:17]
	v_fma_f64 v[40:41], v[4:5], v[10:11], v[147:148]
	v_fma_f64 v[10:11], v[2:3], v[10:11], -v[12:13]
	v_add_f64 v[12:13], v[8:9], v[6:7]
	v_add_f64 v[34:35], v[34:35], v[36:37]
	ds_load_b128 v[2:5], v1 offset:1056
	ds_load_b128 v[6:9], v1 offset:1072
	v_fma_f64 v[28:29], v[28:29], v[14:15], v[38:39]
	v_fma_f64 v[14:15], v[26:27], v[14:15], -v[16:17]
	s_waitcnt vmcnt(2) lgkmcnt(1)
	v_mul_f64 v[36:37], v[2:3], v[20:21]
	v_mul_f64 v[20:21], v[4:5], v[20:21]
	s_waitcnt vmcnt(1) lgkmcnt(0)
	v_mul_f64 v[16:17], v[6:7], v[24:25]
	v_mul_f64 v[24:25], v[8:9], v[24:25]
	v_add_f64 v[10:11], v[12:13], v[10:11]
	v_add_f64 v[12:13], v[34:35], v[40:41]
	v_fma_f64 v[4:5], v[4:5], v[18:19], v[36:37]
	v_fma_f64 v[1:2], v[2:3], v[18:19], -v[20:21]
	v_fma_f64 v[8:9], v[8:9], v[22:23], v[16:17]
	v_fma_f64 v[6:7], v[6:7], v[22:23], -v[24:25]
	v_add_f64 v[10:11], v[10:11], v[14:15]
	v_add_f64 v[12:13], v[12:13], v[28:29]
	s_delay_alu instid0(VALU_DEP_2) | instskip(NEXT) | instid1(VALU_DEP_2)
	v_add_f64 v[1:2], v[10:11], v[1:2]
	v_add_f64 v[3:4], v[12:13], v[4:5]
	s_delay_alu instid0(VALU_DEP_2) | instskip(NEXT) | instid1(VALU_DEP_2)
	v_add_f64 v[1:2], v[1:2], v[6:7]
	v_add_f64 v[3:4], v[3:4], v[8:9]
	s_waitcnt vmcnt(0)
	s_delay_alu instid0(VALU_DEP_2) | instskip(NEXT) | instid1(VALU_DEP_2)
	v_add_f64 v[1:2], v[30:31], -v[1:2]
	v_add_f64 v[3:4], v[32:33], -v[3:4]
	scratch_store_b128 off, v[1:4], off offset:432
	v_cmpx_lt_u32_e32 26, v110
	s_cbranch_execz .LBB97_165
; %bb.164:
	scratch_load_b128 v[1:4], v118, off
	v_mov_b32_e32 v5, 0
	s_delay_alu instid0(VALU_DEP_1)
	v_mov_b32_e32 v6, v5
	v_mov_b32_e32 v7, v5
	;; [unrolled: 1-line block ×3, first 2 shown]
	scratch_store_b128 off, v[5:8], off offset:416
	s_waitcnt vmcnt(0)
	ds_store_b128 v144, v[1:4]
.LBB97_165:
	s_or_b32 exec_lo, exec_lo, s2
	s_waitcnt lgkmcnt(0)
	s_waitcnt_vscnt null, 0x0
	s_barrier
	buffer_gl0_inv
	s_clause 0x6
	scratch_load_b128 v[2:5], off, off offset:432
	scratch_load_b128 v[6:9], off, off offset:448
	;; [unrolled: 1-line block ×7, first 2 shown]
	v_mov_b32_e32 v1, 0
	scratch_load_b128 v[34:37], off, off offset:416
	s_mov_b32 s2, exec_lo
	ds_load_b128 v[30:33], v1 offset:976
	ds_load_b128 v[38:41], v1 offset:992
	s_waitcnt vmcnt(7) lgkmcnt(1)
	v_mul_f64 v[145:146], v[32:33], v[4:5]
	v_mul_f64 v[4:5], v[30:31], v[4:5]
	s_waitcnt vmcnt(6) lgkmcnt(0)
	v_mul_f64 v[147:148], v[38:39], v[8:9]
	v_mul_f64 v[8:9], v[40:41], v[8:9]
	s_delay_alu instid0(VALU_DEP_4) | instskip(NEXT) | instid1(VALU_DEP_4)
	v_fma_f64 v[145:146], v[30:31], v[2:3], -v[145:146]
	v_fma_f64 v[149:150], v[32:33], v[2:3], v[4:5]
	ds_load_b128 v[2:5], v1 offset:1008
	ds_load_b128 v[30:33], v1 offset:1024
	v_fma_f64 v[40:41], v[40:41], v[6:7], v[147:148]
	v_fma_f64 v[6:7], v[38:39], v[6:7], -v[8:9]
	s_waitcnt vmcnt(5) lgkmcnt(1)
	v_mul_f64 v[151:152], v[2:3], v[12:13]
	v_mul_f64 v[12:13], v[4:5], v[12:13]
	v_add_f64 v[8:9], v[145:146], 0
	v_add_f64 v[38:39], v[149:150], 0
	s_waitcnt vmcnt(4) lgkmcnt(0)
	v_mul_f64 v[145:146], v[30:31], v[16:17]
	v_mul_f64 v[16:17], v[32:33], v[16:17]
	v_fma_f64 v[147:148], v[4:5], v[10:11], v[151:152]
	v_fma_f64 v[10:11], v[2:3], v[10:11], -v[12:13]
	v_add_f64 v[12:13], v[8:9], v[6:7]
	v_add_f64 v[38:39], v[38:39], v[40:41]
	ds_load_b128 v[2:5], v1 offset:1040
	ds_load_b128 v[6:9], v1 offset:1056
	v_fma_f64 v[32:33], v[32:33], v[14:15], v[145:146]
	v_fma_f64 v[14:15], v[30:31], v[14:15], -v[16:17]
	s_waitcnt vmcnt(3) lgkmcnt(1)
	v_mul_f64 v[40:41], v[2:3], v[20:21]
	v_mul_f64 v[20:21], v[4:5], v[20:21]
	s_waitcnt vmcnt(2) lgkmcnt(0)
	v_mul_f64 v[16:17], v[6:7], v[24:25]
	v_mul_f64 v[24:25], v[8:9], v[24:25]
	v_add_f64 v[10:11], v[12:13], v[10:11]
	v_add_f64 v[12:13], v[38:39], v[147:148]
	v_fma_f64 v[30:31], v[4:5], v[18:19], v[40:41]
	v_fma_f64 v[18:19], v[2:3], v[18:19], -v[20:21]
	ds_load_b128 v[2:5], v1 offset:1072
	v_fma_f64 v[8:9], v[8:9], v[22:23], v[16:17]
	v_fma_f64 v[6:7], v[6:7], v[22:23], -v[24:25]
	v_add_f64 v[10:11], v[10:11], v[14:15]
	v_add_f64 v[12:13], v[12:13], v[32:33]
	s_waitcnt vmcnt(1) lgkmcnt(0)
	v_mul_f64 v[14:15], v[2:3], v[28:29]
	v_mul_f64 v[20:21], v[4:5], v[28:29]
	s_delay_alu instid0(VALU_DEP_4) | instskip(NEXT) | instid1(VALU_DEP_4)
	v_add_f64 v[10:11], v[10:11], v[18:19]
	v_add_f64 v[12:13], v[12:13], v[30:31]
	s_delay_alu instid0(VALU_DEP_4) | instskip(NEXT) | instid1(VALU_DEP_4)
	v_fma_f64 v[4:5], v[4:5], v[26:27], v[14:15]
	v_fma_f64 v[2:3], v[2:3], v[26:27], -v[20:21]
	s_delay_alu instid0(VALU_DEP_4) | instskip(NEXT) | instid1(VALU_DEP_4)
	v_add_f64 v[6:7], v[10:11], v[6:7]
	v_add_f64 v[8:9], v[12:13], v[8:9]
	s_delay_alu instid0(VALU_DEP_2) | instskip(NEXT) | instid1(VALU_DEP_2)
	v_add_f64 v[2:3], v[6:7], v[2:3]
	v_add_f64 v[4:5], v[8:9], v[4:5]
	s_waitcnt vmcnt(0)
	s_delay_alu instid0(VALU_DEP_2) | instskip(NEXT) | instid1(VALU_DEP_2)
	v_add_f64 v[2:3], v[34:35], -v[2:3]
	v_add_f64 v[4:5], v[36:37], -v[4:5]
	scratch_store_b128 off, v[2:5], off offset:416
	v_cmpx_lt_u32_e32 25, v110
	s_cbranch_execz .LBB97_167
; %bb.166:
	scratch_load_b128 v[5:8], v123, off
	v_mov_b32_e32 v2, v1
	v_mov_b32_e32 v3, v1
	;; [unrolled: 1-line block ×3, first 2 shown]
	scratch_store_b128 off, v[1:4], off offset:400
	s_waitcnt vmcnt(0)
	ds_store_b128 v144, v[5:8]
.LBB97_167:
	s_or_b32 exec_lo, exec_lo, s2
	s_waitcnt lgkmcnt(0)
	s_waitcnt_vscnt null, 0x0
	s_barrier
	buffer_gl0_inv
	s_clause 0x7
	scratch_load_b128 v[2:5], off, off offset:416
	scratch_load_b128 v[6:9], off, off offset:432
	;; [unrolled: 1-line block ×8, first 2 shown]
	ds_load_b128 v[34:37], v1 offset:960
	ds_load_b128 v[38:41], v1 offset:976
	scratch_load_b128 v[145:148], off, off offset:400
	s_mov_b32 s2, exec_lo
	s_waitcnt vmcnt(8) lgkmcnt(1)
	v_mul_f64 v[149:150], v[36:37], v[4:5]
	v_mul_f64 v[4:5], v[34:35], v[4:5]
	s_waitcnt vmcnt(7) lgkmcnt(0)
	v_mul_f64 v[151:152], v[38:39], v[8:9]
	v_mul_f64 v[8:9], v[40:41], v[8:9]
	s_delay_alu instid0(VALU_DEP_4) | instskip(NEXT) | instid1(VALU_DEP_4)
	v_fma_f64 v[149:150], v[34:35], v[2:3], -v[149:150]
	v_fma_f64 v[153:154], v[36:37], v[2:3], v[4:5]
	ds_load_b128 v[2:5], v1 offset:992
	ds_load_b128 v[34:37], v1 offset:1008
	v_fma_f64 v[40:41], v[40:41], v[6:7], v[151:152]
	v_fma_f64 v[6:7], v[38:39], v[6:7], -v[8:9]
	s_waitcnt vmcnt(6) lgkmcnt(1)
	v_mul_f64 v[155:156], v[2:3], v[12:13]
	v_mul_f64 v[12:13], v[4:5], v[12:13]
	v_add_f64 v[8:9], v[149:150], 0
	v_add_f64 v[38:39], v[153:154], 0
	s_waitcnt vmcnt(5) lgkmcnt(0)
	v_mul_f64 v[149:150], v[34:35], v[16:17]
	v_mul_f64 v[16:17], v[36:37], v[16:17]
	v_fma_f64 v[151:152], v[4:5], v[10:11], v[155:156]
	v_fma_f64 v[10:11], v[2:3], v[10:11], -v[12:13]
	v_add_f64 v[12:13], v[8:9], v[6:7]
	v_add_f64 v[38:39], v[38:39], v[40:41]
	ds_load_b128 v[2:5], v1 offset:1024
	ds_load_b128 v[6:9], v1 offset:1040
	v_fma_f64 v[36:37], v[36:37], v[14:15], v[149:150]
	v_fma_f64 v[14:15], v[34:35], v[14:15], -v[16:17]
	s_waitcnt vmcnt(4) lgkmcnt(1)
	v_mul_f64 v[40:41], v[2:3], v[20:21]
	v_mul_f64 v[20:21], v[4:5], v[20:21]
	s_waitcnt vmcnt(3) lgkmcnt(0)
	v_mul_f64 v[16:17], v[6:7], v[24:25]
	v_mul_f64 v[24:25], v[8:9], v[24:25]
	v_add_f64 v[10:11], v[12:13], v[10:11]
	v_add_f64 v[12:13], v[38:39], v[151:152]
	v_fma_f64 v[34:35], v[4:5], v[18:19], v[40:41]
	v_fma_f64 v[18:19], v[2:3], v[18:19], -v[20:21]
	v_fma_f64 v[8:9], v[8:9], v[22:23], v[16:17]
	v_fma_f64 v[6:7], v[6:7], v[22:23], -v[24:25]
	v_add_f64 v[14:15], v[10:11], v[14:15]
	v_add_f64 v[20:21], v[12:13], v[36:37]
	ds_load_b128 v[2:5], v1 offset:1056
	ds_load_b128 v[10:13], v1 offset:1072
	s_waitcnt vmcnt(2) lgkmcnt(1)
	v_mul_f64 v[36:37], v[2:3], v[28:29]
	v_mul_f64 v[28:29], v[4:5], v[28:29]
	v_add_f64 v[14:15], v[14:15], v[18:19]
	v_add_f64 v[16:17], v[20:21], v[34:35]
	s_waitcnt vmcnt(1) lgkmcnt(0)
	v_mul_f64 v[18:19], v[10:11], v[32:33]
	v_mul_f64 v[20:21], v[12:13], v[32:33]
	v_fma_f64 v[4:5], v[4:5], v[26:27], v[36:37]
	v_fma_f64 v[1:2], v[2:3], v[26:27], -v[28:29]
	v_add_f64 v[6:7], v[14:15], v[6:7]
	v_add_f64 v[8:9], v[16:17], v[8:9]
	v_fma_f64 v[12:13], v[12:13], v[30:31], v[18:19]
	v_fma_f64 v[10:11], v[10:11], v[30:31], -v[20:21]
	s_delay_alu instid0(VALU_DEP_4) | instskip(NEXT) | instid1(VALU_DEP_4)
	v_add_f64 v[1:2], v[6:7], v[1:2]
	v_add_f64 v[3:4], v[8:9], v[4:5]
	s_delay_alu instid0(VALU_DEP_2) | instskip(NEXT) | instid1(VALU_DEP_2)
	v_add_f64 v[1:2], v[1:2], v[10:11]
	v_add_f64 v[3:4], v[3:4], v[12:13]
	s_waitcnt vmcnt(0)
	s_delay_alu instid0(VALU_DEP_2) | instskip(NEXT) | instid1(VALU_DEP_2)
	v_add_f64 v[1:2], v[145:146], -v[1:2]
	v_add_f64 v[3:4], v[147:148], -v[3:4]
	scratch_store_b128 off, v[1:4], off offset:400
	v_cmpx_lt_u32_e32 24, v110
	s_cbranch_execz .LBB97_169
; %bb.168:
	scratch_load_b128 v[1:4], v124, off
	v_mov_b32_e32 v5, 0
	s_delay_alu instid0(VALU_DEP_1)
	v_mov_b32_e32 v6, v5
	v_mov_b32_e32 v7, v5
	;; [unrolled: 1-line block ×3, first 2 shown]
	scratch_store_b128 off, v[5:8], off offset:384
	s_waitcnt vmcnt(0)
	ds_store_b128 v144, v[1:4]
.LBB97_169:
	s_or_b32 exec_lo, exec_lo, s2
	s_waitcnt lgkmcnt(0)
	s_waitcnt_vscnt null, 0x0
	s_barrier
	buffer_gl0_inv
	s_clause 0x7
	scratch_load_b128 v[2:5], off, off offset:400
	scratch_load_b128 v[6:9], off, off offset:416
	;; [unrolled: 1-line block ×8, first 2 shown]
	v_mov_b32_e32 v1, 0
	s_mov_b32 s2, exec_lo
	ds_load_b128 v[34:37], v1 offset:944
	s_clause 0x1
	scratch_load_b128 v[38:41], off, off offset:528
	scratch_load_b128 v[145:148], off, off offset:384
	ds_load_b128 v[149:152], v1 offset:960
	s_waitcnt vmcnt(9) lgkmcnt(1)
	v_mul_f64 v[153:154], v[36:37], v[4:5]
	v_mul_f64 v[4:5], v[34:35], v[4:5]
	s_waitcnt vmcnt(8) lgkmcnt(0)
	v_mul_f64 v[155:156], v[149:150], v[8:9]
	v_mul_f64 v[8:9], v[151:152], v[8:9]
	s_delay_alu instid0(VALU_DEP_4) | instskip(NEXT) | instid1(VALU_DEP_4)
	v_fma_f64 v[153:154], v[34:35], v[2:3], -v[153:154]
	v_fma_f64 v[157:158], v[36:37], v[2:3], v[4:5]
	ds_load_b128 v[2:5], v1 offset:976
	ds_load_b128 v[34:37], v1 offset:992
	v_fma_f64 v[151:152], v[151:152], v[6:7], v[155:156]
	v_fma_f64 v[6:7], v[149:150], v[6:7], -v[8:9]
	s_waitcnt vmcnt(7) lgkmcnt(1)
	v_mul_f64 v[159:160], v[2:3], v[12:13]
	v_mul_f64 v[12:13], v[4:5], v[12:13]
	v_add_f64 v[8:9], v[153:154], 0
	v_add_f64 v[149:150], v[157:158], 0
	s_waitcnt vmcnt(6) lgkmcnt(0)
	v_mul_f64 v[153:154], v[34:35], v[16:17]
	v_mul_f64 v[16:17], v[36:37], v[16:17]
	v_fma_f64 v[155:156], v[4:5], v[10:11], v[159:160]
	v_fma_f64 v[10:11], v[2:3], v[10:11], -v[12:13]
	v_add_f64 v[12:13], v[8:9], v[6:7]
	v_add_f64 v[149:150], v[149:150], v[151:152]
	ds_load_b128 v[2:5], v1 offset:1008
	ds_load_b128 v[6:9], v1 offset:1024
	v_fma_f64 v[36:37], v[36:37], v[14:15], v[153:154]
	v_fma_f64 v[14:15], v[34:35], v[14:15], -v[16:17]
	s_waitcnt vmcnt(5) lgkmcnt(1)
	v_mul_f64 v[151:152], v[2:3], v[20:21]
	v_mul_f64 v[20:21], v[4:5], v[20:21]
	s_waitcnt vmcnt(4) lgkmcnt(0)
	v_mul_f64 v[16:17], v[6:7], v[24:25]
	v_mul_f64 v[24:25], v[8:9], v[24:25]
	v_add_f64 v[10:11], v[12:13], v[10:11]
	v_add_f64 v[12:13], v[149:150], v[155:156]
	v_fma_f64 v[34:35], v[4:5], v[18:19], v[151:152]
	v_fma_f64 v[18:19], v[2:3], v[18:19], -v[20:21]
	v_fma_f64 v[8:9], v[8:9], v[22:23], v[16:17]
	v_fma_f64 v[6:7], v[6:7], v[22:23], -v[24:25]
	v_add_f64 v[14:15], v[10:11], v[14:15]
	v_add_f64 v[20:21], v[12:13], v[36:37]
	ds_load_b128 v[2:5], v1 offset:1040
	ds_load_b128 v[10:13], v1 offset:1056
	s_waitcnt vmcnt(3) lgkmcnt(1)
	v_mul_f64 v[36:37], v[2:3], v[28:29]
	v_mul_f64 v[28:29], v[4:5], v[28:29]
	v_add_f64 v[14:15], v[14:15], v[18:19]
	v_add_f64 v[16:17], v[20:21], v[34:35]
	s_waitcnt vmcnt(2) lgkmcnt(0)
	v_mul_f64 v[18:19], v[10:11], v[32:33]
	v_mul_f64 v[20:21], v[12:13], v[32:33]
	v_fma_f64 v[22:23], v[4:5], v[26:27], v[36:37]
	v_fma_f64 v[24:25], v[2:3], v[26:27], -v[28:29]
	ds_load_b128 v[2:5], v1 offset:1072
	v_add_f64 v[6:7], v[14:15], v[6:7]
	v_add_f64 v[8:9], v[16:17], v[8:9]
	v_fma_f64 v[12:13], v[12:13], v[30:31], v[18:19]
	v_fma_f64 v[10:11], v[10:11], v[30:31], -v[20:21]
	s_waitcnt vmcnt(1) lgkmcnt(0)
	v_mul_f64 v[14:15], v[2:3], v[40:41]
	v_mul_f64 v[16:17], v[4:5], v[40:41]
	v_add_f64 v[6:7], v[6:7], v[24:25]
	v_add_f64 v[8:9], v[8:9], v[22:23]
	s_delay_alu instid0(VALU_DEP_4) | instskip(NEXT) | instid1(VALU_DEP_4)
	v_fma_f64 v[4:5], v[4:5], v[38:39], v[14:15]
	v_fma_f64 v[2:3], v[2:3], v[38:39], -v[16:17]
	s_delay_alu instid0(VALU_DEP_4) | instskip(NEXT) | instid1(VALU_DEP_4)
	v_add_f64 v[6:7], v[6:7], v[10:11]
	v_add_f64 v[8:9], v[8:9], v[12:13]
	s_delay_alu instid0(VALU_DEP_2) | instskip(NEXT) | instid1(VALU_DEP_2)
	v_add_f64 v[2:3], v[6:7], v[2:3]
	v_add_f64 v[4:5], v[8:9], v[4:5]
	s_waitcnt vmcnt(0)
	s_delay_alu instid0(VALU_DEP_2) | instskip(NEXT) | instid1(VALU_DEP_2)
	v_add_f64 v[2:3], v[145:146], -v[2:3]
	v_add_f64 v[4:5], v[147:148], -v[4:5]
	scratch_store_b128 off, v[2:5], off offset:384
	v_cmpx_lt_u32_e32 23, v110
	s_cbranch_execz .LBB97_171
; %bb.170:
	scratch_load_b128 v[5:8], v126, off
	v_mov_b32_e32 v2, v1
	v_mov_b32_e32 v3, v1
	;; [unrolled: 1-line block ×3, first 2 shown]
	scratch_store_b128 off, v[1:4], off offset:368
	s_waitcnt vmcnt(0)
	ds_store_b128 v144, v[5:8]
.LBB97_171:
	s_or_b32 exec_lo, exec_lo, s2
	s_waitcnt lgkmcnt(0)
	s_waitcnt_vscnt null, 0x0
	s_barrier
	buffer_gl0_inv
	s_clause 0x8
	scratch_load_b128 v[2:5], off, off offset:384
	scratch_load_b128 v[6:9], off, off offset:400
	;; [unrolled: 1-line block ×9, first 2 shown]
	ds_load_b128 v[38:41], v1 offset:928
	ds_load_b128 v[145:148], v1 offset:944
	s_clause 0x1
	scratch_load_b128 v[149:152], off, off offset:368
	scratch_load_b128 v[153:156], off, off offset:528
	s_mov_b32 s2, exec_lo
	s_waitcnt vmcnt(10) lgkmcnt(1)
	v_mul_f64 v[157:158], v[40:41], v[4:5]
	v_mul_f64 v[4:5], v[38:39], v[4:5]
	s_waitcnt vmcnt(9) lgkmcnt(0)
	v_mul_f64 v[159:160], v[145:146], v[8:9]
	v_mul_f64 v[8:9], v[147:148], v[8:9]
	s_delay_alu instid0(VALU_DEP_4) | instskip(NEXT) | instid1(VALU_DEP_4)
	v_fma_f64 v[157:158], v[38:39], v[2:3], -v[157:158]
	v_fma_f64 v[161:162], v[40:41], v[2:3], v[4:5]
	ds_load_b128 v[2:5], v1 offset:960
	ds_load_b128 v[38:41], v1 offset:976
	v_fma_f64 v[147:148], v[147:148], v[6:7], v[159:160]
	v_fma_f64 v[6:7], v[145:146], v[6:7], -v[8:9]
	s_waitcnt vmcnt(8) lgkmcnt(1)
	v_mul_f64 v[163:164], v[2:3], v[12:13]
	v_mul_f64 v[12:13], v[4:5], v[12:13]
	v_add_f64 v[8:9], v[157:158], 0
	v_add_f64 v[145:146], v[161:162], 0
	s_waitcnt vmcnt(7) lgkmcnt(0)
	v_mul_f64 v[157:158], v[38:39], v[16:17]
	v_mul_f64 v[16:17], v[40:41], v[16:17]
	v_fma_f64 v[159:160], v[4:5], v[10:11], v[163:164]
	v_fma_f64 v[10:11], v[2:3], v[10:11], -v[12:13]
	v_add_f64 v[12:13], v[8:9], v[6:7]
	v_add_f64 v[145:146], v[145:146], v[147:148]
	ds_load_b128 v[2:5], v1 offset:992
	ds_load_b128 v[6:9], v1 offset:1008
	v_fma_f64 v[40:41], v[40:41], v[14:15], v[157:158]
	v_fma_f64 v[14:15], v[38:39], v[14:15], -v[16:17]
	s_waitcnt vmcnt(6) lgkmcnt(1)
	v_mul_f64 v[147:148], v[2:3], v[20:21]
	v_mul_f64 v[20:21], v[4:5], v[20:21]
	s_waitcnt vmcnt(5) lgkmcnt(0)
	v_mul_f64 v[16:17], v[6:7], v[24:25]
	v_mul_f64 v[24:25], v[8:9], v[24:25]
	v_add_f64 v[10:11], v[12:13], v[10:11]
	v_add_f64 v[12:13], v[145:146], v[159:160]
	v_fma_f64 v[38:39], v[4:5], v[18:19], v[147:148]
	v_fma_f64 v[18:19], v[2:3], v[18:19], -v[20:21]
	v_fma_f64 v[8:9], v[8:9], v[22:23], v[16:17]
	v_fma_f64 v[6:7], v[6:7], v[22:23], -v[24:25]
	v_add_f64 v[14:15], v[10:11], v[14:15]
	v_add_f64 v[20:21], v[12:13], v[40:41]
	ds_load_b128 v[2:5], v1 offset:1024
	ds_load_b128 v[10:13], v1 offset:1040
	s_waitcnt vmcnt(4) lgkmcnt(1)
	v_mul_f64 v[40:41], v[2:3], v[28:29]
	v_mul_f64 v[28:29], v[4:5], v[28:29]
	v_add_f64 v[14:15], v[14:15], v[18:19]
	v_add_f64 v[16:17], v[20:21], v[38:39]
	s_waitcnt vmcnt(3) lgkmcnt(0)
	v_mul_f64 v[18:19], v[10:11], v[32:33]
	v_mul_f64 v[20:21], v[12:13], v[32:33]
	v_fma_f64 v[22:23], v[4:5], v[26:27], v[40:41]
	v_fma_f64 v[24:25], v[2:3], v[26:27], -v[28:29]
	v_add_f64 v[14:15], v[14:15], v[6:7]
	v_add_f64 v[16:17], v[16:17], v[8:9]
	ds_load_b128 v[2:5], v1 offset:1056
	ds_load_b128 v[6:9], v1 offset:1072
	v_fma_f64 v[12:13], v[12:13], v[30:31], v[18:19]
	v_fma_f64 v[10:11], v[10:11], v[30:31], -v[20:21]
	s_waitcnt vmcnt(2) lgkmcnt(1)
	v_mul_f64 v[26:27], v[2:3], v[36:37]
	v_mul_f64 v[28:29], v[4:5], v[36:37]
	s_waitcnt vmcnt(0) lgkmcnt(0)
	v_mul_f64 v[18:19], v[6:7], v[155:156]
	v_mul_f64 v[20:21], v[8:9], v[155:156]
	v_add_f64 v[14:15], v[14:15], v[24:25]
	v_add_f64 v[16:17], v[16:17], v[22:23]
	v_fma_f64 v[4:5], v[4:5], v[34:35], v[26:27]
	v_fma_f64 v[1:2], v[2:3], v[34:35], -v[28:29]
	v_fma_f64 v[8:9], v[8:9], v[153:154], v[18:19]
	v_fma_f64 v[6:7], v[6:7], v[153:154], -v[20:21]
	v_add_f64 v[10:11], v[14:15], v[10:11]
	v_add_f64 v[12:13], v[16:17], v[12:13]
	s_delay_alu instid0(VALU_DEP_2) | instskip(NEXT) | instid1(VALU_DEP_2)
	v_add_f64 v[1:2], v[10:11], v[1:2]
	v_add_f64 v[3:4], v[12:13], v[4:5]
	s_delay_alu instid0(VALU_DEP_2) | instskip(NEXT) | instid1(VALU_DEP_2)
	;; [unrolled: 3-line block ×3, first 2 shown]
	v_add_f64 v[1:2], v[149:150], -v[1:2]
	v_add_f64 v[3:4], v[151:152], -v[3:4]
	scratch_store_b128 off, v[1:4], off offset:368
	v_cmpx_lt_u32_e32 22, v110
	s_cbranch_execz .LBB97_173
; %bb.172:
	scratch_load_b128 v[1:4], v125, off
	v_mov_b32_e32 v5, 0
	s_delay_alu instid0(VALU_DEP_1)
	v_mov_b32_e32 v6, v5
	v_mov_b32_e32 v7, v5
	v_mov_b32_e32 v8, v5
	scratch_store_b128 off, v[5:8], off offset:352
	s_waitcnt vmcnt(0)
	ds_store_b128 v144, v[1:4]
.LBB97_173:
	s_or_b32 exec_lo, exec_lo, s2
	s_waitcnt lgkmcnt(0)
	s_waitcnt_vscnt null, 0x0
	s_barrier
	buffer_gl0_inv
	s_clause 0x7
	scratch_load_b128 v[2:5], off, off offset:368
	scratch_load_b128 v[6:9], off, off offset:384
	;; [unrolled: 1-line block ×8, first 2 shown]
	v_mov_b32_e32 v1, 0
	s_clause 0x1
	scratch_load_b128 v[38:41], off, off offset:496
	scratch_load_b128 v[149:152], off, off offset:512
	s_mov_b32 s2, exec_lo
	ds_load_b128 v[34:37], v1 offset:912
	ds_load_b128 v[145:148], v1 offset:928
	s_waitcnt vmcnt(9) lgkmcnt(1)
	v_mul_f64 v[153:154], v[36:37], v[4:5]
	v_mul_f64 v[4:5], v[34:35], v[4:5]
	s_waitcnt vmcnt(8) lgkmcnt(0)
	v_mul_f64 v[155:156], v[145:146], v[8:9]
	v_mul_f64 v[8:9], v[147:148], v[8:9]
	s_delay_alu instid0(VALU_DEP_4) | instskip(NEXT) | instid1(VALU_DEP_4)
	v_fma_f64 v[153:154], v[34:35], v[2:3], -v[153:154]
	v_fma_f64 v[157:158], v[36:37], v[2:3], v[4:5]
	ds_load_b128 v[2:5], v1 offset:944
	scratch_load_b128 v[34:37], off, off offset:528
	v_fma_f64 v[147:148], v[147:148], v[6:7], v[155:156]
	v_fma_f64 v[145:146], v[145:146], v[6:7], -v[8:9]
	ds_load_b128 v[6:9], v1 offset:960
	s_waitcnt vmcnt(8) lgkmcnt(1)
	v_mul_f64 v[159:160], v[2:3], v[12:13]
	v_mul_f64 v[12:13], v[4:5], v[12:13]
	v_add_f64 v[153:154], v[153:154], 0
	v_add_f64 v[155:156], v[157:158], 0
	s_waitcnt vmcnt(7) lgkmcnt(0)
	v_mul_f64 v[157:158], v[6:7], v[16:17]
	v_mul_f64 v[16:17], v[8:9], v[16:17]
	v_fma_f64 v[159:160], v[4:5], v[10:11], v[159:160]
	v_fma_f64 v[10:11], v[2:3], v[10:11], -v[12:13]
	ds_load_b128 v[2:5], v1 offset:976
	v_add_f64 v[12:13], v[153:154], v[145:146]
	v_add_f64 v[145:146], v[155:156], v[147:148]
	v_fma_f64 v[153:154], v[8:9], v[14:15], v[157:158]
	v_fma_f64 v[14:15], v[6:7], v[14:15], -v[16:17]
	ds_load_b128 v[6:9], v1 offset:992
	s_waitcnt vmcnt(6) lgkmcnt(1)
	v_mul_f64 v[147:148], v[2:3], v[20:21]
	v_mul_f64 v[20:21], v[4:5], v[20:21]
	s_waitcnt vmcnt(5) lgkmcnt(0)
	v_mul_f64 v[155:156], v[6:7], v[24:25]
	v_mul_f64 v[24:25], v[8:9], v[24:25]
	v_add_f64 v[16:17], v[12:13], v[10:11]
	v_add_f64 v[145:146], v[145:146], v[159:160]
	scratch_load_b128 v[10:13], off, off offset:352
	v_fma_f64 v[147:148], v[4:5], v[18:19], v[147:148]
	v_fma_f64 v[18:19], v[2:3], v[18:19], -v[20:21]
	ds_load_b128 v[2:5], v1 offset:1008
	v_add_f64 v[14:15], v[16:17], v[14:15]
	v_add_f64 v[16:17], v[145:146], v[153:154]
	v_fma_f64 v[145:146], v[8:9], v[22:23], v[155:156]
	v_fma_f64 v[22:23], v[6:7], v[22:23], -v[24:25]
	ds_load_b128 v[6:9], v1 offset:1024
	s_waitcnt vmcnt(5) lgkmcnt(1)
	v_mul_f64 v[20:21], v[2:3], v[28:29]
	v_mul_f64 v[28:29], v[4:5], v[28:29]
	s_waitcnt vmcnt(4) lgkmcnt(0)
	v_mul_f64 v[24:25], v[8:9], v[32:33]
	v_add_f64 v[14:15], v[14:15], v[18:19]
	v_add_f64 v[16:17], v[16:17], v[147:148]
	v_mul_f64 v[18:19], v[6:7], v[32:33]
	v_fma_f64 v[20:21], v[4:5], v[26:27], v[20:21]
	v_fma_f64 v[26:27], v[2:3], v[26:27], -v[28:29]
	ds_load_b128 v[2:5], v1 offset:1040
	v_fma_f64 v[24:25], v[6:7], v[30:31], -v[24:25]
	v_add_f64 v[14:15], v[14:15], v[22:23]
	v_add_f64 v[16:17], v[16:17], v[145:146]
	v_fma_f64 v[18:19], v[8:9], v[30:31], v[18:19]
	ds_load_b128 v[6:9], v1 offset:1056
	s_waitcnt vmcnt(3) lgkmcnt(1)
	v_mul_f64 v[22:23], v[2:3], v[40:41]
	v_mul_f64 v[28:29], v[4:5], v[40:41]
	v_add_f64 v[14:15], v[14:15], v[26:27]
	v_add_f64 v[16:17], v[16:17], v[20:21]
	s_waitcnt vmcnt(2) lgkmcnt(0)
	v_mul_f64 v[20:21], v[6:7], v[151:152]
	v_mul_f64 v[26:27], v[8:9], v[151:152]
	v_fma_f64 v[22:23], v[4:5], v[38:39], v[22:23]
	v_fma_f64 v[28:29], v[2:3], v[38:39], -v[28:29]
	ds_load_b128 v[2:5], v1 offset:1072
	v_add_f64 v[14:15], v[14:15], v[24:25]
	v_add_f64 v[16:17], v[16:17], v[18:19]
	v_fma_f64 v[8:9], v[8:9], v[149:150], v[20:21]
	v_fma_f64 v[6:7], v[6:7], v[149:150], -v[26:27]
	s_waitcnt vmcnt(1) lgkmcnt(0)
	v_mul_f64 v[18:19], v[2:3], v[36:37]
	v_mul_f64 v[24:25], v[4:5], v[36:37]
	v_add_f64 v[14:15], v[14:15], v[28:29]
	v_add_f64 v[16:17], v[16:17], v[22:23]
	s_delay_alu instid0(VALU_DEP_4) | instskip(NEXT) | instid1(VALU_DEP_4)
	v_fma_f64 v[4:5], v[4:5], v[34:35], v[18:19]
	v_fma_f64 v[2:3], v[2:3], v[34:35], -v[24:25]
	s_delay_alu instid0(VALU_DEP_4) | instskip(NEXT) | instid1(VALU_DEP_4)
	v_add_f64 v[6:7], v[14:15], v[6:7]
	v_add_f64 v[8:9], v[16:17], v[8:9]
	s_delay_alu instid0(VALU_DEP_2) | instskip(NEXT) | instid1(VALU_DEP_2)
	v_add_f64 v[2:3], v[6:7], v[2:3]
	v_add_f64 v[4:5], v[8:9], v[4:5]
	s_waitcnt vmcnt(0)
	s_delay_alu instid0(VALU_DEP_2) | instskip(NEXT) | instid1(VALU_DEP_2)
	v_add_f64 v[2:3], v[10:11], -v[2:3]
	v_add_f64 v[4:5], v[12:13], -v[4:5]
	scratch_store_b128 off, v[2:5], off offset:352
	v_cmpx_lt_u32_e32 21, v110
	s_cbranch_execz .LBB97_175
; %bb.174:
	scratch_load_b128 v[5:8], v127, off
	v_mov_b32_e32 v2, v1
	v_mov_b32_e32 v3, v1
	;; [unrolled: 1-line block ×3, first 2 shown]
	scratch_store_b128 off, v[1:4], off offset:336
	s_waitcnt vmcnt(0)
	ds_store_b128 v144, v[5:8]
.LBB97_175:
	s_or_b32 exec_lo, exec_lo, s2
	s_waitcnt lgkmcnt(0)
	s_waitcnt_vscnt null, 0x0
	s_barrier
	buffer_gl0_inv
	s_clause 0x7
	scratch_load_b128 v[2:5], off, off offset:352
	scratch_load_b128 v[6:9], off, off offset:368
	;; [unrolled: 1-line block ×8, first 2 shown]
	ds_load_b128 v[34:37], v1 offset:896
	ds_load_b128 v[145:148], v1 offset:912
	s_clause 0x1
	scratch_load_b128 v[38:41], off, off offset:480
	scratch_load_b128 v[149:152], off, off offset:496
	s_mov_b32 s2, exec_lo
	s_waitcnt vmcnt(9) lgkmcnt(1)
	v_mul_f64 v[153:154], v[36:37], v[4:5]
	v_mul_f64 v[4:5], v[34:35], v[4:5]
	s_waitcnt vmcnt(8) lgkmcnt(0)
	v_mul_f64 v[155:156], v[145:146], v[8:9]
	v_mul_f64 v[8:9], v[147:148], v[8:9]
	s_delay_alu instid0(VALU_DEP_4) | instskip(NEXT) | instid1(VALU_DEP_4)
	v_fma_f64 v[153:154], v[34:35], v[2:3], -v[153:154]
	v_fma_f64 v[157:158], v[36:37], v[2:3], v[4:5]
	scratch_load_b128 v[34:37], off, off offset:512
	ds_load_b128 v[2:5], v1 offset:928
	v_fma_f64 v[155:156], v[147:148], v[6:7], v[155:156]
	v_fma_f64 v[161:162], v[145:146], v[6:7], -v[8:9]
	ds_load_b128 v[6:9], v1 offset:944
	scratch_load_b128 v[145:148], off, off offset:528
	s_waitcnt vmcnt(9) lgkmcnt(1)
	v_mul_f64 v[159:160], v[2:3], v[12:13]
	v_mul_f64 v[12:13], v[4:5], v[12:13]
	s_waitcnt vmcnt(8) lgkmcnt(0)
	v_mul_f64 v[163:164], v[6:7], v[16:17]
	v_mul_f64 v[16:17], v[8:9], v[16:17]
	v_add_f64 v[153:154], v[153:154], 0
	v_add_f64 v[157:158], v[157:158], 0
	v_fma_f64 v[159:160], v[4:5], v[10:11], v[159:160]
	v_fma_f64 v[10:11], v[2:3], v[10:11], -v[12:13]
	ds_load_b128 v[2:5], v1 offset:960
	v_add_f64 v[12:13], v[153:154], v[161:162]
	v_add_f64 v[153:154], v[157:158], v[155:156]
	v_fma_f64 v[157:158], v[8:9], v[14:15], v[163:164]
	v_fma_f64 v[14:15], v[6:7], v[14:15], -v[16:17]
	ds_load_b128 v[6:9], v1 offset:976
	s_waitcnt vmcnt(7) lgkmcnt(1)
	v_mul_f64 v[155:156], v[2:3], v[20:21]
	v_mul_f64 v[20:21], v[4:5], v[20:21]
	s_waitcnt vmcnt(6) lgkmcnt(0)
	v_mul_f64 v[16:17], v[6:7], v[24:25]
	v_mul_f64 v[24:25], v[8:9], v[24:25]
	v_add_f64 v[10:11], v[12:13], v[10:11]
	v_add_f64 v[12:13], v[153:154], v[159:160]
	v_fma_f64 v[153:154], v[4:5], v[18:19], v[155:156]
	v_fma_f64 v[18:19], v[2:3], v[18:19], -v[20:21]
	ds_load_b128 v[2:5], v1 offset:992
	v_fma_f64 v[16:17], v[8:9], v[22:23], v[16:17]
	v_fma_f64 v[22:23], v[6:7], v[22:23], -v[24:25]
	ds_load_b128 v[6:9], v1 offset:1008
	s_waitcnt vmcnt(5) lgkmcnt(1)
	v_mul_f64 v[155:156], v[2:3], v[28:29]
	v_mul_f64 v[28:29], v[4:5], v[28:29]
	v_add_f64 v[14:15], v[10:11], v[14:15]
	v_add_f64 v[20:21], v[12:13], v[157:158]
	scratch_load_b128 v[10:13], off, off offset:336
	s_waitcnt vmcnt(5) lgkmcnt(0)
	v_mul_f64 v[24:25], v[8:9], v[32:33]
	v_add_f64 v[14:15], v[14:15], v[18:19]
	v_add_f64 v[18:19], v[20:21], v[153:154]
	v_mul_f64 v[20:21], v[6:7], v[32:33]
	v_fma_f64 v[32:33], v[4:5], v[26:27], v[155:156]
	v_fma_f64 v[26:27], v[2:3], v[26:27], -v[28:29]
	ds_load_b128 v[2:5], v1 offset:1024
	v_fma_f64 v[24:25], v[6:7], v[30:31], -v[24:25]
	v_add_f64 v[14:15], v[14:15], v[22:23]
	v_add_f64 v[16:17], v[18:19], v[16:17]
	v_fma_f64 v[20:21], v[8:9], v[30:31], v[20:21]
	ds_load_b128 v[6:9], v1 offset:1040
	s_waitcnt vmcnt(4) lgkmcnt(1)
	v_mul_f64 v[18:19], v[2:3], v[40:41]
	v_mul_f64 v[22:23], v[4:5], v[40:41]
	s_waitcnt vmcnt(3) lgkmcnt(0)
	v_mul_f64 v[28:29], v[8:9], v[151:152]
	v_add_f64 v[14:15], v[14:15], v[26:27]
	v_add_f64 v[16:17], v[16:17], v[32:33]
	v_mul_f64 v[26:27], v[6:7], v[151:152]
	v_fma_f64 v[18:19], v[4:5], v[38:39], v[18:19]
	v_fma_f64 v[22:23], v[2:3], v[38:39], -v[22:23]
	ds_load_b128 v[2:5], v1 offset:1056
	v_fma_f64 v[28:29], v[6:7], v[149:150], -v[28:29]
	v_add_f64 v[14:15], v[14:15], v[24:25]
	v_add_f64 v[16:17], v[16:17], v[20:21]
	v_fma_f64 v[26:27], v[8:9], v[149:150], v[26:27]
	ds_load_b128 v[6:9], v1 offset:1072
	s_waitcnt vmcnt(2) lgkmcnt(1)
	v_mul_f64 v[20:21], v[2:3], v[36:37]
	v_mul_f64 v[24:25], v[4:5], v[36:37]
	v_add_f64 v[14:15], v[14:15], v[22:23]
	v_add_f64 v[16:17], v[16:17], v[18:19]
	s_waitcnt vmcnt(1) lgkmcnt(0)
	v_mul_f64 v[18:19], v[6:7], v[147:148]
	v_mul_f64 v[22:23], v[8:9], v[147:148]
	v_fma_f64 v[4:5], v[4:5], v[34:35], v[20:21]
	v_fma_f64 v[1:2], v[2:3], v[34:35], -v[24:25]
	v_add_f64 v[14:15], v[14:15], v[28:29]
	v_add_f64 v[16:17], v[16:17], v[26:27]
	v_fma_f64 v[8:9], v[8:9], v[145:146], v[18:19]
	v_fma_f64 v[6:7], v[6:7], v[145:146], -v[22:23]
	s_delay_alu instid0(VALU_DEP_4) | instskip(NEXT) | instid1(VALU_DEP_4)
	v_add_f64 v[1:2], v[14:15], v[1:2]
	v_add_f64 v[3:4], v[16:17], v[4:5]
	s_delay_alu instid0(VALU_DEP_2) | instskip(NEXT) | instid1(VALU_DEP_2)
	v_add_f64 v[1:2], v[1:2], v[6:7]
	v_add_f64 v[3:4], v[3:4], v[8:9]
	s_waitcnt vmcnt(0)
	s_delay_alu instid0(VALU_DEP_2) | instskip(NEXT) | instid1(VALU_DEP_2)
	v_add_f64 v[1:2], v[10:11], -v[1:2]
	v_add_f64 v[3:4], v[12:13], -v[3:4]
	scratch_store_b128 off, v[1:4], off offset:336
	v_cmpx_lt_u32_e32 20, v110
	s_cbranch_execz .LBB97_177
; %bb.176:
	scratch_load_b128 v[1:4], v128, off
	v_mov_b32_e32 v5, 0
	s_delay_alu instid0(VALU_DEP_1)
	v_mov_b32_e32 v6, v5
	v_mov_b32_e32 v7, v5
	;; [unrolled: 1-line block ×3, first 2 shown]
	scratch_store_b128 off, v[5:8], off offset:320
	s_waitcnt vmcnt(0)
	ds_store_b128 v144, v[1:4]
.LBB97_177:
	s_or_b32 exec_lo, exec_lo, s2
	s_waitcnt lgkmcnt(0)
	s_waitcnt_vscnt null, 0x0
	s_barrier
	buffer_gl0_inv
	s_clause 0x7
	scratch_load_b128 v[2:5], off, off offset:336
	scratch_load_b128 v[6:9], off, off offset:352
	;; [unrolled: 1-line block ×8, first 2 shown]
	v_mov_b32_e32 v1, 0
	s_clause 0x1
	scratch_load_b128 v[38:41], off, off offset:464
	scratch_load_b128 v[149:152], off, off offset:480
	s_mov_b32 s2, exec_lo
	ds_load_b128 v[34:37], v1 offset:880
	ds_load_b128 v[145:148], v1 offset:896
	s_waitcnt vmcnt(9) lgkmcnt(1)
	v_mul_f64 v[153:154], v[36:37], v[4:5]
	v_mul_f64 v[4:5], v[34:35], v[4:5]
	s_waitcnt vmcnt(8) lgkmcnt(0)
	v_mul_f64 v[155:156], v[145:146], v[8:9]
	v_mul_f64 v[8:9], v[147:148], v[8:9]
	s_delay_alu instid0(VALU_DEP_4) | instskip(NEXT) | instid1(VALU_DEP_4)
	v_fma_f64 v[153:154], v[34:35], v[2:3], -v[153:154]
	v_fma_f64 v[157:158], v[36:37], v[2:3], v[4:5]
	ds_load_b128 v[2:5], v1 offset:912
	scratch_load_b128 v[34:37], off, off offset:496
	v_fma_f64 v[155:156], v[147:148], v[6:7], v[155:156]
	v_fma_f64 v[161:162], v[145:146], v[6:7], -v[8:9]
	ds_load_b128 v[6:9], v1 offset:928
	scratch_load_b128 v[145:148], off, off offset:512
	s_waitcnt vmcnt(9) lgkmcnt(1)
	v_mul_f64 v[159:160], v[2:3], v[12:13]
	v_mul_f64 v[12:13], v[4:5], v[12:13]
	s_waitcnt vmcnt(8) lgkmcnt(0)
	v_mul_f64 v[163:164], v[6:7], v[16:17]
	v_mul_f64 v[16:17], v[8:9], v[16:17]
	v_add_f64 v[153:154], v[153:154], 0
	v_add_f64 v[157:158], v[157:158], 0
	v_fma_f64 v[159:160], v[4:5], v[10:11], v[159:160]
	v_fma_f64 v[165:166], v[2:3], v[10:11], -v[12:13]
	scratch_load_b128 v[10:13], off, off offset:528
	ds_load_b128 v[2:5], v1 offset:944
	v_add_f64 v[153:154], v[153:154], v[161:162]
	v_add_f64 v[155:156], v[157:158], v[155:156]
	v_fma_f64 v[161:162], v[8:9], v[14:15], v[163:164]
	v_fma_f64 v[14:15], v[6:7], v[14:15], -v[16:17]
	ds_load_b128 v[6:9], v1 offset:960
	s_waitcnt vmcnt(8) lgkmcnt(1)
	v_mul_f64 v[157:158], v[2:3], v[20:21]
	v_mul_f64 v[20:21], v[4:5], v[20:21]
	v_add_f64 v[16:17], v[153:154], v[165:166]
	v_add_f64 v[153:154], v[155:156], v[159:160]
	s_waitcnt vmcnt(7) lgkmcnt(0)
	v_mul_f64 v[155:156], v[6:7], v[24:25]
	v_mul_f64 v[24:25], v[8:9], v[24:25]
	v_fma_f64 v[157:158], v[4:5], v[18:19], v[157:158]
	v_fma_f64 v[18:19], v[2:3], v[18:19], -v[20:21]
	ds_load_b128 v[2:5], v1 offset:976
	v_add_f64 v[14:15], v[16:17], v[14:15]
	v_add_f64 v[16:17], v[153:154], v[161:162]
	v_fma_f64 v[153:154], v[8:9], v[22:23], v[155:156]
	v_fma_f64 v[22:23], v[6:7], v[22:23], -v[24:25]
	ds_load_b128 v[6:9], v1 offset:992
	s_waitcnt vmcnt(6) lgkmcnt(1)
	v_mul_f64 v[20:21], v[2:3], v[28:29]
	v_mul_f64 v[28:29], v[4:5], v[28:29]
	s_waitcnt vmcnt(5) lgkmcnt(0)
	v_mul_f64 v[155:156], v[6:7], v[32:33]
	v_mul_f64 v[32:33], v[8:9], v[32:33]
	v_add_f64 v[18:19], v[14:15], v[18:19]
	v_add_f64 v[24:25], v[16:17], v[157:158]
	scratch_load_b128 v[14:17], off, off offset:320
	v_fma_f64 v[20:21], v[4:5], v[26:27], v[20:21]
	v_fma_f64 v[26:27], v[2:3], v[26:27], -v[28:29]
	ds_load_b128 v[2:5], v1 offset:1008
	s_waitcnt vmcnt(5) lgkmcnt(0)
	v_mul_f64 v[28:29], v[4:5], v[40:41]
	v_add_f64 v[18:19], v[18:19], v[22:23]
	v_add_f64 v[22:23], v[24:25], v[153:154]
	v_mul_f64 v[24:25], v[2:3], v[40:41]
	v_fma_f64 v[40:41], v[8:9], v[30:31], v[155:156]
	v_fma_f64 v[30:31], v[6:7], v[30:31], -v[32:33]
	ds_load_b128 v[6:9], v1 offset:1024
	v_fma_f64 v[28:29], v[2:3], v[38:39], -v[28:29]
	v_add_f64 v[18:19], v[18:19], v[26:27]
	v_add_f64 v[20:21], v[22:23], v[20:21]
	v_fma_f64 v[24:25], v[4:5], v[38:39], v[24:25]
	ds_load_b128 v[2:5], v1 offset:1040
	s_waitcnt vmcnt(4) lgkmcnt(1)
	v_mul_f64 v[22:23], v[6:7], v[151:152]
	v_mul_f64 v[26:27], v[8:9], v[151:152]
	v_add_f64 v[18:19], v[18:19], v[30:31]
	v_add_f64 v[20:21], v[20:21], v[40:41]
	s_delay_alu instid0(VALU_DEP_4) | instskip(NEXT) | instid1(VALU_DEP_4)
	v_fma_f64 v[22:23], v[8:9], v[149:150], v[22:23]
	v_fma_f64 v[26:27], v[6:7], v[149:150], -v[26:27]
	ds_load_b128 v[6:9], v1 offset:1056
	s_waitcnt vmcnt(3) lgkmcnt(1)
	v_mul_f64 v[30:31], v[2:3], v[36:37]
	v_mul_f64 v[32:33], v[4:5], v[36:37]
	v_add_f64 v[18:19], v[18:19], v[28:29]
	v_add_f64 v[20:21], v[20:21], v[24:25]
	s_delay_alu instid0(VALU_DEP_4) | instskip(NEXT) | instid1(VALU_DEP_4)
	v_fma_f64 v[30:31], v[4:5], v[34:35], v[30:31]
	v_fma_f64 v[32:33], v[2:3], v[34:35], -v[32:33]
	ds_load_b128 v[2:5], v1 offset:1072
	s_waitcnt vmcnt(2) lgkmcnt(1)
	v_mul_f64 v[24:25], v[6:7], v[147:148]
	v_mul_f64 v[28:29], v[8:9], v[147:148]
	v_add_f64 v[18:19], v[18:19], v[26:27]
	v_add_f64 v[20:21], v[20:21], v[22:23]
	s_waitcnt vmcnt(1) lgkmcnt(0)
	v_mul_f64 v[22:23], v[2:3], v[12:13]
	v_mul_f64 v[12:13], v[4:5], v[12:13]
	v_fma_f64 v[8:9], v[8:9], v[145:146], v[24:25]
	v_fma_f64 v[6:7], v[6:7], v[145:146], -v[28:29]
	v_add_f64 v[18:19], v[18:19], v[32:33]
	v_add_f64 v[20:21], v[20:21], v[30:31]
	v_fma_f64 v[4:5], v[4:5], v[10:11], v[22:23]
	v_fma_f64 v[2:3], v[2:3], v[10:11], -v[12:13]
	s_delay_alu instid0(VALU_DEP_4) | instskip(NEXT) | instid1(VALU_DEP_4)
	v_add_f64 v[6:7], v[18:19], v[6:7]
	v_add_f64 v[8:9], v[20:21], v[8:9]
	s_delay_alu instid0(VALU_DEP_2) | instskip(NEXT) | instid1(VALU_DEP_2)
	v_add_f64 v[2:3], v[6:7], v[2:3]
	v_add_f64 v[4:5], v[8:9], v[4:5]
	s_waitcnt vmcnt(0)
	s_delay_alu instid0(VALU_DEP_2) | instskip(NEXT) | instid1(VALU_DEP_2)
	v_add_f64 v[2:3], v[14:15], -v[2:3]
	v_add_f64 v[4:5], v[16:17], -v[4:5]
	scratch_store_b128 off, v[2:5], off offset:320
	v_cmpx_lt_u32_e32 19, v110
	s_cbranch_execz .LBB97_179
; %bb.178:
	scratch_load_b128 v[5:8], v130, off
	v_mov_b32_e32 v2, v1
	v_mov_b32_e32 v3, v1
	;; [unrolled: 1-line block ×3, first 2 shown]
	scratch_store_b128 off, v[1:4], off offset:304
	s_waitcnt vmcnt(0)
	ds_store_b128 v144, v[5:8]
.LBB97_179:
	s_or_b32 exec_lo, exec_lo, s2
	s_waitcnt lgkmcnt(0)
	s_waitcnt_vscnt null, 0x0
	s_barrier
	buffer_gl0_inv
	s_clause 0x7
	scratch_load_b128 v[2:5], off, off offset:320
	scratch_load_b128 v[6:9], off, off offset:336
	scratch_load_b128 v[10:13], off, off offset:352
	scratch_load_b128 v[14:17], off, off offset:368
	scratch_load_b128 v[18:21], off, off offset:384
	scratch_load_b128 v[22:25], off, off offset:400
	scratch_load_b128 v[26:29], off, off offset:416
	scratch_load_b128 v[30:33], off, off offset:432
	ds_load_b128 v[34:37], v1 offset:864
	ds_load_b128 v[145:148], v1 offset:880
	s_clause 0x1
	scratch_load_b128 v[38:41], off, off offset:448
	scratch_load_b128 v[149:152], off, off offset:464
	s_mov_b32 s2, exec_lo
	s_waitcnt vmcnt(9) lgkmcnt(1)
	v_mul_f64 v[153:154], v[36:37], v[4:5]
	v_mul_f64 v[4:5], v[34:35], v[4:5]
	s_waitcnt vmcnt(8) lgkmcnt(0)
	v_mul_f64 v[155:156], v[145:146], v[8:9]
	v_mul_f64 v[8:9], v[147:148], v[8:9]
	s_delay_alu instid0(VALU_DEP_4) | instskip(NEXT) | instid1(VALU_DEP_4)
	v_fma_f64 v[153:154], v[34:35], v[2:3], -v[153:154]
	v_fma_f64 v[157:158], v[36:37], v[2:3], v[4:5]
	scratch_load_b128 v[34:37], off, off offset:480
	ds_load_b128 v[2:5], v1 offset:896
	v_fma_f64 v[155:156], v[147:148], v[6:7], v[155:156]
	v_fma_f64 v[161:162], v[145:146], v[6:7], -v[8:9]
	ds_load_b128 v[6:9], v1 offset:912
	scratch_load_b128 v[145:148], off, off offset:496
	s_waitcnt vmcnt(9) lgkmcnt(1)
	v_mul_f64 v[159:160], v[2:3], v[12:13]
	v_mul_f64 v[12:13], v[4:5], v[12:13]
	s_waitcnt vmcnt(8) lgkmcnt(0)
	v_mul_f64 v[163:164], v[6:7], v[16:17]
	v_mul_f64 v[16:17], v[8:9], v[16:17]
	v_add_f64 v[153:154], v[153:154], 0
	v_add_f64 v[157:158], v[157:158], 0
	v_fma_f64 v[159:160], v[4:5], v[10:11], v[159:160]
	v_fma_f64 v[165:166], v[2:3], v[10:11], -v[12:13]
	scratch_load_b128 v[10:13], off, off offset:512
	ds_load_b128 v[2:5], v1 offset:928
	v_add_f64 v[153:154], v[153:154], v[161:162]
	v_add_f64 v[155:156], v[157:158], v[155:156]
	v_fma_f64 v[161:162], v[8:9], v[14:15], v[163:164]
	v_fma_f64 v[163:164], v[6:7], v[14:15], -v[16:17]
	ds_load_b128 v[6:9], v1 offset:944
	scratch_load_b128 v[14:17], off, off offset:528
	s_waitcnt vmcnt(9) lgkmcnt(1)
	v_mul_f64 v[157:158], v[2:3], v[20:21]
	v_mul_f64 v[20:21], v[4:5], v[20:21]
	v_add_f64 v[153:154], v[153:154], v[165:166]
	v_add_f64 v[155:156], v[155:156], v[159:160]
	s_waitcnt vmcnt(8) lgkmcnt(0)
	v_mul_f64 v[159:160], v[6:7], v[24:25]
	v_mul_f64 v[24:25], v[8:9], v[24:25]
	v_fma_f64 v[157:158], v[4:5], v[18:19], v[157:158]
	v_fma_f64 v[18:19], v[2:3], v[18:19], -v[20:21]
	ds_load_b128 v[2:5], v1 offset:960
	v_add_f64 v[20:21], v[153:154], v[163:164]
	v_add_f64 v[153:154], v[155:156], v[161:162]
	v_fma_f64 v[159:160], v[8:9], v[22:23], v[159:160]
	v_fma_f64 v[22:23], v[6:7], v[22:23], -v[24:25]
	ds_load_b128 v[6:9], v1 offset:976
	s_waitcnt vmcnt(7) lgkmcnt(1)
	v_mul_f64 v[155:156], v[2:3], v[28:29]
	v_mul_f64 v[28:29], v[4:5], v[28:29]
	s_waitcnt vmcnt(6) lgkmcnt(0)
	v_mul_f64 v[24:25], v[6:7], v[32:33]
	v_mul_f64 v[32:33], v[8:9], v[32:33]
	v_add_f64 v[18:19], v[20:21], v[18:19]
	v_add_f64 v[20:21], v[153:154], v[157:158]
	v_fma_f64 v[153:154], v[4:5], v[26:27], v[155:156]
	v_fma_f64 v[26:27], v[2:3], v[26:27], -v[28:29]
	ds_load_b128 v[2:5], v1 offset:992
	v_fma_f64 v[24:25], v[8:9], v[30:31], v[24:25]
	v_fma_f64 v[30:31], v[6:7], v[30:31], -v[32:33]
	ds_load_b128 v[6:9], v1 offset:1008
	v_add_f64 v[22:23], v[18:19], v[22:23]
	v_add_f64 v[28:29], v[20:21], v[159:160]
	scratch_load_b128 v[18:21], off, off offset:304
	s_waitcnt vmcnt(6) lgkmcnt(1)
	v_mul_f64 v[155:156], v[2:3], v[40:41]
	v_mul_f64 v[40:41], v[4:5], v[40:41]
	s_waitcnt vmcnt(5) lgkmcnt(0)
	v_mul_f64 v[32:33], v[8:9], v[151:152]
	v_add_f64 v[22:23], v[22:23], v[26:27]
	v_add_f64 v[26:27], v[28:29], v[153:154]
	v_mul_f64 v[28:29], v[6:7], v[151:152]
	v_fma_f64 v[151:152], v[4:5], v[38:39], v[155:156]
	v_fma_f64 v[38:39], v[2:3], v[38:39], -v[40:41]
	ds_load_b128 v[2:5], v1 offset:1024
	v_fma_f64 v[32:33], v[6:7], v[149:150], -v[32:33]
	v_add_f64 v[22:23], v[22:23], v[30:31]
	v_add_f64 v[24:25], v[26:27], v[24:25]
	v_fma_f64 v[28:29], v[8:9], v[149:150], v[28:29]
	ds_load_b128 v[6:9], v1 offset:1040
	s_waitcnt vmcnt(4) lgkmcnt(1)
	v_mul_f64 v[26:27], v[2:3], v[36:37]
	v_mul_f64 v[30:31], v[4:5], v[36:37]
	s_waitcnt vmcnt(3) lgkmcnt(0)
	v_mul_f64 v[36:37], v[6:7], v[147:148]
	v_add_f64 v[22:23], v[22:23], v[38:39]
	v_add_f64 v[24:25], v[24:25], v[151:152]
	v_mul_f64 v[38:39], v[8:9], v[147:148]
	v_fma_f64 v[26:27], v[4:5], v[34:35], v[26:27]
	v_fma_f64 v[30:31], v[2:3], v[34:35], -v[30:31]
	ds_load_b128 v[2:5], v1 offset:1056
	v_add_f64 v[22:23], v[22:23], v[32:33]
	v_add_f64 v[24:25], v[24:25], v[28:29]
	v_fma_f64 v[32:33], v[8:9], v[145:146], v[36:37]
	v_fma_f64 v[34:35], v[6:7], v[145:146], -v[38:39]
	ds_load_b128 v[6:9], v1 offset:1072
	s_waitcnt vmcnt(2) lgkmcnt(1)
	v_mul_f64 v[28:29], v[2:3], v[12:13]
	v_mul_f64 v[12:13], v[4:5], v[12:13]
	v_add_f64 v[22:23], v[22:23], v[30:31]
	v_add_f64 v[24:25], v[24:25], v[26:27]
	s_waitcnt vmcnt(1) lgkmcnt(0)
	v_mul_f64 v[26:27], v[6:7], v[16:17]
	v_mul_f64 v[16:17], v[8:9], v[16:17]
	v_fma_f64 v[4:5], v[4:5], v[10:11], v[28:29]
	v_fma_f64 v[1:2], v[2:3], v[10:11], -v[12:13]
	v_add_f64 v[10:11], v[22:23], v[34:35]
	v_add_f64 v[12:13], v[24:25], v[32:33]
	v_fma_f64 v[8:9], v[8:9], v[14:15], v[26:27]
	v_fma_f64 v[6:7], v[6:7], v[14:15], -v[16:17]
	s_delay_alu instid0(VALU_DEP_4) | instskip(NEXT) | instid1(VALU_DEP_4)
	v_add_f64 v[1:2], v[10:11], v[1:2]
	v_add_f64 v[3:4], v[12:13], v[4:5]
	s_delay_alu instid0(VALU_DEP_2) | instskip(NEXT) | instid1(VALU_DEP_2)
	v_add_f64 v[1:2], v[1:2], v[6:7]
	v_add_f64 v[3:4], v[3:4], v[8:9]
	s_waitcnt vmcnt(0)
	s_delay_alu instid0(VALU_DEP_2) | instskip(NEXT) | instid1(VALU_DEP_2)
	v_add_f64 v[1:2], v[18:19], -v[1:2]
	v_add_f64 v[3:4], v[20:21], -v[3:4]
	scratch_store_b128 off, v[1:4], off offset:304
	v_cmpx_lt_u32_e32 18, v110
	s_cbranch_execz .LBB97_181
; %bb.180:
	scratch_load_b128 v[1:4], v129, off
	v_mov_b32_e32 v5, 0
	s_delay_alu instid0(VALU_DEP_1)
	v_mov_b32_e32 v6, v5
	v_mov_b32_e32 v7, v5
	;; [unrolled: 1-line block ×3, first 2 shown]
	scratch_store_b128 off, v[5:8], off offset:288
	s_waitcnt vmcnt(0)
	ds_store_b128 v144, v[1:4]
.LBB97_181:
	s_or_b32 exec_lo, exec_lo, s2
	s_waitcnt lgkmcnt(0)
	s_waitcnt_vscnt null, 0x0
	s_barrier
	buffer_gl0_inv
	s_clause 0x7
	scratch_load_b128 v[2:5], off, off offset:304
	scratch_load_b128 v[6:9], off, off offset:320
	;; [unrolled: 1-line block ×8, first 2 shown]
	v_mov_b32_e32 v1, 0
	s_clause 0x1
	scratch_load_b128 v[38:41], off, off offset:432
	scratch_load_b128 v[149:152], off, off offset:448
	s_mov_b32 s2, exec_lo
	ds_load_b128 v[34:37], v1 offset:848
	ds_load_b128 v[145:148], v1 offset:864
	s_waitcnt vmcnt(9) lgkmcnt(1)
	v_mul_f64 v[153:154], v[36:37], v[4:5]
	v_mul_f64 v[4:5], v[34:35], v[4:5]
	s_waitcnt vmcnt(8) lgkmcnt(0)
	v_mul_f64 v[155:156], v[145:146], v[8:9]
	v_mul_f64 v[8:9], v[147:148], v[8:9]
	s_delay_alu instid0(VALU_DEP_4) | instskip(NEXT) | instid1(VALU_DEP_4)
	v_fma_f64 v[153:154], v[34:35], v[2:3], -v[153:154]
	v_fma_f64 v[157:158], v[36:37], v[2:3], v[4:5]
	ds_load_b128 v[2:5], v1 offset:880
	scratch_load_b128 v[34:37], off, off offset:464
	v_fma_f64 v[155:156], v[147:148], v[6:7], v[155:156]
	v_fma_f64 v[161:162], v[145:146], v[6:7], -v[8:9]
	ds_load_b128 v[6:9], v1 offset:896
	scratch_load_b128 v[145:148], off, off offset:480
	s_waitcnt vmcnt(9) lgkmcnt(1)
	v_mul_f64 v[159:160], v[2:3], v[12:13]
	v_mul_f64 v[12:13], v[4:5], v[12:13]
	s_waitcnt vmcnt(8) lgkmcnt(0)
	v_mul_f64 v[163:164], v[6:7], v[16:17]
	v_mul_f64 v[16:17], v[8:9], v[16:17]
	v_add_f64 v[153:154], v[153:154], 0
	v_add_f64 v[157:158], v[157:158], 0
	v_fma_f64 v[159:160], v[4:5], v[10:11], v[159:160]
	v_fma_f64 v[165:166], v[2:3], v[10:11], -v[12:13]
	scratch_load_b128 v[10:13], off, off offset:496
	ds_load_b128 v[2:5], v1 offset:912
	v_add_f64 v[153:154], v[153:154], v[161:162]
	v_add_f64 v[155:156], v[157:158], v[155:156]
	v_fma_f64 v[161:162], v[8:9], v[14:15], v[163:164]
	v_fma_f64 v[163:164], v[6:7], v[14:15], -v[16:17]
	ds_load_b128 v[6:9], v1 offset:928
	scratch_load_b128 v[14:17], off, off offset:512
	s_waitcnt vmcnt(9) lgkmcnt(1)
	v_mul_f64 v[157:158], v[2:3], v[20:21]
	v_mul_f64 v[20:21], v[4:5], v[20:21]
	v_add_f64 v[153:154], v[153:154], v[165:166]
	v_add_f64 v[155:156], v[155:156], v[159:160]
	s_waitcnt vmcnt(8) lgkmcnt(0)
	v_mul_f64 v[159:160], v[6:7], v[24:25]
	v_mul_f64 v[24:25], v[8:9], v[24:25]
	v_fma_f64 v[157:158], v[4:5], v[18:19], v[157:158]
	v_fma_f64 v[165:166], v[2:3], v[18:19], -v[20:21]
	scratch_load_b128 v[18:21], off, off offset:528
	ds_load_b128 v[2:5], v1 offset:944
	v_add_f64 v[153:154], v[153:154], v[163:164]
	v_add_f64 v[155:156], v[155:156], v[161:162]
	v_fma_f64 v[159:160], v[8:9], v[22:23], v[159:160]
	v_fma_f64 v[22:23], v[6:7], v[22:23], -v[24:25]
	ds_load_b128 v[6:9], v1 offset:960
	s_waitcnt vmcnt(8) lgkmcnt(1)
	v_mul_f64 v[161:162], v[2:3], v[28:29]
	v_mul_f64 v[28:29], v[4:5], v[28:29]
	v_add_f64 v[24:25], v[153:154], v[165:166]
	v_add_f64 v[153:154], v[155:156], v[157:158]
	s_waitcnt vmcnt(7) lgkmcnt(0)
	v_mul_f64 v[155:156], v[6:7], v[32:33]
	v_mul_f64 v[32:33], v[8:9], v[32:33]
	v_fma_f64 v[157:158], v[4:5], v[26:27], v[161:162]
	v_fma_f64 v[26:27], v[2:3], v[26:27], -v[28:29]
	ds_load_b128 v[2:5], v1 offset:976
	v_add_f64 v[22:23], v[24:25], v[22:23]
	v_add_f64 v[24:25], v[153:154], v[159:160]
	v_fma_f64 v[153:154], v[8:9], v[30:31], v[155:156]
	v_fma_f64 v[30:31], v[6:7], v[30:31], -v[32:33]
	ds_load_b128 v[6:9], v1 offset:992
	s_waitcnt vmcnt(5) lgkmcnt(0)
	v_mul_f64 v[155:156], v[6:7], v[151:152]
	v_mul_f64 v[151:152], v[8:9], v[151:152]
	v_add_f64 v[26:27], v[22:23], v[26:27]
	v_add_f64 v[32:33], v[24:25], v[157:158]
	scratch_load_b128 v[22:25], off, off offset:288
	v_mul_f64 v[28:29], v[2:3], v[40:41]
	v_mul_f64 v[40:41], v[4:5], v[40:41]
	v_add_f64 v[26:27], v[26:27], v[30:31]
	v_add_f64 v[30:31], v[32:33], v[153:154]
	s_delay_alu instid0(VALU_DEP_4) | instskip(NEXT) | instid1(VALU_DEP_4)
	v_fma_f64 v[28:29], v[4:5], v[38:39], v[28:29]
	v_fma_f64 v[38:39], v[2:3], v[38:39], -v[40:41]
	ds_load_b128 v[2:5], v1 offset:1008
	v_fma_f64 v[40:41], v[8:9], v[149:150], v[155:156]
	v_fma_f64 v[149:150], v[6:7], v[149:150], -v[151:152]
	ds_load_b128 v[6:9], v1 offset:1024
	s_waitcnt vmcnt(5) lgkmcnt(1)
	v_mul_f64 v[32:33], v[2:3], v[36:37]
	v_mul_f64 v[36:37], v[4:5], v[36:37]
	v_add_f64 v[28:29], v[30:31], v[28:29]
	v_add_f64 v[26:27], v[26:27], v[38:39]
	s_waitcnt vmcnt(4) lgkmcnt(0)
	v_mul_f64 v[30:31], v[6:7], v[147:148]
	v_mul_f64 v[38:39], v[8:9], v[147:148]
	v_fma_f64 v[32:33], v[4:5], v[34:35], v[32:33]
	v_fma_f64 v[34:35], v[2:3], v[34:35], -v[36:37]
	ds_load_b128 v[2:5], v1 offset:1040
	v_add_f64 v[28:29], v[28:29], v[40:41]
	v_add_f64 v[26:27], v[26:27], v[149:150]
	v_fma_f64 v[30:31], v[8:9], v[145:146], v[30:31]
	v_fma_f64 v[38:39], v[6:7], v[145:146], -v[38:39]
	ds_load_b128 v[6:9], v1 offset:1056
	s_waitcnt vmcnt(3) lgkmcnt(1)
	v_mul_f64 v[36:37], v[2:3], v[12:13]
	v_mul_f64 v[12:13], v[4:5], v[12:13]
	v_add_f64 v[28:29], v[28:29], v[32:33]
	v_add_f64 v[26:27], v[26:27], v[34:35]
	s_waitcnt vmcnt(2) lgkmcnt(0)
	v_mul_f64 v[32:33], v[6:7], v[16:17]
	v_mul_f64 v[16:17], v[8:9], v[16:17]
	v_fma_f64 v[34:35], v[4:5], v[10:11], v[36:37]
	v_fma_f64 v[10:11], v[2:3], v[10:11], -v[12:13]
	ds_load_b128 v[2:5], v1 offset:1072
	v_add_f64 v[12:13], v[26:27], v[38:39]
	v_add_f64 v[26:27], v[28:29], v[30:31]
	s_waitcnt vmcnt(1) lgkmcnt(0)
	v_mul_f64 v[28:29], v[2:3], v[20:21]
	v_mul_f64 v[20:21], v[4:5], v[20:21]
	v_fma_f64 v[8:9], v[8:9], v[14:15], v[32:33]
	v_fma_f64 v[6:7], v[6:7], v[14:15], -v[16:17]
	v_add_f64 v[10:11], v[12:13], v[10:11]
	v_add_f64 v[12:13], v[26:27], v[34:35]
	v_fma_f64 v[4:5], v[4:5], v[18:19], v[28:29]
	v_fma_f64 v[2:3], v[2:3], v[18:19], -v[20:21]
	s_delay_alu instid0(VALU_DEP_4) | instskip(NEXT) | instid1(VALU_DEP_4)
	v_add_f64 v[6:7], v[10:11], v[6:7]
	v_add_f64 v[8:9], v[12:13], v[8:9]
	s_delay_alu instid0(VALU_DEP_2) | instskip(NEXT) | instid1(VALU_DEP_2)
	v_add_f64 v[2:3], v[6:7], v[2:3]
	v_add_f64 v[4:5], v[8:9], v[4:5]
	s_waitcnt vmcnt(0)
	s_delay_alu instid0(VALU_DEP_2) | instskip(NEXT) | instid1(VALU_DEP_2)
	v_add_f64 v[2:3], v[22:23], -v[2:3]
	v_add_f64 v[4:5], v[24:25], -v[4:5]
	scratch_store_b128 off, v[2:5], off offset:288
	v_cmpx_lt_u32_e32 17, v110
	s_cbranch_execz .LBB97_183
; %bb.182:
	scratch_load_b128 v[5:8], v131, off
	v_mov_b32_e32 v2, v1
	v_mov_b32_e32 v3, v1
	;; [unrolled: 1-line block ×3, first 2 shown]
	scratch_store_b128 off, v[1:4], off offset:272
	s_waitcnt vmcnt(0)
	ds_store_b128 v144, v[5:8]
.LBB97_183:
	s_or_b32 exec_lo, exec_lo, s2
	s_waitcnt lgkmcnt(0)
	s_waitcnt_vscnt null, 0x0
	s_barrier
	buffer_gl0_inv
	s_clause 0x7
	scratch_load_b128 v[2:5], off, off offset:288
	scratch_load_b128 v[6:9], off, off offset:304
	;; [unrolled: 1-line block ×8, first 2 shown]
	ds_load_b128 v[34:37], v1 offset:832
	ds_load_b128 v[145:148], v1 offset:848
	s_clause 0x1
	scratch_load_b128 v[38:41], off, off offset:416
	scratch_load_b128 v[149:152], off, off offset:432
	s_mov_b32 s2, exec_lo
	s_waitcnt vmcnt(9) lgkmcnt(1)
	v_mul_f64 v[153:154], v[36:37], v[4:5]
	v_mul_f64 v[4:5], v[34:35], v[4:5]
	s_waitcnt vmcnt(8) lgkmcnt(0)
	v_mul_f64 v[155:156], v[145:146], v[8:9]
	v_mul_f64 v[8:9], v[147:148], v[8:9]
	s_delay_alu instid0(VALU_DEP_4) | instskip(NEXT) | instid1(VALU_DEP_4)
	v_fma_f64 v[153:154], v[34:35], v[2:3], -v[153:154]
	v_fma_f64 v[157:158], v[36:37], v[2:3], v[4:5]
	ds_load_b128 v[2:5], v1 offset:864
	scratch_load_b128 v[34:37], off, off offset:448
	v_fma_f64 v[155:156], v[147:148], v[6:7], v[155:156]
	v_fma_f64 v[161:162], v[145:146], v[6:7], -v[8:9]
	ds_load_b128 v[6:9], v1 offset:880
	scratch_load_b128 v[145:148], off, off offset:464
	s_waitcnt vmcnt(9) lgkmcnt(1)
	v_mul_f64 v[159:160], v[2:3], v[12:13]
	v_mul_f64 v[12:13], v[4:5], v[12:13]
	s_waitcnt vmcnt(8) lgkmcnt(0)
	v_mul_f64 v[163:164], v[6:7], v[16:17]
	v_mul_f64 v[16:17], v[8:9], v[16:17]
	v_add_f64 v[153:154], v[153:154], 0
	v_add_f64 v[157:158], v[157:158], 0
	v_fma_f64 v[159:160], v[4:5], v[10:11], v[159:160]
	v_fma_f64 v[165:166], v[2:3], v[10:11], -v[12:13]
	scratch_load_b128 v[10:13], off, off offset:480
	ds_load_b128 v[2:5], v1 offset:896
	v_add_f64 v[153:154], v[153:154], v[161:162]
	v_add_f64 v[155:156], v[157:158], v[155:156]
	v_fma_f64 v[161:162], v[8:9], v[14:15], v[163:164]
	v_fma_f64 v[163:164], v[6:7], v[14:15], -v[16:17]
	ds_load_b128 v[6:9], v1 offset:912
	scratch_load_b128 v[14:17], off, off offset:496
	s_waitcnt vmcnt(9) lgkmcnt(1)
	v_mul_f64 v[157:158], v[2:3], v[20:21]
	v_mul_f64 v[20:21], v[4:5], v[20:21]
	v_add_f64 v[153:154], v[153:154], v[165:166]
	v_add_f64 v[155:156], v[155:156], v[159:160]
	s_waitcnt vmcnt(8) lgkmcnt(0)
	v_mul_f64 v[159:160], v[6:7], v[24:25]
	v_mul_f64 v[24:25], v[8:9], v[24:25]
	v_fma_f64 v[157:158], v[4:5], v[18:19], v[157:158]
	v_fma_f64 v[165:166], v[2:3], v[18:19], -v[20:21]
	scratch_load_b128 v[18:21], off, off offset:512
	ds_load_b128 v[2:5], v1 offset:928
	v_add_f64 v[153:154], v[153:154], v[163:164]
	v_add_f64 v[155:156], v[155:156], v[161:162]
	v_fma_f64 v[159:160], v[8:9], v[22:23], v[159:160]
	v_fma_f64 v[163:164], v[6:7], v[22:23], -v[24:25]
	ds_load_b128 v[6:9], v1 offset:944
	s_waitcnt vmcnt(8) lgkmcnt(1)
	v_mul_f64 v[161:162], v[2:3], v[28:29]
	v_mul_f64 v[28:29], v[4:5], v[28:29]
	scratch_load_b128 v[22:25], off, off offset:528
	v_add_f64 v[153:154], v[153:154], v[165:166]
	v_add_f64 v[155:156], v[155:156], v[157:158]
	s_waitcnt vmcnt(8) lgkmcnt(0)
	v_mul_f64 v[157:158], v[6:7], v[32:33]
	v_mul_f64 v[32:33], v[8:9], v[32:33]
	v_fma_f64 v[161:162], v[4:5], v[26:27], v[161:162]
	v_fma_f64 v[26:27], v[2:3], v[26:27], -v[28:29]
	ds_load_b128 v[2:5], v1 offset:960
	v_add_f64 v[28:29], v[153:154], v[163:164]
	v_add_f64 v[153:154], v[155:156], v[159:160]
	v_fma_f64 v[157:158], v[8:9], v[30:31], v[157:158]
	v_fma_f64 v[30:31], v[6:7], v[30:31], -v[32:33]
	ds_load_b128 v[6:9], v1 offset:976
	s_waitcnt vmcnt(7) lgkmcnt(1)
	v_mul_f64 v[155:156], v[2:3], v[40:41]
	v_mul_f64 v[40:41], v[4:5], v[40:41]
	v_add_f64 v[26:27], v[28:29], v[26:27]
	v_add_f64 v[28:29], v[153:154], v[161:162]
	s_delay_alu instid0(VALU_DEP_4) | instskip(NEXT) | instid1(VALU_DEP_4)
	v_fma_f64 v[153:154], v[4:5], v[38:39], v[155:156]
	v_fma_f64 v[38:39], v[2:3], v[38:39], -v[40:41]
	ds_load_b128 v[2:5], v1 offset:992
	v_add_f64 v[30:31], v[26:27], v[30:31]
	v_add_f64 v[40:41], v[28:29], v[157:158]
	scratch_load_b128 v[26:29], off, off offset:272
	s_waitcnt vmcnt(7) lgkmcnt(1)
	v_mul_f64 v[32:33], v[6:7], v[151:152]
	v_mul_f64 v[151:152], v[8:9], v[151:152]
	v_add_f64 v[30:31], v[30:31], v[38:39]
	v_add_f64 v[38:39], v[40:41], v[153:154]
	s_delay_alu instid0(VALU_DEP_4) | instskip(NEXT) | instid1(VALU_DEP_4)
	v_fma_f64 v[32:33], v[8:9], v[149:150], v[32:33]
	v_fma_f64 v[149:150], v[6:7], v[149:150], -v[151:152]
	ds_load_b128 v[6:9], v1 offset:1008
	s_waitcnt vmcnt(6) lgkmcnt(1)
	v_mul_f64 v[155:156], v[2:3], v[36:37]
	v_mul_f64 v[36:37], v[4:5], v[36:37]
	s_waitcnt vmcnt(5) lgkmcnt(0)
	v_mul_f64 v[40:41], v[6:7], v[147:148]
	v_mul_f64 v[147:148], v[8:9], v[147:148]
	v_add_f64 v[32:33], v[38:39], v[32:33]
	v_add_f64 v[30:31], v[30:31], v[149:150]
	v_fma_f64 v[151:152], v[4:5], v[34:35], v[155:156]
	v_fma_f64 v[34:35], v[2:3], v[34:35], -v[36:37]
	ds_load_b128 v[2:5], v1 offset:1024
	v_fma_f64 v[38:39], v[8:9], v[145:146], v[40:41]
	v_fma_f64 v[40:41], v[6:7], v[145:146], -v[147:148]
	ds_load_b128 v[6:9], v1 offset:1040
	s_waitcnt vmcnt(4) lgkmcnt(1)
	v_mul_f64 v[36:37], v[2:3], v[12:13]
	v_mul_f64 v[12:13], v[4:5], v[12:13]
	v_add_f64 v[32:33], v[32:33], v[151:152]
	v_add_f64 v[30:31], v[30:31], v[34:35]
	s_waitcnt vmcnt(3) lgkmcnt(0)
	v_mul_f64 v[34:35], v[6:7], v[16:17]
	v_mul_f64 v[16:17], v[8:9], v[16:17]
	v_fma_f64 v[36:37], v[4:5], v[10:11], v[36:37]
	v_fma_f64 v[10:11], v[2:3], v[10:11], -v[12:13]
	ds_load_b128 v[2:5], v1 offset:1056
	v_add_f64 v[12:13], v[30:31], v[40:41]
	v_add_f64 v[30:31], v[32:33], v[38:39]
	v_fma_f64 v[34:35], v[8:9], v[14:15], v[34:35]
	v_fma_f64 v[14:15], v[6:7], v[14:15], -v[16:17]
	ds_load_b128 v[6:9], v1 offset:1072
	s_waitcnt vmcnt(2) lgkmcnt(1)
	v_mul_f64 v[32:33], v[2:3], v[20:21]
	v_mul_f64 v[20:21], v[4:5], v[20:21]
	s_waitcnt vmcnt(1) lgkmcnt(0)
	v_mul_f64 v[16:17], v[6:7], v[24:25]
	v_mul_f64 v[24:25], v[8:9], v[24:25]
	v_add_f64 v[10:11], v[12:13], v[10:11]
	v_add_f64 v[12:13], v[30:31], v[36:37]
	v_fma_f64 v[4:5], v[4:5], v[18:19], v[32:33]
	v_fma_f64 v[1:2], v[2:3], v[18:19], -v[20:21]
	v_fma_f64 v[8:9], v[8:9], v[22:23], v[16:17]
	v_fma_f64 v[6:7], v[6:7], v[22:23], -v[24:25]
	v_add_f64 v[10:11], v[10:11], v[14:15]
	v_add_f64 v[12:13], v[12:13], v[34:35]
	s_delay_alu instid0(VALU_DEP_2) | instskip(NEXT) | instid1(VALU_DEP_2)
	v_add_f64 v[1:2], v[10:11], v[1:2]
	v_add_f64 v[3:4], v[12:13], v[4:5]
	s_delay_alu instid0(VALU_DEP_2) | instskip(NEXT) | instid1(VALU_DEP_2)
	v_add_f64 v[1:2], v[1:2], v[6:7]
	v_add_f64 v[3:4], v[3:4], v[8:9]
	s_waitcnt vmcnt(0)
	s_delay_alu instid0(VALU_DEP_2) | instskip(NEXT) | instid1(VALU_DEP_2)
	v_add_f64 v[1:2], v[26:27], -v[1:2]
	v_add_f64 v[3:4], v[28:29], -v[3:4]
	scratch_store_b128 off, v[1:4], off offset:272
	v_cmpx_lt_u32_e32 16, v110
	s_cbranch_execz .LBB97_185
; %bb.184:
	scratch_load_b128 v[1:4], v132, off
	v_mov_b32_e32 v5, 0
	s_delay_alu instid0(VALU_DEP_1)
	v_mov_b32_e32 v6, v5
	v_mov_b32_e32 v7, v5
	;; [unrolled: 1-line block ×3, first 2 shown]
	scratch_store_b128 off, v[5:8], off offset:256
	s_waitcnt vmcnt(0)
	ds_store_b128 v144, v[1:4]
.LBB97_185:
	s_or_b32 exec_lo, exec_lo, s2
	s_waitcnt lgkmcnt(0)
	s_waitcnt_vscnt null, 0x0
	s_barrier
	buffer_gl0_inv
	s_clause 0x7
	scratch_load_b128 v[2:5], off, off offset:272
	scratch_load_b128 v[6:9], off, off offset:288
	;; [unrolled: 1-line block ×8, first 2 shown]
	v_mov_b32_e32 v1, 0
	s_clause 0x1
	scratch_load_b128 v[38:41], off, off offset:400
	scratch_load_b128 v[149:152], off, off offset:416
	s_mov_b32 s2, exec_lo
	ds_load_b128 v[34:37], v1 offset:816
	ds_load_b128 v[145:148], v1 offset:832
	s_waitcnt vmcnt(9) lgkmcnt(1)
	v_mul_f64 v[153:154], v[36:37], v[4:5]
	v_mul_f64 v[4:5], v[34:35], v[4:5]
	s_waitcnt vmcnt(8) lgkmcnt(0)
	v_mul_f64 v[155:156], v[145:146], v[8:9]
	v_mul_f64 v[8:9], v[147:148], v[8:9]
	s_delay_alu instid0(VALU_DEP_4) | instskip(NEXT) | instid1(VALU_DEP_4)
	v_fma_f64 v[153:154], v[34:35], v[2:3], -v[153:154]
	v_fma_f64 v[157:158], v[36:37], v[2:3], v[4:5]
	ds_load_b128 v[2:5], v1 offset:848
	scratch_load_b128 v[34:37], off, off offset:432
	v_fma_f64 v[155:156], v[147:148], v[6:7], v[155:156]
	v_fma_f64 v[161:162], v[145:146], v[6:7], -v[8:9]
	ds_load_b128 v[6:9], v1 offset:864
	scratch_load_b128 v[145:148], off, off offset:448
	s_waitcnt vmcnt(9) lgkmcnt(1)
	v_mul_f64 v[159:160], v[2:3], v[12:13]
	v_mul_f64 v[12:13], v[4:5], v[12:13]
	s_waitcnt vmcnt(8) lgkmcnt(0)
	v_mul_f64 v[163:164], v[6:7], v[16:17]
	v_mul_f64 v[16:17], v[8:9], v[16:17]
	v_add_f64 v[153:154], v[153:154], 0
	v_add_f64 v[157:158], v[157:158], 0
	v_fma_f64 v[159:160], v[4:5], v[10:11], v[159:160]
	v_fma_f64 v[165:166], v[2:3], v[10:11], -v[12:13]
	scratch_load_b128 v[10:13], off, off offset:464
	ds_load_b128 v[2:5], v1 offset:880
	v_add_f64 v[153:154], v[153:154], v[161:162]
	v_add_f64 v[155:156], v[157:158], v[155:156]
	v_fma_f64 v[161:162], v[8:9], v[14:15], v[163:164]
	v_fma_f64 v[163:164], v[6:7], v[14:15], -v[16:17]
	ds_load_b128 v[6:9], v1 offset:896
	scratch_load_b128 v[14:17], off, off offset:480
	s_waitcnt vmcnt(9) lgkmcnt(1)
	v_mul_f64 v[157:158], v[2:3], v[20:21]
	v_mul_f64 v[20:21], v[4:5], v[20:21]
	v_add_f64 v[153:154], v[153:154], v[165:166]
	v_add_f64 v[155:156], v[155:156], v[159:160]
	s_waitcnt vmcnt(8) lgkmcnt(0)
	v_mul_f64 v[159:160], v[6:7], v[24:25]
	v_mul_f64 v[24:25], v[8:9], v[24:25]
	v_fma_f64 v[157:158], v[4:5], v[18:19], v[157:158]
	v_fma_f64 v[165:166], v[2:3], v[18:19], -v[20:21]
	scratch_load_b128 v[18:21], off, off offset:496
	ds_load_b128 v[2:5], v1 offset:912
	v_add_f64 v[153:154], v[153:154], v[163:164]
	v_add_f64 v[155:156], v[155:156], v[161:162]
	v_fma_f64 v[159:160], v[8:9], v[22:23], v[159:160]
	v_fma_f64 v[163:164], v[6:7], v[22:23], -v[24:25]
	ds_load_b128 v[6:9], v1 offset:928
	s_waitcnt vmcnt(8) lgkmcnt(1)
	v_mul_f64 v[161:162], v[2:3], v[28:29]
	v_mul_f64 v[28:29], v[4:5], v[28:29]
	scratch_load_b128 v[22:25], off, off offset:512
	v_add_f64 v[153:154], v[153:154], v[165:166]
	v_add_f64 v[155:156], v[155:156], v[157:158]
	s_waitcnt vmcnt(8) lgkmcnt(0)
	v_mul_f64 v[157:158], v[6:7], v[32:33]
	v_mul_f64 v[32:33], v[8:9], v[32:33]
	v_fma_f64 v[161:162], v[4:5], v[26:27], v[161:162]
	v_fma_f64 v[165:166], v[2:3], v[26:27], -v[28:29]
	scratch_load_b128 v[26:29], off, off offset:528
	ds_load_b128 v[2:5], v1 offset:944
	v_add_f64 v[153:154], v[153:154], v[163:164]
	v_add_f64 v[155:156], v[155:156], v[159:160]
	v_fma_f64 v[157:158], v[8:9], v[30:31], v[157:158]
	v_fma_f64 v[30:31], v[6:7], v[30:31], -v[32:33]
	ds_load_b128 v[6:9], v1 offset:960
	s_waitcnt vmcnt(8) lgkmcnt(1)
	v_mul_f64 v[159:160], v[2:3], v[40:41]
	v_mul_f64 v[40:41], v[4:5], v[40:41]
	v_add_f64 v[32:33], v[153:154], v[165:166]
	v_add_f64 v[153:154], v[155:156], v[161:162]
	s_waitcnt vmcnt(7) lgkmcnt(0)
	v_mul_f64 v[155:156], v[6:7], v[151:152]
	v_mul_f64 v[151:152], v[8:9], v[151:152]
	v_fma_f64 v[159:160], v[4:5], v[38:39], v[159:160]
	v_fma_f64 v[38:39], v[2:3], v[38:39], -v[40:41]
	ds_load_b128 v[2:5], v1 offset:976
	v_add_f64 v[30:31], v[32:33], v[30:31]
	v_add_f64 v[32:33], v[153:154], v[157:158]
	v_fma_f64 v[153:154], v[8:9], v[149:150], v[155:156]
	v_fma_f64 v[149:150], v[6:7], v[149:150], -v[151:152]
	ds_load_b128 v[6:9], v1 offset:992
	s_waitcnt vmcnt(5) lgkmcnt(0)
	v_mul_f64 v[155:156], v[6:7], v[147:148]
	v_mul_f64 v[147:148], v[8:9], v[147:148]
	v_add_f64 v[38:39], v[30:31], v[38:39]
	v_add_f64 v[151:152], v[32:33], v[159:160]
	scratch_load_b128 v[30:33], off, off offset:256
	v_mul_f64 v[40:41], v[2:3], v[36:37]
	v_mul_f64 v[36:37], v[4:5], v[36:37]
	s_delay_alu instid0(VALU_DEP_2) | instskip(NEXT) | instid1(VALU_DEP_2)
	v_fma_f64 v[40:41], v[4:5], v[34:35], v[40:41]
	v_fma_f64 v[34:35], v[2:3], v[34:35], -v[36:37]
	v_add_f64 v[36:37], v[38:39], v[149:150]
	v_add_f64 v[38:39], v[151:152], v[153:154]
	ds_load_b128 v[2:5], v1 offset:1008
	v_fma_f64 v[151:152], v[8:9], v[145:146], v[155:156]
	v_fma_f64 v[145:146], v[6:7], v[145:146], -v[147:148]
	ds_load_b128 v[6:9], v1 offset:1024
	s_waitcnt vmcnt(5) lgkmcnt(1)
	v_mul_f64 v[149:150], v[2:3], v[12:13]
	v_mul_f64 v[12:13], v[4:5], v[12:13]
	v_add_f64 v[34:35], v[36:37], v[34:35]
	v_add_f64 v[36:37], v[38:39], v[40:41]
	s_waitcnt vmcnt(4) lgkmcnt(0)
	v_mul_f64 v[38:39], v[6:7], v[16:17]
	v_mul_f64 v[16:17], v[8:9], v[16:17]
	v_fma_f64 v[40:41], v[4:5], v[10:11], v[149:150]
	v_fma_f64 v[10:11], v[2:3], v[10:11], -v[12:13]
	ds_load_b128 v[2:5], v1 offset:1040
	v_add_f64 v[12:13], v[34:35], v[145:146]
	v_add_f64 v[34:35], v[36:37], v[151:152]
	v_fma_f64 v[38:39], v[8:9], v[14:15], v[38:39]
	v_fma_f64 v[14:15], v[6:7], v[14:15], -v[16:17]
	ds_load_b128 v[6:9], v1 offset:1056
	s_waitcnt vmcnt(3) lgkmcnt(1)
	v_mul_f64 v[36:37], v[2:3], v[20:21]
	v_mul_f64 v[20:21], v[4:5], v[20:21]
	s_waitcnt vmcnt(2) lgkmcnt(0)
	v_mul_f64 v[16:17], v[6:7], v[24:25]
	v_mul_f64 v[24:25], v[8:9], v[24:25]
	v_add_f64 v[10:11], v[12:13], v[10:11]
	v_add_f64 v[12:13], v[34:35], v[40:41]
	v_fma_f64 v[34:35], v[4:5], v[18:19], v[36:37]
	v_fma_f64 v[18:19], v[2:3], v[18:19], -v[20:21]
	ds_load_b128 v[2:5], v1 offset:1072
	v_fma_f64 v[8:9], v[8:9], v[22:23], v[16:17]
	v_fma_f64 v[6:7], v[6:7], v[22:23], -v[24:25]
	s_waitcnt vmcnt(1) lgkmcnt(0)
	v_mul_f64 v[20:21], v[4:5], v[28:29]
	v_add_f64 v[10:11], v[10:11], v[14:15]
	v_add_f64 v[12:13], v[12:13], v[38:39]
	v_mul_f64 v[14:15], v[2:3], v[28:29]
	s_delay_alu instid0(VALU_DEP_4) | instskip(NEXT) | instid1(VALU_DEP_4)
	v_fma_f64 v[2:3], v[2:3], v[26:27], -v[20:21]
	v_add_f64 v[10:11], v[10:11], v[18:19]
	s_delay_alu instid0(VALU_DEP_4) | instskip(NEXT) | instid1(VALU_DEP_4)
	v_add_f64 v[12:13], v[12:13], v[34:35]
	v_fma_f64 v[4:5], v[4:5], v[26:27], v[14:15]
	s_delay_alu instid0(VALU_DEP_3) | instskip(NEXT) | instid1(VALU_DEP_3)
	v_add_f64 v[6:7], v[10:11], v[6:7]
	v_add_f64 v[8:9], v[12:13], v[8:9]
	s_delay_alu instid0(VALU_DEP_2) | instskip(NEXT) | instid1(VALU_DEP_2)
	v_add_f64 v[2:3], v[6:7], v[2:3]
	v_add_f64 v[4:5], v[8:9], v[4:5]
	s_waitcnt vmcnt(0)
	s_delay_alu instid0(VALU_DEP_2) | instskip(NEXT) | instid1(VALU_DEP_2)
	v_add_f64 v[2:3], v[30:31], -v[2:3]
	v_add_f64 v[4:5], v[32:33], -v[4:5]
	scratch_store_b128 off, v[2:5], off offset:256
	v_cmpx_lt_u32_e32 15, v110
	s_cbranch_execz .LBB97_187
; %bb.186:
	scratch_load_b128 v[5:8], v134, off
	v_mov_b32_e32 v2, v1
	v_mov_b32_e32 v3, v1
	;; [unrolled: 1-line block ×3, first 2 shown]
	scratch_store_b128 off, v[1:4], off offset:240
	s_waitcnt vmcnt(0)
	ds_store_b128 v144, v[5:8]
.LBB97_187:
	s_or_b32 exec_lo, exec_lo, s2
	s_waitcnt lgkmcnt(0)
	s_waitcnt_vscnt null, 0x0
	s_barrier
	buffer_gl0_inv
	s_clause 0x7
	scratch_load_b128 v[2:5], off, off offset:256
	scratch_load_b128 v[6:9], off, off offset:272
	scratch_load_b128 v[10:13], off, off offset:288
	scratch_load_b128 v[14:17], off, off offset:304
	scratch_load_b128 v[18:21], off, off offset:320
	scratch_load_b128 v[22:25], off, off offset:336
	scratch_load_b128 v[26:29], off, off offset:352
	scratch_load_b128 v[30:33], off, off offset:368
	ds_load_b128 v[34:37], v1 offset:800
	ds_load_b128 v[145:148], v1 offset:816
	s_clause 0x1
	scratch_load_b128 v[38:41], off, off offset:384
	scratch_load_b128 v[149:152], off, off offset:400
	s_mov_b32 s2, exec_lo
	s_waitcnt vmcnt(9) lgkmcnt(1)
	v_mul_f64 v[153:154], v[36:37], v[4:5]
	v_mul_f64 v[4:5], v[34:35], v[4:5]
	s_waitcnt vmcnt(8) lgkmcnt(0)
	v_mul_f64 v[155:156], v[145:146], v[8:9]
	v_mul_f64 v[8:9], v[147:148], v[8:9]
	s_delay_alu instid0(VALU_DEP_4) | instskip(NEXT) | instid1(VALU_DEP_4)
	v_fma_f64 v[153:154], v[34:35], v[2:3], -v[153:154]
	v_fma_f64 v[157:158], v[36:37], v[2:3], v[4:5]
	scratch_load_b128 v[34:37], off, off offset:416
	ds_load_b128 v[2:5], v1 offset:832
	v_fma_f64 v[155:156], v[147:148], v[6:7], v[155:156]
	v_fma_f64 v[161:162], v[145:146], v[6:7], -v[8:9]
	ds_load_b128 v[6:9], v1 offset:848
	scratch_load_b128 v[145:148], off, off offset:432
	s_waitcnt vmcnt(9) lgkmcnt(1)
	v_mul_f64 v[159:160], v[2:3], v[12:13]
	v_mul_f64 v[12:13], v[4:5], v[12:13]
	s_waitcnt vmcnt(8) lgkmcnt(0)
	v_mul_f64 v[163:164], v[6:7], v[16:17]
	v_mul_f64 v[16:17], v[8:9], v[16:17]
	v_add_f64 v[153:154], v[153:154], 0
	v_add_f64 v[157:158], v[157:158], 0
	v_fma_f64 v[159:160], v[4:5], v[10:11], v[159:160]
	v_fma_f64 v[165:166], v[2:3], v[10:11], -v[12:13]
	scratch_load_b128 v[10:13], off, off offset:448
	ds_load_b128 v[2:5], v1 offset:864
	v_add_f64 v[153:154], v[153:154], v[161:162]
	v_add_f64 v[155:156], v[157:158], v[155:156]
	v_fma_f64 v[161:162], v[8:9], v[14:15], v[163:164]
	v_fma_f64 v[163:164], v[6:7], v[14:15], -v[16:17]
	ds_load_b128 v[6:9], v1 offset:880
	scratch_load_b128 v[14:17], off, off offset:464
	s_waitcnt vmcnt(9) lgkmcnt(1)
	v_mul_f64 v[157:158], v[2:3], v[20:21]
	v_mul_f64 v[20:21], v[4:5], v[20:21]
	v_add_f64 v[153:154], v[153:154], v[165:166]
	v_add_f64 v[155:156], v[155:156], v[159:160]
	s_waitcnt vmcnt(8) lgkmcnt(0)
	v_mul_f64 v[159:160], v[6:7], v[24:25]
	v_mul_f64 v[24:25], v[8:9], v[24:25]
	v_fma_f64 v[157:158], v[4:5], v[18:19], v[157:158]
	v_fma_f64 v[165:166], v[2:3], v[18:19], -v[20:21]
	scratch_load_b128 v[18:21], off, off offset:480
	ds_load_b128 v[2:5], v1 offset:896
	v_add_f64 v[153:154], v[153:154], v[163:164]
	v_add_f64 v[155:156], v[155:156], v[161:162]
	v_fma_f64 v[159:160], v[8:9], v[22:23], v[159:160]
	v_fma_f64 v[163:164], v[6:7], v[22:23], -v[24:25]
	ds_load_b128 v[6:9], v1 offset:912
	s_waitcnt vmcnt(8) lgkmcnt(1)
	v_mul_f64 v[161:162], v[2:3], v[28:29]
	v_mul_f64 v[28:29], v[4:5], v[28:29]
	scratch_load_b128 v[22:25], off, off offset:496
	v_add_f64 v[153:154], v[153:154], v[165:166]
	v_add_f64 v[155:156], v[155:156], v[157:158]
	s_waitcnt vmcnt(8) lgkmcnt(0)
	v_mul_f64 v[157:158], v[6:7], v[32:33]
	v_mul_f64 v[32:33], v[8:9], v[32:33]
	v_fma_f64 v[161:162], v[4:5], v[26:27], v[161:162]
	v_fma_f64 v[165:166], v[2:3], v[26:27], -v[28:29]
	scratch_load_b128 v[26:29], off, off offset:512
	ds_load_b128 v[2:5], v1 offset:928
	v_add_f64 v[153:154], v[153:154], v[163:164]
	v_add_f64 v[155:156], v[155:156], v[159:160]
	v_fma_f64 v[157:158], v[8:9], v[30:31], v[157:158]
	v_fma_f64 v[163:164], v[6:7], v[30:31], -v[32:33]
	ds_load_b128 v[6:9], v1 offset:944
	s_waitcnt vmcnt(8) lgkmcnt(1)
	v_mul_f64 v[159:160], v[2:3], v[40:41]
	v_mul_f64 v[40:41], v[4:5], v[40:41]
	scratch_load_b128 v[30:33], off, off offset:528
	v_add_f64 v[153:154], v[153:154], v[165:166]
	v_add_f64 v[155:156], v[155:156], v[161:162]
	v_fma_f64 v[159:160], v[4:5], v[38:39], v[159:160]
	v_fma_f64 v[38:39], v[2:3], v[38:39], -v[40:41]
	ds_load_b128 v[2:5], v1 offset:960
	v_add_f64 v[40:41], v[153:154], v[163:164]
	v_add_f64 v[153:154], v[155:156], v[157:158]
	s_waitcnt vmcnt(7) lgkmcnt(0)
	v_mul_f64 v[155:156], v[2:3], v[36:37]
	v_mul_f64 v[36:37], v[4:5], v[36:37]
	s_delay_alu instid0(VALU_DEP_4) | instskip(NEXT) | instid1(VALU_DEP_4)
	v_add_f64 v[38:39], v[40:41], v[38:39]
	v_add_f64 v[40:41], v[153:154], v[159:160]
	s_delay_alu instid0(VALU_DEP_4) | instskip(NEXT) | instid1(VALU_DEP_4)
	v_fma_f64 v[153:154], v[4:5], v[34:35], v[155:156]
	v_fma_f64 v[155:156], v[2:3], v[34:35], -v[36:37]
	scratch_load_b128 v[34:37], off, off offset:240
	v_mul_f64 v[161:162], v[6:7], v[151:152]
	v_mul_f64 v[151:152], v[8:9], v[151:152]
	ds_load_b128 v[2:5], v1 offset:992
	v_fma_f64 v[157:158], v[8:9], v[149:150], v[161:162]
	v_fma_f64 v[149:150], v[6:7], v[149:150], -v[151:152]
	ds_load_b128 v[6:9], v1 offset:976
	s_waitcnt vmcnt(7) lgkmcnt(0)
	v_mul_f64 v[151:152], v[6:7], v[147:148]
	v_mul_f64 v[147:148], v[8:9], v[147:148]
	v_add_f64 v[40:41], v[40:41], v[157:158]
	v_add_f64 v[38:39], v[38:39], v[149:150]
	s_waitcnt vmcnt(6)
	v_mul_f64 v[149:150], v[2:3], v[12:13]
	v_mul_f64 v[12:13], v[4:5], v[12:13]
	v_fma_f64 v[151:152], v[8:9], v[145:146], v[151:152]
	v_fma_f64 v[145:146], v[6:7], v[145:146], -v[147:148]
	ds_load_b128 v[6:9], v1 offset:1008
	v_add_f64 v[40:41], v[40:41], v[153:154]
	v_add_f64 v[38:39], v[38:39], v[155:156]
	v_fma_f64 v[149:150], v[4:5], v[10:11], v[149:150]
	v_fma_f64 v[10:11], v[2:3], v[10:11], -v[12:13]
	ds_load_b128 v[2:5], v1 offset:1024
	s_waitcnt vmcnt(5) lgkmcnt(1)
	v_mul_f64 v[147:148], v[6:7], v[16:17]
	v_mul_f64 v[16:17], v[8:9], v[16:17]
	v_add_f64 v[12:13], v[38:39], v[145:146]
	v_add_f64 v[38:39], v[40:41], v[151:152]
	s_waitcnt vmcnt(4) lgkmcnt(0)
	v_mul_f64 v[40:41], v[2:3], v[20:21]
	v_mul_f64 v[20:21], v[4:5], v[20:21]
	v_fma_f64 v[145:146], v[8:9], v[14:15], v[147:148]
	v_fma_f64 v[14:15], v[6:7], v[14:15], -v[16:17]
	ds_load_b128 v[6:9], v1 offset:1040
	v_add_f64 v[10:11], v[12:13], v[10:11]
	v_add_f64 v[12:13], v[38:39], v[149:150]
	v_fma_f64 v[38:39], v[4:5], v[18:19], v[40:41]
	v_fma_f64 v[18:19], v[2:3], v[18:19], -v[20:21]
	ds_load_b128 v[2:5], v1 offset:1056
	s_waitcnt vmcnt(3) lgkmcnt(1)
	v_mul_f64 v[16:17], v[6:7], v[24:25]
	v_mul_f64 v[24:25], v[8:9], v[24:25]
	s_waitcnt vmcnt(2) lgkmcnt(0)
	v_mul_f64 v[20:21], v[4:5], v[28:29]
	v_add_f64 v[10:11], v[10:11], v[14:15]
	v_add_f64 v[12:13], v[12:13], v[145:146]
	v_mul_f64 v[14:15], v[2:3], v[28:29]
	v_fma_f64 v[16:17], v[8:9], v[22:23], v[16:17]
	v_fma_f64 v[22:23], v[6:7], v[22:23], -v[24:25]
	ds_load_b128 v[6:9], v1 offset:1072
	v_fma_f64 v[1:2], v[2:3], v[26:27], -v[20:21]
	s_waitcnt vmcnt(1) lgkmcnt(0)
	v_mul_f64 v[24:25], v[8:9], v[32:33]
	v_add_f64 v[10:11], v[10:11], v[18:19]
	v_add_f64 v[12:13], v[12:13], v[38:39]
	v_mul_f64 v[18:19], v[6:7], v[32:33]
	v_fma_f64 v[4:5], v[4:5], v[26:27], v[14:15]
	v_fma_f64 v[6:7], v[6:7], v[30:31], -v[24:25]
	v_add_f64 v[10:11], v[10:11], v[22:23]
	v_add_f64 v[12:13], v[12:13], v[16:17]
	v_fma_f64 v[8:9], v[8:9], v[30:31], v[18:19]
	s_delay_alu instid0(VALU_DEP_3) | instskip(NEXT) | instid1(VALU_DEP_3)
	v_add_f64 v[1:2], v[10:11], v[1:2]
	v_add_f64 v[3:4], v[12:13], v[4:5]
	s_delay_alu instid0(VALU_DEP_2) | instskip(NEXT) | instid1(VALU_DEP_2)
	v_add_f64 v[1:2], v[1:2], v[6:7]
	v_add_f64 v[3:4], v[3:4], v[8:9]
	s_waitcnt vmcnt(0)
	s_delay_alu instid0(VALU_DEP_2) | instskip(NEXT) | instid1(VALU_DEP_2)
	v_add_f64 v[1:2], v[34:35], -v[1:2]
	v_add_f64 v[3:4], v[36:37], -v[3:4]
	scratch_store_b128 off, v[1:4], off offset:240
	v_cmpx_lt_u32_e32 14, v110
	s_cbranch_execz .LBB97_189
; %bb.188:
	scratch_load_b128 v[1:4], v133, off
	v_mov_b32_e32 v5, 0
	s_delay_alu instid0(VALU_DEP_1)
	v_mov_b32_e32 v6, v5
	v_mov_b32_e32 v7, v5
	;; [unrolled: 1-line block ×3, first 2 shown]
	scratch_store_b128 off, v[5:8], off offset:224
	s_waitcnt vmcnt(0)
	ds_store_b128 v144, v[1:4]
.LBB97_189:
	s_or_b32 exec_lo, exec_lo, s2
	s_waitcnt lgkmcnt(0)
	s_waitcnt_vscnt null, 0x0
	s_barrier
	buffer_gl0_inv
	s_clause 0x7
	scratch_load_b128 v[2:5], off, off offset:240
	scratch_load_b128 v[6:9], off, off offset:256
	;; [unrolled: 1-line block ×8, first 2 shown]
	v_mov_b32_e32 v1, 0
	s_clause 0x1
	scratch_load_b128 v[38:41], off, off offset:368
	scratch_load_b128 v[149:152], off, off offset:384
	s_mov_b32 s2, exec_lo
	ds_load_b128 v[34:37], v1 offset:784
	ds_load_b128 v[145:148], v1 offset:800
	s_waitcnt vmcnt(9) lgkmcnt(1)
	v_mul_f64 v[153:154], v[36:37], v[4:5]
	v_mul_f64 v[4:5], v[34:35], v[4:5]
	s_waitcnt vmcnt(8) lgkmcnt(0)
	v_mul_f64 v[155:156], v[145:146], v[8:9]
	v_mul_f64 v[8:9], v[147:148], v[8:9]
	s_delay_alu instid0(VALU_DEP_4) | instskip(NEXT) | instid1(VALU_DEP_4)
	v_fma_f64 v[153:154], v[34:35], v[2:3], -v[153:154]
	v_fma_f64 v[157:158], v[36:37], v[2:3], v[4:5]
	ds_load_b128 v[2:5], v1 offset:816
	scratch_load_b128 v[34:37], off, off offset:400
	v_fma_f64 v[155:156], v[147:148], v[6:7], v[155:156]
	v_fma_f64 v[161:162], v[145:146], v[6:7], -v[8:9]
	scratch_load_b128 v[145:148], off, off offset:416
	ds_load_b128 v[6:9], v1 offset:832
	s_waitcnt vmcnt(9) lgkmcnt(1)
	v_mul_f64 v[159:160], v[2:3], v[12:13]
	v_mul_f64 v[12:13], v[4:5], v[12:13]
	s_waitcnt vmcnt(8) lgkmcnt(0)
	v_mul_f64 v[163:164], v[6:7], v[16:17]
	v_mul_f64 v[16:17], v[8:9], v[16:17]
	v_add_f64 v[153:154], v[153:154], 0
	v_add_f64 v[157:158], v[157:158], 0
	v_fma_f64 v[159:160], v[4:5], v[10:11], v[159:160]
	v_fma_f64 v[165:166], v[2:3], v[10:11], -v[12:13]
	ds_load_b128 v[2:5], v1 offset:848
	scratch_load_b128 v[10:13], off, off offset:432
	v_add_f64 v[153:154], v[153:154], v[161:162]
	v_add_f64 v[155:156], v[157:158], v[155:156]
	v_fma_f64 v[161:162], v[8:9], v[14:15], v[163:164]
	v_fma_f64 v[163:164], v[6:7], v[14:15], -v[16:17]
	ds_load_b128 v[6:9], v1 offset:864
	scratch_load_b128 v[14:17], off, off offset:448
	s_waitcnt vmcnt(9) lgkmcnt(1)
	v_mul_f64 v[157:158], v[2:3], v[20:21]
	v_mul_f64 v[20:21], v[4:5], v[20:21]
	v_add_f64 v[153:154], v[153:154], v[165:166]
	v_add_f64 v[155:156], v[155:156], v[159:160]
	s_waitcnt vmcnt(8) lgkmcnt(0)
	v_mul_f64 v[159:160], v[6:7], v[24:25]
	v_mul_f64 v[24:25], v[8:9], v[24:25]
	v_fma_f64 v[157:158], v[4:5], v[18:19], v[157:158]
	v_fma_f64 v[165:166], v[2:3], v[18:19], -v[20:21]
	scratch_load_b128 v[18:21], off, off offset:464
	ds_load_b128 v[2:5], v1 offset:880
	v_add_f64 v[153:154], v[153:154], v[163:164]
	v_add_f64 v[155:156], v[155:156], v[161:162]
	v_fma_f64 v[159:160], v[8:9], v[22:23], v[159:160]
	v_fma_f64 v[163:164], v[6:7], v[22:23], -v[24:25]
	ds_load_b128 v[6:9], v1 offset:896
	s_waitcnt vmcnt(8) lgkmcnt(1)
	v_mul_f64 v[161:162], v[2:3], v[28:29]
	v_mul_f64 v[28:29], v[4:5], v[28:29]
	scratch_load_b128 v[22:25], off, off offset:480
	v_add_f64 v[153:154], v[153:154], v[165:166]
	v_add_f64 v[155:156], v[155:156], v[157:158]
	s_waitcnt vmcnt(8) lgkmcnt(0)
	v_mul_f64 v[157:158], v[6:7], v[32:33]
	v_mul_f64 v[32:33], v[8:9], v[32:33]
	v_fma_f64 v[161:162], v[4:5], v[26:27], v[161:162]
	v_fma_f64 v[165:166], v[2:3], v[26:27], -v[28:29]
	scratch_load_b128 v[26:29], off, off offset:496
	ds_load_b128 v[2:5], v1 offset:912
	v_add_f64 v[153:154], v[153:154], v[163:164]
	v_add_f64 v[155:156], v[155:156], v[159:160]
	v_fma_f64 v[157:158], v[8:9], v[30:31], v[157:158]
	v_fma_f64 v[163:164], v[6:7], v[30:31], -v[32:33]
	ds_load_b128 v[6:9], v1 offset:928
	s_waitcnt vmcnt(8) lgkmcnt(1)
	v_mul_f64 v[159:160], v[2:3], v[40:41]
	v_mul_f64 v[40:41], v[4:5], v[40:41]
	scratch_load_b128 v[30:33], off, off offset:512
	v_add_f64 v[153:154], v[153:154], v[165:166]
	v_add_f64 v[155:156], v[155:156], v[161:162]
	s_waitcnt vmcnt(8) lgkmcnt(0)
	v_mul_f64 v[161:162], v[6:7], v[151:152]
	v_mul_f64 v[151:152], v[8:9], v[151:152]
	v_fma_f64 v[159:160], v[4:5], v[38:39], v[159:160]
	v_fma_f64 v[165:166], v[2:3], v[38:39], -v[40:41]
	scratch_load_b128 v[38:41], off, off offset:528
	ds_load_b128 v[2:5], v1 offset:944
	v_add_f64 v[153:154], v[153:154], v[163:164]
	v_add_f64 v[155:156], v[155:156], v[157:158]
	v_fma_f64 v[161:162], v[8:9], v[149:150], v[161:162]
	v_fma_f64 v[149:150], v[6:7], v[149:150], -v[151:152]
	ds_load_b128 v[6:9], v1 offset:960
	s_waitcnt vmcnt(8) lgkmcnt(1)
	v_mul_f64 v[157:158], v[2:3], v[36:37]
	v_mul_f64 v[36:37], v[4:5], v[36:37]
	v_add_f64 v[151:152], v[153:154], v[165:166]
	v_add_f64 v[153:154], v[155:156], v[159:160]
	s_waitcnt vmcnt(7) lgkmcnt(0)
	v_mul_f64 v[155:156], v[6:7], v[147:148]
	v_mul_f64 v[147:148], v[8:9], v[147:148]
	v_fma_f64 v[157:158], v[4:5], v[34:35], v[157:158]
	v_fma_f64 v[34:35], v[2:3], v[34:35], -v[36:37]
	ds_load_b128 v[2:5], v1 offset:976
	v_add_f64 v[36:37], v[151:152], v[149:150]
	v_add_f64 v[149:150], v[153:154], v[161:162]
	v_fma_f64 v[153:154], v[8:9], v[145:146], v[155:156]
	v_fma_f64 v[145:146], v[6:7], v[145:146], -v[147:148]
	ds_load_b128 v[6:9], v1 offset:992
	s_waitcnt vmcnt(5) lgkmcnt(0)
	v_mul_f64 v[155:156], v[6:7], v[16:17]
	v_mul_f64 v[16:17], v[8:9], v[16:17]
	v_add_f64 v[147:148], v[36:37], v[34:35]
	v_add_f64 v[149:150], v[149:150], v[157:158]
	scratch_load_b128 v[34:37], off, off offset:224
	v_mul_f64 v[151:152], v[2:3], v[12:13]
	v_mul_f64 v[12:13], v[4:5], v[12:13]
	s_delay_alu instid0(VALU_DEP_2) | instskip(NEXT) | instid1(VALU_DEP_2)
	v_fma_f64 v[151:152], v[4:5], v[10:11], v[151:152]
	v_fma_f64 v[10:11], v[2:3], v[10:11], -v[12:13]
	v_add_f64 v[12:13], v[147:148], v[145:146]
	v_add_f64 v[145:146], v[149:150], v[153:154]
	ds_load_b128 v[2:5], v1 offset:1008
	v_fma_f64 v[149:150], v[8:9], v[14:15], v[155:156]
	v_fma_f64 v[14:15], v[6:7], v[14:15], -v[16:17]
	ds_load_b128 v[6:9], v1 offset:1024
	s_waitcnt vmcnt(5) lgkmcnt(1)
	v_mul_f64 v[147:148], v[2:3], v[20:21]
	v_mul_f64 v[20:21], v[4:5], v[20:21]
	s_waitcnt vmcnt(4) lgkmcnt(0)
	v_mul_f64 v[16:17], v[6:7], v[24:25]
	v_mul_f64 v[24:25], v[8:9], v[24:25]
	v_add_f64 v[10:11], v[12:13], v[10:11]
	v_add_f64 v[12:13], v[145:146], v[151:152]
	v_fma_f64 v[145:146], v[4:5], v[18:19], v[147:148]
	v_fma_f64 v[18:19], v[2:3], v[18:19], -v[20:21]
	ds_load_b128 v[2:5], v1 offset:1040
	v_fma_f64 v[16:17], v[8:9], v[22:23], v[16:17]
	v_fma_f64 v[22:23], v[6:7], v[22:23], -v[24:25]
	ds_load_b128 v[6:9], v1 offset:1056
	v_add_f64 v[10:11], v[10:11], v[14:15]
	v_add_f64 v[12:13], v[12:13], v[149:150]
	s_waitcnt vmcnt(3) lgkmcnt(1)
	v_mul_f64 v[14:15], v[2:3], v[28:29]
	v_mul_f64 v[20:21], v[4:5], v[28:29]
	s_waitcnt vmcnt(2) lgkmcnt(0)
	v_mul_f64 v[24:25], v[8:9], v[32:33]
	v_add_f64 v[10:11], v[10:11], v[18:19]
	v_add_f64 v[12:13], v[12:13], v[145:146]
	v_mul_f64 v[18:19], v[6:7], v[32:33]
	v_fma_f64 v[14:15], v[4:5], v[26:27], v[14:15]
	v_fma_f64 v[20:21], v[2:3], v[26:27], -v[20:21]
	ds_load_b128 v[2:5], v1 offset:1072
	v_fma_f64 v[6:7], v[6:7], v[30:31], -v[24:25]
	v_add_f64 v[10:11], v[10:11], v[22:23]
	v_add_f64 v[12:13], v[12:13], v[16:17]
	s_waitcnt vmcnt(1) lgkmcnt(0)
	v_mul_f64 v[16:17], v[2:3], v[40:41]
	v_mul_f64 v[22:23], v[4:5], v[40:41]
	v_fma_f64 v[8:9], v[8:9], v[30:31], v[18:19]
	v_add_f64 v[10:11], v[10:11], v[20:21]
	v_add_f64 v[12:13], v[12:13], v[14:15]
	v_fma_f64 v[4:5], v[4:5], v[38:39], v[16:17]
	v_fma_f64 v[2:3], v[2:3], v[38:39], -v[22:23]
	s_delay_alu instid0(VALU_DEP_4) | instskip(NEXT) | instid1(VALU_DEP_4)
	v_add_f64 v[6:7], v[10:11], v[6:7]
	v_add_f64 v[8:9], v[12:13], v[8:9]
	s_delay_alu instid0(VALU_DEP_2) | instskip(NEXT) | instid1(VALU_DEP_2)
	v_add_f64 v[2:3], v[6:7], v[2:3]
	v_add_f64 v[4:5], v[8:9], v[4:5]
	s_waitcnt vmcnt(0)
	s_delay_alu instid0(VALU_DEP_2) | instskip(NEXT) | instid1(VALU_DEP_2)
	v_add_f64 v[2:3], v[34:35], -v[2:3]
	v_add_f64 v[4:5], v[36:37], -v[4:5]
	scratch_store_b128 off, v[2:5], off offset:224
	v_cmpx_lt_u32_e32 13, v110
	s_cbranch_execz .LBB97_191
; %bb.190:
	scratch_load_b128 v[5:8], v135, off
	v_mov_b32_e32 v2, v1
	v_mov_b32_e32 v3, v1
	v_mov_b32_e32 v4, v1
	scratch_store_b128 off, v[1:4], off offset:208
	s_waitcnt vmcnt(0)
	ds_store_b128 v144, v[5:8]
.LBB97_191:
	s_or_b32 exec_lo, exec_lo, s2
	s_waitcnt lgkmcnt(0)
	s_waitcnt_vscnt null, 0x0
	s_barrier
	buffer_gl0_inv
	s_clause 0x7
	scratch_load_b128 v[2:5], off, off offset:224
	scratch_load_b128 v[6:9], off, off offset:240
	scratch_load_b128 v[10:13], off, off offset:256
	scratch_load_b128 v[14:17], off, off offset:272
	scratch_load_b128 v[18:21], off, off offset:288
	scratch_load_b128 v[22:25], off, off offset:304
	scratch_load_b128 v[26:29], off, off offset:320
	scratch_load_b128 v[30:33], off, off offset:336
	ds_load_b128 v[34:37], v1 offset:768
	ds_load_b128 v[145:148], v1 offset:784
	s_clause 0x1
	scratch_load_b128 v[38:41], off, off offset:352
	scratch_load_b128 v[149:152], off, off offset:368
	s_mov_b32 s2, exec_lo
	s_waitcnt vmcnt(9) lgkmcnt(1)
	v_mul_f64 v[153:154], v[36:37], v[4:5]
	v_mul_f64 v[4:5], v[34:35], v[4:5]
	s_waitcnt vmcnt(8) lgkmcnt(0)
	v_mul_f64 v[155:156], v[145:146], v[8:9]
	v_mul_f64 v[8:9], v[147:148], v[8:9]
	s_delay_alu instid0(VALU_DEP_4) | instskip(NEXT) | instid1(VALU_DEP_4)
	v_fma_f64 v[153:154], v[34:35], v[2:3], -v[153:154]
	v_fma_f64 v[157:158], v[36:37], v[2:3], v[4:5]
	ds_load_b128 v[2:5], v1 offset:800
	scratch_load_b128 v[34:37], off, off offset:384
	v_fma_f64 v[155:156], v[147:148], v[6:7], v[155:156]
	v_fma_f64 v[161:162], v[145:146], v[6:7], -v[8:9]
	ds_load_b128 v[6:9], v1 offset:816
	scratch_load_b128 v[145:148], off, off offset:400
	s_waitcnt vmcnt(9) lgkmcnt(1)
	v_mul_f64 v[159:160], v[2:3], v[12:13]
	v_mul_f64 v[12:13], v[4:5], v[12:13]
	s_waitcnt vmcnt(8) lgkmcnt(0)
	v_mul_f64 v[163:164], v[6:7], v[16:17]
	v_mul_f64 v[16:17], v[8:9], v[16:17]
	v_add_f64 v[153:154], v[153:154], 0
	v_add_f64 v[157:158], v[157:158], 0
	v_fma_f64 v[159:160], v[4:5], v[10:11], v[159:160]
	v_fma_f64 v[165:166], v[2:3], v[10:11], -v[12:13]
	scratch_load_b128 v[10:13], off, off offset:416
	ds_load_b128 v[2:5], v1 offset:832
	v_add_f64 v[153:154], v[153:154], v[161:162]
	v_add_f64 v[155:156], v[157:158], v[155:156]
	v_fma_f64 v[161:162], v[8:9], v[14:15], v[163:164]
	v_fma_f64 v[163:164], v[6:7], v[14:15], -v[16:17]
	ds_load_b128 v[6:9], v1 offset:848
	scratch_load_b128 v[14:17], off, off offset:432
	s_waitcnt vmcnt(9) lgkmcnt(1)
	v_mul_f64 v[157:158], v[2:3], v[20:21]
	v_mul_f64 v[20:21], v[4:5], v[20:21]
	v_add_f64 v[153:154], v[153:154], v[165:166]
	v_add_f64 v[155:156], v[155:156], v[159:160]
	s_waitcnt vmcnt(8) lgkmcnt(0)
	v_mul_f64 v[159:160], v[6:7], v[24:25]
	v_mul_f64 v[24:25], v[8:9], v[24:25]
	v_fma_f64 v[157:158], v[4:5], v[18:19], v[157:158]
	v_fma_f64 v[165:166], v[2:3], v[18:19], -v[20:21]
	scratch_load_b128 v[18:21], off, off offset:448
	ds_load_b128 v[2:5], v1 offset:864
	v_add_f64 v[153:154], v[153:154], v[163:164]
	v_add_f64 v[155:156], v[155:156], v[161:162]
	v_fma_f64 v[159:160], v[8:9], v[22:23], v[159:160]
	v_fma_f64 v[163:164], v[6:7], v[22:23], -v[24:25]
	ds_load_b128 v[6:9], v1 offset:880
	s_waitcnt vmcnt(8) lgkmcnt(1)
	v_mul_f64 v[161:162], v[2:3], v[28:29]
	v_mul_f64 v[28:29], v[4:5], v[28:29]
	scratch_load_b128 v[22:25], off, off offset:464
	v_add_f64 v[153:154], v[153:154], v[165:166]
	v_add_f64 v[155:156], v[155:156], v[157:158]
	s_waitcnt vmcnt(8) lgkmcnt(0)
	v_mul_f64 v[157:158], v[6:7], v[32:33]
	v_mul_f64 v[32:33], v[8:9], v[32:33]
	v_fma_f64 v[161:162], v[4:5], v[26:27], v[161:162]
	v_fma_f64 v[165:166], v[2:3], v[26:27], -v[28:29]
	scratch_load_b128 v[26:29], off, off offset:480
	ds_load_b128 v[2:5], v1 offset:896
	v_add_f64 v[153:154], v[153:154], v[163:164]
	v_add_f64 v[155:156], v[155:156], v[159:160]
	v_fma_f64 v[157:158], v[8:9], v[30:31], v[157:158]
	v_fma_f64 v[163:164], v[6:7], v[30:31], -v[32:33]
	ds_load_b128 v[6:9], v1 offset:912
	s_waitcnt vmcnt(8) lgkmcnt(1)
	v_mul_f64 v[159:160], v[2:3], v[40:41]
	v_mul_f64 v[40:41], v[4:5], v[40:41]
	scratch_load_b128 v[30:33], off, off offset:496
	v_add_f64 v[153:154], v[153:154], v[165:166]
	v_add_f64 v[155:156], v[155:156], v[161:162]
	s_waitcnt vmcnt(8) lgkmcnt(0)
	v_mul_f64 v[161:162], v[6:7], v[151:152]
	v_mul_f64 v[151:152], v[8:9], v[151:152]
	v_fma_f64 v[159:160], v[4:5], v[38:39], v[159:160]
	v_fma_f64 v[165:166], v[2:3], v[38:39], -v[40:41]
	scratch_load_b128 v[38:41], off, off offset:512
	ds_load_b128 v[2:5], v1 offset:928
	v_add_f64 v[153:154], v[153:154], v[163:164]
	v_add_f64 v[155:156], v[155:156], v[157:158]
	v_fma_f64 v[161:162], v[8:9], v[149:150], v[161:162]
	v_fma_f64 v[163:164], v[6:7], v[149:150], -v[151:152]
	ds_load_b128 v[6:9], v1 offset:944
	scratch_load_b128 v[149:152], off, off offset:528
	s_waitcnt vmcnt(9) lgkmcnt(1)
	v_mul_f64 v[157:158], v[2:3], v[36:37]
	v_mul_f64 v[36:37], v[4:5], v[36:37]
	v_add_f64 v[153:154], v[153:154], v[165:166]
	v_add_f64 v[155:156], v[155:156], v[159:160]
	s_delay_alu instid0(VALU_DEP_4) | instskip(NEXT) | instid1(VALU_DEP_4)
	v_fma_f64 v[157:158], v[4:5], v[34:35], v[157:158]
	v_fma_f64 v[34:35], v[2:3], v[34:35], -v[36:37]
	ds_load_b128 v[2:5], v1 offset:960
	v_add_f64 v[36:37], v[153:154], v[163:164]
	v_add_f64 v[153:154], v[155:156], v[161:162]
	s_waitcnt vmcnt(7) lgkmcnt(0)
	v_mul_f64 v[155:156], v[2:3], v[12:13]
	v_mul_f64 v[12:13], v[4:5], v[12:13]
	s_delay_alu instid0(VALU_DEP_4) | instskip(NEXT) | instid1(VALU_DEP_4)
	v_add_f64 v[34:35], v[36:37], v[34:35]
	v_add_f64 v[36:37], v[153:154], v[157:158]
	s_delay_alu instid0(VALU_DEP_4) | instskip(NEXT) | instid1(VALU_DEP_4)
	v_fma_f64 v[153:154], v[4:5], v[10:11], v[155:156]
	v_fma_f64 v[155:156], v[2:3], v[10:11], -v[12:13]
	scratch_load_b128 v[10:13], off, off offset:208
	v_mul_f64 v[159:160], v[6:7], v[147:148]
	v_mul_f64 v[147:148], v[8:9], v[147:148]
	ds_load_b128 v[2:5], v1 offset:992
	v_fma_f64 v[159:160], v[8:9], v[145:146], v[159:160]
	v_fma_f64 v[145:146], v[6:7], v[145:146], -v[147:148]
	ds_load_b128 v[6:9], v1 offset:976
	s_waitcnt vmcnt(7) lgkmcnt(0)
	v_mul_f64 v[147:148], v[6:7], v[16:17]
	v_mul_f64 v[16:17], v[8:9], v[16:17]
	v_add_f64 v[36:37], v[36:37], v[159:160]
	v_add_f64 v[34:35], v[34:35], v[145:146]
	s_waitcnt vmcnt(6)
	v_mul_f64 v[145:146], v[2:3], v[20:21]
	v_mul_f64 v[20:21], v[4:5], v[20:21]
	v_fma_f64 v[147:148], v[8:9], v[14:15], v[147:148]
	v_fma_f64 v[14:15], v[6:7], v[14:15], -v[16:17]
	ds_load_b128 v[6:9], v1 offset:1008
	v_add_f64 v[16:17], v[34:35], v[155:156]
	v_add_f64 v[34:35], v[36:37], v[153:154]
	v_fma_f64 v[145:146], v[4:5], v[18:19], v[145:146]
	v_fma_f64 v[18:19], v[2:3], v[18:19], -v[20:21]
	ds_load_b128 v[2:5], v1 offset:1024
	s_waitcnt vmcnt(5) lgkmcnt(1)
	v_mul_f64 v[36:37], v[6:7], v[24:25]
	v_mul_f64 v[24:25], v[8:9], v[24:25]
	s_waitcnt vmcnt(4) lgkmcnt(0)
	v_mul_f64 v[20:21], v[2:3], v[28:29]
	v_mul_f64 v[28:29], v[4:5], v[28:29]
	v_add_f64 v[14:15], v[16:17], v[14:15]
	v_add_f64 v[16:17], v[34:35], v[147:148]
	v_fma_f64 v[34:35], v[8:9], v[22:23], v[36:37]
	v_fma_f64 v[22:23], v[6:7], v[22:23], -v[24:25]
	ds_load_b128 v[6:9], v1 offset:1040
	v_fma_f64 v[20:21], v[4:5], v[26:27], v[20:21]
	v_fma_f64 v[26:27], v[2:3], v[26:27], -v[28:29]
	ds_load_b128 v[2:5], v1 offset:1056
	s_waitcnt vmcnt(3) lgkmcnt(1)
	v_mul_f64 v[24:25], v[8:9], v[32:33]
	v_add_f64 v[14:15], v[14:15], v[18:19]
	v_add_f64 v[16:17], v[16:17], v[145:146]
	v_mul_f64 v[18:19], v[6:7], v[32:33]
	s_waitcnt vmcnt(2) lgkmcnt(0)
	v_mul_f64 v[28:29], v[4:5], v[40:41]
	v_fma_f64 v[24:25], v[6:7], v[30:31], -v[24:25]
	v_add_f64 v[14:15], v[14:15], v[22:23]
	v_add_f64 v[16:17], v[16:17], v[34:35]
	v_mul_f64 v[22:23], v[2:3], v[40:41]
	v_fma_f64 v[18:19], v[8:9], v[30:31], v[18:19]
	ds_load_b128 v[6:9], v1 offset:1072
	v_fma_f64 v[1:2], v[2:3], v[38:39], -v[28:29]
	v_add_f64 v[14:15], v[14:15], v[26:27]
	v_add_f64 v[16:17], v[16:17], v[20:21]
	s_waitcnt vmcnt(1) lgkmcnt(0)
	v_mul_f64 v[20:21], v[6:7], v[151:152]
	v_mul_f64 v[26:27], v[8:9], v[151:152]
	v_fma_f64 v[4:5], v[4:5], v[38:39], v[22:23]
	v_add_f64 v[14:15], v[14:15], v[24:25]
	v_add_f64 v[16:17], v[16:17], v[18:19]
	v_fma_f64 v[8:9], v[8:9], v[149:150], v[20:21]
	v_fma_f64 v[6:7], v[6:7], v[149:150], -v[26:27]
	s_delay_alu instid0(VALU_DEP_4) | instskip(NEXT) | instid1(VALU_DEP_4)
	v_add_f64 v[1:2], v[14:15], v[1:2]
	v_add_f64 v[3:4], v[16:17], v[4:5]
	s_delay_alu instid0(VALU_DEP_2) | instskip(NEXT) | instid1(VALU_DEP_2)
	v_add_f64 v[1:2], v[1:2], v[6:7]
	v_add_f64 v[3:4], v[3:4], v[8:9]
	s_waitcnt vmcnt(0)
	s_delay_alu instid0(VALU_DEP_2) | instskip(NEXT) | instid1(VALU_DEP_2)
	v_add_f64 v[1:2], v[10:11], -v[1:2]
	v_add_f64 v[3:4], v[12:13], -v[3:4]
	scratch_store_b128 off, v[1:4], off offset:208
	v_cmpx_lt_u32_e32 12, v110
	s_cbranch_execz .LBB97_193
; %bb.192:
	scratch_load_b128 v[1:4], v136, off
	v_mov_b32_e32 v5, 0
	s_delay_alu instid0(VALU_DEP_1)
	v_mov_b32_e32 v6, v5
	v_mov_b32_e32 v7, v5
	;; [unrolled: 1-line block ×3, first 2 shown]
	scratch_store_b128 off, v[5:8], off offset:192
	s_waitcnt vmcnt(0)
	ds_store_b128 v144, v[1:4]
.LBB97_193:
	s_or_b32 exec_lo, exec_lo, s2
	s_waitcnt lgkmcnt(0)
	s_waitcnt_vscnt null, 0x0
	s_barrier
	buffer_gl0_inv
	s_clause 0x7
	scratch_load_b128 v[2:5], off, off offset:208
	scratch_load_b128 v[6:9], off, off offset:224
	;; [unrolled: 1-line block ×8, first 2 shown]
	v_mov_b32_e32 v1, 0
	s_clause 0x1
	scratch_load_b128 v[38:41], off, off offset:336
	scratch_load_b128 v[149:152], off, off offset:352
	s_mov_b32 s2, exec_lo
	ds_load_b128 v[34:37], v1 offset:752
	ds_load_b128 v[145:148], v1 offset:768
	s_waitcnt vmcnt(9) lgkmcnt(1)
	v_mul_f64 v[153:154], v[36:37], v[4:5]
	v_mul_f64 v[4:5], v[34:35], v[4:5]
	s_waitcnt vmcnt(8) lgkmcnt(0)
	v_mul_f64 v[155:156], v[145:146], v[8:9]
	v_mul_f64 v[8:9], v[147:148], v[8:9]
	s_delay_alu instid0(VALU_DEP_4) | instskip(NEXT) | instid1(VALU_DEP_4)
	v_fma_f64 v[153:154], v[34:35], v[2:3], -v[153:154]
	v_fma_f64 v[157:158], v[36:37], v[2:3], v[4:5]
	ds_load_b128 v[2:5], v1 offset:784
	scratch_load_b128 v[34:37], off, off offset:368
	v_fma_f64 v[155:156], v[147:148], v[6:7], v[155:156]
	v_fma_f64 v[161:162], v[145:146], v[6:7], -v[8:9]
	scratch_load_b128 v[145:148], off, off offset:384
	ds_load_b128 v[6:9], v1 offset:800
	s_waitcnt vmcnt(9) lgkmcnt(1)
	v_mul_f64 v[159:160], v[2:3], v[12:13]
	v_mul_f64 v[12:13], v[4:5], v[12:13]
	s_waitcnt vmcnt(8) lgkmcnt(0)
	v_mul_f64 v[163:164], v[6:7], v[16:17]
	v_mul_f64 v[16:17], v[8:9], v[16:17]
	v_add_f64 v[153:154], v[153:154], 0
	v_add_f64 v[157:158], v[157:158], 0
	v_fma_f64 v[159:160], v[4:5], v[10:11], v[159:160]
	v_fma_f64 v[165:166], v[2:3], v[10:11], -v[12:13]
	ds_load_b128 v[2:5], v1 offset:816
	scratch_load_b128 v[10:13], off, off offset:400
	v_add_f64 v[153:154], v[153:154], v[161:162]
	v_add_f64 v[155:156], v[157:158], v[155:156]
	v_fma_f64 v[161:162], v[8:9], v[14:15], v[163:164]
	v_fma_f64 v[163:164], v[6:7], v[14:15], -v[16:17]
	scratch_load_b128 v[14:17], off, off offset:416
	ds_load_b128 v[6:9], v1 offset:832
	s_waitcnt vmcnt(9) lgkmcnt(1)
	v_mul_f64 v[157:158], v[2:3], v[20:21]
	v_mul_f64 v[20:21], v[4:5], v[20:21]
	v_add_f64 v[153:154], v[153:154], v[165:166]
	v_add_f64 v[155:156], v[155:156], v[159:160]
	s_waitcnt vmcnt(8) lgkmcnt(0)
	v_mul_f64 v[159:160], v[6:7], v[24:25]
	v_mul_f64 v[24:25], v[8:9], v[24:25]
	v_fma_f64 v[157:158], v[4:5], v[18:19], v[157:158]
	v_fma_f64 v[165:166], v[2:3], v[18:19], -v[20:21]
	ds_load_b128 v[2:5], v1 offset:848
	scratch_load_b128 v[18:21], off, off offset:432
	v_add_f64 v[153:154], v[153:154], v[163:164]
	v_add_f64 v[155:156], v[155:156], v[161:162]
	v_fma_f64 v[159:160], v[8:9], v[22:23], v[159:160]
	v_fma_f64 v[163:164], v[6:7], v[22:23], -v[24:25]
	ds_load_b128 v[6:9], v1 offset:864
	s_waitcnt vmcnt(8) lgkmcnt(1)
	v_mul_f64 v[161:162], v[2:3], v[28:29]
	v_mul_f64 v[28:29], v[4:5], v[28:29]
	scratch_load_b128 v[22:25], off, off offset:448
	v_add_f64 v[153:154], v[153:154], v[165:166]
	v_add_f64 v[155:156], v[155:156], v[157:158]
	s_waitcnt vmcnt(8) lgkmcnt(0)
	v_mul_f64 v[157:158], v[6:7], v[32:33]
	v_mul_f64 v[32:33], v[8:9], v[32:33]
	v_fma_f64 v[161:162], v[4:5], v[26:27], v[161:162]
	v_fma_f64 v[165:166], v[2:3], v[26:27], -v[28:29]
	scratch_load_b128 v[26:29], off, off offset:464
	ds_load_b128 v[2:5], v1 offset:880
	v_add_f64 v[153:154], v[153:154], v[163:164]
	v_add_f64 v[155:156], v[155:156], v[159:160]
	v_fma_f64 v[157:158], v[8:9], v[30:31], v[157:158]
	v_fma_f64 v[163:164], v[6:7], v[30:31], -v[32:33]
	ds_load_b128 v[6:9], v1 offset:896
	s_waitcnt vmcnt(8) lgkmcnt(1)
	v_mul_f64 v[159:160], v[2:3], v[40:41]
	v_mul_f64 v[40:41], v[4:5], v[40:41]
	scratch_load_b128 v[30:33], off, off offset:480
	v_add_f64 v[153:154], v[153:154], v[165:166]
	v_add_f64 v[155:156], v[155:156], v[161:162]
	s_waitcnt vmcnt(8) lgkmcnt(0)
	v_mul_f64 v[161:162], v[6:7], v[151:152]
	v_mul_f64 v[151:152], v[8:9], v[151:152]
	v_fma_f64 v[159:160], v[4:5], v[38:39], v[159:160]
	v_fma_f64 v[165:166], v[2:3], v[38:39], -v[40:41]
	scratch_load_b128 v[38:41], off, off offset:496
	ds_load_b128 v[2:5], v1 offset:912
	v_add_f64 v[153:154], v[153:154], v[163:164]
	v_add_f64 v[155:156], v[155:156], v[157:158]
	v_fma_f64 v[161:162], v[8:9], v[149:150], v[161:162]
	v_fma_f64 v[163:164], v[6:7], v[149:150], -v[151:152]
	ds_load_b128 v[6:9], v1 offset:928
	scratch_load_b128 v[149:152], off, off offset:512
	s_waitcnt vmcnt(9) lgkmcnt(1)
	v_mul_f64 v[157:158], v[2:3], v[36:37]
	v_mul_f64 v[36:37], v[4:5], v[36:37]
	v_add_f64 v[153:154], v[153:154], v[165:166]
	v_add_f64 v[155:156], v[155:156], v[159:160]
	s_waitcnt vmcnt(8) lgkmcnt(0)
	v_mul_f64 v[159:160], v[6:7], v[147:148]
	v_mul_f64 v[147:148], v[8:9], v[147:148]
	v_fma_f64 v[157:158], v[4:5], v[34:35], v[157:158]
	v_fma_f64 v[165:166], v[2:3], v[34:35], -v[36:37]
	scratch_load_b128 v[34:37], off, off offset:528
	ds_load_b128 v[2:5], v1 offset:944
	v_add_f64 v[153:154], v[153:154], v[163:164]
	v_add_f64 v[155:156], v[155:156], v[161:162]
	v_fma_f64 v[159:160], v[8:9], v[145:146], v[159:160]
	v_fma_f64 v[145:146], v[6:7], v[145:146], -v[147:148]
	ds_load_b128 v[6:9], v1 offset:960
	s_waitcnt vmcnt(8) lgkmcnt(1)
	v_mul_f64 v[161:162], v[2:3], v[12:13]
	v_mul_f64 v[12:13], v[4:5], v[12:13]
	v_add_f64 v[147:148], v[153:154], v[165:166]
	v_add_f64 v[153:154], v[155:156], v[157:158]
	s_waitcnt vmcnt(7) lgkmcnt(0)
	v_mul_f64 v[155:156], v[6:7], v[16:17]
	v_mul_f64 v[16:17], v[8:9], v[16:17]
	v_fma_f64 v[157:158], v[4:5], v[10:11], v[161:162]
	v_fma_f64 v[10:11], v[2:3], v[10:11], -v[12:13]
	ds_load_b128 v[2:5], v1 offset:976
	v_add_f64 v[12:13], v[147:148], v[145:146]
	v_add_f64 v[145:146], v[153:154], v[159:160]
	v_fma_f64 v[153:154], v[8:9], v[14:15], v[155:156]
	v_fma_f64 v[14:15], v[6:7], v[14:15], -v[16:17]
	ds_load_b128 v[6:9], v1 offset:992
	s_waitcnt vmcnt(5) lgkmcnt(0)
	v_mul_f64 v[155:156], v[6:7], v[24:25]
	v_mul_f64 v[24:25], v[8:9], v[24:25]
	v_add_f64 v[16:17], v[12:13], v[10:11]
	v_add_f64 v[145:146], v[145:146], v[157:158]
	scratch_load_b128 v[10:13], off, off offset:192
	v_mul_f64 v[147:148], v[2:3], v[20:21]
	v_mul_f64 v[20:21], v[4:5], v[20:21]
	v_add_f64 v[14:15], v[16:17], v[14:15]
	v_add_f64 v[16:17], v[145:146], v[153:154]
	v_fma_f64 v[145:146], v[8:9], v[22:23], v[155:156]
	v_fma_f64 v[147:148], v[4:5], v[18:19], v[147:148]
	v_fma_f64 v[18:19], v[2:3], v[18:19], -v[20:21]
	ds_load_b128 v[2:5], v1 offset:1008
	v_fma_f64 v[22:23], v[6:7], v[22:23], -v[24:25]
	ds_load_b128 v[6:9], v1 offset:1024
	s_waitcnt vmcnt(5) lgkmcnt(1)
	v_mul_f64 v[20:21], v[2:3], v[28:29]
	v_mul_f64 v[28:29], v[4:5], v[28:29]
	s_waitcnt vmcnt(4) lgkmcnt(0)
	v_mul_f64 v[24:25], v[8:9], v[32:33]
	v_add_f64 v[16:17], v[16:17], v[147:148]
	v_add_f64 v[14:15], v[14:15], v[18:19]
	v_mul_f64 v[18:19], v[6:7], v[32:33]
	v_fma_f64 v[20:21], v[4:5], v[26:27], v[20:21]
	v_fma_f64 v[26:27], v[2:3], v[26:27], -v[28:29]
	ds_load_b128 v[2:5], v1 offset:1040
	v_fma_f64 v[24:25], v[6:7], v[30:31], -v[24:25]
	v_add_f64 v[16:17], v[16:17], v[145:146]
	v_add_f64 v[14:15], v[14:15], v[22:23]
	v_fma_f64 v[18:19], v[8:9], v[30:31], v[18:19]
	ds_load_b128 v[6:9], v1 offset:1056
	s_waitcnt vmcnt(3) lgkmcnt(1)
	v_mul_f64 v[22:23], v[2:3], v[40:41]
	v_mul_f64 v[28:29], v[4:5], v[40:41]
	v_add_f64 v[16:17], v[16:17], v[20:21]
	v_add_f64 v[14:15], v[14:15], v[26:27]
	s_waitcnt vmcnt(2) lgkmcnt(0)
	v_mul_f64 v[20:21], v[6:7], v[151:152]
	v_mul_f64 v[26:27], v[8:9], v[151:152]
	v_fma_f64 v[22:23], v[4:5], v[38:39], v[22:23]
	v_fma_f64 v[28:29], v[2:3], v[38:39], -v[28:29]
	ds_load_b128 v[2:5], v1 offset:1072
	v_add_f64 v[16:17], v[16:17], v[18:19]
	v_add_f64 v[14:15], v[14:15], v[24:25]
	s_waitcnt vmcnt(1) lgkmcnt(0)
	v_mul_f64 v[18:19], v[2:3], v[36:37]
	v_mul_f64 v[24:25], v[4:5], v[36:37]
	v_fma_f64 v[8:9], v[8:9], v[149:150], v[20:21]
	v_fma_f64 v[6:7], v[6:7], v[149:150], -v[26:27]
	v_add_f64 v[16:17], v[16:17], v[22:23]
	v_add_f64 v[14:15], v[14:15], v[28:29]
	v_fma_f64 v[4:5], v[4:5], v[34:35], v[18:19]
	v_fma_f64 v[2:3], v[2:3], v[34:35], -v[24:25]
	s_delay_alu instid0(VALU_DEP_4) | instskip(NEXT) | instid1(VALU_DEP_4)
	v_add_f64 v[8:9], v[16:17], v[8:9]
	v_add_f64 v[6:7], v[14:15], v[6:7]
	s_delay_alu instid0(VALU_DEP_2) | instskip(NEXT) | instid1(VALU_DEP_2)
	v_add_f64 v[4:5], v[8:9], v[4:5]
	v_add_f64 v[2:3], v[6:7], v[2:3]
	s_waitcnt vmcnt(0)
	s_delay_alu instid0(VALU_DEP_2) | instskip(NEXT) | instid1(VALU_DEP_2)
	v_add_f64 v[4:5], v[12:13], -v[4:5]
	v_add_f64 v[2:3], v[10:11], -v[2:3]
	scratch_store_b128 off, v[2:5], off offset:192
	v_cmpx_lt_u32_e32 11, v110
	s_cbranch_execz .LBB97_195
; %bb.194:
	scratch_load_b128 v[5:8], v138, off
	v_mov_b32_e32 v2, v1
	v_mov_b32_e32 v3, v1
	v_mov_b32_e32 v4, v1
	scratch_store_b128 off, v[1:4], off offset:176
	s_waitcnt vmcnt(0)
	ds_store_b128 v144, v[5:8]
.LBB97_195:
	s_or_b32 exec_lo, exec_lo, s2
	s_waitcnt lgkmcnt(0)
	s_waitcnt_vscnt null, 0x0
	s_barrier
	buffer_gl0_inv
	s_clause 0x7
	scratch_load_b128 v[2:5], off, off offset:192
	scratch_load_b128 v[6:9], off, off offset:208
	;; [unrolled: 1-line block ×8, first 2 shown]
	ds_load_b128 v[34:37], v1 offset:736
	ds_load_b128 v[145:148], v1 offset:752
	s_clause 0x1
	scratch_load_b128 v[38:41], off, off offset:320
	scratch_load_b128 v[149:152], off, off offset:336
	s_mov_b32 s2, exec_lo
	s_waitcnt vmcnt(9) lgkmcnt(1)
	v_mul_f64 v[153:154], v[36:37], v[4:5]
	v_mul_f64 v[4:5], v[34:35], v[4:5]
	s_waitcnt vmcnt(8) lgkmcnt(0)
	v_mul_f64 v[155:156], v[145:146], v[8:9]
	v_mul_f64 v[8:9], v[147:148], v[8:9]
	s_delay_alu instid0(VALU_DEP_4) | instskip(NEXT) | instid1(VALU_DEP_4)
	v_fma_f64 v[153:154], v[34:35], v[2:3], -v[153:154]
	v_fma_f64 v[157:158], v[36:37], v[2:3], v[4:5]
	ds_load_b128 v[2:5], v1 offset:768
	scratch_load_b128 v[34:37], off, off offset:352
	v_fma_f64 v[155:156], v[147:148], v[6:7], v[155:156]
	v_fma_f64 v[161:162], v[145:146], v[6:7], -v[8:9]
	scratch_load_b128 v[145:148], off, off offset:368
	ds_load_b128 v[6:9], v1 offset:784
	s_waitcnt vmcnt(9) lgkmcnt(1)
	v_mul_f64 v[159:160], v[2:3], v[12:13]
	v_mul_f64 v[12:13], v[4:5], v[12:13]
	s_waitcnt vmcnt(8) lgkmcnt(0)
	v_mul_f64 v[163:164], v[6:7], v[16:17]
	v_mul_f64 v[16:17], v[8:9], v[16:17]
	v_add_f64 v[153:154], v[153:154], 0
	v_add_f64 v[157:158], v[157:158], 0
	v_fma_f64 v[159:160], v[4:5], v[10:11], v[159:160]
	v_fma_f64 v[165:166], v[2:3], v[10:11], -v[12:13]
	ds_load_b128 v[2:5], v1 offset:800
	scratch_load_b128 v[10:13], off, off offset:384
	v_add_f64 v[153:154], v[153:154], v[161:162]
	v_add_f64 v[155:156], v[157:158], v[155:156]
	v_fma_f64 v[161:162], v[8:9], v[14:15], v[163:164]
	v_fma_f64 v[163:164], v[6:7], v[14:15], -v[16:17]
	scratch_load_b128 v[14:17], off, off offset:400
	ds_load_b128 v[6:9], v1 offset:816
	s_waitcnt vmcnt(9) lgkmcnt(1)
	v_mul_f64 v[157:158], v[2:3], v[20:21]
	v_mul_f64 v[20:21], v[4:5], v[20:21]
	v_add_f64 v[153:154], v[153:154], v[165:166]
	v_add_f64 v[155:156], v[155:156], v[159:160]
	s_waitcnt vmcnt(8) lgkmcnt(0)
	v_mul_f64 v[159:160], v[6:7], v[24:25]
	v_mul_f64 v[24:25], v[8:9], v[24:25]
	v_fma_f64 v[157:158], v[4:5], v[18:19], v[157:158]
	v_fma_f64 v[165:166], v[2:3], v[18:19], -v[20:21]
	ds_load_b128 v[2:5], v1 offset:832
	scratch_load_b128 v[18:21], off, off offset:416
	v_add_f64 v[153:154], v[153:154], v[163:164]
	v_add_f64 v[155:156], v[155:156], v[161:162]
	v_fma_f64 v[159:160], v[8:9], v[22:23], v[159:160]
	v_fma_f64 v[163:164], v[6:7], v[22:23], -v[24:25]
	ds_load_b128 v[6:9], v1 offset:848
	s_waitcnt vmcnt(8) lgkmcnt(1)
	v_mul_f64 v[161:162], v[2:3], v[28:29]
	v_mul_f64 v[28:29], v[4:5], v[28:29]
	scratch_load_b128 v[22:25], off, off offset:432
	v_add_f64 v[153:154], v[153:154], v[165:166]
	v_add_f64 v[155:156], v[155:156], v[157:158]
	s_waitcnt vmcnt(8) lgkmcnt(0)
	v_mul_f64 v[157:158], v[6:7], v[32:33]
	v_mul_f64 v[32:33], v[8:9], v[32:33]
	v_fma_f64 v[161:162], v[4:5], v[26:27], v[161:162]
	v_fma_f64 v[165:166], v[2:3], v[26:27], -v[28:29]
	ds_load_b128 v[2:5], v1 offset:864
	scratch_load_b128 v[26:29], off, off offset:448
	v_add_f64 v[153:154], v[153:154], v[163:164]
	v_add_f64 v[155:156], v[155:156], v[159:160]
	v_fma_f64 v[157:158], v[8:9], v[30:31], v[157:158]
	v_fma_f64 v[163:164], v[6:7], v[30:31], -v[32:33]
	ds_load_b128 v[6:9], v1 offset:880
	s_waitcnt vmcnt(8) lgkmcnt(1)
	v_mul_f64 v[159:160], v[2:3], v[40:41]
	v_mul_f64 v[40:41], v[4:5], v[40:41]
	scratch_load_b128 v[30:33], off, off offset:464
	v_add_f64 v[153:154], v[153:154], v[165:166]
	v_add_f64 v[155:156], v[155:156], v[161:162]
	s_waitcnt vmcnt(8) lgkmcnt(0)
	v_mul_f64 v[161:162], v[6:7], v[151:152]
	v_mul_f64 v[151:152], v[8:9], v[151:152]
	v_fma_f64 v[159:160], v[4:5], v[38:39], v[159:160]
	v_fma_f64 v[165:166], v[2:3], v[38:39], -v[40:41]
	scratch_load_b128 v[38:41], off, off offset:480
	ds_load_b128 v[2:5], v1 offset:896
	v_add_f64 v[153:154], v[153:154], v[163:164]
	v_add_f64 v[155:156], v[155:156], v[157:158]
	v_fma_f64 v[161:162], v[8:9], v[149:150], v[161:162]
	v_fma_f64 v[163:164], v[6:7], v[149:150], -v[151:152]
	ds_load_b128 v[6:9], v1 offset:912
	scratch_load_b128 v[149:152], off, off offset:496
	s_waitcnt vmcnt(9) lgkmcnt(1)
	v_mul_f64 v[157:158], v[2:3], v[36:37]
	v_mul_f64 v[36:37], v[4:5], v[36:37]
	v_add_f64 v[153:154], v[153:154], v[165:166]
	v_add_f64 v[155:156], v[155:156], v[159:160]
	s_waitcnt vmcnt(8) lgkmcnt(0)
	v_mul_f64 v[159:160], v[6:7], v[147:148]
	v_mul_f64 v[147:148], v[8:9], v[147:148]
	v_fma_f64 v[157:158], v[4:5], v[34:35], v[157:158]
	v_fma_f64 v[165:166], v[2:3], v[34:35], -v[36:37]
	scratch_load_b128 v[34:37], off, off offset:512
	ds_load_b128 v[2:5], v1 offset:928
	v_add_f64 v[153:154], v[153:154], v[163:164]
	v_add_f64 v[155:156], v[155:156], v[161:162]
	v_fma_f64 v[159:160], v[8:9], v[145:146], v[159:160]
	v_fma_f64 v[163:164], v[6:7], v[145:146], -v[147:148]
	ds_load_b128 v[6:9], v1 offset:944
	s_waitcnt vmcnt(8) lgkmcnt(1)
	v_mul_f64 v[161:162], v[2:3], v[12:13]
	v_mul_f64 v[12:13], v[4:5], v[12:13]
	scratch_load_b128 v[145:148], off, off offset:528
	v_add_f64 v[153:154], v[153:154], v[165:166]
	v_add_f64 v[155:156], v[155:156], v[157:158]
	s_waitcnt vmcnt(8) lgkmcnt(0)
	v_mul_f64 v[157:158], v[6:7], v[16:17]
	v_mul_f64 v[16:17], v[8:9], v[16:17]
	v_fma_f64 v[161:162], v[4:5], v[10:11], v[161:162]
	v_fma_f64 v[10:11], v[2:3], v[10:11], -v[12:13]
	ds_load_b128 v[2:5], v1 offset:960
	v_add_f64 v[12:13], v[153:154], v[163:164]
	v_add_f64 v[153:154], v[155:156], v[159:160]
	v_fma_f64 v[157:158], v[8:9], v[14:15], v[157:158]
	v_fma_f64 v[14:15], v[6:7], v[14:15], -v[16:17]
	ds_load_b128 v[6:9], v1 offset:976
	s_waitcnt vmcnt(7) lgkmcnt(1)
	v_mul_f64 v[155:156], v[2:3], v[20:21]
	v_mul_f64 v[20:21], v[4:5], v[20:21]
	v_add_f64 v[10:11], v[12:13], v[10:11]
	v_add_f64 v[12:13], v[153:154], v[161:162]
	s_delay_alu instid0(VALU_DEP_4) | instskip(NEXT) | instid1(VALU_DEP_4)
	v_fma_f64 v[153:154], v[4:5], v[18:19], v[155:156]
	v_fma_f64 v[18:19], v[2:3], v[18:19], -v[20:21]
	ds_load_b128 v[2:5], v1 offset:992
	v_add_f64 v[14:15], v[10:11], v[14:15]
	v_add_f64 v[20:21], v[12:13], v[157:158]
	scratch_load_b128 v[10:13], off, off offset:176
	s_waitcnt vmcnt(7) lgkmcnt(1)
	v_mul_f64 v[16:17], v[6:7], v[24:25]
	v_mul_f64 v[24:25], v[8:9], v[24:25]
	v_add_f64 v[14:15], v[14:15], v[18:19]
	v_add_f64 v[18:19], v[20:21], v[153:154]
	s_delay_alu instid0(VALU_DEP_4) | instskip(NEXT) | instid1(VALU_DEP_4)
	v_fma_f64 v[16:17], v[8:9], v[22:23], v[16:17]
	v_fma_f64 v[22:23], v[6:7], v[22:23], -v[24:25]
	ds_load_b128 v[6:9], v1 offset:1008
	s_waitcnt vmcnt(6) lgkmcnt(1)
	v_mul_f64 v[155:156], v[2:3], v[28:29]
	v_mul_f64 v[28:29], v[4:5], v[28:29]
	s_waitcnt vmcnt(5) lgkmcnt(0)
	v_mul_f64 v[20:21], v[6:7], v[32:33]
	v_mul_f64 v[24:25], v[8:9], v[32:33]
	v_add_f64 v[16:17], v[18:19], v[16:17]
	v_add_f64 v[14:15], v[14:15], v[22:23]
	v_fma_f64 v[32:33], v[4:5], v[26:27], v[155:156]
	v_fma_f64 v[26:27], v[2:3], v[26:27], -v[28:29]
	ds_load_b128 v[2:5], v1 offset:1024
	v_fma_f64 v[20:21], v[8:9], v[30:31], v[20:21]
	v_fma_f64 v[24:25], v[6:7], v[30:31], -v[24:25]
	ds_load_b128 v[6:9], v1 offset:1040
	s_waitcnt vmcnt(4) lgkmcnt(1)
	v_mul_f64 v[18:19], v[2:3], v[40:41]
	v_mul_f64 v[22:23], v[4:5], v[40:41]
	v_add_f64 v[16:17], v[16:17], v[32:33]
	v_add_f64 v[14:15], v[14:15], v[26:27]
	s_waitcnt vmcnt(3) lgkmcnt(0)
	v_mul_f64 v[26:27], v[6:7], v[151:152]
	v_mul_f64 v[28:29], v[8:9], v[151:152]
	v_fma_f64 v[18:19], v[4:5], v[38:39], v[18:19]
	v_fma_f64 v[22:23], v[2:3], v[38:39], -v[22:23]
	ds_load_b128 v[2:5], v1 offset:1056
	v_add_f64 v[16:17], v[16:17], v[20:21]
	v_add_f64 v[14:15], v[14:15], v[24:25]
	v_fma_f64 v[26:27], v[8:9], v[149:150], v[26:27]
	v_fma_f64 v[28:29], v[6:7], v[149:150], -v[28:29]
	ds_load_b128 v[6:9], v1 offset:1072
	s_waitcnt vmcnt(2) lgkmcnt(1)
	v_mul_f64 v[20:21], v[2:3], v[36:37]
	v_mul_f64 v[24:25], v[4:5], v[36:37]
	v_add_f64 v[16:17], v[16:17], v[18:19]
	v_add_f64 v[14:15], v[14:15], v[22:23]
	s_waitcnt vmcnt(1) lgkmcnt(0)
	v_mul_f64 v[18:19], v[6:7], v[147:148]
	v_mul_f64 v[22:23], v[8:9], v[147:148]
	v_fma_f64 v[4:5], v[4:5], v[34:35], v[20:21]
	v_fma_f64 v[1:2], v[2:3], v[34:35], -v[24:25]
	v_add_f64 v[16:17], v[16:17], v[26:27]
	v_add_f64 v[14:15], v[14:15], v[28:29]
	v_fma_f64 v[8:9], v[8:9], v[145:146], v[18:19]
	v_fma_f64 v[6:7], v[6:7], v[145:146], -v[22:23]
	s_delay_alu instid0(VALU_DEP_4) | instskip(NEXT) | instid1(VALU_DEP_4)
	v_add_f64 v[3:4], v[16:17], v[4:5]
	v_add_f64 v[1:2], v[14:15], v[1:2]
	s_delay_alu instid0(VALU_DEP_2) | instskip(NEXT) | instid1(VALU_DEP_2)
	v_add_f64 v[3:4], v[3:4], v[8:9]
	v_add_f64 v[1:2], v[1:2], v[6:7]
	s_waitcnt vmcnt(0)
	s_delay_alu instid0(VALU_DEP_2) | instskip(NEXT) | instid1(VALU_DEP_2)
	v_add_f64 v[3:4], v[12:13], -v[3:4]
	v_add_f64 v[1:2], v[10:11], -v[1:2]
	scratch_store_b128 off, v[1:4], off offset:176
	v_cmpx_lt_u32_e32 10, v110
	s_cbranch_execz .LBB97_197
; %bb.196:
	scratch_load_b128 v[1:4], v137, off
	v_mov_b32_e32 v5, 0
	s_delay_alu instid0(VALU_DEP_1)
	v_mov_b32_e32 v6, v5
	v_mov_b32_e32 v7, v5
	;; [unrolled: 1-line block ×3, first 2 shown]
	scratch_store_b128 off, v[5:8], off offset:160
	s_waitcnt vmcnt(0)
	ds_store_b128 v144, v[1:4]
.LBB97_197:
	s_or_b32 exec_lo, exec_lo, s2
	s_waitcnt lgkmcnt(0)
	s_waitcnt_vscnt null, 0x0
	s_barrier
	buffer_gl0_inv
	s_clause 0x7
	scratch_load_b128 v[2:5], off, off offset:176
	scratch_load_b128 v[6:9], off, off offset:192
	;; [unrolled: 1-line block ×8, first 2 shown]
	v_mov_b32_e32 v1, 0
	s_clause 0x1
	scratch_load_b128 v[38:41], off, off offset:304
	scratch_load_b128 v[149:152], off, off offset:320
	s_mov_b32 s2, exec_lo
	ds_load_b128 v[34:37], v1 offset:720
	ds_load_b128 v[145:148], v1 offset:736
	s_waitcnt vmcnt(9) lgkmcnt(1)
	v_mul_f64 v[153:154], v[36:37], v[4:5]
	v_mul_f64 v[4:5], v[34:35], v[4:5]
	s_waitcnt vmcnt(8) lgkmcnt(0)
	v_mul_f64 v[155:156], v[145:146], v[8:9]
	v_mul_f64 v[8:9], v[147:148], v[8:9]
	s_delay_alu instid0(VALU_DEP_4) | instskip(NEXT) | instid1(VALU_DEP_4)
	v_fma_f64 v[153:154], v[34:35], v[2:3], -v[153:154]
	v_fma_f64 v[157:158], v[36:37], v[2:3], v[4:5]
	ds_load_b128 v[2:5], v1 offset:752
	scratch_load_b128 v[34:37], off, off offset:336
	v_fma_f64 v[155:156], v[147:148], v[6:7], v[155:156]
	v_fma_f64 v[161:162], v[145:146], v[6:7], -v[8:9]
	scratch_load_b128 v[145:148], off, off offset:352
	ds_load_b128 v[6:9], v1 offset:768
	s_waitcnt vmcnt(9) lgkmcnt(1)
	v_mul_f64 v[159:160], v[2:3], v[12:13]
	v_mul_f64 v[12:13], v[4:5], v[12:13]
	s_waitcnt vmcnt(8) lgkmcnt(0)
	v_mul_f64 v[163:164], v[6:7], v[16:17]
	v_mul_f64 v[16:17], v[8:9], v[16:17]
	v_add_f64 v[153:154], v[153:154], 0
	v_add_f64 v[157:158], v[157:158], 0
	v_fma_f64 v[159:160], v[4:5], v[10:11], v[159:160]
	v_fma_f64 v[165:166], v[2:3], v[10:11], -v[12:13]
	ds_load_b128 v[2:5], v1 offset:784
	scratch_load_b128 v[10:13], off, off offset:368
	v_add_f64 v[153:154], v[153:154], v[161:162]
	v_add_f64 v[155:156], v[157:158], v[155:156]
	v_fma_f64 v[161:162], v[8:9], v[14:15], v[163:164]
	v_fma_f64 v[163:164], v[6:7], v[14:15], -v[16:17]
	scratch_load_b128 v[14:17], off, off offset:384
	ds_load_b128 v[6:9], v1 offset:800
	s_waitcnt vmcnt(9) lgkmcnt(1)
	v_mul_f64 v[157:158], v[2:3], v[20:21]
	v_mul_f64 v[20:21], v[4:5], v[20:21]
	v_add_f64 v[153:154], v[153:154], v[165:166]
	v_add_f64 v[155:156], v[155:156], v[159:160]
	s_waitcnt vmcnt(8) lgkmcnt(0)
	v_mul_f64 v[159:160], v[6:7], v[24:25]
	v_mul_f64 v[24:25], v[8:9], v[24:25]
	v_fma_f64 v[157:158], v[4:5], v[18:19], v[157:158]
	v_fma_f64 v[165:166], v[2:3], v[18:19], -v[20:21]
	ds_load_b128 v[2:5], v1 offset:816
	scratch_load_b128 v[18:21], off, off offset:400
	v_add_f64 v[153:154], v[153:154], v[163:164]
	v_add_f64 v[155:156], v[155:156], v[161:162]
	v_fma_f64 v[159:160], v[8:9], v[22:23], v[159:160]
	v_fma_f64 v[163:164], v[6:7], v[22:23], -v[24:25]
	scratch_load_b128 v[22:25], off, off offset:416
	ds_load_b128 v[6:9], v1 offset:832
	s_waitcnt vmcnt(9) lgkmcnt(1)
	v_mul_f64 v[161:162], v[2:3], v[28:29]
	v_mul_f64 v[28:29], v[4:5], v[28:29]
	v_add_f64 v[153:154], v[153:154], v[165:166]
	v_add_f64 v[155:156], v[155:156], v[157:158]
	s_waitcnt vmcnt(8) lgkmcnt(0)
	v_mul_f64 v[157:158], v[6:7], v[32:33]
	v_mul_f64 v[32:33], v[8:9], v[32:33]
	v_fma_f64 v[161:162], v[4:5], v[26:27], v[161:162]
	v_fma_f64 v[165:166], v[2:3], v[26:27], -v[28:29]
	ds_load_b128 v[2:5], v1 offset:848
	scratch_load_b128 v[26:29], off, off offset:432
	v_add_f64 v[153:154], v[153:154], v[163:164]
	v_add_f64 v[155:156], v[155:156], v[159:160]
	v_fma_f64 v[157:158], v[8:9], v[30:31], v[157:158]
	v_fma_f64 v[163:164], v[6:7], v[30:31], -v[32:33]
	ds_load_b128 v[6:9], v1 offset:864
	s_waitcnt vmcnt(8) lgkmcnt(1)
	v_mul_f64 v[159:160], v[2:3], v[40:41]
	v_mul_f64 v[40:41], v[4:5], v[40:41]
	scratch_load_b128 v[30:33], off, off offset:448
	v_add_f64 v[153:154], v[153:154], v[165:166]
	v_add_f64 v[155:156], v[155:156], v[161:162]
	s_waitcnt vmcnt(8) lgkmcnt(0)
	v_mul_f64 v[161:162], v[6:7], v[151:152]
	v_mul_f64 v[151:152], v[8:9], v[151:152]
	v_fma_f64 v[159:160], v[4:5], v[38:39], v[159:160]
	v_fma_f64 v[165:166], v[2:3], v[38:39], -v[40:41]
	scratch_load_b128 v[38:41], off, off offset:464
	ds_load_b128 v[2:5], v1 offset:880
	v_add_f64 v[153:154], v[153:154], v[163:164]
	v_add_f64 v[155:156], v[155:156], v[157:158]
	v_fma_f64 v[161:162], v[8:9], v[149:150], v[161:162]
	v_fma_f64 v[163:164], v[6:7], v[149:150], -v[151:152]
	ds_load_b128 v[6:9], v1 offset:896
	scratch_load_b128 v[149:152], off, off offset:480
	s_waitcnt vmcnt(9) lgkmcnt(1)
	v_mul_f64 v[157:158], v[2:3], v[36:37]
	v_mul_f64 v[36:37], v[4:5], v[36:37]
	v_add_f64 v[153:154], v[153:154], v[165:166]
	v_add_f64 v[155:156], v[155:156], v[159:160]
	s_waitcnt vmcnt(8) lgkmcnt(0)
	v_mul_f64 v[159:160], v[6:7], v[147:148]
	v_mul_f64 v[147:148], v[8:9], v[147:148]
	v_fma_f64 v[157:158], v[4:5], v[34:35], v[157:158]
	v_fma_f64 v[165:166], v[2:3], v[34:35], -v[36:37]
	scratch_load_b128 v[34:37], off, off offset:496
	ds_load_b128 v[2:5], v1 offset:912
	v_add_f64 v[153:154], v[153:154], v[163:164]
	v_add_f64 v[155:156], v[155:156], v[161:162]
	v_fma_f64 v[159:160], v[8:9], v[145:146], v[159:160]
	v_fma_f64 v[163:164], v[6:7], v[145:146], -v[147:148]
	ds_load_b128 v[6:9], v1 offset:928
	s_waitcnt vmcnt(8) lgkmcnt(1)
	v_mul_f64 v[161:162], v[2:3], v[12:13]
	v_mul_f64 v[12:13], v[4:5], v[12:13]
	scratch_load_b128 v[145:148], off, off offset:512
	v_add_f64 v[153:154], v[153:154], v[165:166]
	v_add_f64 v[155:156], v[155:156], v[157:158]
	s_waitcnt vmcnt(8) lgkmcnt(0)
	v_mul_f64 v[157:158], v[6:7], v[16:17]
	v_mul_f64 v[16:17], v[8:9], v[16:17]
	v_fma_f64 v[161:162], v[4:5], v[10:11], v[161:162]
	v_fma_f64 v[165:166], v[2:3], v[10:11], -v[12:13]
	scratch_load_b128 v[10:13], off, off offset:528
	ds_load_b128 v[2:5], v1 offset:944
	v_add_f64 v[153:154], v[153:154], v[163:164]
	v_add_f64 v[155:156], v[155:156], v[159:160]
	v_fma_f64 v[157:158], v[8:9], v[14:15], v[157:158]
	v_fma_f64 v[14:15], v[6:7], v[14:15], -v[16:17]
	ds_load_b128 v[6:9], v1 offset:960
	s_waitcnt vmcnt(8) lgkmcnt(1)
	v_mul_f64 v[159:160], v[2:3], v[20:21]
	v_mul_f64 v[20:21], v[4:5], v[20:21]
	v_add_f64 v[16:17], v[153:154], v[165:166]
	v_add_f64 v[153:154], v[155:156], v[161:162]
	s_waitcnt vmcnt(7) lgkmcnt(0)
	v_mul_f64 v[155:156], v[6:7], v[24:25]
	v_mul_f64 v[24:25], v[8:9], v[24:25]
	v_fma_f64 v[159:160], v[4:5], v[18:19], v[159:160]
	v_fma_f64 v[18:19], v[2:3], v[18:19], -v[20:21]
	ds_load_b128 v[2:5], v1 offset:976
	v_add_f64 v[14:15], v[16:17], v[14:15]
	v_add_f64 v[16:17], v[153:154], v[157:158]
	v_fma_f64 v[153:154], v[8:9], v[22:23], v[155:156]
	v_fma_f64 v[22:23], v[6:7], v[22:23], -v[24:25]
	ds_load_b128 v[6:9], v1 offset:992
	s_waitcnt vmcnt(5) lgkmcnt(0)
	v_mul_f64 v[155:156], v[6:7], v[32:33]
	v_mul_f64 v[32:33], v[8:9], v[32:33]
	v_add_f64 v[18:19], v[14:15], v[18:19]
	v_add_f64 v[24:25], v[16:17], v[159:160]
	scratch_load_b128 v[14:17], off, off offset:160
	v_mul_f64 v[20:21], v[2:3], v[28:29]
	v_mul_f64 v[28:29], v[4:5], v[28:29]
	v_add_f64 v[18:19], v[18:19], v[22:23]
	v_add_f64 v[22:23], v[24:25], v[153:154]
	s_delay_alu instid0(VALU_DEP_4) | instskip(NEXT) | instid1(VALU_DEP_4)
	v_fma_f64 v[20:21], v[4:5], v[26:27], v[20:21]
	v_fma_f64 v[26:27], v[2:3], v[26:27], -v[28:29]
	ds_load_b128 v[2:5], v1 offset:1008
	s_waitcnt vmcnt(5) lgkmcnt(0)
	v_mul_f64 v[24:25], v[2:3], v[40:41]
	v_mul_f64 v[28:29], v[4:5], v[40:41]
	v_fma_f64 v[40:41], v[8:9], v[30:31], v[155:156]
	v_fma_f64 v[30:31], v[6:7], v[30:31], -v[32:33]
	ds_load_b128 v[6:9], v1 offset:1024
	v_add_f64 v[20:21], v[22:23], v[20:21]
	v_add_f64 v[18:19], v[18:19], v[26:27]
	v_fma_f64 v[24:25], v[4:5], v[38:39], v[24:25]
	v_fma_f64 v[28:29], v[2:3], v[38:39], -v[28:29]
	ds_load_b128 v[2:5], v1 offset:1040
	s_waitcnt vmcnt(4) lgkmcnt(1)
	v_mul_f64 v[22:23], v[6:7], v[151:152]
	v_mul_f64 v[26:27], v[8:9], v[151:152]
	v_add_f64 v[20:21], v[20:21], v[40:41]
	v_add_f64 v[18:19], v[18:19], v[30:31]
	s_waitcnt vmcnt(3) lgkmcnt(0)
	v_mul_f64 v[30:31], v[2:3], v[36:37]
	v_mul_f64 v[32:33], v[4:5], v[36:37]
	v_fma_f64 v[22:23], v[8:9], v[149:150], v[22:23]
	v_fma_f64 v[26:27], v[6:7], v[149:150], -v[26:27]
	ds_load_b128 v[6:9], v1 offset:1056
	v_add_f64 v[20:21], v[20:21], v[24:25]
	v_add_f64 v[18:19], v[18:19], v[28:29]
	v_fma_f64 v[30:31], v[4:5], v[34:35], v[30:31]
	v_fma_f64 v[32:33], v[2:3], v[34:35], -v[32:33]
	ds_load_b128 v[2:5], v1 offset:1072
	s_waitcnt vmcnt(2) lgkmcnt(1)
	v_mul_f64 v[24:25], v[6:7], v[147:148]
	v_mul_f64 v[28:29], v[8:9], v[147:148]
	v_add_f64 v[20:21], v[20:21], v[22:23]
	v_add_f64 v[18:19], v[18:19], v[26:27]
	s_waitcnt vmcnt(1) lgkmcnt(0)
	v_mul_f64 v[22:23], v[2:3], v[12:13]
	v_mul_f64 v[12:13], v[4:5], v[12:13]
	v_fma_f64 v[8:9], v[8:9], v[145:146], v[24:25]
	v_fma_f64 v[6:7], v[6:7], v[145:146], -v[28:29]
	v_add_f64 v[20:21], v[20:21], v[30:31]
	v_add_f64 v[18:19], v[18:19], v[32:33]
	v_fma_f64 v[4:5], v[4:5], v[10:11], v[22:23]
	v_fma_f64 v[2:3], v[2:3], v[10:11], -v[12:13]
	s_delay_alu instid0(VALU_DEP_4) | instskip(NEXT) | instid1(VALU_DEP_4)
	v_add_f64 v[8:9], v[20:21], v[8:9]
	v_add_f64 v[6:7], v[18:19], v[6:7]
	s_delay_alu instid0(VALU_DEP_2) | instskip(NEXT) | instid1(VALU_DEP_2)
	v_add_f64 v[4:5], v[8:9], v[4:5]
	v_add_f64 v[2:3], v[6:7], v[2:3]
	s_waitcnt vmcnt(0)
	s_delay_alu instid0(VALU_DEP_2) | instskip(NEXT) | instid1(VALU_DEP_2)
	v_add_f64 v[4:5], v[16:17], -v[4:5]
	v_add_f64 v[2:3], v[14:15], -v[2:3]
	scratch_store_b128 off, v[2:5], off offset:160
	v_cmpx_lt_u32_e32 9, v110
	s_cbranch_execz .LBB97_199
; %bb.198:
	scratch_load_b128 v[5:8], v139, off
	v_mov_b32_e32 v2, v1
	v_mov_b32_e32 v3, v1
	;; [unrolled: 1-line block ×3, first 2 shown]
	scratch_store_b128 off, v[1:4], off offset:144
	s_waitcnt vmcnt(0)
	ds_store_b128 v144, v[5:8]
.LBB97_199:
	s_or_b32 exec_lo, exec_lo, s2
	s_waitcnt lgkmcnt(0)
	s_waitcnt_vscnt null, 0x0
	s_barrier
	buffer_gl0_inv
	s_clause 0x7
	scratch_load_b128 v[2:5], off, off offset:160
	scratch_load_b128 v[6:9], off, off offset:176
	;; [unrolled: 1-line block ×8, first 2 shown]
	ds_load_b128 v[34:37], v1 offset:704
	ds_load_b128 v[145:148], v1 offset:720
	s_clause 0x1
	scratch_load_b128 v[38:41], off, off offset:288
	scratch_load_b128 v[149:152], off, off offset:304
	s_mov_b32 s2, exec_lo
	s_waitcnt vmcnt(9) lgkmcnt(1)
	v_mul_f64 v[153:154], v[36:37], v[4:5]
	v_mul_f64 v[4:5], v[34:35], v[4:5]
	s_waitcnt vmcnt(8) lgkmcnt(0)
	v_mul_f64 v[155:156], v[145:146], v[8:9]
	v_mul_f64 v[8:9], v[147:148], v[8:9]
	s_delay_alu instid0(VALU_DEP_4) | instskip(NEXT) | instid1(VALU_DEP_4)
	v_fma_f64 v[153:154], v[34:35], v[2:3], -v[153:154]
	v_fma_f64 v[157:158], v[36:37], v[2:3], v[4:5]
	ds_load_b128 v[2:5], v1 offset:736
	scratch_load_b128 v[34:37], off, off offset:320
	v_fma_f64 v[155:156], v[147:148], v[6:7], v[155:156]
	v_fma_f64 v[161:162], v[145:146], v[6:7], -v[8:9]
	scratch_load_b128 v[145:148], off, off offset:336
	ds_load_b128 v[6:9], v1 offset:752
	s_waitcnt vmcnt(9) lgkmcnt(1)
	v_mul_f64 v[159:160], v[2:3], v[12:13]
	v_mul_f64 v[12:13], v[4:5], v[12:13]
	s_waitcnt vmcnt(8) lgkmcnt(0)
	v_mul_f64 v[163:164], v[6:7], v[16:17]
	v_mul_f64 v[16:17], v[8:9], v[16:17]
	v_add_f64 v[153:154], v[153:154], 0
	v_add_f64 v[157:158], v[157:158], 0
	v_fma_f64 v[159:160], v[4:5], v[10:11], v[159:160]
	v_fma_f64 v[165:166], v[2:3], v[10:11], -v[12:13]
	ds_load_b128 v[2:5], v1 offset:768
	scratch_load_b128 v[10:13], off, off offset:352
	v_add_f64 v[153:154], v[153:154], v[161:162]
	v_add_f64 v[155:156], v[157:158], v[155:156]
	v_fma_f64 v[161:162], v[8:9], v[14:15], v[163:164]
	v_fma_f64 v[163:164], v[6:7], v[14:15], -v[16:17]
	scratch_load_b128 v[14:17], off, off offset:368
	ds_load_b128 v[6:9], v1 offset:784
	s_waitcnt vmcnt(9) lgkmcnt(1)
	v_mul_f64 v[157:158], v[2:3], v[20:21]
	v_mul_f64 v[20:21], v[4:5], v[20:21]
	v_add_f64 v[153:154], v[153:154], v[165:166]
	v_add_f64 v[155:156], v[155:156], v[159:160]
	s_waitcnt vmcnt(8) lgkmcnt(0)
	v_mul_f64 v[159:160], v[6:7], v[24:25]
	v_mul_f64 v[24:25], v[8:9], v[24:25]
	v_fma_f64 v[157:158], v[4:5], v[18:19], v[157:158]
	v_fma_f64 v[165:166], v[2:3], v[18:19], -v[20:21]
	ds_load_b128 v[2:5], v1 offset:800
	scratch_load_b128 v[18:21], off, off offset:384
	v_add_f64 v[153:154], v[153:154], v[163:164]
	v_add_f64 v[155:156], v[155:156], v[161:162]
	v_fma_f64 v[159:160], v[8:9], v[22:23], v[159:160]
	v_fma_f64 v[163:164], v[6:7], v[22:23], -v[24:25]
	scratch_load_b128 v[22:25], off, off offset:400
	ds_load_b128 v[6:9], v1 offset:816
	s_waitcnt vmcnt(9) lgkmcnt(1)
	v_mul_f64 v[161:162], v[2:3], v[28:29]
	v_mul_f64 v[28:29], v[4:5], v[28:29]
	v_add_f64 v[153:154], v[153:154], v[165:166]
	v_add_f64 v[155:156], v[155:156], v[157:158]
	s_waitcnt vmcnt(8) lgkmcnt(0)
	v_mul_f64 v[157:158], v[6:7], v[32:33]
	v_mul_f64 v[32:33], v[8:9], v[32:33]
	v_fma_f64 v[161:162], v[4:5], v[26:27], v[161:162]
	v_fma_f64 v[165:166], v[2:3], v[26:27], -v[28:29]
	ds_load_b128 v[2:5], v1 offset:832
	scratch_load_b128 v[26:29], off, off offset:416
	v_add_f64 v[153:154], v[153:154], v[163:164]
	v_add_f64 v[155:156], v[155:156], v[159:160]
	v_fma_f64 v[157:158], v[8:9], v[30:31], v[157:158]
	v_fma_f64 v[163:164], v[6:7], v[30:31], -v[32:33]
	ds_load_b128 v[6:9], v1 offset:848
	s_waitcnt vmcnt(8) lgkmcnt(1)
	v_mul_f64 v[159:160], v[2:3], v[40:41]
	v_mul_f64 v[40:41], v[4:5], v[40:41]
	scratch_load_b128 v[30:33], off, off offset:432
	v_add_f64 v[153:154], v[153:154], v[165:166]
	v_add_f64 v[155:156], v[155:156], v[161:162]
	s_waitcnt vmcnt(8) lgkmcnt(0)
	v_mul_f64 v[161:162], v[6:7], v[151:152]
	v_mul_f64 v[151:152], v[8:9], v[151:152]
	v_fma_f64 v[159:160], v[4:5], v[38:39], v[159:160]
	v_fma_f64 v[165:166], v[2:3], v[38:39], -v[40:41]
	ds_load_b128 v[2:5], v1 offset:864
	scratch_load_b128 v[38:41], off, off offset:448
	v_add_f64 v[153:154], v[153:154], v[163:164]
	v_add_f64 v[155:156], v[155:156], v[157:158]
	v_fma_f64 v[161:162], v[8:9], v[149:150], v[161:162]
	v_fma_f64 v[163:164], v[6:7], v[149:150], -v[151:152]
	ds_load_b128 v[6:9], v1 offset:880
	scratch_load_b128 v[149:152], off, off offset:464
	s_waitcnt vmcnt(9) lgkmcnt(1)
	v_mul_f64 v[157:158], v[2:3], v[36:37]
	v_mul_f64 v[36:37], v[4:5], v[36:37]
	v_add_f64 v[153:154], v[153:154], v[165:166]
	v_add_f64 v[155:156], v[155:156], v[159:160]
	s_waitcnt vmcnt(8) lgkmcnt(0)
	v_mul_f64 v[159:160], v[6:7], v[147:148]
	v_mul_f64 v[147:148], v[8:9], v[147:148]
	v_fma_f64 v[157:158], v[4:5], v[34:35], v[157:158]
	v_fma_f64 v[165:166], v[2:3], v[34:35], -v[36:37]
	scratch_load_b128 v[34:37], off, off offset:480
	ds_load_b128 v[2:5], v1 offset:896
	v_add_f64 v[153:154], v[153:154], v[163:164]
	v_add_f64 v[155:156], v[155:156], v[161:162]
	v_fma_f64 v[159:160], v[8:9], v[145:146], v[159:160]
	v_fma_f64 v[163:164], v[6:7], v[145:146], -v[147:148]
	ds_load_b128 v[6:9], v1 offset:912
	s_waitcnt vmcnt(8) lgkmcnt(1)
	v_mul_f64 v[161:162], v[2:3], v[12:13]
	v_mul_f64 v[12:13], v[4:5], v[12:13]
	scratch_load_b128 v[145:148], off, off offset:496
	v_add_f64 v[153:154], v[153:154], v[165:166]
	v_add_f64 v[155:156], v[155:156], v[157:158]
	s_waitcnt vmcnt(8) lgkmcnt(0)
	v_mul_f64 v[157:158], v[6:7], v[16:17]
	v_mul_f64 v[16:17], v[8:9], v[16:17]
	v_fma_f64 v[161:162], v[4:5], v[10:11], v[161:162]
	v_fma_f64 v[165:166], v[2:3], v[10:11], -v[12:13]
	scratch_load_b128 v[10:13], off, off offset:512
	ds_load_b128 v[2:5], v1 offset:928
	v_add_f64 v[153:154], v[153:154], v[163:164]
	v_add_f64 v[155:156], v[155:156], v[159:160]
	v_fma_f64 v[157:158], v[8:9], v[14:15], v[157:158]
	v_fma_f64 v[163:164], v[6:7], v[14:15], -v[16:17]
	ds_load_b128 v[6:9], v1 offset:944
	s_waitcnt vmcnt(8) lgkmcnt(1)
	v_mul_f64 v[159:160], v[2:3], v[20:21]
	v_mul_f64 v[20:21], v[4:5], v[20:21]
	scratch_load_b128 v[14:17], off, off offset:528
	v_add_f64 v[153:154], v[153:154], v[165:166]
	v_add_f64 v[155:156], v[155:156], v[161:162]
	s_waitcnt vmcnt(8) lgkmcnt(0)
	v_mul_f64 v[161:162], v[6:7], v[24:25]
	v_mul_f64 v[24:25], v[8:9], v[24:25]
	v_fma_f64 v[159:160], v[4:5], v[18:19], v[159:160]
	v_fma_f64 v[18:19], v[2:3], v[18:19], -v[20:21]
	ds_load_b128 v[2:5], v1 offset:960
	v_add_f64 v[20:21], v[153:154], v[163:164]
	v_add_f64 v[153:154], v[155:156], v[157:158]
	v_fma_f64 v[157:158], v[8:9], v[22:23], v[161:162]
	v_fma_f64 v[22:23], v[6:7], v[22:23], -v[24:25]
	ds_load_b128 v[6:9], v1 offset:976
	s_waitcnt vmcnt(7) lgkmcnt(1)
	v_mul_f64 v[155:156], v[2:3], v[28:29]
	v_mul_f64 v[28:29], v[4:5], v[28:29]
	v_add_f64 v[18:19], v[20:21], v[18:19]
	v_add_f64 v[20:21], v[153:154], v[159:160]
	s_delay_alu instid0(VALU_DEP_4) | instskip(NEXT) | instid1(VALU_DEP_4)
	v_fma_f64 v[153:154], v[4:5], v[26:27], v[155:156]
	v_fma_f64 v[26:27], v[2:3], v[26:27], -v[28:29]
	ds_load_b128 v[2:5], v1 offset:992
	v_add_f64 v[22:23], v[18:19], v[22:23]
	v_add_f64 v[28:29], v[20:21], v[157:158]
	scratch_load_b128 v[18:21], off, off offset:144
	s_waitcnt vmcnt(7) lgkmcnt(1)
	v_mul_f64 v[24:25], v[6:7], v[32:33]
	v_mul_f64 v[32:33], v[8:9], v[32:33]
	v_add_f64 v[22:23], v[22:23], v[26:27]
	v_add_f64 v[26:27], v[28:29], v[153:154]
	s_delay_alu instid0(VALU_DEP_4) | instskip(NEXT) | instid1(VALU_DEP_4)
	v_fma_f64 v[24:25], v[8:9], v[30:31], v[24:25]
	v_fma_f64 v[30:31], v[6:7], v[30:31], -v[32:33]
	ds_load_b128 v[6:9], v1 offset:1008
	s_waitcnt vmcnt(6) lgkmcnt(1)
	v_mul_f64 v[155:156], v[2:3], v[40:41]
	v_mul_f64 v[40:41], v[4:5], v[40:41]
	s_waitcnt vmcnt(5) lgkmcnt(0)
	v_mul_f64 v[28:29], v[6:7], v[151:152]
	v_mul_f64 v[32:33], v[8:9], v[151:152]
	v_add_f64 v[24:25], v[26:27], v[24:25]
	v_add_f64 v[22:23], v[22:23], v[30:31]
	v_fma_f64 v[151:152], v[4:5], v[38:39], v[155:156]
	v_fma_f64 v[38:39], v[2:3], v[38:39], -v[40:41]
	ds_load_b128 v[2:5], v1 offset:1024
	v_fma_f64 v[28:29], v[8:9], v[149:150], v[28:29]
	v_fma_f64 v[32:33], v[6:7], v[149:150], -v[32:33]
	ds_load_b128 v[6:9], v1 offset:1040
	s_waitcnt vmcnt(4) lgkmcnt(1)
	v_mul_f64 v[26:27], v[2:3], v[36:37]
	v_mul_f64 v[30:31], v[4:5], v[36:37]
	v_add_f64 v[24:25], v[24:25], v[151:152]
	v_add_f64 v[22:23], v[22:23], v[38:39]
	s_waitcnt vmcnt(3) lgkmcnt(0)
	v_mul_f64 v[36:37], v[6:7], v[147:148]
	v_mul_f64 v[38:39], v[8:9], v[147:148]
	v_fma_f64 v[26:27], v[4:5], v[34:35], v[26:27]
	v_fma_f64 v[30:31], v[2:3], v[34:35], -v[30:31]
	ds_load_b128 v[2:5], v1 offset:1056
	v_add_f64 v[24:25], v[24:25], v[28:29]
	v_add_f64 v[22:23], v[22:23], v[32:33]
	v_fma_f64 v[32:33], v[8:9], v[145:146], v[36:37]
	v_fma_f64 v[34:35], v[6:7], v[145:146], -v[38:39]
	ds_load_b128 v[6:9], v1 offset:1072
	s_waitcnt vmcnt(2) lgkmcnt(1)
	v_mul_f64 v[28:29], v[2:3], v[12:13]
	v_mul_f64 v[12:13], v[4:5], v[12:13]
	v_add_f64 v[24:25], v[24:25], v[26:27]
	v_add_f64 v[22:23], v[22:23], v[30:31]
	s_waitcnt vmcnt(1) lgkmcnt(0)
	v_mul_f64 v[26:27], v[6:7], v[16:17]
	v_mul_f64 v[16:17], v[8:9], v[16:17]
	v_fma_f64 v[4:5], v[4:5], v[10:11], v[28:29]
	v_fma_f64 v[1:2], v[2:3], v[10:11], -v[12:13]
	v_add_f64 v[12:13], v[24:25], v[32:33]
	v_add_f64 v[10:11], v[22:23], v[34:35]
	v_fma_f64 v[8:9], v[8:9], v[14:15], v[26:27]
	v_fma_f64 v[6:7], v[6:7], v[14:15], -v[16:17]
	s_delay_alu instid0(VALU_DEP_4) | instskip(NEXT) | instid1(VALU_DEP_4)
	v_add_f64 v[3:4], v[12:13], v[4:5]
	v_add_f64 v[1:2], v[10:11], v[1:2]
	s_delay_alu instid0(VALU_DEP_2) | instskip(NEXT) | instid1(VALU_DEP_2)
	v_add_f64 v[3:4], v[3:4], v[8:9]
	v_add_f64 v[1:2], v[1:2], v[6:7]
	s_waitcnt vmcnt(0)
	s_delay_alu instid0(VALU_DEP_2) | instskip(NEXT) | instid1(VALU_DEP_2)
	v_add_f64 v[3:4], v[20:21], -v[3:4]
	v_add_f64 v[1:2], v[18:19], -v[1:2]
	scratch_store_b128 off, v[1:4], off offset:144
	v_cmpx_lt_u32_e32 8, v110
	s_cbranch_execz .LBB97_201
; %bb.200:
	scratch_load_b128 v[1:4], v140, off
	v_mov_b32_e32 v5, 0
	s_delay_alu instid0(VALU_DEP_1)
	v_mov_b32_e32 v6, v5
	v_mov_b32_e32 v7, v5
	v_mov_b32_e32 v8, v5
	scratch_store_b128 off, v[5:8], off offset:128
	s_waitcnt vmcnt(0)
	ds_store_b128 v144, v[1:4]
.LBB97_201:
	s_or_b32 exec_lo, exec_lo, s2
	s_waitcnt lgkmcnt(0)
	s_waitcnt_vscnt null, 0x0
	s_barrier
	buffer_gl0_inv
	s_clause 0x7
	scratch_load_b128 v[2:5], off, off offset:144
	scratch_load_b128 v[6:9], off, off offset:160
	;; [unrolled: 1-line block ×8, first 2 shown]
	v_mov_b32_e32 v1, 0
	s_clause 0x1
	scratch_load_b128 v[38:41], off, off offset:272
	scratch_load_b128 v[149:152], off, off offset:288
	s_mov_b32 s2, exec_lo
	ds_load_b128 v[34:37], v1 offset:688
	ds_load_b128 v[145:148], v1 offset:704
	s_waitcnt vmcnt(9) lgkmcnt(1)
	v_mul_f64 v[153:154], v[36:37], v[4:5]
	v_mul_f64 v[4:5], v[34:35], v[4:5]
	s_waitcnt vmcnt(8) lgkmcnt(0)
	v_mul_f64 v[155:156], v[145:146], v[8:9]
	v_mul_f64 v[8:9], v[147:148], v[8:9]
	s_delay_alu instid0(VALU_DEP_4) | instskip(NEXT) | instid1(VALU_DEP_4)
	v_fma_f64 v[153:154], v[34:35], v[2:3], -v[153:154]
	v_fma_f64 v[157:158], v[36:37], v[2:3], v[4:5]
	ds_load_b128 v[2:5], v1 offset:720
	scratch_load_b128 v[34:37], off, off offset:304
	v_fma_f64 v[155:156], v[147:148], v[6:7], v[155:156]
	v_fma_f64 v[161:162], v[145:146], v[6:7], -v[8:9]
	scratch_load_b128 v[145:148], off, off offset:320
	ds_load_b128 v[6:9], v1 offset:736
	s_waitcnt vmcnt(9) lgkmcnt(1)
	v_mul_f64 v[159:160], v[2:3], v[12:13]
	v_mul_f64 v[12:13], v[4:5], v[12:13]
	s_waitcnt vmcnt(8) lgkmcnt(0)
	v_mul_f64 v[163:164], v[6:7], v[16:17]
	v_mul_f64 v[16:17], v[8:9], v[16:17]
	v_add_f64 v[153:154], v[153:154], 0
	v_add_f64 v[157:158], v[157:158], 0
	v_fma_f64 v[159:160], v[4:5], v[10:11], v[159:160]
	v_fma_f64 v[165:166], v[2:3], v[10:11], -v[12:13]
	ds_load_b128 v[2:5], v1 offset:752
	scratch_load_b128 v[10:13], off, off offset:336
	v_add_f64 v[153:154], v[153:154], v[161:162]
	v_add_f64 v[155:156], v[157:158], v[155:156]
	v_fma_f64 v[161:162], v[8:9], v[14:15], v[163:164]
	v_fma_f64 v[163:164], v[6:7], v[14:15], -v[16:17]
	scratch_load_b128 v[14:17], off, off offset:352
	ds_load_b128 v[6:9], v1 offset:768
	s_waitcnt vmcnt(9) lgkmcnt(1)
	v_mul_f64 v[157:158], v[2:3], v[20:21]
	v_mul_f64 v[20:21], v[4:5], v[20:21]
	v_add_f64 v[153:154], v[153:154], v[165:166]
	v_add_f64 v[155:156], v[155:156], v[159:160]
	s_waitcnt vmcnt(8) lgkmcnt(0)
	v_mul_f64 v[159:160], v[6:7], v[24:25]
	v_mul_f64 v[24:25], v[8:9], v[24:25]
	v_fma_f64 v[157:158], v[4:5], v[18:19], v[157:158]
	v_fma_f64 v[165:166], v[2:3], v[18:19], -v[20:21]
	ds_load_b128 v[2:5], v1 offset:784
	scratch_load_b128 v[18:21], off, off offset:368
	v_add_f64 v[153:154], v[153:154], v[163:164]
	v_add_f64 v[155:156], v[155:156], v[161:162]
	v_fma_f64 v[159:160], v[8:9], v[22:23], v[159:160]
	v_fma_f64 v[163:164], v[6:7], v[22:23], -v[24:25]
	scratch_load_b128 v[22:25], off, off offset:384
	ds_load_b128 v[6:9], v1 offset:800
	s_waitcnt vmcnt(9) lgkmcnt(1)
	v_mul_f64 v[161:162], v[2:3], v[28:29]
	v_mul_f64 v[28:29], v[4:5], v[28:29]
	v_add_f64 v[153:154], v[153:154], v[165:166]
	v_add_f64 v[155:156], v[155:156], v[157:158]
	s_waitcnt vmcnt(8) lgkmcnt(0)
	v_mul_f64 v[157:158], v[6:7], v[32:33]
	v_mul_f64 v[32:33], v[8:9], v[32:33]
	;; [unrolled: 18-line block ×3, first 2 shown]
	v_fma_f64 v[159:160], v[4:5], v[38:39], v[159:160]
	v_fma_f64 v[165:166], v[2:3], v[38:39], -v[40:41]
	ds_load_b128 v[2:5], v1 offset:848
	scratch_load_b128 v[38:41], off, off offset:432
	v_add_f64 v[153:154], v[153:154], v[163:164]
	v_add_f64 v[155:156], v[155:156], v[157:158]
	v_fma_f64 v[161:162], v[8:9], v[149:150], v[161:162]
	v_fma_f64 v[163:164], v[6:7], v[149:150], -v[151:152]
	ds_load_b128 v[6:9], v1 offset:864
	scratch_load_b128 v[149:152], off, off offset:448
	s_waitcnt vmcnt(9) lgkmcnt(1)
	v_mul_f64 v[157:158], v[2:3], v[36:37]
	v_mul_f64 v[36:37], v[4:5], v[36:37]
	v_add_f64 v[153:154], v[153:154], v[165:166]
	v_add_f64 v[155:156], v[155:156], v[159:160]
	s_waitcnt vmcnt(8) lgkmcnt(0)
	v_mul_f64 v[159:160], v[6:7], v[147:148]
	v_mul_f64 v[147:148], v[8:9], v[147:148]
	v_fma_f64 v[157:158], v[4:5], v[34:35], v[157:158]
	v_fma_f64 v[165:166], v[2:3], v[34:35], -v[36:37]
	scratch_load_b128 v[34:37], off, off offset:464
	ds_load_b128 v[2:5], v1 offset:880
	v_add_f64 v[153:154], v[153:154], v[163:164]
	v_add_f64 v[155:156], v[155:156], v[161:162]
	v_fma_f64 v[159:160], v[8:9], v[145:146], v[159:160]
	v_fma_f64 v[163:164], v[6:7], v[145:146], -v[147:148]
	ds_load_b128 v[6:9], v1 offset:896
	s_waitcnt vmcnt(8) lgkmcnt(1)
	v_mul_f64 v[161:162], v[2:3], v[12:13]
	v_mul_f64 v[12:13], v[4:5], v[12:13]
	scratch_load_b128 v[145:148], off, off offset:480
	v_add_f64 v[153:154], v[153:154], v[165:166]
	v_add_f64 v[155:156], v[155:156], v[157:158]
	s_waitcnt vmcnt(8) lgkmcnt(0)
	v_mul_f64 v[157:158], v[6:7], v[16:17]
	v_mul_f64 v[16:17], v[8:9], v[16:17]
	v_fma_f64 v[161:162], v[4:5], v[10:11], v[161:162]
	v_fma_f64 v[165:166], v[2:3], v[10:11], -v[12:13]
	scratch_load_b128 v[10:13], off, off offset:496
	ds_load_b128 v[2:5], v1 offset:912
	v_add_f64 v[153:154], v[153:154], v[163:164]
	v_add_f64 v[155:156], v[155:156], v[159:160]
	v_fma_f64 v[157:158], v[8:9], v[14:15], v[157:158]
	v_fma_f64 v[163:164], v[6:7], v[14:15], -v[16:17]
	ds_load_b128 v[6:9], v1 offset:928
	s_waitcnt vmcnt(8) lgkmcnt(1)
	v_mul_f64 v[159:160], v[2:3], v[20:21]
	v_mul_f64 v[20:21], v[4:5], v[20:21]
	scratch_load_b128 v[14:17], off, off offset:512
	v_add_f64 v[153:154], v[153:154], v[165:166]
	v_add_f64 v[155:156], v[155:156], v[161:162]
	s_waitcnt vmcnt(8) lgkmcnt(0)
	v_mul_f64 v[161:162], v[6:7], v[24:25]
	v_mul_f64 v[24:25], v[8:9], v[24:25]
	v_fma_f64 v[159:160], v[4:5], v[18:19], v[159:160]
	v_fma_f64 v[165:166], v[2:3], v[18:19], -v[20:21]
	scratch_load_b128 v[18:21], off, off offset:528
	ds_load_b128 v[2:5], v1 offset:944
	v_add_f64 v[153:154], v[153:154], v[163:164]
	v_add_f64 v[155:156], v[155:156], v[157:158]
	v_fma_f64 v[161:162], v[8:9], v[22:23], v[161:162]
	v_fma_f64 v[22:23], v[6:7], v[22:23], -v[24:25]
	ds_load_b128 v[6:9], v1 offset:960
	s_waitcnt vmcnt(8) lgkmcnt(1)
	v_mul_f64 v[157:158], v[2:3], v[28:29]
	v_mul_f64 v[28:29], v[4:5], v[28:29]
	v_add_f64 v[24:25], v[153:154], v[165:166]
	v_add_f64 v[153:154], v[155:156], v[159:160]
	s_waitcnt vmcnt(7) lgkmcnt(0)
	v_mul_f64 v[155:156], v[6:7], v[32:33]
	v_mul_f64 v[32:33], v[8:9], v[32:33]
	v_fma_f64 v[157:158], v[4:5], v[26:27], v[157:158]
	v_fma_f64 v[26:27], v[2:3], v[26:27], -v[28:29]
	ds_load_b128 v[2:5], v1 offset:976
	v_add_f64 v[22:23], v[24:25], v[22:23]
	v_add_f64 v[24:25], v[153:154], v[161:162]
	v_fma_f64 v[153:154], v[8:9], v[30:31], v[155:156]
	v_fma_f64 v[30:31], v[6:7], v[30:31], -v[32:33]
	ds_load_b128 v[6:9], v1 offset:992
	s_waitcnt vmcnt(5) lgkmcnt(0)
	v_mul_f64 v[155:156], v[6:7], v[151:152]
	v_mul_f64 v[151:152], v[8:9], v[151:152]
	v_add_f64 v[26:27], v[22:23], v[26:27]
	v_add_f64 v[32:33], v[24:25], v[157:158]
	scratch_load_b128 v[22:25], off, off offset:128
	v_mul_f64 v[28:29], v[2:3], v[40:41]
	v_mul_f64 v[40:41], v[4:5], v[40:41]
	v_add_f64 v[26:27], v[26:27], v[30:31]
	v_add_f64 v[30:31], v[32:33], v[153:154]
	s_delay_alu instid0(VALU_DEP_4) | instskip(NEXT) | instid1(VALU_DEP_4)
	v_fma_f64 v[28:29], v[4:5], v[38:39], v[28:29]
	v_fma_f64 v[38:39], v[2:3], v[38:39], -v[40:41]
	ds_load_b128 v[2:5], v1 offset:1008
	v_fma_f64 v[40:41], v[8:9], v[149:150], v[155:156]
	v_fma_f64 v[149:150], v[6:7], v[149:150], -v[151:152]
	ds_load_b128 v[6:9], v1 offset:1024
	s_waitcnt vmcnt(5) lgkmcnt(1)
	v_mul_f64 v[32:33], v[2:3], v[36:37]
	v_mul_f64 v[36:37], v[4:5], v[36:37]
	v_add_f64 v[28:29], v[30:31], v[28:29]
	v_add_f64 v[26:27], v[26:27], v[38:39]
	s_waitcnt vmcnt(4) lgkmcnt(0)
	v_mul_f64 v[30:31], v[6:7], v[147:148]
	v_mul_f64 v[38:39], v[8:9], v[147:148]
	v_fma_f64 v[32:33], v[4:5], v[34:35], v[32:33]
	v_fma_f64 v[34:35], v[2:3], v[34:35], -v[36:37]
	ds_load_b128 v[2:5], v1 offset:1040
	v_add_f64 v[28:29], v[28:29], v[40:41]
	v_add_f64 v[26:27], v[26:27], v[149:150]
	v_fma_f64 v[30:31], v[8:9], v[145:146], v[30:31]
	v_fma_f64 v[38:39], v[6:7], v[145:146], -v[38:39]
	ds_load_b128 v[6:9], v1 offset:1056
	s_waitcnt vmcnt(3) lgkmcnt(1)
	v_mul_f64 v[36:37], v[2:3], v[12:13]
	v_mul_f64 v[12:13], v[4:5], v[12:13]
	v_add_f64 v[28:29], v[28:29], v[32:33]
	v_add_f64 v[26:27], v[26:27], v[34:35]
	s_waitcnt vmcnt(2) lgkmcnt(0)
	v_mul_f64 v[32:33], v[6:7], v[16:17]
	v_mul_f64 v[16:17], v[8:9], v[16:17]
	v_fma_f64 v[34:35], v[4:5], v[10:11], v[36:37]
	v_fma_f64 v[10:11], v[2:3], v[10:11], -v[12:13]
	ds_load_b128 v[2:5], v1 offset:1072
	v_add_f64 v[12:13], v[26:27], v[38:39]
	v_add_f64 v[26:27], v[28:29], v[30:31]
	s_waitcnt vmcnt(1) lgkmcnt(0)
	v_mul_f64 v[28:29], v[2:3], v[20:21]
	v_mul_f64 v[20:21], v[4:5], v[20:21]
	v_fma_f64 v[8:9], v[8:9], v[14:15], v[32:33]
	v_fma_f64 v[6:7], v[6:7], v[14:15], -v[16:17]
	v_add_f64 v[10:11], v[12:13], v[10:11]
	v_add_f64 v[12:13], v[26:27], v[34:35]
	v_fma_f64 v[4:5], v[4:5], v[18:19], v[28:29]
	v_fma_f64 v[2:3], v[2:3], v[18:19], -v[20:21]
	s_delay_alu instid0(VALU_DEP_4) | instskip(NEXT) | instid1(VALU_DEP_4)
	v_add_f64 v[6:7], v[10:11], v[6:7]
	v_add_f64 v[8:9], v[12:13], v[8:9]
	s_delay_alu instid0(VALU_DEP_2) | instskip(NEXT) | instid1(VALU_DEP_2)
	v_add_f64 v[2:3], v[6:7], v[2:3]
	v_add_f64 v[4:5], v[8:9], v[4:5]
	s_waitcnt vmcnt(0)
	s_delay_alu instid0(VALU_DEP_2) | instskip(NEXT) | instid1(VALU_DEP_2)
	v_add_f64 v[2:3], v[22:23], -v[2:3]
	v_add_f64 v[4:5], v[24:25], -v[4:5]
	scratch_store_b128 off, v[2:5], off offset:128
	v_cmpx_lt_u32_e32 7, v110
	s_cbranch_execz .LBB97_203
; %bb.202:
	scratch_load_b128 v[5:8], v142, off
	v_mov_b32_e32 v2, v1
	v_mov_b32_e32 v3, v1
	;; [unrolled: 1-line block ×3, first 2 shown]
	scratch_store_b128 off, v[1:4], off offset:112
	s_waitcnt vmcnt(0)
	ds_store_b128 v144, v[5:8]
.LBB97_203:
	s_or_b32 exec_lo, exec_lo, s2
	s_waitcnt lgkmcnt(0)
	s_waitcnt_vscnt null, 0x0
	s_barrier
	buffer_gl0_inv
	s_clause 0x7
	scratch_load_b128 v[2:5], off, off offset:128
	scratch_load_b128 v[6:9], off, off offset:144
	;; [unrolled: 1-line block ×8, first 2 shown]
	ds_load_b128 v[38:41], v1 offset:672
	ds_load_b128 v[145:148], v1 offset:688
	s_clause 0x1
	scratch_load_b128 v[34:37], off, off offset:256
	scratch_load_b128 v[149:152], off, off offset:272
	s_mov_b32 s2, exec_lo
	s_waitcnt vmcnt(9) lgkmcnt(1)
	v_mul_f64 v[153:154], v[40:41], v[4:5]
	v_mul_f64 v[4:5], v[38:39], v[4:5]
	s_waitcnt vmcnt(8) lgkmcnt(0)
	v_mul_f64 v[155:156], v[145:146], v[8:9]
	v_mul_f64 v[8:9], v[147:148], v[8:9]
	s_delay_alu instid0(VALU_DEP_4) | instskip(NEXT) | instid1(VALU_DEP_4)
	v_fma_f64 v[153:154], v[38:39], v[2:3], -v[153:154]
	v_fma_f64 v[157:158], v[40:41], v[2:3], v[4:5]
	ds_load_b128 v[2:5], v1 offset:704
	scratch_load_b128 v[38:41], off, off offset:288
	v_fma_f64 v[155:156], v[147:148], v[6:7], v[155:156]
	v_fma_f64 v[161:162], v[145:146], v[6:7], -v[8:9]
	scratch_load_b128 v[145:148], off, off offset:304
	ds_load_b128 v[6:9], v1 offset:720
	s_waitcnt vmcnt(9) lgkmcnt(1)
	v_mul_f64 v[159:160], v[2:3], v[12:13]
	v_mul_f64 v[12:13], v[4:5], v[12:13]
	s_waitcnt vmcnt(8) lgkmcnt(0)
	v_mul_f64 v[163:164], v[6:7], v[16:17]
	v_mul_f64 v[16:17], v[8:9], v[16:17]
	v_add_f64 v[153:154], v[153:154], 0
	v_add_f64 v[157:158], v[157:158], 0
	v_fma_f64 v[159:160], v[4:5], v[10:11], v[159:160]
	v_fma_f64 v[165:166], v[2:3], v[10:11], -v[12:13]
	ds_load_b128 v[2:5], v1 offset:736
	scratch_load_b128 v[10:13], off, off offset:320
	v_add_f64 v[153:154], v[153:154], v[161:162]
	v_add_f64 v[155:156], v[157:158], v[155:156]
	v_fma_f64 v[161:162], v[8:9], v[14:15], v[163:164]
	v_fma_f64 v[163:164], v[6:7], v[14:15], -v[16:17]
	scratch_load_b128 v[14:17], off, off offset:336
	ds_load_b128 v[6:9], v1 offset:752
	s_waitcnt vmcnt(9) lgkmcnt(1)
	v_mul_f64 v[157:158], v[2:3], v[20:21]
	v_mul_f64 v[20:21], v[4:5], v[20:21]
	v_add_f64 v[153:154], v[153:154], v[165:166]
	v_add_f64 v[155:156], v[155:156], v[159:160]
	s_waitcnt vmcnt(8) lgkmcnt(0)
	v_mul_f64 v[159:160], v[6:7], v[24:25]
	v_mul_f64 v[24:25], v[8:9], v[24:25]
	v_fma_f64 v[157:158], v[4:5], v[18:19], v[157:158]
	v_fma_f64 v[165:166], v[2:3], v[18:19], -v[20:21]
	ds_load_b128 v[2:5], v1 offset:768
	scratch_load_b128 v[18:21], off, off offset:352
	v_add_f64 v[153:154], v[153:154], v[163:164]
	v_add_f64 v[155:156], v[155:156], v[161:162]
	v_fma_f64 v[159:160], v[8:9], v[22:23], v[159:160]
	v_fma_f64 v[163:164], v[6:7], v[22:23], -v[24:25]
	scratch_load_b128 v[22:25], off, off offset:368
	ds_load_b128 v[6:9], v1 offset:784
	s_waitcnt vmcnt(9) lgkmcnt(1)
	v_mul_f64 v[161:162], v[2:3], v[28:29]
	v_mul_f64 v[28:29], v[4:5], v[28:29]
	v_add_f64 v[153:154], v[153:154], v[165:166]
	v_add_f64 v[155:156], v[155:156], v[157:158]
	s_waitcnt vmcnt(8) lgkmcnt(0)
	v_mul_f64 v[157:158], v[6:7], v[32:33]
	v_mul_f64 v[32:33], v[8:9], v[32:33]
	;; [unrolled: 18-line block ×3, first 2 shown]
	v_fma_f64 v[159:160], v[4:5], v[34:35], v[159:160]
	v_fma_f64 v[165:166], v[2:3], v[34:35], -v[36:37]
	ds_load_b128 v[2:5], v1 offset:832
	scratch_load_b128 v[34:37], off, off offset:416
	v_add_f64 v[153:154], v[153:154], v[163:164]
	v_add_f64 v[155:156], v[155:156], v[157:158]
	v_fma_f64 v[161:162], v[8:9], v[149:150], v[161:162]
	v_fma_f64 v[163:164], v[6:7], v[149:150], -v[151:152]
	ds_load_b128 v[6:9], v1 offset:848
	scratch_load_b128 v[149:152], off, off offset:432
	s_waitcnt vmcnt(9) lgkmcnt(1)
	v_mul_f64 v[157:158], v[2:3], v[40:41]
	v_mul_f64 v[40:41], v[4:5], v[40:41]
	v_add_f64 v[153:154], v[153:154], v[165:166]
	v_add_f64 v[155:156], v[155:156], v[159:160]
	s_waitcnt vmcnt(8) lgkmcnt(0)
	v_mul_f64 v[159:160], v[6:7], v[147:148]
	v_mul_f64 v[147:148], v[8:9], v[147:148]
	v_fma_f64 v[157:158], v[4:5], v[38:39], v[157:158]
	v_fma_f64 v[165:166], v[2:3], v[38:39], -v[40:41]
	ds_load_b128 v[2:5], v1 offset:864
	scratch_load_b128 v[38:41], off, off offset:448
	v_add_f64 v[153:154], v[153:154], v[163:164]
	v_add_f64 v[155:156], v[155:156], v[161:162]
	v_fma_f64 v[159:160], v[8:9], v[145:146], v[159:160]
	v_fma_f64 v[163:164], v[6:7], v[145:146], -v[147:148]
	ds_load_b128 v[6:9], v1 offset:880
	s_waitcnt vmcnt(8) lgkmcnt(1)
	v_mul_f64 v[161:162], v[2:3], v[12:13]
	v_mul_f64 v[12:13], v[4:5], v[12:13]
	scratch_load_b128 v[145:148], off, off offset:464
	v_add_f64 v[153:154], v[153:154], v[165:166]
	v_add_f64 v[155:156], v[155:156], v[157:158]
	s_waitcnt vmcnt(8) lgkmcnt(0)
	v_mul_f64 v[157:158], v[6:7], v[16:17]
	v_mul_f64 v[16:17], v[8:9], v[16:17]
	v_fma_f64 v[161:162], v[4:5], v[10:11], v[161:162]
	v_fma_f64 v[165:166], v[2:3], v[10:11], -v[12:13]
	scratch_load_b128 v[10:13], off, off offset:480
	ds_load_b128 v[2:5], v1 offset:896
	v_add_f64 v[153:154], v[153:154], v[163:164]
	v_add_f64 v[155:156], v[155:156], v[159:160]
	v_fma_f64 v[157:158], v[8:9], v[14:15], v[157:158]
	v_fma_f64 v[163:164], v[6:7], v[14:15], -v[16:17]
	ds_load_b128 v[6:9], v1 offset:912
	s_waitcnt vmcnt(8) lgkmcnt(1)
	v_mul_f64 v[159:160], v[2:3], v[20:21]
	v_mul_f64 v[20:21], v[4:5], v[20:21]
	scratch_load_b128 v[14:17], off, off offset:496
	v_add_f64 v[153:154], v[153:154], v[165:166]
	v_add_f64 v[155:156], v[155:156], v[161:162]
	s_waitcnt vmcnt(8) lgkmcnt(0)
	v_mul_f64 v[161:162], v[6:7], v[24:25]
	v_mul_f64 v[24:25], v[8:9], v[24:25]
	v_fma_f64 v[159:160], v[4:5], v[18:19], v[159:160]
	v_fma_f64 v[165:166], v[2:3], v[18:19], -v[20:21]
	scratch_load_b128 v[18:21], off, off offset:512
	ds_load_b128 v[2:5], v1 offset:928
	v_add_f64 v[153:154], v[153:154], v[163:164]
	v_add_f64 v[155:156], v[155:156], v[157:158]
	v_fma_f64 v[161:162], v[8:9], v[22:23], v[161:162]
	v_fma_f64 v[163:164], v[6:7], v[22:23], -v[24:25]
	ds_load_b128 v[6:9], v1 offset:944
	s_waitcnt vmcnt(8) lgkmcnt(1)
	v_mul_f64 v[157:158], v[2:3], v[28:29]
	v_mul_f64 v[28:29], v[4:5], v[28:29]
	scratch_load_b128 v[22:25], off, off offset:528
	v_add_f64 v[153:154], v[153:154], v[165:166]
	v_add_f64 v[155:156], v[155:156], v[159:160]
	s_waitcnt vmcnt(8) lgkmcnt(0)
	v_mul_f64 v[159:160], v[6:7], v[32:33]
	v_mul_f64 v[32:33], v[8:9], v[32:33]
	v_fma_f64 v[157:158], v[4:5], v[26:27], v[157:158]
	v_fma_f64 v[26:27], v[2:3], v[26:27], -v[28:29]
	ds_load_b128 v[2:5], v1 offset:960
	v_add_f64 v[28:29], v[153:154], v[163:164]
	v_add_f64 v[153:154], v[155:156], v[161:162]
	v_fma_f64 v[159:160], v[8:9], v[30:31], v[159:160]
	v_fma_f64 v[30:31], v[6:7], v[30:31], -v[32:33]
	ds_load_b128 v[6:9], v1 offset:976
	s_waitcnt vmcnt(7) lgkmcnt(1)
	v_mul_f64 v[155:156], v[2:3], v[36:37]
	v_mul_f64 v[36:37], v[4:5], v[36:37]
	v_add_f64 v[26:27], v[28:29], v[26:27]
	v_add_f64 v[28:29], v[153:154], v[157:158]
	s_delay_alu instid0(VALU_DEP_4) | instskip(NEXT) | instid1(VALU_DEP_4)
	v_fma_f64 v[153:154], v[4:5], v[34:35], v[155:156]
	v_fma_f64 v[34:35], v[2:3], v[34:35], -v[36:37]
	ds_load_b128 v[2:5], v1 offset:992
	v_add_f64 v[30:31], v[26:27], v[30:31]
	v_add_f64 v[36:37], v[28:29], v[159:160]
	scratch_load_b128 v[26:29], off, off offset:112
	s_waitcnt vmcnt(7) lgkmcnt(1)
	v_mul_f64 v[32:33], v[6:7], v[151:152]
	v_mul_f64 v[151:152], v[8:9], v[151:152]
	v_add_f64 v[30:31], v[30:31], v[34:35]
	v_add_f64 v[34:35], v[36:37], v[153:154]
	s_delay_alu instid0(VALU_DEP_4) | instskip(NEXT) | instid1(VALU_DEP_4)
	v_fma_f64 v[32:33], v[8:9], v[149:150], v[32:33]
	v_fma_f64 v[149:150], v[6:7], v[149:150], -v[151:152]
	ds_load_b128 v[6:9], v1 offset:1008
	s_waitcnt vmcnt(6) lgkmcnt(1)
	v_mul_f64 v[155:156], v[2:3], v[40:41]
	v_mul_f64 v[40:41], v[4:5], v[40:41]
	s_waitcnt vmcnt(5) lgkmcnt(0)
	v_mul_f64 v[36:37], v[6:7], v[147:148]
	v_mul_f64 v[147:148], v[8:9], v[147:148]
	v_add_f64 v[32:33], v[34:35], v[32:33]
	v_add_f64 v[30:31], v[30:31], v[149:150]
	v_fma_f64 v[151:152], v[4:5], v[38:39], v[155:156]
	v_fma_f64 v[38:39], v[2:3], v[38:39], -v[40:41]
	ds_load_b128 v[2:5], v1 offset:1024
	v_fma_f64 v[36:37], v[8:9], v[145:146], v[36:37]
	v_fma_f64 v[40:41], v[6:7], v[145:146], -v[147:148]
	ds_load_b128 v[6:9], v1 offset:1040
	s_waitcnt vmcnt(4) lgkmcnt(1)
	v_mul_f64 v[34:35], v[2:3], v[12:13]
	v_mul_f64 v[12:13], v[4:5], v[12:13]
	v_add_f64 v[32:33], v[32:33], v[151:152]
	v_add_f64 v[30:31], v[30:31], v[38:39]
	s_waitcnt vmcnt(3) lgkmcnt(0)
	v_mul_f64 v[38:39], v[6:7], v[16:17]
	v_mul_f64 v[16:17], v[8:9], v[16:17]
	v_fma_f64 v[34:35], v[4:5], v[10:11], v[34:35]
	v_fma_f64 v[10:11], v[2:3], v[10:11], -v[12:13]
	ds_load_b128 v[2:5], v1 offset:1056
	v_add_f64 v[12:13], v[30:31], v[40:41]
	v_add_f64 v[30:31], v[32:33], v[36:37]
	v_fma_f64 v[36:37], v[8:9], v[14:15], v[38:39]
	v_fma_f64 v[14:15], v[6:7], v[14:15], -v[16:17]
	ds_load_b128 v[6:9], v1 offset:1072
	s_waitcnt vmcnt(2) lgkmcnt(1)
	v_mul_f64 v[32:33], v[2:3], v[20:21]
	v_mul_f64 v[20:21], v[4:5], v[20:21]
	s_waitcnt vmcnt(1) lgkmcnt(0)
	v_mul_f64 v[16:17], v[6:7], v[24:25]
	v_mul_f64 v[24:25], v[8:9], v[24:25]
	v_add_f64 v[10:11], v[12:13], v[10:11]
	v_add_f64 v[12:13], v[30:31], v[34:35]
	v_fma_f64 v[4:5], v[4:5], v[18:19], v[32:33]
	v_fma_f64 v[1:2], v[2:3], v[18:19], -v[20:21]
	v_fma_f64 v[8:9], v[8:9], v[22:23], v[16:17]
	v_fma_f64 v[6:7], v[6:7], v[22:23], -v[24:25]
	v_add_f64 v[10:11], v[10:11], v[14:15]
	v_add_f64 v[12:13], v[12:13], v[36:37]
	s_delay_alu instid0(VALU_DEP_2) | instskip(NEXT) | instid1(VALU_DEP_2)
	v_add_f64 v[1:2], v[10:11], v[1:2]
	v_add_f64 v[3:4], v[12:13], v[4:5]
	s_delay_alu instid0(VALU_DEP_2) | instskip(NEXT) | instid1(VALU_DEP_2)
	v_add_f64 v[1:2], v[1:2], v[6:7]
	v_add_f64 v[3:4], v[3:4], v[8:9]
	s_waitcnt vmcnt(0)
	s_delay_alu instid0(VALU_DEP_2) | instskip(NEXT) | instid1(VALU_DEP_2)
	v_add_f64 v[1:2], v[26:27], -v[1:2]
	v_add_f64 v[3:4], v[28:29], -v[3:4]
	scratch_store_b128 off, v[1:4], off offset:112
	v_cmpx_lt_u32_e32 6, v110
	s_cbranch_execz .LBB97_205
; %bb.204:
	scratch_load_b128 v[1:4], v141, off
	v_mov_b32_e32 v5, 0
	s_delay_alu instid0(VALU_DEP_1)
	v_mov_b32_e32 v6, v5
	v_mov_b32_e32 v7, v5
	;; [unrolled: 1-line block ×3, first 2 shown]
	scratch_store_b128 off, v[5:8], off offset:96
	s_waitcnt vmcnt(0)
	ds_store_b128 v144, v[1:4]
.LBB97_205:
	s_or_b32 exec_lo, exec_lo, s2
	s_waitcnt lgkmcnt(0)
	s_waitcnt_vscnt null, 0x0
	s_barrier
	buffer_gl0_inv
	s_clause 0x7
	scratch_load_b128 v[2:5], off, off offset:112
	scratch_load_b128 v[6:9], off, off offset:128
	;; [unrolled: 1-line block ×8, first 2 shown]
	v_mov_b32_e32 v1, 0
	s_clause 0x1
	scratch_load_b128 v[34:37], off, off offset:240
	scratch_load_b128 v[149:152], off, off offset:256
	s_mov_b32 s2, exec_lo
	ds_load_b128 v[38:41], v1 offset:656
	ds_load_b128 v[145:148], v1 offset:672
	s_waitcnt vmcnt(9) lgkmcnt(1)
	v_mul_f64 v[153:154], v[40:41], v[4:5]
	v_mul_f64 v[4:5], v[38:39], v[4:5]
	s_waitcnt vmcnt(8) lgkmcnt(0)
	v_mul_f64 v[155:156], v[145:146], v[8:9]
	v_mul_f64 v[8:9], v[147:148], v[8:9]
	s_delay_alu instid0(VALU_DEP_4) | instskip(NEXT) | instid1(VALU_DEP_4)
	v_fma_f64 v[153:154], v[38:39], v[2:3], -v[153:154]
	v_fma_f64 v[157:158], v[40:41], v[2:3], v[4:5]
	ds_load_b128 v[2:5], v1 offset:688
	scratch_load_b128 v[38:41], off, off offset:272
	v_fma_f64 v[155:156], v[147:148], v[6:7], v[155:156]
	v_fma_f64 v[161:162], v[145:146], v[6:7], -v[8:9]
	scratch_load_b128 v[145:148], off, off offset:288
	ds_load_b128 v[6:9], v1 offset:704
	s_waitcnt vmcnt(9) lgkmcnt(1)
	v_mul_f64 v[159:160], v[2:3], v[12:13]
	v_mul_f64 v[12:13], v[4:5], v[12:13]
	s_waitcnt vmcnt(8) lgkmcnt(0)
	v_mul_f64 v[163:164], v[6:7], v[16:17]
	v_mul_f64 v[16:17], v[8:9], v[16:17]
	v_add_f64 v[153:154], v[153:154], 0
	v_add_f64 v[157:158], v[157:158], 0
	v_fma_f64 v[159:160], v[4:5], v[10:11], v[159:160]
	v_fma_f64 v[165:166], v[2:3], v[10:11], -v[12:13]
	ds_load_b128 v[2:5], v1 offset:720
	scratch_load_b128 v[10:13], off, off offset:304
	v_add_f64 v[153:154], v[153:154], v[161:162]
	v_add_f64 v[155:156], v[157:158], v[155:156]
	v_fma_f64 v[161:162], v[8:9], v[14:15], v[163:164]
	v_fma_f64 v[163:164], v[6:7], v[14:15], -v[16:17]
	scratch_load_b128 v[14:17], off, off offset:320
	ds_load_b128 v[6:9], v1 offset:736
	s_waitcnt vmcnt(9) lgkmcnt(1)
	v_mul_f64 v[157:158], v[2:3], v[20:21]
	v_mul_f64 v[20:21], v[4:5], v[20:21]
	v_add_f64 v[153:154], v[153:154], v[165:166]
	v_add_f64 v[155:156], v[155:156], v[159:160]
	s_waitcnt vmcnt(8) lgkmcnt(0)
	v_mul_f64 v[159:160], v[6:7], v[24:25]
	v_mul_f64 v[24:25], v[8:9], v[24:25]
	v_fma_f64 v[157:158], v[4:5], v[18:19], v[157:158]
	v_fma_f64 v[165:166], v[2:3], v[18:19], -v[20:21]
	ds_load_b128 v[2:5], v1 offset:752
	scratch_load_b128 v[18:21], off, off offset:336
	v_add_f64 v[153:154], v[153:154], v[163:164]
	v_add_f64 v[155:156], v[155:156], v[161:162]
	v_fma_f64 v[159:160], v[8:9], v[22:23], v[159:160]
	v_fma_f64 v[163:164], v[6:7], v[22:23], -v[24:25]
	scratch_load_b128 v[22:25], off, off offset:352
	ds_load_b128 v[6:9], v1 offset:768
	s_waitcnt vmcnt(9) lgkmcnt(1)
	v_mul_f64 v[161:162], v[2:3], v[28:29]
	v_mul_f64 v[28:29], v[4:5], v[28:29]
	v_add_f64 v[153:154], v[153:154], v[165:166]
	v_add_f64 v[155:156], v[155:156], v[157:158]
	s_waitcnt vmcnt(8) lgkmcnt(0)
	v_mul_f64 v[157:158], v[6:7], v[32:33]
	v_mul_f64 v[32:33], v[8:9], v[32:33]
	;; [unrolled: 18-line block ×4, first 2 shown]
	v_fma_f64 v[157:158], v[4:5], v[38:39], v[157:158]
	v_fma_f64 v[165:166], v[2:3], v[38:39], -v[40:41]
	ds_load_b128 v[2:5], v1 offset:848
	scratch_load_b128 v[38:41], off, off offset:432
	v_add_f64 v[153:154], v[153:154], v[163:164]
	v_add_f64 v[155:156], v[155:156], v[161:162]
	v_fma_f64 v[159:160], v[8:9], v[145:146], v[159:160]
	v_fma_f64 v[163:164], v[6:7], v[145:146], -v[147:148]
	ds_load_b128 v[6:9], v1 offset:864
	s_waitcnt vmcnt(8) lgkmcnt(1)
	v_mul_f64 v[161:162], v[2:3], v[12:13]
	v_mul_f64 v[12:13], v[4:5], v[12:13]
	scratch_load_b128 v[145:148], off, off offset:448
	v_add_f64 v[153:154], v[153:154], v[165:166]
	v_add_f64 v[155:156], v[155:156], v[157:158]
	s_waitcnt vmcnt(8) lgkmcnt(0)
	v_mul_f64 v[157:158], v[6:7], v[16:17]
	v_mul_f64 v[16:17], v[8:9], v[16:17]
	v_fma_f64 v[161:162], v[4:5], v[10:11], v[161:162]
	v_fma_f64 v[165:166], v[2:3], v[10:11], -v[12:13]
	scratch_load_b128 v[10:13], off, off offset:464
	ds_load_b128 v[2:5], v1 offset:880
	v_add_f64 v[153:154], v[153:154], v[163:164]
	v_add_f64 v[155:156], v[155:156], v[159:160]
	v_fma_f64 v[157:158], v[8:9], v[14:15], v[157:158]
	v_fma_f64 v[163:164], v[6:7], v[14:15], -v[16:17]
	ds_load_b128 v[6:9], v1 offset:896
	s_waitcnt vmcnt(8) lgkmcnt(1)
	v_mul_f64 v[159:160], v[2:3], v[20:21]
	v_mul_f64 v[20:21], v[4:5], v[20:21]
	scratch_load_b128 v[14:17], off, off offset:480
	v_add_f64 v[153:154], v[153:154], v[165:166]
	v_add_f64 v[155:156], v[155:156], v[161:162]
	s_waitcnt vmcnt(8) lgkmcnt(0)
	v_mul_f64 v[161:162], v[6:7], v[24:25]
	v_mul_f64 v[24:25], v[8:9], v[24:25]
	v_fma_f64 v[159:160], v[4:5], v[18:19], v[159:160]
	v_fma_f64 v[165:166], v[2:3], v[18:19], -v[20:21]
	scratch_load_b128 v[18:21], off, off offset:496
	ds_load_b128 v[2:5], v1 offset:912
	;; [unrolled: 18-line block ×3, first 2 shown]
	v_add_f64 v[153:154], v[153:154], v[163:164]
	v_add_f64 v[155:156], v[155:156], v[161:162]
	v_fma_f64 v[159:160], v[8:9], v[30:31], v[159:160]
	v_fma_f64 v[30:31], v[6:7], v[30:31], -v[32:33]
	ds_load_b128 v[6:9], v1 offset:960
	s_waitcnt vmcnt(8) lgkmcnt(1)
	v_mul_f64 v[161:162], v[2:3], v[36:37]
	v_mul_f64 v[36:37], v[4:5], v[36:37]
	v_add_f64 v[32:33], v[153:154], v[165:166]
	v_add_f64 v[153:154], v[155:156], v[157:158]
	s_waitcnt vmcnt(7) lgkmcnt(0)
	v_mul_f64 v[155:156], v[6:7], v[151:152]
	v_mul_f64 v[151:152], v[8:9], v[151:152]
	v_fma_f64 v[157:158], v[4:5], v[34:35], v[161:162]
	v_fma_f64 v[34:35], v[2:3], v[34:35], -v[36:37]
	ds_load_b128 v[2:5], v1 offset:976
	v_add_f64 v[30:31], v[32:33], v[30:31]
	v_add_f64 v[32:33], v[153:154], v[159:160]
	v_fma_f64 v[153:154], v[8:9], v[149:150], v[155:156]
	v_fma_f64 v[149:150], v[6:7], v[149:150], -v[151:152]
	ds_load_b128 v[6:9], v1 offset:992
	s_waitcnt vmcnt(5) lgkmcnt(0)
	v_mul_f64 v[155:156], v[6:7], v[147:148]
	v_mul_f64 v[147:148], v[8:9], v[147:148]
	v_add_f64 v[34:35], v[30:31], v[34:35]
	v_add_f64 v[151:152], v[32:33], v[157:158]
	scratch_load_b128 v[30:33], off, off offset:96
	v_mul_f64 v[36:37], v[2:3], v[40:41]
	v_mul_f64 v[40:41], v[4:5], v[40:41]
	v_add_f64 v[34:35], v[34:35], v[149:150]
	s_delay_alu instid0(VALU_DEP_3) | instskip(NEXT) | instid1(VALU_DEP_3)
	v_fma_f64 v[36:37], v[4:5], v[38:39], v[36:37]
	v_fma_f64 v[38:39], v[2:3], v[38:39], -v[40:41]
	v_add_f64 v[40:41], v[151:152], v[153:154]
	ds_load_b128 v[2:5], v1 offset:1008
	v_fma_f64 v[151:152], v[8:9], v[145:146], v[155:156]
	v_fma_f64 v[145:146], v[6:7], v[145:146], -v[147:148]
	ds_load_b128 v[6:9], v1 offset:1024
	s_waitcnt vmcnt(5) lgkmcnt(1)
	v_mul_f64 v[149:150], v[2:3], v[12:13]
	v_mul_f64 v[12:13], v[4:5], v[12:13]
	v_add_f64 v[34:35], v[34:35], v[38:39]
	v_add_f64 v[36:37], v[40:41], v[36:37]
	s_waitcnt vmcnt(4) lgkmcnt(0)
	v_mul_f64 v[38:39], v[6:7], v[16:17]
	v_mul_f64 v[16:17], v[8:9], v[16:17]
	v_fma_f64 v[40:41], v[4:5], v[10:11], v[149:150]
	v_fma_f64 v[10:11], v[2:3], v[10:11], -v[12:13]
	ds_load_b128 v[2:5], v1 offset:1040
	v_add_f64 v[12:13], v[34:35], v[145:146]
	v_add_f64 v[34:35], v[36:37], v[151:152]
	v_fma_f64 v[38:39], v[8:9], v[14:15], v[38:39]
	v_fma_f64 v[14:15], v[6:7], v[14:15], -v[16:17]
	ds_load_b128 v[6:9], v1 offset:1056
	s_waitcnt vmcnt(3) lgkmcnt(1)
	v_mul_f64 v[36:37], v[2:3], v[20:21]
	v_mul_f64 v[20:21], v[4:5], v[20:21]
	s_waitcnt vmcnt(2) lgkmcnt(0)
	v_mul_f64 v[16:17], v[6:7], v[24:25]
	v_mul_f64 v[24:25], v[8:9], v[24:25]
	v_add_f64 v[10:11], v[12:13], v[10:11]
	v_add_f64 v[12:13], v[34:35], v[40:41]
	v_fma_f64 v[34:35], v[4:5], v[18:19], v[36:37]
	v_fma_f64 v[18:19], v[2:3], v[18:19], -v[20:21]
	ds_load_b128 v[2:5], v1 offset:1072
	v_fma_f64 v[8:9], v[8:9], v[22:23], v[16:17]
	v_fma_f64 v[6:7], v[6:7], v[22:23], -v[24:25]
	s_waitcnt vmcnt(1) lgkmcnt(0)
	v_mul_f64 v[20:21], v[4:5], v[28:29]
	v_add_f64 v[10:11], v[10:11], v[14:15]
	v_add_f64 v[12:13], v[12:13], v[38:39]
	v_mul_f64 v[14:15], v[2:3], v[28:29]
	s_delay_alu instid0(VALU_DEP_4) | instskip(NEXT) | instid1(VALU_DEP_4)
	v_fma_f64 v[2:3], v[2:3], v[26:27], -v[20:21]
	v_add_f64 v[10:11], v[10:11], v[18:19]
	s_delay_alu instid0(VALU_DEP_4) | instskip(NEXT) | instid1(VALU_DEP_4)
	v_add_f64 v[12:13], v[12:13], v[34:35]
	v_fma_f64 v[4:5], v[4:5], v[26:27], v[14:15]
	s_delay_alu instid0(VALU_DEP_3) | instskip(NEXT) | instid1(VALU_DEP_3)
	v_add_f64 v[6:7], v[10:11], v[6:7]
	v_add_f64 v[8:9], v[12:13], v[8:9]
	s_delay_alu instid0(VALU_DEP_2) | instskip(NEXT) | instid1(VALU_DEP_2)
	v_add_f64 v[2:3], v[6:7], v[2:3]
	v_add_f64 v[4:5], v[8:9], v[4:5]
	s_waitcnt vmcnt(0)
	s_delay_alu instid0(VALU_DEP_2) | instskip(NEXT) | instid1(VALU_DEP_2)
	v_add_f64 v[2:3], v[30:31], -v[2:3]
	v_add_f64 v[4:5], v[32:33], -v[4:5]
	scratch_store_b128 off, v[2:5], off offset:96
	v_cmpx_lt_u32_e32 5, v110
	s_cbranch_execz .LBB97_207
; %bb.206:
	scratch_load_b128 v[5:8], v143, off
	v_mov_b32_e32 v2, v1
	v_mov_b32_e32 v3, v1
	;; [unrolled: 1-line block ×3, first 2 shown]
	scratch_store_b128 off, v[1:4], off offset:80
	s_waitcnt vmcnt(0)
	ds_store_b128 v144, v[5:8]
.LBB97_207:
	s_or_b32 exec_lo, exec_lo, s2
	s_waitcnt lgkmcnt(0)
	s_waitcnt_vscnt null, 0x0
	s_barrier
	buffer_gl0_inv
	s_clause 0x7
	scratch_load_b128 v[2:5], off, off offset:96
	scratch_load_b128 v[6:9], off, off offset:112
	;; [unrolled: 1-line block ×8, first 2 shown]
	ds_load_b128 v[38:41], v1 offset:640
	ds_load_b128 v[145:148], v1 offset:656
	s_clause 0x1
	scratch_load_b128 v[34:37], off, off offset:224
	scratch_load_b128 v[149:152], off, off offset:240
	s_mov_b32 s2, exec_lo
	s_waitcnt vmcnt(9) lgkmcnt(1)
	v_mul_f64 v[153:154], v[40:41], v[4:5]
	v_mul_f64 v[4:5], v[38:39], v[4:5]
	s_waitcnt vmcnt(8) lgkmcnt(0)
	v_mul_f64 v[155:156], v[145:146], v[8:9]
	v_mul_f64 v[8:9], v[147:148], v[8:9]
	s_delay_alu instid0(VALU_DEP_4) | instskip(NEXT) | instid1(VALU_DEP_4)
	v_fma_f64 v[153:154], v[38:39], v[2:3], -v[153:154]
	v_fma_f64 v[157:158], v[40:41], v[2:3], v[4:5]
	ds_load_b128 v[2:5], v1 offset:672
	scratch_load_b128 v[38:41], off, off offset:256
	v_fma_f64 v[155:156], v[147:148], v[6:7], v[155:156]
	v_fma_f64 v[161:162], v[145:146], v[6:7], -v[8:9]
	scratch_load_b128 v[145:148], off, off offset:272
	ds_load_b128 v[6:9], v1 offset:688
	s_waitcnt vmcnt(9) lgkmcnt(1)
	v_mul_f64 v[159:160], v[2:3], v[12:13]
	v_mul_f64 v[12:13], v[4:5], v[12:13]
	s_waitcnt vmcnt(8) lgkmcnt(0)
	v_mul_f64 v[163:164], v[6:7], v[16:17]
	v_mul_f64 v[16:17], v[8:9], v[16:17]
	v_add_f64 v[153:154], v[153:154], 0
	v_add_f64 v[157:158], v[157:158], 0
	v_fma_f64 v[159:160], v[4:5], v[10:11], v[159:160]
	v_fma_f64 v[165:166], v[2:3], v[10:11], -v[12:13]
	ds_load_b128 v[2:5], v1 offset:704
	scratch_load_b128 v[10:13], off, off offset:288
	v_add_f64 v[153:154], v[153:154], v[161:162]
	v_add_f64 v[155:156], v[157:158], v[155:156]
	v_fma_f64 v[161:162], v[8:9], v[14:15], v[163:164]
	v_fma_f64 v[163:164], v[6:7], v[14:15], -v[16:17]
	scratch_load_b128 v[14:17], off, off offset:304
	ds_load_b128 v[6:9], v1 offset:720
	s_waitcnt vmcnt(9) lgkmcnt(1)
	v_mul_f64 v[157:158], v[2:3], v[20:21]
	v_mul_f64 v[20:21], v[4:5], v[20:21]
	v_add_f64 v[153:154], v[153:154], v[165:166]
	v_add_f64 v[155:156], v[155:156], v[159:160]
	s_waitcnt vmcnt(8) lgkmcnt(0)
	v_mul_f64 v[159:160], v[6:7], v[24:25]
	v_mul_f64 v[24:25], v[8:9], v[24:25]
	v_fma_f64 v[157:158], v[4:5], v[18:19], v[157:158]
	v_fma_f64 v[165:166], v[2:3], v[18:19], -v[20:21]
	ds_load_b128 v[2:5], v1 offset:736
	scratch_load_b128 v[18:21], off, off offset:320
	v_add_f64 v[153:154], v[153:154], v[163:164]
	v_add_f64 v[155:156], v[155:156], v[161:162]
	v_fma_f64 v[159:160], v[8:9], v[22:23], v[159:160]
	v_fma_f64 v[163:164], v[6:7], v[22:23], -v[24:25]
	scratch_load_b128 v[22:25], off, off offset:336
	ds_load_b128 v[6:9], v1 offset:752
	s_waitcnt vmcnt(9) lgkmcnt(1)
	v_mul_f64 v[161:162], v[2:3], v[28:29]
	v_mul_f64 v[28:29], v[4:5], v[28:29]
	v_add_f64 v[153:154], v[153:154], v[165:166]
	v_add_f64 v[155:156], v[155:156], v[157:158]
	s_waitcnt vmcnt(8) lgkmcnt(0)
	v_mul_f64 v[157:158], v[6:7], v[32:33]
	v_mul_f64 v[32:33], v[8:9], v[32:33]
	;; [unrolled: 18-line block ×4, first 2 shown]
	v_fma_f64 v[157:158], v[4:5], v[38:39], v[157:158]
	v_fma_f64 v[165:166], v[2:3], v[38:39], -v[40:41]
	ds_load_b128 v[2:5], v1 offset:832
	scratch_load_b128 v[38:41], off, off offset:416
	v_add_f64 v[153:154], v[153:154], v[163:164]
	v_add_f64 v[155:156], v[155:156], v[161:162]
	v_fma_f64 v[159:160], v[8:9], v[145:146], v[159:160]
	v_fma_f64 v[163:164], v[6:7], v[145:146], -v[147:148]
	ds_load_b128 v[6:9], v1 offset:848
	s_waitcnt vmcnt(8) lgkmcnt(1)
	v_mul_f64 v[161:162], v[2:3], v[12:13]
	v_mul_f64 v[12:13], v[4:5], v[12:13]
	scratch_load_b128 v[145:148], off, off offset:432
	v_add_f64 v[153:154], v[153:154], v[165:166]
	v_add_f64 v[155:156], v[155:156], v[157:158]
	s_waitcnt vmcnt(8) lgkmcnt(0)
	v_mul_f64 v[157:158], v[6:7], v[16:17]
	v_mul_f64 v[16:17], v[8:9], v[16:17]
	v_fma_f64 v[161:162], v[4:5], v[10:11], v[161:162]
	v_fma_f64 v[165:166], v[2:3], v[10:11], -v[12:13]
	ds_load_b128 v[2:5], v1 offset:864
	scratch_load_b128 v[10:13], off, off offset:448
	v_add_f64 v[153:154], v[153:154], v[163:164]
	v_add_f64 v[155:156], v[155:156], v[159:160]
	v_fma_f64 v[157:158], v[8:9], v[14:15], v[157:158]
	v_fma_f64 v[163:164], v[6:7], v[14:15], -v[16:17]
	ds_load_b128 v[6:9], v1 offset:880
	s_waitcnt vmcnt(8) lgkmcnt(1)
	v_mul_f64 v[159:160], v[2:3], v[20:21]
	v_mul_f64 v[20:21], v[4:5], v[20:21]
	scratch_load_b128 v[14:17], off, off offset:464
	v_add_f64 v[153:154], v[153:154], v[165:166]
	v_add_f64 v[155:156], v[155:156], v[161:162]
	s_waitcnt vmcnt(8) lgkmcnt(0)
	v_mul_f64 v[161:162], v[6:7], v[24:25]
	v_mul_f64 v[24:25], v[8:9], v[24:25]
	v_fma_f64 v[159:160], v[4:5], v[18:19], v[159:160]
	v_fma_f64 v[165:166], v[2:3], v[18:19], -v[20:21]
	scratch_load_b128 v[18:21], off, off offset:480
	ds_load_b128 v[2:5], v1 offset:896
	v_add_f64 v[153:154], v[153:154], v[163:164]
	v_add_f64 v[155:156], v[155:156], v[157:158]
	v_fma_f64 v[161:162], v[8:9], v[22:23], v[161:162]
	v_fma_f64 v[163:164], v[6:7], v[22:23], -v[24:25]
	ds_load_b128 v[6:9], v1 offset:912
	s_waitcnt vmcnt(8) lgkmcnt(1)
	v_mul_f64 v[157:158], v[2:3], v[28:29]
	v_mul_f64 v[28:29], v[4:5], v[28:29]
	scratch_load_b128 v[22:25], off, off offset:496
	v_add_f64 v[153:154], v[153:154], v[165:166]
	v_add_f64 v[155:156], v[155:156], v[159:160]
	s_waitcnt vmcnt(8) lgkmcnt(0)
	v_mul_f64 v[159:160], v[6:7], v[32:33]
	v_mul_f64 v[32:33], v[8:9], v[32:33]
	v_fma_f64 v[157:158], v[4:5], v[26:27], v[157:158]
	v_fma_f64 v[165:166], v[2:3], v[26:27], -v[28:29]
	scratch_load_b128 v[26:29], off, off offset:512
	ds_load_b128 v[2:5], v1 offset:928
	v_add_f64 v[153:154], v[153:154], v[163:164]
	v_add_f64 v[155:156], v[155:156], v[161:162]
	v_fma_f64 v[159:160], v[8:9], v[30:31], v[159:160]
	v_fma_f64 v[163:164], v[6:7], v[30:31], -v[32:33]
	ds_load_b128 v[6:9], v1 offset:944
	s_waitcnt vmcnt(8) lgkmcnt(1)
	v_mul_f64 v[161:162], v[2:3], v[36:37]
	v_mul_f64 v[36:37], v[4:5], v[36:37]
	scratch_load_b128 v[30:33], off, off offset:528
	v_add_f64 v[153:154], v[153:154], v[165:166]
	v_add_f64 v[155:156], v[155:156], v[157:158]
	s_waitcnt vmcnt(8) lgkmcnt(0)
	v_mul_f64 v[157:158], v[6:7], v[151:152]
	v_mul_f64 v[151:152], v[8:9], v[151:152]
	v_fma_f64 v[161:162], v[4:5], v[34:35], v[161:162]
	v_fma_f64 v[34:35], v[2:3], v[34:35], -v[36:37]
	ds_load_b128 v[2:5], v1 offset:960
	v_add_f64 v[36:37], v[153:154], v[163:164]
	v_add_f64 v[153:154], v[155:156], v[159:160]
	v_fma_f64 v[157:158], v[8:9], v[149:150], v[157:158]
	v_fma_f64 v[149:150], v[6:7], v[149:150], -v[151:152]
	ds_load_b128 v[6:9], v1 offset:976
	s_waitcnt vmcnt(7) lgkmcnt(1)
	v_mul_f64 v[155:156], v[2:3], v[40:41]
	v_mul_f64 v[40:41], v[4:5], v[40:41]
	v_add_f64 v[34:35], v[36:37], v[34:35]
	v_add_f64 v[36:37], v[153:154], v[161:162]
	s_delay_alu instid0(VALU_DEP_4) | instskip(NEXT) | instid1(VALU_DEP_4)
	v_fma_f64 v[153:154], v[4:5], v[38:39], v[155:156]
	v_fma_f64 v[38:39], v[2:3], v[38:39], -v[40:41]
	ds_load_b128 v[2:5], v1 offset:992
	v_add_f64 v[40:41], v[34:35], v[149:150]
	v_add_f64 v[149:150], v[36:37], v[157:158]
	scratch_load_b128 v[34:37], off, off offset:80
	s_waitcnt vmcnt(7) lgkmcnt(1)
	v_mul_f64 v[151:152], v[6:7], v[147:148]
	v_mul_f64 v[147:148], v[8:9], v[147:148]
	v_add_f64 v[38:39], v[40:41], v[38:39]
	v_add_f64 v[40:41], v[149:150], v[153:154]
	s_delay_alu instid0(VALU_DEP_4) | instskip(NEXT) | instid1(VALU_DEP_4)
	v_fma_f64 v[151:152], v[8:9], v[145:146], v[151:152]
	v_fma_f64 v[145:146], v[6:7], v[145:146], -v[147:148]
	ds_load_b128 v[6:9], v1 offset:1008
	s_waitcnt vmcnt(6) lgkmcnt(1)
	v_mul_f64 v[155:156], v[2:3], v[12:13]
	v_mul_f64 v[12:13], v[4:5], v[12:13]
	s_waitcnt vmcnt(5) lgkmcnt(0)
	v_mul_f64 v[147:148], v[6:7], v[16:17]
	v_mul_f64 v[16:17], v[8:9], v[16:17]
	s_delay_alu instid0(VALU_DEP_4) | instskip(NEXT) | instid1(VALU_DEP_4)
	v_fma_f64 v[149:150], v[4:5], v[10:11], v[155:156]
	v_fma_f64 v[10:11], v[2:3], v[10:11], -v[12:13]
	v_add_f64 v[12:13], v[38:39], v[145:146]
	v_add_f64 v[38:39], v[40:41], v[151:152]
	ds_load_b128 v[2:5], v1 offset:1024
	v_fma_f64 v[145:146], v[8:9], v[14:15], v[147:148]
	v_fma_f64 v[14:15], v[6:7], v[14:15], -v[16:17]
	ds_load_b128 v[6:9], v1 offset:1040
	s_waitcnt vmcnt(4) lgkmcnt(1)
	v_mul_f64 v[40:41], v[2:3], v[20:21]
	v_mul_f64 v[20:21], v[4:5], v[20:21]
	v_add_f64 v[10:11], v[12:13], v[10:11]
	v_add_f64 v[12:13], v[38:39], v[149:150]
	s_waitcnt vmcnt(3) lgkmcnt(0)
	v_mul_f64 v[16:17], v[6:7], v[24:25]
	v_mul_f64 v[24:25], v[8:9], v[24:25]
	v_fma_f64 v[38:39], v[4:5], v[18:19], v[40:41]
	v_fma_f64 v[18:19], v[2:3], v[18:19], -v[20:21]
	ds_load_b128 v[2:5], v1 offset:1056
	v_add_f64 v[10:11], v[10:11], v[14:15]
	v_add_f64 v[12:13], v[12:13], v[145:146]
	v_fma_f64 v[16:17], v[8:9], v[22:23], v[16:17]
	v_fma_f64 v[22:23], v[6:7], v[22:23], -v[24:25]
	ds_load_b128 v[6:9], v1 offset:1072
	s_waitcnt vmcnt(2) lgkmcnt(1)
	v_mul_f64 v[14:15], v[2:3], v[28:29]
	v_mul_f64 v[20:21], v[4:5], v[28:29]
	s_waitcnt vmcnt(1) lgkmcnt(0)
	v_mul_f64 v[24:25], v[8:9], v[32:33]
	v_add_f64 v[10:11], v[10:11], v[18:19]
	v_add_f64 v[12:13], v[12:13], v[38:39]
	v_mul_f64 v[18:19], v[6:7], v[32:33]
	v_fma_f64 v[4:5], v[4:5], v[26:27], v[14:15]
	v_fma_f64 v[1:2], v[2:3], v[26:27], -v[20:21]
	v_fma_f64 v[6:7], v[6:7], v[30:31], -v[24:25]
	v_add_f64 v[10:11], v[10:11], v[22:23]
	v_add_f64 v[12:13], v[12:13], v[16:17]
	v_fma_f64 v[8:9], v[8:9], v[30:31], v[18:19]
	s_delay_alu instid0(VALU_DEP_3) | instskip(NEXT) | instid1(VALU_DEP_3)
	v_add_f64 v[1:2], v[10:11], v[1:2]
	v_add_f64 v[3:4], v[12:13], v[4:5]
	s_delay_alu instid0(VALU_DEP_2) | instskip(NEXT) | instid1(VALU_DEP_2)
	v_add_f64 v[1:2], v[1:2], v[6:7]
	v_add_f64 v[3:4], v[3:4], v[8:9]
	s_waitcnt vmcnt(0)
	s_delay_alu instid0(VALU_DEP_2) | instskip(NEXT) | instid1(VALU_DEP_2)
	v_add_f64 v[1:2], v[34:35], -v[1:2]
	v_add_f64 v[3:4], v[36:37], -v[3:4]
	scratch_store_b128 off, v[1:4], off offset:80
	v_cmpx_lt_u32_e32 4, v110
	s_cbranch_execz .LBB97_209
; %bb.208:
	scratch_load_b128 v[1:4], v119, off
	v_mov_b32_e32 v5, 0
	s_delay_alu instid0(VALU_DEP_1)
	v_mov_b32_e32 v6, v5
	v_mov_b32_e32 v7, v5
	;; [unrolled: 1-line block ×3, first 2 shown]
	scratch_store_b128 off, v[5:8], off offset:64
	s_waitcnt vmcnt(0)
	ds_store_b128 v144, v[1:4]
.LBB97_209:
	s_or_b32 exec_lo, exec_lo, s2
	s_waitcnt lgkmcnt(0)
	s_waitcnt_vscnt null, 0x0
	s_barrier
	buffer_gl0_inv
	s_clause 0x7
	scratch_load_b128 v[2:5], off, off offset:80
	scratch_load_b128 v[6:9], off, off offset:96
	;; [unrolled: 1-line block ×8, first 2 shown]
	v_mov_b32_e32 v1, 0
	s_clause 0x1
	scratch_load_b128 v[34:37], off, off offset:208
	scratch_load_b128 v[149:152], off, off offset:224
	s_mov_b32 s2, exec_lo
	ds_load_b128 v[38:41], v1 offset:624
	ds_load_b128 v[145:148], v1 offset:640
	s_waitcnt vmcnt(9) lgkmcnt(1)
	v_mul_f64 v[153:154], v[40:41], v[4:5]
	v_mul_f64 v[4:5], v[38:39], v[4:5]
	s_waitcnt vmcnt(8) lgkmcnt(0)
	v_mul_f64 v[155:156], v[145:146], v[8:9]
	v_mul_f64 v[8:9], v[147:148], v[8:9]
	s_delay_alu instid0(VALU_DEP_4) | instskip(NEXT) | instid1(VALU_DEP_4)
	v_fma_f64 v[153:154], v[38:39], v[2:3], -v[153:154]
	v_fma_f64 v[157:158], v[40:41], v[2:3], v[4:5]
	ds_load_b128 v[2:5], v1 offset:656
	scratch_load_b128 v[38:41], off, off offset:240
	v_fma_f64 v[155:156], v[147:148], v[6:7], v[155:156]
	v_fma_f64 v[161:162], v[145:146], v[6:7], -v[8:9]
	scratch_load_b128 v[145:148], off, off offset:256
	ds_load_b128 v[6:9], v1 offset:672
	s_waitcnt vmcnt(9) lgkmcnt(1)
	v_mul_f64 v[159:160], v[2:3], v[12:13]
	v_mul_f64 v[12:13], v[4:5], v[12:13]
	s_waitcnt vmcnt(8) lgkmcnt(0)
	v_mul_f64 v[163:164], v[6:7], v[16:17]
	v_mul_f64 v[16:17], v[8:9], v[16:17]
	v_add_f64 v[153:154], v[153:154], 0
	v_add_f64 v[157:158], v[157:158], 0
	v_fma_f64 v[159:160], v[4:5], v[10:11], v[159:160]
	v_fma_f64 v[165:166], v[2:3], v[10:11], -v[12:13]
	ds_load_b128 v[2:5], v1 offset:688
	scratch_load_b128 v[10:13], off, off offset:272
	v_add_f64 v[153:154], v[153:154], v[161:162]
	v_add_f64 v[155:156], v[157:158], v[155:156]
	v_fma_f64 v[161:162], v[8:9], v[14:15], v[163:164]
	v_fma_f64 v[163:164], v[6:7], v[14:15], -v[16:17]
	scratch_load_b128 v[14:17], off, off offset:288
	ds_load_b128 v[6:9], v1 offset:704
	s_waitcnt vmcnt(9) lgkmcnt(1)
	v_mul_f64 v[157:158], v[2:3], v[20:21]
	v_mul_f64 v[20:21], v[4:5], v[20:21]
	v_add_f64 v[153:154], v[153:154], v[165:166]
	v_add_f64 v[155:156], v[155:156], v[159:160]
	s_waitcnt vmcnt(8) lgkmcnt(0)
	v_mul_f64 v[159:160], v[6:7], v[24:25]
	v_mul_f64 v[24:25], v[8:9], v[24:25]
	v_fma_f64 v[157:158], v[4:5], v[18:19], v[157:158]
	v_fma_f64 v[165:166], v[2:3], v[18:19], -v[20:21]
	ds_load_b128 v[2:5], v1 offset:720
	scratch_load_b128 v[18:21], off, off offset:304
	v_add_f64 v[153:154], v[153:154], v[163:164]
	v_add_f64 v[155:156], v[155:156], v[161:162]
	v_fma_f64 v[159:160], v[8:9], v[22:23], v[159:160]
	v_fma_f64 v[163:164], v[6:7], v[22:23], -v[24:25]
	scratch_load_b128 v[22:25], off, off offset:320
	ds_load_b128 v[6:9], v1 offset:736
	s_waitcnt vmcnt(9) lgkmcnt(1)
	v_mul_f64 v[161:162], v[2:3], v[28:29]
	v_mul_f64 v[28:29], v[4:5], v[28:29]
	v_add_f64 v[153:154], v[153:154], v[165:166]
	v_add_f64 v[155:156], v[155:156], v[157:158]
	s_waitcnt vmcnt(8) lgkmcnt(0)
	v_mul_f64 v[157:158], v[6:7], v[32:33]
	v_mul_f64 v[32:33], v[8:9], v[32:33]
	v_fma_f64 v[161:162], v[4:5], v[26:27], v[161:162]
	v_fma_f64 v[165:166], v[2:3], v[26:27], -v[28:29]
	ds_load_b128 v[2:5], v1 offset:752
	scratch_load_b128 v[26:29], off, off offset:336
	v_add_f64 v[153:154], v[153:154], v[163:164]
	v_add_f64 v[155:156], v[155:156], v[159:160]
	v_fma_f64 v[157:158], v[8:9], v[30:31], v[157:158]
	v_fma_f64 v[163:164], v[6:7], v[30:31], -v[32:33]
	scratch_load_b128 v[30:33], off, off offset:352
	ds_load_b128 v[6:9], v1 offset:768
	s_waitcnt vmcnt(9) lgkmcnt(1)
	v_mul_f64 v[159:160], v[2:3], v[36:37]
	v_mul_f64 v[36:37], v[4:5], v[36:37]
	v_add_f64 v[153:154], v[153:154], v[165:166]
	v_add_f64 v[155:156], v[155:156], v[161:162]
	s_waitcnt vmcnt(8) lgkmcnt(0)
	v_mul_f64 v[161:162], v[6:7], v[151:152]
	v_mul_f64 v[151:152], v[8:9], v[151:152]
	v_fma_f64 v[159:160], v[4:5], v[34:35], v[159:160]
	v_fma_f64 v[165:166], v[2:3], v[34:35], -v[36:37]
	ds_load_b128 v[2:5], v1 offset:784
	scratch_load_b128 v[34:37], off, off offset:368
	v_add_f64 v[153:154], v[153:154], v[163:164]
	v_add_f64 v[155:156], v[155:156], v[157:158]
	v_fma_f64 v[161:162], v[8:9], v[149:150], v[161:162]
	v_fma_f64 v[163:164], v[6:7], v[149:150], -v[151:152]
	scratch_load_b128 v[149:152], off, off offset:384
	ds_load_b128 v[6:9], v1 offset:800
	s_waitcnt vmcnt(9) lgkmcnt(1)
	v_mul_f64 v[157:158], v[2:3], v[40:41]
	v_mul_f64 v[40:41], v[4:5], v[40:41]
	v_add_f64 v[153:154], v[153:154], v[165:166]
	v_add_f64 v[155:156], v[155:156], v[159:160]
	s_waitcnt vmcnt(8) lgkmcnt(0)
	v_mul_f64 v[159:160], v[6:7], v[147:148]
	v_mul_f64 v[147:148], v[8:9], v[147:148]
	v_fma_f64 v[157:158], v[4:5], v[38:39], v[157:158]
	v_fma_f64 v[165:166], v[2:3], v[38:39], -v[40:41]
	ds_load_b128 v[2:5], v1 offset:816
	scratch_load_b128 v[38:41], off, off offset:400
	v_add_f64 v[153:154], v[153:154], v[163:164]
	v_add_f64 v[155:156], v[155:156], v[161:162]
	v_fma_f64 v[159:160], v[8:9], v[145:146], v[159:160]
	v_fma_f64 v[163:164], v[6:7], v[145:146], -v[147:148]
	scratch_load_b128 v[145:148], off, off offset:416
	ds_load_b128 v[6:9], v1 offset:832
	s_waitcnt vmcnt(9) lgkmcnt(1)
	v_mul_f64 v[161:162], v[2:3], v[12:13]
	v_mul_f64 v[12:13], v[4:5], v[12:13]
	v_add_f64 v[153:154], v[153:154], v[165:166]
	v_add_f64 v[155:156], v[155:156], v[157:158]
	s_waitcnt vmcnt(8) lgkmcnt(0)
	v_mul_f64 v[157:158], v[6:7], v[16:17]
	v_mul_f64 v[16:17], v[8:9], v[16:17]
	v_fma_f64 v[161:162], v[4:5], v[10:11], v[161:162]
	v_fma_f64 v[165:166], v[2:3], v[10:11], -v[12:13]
	ds_load_b128 v[2:5], v1 offset:848
	scratch_load_b128 v[10:13], off, off offset:432
	v_add_f64 v[153:154], v[153:154], v[163:164]
	v_add_f64 v[155:156], v[155:156], v[159:160]
	v_fma_f64 v[157:158], v[8:9], v[14:15], v[157:158]
	v_fma_f64 v[163:164], v[6:7], v[14:15], -v[16:17]
	ds_load_b128 v[6:9], v1 offset:864
	s_waitcnt vmcnt(8) lgkmcnt(1)
	v_mul_f64 v[159:160], v[2:3], v[20:21]
	v_mul_f64 v[20:21], v[4:5], v[20:21]
	scratch_load_b128 v[14:17], off, off offset:448
	v_add_f64 v[153:154], v[153:154], v[165:166]
	v_add_f64 v[155:156], v[155:156], v[161:162]
	s_waitcnt vmcnt(8) lgkmcnt(0)
	v_mul_f64 v[161:162], v[6:7], v[24:25]
	v_mul_f64 v[24:25], v[8:9], v[24:25]
	v_fma_f64 v[159:160], v[4:5], v[18:19], v[159:160]
	v_fma_f64 v[165:166], v[2:3], v[18:19], -v[20:21]
	scratch_load_b128 v[18:21], off, off offset:464
	ds_load_b128 v[2:5], v1 offset:880
	v_add_f64 v[153:154], v[153:154], v[163:164]
	v_add_f64 v[155:156], v[155:156], v[157:158]
	v_fma_f64 v[161:162], v[8:9], v[22:23], v[161:162]
	v_fma_f64 v[163:164], v[6:7], v[22:23], -v[24:25]
	ds_load_b128 v[6:9], v1 offset:896
	s_waitcnt vmcnt(8) lgkmcnt(1)
	v_mul_f64 v[157:158], v[2:3], v[28:29]
	v_mul_f64 v[28:29], v[4:5], v[28:29]
	scratch_load_b128 v[22:25], off, off offset:480
	v_add_f64 v[153:154], v[153:154], v[165:166]
	v_add_f64 v[155:156], v[155:156], v[159:160]
	s_waitcnt vmcnt(8) lgkmcnt(0)
	v_mul_f64 v[159:160], v[6:7], v[32:33]
	v_mul_f64 v[32:33], v[8:9], v[32:33]
	v_fma_f64 v[157:158], v[4:5], v[26:27], v[157:158]
	v_fma_f64 v[165:166], v[2:3], v[26:27], -v[28:29]
	scratch_load_b128 v[26:29], off, off offset:496
	ds_load_b128 v[2:5], v1 offset:912
	;; [unrolled: 18-line block ×3, first 2 shown]
	v_add_f64 v[153:154], v[153:154], v[163:164]
	v_add_f64 v[155:156], v[155:156], v[159:160]
	v_fma_f64 v[157:158], v[8:9], v[149:150], v[157:158]
	v_fma_f64 v[149:150], v[6:7], v[149:150], -v[151:152]
	ds_load_b128 v[6:9], v1 offset:960
	s_waitcnt vmcnt(8) lgkmcnt(1)
	v_mul_f64 v[159:160], v[2:3], v[40:41]
	v_mul_f64 v[40:41], v[4:5], v[40:41]
	v_add_f64 v[151:152], v[153:154], v[165:166]
	v_add_f64 v[153:154], v[155:156], v[161:162]
	s_waitcnt vmcnt(7) lgkmcnt(0)
	v_mul_f64 v[155:156], v[6:7], v[147:148]
	v_mul_f64 v[147:148], v[8:9], v[147:148]
	v_fma_f64 v[159:160], v[4:5], v[38:39], v[159:160]
	v_fma_f64 v[38:39], v[2:3], v[38:39], -v[40:41]
	ds_load_b128 v[2:5], v1 offset:976
	v_add_f64 v[40:41], v[151:152], v[149:150]
	v_add_f64 v[149:150], v[153:154], v[157:158]
	v_fma_f64 v[153:154], v[8:9], v[145:146], v[155:156]
	v_fma_f64 v[145:146], v[6:7], v[145:146], -v[147:148]
	ds_load_b128 v[6:9], v1 offset:992
	s_waitcnt vmcnt(5) lgkmcnt(0)
	v_mul_f64 v[155:156], v[6:7], v[16:17]
	v_mul_f64 v[16:17], v[8:9], v[16:17]
	v_add_f64 v[147:148], v[40:41], v[38:39]
	v_add_f64 v[149:150], v[149:150], v[159:160]
	scratch_load_b128 v[38:41], off, off offset:64
	v_mul_f64 v[151:152], v[2:3], v[12:13]
	v_mul_f64 v[12:13], v[4:5], v[12:13]
	s_delay_alu instid0(VALU_DEP_2) | instskip(NEXT) | instid1(VALU_DEP_2)
	v_fma_f64 v[151:152], v[4:5], v[10:11], v[151:152]
	v_fma_f64 v[10:11], v[2:3], v[10:11], -v[12:13]
	v_add_f64 v[12:13], v[147:148], v[145:146]
	v_add_f64 v[145:146], v[149:150], v[153:154]
	ds_load_b128 v[2:5], v1 offset:1008
	v_fma_f64 v[149:150], v[8:9], v[14:15], v[155:156]
	v_fma_f64 v[14:15], v[6:7], v[14:15], -v[16:17]
	ds_load_b128 v[6:9], v1 offset:1024
	s_waitcnt vmcnt(5) lgkmcnt(1)
	v_mul_f64 v[147:148], v[2:3], v[20:21]
	v_mul_f64 v[20:21], v[4:5], v[20:21]
	s_waitcnt vmcnt(4) lgkmcnt(0)
	v_mul_f64 v[16:17], v[6:7], v[24:25]
	v_mul_f64 v[24:25], v[8:9], v[24:25]
	v_add_f64 v[10:11], v[12:13], v[10:11]
	v_add_f64 v[12:13], v[145:146], v[151:152]
	v_fma_f64 v[145:146], v[4:5], v[18:19], v[147:148]
	v_fma_f64 v[18:19], v[2:3], v[18:19], -v[20:21]
	ds_load_b128 v[2:5], v1 offset:1040
	v_fma_f64 v[16:17], v[8:9], v[22:23], v[16:17]
	v_fma_f64 v[22:23], v[6:7], v[22:23], -v[24:25]
	ds_load_b128 v[6:9], v1 offset:1056
	v_add_f64 v[10:11], v[10:11], v[14:15]
	v_add_f64 v[12:13], v[12:13], v[149:150]
	s_waitcnt vmcnt(3) lgkmcnt(1)
	v_mul_f64 v[14:15], v[2:3], v[28:29]
	v_mul_f64 v[20:21], v[4:5], v[28:29]
	s_waitcnt vmcnt(2) lgkmcnt(0)
	v_mul_f64 v[24:25], v[8:9], v[32:33]
	v_add_f64 v[10:11], v[10:11], v[18:19]
	v_add_f64 v[12:13], v[12:13], v[145:146]
	v_mul_f64 v[18:19], v[6:7], v[32:33]
	v_fma_f64 v[14:15], v[4:5], v[26:27], v[14:15]
	v_fma_f64 v[20:21], v[2:3], v[26:27], -v[20:21]
	ds_load_b128 v[2:5], v1 offset:1072
	v_fma_f64 v[6:7], v[6:7], v[30:31], -v[24:25]
	v_add_f64 v[10:11], v[10:11], v[22:23]
	v_add_f64 v[12:13], v[12:13], v[16:17]
	s_waitcnt vmcnt(1) lgkmcnt(0)
	v_mul_f64 v[16:17], v[2:3], v[36:37]
	v_mul_f64 v[22:23], v[4:5], v[36:37]
	v_fma_f64 v[8:9], v[8:9], v[30:31], v[18:19]
	v_add_f64 v[10:11], v[10:11], v[20:21]
	v_add_f64 v[12:13], v[12:13], v[14:15]
	v_fma_f64 v[4:5], v[4:5], v[34:35], v[16:17]
	v_fma_f64 v[2:3], v[2:3], v[34:35], -v[22:23]
	s_delay_alu instid0(VALU_DEP_4) | instskip(NEXT) | instid1(VALU_DEP_4)
	v_add_f64 v[6:7], v[10:11], v[6:7]
	v_add_f64 v[8:9], v[12:13], v[8:9]
	s_delay_alu instid0(VALU_DEP_2) | instskip(NEXT) | instid1(VALU_DEP_2)
	v_add_f64 v[2:3], v[6:7], v[2:3]
	v_add_f64 v[4:5], v[8:9], v[4:5]
	s_waitcnt vmcnt(0)
	s_delay_alu instid0(VALU_DEP_2) | instskip(NEXT) | instid1(VALU_DEP_2)
	v_add_f64 v[2:3], v[38:39], -v[2:3]
	v_add_f64 v[4:5], v[40:41], -v[4:5]
	scratch_store_b128 off, v[2:5], off offset:64
	v_cmpx_lt_u32_e32 3, v110
	s_cbranch_execz .LBB97_211
; %bb.210:
	scratch_load_b128 v[5:8], v121, off
	v_mov_b32_e32 v2, v1
	v_mov_b32_e32 v3, v1
	;; [unrolled: 1-line block ×3, first 2 shown]
	scratch_store_b128 off, v[1:4], off offset:48
	s_waitcnt vmcnt(0)
	ds_store_b128 v144, v[5:8]
.LBB97_211:
	s_or_b32 exec_lo, exec_lo, s2
	s_waitcnt lgkmcnt(0)
	s_waitcnt_vscnt null, 0x0
	s_barrier
	buffer_gl0_inv
	s_clause 0x7
	scratch_load_b128 v[2:5], off, off offset:64
	scratch_load_b128 v[6:9], off, off offset:80
	;; [unrolled: 1-line block ×8, first 2 shown]
	ds_load_b128 v[38:41], v1 offset:608
	ds_load_b128 v[145:148], v1 offset:624
	s_clause 0x1
	scratch_load_b128 v[34:37], off, off offset:192
	scratch_load_b128 v[149:152], off, off offset:208
	s_mov_b32 s2, exec_lo
	s_waitcnt vmcnt(9) lgkmcnt(1)
	v_mul_f64 v[153:154], v[40:41], v[4:5]
	v_mul_f64 v[4:5], v[38:39], v[4:5]
	s_waitcnt vmcnt(8) lgkmcnt(0)
	v_mul_f64 v[155:156], v[145:146], v[8:9]
	v_mul_f64 v[8:9], v[147:148], v[8:9]
	s_delay_alu instid0(VALU_DEP_4) | instskip(NEXT) | instid1(VALU_DEP_4)
	v_fma_f64 v[153:154], v[38:39], v[2:3], -v[153:154]
	v_fma_f64 v[157:158], v[40:41], v[2:3], v[4:5]
	ds_load_b128 v[2:5], v1 offset:640
	scratch_load_b128 v[38:41], off, off offset:224
	v_fma_f64 v[155:156], v[147:148], v[6:7], v[155:156]
	v_fma_f64 v[161:162], v[145:146], v[6:7], -v[8:9]
	scratch_load_b128 v[145:148], off, off offset:240
	ds_load_b128 v[6:9], v1 offset:656
	s_waitcnt vmcnt(9) lgkmcnt(1)
	v_mul_f64 v[159:160], v[2:3], v[12:13]
	v_mul_f64 v[12:13], v[4:5], v[12:13]
	s_waitcnt vmcnt(8) lgkmcnt(0)
	v_mul_f64 v[163:164], v[6:7], v[16:17]
	v_mul_f64 v[16:17], v[8:9], v[16:17]
	v_add_f64 v[153:154], v[153:154], 0
	v_add_f64 v[157:158], v[157:158], 0
	v_fma_f64 v[159:160], v[4:5], v[10:11], v[159:160]
	v_fma_f64 v[165:166], v[2:3], v[10:11], -v[12:13]
	scratch_load_b128 v[10:13], off, off offset:256
	ds_load_b128 v[2:5], v1 offset:672
	v_add_f64 v[153:154], v[153:154], v[161:162]
	v_add_f64 v[155:156], v[157:158], v[155:156]
	v_fma_f64 v[161:162], v[8:9], v[14:15], v[163:164]
	v_fma_f64 v[163:164], v[6:7], v[14:15], -v[16:17]
	ds_load_b128 v[6:9], v1 offset:688
	scratch_load_b128 v[14:17], off, off offset:272
	s_waitcnt vmcnt(9) lgkmcnt(1)
	v_mul_f64 v[157:158], v[2:3], v[20:21]
	v_mul_f64 v[20:21], v[4:5], v[20:21]
	v_add_f64 v[153:154], v[153:154], v[165:166]
	v_add_f64 v[155:156], v[155:156], v[159:160]
	s_waitcnt vmcnt(8) lgkmcnt(0)
	v_mul_f64 v[159:160], v[6:7], v[24:25]
	v_mul_f64 v[24:25], v[8:9], v[24:25]
	v_fma_f64 v[157:158], v[4:5], v[18:19], v[157:158]
	v_fma_f64 v[165:166], v[2:3], v[18:19], -v[20:21]
	ds_load_b128 v[2:5], v1 offset:704
	scratch_load_b128 v[18:21], off, off offset:288
	v_add_f64 v[153:154], v[153:154], v[163:164]
	v_add_f64 v[155:156], v[155:156], v[161:162]
	v_fma_f64 v[159:160], v[8:9], v[22:23], v[159:160]
	v_fma_f64 v[163:164], v[6:7], v[22:23], -v[24:25]
	scratch_load_b128 v[22:25], off, off offset:304
	ds_load_b128 v[6:9], v1 offset:720
	s_waitcnt vmcnt(9) lgkmcnt(1)
	v_mul_f64 v[161:162], v[2:3], v[28:29]
	v_mul_f64 v[28:29], v[4:5], v[28:29]
	v_add_f64 v[153:154], v[153:154], v[165:166]
	v_add_f64 v[155:156], v[155:156], v[157:158]
	s_waitcnt vmcnt(8) lgkmcnt(0)
	v_mul_f64 v[157:158], v[6:7], v[32:33]
	v_mul_f64 v[32:33], v[8:9], v[32:33]
	v_fma_f64 v[161:162], v[4:5], v[26:27], v[161:162]
	v_fma_f64 v[165:166], v[2:3], v[26:27], -v[28:29]
	ds_load_b128 v[2:5], v1 offset:736
	scratch_load_b128 v[26:29], off, off offset:320
	v_add_f64 v[153:154], v[153:154], v[163:164]
	v_add_f64 v[155:156], v[155:156], v[159:160]
	v_fma_f64 v[157:158], v[8:9], v[30:31], v[157:158]
	v_fma_f64 v[163:164], v[6:7], v[30:31], -v[32:33]
	scratch_load_b128 v[30:33], off, off offset:336
	ds_load_b128 v[6:9], v1 offset:752
	;; [unrolled: 18-line block ×3, first 2 shown]
	s_waitcnt vmcnt(9) lgkmcnt(1)
	v_mul_f64 v[157:158], v[2:3], v[40:41]
	v_mul_f64 v[40:41], v[4:5], v[40:41]
	v_add_f64 v[153:154], v[153:154], v[165:166]
	v_add_f64 v[155:156], v[155:156], v[159:160]
	s_waitcnt vmcnt(8) lgkmcnt(0)
	v_mul_f64 v[159:160], v[6:7], v[147:148]
	v_mul_f64 v[147:148], v[8:9], v[147:148]
	v_fma_f64 v[157:158], v[4:5], v[38:39], v[157:158]
	v_fma_f64 v[165:166], v[2:3], v[38:39], -v[40:41]
	ds_load_b128 v[2:5], v1 offset:800
	scratch_load_b128 v[38:41], off, off offset:384
	v_add_f64 v[153:154], v[153:154], v[163:164]
	v_add_f64 v[155:156], v[155:156], v[161:162]
	v_fma_f64 v[159:160], v[8:9], v[145:146], v[159:160]
	v_fma_f64 v[163:164], v[6:7], v[145:146], -v[147:148]
	ds_load_b128 v[6:9], v1 offset:816
	s_waitcnt vmcnt(8) lgkmcnt(1)
	v_mul_f64 v[161:162], v[2:3], v[12:13]
	v_mul_f64 v[12:13], v[4:5], v[12:13]
	scratch_load_b128 v[145:148], off, off offset:400
	v_add_f64 v[153:154], v[153:154], v[165:166]
	v_add_f64 v[155:156], v[155:156], v[157:158]
	s_waitcnt vmcnt(8) lgkmcnt(0)
	v_mul_f64 v[157:158], v[6:7], v[16:17]
	v_mul_f64 v[16:17], v[8:9], v[16:17]
	v_fma_f64 v[161:162], v[4:5], v[10:11], v[161:162]
	v_fma_f64 v[165:166], v[2:3], v[10:11], -v[12:13]
	scratch_load_b128 v[10:13], off, off offset:416
	ds_load_b128 v[2:5], v1 offset:832
	v_add_f64 v[153:154], v[153:154], v[163:164]
	v_add_f64 v[155:156], v[155:156], v[159:160]
	v_fma_f64 v[157:158], v[8:9], v[14:15], v[157:158]
	v_fma_f64 v[163:164], v[6:7], v[14:15], -v[16:17]
	ds_load_b128 v[6:9], v1 offset:848
	s_waitcnt vmcnt(8) lgkmcnt(1)
	v_mul_f64 v[159:160], v[2:3], v[20:21]
	v_mul_f64 v[20:21], v[4:5], v[20:21]
	scratch_load_b128 v[14:17], off, off offset:432
	v_add_f64 v[153:154], v[153:154], v[165:166]
	v_add_f64 v[155:156], v[155:156], v[161:162]
	s_waitcnt vmcnt(8) lgkmcnt(0)
	v_mul_f64 v[161:162], v[6:7], v[24:25]
	v_mul_f64 v[24:25], v[8:9], v[24:25]
	v_fma_f64 v[159:160], v[4:5], v[18:19], v[159:160]
	v_fma_f64 v[165:166], v[2:3], v[18:19], -v[20:21]
	scratch_load_b128 v[18:21], off, off offset:448
	ds_load_b128 v[2:5], v1 offset:864
	;; [unrolled: 18-line block ×4, first 2 shown]
	v_add_f64 v[153:154], v[153:154], v[163:164]
	v_add_f64 v[155:156], v[155:156], v[159:160]
	v_fma_f64 v[157:158], v[8:9], v[149:150], v[157:158]
	v_fma_f64 v[163:164], v[6:7], v[149:150], -v[151:152]
	ds_load_b128 v[6:9], v1 offset:944
	s_waitcnt vmcnt(8) lgkmcnt(1)
	v_mul_f64 v[159:160], v[2:3], v[40:41]
	v_mul_f64 v[40:41], v[4:5], v[40:41]
	scratch_load_b128 v[149:152], off, off offset:528
	v_add_f64 v[153:154], v[153:154], v[165:166]
	v_add_f64 v[155:156], v[155:156], v[161:162]
	v_fma_f64 v[159:160], v[4:5], v[38:39], v[159:160]
	v_fma_f64 v[38:39], v[2:3], v[38:39], -v[40:41]
	ds_load_b128 v[2:5], v1 offset:960
	v_add_f64 v[40:41], v[153:154], v[163:164]
	v_add_f64 v[153:154], v[155:156], v[157:158]
	s_waitcnt vmcnt(7) lgkmcnt(0)
	v_mul_f64 v[155:156], v[2:3], v[12:13]
	v_mul_f64 v[12:13], v[4:5], v[12:13]
	s_delay_alu instid0(VALU_DEP_4) | instskip(NEXT) | instid1(VALU_DEP_4)
	v_add_f64 v[38:39], v[40:41], v[38:39]
	v_add_f64 v[40:41], v[153:154], v[159:160]
	s_delay_alu instid0(VALU_DEP_4) | instskip(NEXT) | instid1(VALU_DEP_4)
	v_fma_f64 v[153:154], v[4:5], v[10:11], v[155:156]
	v_fma_f64 v[155:156], v[2:3], v[10:11], -v[12:13]
	scratch_load_b128 v[10:13], off, off offset:48
	v_mul_f64 v[161:162], v[6:7], v[147:148]
	v_mul_f64 v[147:148], v[8:9], v[147:148]
	ds_load_b128 v[2:5], v1 offset:992
	v_fma_f64 v[157:158], v[8:9], v[145:146], v[161:162]
	v_fma_f64 v[145:146], v[6:7], v[145:146], -v[147:148]
	ds_load_b128 v[6:9], v1 offset:976
	s_waitcnt vmcnt(7) lgkmcnt(0)
	v_mul_f64 v[147:148], v[6:7], v[16:17]
	v_mul_f64 v[16:17], v[8:9], v[16:17]
	v_add_f64 v[40:41], v[40:41], v[157:158]
	v_add_f64 v[38:39], v[38:39], v[145:146]
	s_waitcnt vmcnt(6)
	v_mul_f64 v[145:146], v[2:3], v[20:21]
	v_mul_f64 v[20:21], v[4:5], v[20:21]
	v_fma_f64 v[147:148], v[8:9], v[14:15], v[147:148]
	v_fma_f64 v[14:15], v[6:7], v[14:15], -v[16:17]
	ds_load_b128 v[6:9], v1 offset:1008
	v_add_f64 v[16:17], v[38:39], v[155:156]
	v_add_f64 v[38:39], v[40:41], v[153:154]
	v_fma_f64 v[145:146], v[4:5], v[18:19], v[145:146]
	v_fma_f64 v[18:19], v[2:3], v[18:19], -v[20:21]
	ds_load_b128 v[2:5], v1 offset:1024
	s_waitcnt vmcnt(5) lgkmcnt(1)
	v_mul_f64 v[40:41], v[6:7], v[24:25]
	v_mul_f64 v[24:25], v[8:9], v[24:25]
	s_waitcnt vmcnt(4) lgkmcnt(0)
	v_mul_f64 v[20:21], v[2:3], v[28:29]
	v_mul_f64 v[28:29], v[4:5], v[28:29]
	v_add_f64 v[14:15], v[16:17], v[14:15]
	v_add_f64 v[16:17], v[38:39], v[147:148]
	v_fma_f64 v[38:39], v[8:9], v[22:23], v[40:41]
	v_fma_f64 v[22:23], v[6:7], v[22:23], -v[24:25]
	ds_load_b128 v[6:9], v1 offset:1040
	v_fma_f64 v[20:21], v[4:5], v[26:27], v[20:21]
	v_fma_f64 v[26:27], v[2:3], v[26:27], -v[28:29]
	ds_load_b128 v[2:5], v1 offset:1056
	s_waitcnt vmcnt(3) lgkmcnt(1)
	v_mul_f64 v[24:25], v[8:9], v[32:33]
	v_add_f64 v[14:15], v[14:15], v[18:19]
	v_add_f64 v[16:17], v[16:17], v[145:146]
	v_mul_f64 v[18:19], v[6:7], v[32:33]
	s_waitcnt vmcnt(2) lgkmcnt(0)
	v_mul_f64 v[28:29], v[4:5], v[36:37]
	v_fma_f64 v[24:25], v[6:7], v[30:31], -v[24:25]
	v_add_f64 v[14:15], v[14:15], v[22:23]
	v_add_f64 v[16:17], v[16:17], v[38:39]
	v_mul_f64 v[22:23], v[2:3], v[36:37]
	v_fma_f64 v[18:19], v[8:9], v[30:31], v[18:19]
	ds_load_b128 v[6:9], v1 offset:1072
	v_fma_f64 v[1:2], v[2:3], v[34:35], -v[28:29]
	v_add_f64 v[14:15], v[14:15], v[26:27]
	v_add_f64 v[16:17], v[16:17], v[20:21]
	s_waitcnt vmcnt(1) lgkmcnt(0)
	v_mul_f64 v[20:21], v[6:7], v[151:152]
	v_mul_f64 v[26:27], v[8:9], v[151:152]
	v_fma_f64 v[4:5], v[4:5], v[34:35], v[22:23]
	v_add_f64 v[14:15], v[14:15], v[24:25]
	v_add_f64 v[16:17], v[16:17], v[18:19]
	v_fma_f64 v[8:9], v[8:9], v[149:150], v[20:21]
	v_fma_f64 v[6:7], v[6:7], v[149:150], -v[26:27]
	s_delay_alu instid0(VALU_DEP_4) | instskip(NEXT) | instid1(VALU_DEP_4)
	v_add_f64 v[1:2], v[14:15], v[1:2]
	v_add_f64 v[3:4], v[16:17], v[4:5]
	s_delay_alu instid0(VALU_DEP_2) | instskip(NEXT) | instid1(VALU_DEP_2)
	v_add_f64 v[1:2], v[1:2], v[6:7]
	v_add_f64 v[3:4], v[3:4], v[8:9]
	s_waitcnt vmcnt(0)
	s_delay_alu instid0(VALU_DEP_2) | instskip(NEXT) | instid1(VALU_DEP_2)
	v_add_f64 v[1:2], v[10:11], -v[1:2]
	v_add_f64 v[3:4], v[12:13], -v[3:4]
	scratch_store_b128 off, v[1:4], off offset:48
	v_cmpx_lt_u32_e32 2, v110
	s_cbranch_execz .LBB97_213
; %bb.212:
	scratch_load_b128 v[1:4], v120, off
	v_mov_b32_e32 v5, 0
	s_delay_alu instid0(VALU_DEP_1)
	v_mov_b32_e32 v6, v5
	v_mov_b32_e32 v7, v5
	;; [unrolled: 1-line block ×3, first 2 shown]
	scratch_store_b128 off, v[5:8], off offset:32
	s_waitcnt vmcnt(0)
	ds_store_b128 v144, v[1:4]
.LBB97_213:
	s_or_b32 exec_lo, exec_lo, s2
	s_waitcnt lgkmcnt(0)
	s_waitcnt_vscnt null, 0x0
	s_barrier
	buffer_gl0_inv
	s_clause 0x7
	scratch_load_b128 v[2:5], off, off offset:48
	scratch_load_b128 v[6:9], off, off offset:64
	;; [unrolled: 1-line block ×8, first 2 shown]
	v_mov_b32_e32 v1, 0
	s_clause 0x1
	scratch_load_b128 v[34:37], off, off offset:176
	scratch_load_b128 v[149:152], off, off offset:192
	s_mov_b32 s2, exec_lo
	ds_load_b128 v[38:41], v1 offset:592
	ds_load_b128 v[145:148], v1 offset:608
	s_waitcnt vmcnt(9) lgkmcnt(1)
	v_mul_f64 v[153:154], v[40:41], v[4:5]
	v_mul_f64 v[4:5], v[38:39], v[4:5]
	s_waitcnt vmcnt(8) lgkmcnt(0)
	v_mul_f64 v[155:156], v[145:146], v[8:9]
	v_mul_f64 v[8:9], v[147:148], v[8:9]
	s_delay_alu instid0(VALU_DEP_4) | instskip(NEXT) | instid1(VALU_DEP_4)
	v_fma_f64 v[153:154], v[38:39], v[2:3], -v[153:154]
	v_fma_f64 v[157:158], v[40:41], v[2:3], v[4:5]
	ds_load_b128 v[2:5], v1 offset:624
	scratch_load_b128 v[38:41], off, off offset:208
	v_fma_f64 v[155:156], v[147:148], v[6:7], v[155:156]
	v_fma_f64 v[161:162], v[145:146], v[6:7], -v[8:9]
	scratch_load_b128 v[145:148], off, off offset:224
	ds_load_b128 v[6:9], v1 offset:640
	s_waitcnt vmcnt(9) lgkmcnt(1)
	v_mul_f64 v[159:160], v[2:3], v[12:13]
	v_mul_f64 v[12:13], v[4:5], v[12:13]
	s_waitcnt vmcnt(8) lgkmcnt(0)
	v_mul_f64 v[163:164], v[6:7], v[16:17]
	v_mul_f64 v[16:17], v[8:9], v[16:17]
	v_add_f64 v[153:154], v[153:154], 0
	v_add_f64 v[157:158], v[157:158], 0
	v_fma_f64 v[159:160], v[4:5], v[10:11], v[159:160]
	v_fma_f64 v[165:166], v[2:3], v[10:11], -v[12:13]
	ds_load_b128 v[2:5], v1 offset:656
	scratch_load_b128 v[10:13], off, off offset:240
	v_add_f64 v[153:154], v[153:154], v[161:162]
	v_add_f64 v[155:156], v[157:158], v[155:156]
	v_fma_f64 v[161:162], v[8:9], v[14:15], v[163:164]
	v_fma_f64 v[163:164], v[6:7], v[14:15], -v[16:17]
	scratch_load_b128 v[14:17], off, off offset:256
	ds_load_b128 v[6:9], v1 offset:672
	s_waitcnt vmcnt(9) lgkmcnt(1)
	v_mul_f64 v[157:158], v[2:3], v[20:21]
	v_mul_f64 v[20:21], v[4:5], v[20:21]
	v_add_f64 v[153:154], v[153:154], v[165:166]
	v_add_f64 v[155:156], v[155:156], v[159:160]
	s_waitcnt vmcnt(8) lgkmcnt(0)
	v_mul_f64 v[159:160], v[6:7], v[24:25]
	v_mul_f64 v[24:25], v[8:9], v[24:25]
	v_fma_f64 v[157:158], v[4:5], v[18:19], v[157:158]
	v_fma_f64 v[165:166], v[2:3], v[18:19], -v[20:21]
	ds_load_b128 v[2:5], v1 offset:688
	scratch_load_b128 v[18:21], off, off offset:272
	v_add_f64 v[153:154], v[153:154], v[163:164]
	v_add_f64 v[155:156], v[155:156], v[161:162]
	v_fma_f64 v[159:160], v[8:9], v[22:23], v[159:160]
	v_fma_f64 v[163:164], v[6:7], v[22:23], -v[24:25]
	scratch_load_b128 v[22:25], off, off offset:288
	ds_load_b128 v[6:9], v1 offset:704
	s_waitcnt vmcnt(9) lgkmcnt(1)
	v_mul_f64 v[161:162], v[2:3], v[28:29]
	v_mul_f64 v[28:29], v[4:5], v[28:29]
	v_add_f64 v[153:154], v[153:154], v[165:166]
	v_add_f64 v[155:156], v[155:156], v[157:158]
	s_waitcnt vmcnt(8) lgkmcnt(0)
	v_mul_f64 v[157:158], v[6:7], v[32:33]
	v_mul_f64 v[32:33], v[8:9], v[32:33]
	;; [unrolled: 18-line block ×6, first 2 shown]
	v_fma_f64 v[159:160], v[4:5], v[18:19], v[159:160]
	v_fma_f64 v[165:166], v[2:3], v[18:19], -v[20:21]
	ds_load_b128 v[2:5], v1 offset:848
	scratch_load_b128 v[18:21], off, off offset:432
	v_add_f64 v[153:154], v[153:154], v[163:164]
	v_add_f64 v[155:156], v[155:156], v[157:158]
	v_fma_f64 v[161:162], v[8:9], v[22:23], v[161:162]
	v_fma_f64 v[163:164], v[6:7], v[22:23], -v[24:25]
	ds_load_b128 v[6:9], v1 offset:864
	s_waitcnt vmcnt(8) lgkmcnt(1)
	v_mul_f64 v[157:158], v[2:3], v[28:29]
	v_mul_f64 v[28:29], v[4:5], v[28:29]
	scratch_load_b128 v[22:25], off, off offset:448
	v_add_f64 v[153:154], v[153:154], v[165:166]
	v_add_f64 v[155:156], v[155:156], v[159:160]
	s_waitcnt vmcnt(8) lgkmcnt(0)
	v_mul_f64 v[159:160], v[6:7], v[32:33]
	v_mul_f64 v[32:33], v[8:9], v[32:33]
	v_fma_f64 v[157:158], v[4:5], v[26:27], v[157:158]
	v_fma_f64 v[165:166], v[2:3], v[26:27], -v[28:29]
	scratch_load_b128 v[26:29], off, off offset:464
	ds_load_b128 v[2:5], v1 offset:880
	v_add_f64 v[153:154], v[153:154], v[163:164]
	v_add_f64 v[155:156], v[155:156], v[161:162]
	v_fma_f64 v[159:160], v[8:9], v[30:31], v[159:160]
	v_fma_f64 v[163:164], v[6:7], v[30:31], -v[32:33]
	ds_load_b128 v[6:9], v1 offset:896
	s_waitcnt vmcnt(8) lgkmcnt(1)
	v_mul_f64 v[161:162], v[2:3], v[36:37]
	v_mul_f64 v[36:37], v[4:5], v[36:37]
	scratch_load_b128 v[30:33], off, off offset:480
	v_add_f64 v[153:154], v[153:154], v[165:166]
	v_add_f64 v[155:156], v[155:156], v[157:158]
	s_waitcnt vmcnt(8) lgkmcnt(0)
	v_mul_f64 v[157:158], v[6:7], v[151:152]
	v_mul_f64 v[151:152], v[8:9], v[151:152]
	v_fma_f64 v[161:162], v[4:5], v[34:35], v[161:162]
	v_fma_f64 v[165:166], v[2:3], v[34:35], -v[36:37]
	scratch_load_b128 v[34:37], off, off offset:496
	ds_load_b128 v[2:5], v1 offset:912
	;; [unrolled: 18-line block ×3, first 2 shown]
	v_add_f64 v[153:154], v[153:154], v[163:164]
	v_add_f64 v[155:156], v[155:156], v[157:158]
	v_fma_f64 v[161:162], v[8:9], v[145:146], v[161:162]
	v_fma_f64 v[145:146], v[6:7], v[145:146], -v[147:148]
	ds_load_b128 v[6:9], v1 offset:960
	s_waitcnt vmcnt(8) lgkmcnt(1)
	v_mul_f64 v[157:158], v[2:3], v[12:13]
	v_mul_f64 v[12:13], v[4:5], v[12:13]
	v_add_f64 v[147:148], v[153:154], v[165:166]
	v_add_f64 v[153:154], v[155:156], v[159:160]
	s_waitcnt vmcnt(7) lgkmcnt(0)
	v_mul_f64 v[155:156], v[6:7], v[16:17]
	v_mul_f64 v[16:17], v[8:9], v[16:17]
	v_fma_f64 v[157:158], v[4:5], v[10:11], v[157:158]
	v_fma_f64 v[10:11], v[2:3], v[10:11], -v[12:13]
	ds_load_b128 v[2:5], v1 offset:976
	v_add_f64 v[12:13], v[147:148], v[145:146]
	v_add_f64 v[145:146], v[153:154], v[161:162]
	v_fma_f64 v[153:154], v[8:9], v[14:15], v[155:156]
	v_fma_f64 v[14:15], v[6:7], v[14:15], -v[16:17]
	ds_load_b128 v[6:9], v1 offset:992
	s_waitcnt vmcnt(5) lgkmcnt(0)
	v_mul_f64 v[155:156], v[6:7], v[24:25]
	v_mul_f64 v[24:25], v[8:9], v[24:25]
	v_add_f64 v[16:17], v[12:13], v[10:11]
	v_add_f64 v[145:146], v[145:146], v[157:158]
	scratch_load_b128 v[10:13], off, off offset:32
	v_mul_f64 v[147:148], v[2:3], v[20:21]
	v_mul_f64 v[20:21], v[4:5], v[20:21]
	v_add_f64 v[14:15], v[16:17], v[14:15]
	v_add_f64 v[16:17], v[145:146], v[153:154]
	v_fma_f64 v[145:146], v[8:9], v[22:23], v[155:156]
	v_fma_f64 v[147:148], v[4:5], v[18:19], v[147:148]
	v_fma_f64 v[18:19], v[2:3], v[18:19], -v[20:21]
	ds_load_b128 v[2:5], v1 offset:1008
	v_fma_f64 v[22:23], v[6:7], v[22:23], -v[24:25]
	ds_load_b128 v[6:9], v1 offset:1024
	s_waitcnt vmcnt(5) lgkmcnt(1)
	v_mul_f64 v[20:21], v[2:3], v[28:29]
	v_mul_f64 v[28:29], v[4:5], v[28:29]
	s_waitcnt vmcnt(4) lgkmcnt(0)
	v_mul_f64 v[24:25], v[8:9], v[32:33]
	v_add_f64 v[16:17], v[16:17], v[147:148]
	v_add_f64 v[14:15], v[14:15], v[18:19]
	v_mul_f64 v[18:19], v[6:7], v[32:33]
	v_fma_f64 v[20:21], v[4:5], v[26:27], v[20:21]
	v_fma_f64 v[26:27], v[2:3], v[26:27], -v[28:29]
	ds_load_b128 v[2:5], v1 offset:1040
	v_fma_f64 v[24:25], v[6:7], v[30:31], -v[24:25]
	v_add_f64 v[16:17], v[16:17], v[145:146]
	v_add_f64 v[14:15], v[14:15], v[22:23]
	v_fma_f64 v[18:19], v[8:9], v[30:31], v[18:19]
	ds_load_b128 v[6:9], v1 offset:1056
	s_waitcnt vmcnt(3) lgkmcnt(1)
	v_mul_f64 v[22:23], v[2:3], v[36:37]
	v_mul_f64 v[28:29], v[4:5], v[36:37]
	v_add_f64 v[16:17], v[16:17], v[20:21]
	v_add_f64 v[14:15], v[14:15], v[26:27]
	s_waitcnt vmcnt(2) lgkmcnt(0)
	v_mul_f64 v[20:21], v[6:7], v[151:152]
	v_mul_f64 v[26:27], v[8:9], v[151:152]
	v_fma_f64 v[22:23], v[4:5], v[34:35], v[22:23]
	v_fma_f64 v[28:29], v[2:3], v[34:35], -v[28:29]
	ds_load_b128 v[2:5], v1 offset:1072
	v_add_f64 v[16:17], v[16:17], v[18:19]
	v_add_f64 v[14:15], v[14:15], v[24:25]
	s_waitcnt vmcnt(1) lgkmcnt(0)
	v_mul_f64 v[18:19], v[2:3], v[40:41]
	v_mul_f64 v[24:25], v[4:5], v[40:41]
	v_fma_f64 v[8:9], v[8:9], v[149:150], v[20:21]
	v_fma_f64 v[6:7], v[6:7], v[149:150], -v[26:27]
	v_add_f64 v[16:17], v[16:17], v[22:23]
	v_add_f64 v[14:15], v[14:15], v[28:29]
	v_fma_f64 v[4:5], v[4:5], v[38:39], v[18:19]
	v_fma_f64 v[2:3], v[2:3], v[38:39], -v[24:25]
	s_delay_alu instid0(VALU_DEP_4) | instskip(NEXT) | instid1(VALU_DEP_4)
	v_add_f64 v[8:9], v[16:17], v[8:9]
	v_add_f64 v[6:7], v[14:15], v[6:7]
	s_delay_alu instid0(VALU_DEP_2) | instskip(NEXT) | instid1(VALU_DEP_2)
	v_add_f64 v[4:5], v[8:9], v[4:5]
	v_add_f64 v[2:3], v[6:7], v[2:3]
	s_waitcnt vmcnt(0)
	s_delay_alu instid0(VALU_DEP_2) | instskip(NEXT) | instid1(VALU_DEP_2)
	v_add_f64 v[4:5], v[12:13], -v[4:5]
	v_add_f64 v[2:3], v[10:11], -v[2:3]
	scratch_store_b128 off, v[2:5], off offset:32
	v_cmpx_lt_u32_e32 1, v110
	s_cbranch_execz .LBB97_215
; %bb.214:
	scratch_load_b128 v[5:8], v122, off
	v_mov_b32_e32 v2, v1
	v_mov_b32_e32 v3, v1
	;; [unrolled: 1-line block ×3, first 2 shown]
	scratch_store_b128 off, v[1:4], off offset:16
	s_waitcnt vmcnt(0)
	ds_store_b128 v144, v[5:8]
.LBB97_215:
	s_or_b32 exec_lo, exec_lo, s2
	s_waitcnt lgkmcnt(0)
	s_waitcnt_vscnt null, 0x0
	s_barrier
	buffer_gl0_inv
	s_clause 0x7
	scratch_load_b128 v[2:5], off, off offset:32
	scratch_load_b128 v[6:9], off, off offset:48
	;; [unrolled: 1-line block ×8, first 2 shown]
	ds_load_b128 v[38:41], v1 offset:576
	ds_load_b128 v[145:148], v1 offset:592
	s_clause 0x1
	scratch_load_b128 v[34:37], off, off offset:160
	scratch_load_b128 v[149:152], off, off offset:176
	s_mov_b32 s2, exec_lo
	s_waitcnt vmcnt(9) lgkmcnt(1)
	v_mul_f64 v[153:154], v[40:41], v[4:5]
	v_mul_f64 v[4:5], v[38:39], v[4:5]
	s_waitcnt vmcnt(8) lgkmcnt(0)
	v_mul_f64 v[155:156], v[145:146], v[8:9]
	v_mul_f64 v[8:9], v[147:148], v[8:9]
	s_delay_alu instid0(VALU_DEP_4) | instskip(NEXT) | instid1(VALU_DEP_4)
	v_fma_f64 v[153:154], v[38:39], v[2:3], -v[153:154]
	v_fma_f64 v[157:158], v[40:41], v[2:3], v[4:5]
	ds_load_b128 v[2:5], v1 offset:608
	scratch_load_b128 v[38:41], off, off offset:192
	v_fma_f64 v[155:156], v[147:148], v[6:7], v[155:156]
	v_fma_f64 v[161:162], v[145:146], v[6:7], -v[8:9]
	scratch_load_b128 v[145:148], off, off offset:208
	ds_load_b128 v[6:9], v1 offset:624
	s_waitcnt vmcnt(9) lgkmcnt(1)
	v_mul_f64 v[159:160], v[2:3], v[12:13]
	v_mul_f64 v[12:13], v[4:5], v[12:13]
	s_waitcnt vmcnt(8) lgkmcnt(0)
	v_mul_f64 v[163:164], v[6:7], v[16:17]
	v_mul_f64 v[16:17], v[8:9], v[16:17]
	v_add_f64 v[153:154], v[153:154], 0
	v_add_f64 v[157:158], v[157:158], 0
	v_fma_f64 v[159:160], v[4:5], v[10:11], v[159:160]
	v_fma_f64 v[165:166], v[2:3], v[10:11], -v[12:13]
	ds_load_b128 v[2:5], v1 offset:640
	scratch_load_b128 v[10:13], off, off offset:224
	v_add_f64 v[153:154], v[153:154], v[161:162]
	v_add_f64 v[155:156], v[157:158], v[155:156]
	v_fma_f64 v[161:162], v[8:9], v[14:15], v[163:164]
	v_fma_f64 v[163:164], v[6:7], v[14:15], -v[16:17]
	scratch_load_b128 v[14:17], off, off offset:240
	ds_load_b128 v[6:9], v1 offset:656
	s_waitcnt vmcnt(9) lgkmcnt(1)
	v_mul_f64 v[157:158], v[2:3], v[20:21]
	v_mul_f64 v[20:21], v[4:5], v[20:21]
	v_add_f64 v[153:154], v[153:154], v[165:166]
	v_add_f64 v[155:156], v[155:156], v[159:160]
	s_waitcnt vmcnt(8) lgkmcnt(0)
	v_mul_f64 v[159:160], v[6:7], v[24:25]
	v_mul_f64 v[24:25], v[8:9], v[24:25]
	v_fma_f64 v[157:158], v[4:5], v[18:19], v[157:158]
	v_fma_f64 v[165:166], v[2:3], v[18:19], -v[20:21]
	ds_load_b128 v[2:5], v1 offset:672
	scratch_load_b128 v[18:21], off, off offset:256
	v_add_f64 v[153:154], v[153:154], v[163:164]
	v_add_f64 v[155:156], v[155:156], v[161:162]
	v_fma_f64 v[159:160], v[8:9], v[22:23], v[159:160]
	v_fma_f64 v[163:164], v[6:7], v[22:23], -v[24:25]
	scratch_load_b128 v[22:25], off, off offset:272
	ds_load_b128 v[6:9], v1 offset:688
	s_waitcnt vmcnt(9) lgkmcnt(1)
	v_mul_f64 v[161:162], v[2:3], v[28:29]
	v_mul_f64 v[28:29], v[4:5], v[28:29]
	v_add_f64 v[153:154], v[153:154], v[165:166]
	v_add_f64 v[155:156], v[155:156], v[157:158]
	s_waitcnt vmcnt(8) lgkmcnt(0)
	v_mul_f64 v[157:158], v[6:7], v[32:33]
	v_mul_f64 v[32:33], v[8:9], v[32:33]
	;; [unrolled: 18-line block ×6, first 2 shown]
	v_fma_f64 v[159:160], v[4:5], v[18:19], v[159:160]
	v_fma_f64 v[165:166], v[2:3], v[18:19], -v[20:21]
	ds_load_b128 v[2:5], v1 offset:832
	scratch_load_b128 v[18:21], off, off offset:416
	v_add_f64 v[153:154], v[153:154], v[163:164]
	v_add_f64 v[155:156], v[155:156], v[157:158]
	v_fma_f64 v[161:162], v[8:9], v[22:23], v[161:162]
	v_fma_f64 v[163:164], v[6:7], v[22:23], -v[24:25]
	ds_load_b128 v[6:9], v1 offset:848
	s_waitcnt vmcnt(8) lgkmcnt(1)
	v_mul_f64 v[157:158], v[2:3], v[28:29]
	v_mul_f64 v[28:29], v[4:5], v[28:29]
	scratch_load_b128 v[22:25], off, off offset:432
	v_add_f64 v[153:154], v[153:154], v[165:166]
	v_add_f64 v[155:156], v[155:156], v[159:160]
	s_waitcnt vmcnt(8) lgkmcnt(0)
	v_mul_f64 v[159:160], v[6:7], v[32:33]
	v_mul_f64 v[32:33], v[8:9], v[32:33]
	v_fma_f64 v[157:158], v[4:5], v[26:27], v[157:158]
	v_fma_f64 v[165:166], v[2:3], v[26:27], -v[28:29]
	ds_load_b128 v[2:5], v1 offset:864
	scratch_load_b128 v[26:29], off, off offset:448
	v_add_f64 v[153:154], v[153:154], v[163:164]
	v_add_f64 v[155:156], v[155:156], v[161:162]
	v_fma_f64 v[159:160], v[8:9], v[30:31], v[159:160]
	v_fma_f64 v[163:164], v[6:7], v[30:31], -v[32:33]
	ds_load_b128 v[6:9], v1 offset:880
	s_waitcnt vmcnt(8) lgkmcnt(1)
	v_mul_f64 v[161:162], v[2:3], v[36:37]
	v_mul_f64 v[36:37], v[4:5], v[36:37]
	scratch_load_b128 v[30:33], off, off offset:464
	v_add_f64 v[153:154], v[153:154], v[165:166]
	v_add_f64 v[155:156], v[155:156], v[157:158]
	s_waitcnt vmcnt(8) lgkmcnt(0)
	v_mul_f64 v[157:158], v[6:7], v[151:152]
	v_mul_f64 v[151:152], v[8:9], v[151:152]
	v_fma_f64 v[161:162], v[4:5], v[34:35], v[161:162]
	v_fma_f64 v[165:166], v[2:3], v[34:35], -v[36:37]
	scratch_load_b128 v[34:37], off, off offset:480
	ds_load_b128 v[2:5], v1 offset:896
	v_add_f64 v[153:154], v[153:154], v[163:164]
	v_add_f64 v[155:156], v[155:156], v[159:160]
	v_fma_f64 v[157:158], v[8:9], v[149:150], v[157:158]
	v_fma_f64 v[163:164], v[6:7], v[149:150], -v[151:152]
	ds_load_b128 v[6:9], v1 offset:912
	s_waitcnt vmcnt(8) lgkmcnt(1)
	v_mul_f64 v[159:160], v[2:3], v[40:41]
	v_mul_f64 v[40:41], v[4:5], v[40:41]
	scratch_load_b128 v[149:152], off, off offset:496
	v_add_f64 v[153:154], v[153:154], v[165:166]
	v_add_f64 v[155:156], v[155:156], v[161:162]
	s_waitcnt vmcnt(8) lgkmcnt(0)
	v_mul_f64 v[161:162], v[6:7], v[147:148]
	v_mul_f64 v[147:148], v[8:9], v[147:148]
	v_fma_f64 v[159:160], v[4:5], v[38:39], v[159:160]
	v_fma_f64 v[165:166], v[2:3], v[38:39], -v[40:41]
	scratch_load_b128 v[38:41], off, off offset:512
	ds_load_b128 v[2:5], v1 offset:928
	v_add_f64 v[153:154], v[153:154], v[163:164]
	v_add_f64 v[155:156], v[155:156], v[157:158]
	v_fma_f64 v[161:162], v[8:9], v[145:146], v[161:162]
	v_fma_f64 v[163:164], v[6:7], v[145:146], -v[147:148]
	ds_load_b128 v[6:9], v1 offset:944
	s_waitcnt vmcnt(8) lgkmcnt(1)
	v_mul_f64 v[157:158], v[2:3], v[12:13]
	v_mul_f64 v[12:13], v[4:5], v[12:13]
	scratch_load_b128 v[145:148], off, off offset:528
	v_add_f64 v[153:154], v[153:154], v[165:166]
	v_add_f64 v[155:156], v[155:156], v[159:160]
	s_waitcnt vmcnt(8) lgkmcnt(0)
	v_mul_f64 v[159:160], v[6:7], v[16:17]
	v_mul_f64 v[16:17], v[8:9], v[16:17]
	v_fma_f64 v[157:158], v[4:5], v[10:11], v[157:158]
	v_fma_f64 v[10:11], v[2:3], v[10:11], -v[12:13]
	ds_load_b128 v[2:5], v1 offset:960
	v_add_f64 v[12:13], v[153:154], v[163:164]
	v_add_f64 v[153:154], v[155:156], v[161:162]
	v_fma_f64 v[159:160], v[8:9], v[14:15], v[159:160]
	v_fma_f64 v[14:15], v[6:7], v[14:15], -v[16:17]
	ds_load_b128 v[6:9], v1 offset:976
	s_waitcnt vmcnt(7) lgkmcnt(1)
	v_mul_f64 v[155:156], v[2:3], v[20:21]
	v_mul_f64 v[20:21], v[4:5], v[20:21]
	v_add_f64 v[10:11], v[12:13], v[10:11]
	v_add_f64 v[12:13], v[153:154], v[157:158]
	s_delay_alu instid0(VALU_DEP_4) | instskip(NEXT) | instid1(VALU_DEP_4)
	v_fma_f64 v[153:154], v[4:5], v[18:19], v[155:156]
	v_fma_f64 v[18:19], v[2:3], v[18:19], -v[20:21]
	ds_load_b128 v[2:5], v1 offset:992
	v_add_f64 v[14:15], v[10:11], v[14:15]
	v_add_f64 v[20:21], v[12:13], v[159:160]
	scratch_load_b128 v[10:13], off, off offset:16
	s_waitcnt vmcnt(7) lgkmcnt(1)
	v_mul_f64 v[16:17], v[6:7], v[24:25]
	v_mul_f64 v[24:25], v[8:9], v[24:25]
	v_add_f64 v[14:15], v[14:15], v[18:19]
	v_add_f64 v[18:19], v[20:21], v[153:154]
	s_delay_alu instid0(VALU_DEP_4) | instskip(NEXT) | instid1(VALU_DEP_4)
	v_fma_f64 v[16:17], v[8:9], v[22:23], v[16:17]
	v_fma_f64 v[22:23], v[6:7], v[22:23], -v[24:25]
	ds_load_b128 v[6:9], v1 offset:1008
	s_waitcnt vmcnt(6) lgkmcnt(1)
	v_mul_f64 v[155:156], v[2:3], v[28:29]
	v_mul_f64 v[28:29], v[4:5], v[28:29]
	s_waitcnt vmcnt(5) lgkmcnt(0)
	v_mul_f64 v[20:21], v[6:7], v[32:33]
	v_mul_f64 v[24:25], v[8:9], v[32:33]
	v_add_f64 v[16:17], v[18:19], v[16:17]
	v_add_f64 v[14:15], v[14:15], v[22:23]
	v_fma_f64 v[32:33], v[4:5], v[26:27], v[155:156]
	v_fma_f64 v[26:27], v[2:3], v[26:27], -v[28:29]
	ds_load_b128 v[2:5], v1 offset:1024
	v_fma_f64 v[20:21], v[8:9], v[30:31], v[20:21]
	v_fma_f64 v[24:25], v[6:7], v[30:31], -v[24:25]
	ds_load_b128 v[6:9], v1 offset:1040
	s_waitcnt vmcnt(4) lgkmcnt(1)
	v_mul_f64 v[18:19], v[2:3], v[36:37]
	v_mul_f64 v[22:23], v[4:5], v[36:37]
	v_add_f64 v[16:17], v[16:17], v[32:33]
	v_add_f64 v[14:15], v[14:15], v[26:27]
	s_waitcnt vmcnt(3) lgkmcnt(0)
	v_mul_f64 v[26:27], v[6:7], v[151:152]
	v_mul_f64 v[28:29], v[8:9], v[151:152]
	v_fma_f64 v[18:19], v[4:5], v[34:35], v[18:19]
	v_fma_f64 v[22:23], v[2:3], v[34:35], -v[22:23]
	ds_load_b128 v[2:5], v1 offset:1056
	v_add_f64 v[16:17], v[16:17], v[20:21]
	v_add_f64 v[14:15], v[14:15], v[24:25]
	v_fma_f64 v[26:27], v[8:9], v[149:150], v[26:27]
	v_fma_f64 v[28:29], v[6:7], v[149:150], -v[28:29]
	ds_load_b128 v[6:9], v1 offset:1072
	s_waitcnt vmcnt(2) lgkmcnt(1)
	v_mul_f64 v[20:21], v[2:3], v[40:41]
	v_mul_f64 v[24:25], v[4:5], v[40:41]
	v_add_f64 v[16:17], v[16:17], v[18:19]
	v_add_f64 v[14:15], v[14:15], v[22:23]
	s_waitcnt vmcnt(1) lgkmcnt(0)
	v_mul_f64 v[18:19], v[6:7], v[147:148]
	v_mul_f64 v[22:23], v[8:9], v[147:148]
	v_fma_f64 v[4:5], v[4:5], v[38:39], v[20:21]
	v_fma_f64 v[1:2], v[2:3], v[38:39], -v[24:25]
	v_add_f64 v[16:17], v[16:17], v[26:27]
	v_add_f64 v[14:15], v[14:15], v[28:29]
	v_fma_f64 v[8:9], v[8:9], v[145:146], v[18:19]
	v_fma_f64 v[6:7], v[6:7], v[145:146], -v[22:23]
	s_delay_alu instid0(VALU_DEP_4) | instskip(NEXT) | instid1(VALU_DEP_4)
	v_add_f64 v[3:4], v[16:17], v[4:5]
	v_add_f64 v[1:2], v[14:15], v[1:2]
	s_delay_alu instid0(VALU_DEP_2) | instskip(NEXT) | instid1(VALU_DEP_2)
	v_add_f64 v[3:4], v[3:4], v[8:9]
	v_add_f64 v[1:2], v[1:2], v[6:7]
	s_waitcnt vmcnt(0)
	s_delay_alu instid0(VALU_DEP_2) | instskip(NEXT) | instid1(VALU_DEP_2)
	v_add_f64 v[3:4], v[12:13], -v[3:4]
	v_add_f64 v[1:2], v[10:11], -v[1:2]
	scratch_store_b128 off, v[1:4], off offset:16
	v_cmpx_ne_u32_e32 0, v110
	s_cbranch_execz .LBB97_217
; %bb.216:
	scratch_load_b128 v[1:4], off, off
	v_mov_b32_e32 v5, 0
	s_delay_alu instid0(VALU_DEP_1)
	v_mov_b32_e32 v6, v5
	v_mov_b32_e32 v7, v5
	;; [unrolled: 1-line block ×3, first 2 shown]
	scratch_store_b128 off, v[5:8], off
	s_waitcnt vmcnt(0)
	ds_store_b128 v144, v[1:4]
.LBB97_217:
	s_or_b32 exec_lo, exec_lo, s2
	s_waitcnt lgkmcnt(0)
	s_waitcnt_vscnt null, 0x0
	s_barrier
	buffer_gl0_inv
	s_clause 0x7
	scratch_load_b128 v[1:4], off, off offset:16
	scratch_load_b128 v[5:8], off, off offset:32
	;; [unrolled: 1-line block ×8, first 2 shown]
	v_mov_b32_e32 v41, 0
	s_clause 0x1
	scratch_load_b128 v[33:36], off, off offset:144
	scratch_load_b128 v[148:151], off, off offset:160
	s_and_b32 vcc_lo, exec_lo, s14
	ds_load_b128 v[37:40], v41 offset:560
	ds_load_b128 v[144:147], v41 offset:576
	s_waitcnt vmcnt(9) lgkmcnt(1)
	v_mul_f64 v[152:153], v[39:40], v[3:4]
	v_mul_f64 v[3:4], v[37:38], v[3:4]
	s_waitcnt vmcnt(8) lgkmcnt(0)
	v_mul_f64 v[154:155], v[144:145], v[7:8]
	v_mul_f64 v[7:8], v[146:147], v[7:8]
	s_delay_alu instid0(VALU_DEP_4) | instskip(NEXT) | instid1(VALU_DEP_4)
	v_fma_f64 v[152:153], v[37:38], v[1:2], -v[152:153]
	v_fma_f64 v[156:157], v[39:40], v[1:2], v[3:4]
	ds_load_b128 v[1:4], v41 offset:592
	scratch_load_b128 v[37:40], off, off offset:176
	v_fma_f64 v[154:155], v[146:147], v[5:6], v[154:155]
	v_fma_f64 v[160:161], v[144:145], v[5:6], -v[7:8]
	scratch_load_b128 v[144:147], off, off offset:192
	ds_load_b128 v[5:8], v41 offset:608
	s_waitcnt vmcnt(9) lgkmcnt(1)
	v_mul_f64 v[158:159], v[1:2], v[11:12]
	v_mul_f64 v[11:12], v[3:4], v[11:12]
	s_waitcnt vmcnt(8) lgkmcnt(0)
	v_mul_f64 v[162:163], v[5:6], v[15:16]
	v_mul_f64 v[15:16], v[7:8], v[15:16]
	v_add_f64 v[152:153], v[152:153], 0
	v_add_f64 v[156:157], v[156:157], 0
	v_fma_f64 v[158:159], v[3:4], v[9:10], v[158:159]
	v_fma_f64 v[164:165], v[1:2], v[9:10], -v[11:12]
	ds_load_b128 v[1:4], v41 offset:624
	scratch_load_b128 v[9:12], off, off offset:208
	v_add_f64 v[152:153], v[152:153], v[160:161]
	v_add_f64 v[154:155], v[156:157], v[154:155]
	v_fma_f64 v[160:161], v[7:8], v[13:14], v[162:163]
	v_fma_f64 v[162:163], v[5:6], v[13:14], -v[15:16]
	scratch_load_b128 v[13:16], off, off offset:224
	ds_load_b128 v[5:8], v41 offset:640
	s_waitcnt vmcnt(9) lgkmcnt(1)
	v_mul_f64 v[156:157], v[1:2], v[19:20]
	v_mul_f64 v[19:20], v[3:4], v[19:20]
	v_add_f64 v[152:153], v[152:153], v[164:165]
	v_add_f64 v[154:155], v[154:155], v[158:159]
	s_waitcnt vmcnt(8) lgkmcnt(0)
	v_mul_f64 v[158:159], v[5:6], v[23:24]
	v_mul_f64 v[23:24], v[7:8], v[23:24]
	v_fma_f64 v[156:157], v[3:4], v[17:18], v[156:157]
	v_fma_f64 v[164:165], v[1:2], v[17:18], -v[19:20]
	ds_load_b128 v[1:4], v41 offset:656
	scratch_load_b128 v[17:20], off, off offset:240
	v_add_f64 v[152:153], v[152:153], v[162:163]
	v_add_f64 v[154:155], v[154:155], v[160:161]
	v_fma_f64 v[158:159], v[7:8], v[21:22], v[158:159]
	v_fma_f64 v[162:163], v[5:6], v[21:22], -v[23:24]
	scratch_load_b128 v[21:24], off, off offset:256
	ds_load_b128 v[5:8], v41 offset:672
	s_waitcnt vmcnt(9) lgkmcnt(1)
	v_mul_f64 v[160:161], v[1:2], v[27:28]
	v_mul_f64 v[27:28], v[3:4], v[27:28]
	v_add_f64 v[152:153], v[152:153], v[164:165]
	v_add_f64 v[154:155], v[154:155], v[156:157]
	s_waitcnt vmcnt(8) lgkmcnt(0)
	v_mul_f64 v[156:157], v[5:6], v[31:32]
	v_mul_f64 v[31:32], v[7:8], v[31:32]
	;; [unrolled: 18-line block ×7, first 2 shown]
	v_fma_f64 v[156:157], v[3:4], v[25:26], v[156:157]
	v_fma_f64 v[164:165], v[1:2], v[25:26], -v[27:28]
	ds_load_b128 v[1:4], v41 offset:848
	scratch_load_b128 v[25:28], off, off offset:432
	v_add_f64 v[152:153], v[152:153], v[162:163]
	v_add_f64 v[154:155], v[154:155], v[160:161]
	v_fma_f64 v[158:159], v[7:8], v[29:30], v[158:159]
	v_fma_f64 v[162:163], v[5:6], v[29:30], -v[31:32]
	ds_load_b128 v[5:8], v41 offset:864
	s_waitcnt vmcnt(8) lgkmcnt(1)
	v_mul_f64 v[160:161], v[1:2], v[35:36]
	v_mul_f64 v[35:36], v[3:4], v[35:36]
	scratch_load_b128 v[29:32], off, off offset:448
	v_add_f64 v[152:153], v[152:153], v[164:165]
	v_add_f64 v[154:155], v[154:155], v[156:157]
	s_waitcnt vmcnt(8) lgkmcnt(0)
	v_mul_f64 v[156:157], v[5:6], v[150:151]
	v_mul_f64 v[150:151], v[7:8], v[150:151]
	v_fma_f64 v[160:161], v[3:4], v[33:34], v[160:161]
	v_fma_f64 v[164:165], v[1:2], v[33:34], -v[35:36]
	scratch_load_b128 v[33:36], off, off offset:464
	ds_load_b128 v[1:4], v41 offset:880
	v_add_f64 v[152:153], v[152:153], v[162:163]
	v_add_f64 v[154:155], v[154:155], v[158:159]
	v_fma_f64 v[156:157], v[7:8], v[148:149], v[156:157]
	v_fma_f64 v[162:163], v[5:6], v[148:149], -v[150:151]
	ds_load_b128 v[5:8], v41 offset:896
	s_waitcnt vmcnt(8) lgkmcnt(1)
	v_mul_f64 v[158:159], v[1:2], v[39:40]
	v_mul_f64 v[39:40], v[3:4], v[39:40]
	scratch_load_b128 v[148:151], off, off offset:480
	v_add_f64 v[152:153], v[152:153], v[164:165]
	v_add_f64 v[154:155], v[154:155], v[160:161]
	s_waitcnt vmcnt(8) lgkmcnt(0)
	v_mul_f64 v[160:161], v[5:6], v[146:147]
	v_mul_f64 v[146:147], v[7:8], v[146:147]
	v_fma_f64 v[158:159], v[3:4], v[37:38], v[158:159]
	v_fma_f64 v[164:165], v[1:2], v[37:38], -v[39:40]
	scratch_load_b128 v[37:40], off, off offset:496
	ds_load_b128 v[1:4], v41 offset:912
	;; [unrolled: 18-line block ×3, first 2 shown]
	v_add_f64 v[152:153], v[152:153], v[162:163]
	v_add_f64 v[154:155], v[154:155], v[160:161]
	v_fma_f64 v[158:159], v[7:8], v[13:14], v[158:159]
	v_fma_f64 v[13:14], v[5:6], v[13:14], -v[15:16]
	ds_load_b128 v[5:8], v41 offset:960
	s_waitcnt vmcnt(8) lgkmcnt(1)
	v_mul_f64 v[160:161], v[1:2], v[19:20]
	v_mul_f64 v[19:20], v[3:4], v[19:20]
	v_add_f64 v[15:16], v[152:153], v[164:165]
	v_add_f64 v[152:153], v[154:155], v[156:157]
	s_waitcnt vmcnt(7) lgkmcnt(0)
	v_mul_f64 v[154:155], v[5:6], v[23:24]
	v_mul_f64 v[23:24], v[7:8], v[23:24]
	v_fma_f64 v[156:157], v[3:4], v[17:18], v[160:161]
	v_fma_f64 v[17:18], v[1:2], v[17:18], -v[19:20]
	ds_load_b128 v[1:4], v41 offset:976
	v_add_f64 v[13:14], v[15:16], v[13:14]
	v_add_f64 v[15:16], v[152:153], v[158:159]
	v_fma_f64 v[152:153], v[7:8], v[21:22], v[154:155]
	v_fma_f64 v[21:22], v[5:6], v[21:22], -v[23:24]
	ds_load_b128 v[5:8], v41 offset:992
	s_waitcnt vmcnt(5) lgkmcnt(0)
	v_mul_f64 v[154:155], v[5:6], v[31:32]
	v_mul_f64 v[31:32], v[7:8], v[31:32]
	v_add_f64 v[17:18], v[13:14], v[17:18]
	v_add_f64 v[23:24], v[15:16], v[156:157]
	scratch_load_b128 v[13:16], off, off
	v_mul_f64 v[19:20], v[1:2], v[27:28]
	v_mul_f64 v[27:28], v[3:4], v[27:28]
	v_add_f64 v[17:18], v[17:18], v[21:22]
	v_add_f64 v[21:22], v[23:24], v[152:153]
	s_delay_alu instid0(VALU_DEP_4) | instskip(NEXT) | instid1(VALU_DEP_4)
	v_fma_f64 v[19:20], v[3:4], v[25:26], v[19:20]
	v_fma_f64 v[25:26], v[1:2], v[25:26], -v[27:28]
	ds_load_b128 v[1:4], v41 offset:1008
	s_waitcnt vmcnt(5) lgkmcnt(0)
	v_mul_f64 v[23:24], v[1:2], v[35:36]
	v_mul_f64 v[27:28], v[3:4], v[35:36]
	v_fma_f64 v[35:36], v[7:8], v[29:30], v[154:155]
	v_fma_f64 v[29:30], v[5:6], v[29:30], -v[31:32]
	ds_load_b128 v[5:8], v41 offset:1024
	v_add_f64 v[19:20], v[21:22], v[19:20]
	v_add_f64 v[17:18], v[17:18], v[25:26]
	v_fma_f64 v[23:24], v[3:4], v[33:34], v[23:24]
	v_fma_f64 v[27:28], v[1:2], v[33:34], -v[27:28]
	ds_load_b128 v[1:4], v41 offset:1040
	s_waitcnt vmcnt(4) lgkmcnt(1)
	v_mul_f64 v[21:22], v[5:6], v[150:151]
	v_mul_f64 v[25:26], v[7:8], v[150:151]
	v_add_f64 v[19:20], v[19:20], v[35:36]
	v_add_f64 v[17:18], v[17:18], v[29:30]
	s_waitcnt vmcnt(3) lgkmcnt(0)
	v_mul_f64 v[29:30], v[1:2], v[39:40]
	v_mul_f64 v[31:32], v[3:4], v[39:40]
	v_fma_f64 v[21:22], v[7:8], v[148:149], v[21:22]
	v_fma_f64 v[25:26], v[5:6], v[148:149], -v[25:26]
	ds_load_b128 v[5:8], v41 offset:1056
	v_add_f64 v[19:20], v[19:20], v[23:24]
	v_add_f64 v[17:18], v[17:18], v[27:28]
	v_fma_f64 v[29:30], v[3:4], v[37:38], v[29:30]
	v_fma_f64 v[31:32], v[1:2], v[37:38], -v[31:32]
	ds_load_b128 v[1:4], v41 offset:1072
	s_waitcnt vmcnt(2) lgkmcnt(1)
	v_mul_f64 v[23:24], v[5:6], v[146:147]
	v_mul_f64 v[27:28], v[7:8], v[146:147]
	v_add_f64 v[19:20], v[19:20], v[21:22]
	v_add_f64 v[17:18], v[17:18], v[25:26]
	s_waitcnt vmcnt(1) lgkmcnt(0)
	v_mul_f64 v[21:22], v[1:2], v[11:12]
	v_mul_f64 v[11:12], v[3:4], v[11:12]
	v_fma_f64 v[7:8], v[7:8], v[144:145], v[23:24]
	v_fma_f64 v[5:6], v[5:6], v[144:145], -v[27:28]
	v_add_f64 v[19:20], v[19:20], v[29:30]
	v_add_f64 v[17:18], v[17:18], v[31:32]
	v_fma_f64 v[3:4], v[3:4], v[9:10], v[21:22]
	v_fma_f64 v[1:2], v[1:2], v[9:10], -v[11:12]
	s_delay_alu instid0(VALU_DEP_4) | instskip(NEXT) | instid1(VALU_DEP_4)
	v_add_f64 v[7:8], v[19:20], v[7:8]
	v_add_f64 v[5:6], v[17:18], v[5:6]
	s_delay_alu instid0(VALU_DEP_2) | instskip(NEXT) | instid1(VALU_DEP_2)
	v_add_f64 v[3:4], v[7:8], v[3:4]
	v_add_f64 v[1:2], v[5:6], v[1:2]
	s_waitcnt vmcnt(0)
	s_delay_alu instid0(VALU_DEP_2) | instskip(NEXT) | instid1(VALU_DEP_2)
	v_add_f64 v[3:4], v[15:16], -v[3:4]
	v_add_f64 v[1:2], v[13:14], -v[1:2]
	scratch_store_b128 off, v[1:4], off
	s_cbranch_vccz .LBB97_285
; %bb.218:
	v_dual_mov_b32 v1, s8 :: v_dual_mov_b32 v2, s9
	s_load_b64 s[0:1], s[0:1], 0x4
	flat_load_b32 v1, v[1:2] offset:128
	v_bfe_u32 v2, v0, 10, 10
	v_bfe_u32 v0, v0, 20, 10
	s_waitcnt lgkmcnt(0)
	s_lshr_b32 s0, s0, 16
	s_delay_alu instid0(VALU_DEP_2) | instskip(SKIP_1) | instid1(SALU_CYCLE_1)
	v_mul_u32_u24_e32 v2, s1, v2
	s_mul_i32 s0, s0, s1
	v_mul_u32_u24_e32 v3, s0, v110
	s_mov_b32 s0, exec_lo
	s_delay_alu instid0(VALU_DEP_1) | instskip(NEXT) | instid1(VALU_DEP_1)
	v_add3_u32 v0, v3, v2, v0
	v_lshl_add_u32 v0, v0, 4, 0x448
	s_waitcnt vmcnt(0)
	v_cmpx_ne_u32_e32 33, v1
	s_cbranch_execz .LBB97_220
; %bb.219:
	v_lshl_add_u32 v9, v1, 4, 0
	s_clause 0x1
	scratch_load_b128 v[1:4], v112, off
	scratch_load_b128 v[5:8], v9, off offset:-16
	s_waitcnt vmcnt(1)
	ds_store_2addr_b64 v0, v[1:2], v[3:4] offset1:1
	s_waitcnt vmcnt(0)
	s_clause 0x1
	scratch_store_b128 v112, v[5:8], off
	scratch_store_b128 v9, v[1:4], off offset:-16
.LBB97_220:
	s_or_b32 exec_lo, exec_lo, s0
	v_dual_mov_b32 v1, s8 :: v_dual_mov_b32 v2, s9
	s_mov_b32 s0, exec_lo
	flat_load_b32 v1, v[1:2] offset:124
	s_waitcnt vmcnt(0) lgkmcnt(0)
	v_cmpx_ne_u32_e32 32, v1
	s_cbranch_execz .LBB97_222
; %bb.221:
	v_lshl_add_u32 v9, v1, 4, 0
	s_clause 0x1
	scratch_load_b128 v[1:4], v113, off
	scratch_load_b128 v[5:8], v9, off offset:-16
	s_waitcnt vmcnt(1)
	ds_store_2addr_b64 v0, v[1:2], v[3:4] offset1:1
	s_waitcnt vmcnt(0)
	s_clause 0x1
	scratch_store_b128 v113, v[5:8], off
	scratch_store_b128 v9, v[1:4], off offset:-16
.LBB97_222:
	s_or_b32 exec_lo, exec_lo, s0
	v_dual_mov_b32 v1, s8 :: v_dual_mov_b32 v2, s9
	s_mov_b32 s0, exec_lo
	flat_load_b32 v1, v[1:2] offset:120
	s_waitcnt vmcnt(0) lgkmcnt(0)
	;; [unrolled: 19-line block ×31, first 2 shown]
	v_cmpx_ne_u32_e32 2, v1
	s_cbranch_execz .LBB97_282
; %bb.281:
	v_lshl_add_u32 v9, v1, 4, 0
	s_clause 0x1
	scratch_load_b128 v[1:4], v122, off
	scratch_load_b128 v[5:8], v9, off offset:-16
	s_waitcnt vmcnt(1)
	ds_store_2addr_b64 v0, v[1:2], v[3:4] offset1:1
	s_waitcnt vmcnt(0)
	s_clause 0x1
	scratch_store_b128 v122, v[5:8], off
	scratch_store_b128 v9, v[1:4], off offset:-16
.LBB97_282:
	s_or_b32 exec_lo, exec_lo, s0
	v_dual_mov_b32 v1, s8 :: v_dual_mov_b32 v2, s9
	s_mov_b32 s0, exec_lo
	flat_load_b32 v1, v[1:2]
	s_waitcnt vmcnt(0) lgkmcnt(0)
	v_cmpx_ne_u32_e32 1, v1
	s_cbranch_execz .LBB97_284
; %bb.283:
	v_lshl_add_u32 v9, v1, 4, 0
	scratch_load_b128 v[1:4], off, off
	scratch_load_b128 v[5:8], v9, off offset:-16
	s_waitcnt vmcnt(1)
	ds_store_2addr_b64 v0, v[1:2], v[3:4] offset1:1
	s_waitcnt vmcnt(0)
	scratch_store_b128 off, v[5:8], off
	scratch_store_b128 v9, v[1:4], off offset:-16
.LBB97_284:
	s_or_b32 exec_lo, exec_lo, s0
.LBB97_285:
	scratch_load_b128 v[0:3], off, off
	s_clause 0x12
	scratch_load_b128 v[4:7], v122, off
	scratch_load_b128 v[8:11], v120, off
	;; [unrolled: 1-line block ×19, first 2 shown]
	s_waitcnt vmcnt(19)
	global_store_b128 v[42:43], v[0:3], off
	s_clause 0x1
	scratch_load_b128 v[0:3], v128, off
	scratch_load_b128 v[40:43], v127, off
	s_waitcnt vmcnt(20)
	global_store_b128 v[44:45], v[4:7], off
	s_clause 0x1
	scratch_load_b128 v[4:7], v125, off
	scratch_load_b128 v[125:128], v126, off
	;; [unrolled: 5-line block ×7, first 2 shown]
	s_waitcnt vmcnt(26)
	global_store_b128 v[56:57], v[28:31], off
	s_waitcnt vmcnt(25)
	global_store_b128 v[58:59], v[32:35], off
	;; [unrolled: 2-line block ×27, first 2 shown]
	s_endpgm
	.section	.rodata,"a",@progbits
	.p2align	6, 0x0
	.amdhsa_kernel _ZN9rocsolver6v33100L18getri_kernel_smallILi34E19rocblas_complex_numIdEPKPS3_EEvT1_iilPiilS8_bb
		.amdhsa_group_segment_fixed_size 2120
		.amdhsa_private_segment_fixed_size 560
		.amdhsa_kernarg_size 60
		.amdhsa_user_sgpr_count 15
		.amdhsa_user_sgpr_dispatch_ptr 1
		.amdhsa_user_sgpr_queue_ptr 0
		.amdhsa_user_sgpr_kernarg_segment_ptr 1
		.amdhsa_user_sgpr_dispatch_id 0
		.amdhsa_user_sgpr_private_segment_size 0
		.amdhsa_wavefront_size32 1
		.amdhsa_uses_dynamic_stack 0
		.amdhsa_enable_private_segment 1
		.amdhsa_system_sgpr_workgroup_id_x 1
		.amdhsa_system_sgpr_workgroup_id_y 0
		.amdhsa_system_sgpr_workgroup_id_z 0
		.amdhsa_system_sgpr_workgroup_info 0
		.amdhsa_system_vgpr_workitem_id 2
		.amdhsa_next_free_vgpr 184
		.amdhsa_next_free_sgpr 41
		.amdhsa_reserve_vcc 1
		.amdhsa_float_round_mode_32 0
		.amdhsa_float_round_mode_16_64 0
		.amdhsa_float_denorm_mode_32 3
		.amdhsa_float_denorm_mode_16_64 3
		.amdhsa_dx10_clamp 1
		.amdhsa_ieee_mode 1
		.amdhsa_fp16_overflow 0
		.amdhsa_workgroup_processor_mode 1
		.amdhsa_memory_ordered 1
		.amdhsa_forward_progress 0
		.amdhsa_shared_vgpr_count 0
		.amdhsa_exception_fp_ieee_invalid_op 0
		.amdhsa_exception_fp_denorm_src 0
		.amdhsa_exception_fp_ieee_div_zero 0
		.amdhsa_exception_fp_ieee_overflow 0
		.amdhsa_exception_fp_ieee_underflow 0
		.amdhsa_exception_fp_ieee_inexact 0
		.amdhsa_exception_int_div_zero 0
	.end_amdhsa_kernel
	.section	.text._ZN9rocsolver6v33100L18getri_kernel_smallILi34E19rocblas_complex_numIdEPKPS3_EEvT1_iilPiilS8_bb,"axG",@progbits,_ZN9rocsolver6v33100L18getri_kernel_smallILi34E19rocblas_complex_numIdEPKPS3_EEvT1_iilPiilS8_bb,comdat
.Lfunc_end97:
	.size	_ZN9rocsolver6v33100L18getri_kernel_smallILi34E19rocblas_complex_numIdEPKPS3_EEvT1_iilPiilS8_bb, .Lfunc_end97-_ZN9rocsolver6v33100L18getri_kernel_smallILi34E19rocblas_complex_numIdEPKPS3_EEvT1_iilPiilS8_bb
                                        ; -- End function
	.section	.AMDGPU.csdata,"",@progbits
; Kernel info:
; codeLenInByte = 59516
; NumSgprs: 43
; NumVgprs: 184
; ScratchSize: 560
; MemoryBound: 0
; FloatMode: 240
; IeeeMode: 1
; LDSByteSize: 2120 bytes/workgroup (compile time only)
; SGPRBlocks: 5
; VGPRBlocks: 22
; NumSGPRsForWavesPerEU: 43
; NumVGPRsForWavesPerEU: 184
; Occupancy: 8
; WaveLimiterHint : 1
; COMPUTE_PGM_RSRC2:SCRATCH_EN: 1
; COMPUTE_PGM_RSRC2:USER_SGPR: 15
; COMPUTE_PGM_RSRC2:TRAP_HANDLER: 0
; COMPUTE_PGM_RSRC2:TGID_X_EN: 1
; COMPUTE_PGM_RSRC2:TGID_Y_EN: 0
; COMPUTE_PGM_RSRC2:TGID_Z_EN: 0
; COMPUTE_PGM_RSRC2:TIDIG_COMP_CNT: 2
	.section	.text._ZN9rocsolver6v33100L18getri_kernel_smallILi35E19rocblas_complex_numIdEPKPS3_EEvT1_iilPiilS8_bb,"axG",@progbits,_ZN9rocsolver6v33100L18getri_kernel_smallILi35E19rocblas_complex_numIdEPKPS3_EEvT1_iilPiilS8_bb,comdat
	.globl	_ZN9rocsolver6v33100L18getri_kernel_smallILi35E19rocblas_complex_numIdEPKPS3_EEvT1_iilPiilS8_bb ; -- Begin function _ZN9rocsolver6v33100L18getri_kernel_smallILi35E19rocblas_complex_numIdEPKPS3_EEvT1_iilPiilS8_bb
	.p2align	8
	.type	_ZN9rocsolver6v33100L18getri_kernel_smallILi35E19rocblas_complex_numIdEPKPS3_EEvT1_iilPiilS8_bb,@function
_ZN9rocsolver6v33100L18getri_kernel_smallILi35E19rocblas_complex_numIdEPKPS3_EEvT1_iilPiilS8_bb: ; @_ZN9rocsolver6v33100L18getri_kernel_smallILi35E19rocblas_complex_numIdEPKPS3_EEvT1_iilPiilS8_bb
; %bb.0:
	v_and_b32_e32 v116, 0x3ff, v0
	s_mov_b32 s4, exec_lo
	s_delay_alu instid0(VALU_DEP_1)
	v_cmpx_gt_u32_e32 35, v116
	s_cbranch_execz .LBB98_154
; %bb.1:
	s_mov_b32 s10, s15
	s_clause 0x2
	s_load_b32 s15, s[2:3], 0x38
	s_load_b64 s[8:9], s[2:3], 0x0
	s_load_b128 s[4:7], s[2:3], 0x28
	s_waitcnt lgkmcnt(0)
	s_bitcmp1_b32 s15, 8
	s_cselect_b32 s14, -1, 0
	s_ashr_i32 s11, s10, 31
	s_delay_alu instid0(SALU_CYCLE_1) | instskip(NEXT) | instid1(SALU_CYCLE_1)
	s_lshl_b64 s[12:13], s[10:11], 3
	s_add_u32 s8, s8, s12
	s_addc_u32 s9, s9, s13
	s_load_b64 s[12:13], s[8:9], 0x0
	s_bfe_u32 s8, s15, 0x10008
	s_delay_alu instid0(SALU_CYCLE_1)
	s_cmp_eq_u32 s8, 0
                                        ; implicit-def: $sgpr8_sgpr9
	s_cbranch_scc1 .LBB98_3
; %bb.2:
	s_clause 0x1
	s_load_b32 s8, s[2:3], 0x20
	s_load_b64 s[16:17], s[2:3], 0x18
	s_mul_i32 s5, s10, s5
	s_mul_hi_u32 s9, s10, s4
	s_mul_i32 s18, s11, s4
	s_add_i32 s5, s9, s5
	s_mul_i32 s4, s10, s4
	s_add_i32 s5, s5, s18
	s_delay_alu instid0(SALU_CYCLE_1)
	s_lshl_b64 s[4:5], s[4:5], 2
	s_waitcnt lgkmcnt(0)
	s_ashr_i32 s9, s8, 31
	s_add_u32 s16, s16, s4
	s_addc_u32 s17, s17, s5
	s_lshl_b64 s[4:5], s[8:9], 2
	s_delay_alu instid0(SALU_CYCLE_1)
	s_add_u32 s8, s16, s4
	s_addc_u32 s9, s17, s5
.LBB98_3:
	s_load_b64 s[2:3], s[2:3], 0x8
	v_lshlrev_b32_e32 v17, 4, v116
	s_movk_i32 s18, 0xc0
	s_movk_i32 s19, 0xd0
	;; [unrolled: 1-line block ×18, first 2 shown]
	s_waitcnt lgkmcnt(0)
	v_add3_u32 v5, s3, s3, v116
	s_ashr_i32 s5, s2, 31
	s_mov_b32 s4, s2
	s_mov_b32 s16, s3
	s_lshl_b64 s[4:5], s[4:5], 4
	v_add_nc_u32_e32 v7, s3, v5
	v_ashrrev_i32_e32 v6, 31, v5
	s_add_u32 s4, s12, s4
	s_addc_u32 s5, s13, s5
	v_add_co_u32 v46, s2, s4, v17
	v_add_nc_u32_e32 v9, s3, v7
	v_ashrrev_i32_e32 v8, 31, v7
	s_ashr_i32 s17, s3, 31
	v_add_co_ci_u32_e64 v47, null, s5, 0, s2
	v_lshlrev_b64 v[5:6], 4, v[5:6]
	s_lshl_b64 s[12:13], s[16:17], 4
	v_add_nc_u32_e32 v26, s3, v9
	v_add_co_u32 v48, vcc_lo, v46, s12
	v_ashrrev_i32_e32 v10, 31, v9
	v_lshlrev_b64 v[13:14], 4, v[7:8]
	v_add_co_ci_u32_e32 v49, vcc_lo, s13, v47, vcc_lo
	v_add_co_u32 v50, vcc_lo, s4, v5
	v_ashrrev_i32_e32 v27, 31, v26
	v_add_co_ci_u32_e32 v51, vcc_lo, s5, v6, vcc_lo
	v_lshlrev_b64 v[15:16], 4, v[9:10]
	v_add_co_u32 v52, vcc_lo, s4, v13
	v_add_co_ci_u32_e32 v53, vcc_lo, s5, v14, vcc_lo
	v_lshlrev_b64 v[13:14], 4, v[26:27]
	s_delay_alu instid0(VALU_DEP_4)
	v_add_co_u32 v54, vcc_lo, s4, v15
	v_add_co_ci_u32_e32 v55, vcc_lo, s5, v16, vcc_lo
	global_load_b128 v[1:4], v17, s[4:5]
	v_add_co_u32 v56, vcc_lo, s4, v13
	s_clause 0x1
	global_load_b128 v[9:12], v[48:49], off
	global_load_b128 v[5:8], v[50:51], off
	v_add_co_ci_u32_e32 v57, vcc_lo, s5, v14, vcc_lo
	s_clause 0x2
	global_load_b128 v[13:16], v[52:53], off
	global_load_b128 v[18:21], v[54:55], off
	;; [unrolled: 1-line block ×3, first 2 shown]
	v_add_nc_u32_e32 v26, s3, v26
	s_movk_i32 s2, 0x50
	s_movk_i32 s12, 0x80
	;; [unrolled: 1-line block ×4, first 2 shown]
	v_add_nc_u32_e32 v28, s3, v26
	v_ashrrev_i32_e32 v27, 31, v26
	s_movk_i32 s17, 0xb0
	s_movk_i32 s37, 0x1e0
	;; [unrolled: 1-line block ×3, first 2 shown]
	v_add_nc_u32_e32 v30, s3, v28
	v_ashrrev_i32_e32 v29, 31, v28
	v_lshlrev_b64 v[26:27], 4, v[26:27]
	s_movk_i32 s39, 0x200
	s_movk_i32 s40, 0x210
	v_add_nc_u32_e32 v32, s3, v30
	v_ashrrev_i32_e32 v31, 31, v30
	v_lshlrev_b64 v[28:29], 4, v[28:29]
	v_add_co_u32 v58, vcc_lo, s4, v26
	s_delay_alu instid0(VALU_DEP_4) | instskip(SKIP_3) | instid1(VALU_DEP_4)
	v_add_nc_u32_e32 v34, s3, v32
	v_ashrrev_i32_e32 v33, 31, v32
	v_lshlrev_b64 v[30:31], 4, v[30:31]
	v_add_co_ci_u32_e32 v59, vcc_lo, s5, v27, vcc_lo
	v_add_nc_u32_e32 v38, s3, v34
	v_ashrrev_i32_e32 v35, 31, v34
	v_add_co_u32 v60, vcc_lo, s4, v28
	v_lshlrev_b64 v[32:33], 4, v[32:33]
	s_delay_alu instid0(VALU_DEP_4) | instskip(SKIP_3) | instid1(VALU_DEP_4)
	v_add_nc_u32_e32 v42, s3, v38
	v_ashrrev_i32_e32 v39, 31, v38
	v_add_co_ci_u32_e32 v61, vcc_lo, s5, v29, vcc_lo
	v_add_co_u32 v62, vcc_lo, s4, v30
	v_add_nc_u32_e32 v70, s3, v42
	v_lshlrev_b64 v[40:41], 4, v[34:35]
	v_ashrrev_i32_e32 v43, 31, v42
	v_add_co_ci_u32_e32 v63, vcc_lo, s5, v31, vcc_lo
	s_delay_alu instid0(VALU_DEP_4)
	v_add_nc_u32_e32 v74, s3, v70
	v_add_co_u32 v64, vcc_lo, s4, v32
	v_lshlrev_b64 v[38:39], 4, v[38:39]
	v_ashrrev_i32_e32 v71, 31, v70
	v_add_co_ci_u32_e32 v65, vcc_lo, s5, v33, vcc_lo
	v_add_co_u32 v66, vcc_lo, s4, v40
	v_lshlrev_b64 v[72:73], 4, v[42:43]
	v_add_nc_u32_e32 v78, s3, v74
	v_add_co_ci_u32_e32 v67, vcc_lo, s5, v41, vcc_lo
	v_add_co_u32 v68, vcc_lo, s4, v38
	v_lshlrev_b64 v[76:77], 4, v[70:71]
	v_add_co_ci_u32_e32 v69, vcc_lo, s5, v39, vcc_lo
	v_add_co_u32 v70, vcc_lo, s4, v72
	v_ashrrev_i32_e32 v79, 31, v78
	v_add_nc_u32_e32 v80, s3, v78
	v_add_co_ci_u32_e32 v71, vcc_lo, s5, v73, vcc_lo
	v_ashrrev_i32_e32 v75, 31, v74
	v_add_co_u32 v72, vcc_lo, s4, v76
	v_add_co_ci_u32_e32 v73, vcc_lo, s5, v77, vcc_lo
	v_lshlrev_b64 v[76:77], 4, v[78:79]
	v_add_nc_u32_e32 v78, s3, v80
	v_lshlrev_b64 v[74:75], 4, v[74:75]
	v_ashrrev_i32_e32 v81, 31, v80
	s_clause 0x2
	global_load_b128 v[26:29], v[58:59], off
	global_load_b128 v[30:33], v[60:61], off
	global_load_b128 v[34:37], v[62:63], off
	v_add_nc_u32_e32 v82, s3, v78
	v_ashrrev_i32_e32 v79, 31, v78
	v_add_co_u32 v74, vcc_lo, s4, v74
	v_lshlrev_b64 v[80:81], 4, v[80:81]
	s_delay_alu instid0(VALU_DEP_4)
	v_add_nc_u32_e32 v86, s3, v82
	v_add_co_ci_u32_e32 v75, vcc_lo, s5, v75, vcc_lo
	v_add_co_u32 v76, vcc_lo, s4, v76
	v_lshlrev_b64 v[84:85], 4, v[78:79]
	v_add_co_ci_u32_e32 v77, vcc_lo, s5, v77, vcc_lo
	v_add_co_u32 v78, vcc_lo, s4, v80
	v_ashrrev_i32_e32 v87, 31, v86
	v_add_nc_u32_e32 v88, s3, v86
	v_add_co_ci_u32_e32 v79, vcc_lo, s5, v81, vcc_lo
	v_ashrrev_i32_e32 v83, 31, v82
	v_add_co_u32 v80, vcc_lo, s4, v84
	v_add_co_ci_u32_e32 v81, vcc_lo, s5, v85, vcc_lo
	v_lshlrev_b64 v[84:85], 4, v[86:87]
	v_add_nc_u32_e32 v86, s3, v88
	v_lshlrev_b64 v[82:83], 4, v[82:83]
	v_ashrrev_i32_e32 v89, 31, v88
	s_clause 0x3
	global_load_b128 v[38:41], v[64:65], off
	global_load_b128 v[42:45], v[66:67], off
	global_load_b128 v[143:146], v[68:69], off
	global_load_b128 v[147:150], v[70:71], off
	v_add_nc_u32_e32 v90, s3, v86
	v_ashrrev_i32_e32 v87, 31, v86
	v_add_co_u32 v82, vcc_lo, s4, v82
	v_lshlrev_b64 v[88:89], 4, v[88:89]
	s_delay_alu instid0(VALU_DEP_4)
	v_add_nc_u32_e32 v94, s3, v90
	v_add_co_ci_u32_e32 v83, vcc_lo, s5, v83, vcc_lo
	v_add_co_u32 v84, vcc_lo, s4, v84
	v_lshlrev_b64 v[92:93], 4, v[86:87]
	v_add_co_ci_u32_e32 v85, vcc_lo, s5, v85, vcc_lo
	v_add_co_u32 v86, vcc_lo, s4, v88
	v_ashrrev_i32_e32 v95, 31, v94
	v_add_nc_u32_e32 v96, s3, v94
	v_add_co_ci_u32_e32 v87, vcc_lo, s5, v89, vcc_lo
	v_ashrrev_i32_e32 v91, 31, v90
	v_add_co_u32 v88, vcc_lo, s4, v92
	v_add_co_ci_u32_e32 v89, vcc_lo, s5, v93, vcc_lo
	v_lshlrev_b64 v[92:93], 4, v[94:95]
	v_add_nc_u32_e32 v94, s3, v96
	v_lshlrev_b64 v[90:91], 4, v[90:91]
	v_ashrrev_i32_e32 v97, 31, v96
	s_clause 0x3
	global_load_b128 v[151:154], v[72:73], off
	;; [unrolled: 26-line block ×4, first 2 shown]
	global_load_b128 v[187:190], v[90:91], off
	global_load_b128 v[191:194], v[92:93], off
	;; [unrolled: 1-line block ×3, first 2 shown]
	v_add_nc_u32_e32 v114, s3, v110
	v_ashrrev_i32_e32 v111, 31, v110
	v_add_co_u32 v106, vcc_lo, s4, v106
	v_lshlrev_b64 v[112:113], 4, v[112:113]
	s_delay_alu instid0(VALU_DEP_4)
	v_ashrrev_i32_e32 v115, 31, v114
	v_add_co_ci_u32_e32 v107, vcc_lo, s5, v107, vcc_lo
	v_add_co_u32 v108, vcc_lo, s4, v108
	v_lshlrev_b64 v[117:118], 4, v[110:111]
	v_add_co_ci_u32_e32 v109, vcc_lo, s5, v109, vcc_lo
	v_add_co_u32 v110, vcc_lo, s4, v112
	v_lshlrev_b64 v[114:115], 4, v[114:115]
	v_add_co_ci_u32_e32 v111, vcc_lo, s5, v113, vcc_lo
	v_add_co_u32 v112, vcc_lo, s4, v117
	v_add_co_ci_u32_e32 v113, vcc_lo, s5, v118, vcc_lo
	s_clause 0x1
	global_load_b128 v[199:202], v[96:97], off
	global_load_b128 v[203:206], v[98:99], off
	v_add_co_u32 v114, vcc_lo, s4, v114
	s_clause 0x1
	global_load_b128 v[207:210], v[100:101], off
	global_load_b128 v[211:214], v[102:103], off
	v_add_co_ci_u32_e32 v115, vcc_lo, s5, v115, vcc_lo
	s_movk_i32 s4, 0x60
	s_movk_i32 s5, 0x70
	;; [unrolled: 1-line block ×3, first 2 shown]
	v_add_nc_u32_e64 v120, 0, 16
	v_add_nc_u32_e64 v119, 0, 32
	;; [unrolled: 1-line block ×26, first 2 shown]
	s_mov_b32 s3, -1
	s_bitcmp0_b32 s15, 0
	s_waitcnt vmcnt(28)
	scratch_store_b128 off, v[1:4], off
	s_waitcnt vmcnt(27)
	scratch_store_b128 off, v[9:12], off offset:16
	s_clause 0x1
	global_load_b128 v[1:4], v[104:105], off
	global_load_b128 v[9:12], v[106:107], off
	s_waitcnt vmcnt(28)
	scratch_store_b128 off, v[5:8], off offset:32
	s_waitcnt vmcnt(27)
	scratch_store_b128 off, v[13:16], off offset:48
	s_clause 0x1
	global_load_b128 v[5:8], v[108:109], off
	global_load_b128 v[13:16], v[110:111], off
	s_waitcnt vmcnt(28)
	scratch_store_b128 off, v[18:21], off offset:64
	;; [unrolled: 7-line block ×3, first 2 shown]
	s_waitcnt vmcnt(27)
	scratch_store_b128 off, v[30:33], off offset:112
	s_waitcnt vmcnt(26)
	scratch_store_b128 off, v[34:37], off offset:128
	;; [unrolled: 2-line block ×5, first 2 shown]
	v_add_nc_u32_e64 v146, s34, 0
	v_add_nc_u32_e64 v145, s35, 0
	;; [unrolled: 1-line block ×4, first 2 shown]
	s_waitcnt vmcnt(22)
	scratch_store_b128 off, v[147:150], off offset:192
	s_waitcnt vmcnt(21)
	scratch_store_b128 off, v[151:154], off offset:208
	;; [unrolled: 2-line block ×20, first 2 shown]
	v_add_nc_u32_e64 v150, s29, 0
	v_add_nc_u32_e64 v149, s30, 0
	;; [unrolled: 1-line block ×4, first 2 shown]
	s_waitcnt vmcnt(2)
	scratch_store_b128 off, v[13:16], off offset:512
	s_waitcnt vmcnt(1)
	scratch_store_b128 off, v[18:21], off offset:528
	;; [unrolled: 2-line block ×3, first 2 shown]
	s_cbranch_scc1 .LBB98_152
; %bb.4:
	v_cmp_eq_u32_e64 s2, 0, v116
	s_delay_alu instid0(VALU_DEP_1)
	s_and_saveexec_b32 s3, s2
	s_cbranch_execz .LBB98_6
; %bb.5:
	v_mov_b32_e32 v1, 0
	ds_store_b32 v1, v1 offset:1120
.LBB98_6:
	s_or_b32 exec_lo, exec_lo, s3
	s_waitcnt lgkmcnt(0)
	s_waitcnt_vscnt null, 0x0
	s_barrier
	buffer_gl0_inv
	scratch_load_b128 v[1:4], v17, off
	s_waitcnt vmcnt(0)
	v_cmp_eq_f64_e32 vcc_lo, 0, v[1:2]
	v_cmp_eq_f64_e64 s3, 0, v[3:4]
	s_delay_alu instid0(VALU_DEP_1) | instskip(NEXT) | instid1(SALU_CYCLE_1)
	s_and_b32 s3, vcc_lo, s3
	s_and_saveexec_b32 s4, s3
	s_cbranch_execz .LBB98_10
; %bb.7:
	v_mov_b32_e32 v1, 0
	s_mov_b32 s5, 0
	ds_load_b32 v2, v1 offset:1120
	s_waitcnt lgkmcnt(0)
	v_readfirstlane_b32 s3, v2
	v_add_nc_u32_e32 v2, 1, v116
	s_delay_alu instid0(VALU_DEP_2) | instskip(NEXT) | instid1(VALU_DEP_1)
	s_cmp_eq_u32 s3, 0
	v_cmp_gt_i32_e32 vcc_lo, s3, v2
	s_cselect_b32 s12, -1, 0
	s_delay_alu instid0(SALU_CYCLE_1) | instskip(NEXT) | instid1(SALU_CYCLE_1)
	s_or_b32 s12, s12, vcc_lo
	s_and_b32 exec_lo, exec_lo, s12
	s_cbranch_execz .LBB98_10
; %bb.8:
	v_mov_b32_e32 v3, s3
.LBB98_9:                               ; =>This Inner Loop Header: Depth=1
	ds_cmpstore_rtn_b32 v3, v1, v2, v3 offset:1120
	s_waitcnt lgkmcnt(0)
	v_cmp_ne_u32_e32 vcc_lo, 0, v3
	v_cmp_le_i32_e64 s3, v3, v2
	s_delay_alu instid0(VALU_DEP_1) | instskip(NEXT) | instid1(SALU_CYCLE_1)
	s_and_b32 s3, vcc_lo, s3
	s_and_b32 s3, exec_lo, s3
	s_delay_alu instid0(SALU_CYCLE_1) | instskip(NEXT) | instid1(SALU_CYCLE_1)
	s_or_b32 s5, s3, s5
	s_and_not1_b32 exec_lo, exec_lo, s5
	s_cbranch_execnz .LBB98_9
.LBB98_10:
	s_or_b32 exec_lo, exec_lo, s4
	v_mov_b32_e32 v1, 0
	s_barrier
	buffer_gl0_inv
	ds_load_b32 v2, v1 offset:1120
	s_and_saveexec_b32 s3, s2
	s_cbranch_execz .LBB98_12
; %bb.11:
	s_lshl_b64 s[4:5], s[10:11], 2
	s_delay_alu instid0(SALU_CYCLE_1)
	s_add_u32 s4, s6, s4
	s_addc_u32 s5, s7, s5
	s_waitcnt lgkmcnt(0)
	global_store_b32 v1, v2, s[4:5]
.LBB98_12:
	s_or_b32 exec_lo, exec_lo, s3
	s_waitcnt lgkmcnt(0)
	v_cmp_ne_u32_e32 vcc_lo, 0, v2
	s_mov_b32 s3, 0
	s_cbranch_vccnz .LBB98_152
; %bb.13:
	v_add_nc_u32_e32 v13, 0, v17
                                        ; implicit-def: $vgpr9_vgpr10
	scratch_load_b128 v[1:4], v13, off
	s_waitcnt vmcnt(0)
	v_cmp_gt_f64_e32 vcc_lo, 0, v[1:2]
	v_xor_b32_e32 v6, 0x80000000, v2
	v_xor_b32_e32 v7, 0x80000000, v4
	s_delay_alu instid0(VALU_DEP_2) | instskip(SKIP_1) | instid1(VALU_DEP_3)
	v_cndmask_b32_e32 v6, v2, v6, vcc_lo
	v_cmp_gt_f64_e32 vcc_lo, 0, v[3:4]
	v_dual_mov_b32 v5, v1 :: v_dual_cndmask_b32 v8, v4, v7
	v_mov_b32_e32 v7, v3
	s_delay_alu instid0(VALU_DEP_1) | instskip(SKIP_1) | instid1(SALU_CYCLE_1)
	v_cmp_ngt_f64_e32 vcc_lo, v[5:6], v[7:8]
                                        ; implicit-def: $vgpr5_vgpr6
	s_and_saveexec_b32 s3, vcc_lo
	s_xor_b32 s3, exec_lo, s3
	s_cbranch_execz .LBB98_15
; %bb.14:
	v_div_scale_f64 v[5:6], null, v[3:4], v[3:4], v[1:2]
	v_div_scale_f64 v[11:12], vcc_lo, v[1:2], v[3:4], v[1:2]
	s_delay_alu instid0(VALU_DEP_2) | instskip(SKIP_2) | instid1(VALU_DEP_1)
	v_rcp_f64_e32 v[7:8], v[5:6]
	s_waitcnt_depctr 0xfff
	v_fma_f64 v[9:10], -v[5:6], v[7:8], 1.0
	v_fma_f64 v[7:8], v[7:8], v[9:10], v[7:8]
	s_delay_alu instid0(VALU_DEP_1) | instskip(NEXT) | instid1(VALU_DEP_1)
	v_fma_f64 v[9:10], -v[5:6], v[7:8], 1.0
	v_fma_f64 v[7:8], v[7:8], v[9:10], v[7:8]
	s_delay_alu instid0(VALU_DEP_1) | instskip(NEXT) | instid1(VALU_DEP_1)
	v_mul_f64 v[9:10], v[11:12], v[7:8]
	v_fma_f64 v[5:6], -v[5:6], v[9:10], v[11:12]
	s_delay_alu instid0(VALU_DEP_1) | instskip(NEXT) | instid1(VALU_DEP_1)
	v_div_fmas_f64 v[5:6], v[5:6], v[7:8], v[9:10]
	v_div_fixup_f64 v[5:6], v[5:6], v[3:4], v[1:2]
	s_delay_alu instid0(VALU_DEP_1) | instskip(NEXT) | instid1(VALU_DEP_1)
	v_fma_f64 v[1:2], v[1:2], v[5:6], v[3:4]
	v_div_scale_f64 v[3:4], null, v[1:2], v[1:2], 1.0
	v_div_scale_f64 v[11:12], vcc_lo, 1.0, v[1:2], 1.0
	s_delay_alu instid0(VALU_DEP_2) | instskip(SKIP_2) | instid1(VALU_DEP_1)
	v_rcp_f64_e32 v[7:8], v[3:4]
	s_waitcnt_depctr 0xfff
	v_fma_f64 v[9:10], -v[3:4], v[7:8], 1.0
	v_fma_f64 v[7:8], v[7:8], v[9:10], v[7:8]
	s_delay_alu instid0(VALU_DEP_1) | instskip(NEXT) | instid1(VALU_DEP_1)
	v_fma_f64 v[9:10], -v[3:4], v[7:8], 1.0
	v_fma_f64 v[7:8], v[7:8], v[9:10], v[7:8]
	s_delay_alu instid0(VALU_DEP_1) | instskip(NEXT) | instid1(VALU_DEP_1)
	v_mul_f64 v[9:10], v[11:12], v[7:8]
	v_fma_f64 v[3:4], -v[3:4], v[9:10], v[11:12]
	s_delay_alu instid0(VALU_DEP_1) | instskip(NEXT) | instid1(VALU_DEP_1)
	v_div_fmas_f64 v[3:4], v[3:4], v[7:8], v[9:10]
	v_div_fixup_f64 v[7:8], v[3:4], v[1:2], 1.0
                                        ; implicit-def: $vgpr1_vgpr2
	s_delay_alu instid0(VALU_DEP_1) | instskip(SKIP_1) | instid1(VALU_DEP_2)
	v_mul_f64 v[5:6], v[5:6], v[7:8]
	v_xor_b32_e32 v8, 0x80000000, v8
	v_xor_b32_e32 v10, 0x80000000, v6
	s_delay_alu instid0(VALU_DEP_3)
	v_mov_b32_e32 v9, v5
.LBB98_15:
	s_and_not1_saveexec_b32 s3, s3
	s_cbranch_execz .LBB98_17
; %bb.16:
	v_div_scale_f64 v[5:6], null, v[1:2], v[1:2], v[3:4]
	v_div_scale_f64 v[11:12], vcc_lo, v[3:4], v[1:2], v[3:4]
	s_delay_alu instid0(VALU_DEP_2) | instskip(SKIP_2) | instid1(VALU_DEP_1)
	v_rcp_f64_e32 v[7:8], v[5:6]
	s_waitcnt_depctr 0xfff
	v_fma_f64 v[9:10], -v[5:6], v[7:8], 1.0
	v_fma_f64 v[7:8], v[7:8], v[9:10], v[7:8]
	s_delay_alu instid0(VALU_DEP_1) | instskip(NEXT) | instid1(VALU_DEP_1)
	v_fma_f64 v[9:10], -v[5:6], v[7:8], 1.0
	v_fma_f64 v[7:8], v[7:8], v[9:10], v[7:8]
	s_delay_alu instid0(VALU_DEP_1) | instskip(NEXT) | instid1(VALU_DEP_1)
	v_mul_f64 v[9:10], v[11:12], v[7:8]
	v_fma_f64 v[5:6], -v[5:6], v[9:10], v[11:12]
	s_delay_alu instid0(VALU_DEP_1) | instskip(NEXT) | instid1(VALU_DEP_1)
	v_div_fmas_f64 v[5:6], v[5:6], v[7:8], v[9:10]
	v_div_fixup_f64 v[7:8], v[5:6], v[1:2], v[3:4]
	s_delay_alu instid0(VALU_DEP_1) | instskip(NEXT) | instid1(VALU_DEP_1)
	v_fma_f64 v[1:2], v[3:4], v[7:8], v[1:2]
	v_div_scale_f64 v[3:4], null, v[1:2], v[1:2], 1.0
	s_delay_alu instid0(VALU_DEP_1) | instskip(SKIP_2) | instid1(VALU_DEP_1)
	v_rcp_f64_e32 v[5:6], v[3:4]
	s_waitcnt_depctr 0xfff
	v_fma_f64 v[9:10], -v[3:4], v[5:6], 1.0
	v_fma_f64 v[5:6], v[5:6], v[9:10], v[5:6]
	s_delay_alu instid0(VALU_DEP_1) | instskip(NEXT) | instid1(VALU_DEP_1)
	v_fma_f64 v[9:10], -v[3:4], v[5:6], 1.0
	v_fma_f64 v[5:6], v[5:6], v[9:10], v[5:6]
	v_div_scale_f64 v[9:10], vcc_lo, 1.0, v[1:2], 1.0
	s_delay_alu instid0(VALU_DEP_1) | instskip(NEXT) | instid1(VALU_DEP_1)
	v_mul_f64 v[11:12], v[9:10], v[5:6]
	v_fma_f64 v[3:4], -v[3:4], v[11:12], v[9:10]
	s_delay_alu instid0(VALU_DEP_1) | instskip(NEXT) | instid1(VALU_DEP_1)
	v_div_fmas_f64 v[3:4], v[3:4], v[5:6], v[11:12]
	v_div_fixup_f64 v[5:6], v[3:4], v[1:2], 1.0
	s_delay_alu instid0(VALU_DEP_1)
	v_mul_f64 v[7:8], v[7:8], -v[5:6]
	v_xor_b32_e32 v10, 0x80000000, v6
	v_mov_b32_e32 v9, v5
.LBB98_17:
	s_or_b32 exec_lo, exec_lo, s3
	scratch_store_b128 v13, v[5:8], off
	scratch_load_b128 v[1:4], v120, off
	v_xor_b32_e32 v12, 0x80000000, v8
	v_mov_b32_e32 v11, v7
	v_add_nc_u32_e32 v5, 0x230, v17
	ds_store_b128 v17, v[9:12]
	s_waitcnt vmcnt(0)
	ds_store_b128 v17, v[1:4] offset:560
	s_waitcnt lgkmcnt(0)
	s_waitcnt_vscnt null, 0x0
	s_barrier
	buffer_gl0_inv
	s_and_saveexec_b32 s3, s2
	s_cbranch_execz .LBB98_19
; %bb.18:
	scratch_load_b128 v[1:4], v13, off
	ds_load_b128 v[6:9], v5
	v_mov_b32_e32 v10, 0
	ds_load_b128 v[18:21], v10 offset:16
	s_waitcnt vmcnt(0) lgkmcnt(1)
	v_mul_f64 v[10:11], v[6:7], v[3:4]
	v_mul_f64 v[3:4], v[8:9], v[3:4]
	s_delay_alu instid0(VALU_DEP_2) | instskip(NEXT) | instid1(VALU_DEP_2)
	v_fma_f64 v[8:9], v[8:9], v[1:2], v[10:11]
	v_fma_f64 v[1:2], v[6:7], v[1:2], -v[3:4]
	s_delay_alu instid0(VALU_DEP_2) | instskip(NEXT) | instid1(VALU_DEP_2)
	v_add_f64 v[3:4], v[8:9], 0
	v_add_f64 v[1:2], v[1:2], 0
	s_waitcnt lgkmcnt(0)
	s_delay_alu instid0(VALU_DEP_2) | instskip(NEXT) | instid1(VALU_DEP_2)
	v_mul_f64 v[6:7], v[3:4], v[20:21]
	v_mul_f64 v[8:9], v[1:2], v[20:21]
	s_delay_alu instid0(VALU_DEP_2) | instskip(NEXT) | instid1(VALU_DEP_2)
	v_fma_f64 v[1:2], v[1:2], v[18:19], -v[6:7]
	v_fma_f64 v[3:4], v[3:4], v[18:19], v[8:9]
	scratch_store_b128 off, v[1:4], off offset:16
.LBB98_19:
	s_or_b32 exec_lo, exec_lo, s3
	s_waitcnt_vscnt null, 0x0
	s_barrier
	buffer_gl0_inv
	scratch_load_b128 v[1:4], v119, off
	s_mov_b32 s3, exec_lo
	s_waitcnt vmcnt(0)
	ds_store_b128 v5, v[1:4]
	s_waitcnt lgkmcnt(0)
	s_barrier
	buffer_gl0_inv
	v_cmpx_gt_u32_e32 2, v116
	s_cbranch_execz .LBB98_23
; %bb.20:
	scratch_load_b128 v[1:4], v13, off
	ds_load_b128 v[6:9], v5
	s_waitcnt vmcnt(0) lgkmcnt(0)
	v_mul_f64 v[10:11], v[8:9], v[3:4]
	v_mul_f64 v[3:4], v[6:7], v[3:4]
	s_delay_alu instid0(VALU_DEP_2) | instskip(NEXT) | instid1(VALU_DEP_2)
	v_fma_f64 v[6:7], v[6:7], v[1:2], -v[10:11]
	v_fma_f64 v[3:4], v[8:9], v[1:2], v[3:4]
	s_delay_alu instid0(VALU_DEP_2) | instskip(NEXT) | instid1(VALU_DEP_2)
	v_add_f64 v[1:2], v[6:7], 0
	v_add_f64 v[3:4], v[3:4], 0
	s_and_saveexec_b32 s4, s2
	s_cbranch_execz .LBB98_22
; %bb.21:
	scratch_load_b128 v[6:9], off, off offset:16
	v_mov_b32_e32 v10, 0
	ds_load_b128 v[18:21], v10 offset:576
	s_waitcnt vmcnt(0) lgkmcnt(0)
	v_mul_f64 v[10:11], v[18:19], v[8:9]
	v_mul_f64 v[8:9], v[20:21], v[8:9]
	s_delay_alu instid0(VALU_DEP_2) | instskip(NEXT) | instid1(VALU_DEP_2)
	v_fma_f64 v[10:11], v[20:21], v[6:7], v[10:11]
	v_fma_f64 v[6:7], v[18:19], v[6:7], -v[8:9]
	s_delay_alu instid0(VALU_DEP_2) | instskip(NEXT) | instid1(VALU_DEP_2)
	v_add_f64 v[3:4], v[3:4], v[10:11]
	v_add_f64 v[1:2], v[1:2], v[6:7]
.LBB98_22:
	s_or_b32 exec_lo, exec_lo, s4
	v_mov_b32_e32 v6, 0
	ds_load_b128 v[6:9], v6 offset:32
	s_waitcnt lgkmcnt(0)
	v_mul_f64 v[10:11], v[3:4], v[8:9]
	v_mul_f64 v[8:9], v[1:2], v[8:9]
	s_delay_alu instid0(VALU_DEP_2) | instskip(NEXT) | instid1(VALU_DEP_2)
	v_fma_f64 v[1:2], v[1:2], v[6:7], -v[10:11]
	v_fma_f64 v[3:4], v[3:4], v[6:7], v[8:9]
	scratch_store_b128 off, v[1:4], off offset:32
.LBB98_23:
	s_or_b32 exec_lo, exec_lo, s3
	s_waitcnt_vscnt null, 0x0
	s_barrier
	buffer_gl0_inv
	scratch_load_b128 v[1:4], v118, off
	v_add_nc_u32_e32 v6, -1, v116
	s_mov_b32 s2, exec_lo
	s_waitcnt vmcnt(0)
	ds_store_b128 v5, v[1:4]
	s_waitcnt lgkmcnt(0)
	s_barrier
	buffer_gl0_inv
	v_cmpx_gt_u32_e32 3, v116
	s_cbranch_execz .LBB98_27
; %bb.24:
	v_dual_mov_b32 v1, 0 :: v_dual_add_nc_u32 v8, 0x230, v17
	v_dual_mov_b32 v2, 0 :: v_dual_add_nc_u32 v7, -1, v116
	v_or_b32_e32 v9, 8, v13
	s_mov_b32 s3, 0
	s_delay_alu instid0(VALU_DEP_2)
	v_dual_mov_b32 v4, v2 :: v_dual_mov_b32 v3, v1
	.p2align	6
.LBB98_25:                              ; =>This Inner Loop Header: Depth=1
	scratch_load_b128 v[18:21], v9, off offset:-8
	ds_load_b128 v[22:25], v8
	v_add_nc_u32_e32 v7, 1, v7
	v_add_nc_u32_e32 v8, 16, v8
	;; [unrolled: 1-line block ×3, first 2 shown]
	s_delay_alu instid0(VALU_DEP_3) | instskip(SKIP_4) | instid1(VALU_DEP_2)
	v_cmp_lt_u32_e32 vcc_lo, 1, v7
	s_or_b32 s3, vcc_lo, s3
	s_waitcnt vmcnt(0) lgkmcnt(0)
	v_mul_f64 v[10:11], v[24:25], v[20:21]
	v_mul_f64 v[14:15], v[22:23], v[20:21]
	v_fma_f64 v[10:11], v[22:23], v[18:19], -v[10:11]
	s_delay_alu instid0(VALU_DEP_2) | instskip(NEXT) | instid1(VALU_DEP_2)
	v_fma_f64 v[14:15], v[24:25], v[18:19], v[14:15]
	v_add_f64 v[3:4], v[3:4], v[10:11]
	s_delay_alu instid0(VALU_DEP_2)
	v_add_f64 v[1:2], v[1:2], v[14:15]
	s_and_not1_b32 exec_lo, exec_lo, s3
	s_cbranch_execnz .LBB98_25
; %bb.26:
	s_or_b32 exec_lo, exec_lo, s3
	v_mov_b32_e32 v7, 0
	ds_load_b128 v[7:10], v7 offset:48
	s_waitcnt lgkmcnt(0)
	v_mul_f64 v[11:12], v[1:2], v[9:10]
	v_mul_f64 v[14:15], v[3:4], v[9:10]
	s_delay_alu instid0(VALU_DEP_2) | instskip(NEXT) | instid1(VALU_DEP_2)
	v_fma_f64 v[9:10], v[3:4], v[7:8], -v[11:12]
	v_fma_f64 v[11:12], v[1:2], v[7:8], v[14:15]
	scratch_store_b128 off, v[9:12], off offset:48
.LBB98_27:
	s_or_b32 exec_lo, exec_lo, s2
	s_waitcnt_vscnt null, 0x0
	s_barrier
	buffer_gl0_inv
	scratch_load_b128 v[1:4], v117, off
	s_mov_b32 s2, exec_lo
	s_waitcnt vmcnt(0)
	ds_store_b128 v5, v[1:4]
	s_waitcnt lgkmcnt(0)
	s_barrier
	buffer_gl0_inv
	v_cmpx_gt_u32_e32 4, v116
	s_cbranch_execz .LBB98_31
; %bb.28:
	v_dual_mov_b32 v1, 0 :: v_dual_add_nc_u32 v8, 0x230, v17
	v_dual_mov_b32 v2, 0 :: v_dual_add_nc_u32 v7, -1, v116
	v_or_b32_e32 v9, 8, v13
	s_mov_b32 s3, 0
	s_delay_alu instid0(VALU_DEP_2)
	v_dual_mov_b32 v4, v2 :: v_dual_mov_b32 v3, v1
	.p2align	6
.LBB98_29:                              ; =>This Inner Loop Header: Depth=1
	scratch_load_b128 v[18:21], v9, off offset:-8
	ds_load_b128 v[22:25], v8
	v_add_nc_u32_e32 v7, 1, v7
	v_add_nc_u32_e32 v8, 16, v8
	;; [unrolled: 1-line block ×3, first 2 shown]
	s_delay_alu instid0(VALU_DEP_3) | instskip(SKIP_4) | instid1(VALU_DEP_2)
	v_cmp_lt_u32_e32 vcc_lo, 2, v7
	s_or_b32 s3, vcc_lo, s3
	s_waitcnt vmcnt(0) lgkmcnt(0)
	v_mul_f64 v[10:11], v[24:25], v[20:21]
	v_mul_f64 v[14:15], v[22:23], v[20:21]
	v_fma_f64 v[10:11], v[22:23], v[18:19], -v[10:11]
	s_delay_alu instid0(VALU_DEP_2) | instskip(NEXT) | instid1(VALU_DEP_2)
	v_fma_f64 v[14:15], v[24:25], v[18:19], v[14:15]
	v_add_f64 v[3:4], v[3:4], v[10:11]
	s_delay_alu instid0(VALU_DEP_2)
	v_add_f64 v[1:2], v[1:2], v[14:15]
	s_and_not1_b32 exec_lo, exec_lo, s3
	s_cbranch_execnz .LBB98_29
; %bb.30:
	s_or_b32 exec_lo, exec_lo, s3
	v_mov_b32_e32 v7, 0
	ds_load_b128 v[7:10], v7 offset:64
	s_waitcnt lgkmcnt(0)
	v_mul_f64 v[11:12], v[1:2], v[9:10]
	v_mul_f64 v[14:15], v[3:4], v[9:10]
	s_delay_alu instid0(VALU_DEP_2) | instskip(NEXT) | instid1(VALU_DEP_2)
	v_fma_f64 v[9:10], v[3:4], v[7:8], -v[11:12]
	v_fma_f64 v[11:12], v[1:2], v[7:8], v[14:15]
	scratch_store_b128 off, v[9:12], off offset:64
.LBB98_31:
	s_or_b32 exec_lo, exec_lo, s2
	s_waitcnt_vscnt null, 0x0
	s_barrier
	buffer_gl0_inv
	scratch_load_b128 v[1:4], v142, off
	s_mov_b32 s2, exec_lo
	s_waitcnt vmcnt(0)
	ds_store_b128 v5, v[1:4]
	s_waitcnt lgkmcnt(0)
	s_barrier
	buffer_gl0_inv
	v_cmpx_gt_u32_e32 5, v116
	s_cbranch_execz .LBB98_35
; %bb.32:
	v_dual_mov_b32 v1, 0 :: v_dual_add_nc_u32 v8, 0x230, v17
	v_dual_mov_b32 v2, 0 :: v_dual_add_nc_u32 v7, -1, v116
	v_or_b32_e32 v9, 8, v13
	s_mov_b32 s3, 0
	s_delay_alu instid0(VALU_DEP_2)
	v_dual_mov_b32 v4, v2 :: v_dual_mov_b32 v3, v1
	.p2align	6
.LBB98_33:                              ; =>This Inner Loop Header: Depth=1
	scratch_load_b128 v[18:21], v9, off offset:-8
	ds_load_b128 v[22:25], v8
	v_add_nc_u32_e32 v7, 1, v7
	v_add_nc_u32_e32 v8, 16, v8
	v_add_nc_u32_e32 v9, 16, v9
	s_delay_alu instid0(VALU_DEP_3) | instskip(SKIP_4) | instid1(VALU_DEP_2)
	v_cmp_lt_u32_e32 vcc_lo, 3, v7
	s_or_b32 s3, vcc_lo, s3
	s_waitcnt vmcnt(0) lgkmcnt(0)
	v_mul_f64 v[10:11], v[24:25], v[20:21]
	v_mul_f64 v[14:15], v[22:23], v[20:21]
	v_fma_f64 v[10:11], v[22:23], v[18:19], -v[10:11]
	s_delay_alu instid0(VALU_DEP_2) | instskip(NEXT) | instid1(VALU_DEP_2)
	v_fma_f64 v[14:15], v[24:25], v[18:19], v[14:15]
	v_add_f64 v[3:4], v[3:4], v[10:11]
	s_delay_alu instid0(VALU_DEP_2)
	v_add_f64 v[1:2], v[1:2], v[14:15]
	s_and_not1_b32 exec_lo, exec_lo, s3
	s_cbranch_execnz .LBB98_33
; %bb.34:
	s_or_b32 exec_lo, exec_lo, s3
	v_mov_b32_e32 v7, 0
	ds_load_b128 v[7:10], v7 offset:80
	s_waitcnt lgkmcnt(0)
	v_mul_f64 v[11:12], v[1:2], v[9:10]
	v_mul_f64 v[14:15], v[3:4], v[9:10]
	s_delay_alu instid0(VALU_DEP_2) | instskip(NEXT) | instid1(VALU_DEP_2)
	v_fma_f64 v[9:10], v[3:4], v[7:8], -v[11:12]
	v_fma_f64 v[11:12], v[1:2], v[7:8], v[14:15]
	scratch_store_b128 off, v[9:12], off offset:80
.LBB98_35:
	s_or_b32 exec_lo, exec_lo, s2
	s_waitcnt_vscnt null, 0x0
	s_barrier
	buffer_gl0_inv
	scratch_load_b128 v[1:4], v141, off
	s_mov_b32 s2, exec_lo
	s_waitcnt vmcnt(0)
	ds_store_b128 v5, v[1:4]
	s_waitcnt lgkmcnt(0)
	s_barrier
	buffer_gl0_inv
	v_cmpx_gt_u32_e32 6, v116
	s_cbranch_execz .LBB98_39
; %bb.36:
	v_dual_mov_b32 v1, 0 :: v_dual_add_nc_u32 v8, 0x230, v17
	v_dual_mov_b32 v2, 0 :: v_dual_add_nc_u32 v7, -1, v116
	v_or_b32_e32 v9, 8, v13
	s_mov_b32 s3, 0
	s_delay_alu instid0(VALU_DEP_2)
	v_dual_mov_b32 v4, v2 :: v_dual_mov_b32 v3, v1
	.p2align	6
.LBB98_37:                              ; =>This Inner Loop Header: Depth=1
	scratch_load_b128 v[18:21], v9, off offset:-8
	ds_load_b128 v[22:25], v8
	v_add_nc_u32_e32 v7, 1, v7
	v_add_nc_u32_e32 v8, 16, v8
	;; [unrolled: 1-line block ×3, first 2 shown]
	s_delay_alu instid0(VALU_DEP_3) | instskip(SKIP_4) | instid1(VALU_DEP_2)
	v_cmp_lt_u32_e32 vcc_lo, 4, v7
	s_or_b32 s3, vcc_lo, s3
	s_waitcnt vmcnt(0) lgkmcnt(0)
	v_mul_f64 v[10:11], v[24:25], v[20:21]
	v_mul_f64 v[14:15], v[22:23], v[20:21]
	v_fma_f64 v[10:11], v[22:23], v[18:19], -v[10:11]
	s_delay_alu instid0(VALU_DEP_2) | instskip(NEXT) | instid1(VALU_DEP_2)
	v_fma_f64 v[14:15], v[24:25], v[18:19], v[14:15]
	v_add_f64 v[3:4], v[3:4], v[10:11]
	s_delay_alu instid0(VALU_DEP_2)
	v_add_f64 v[1:2], v[1:2], v[14:15]
	s_and_not1_b32 exec_lo, exec_lo, s3
	s_cbranch_execnz .LBB98_37
; %bb.38:
	s_or_b32 exec_lo, exec_lo, s3
	v_mov_b32_e32 v7, 0
	ds_load_b128 v[7:10], v7 offset:96
	s_waitcnt lgkmcnt(0)
	v_mul_f64 v[11:12], v[1:2], v[9:10]
	v_mul_f64 v[14:15], v[3:4], v[9:10]
	s_delay_alu instid0(VALU_DEP_2) | instskip(NEXT) | instid1(VALU_DEP_2)
	v_fma_f64 v[9:10], v[3:4], v[7:8], -v[11:12]
	v_fma_f64 v[11:12], v[1:2], v[7:8], v[14:15]
	scratch_store_b128 off, v[9:12], off offset:96
.LBB98_39:
	s_or_b32 exec_lo, exec_lo, s2
	s_waitcnt_vscnt null, 0x0
	s_barrier
	buffer_gl0_inv
	scratch_load_b128 v[1:4], v139, off
	s_mov_b32 s2, exec_lo
	s_waitcnt vmcnt(0)
	ds_store_b128 v5, v[1:4]
	s_waitcnt lgkmcnt(0)
	s_barrier
	buffer_gl0_inv
	v_cmpx_gt_u32_e32 7, v116
	s_cbranch_execz .LBB98_43
; %bb.40:
	v_dual_mov_b32 v1, 0 :: v_dual_add_nc_u32 v8, 0x230, v17
	v_dual_mov_b32 v2, 0 :: v_dual_add_nc_u32 v7, -1, v116
	v_or_b32_e32 v9, 8, v13
	s_mov_b32 s3, 0
	s_delay_alu instid0(VALU_DEP_2)
	v_dual_mov_b32 v4, v2 :: v_dual_mov_b32 v3, v1
	.p2align	6
.LBB98_41:                              ; =>This Inner Loop Header: Depth=1
	scratch_load_b128 v[18:21], v9, off offset:-8
	ds_load_b128 v[22:25], v8
	v_add_nc_u32_e32 v7, 1, v7
	v_add_nc_u32_e32 v8, 16, v8
	;; [unrolled: 1-line block ×3, first 2 shown]
	s_delay_alu instid0(VALU_DEP_3) | instskip(SKIP_4) | instid1(VALU_DEP_2)
	v_cmp_lt_u32_e32 vcc_lo, 5, v7
	s_or_b32 s3, vcc_lo, s3
	s_waitcnt vmcnt(0) lgkmcnt(0)
	v_mul_f64 v[10:11], v[24:25], v[20:21]
	v_mul_f64 v[14:15], v[22:23], v[20:21]
	v_fma_f64 v[10:11], v[22:23], v[18:19], -v[10:11]
	s_delay_alu instid0(VALU_DEP_2) | instskip(NEXT) | instid1(VALU_DEP_2)
	v_fma_f64 v[14:15], v[24:25], v[18:19], v[14:15]
	v_add_f64 v[3:4], v[3:4], v[10:11]
	s_delay_alu instid0(VALU_DEP_2)
	v_add_f64 v[1:2], v[1:2], v[14:15]
	s_and_not1_b32 exec_lo, exec_lo, s3
	s_cbranch_execnz .LBB98_41
; %bb.42:
	s_or_b32 exec_lo, exec_lo, s3
	v_mov_b32_e32 v7, 0
	ds_load_b128 v[7:10], v7 offset:112
	s_waitcnt lgkmcnt(0)
	v_mul_f64 v[11:12], v[1:2], v[9:10]
	v_mul_f64 v[14:15], v[3:4], v[9:10]
	s_delay_alu instid0(VALU_DEP_2) | instskip(NEXT) | instid1(VALU_DEP_2)
	v_fma_f64 v[9:10], v[3:4], v[7:8], -v[11:12]
	v_fma_f64 v[11:12], v[1:2], v[7:8], v[14:15]
	scratch_store_b128 off, v[9:12], off offset:112
.LBB98_43:
	s_or_b32 exec_lo, exec_lo, s2
	s_waitcnt_vscnt null, 0x0
	s_barrier
	buffer_gl0_inv
	scratch_load_b128 v[1:4], v136, off
	s_mov_b32 s2, exec_lo
	s_waitcnt vmcnt(0)
	ds_store_b128 v5, v[1:4]
	s_waitcnt lgkmcnt(0)
	s_barrier
	buffer_gl0_inv
	v_cmpx_gt_u32_e32 8, v116
	s_cbranch_execz .LBB98_47
; %bb.44:
	v_dual_mov_b32 v1, 0 :: v_dual_add_nc_u32 v8, 0x230, v17
	v_dual_mov_b32 v2, 0 :: v_dual_add_nc_u32 v7, -1, v116
	v_or_b32_e32 v9, 8, v13
	s_mov_b32 s3, 0
	s_delay_alu instid0(VALU_DEP_2)
	v_dual_mov_b32 v4, v2 :: v_dual_mov_b32 v3, v1
	.p2align	6
.LBB98_45:                              ; =>This Inner Loop Header: Depth=1
	scratch_load_b128 v[18:21], v9, off offset:-8
	ds_load_b128 v[22:25], v8
	v_add_nc_u32_e32 v7, 1, v7
	v_add_nc_u32_e32 v8, 16, v8
	;; [unrolled: 1-line block ×3, first 2 shown]
	s_delay_alu instid0(VALU_DEP_3) | instskip(SKIP_4) | instid1(VALU_DEP_2)
	v_cmp_lt_u32_e32 vcc_lo, 6, v7
	s_or_b32 s3, vcc_lo, s3
	s_waitcnt vmcnt(0) lgkmcnt(0)
	v_mul_f64 v[10:11], v[24:25], v[20:21]
	v_mul_f64 v[14:15], v[22:23], v[20:21]
	v_fma_f64 v[10:11], v[22:23], v[18:19], -v[10:11]
	s_delay_alu instid0(VALU_DEP_2) | instskip(NEXT) | instid1(VALU_DEP_2)
	v_fma_f64 v[14:15], v[24:25], v[18:19], v[14:15]
	v_add_f64 v[3:4], v[3:4], v[10:11]
	s_delay_alu instid0(VALU_DEP_2)
	v_add_f64 v[1:2], v[1:2], v[14:15]
	s_and_not1_b32 exec_lo, exec_lo, s3
	s_cbranch_execnz .LBB98_45
; %bb.46:
	s_or_b32 exec_lo, exec_lo, s3
	v_mov_b32_e32 v7, 0
	ds_load_b128 v[7:10], v7 offset:128
	s_waitcnt lgkmcnt(0)
	v_mul_f64 v[11:12], v[1:2], v[9:10]
	v_mul_f64 v[14:15], v[3:4], v[9:10]
	s_delay_alu instid0(VALU_DEP_2) | instskip(NEXT) | instid1(VALU_DEP_2)
	v_fma_f64 v[9:10], v[3:4], v[7:8], -v[11:12]
	v_fma_f64 v[11:12], v[1:2], v[7:8], v[14:15]
	scratch_store_b128 off, v[9:12], off offset:128
.LBB98_47:
	s_or_b32 exec_lo, exec_lo, s2
	s_waitcnt_vscnt null, 0x0
	s_barrier
	buffer_gl0_inv
	scratch_load_b128 v[1:4], v138, off
	s_mov_b32 s2, exec_lo
	s_waitcnt vmcnt(0)
	ds_store_b128 v5, v[1:4]
	s_waitcnt lgkmcnt(0)
	s_barrier
	buffer_gl0_inv
	v_cmpx_gt_u32_e32 9, v116
	s_cbranch_execz .LBB98_51
; %bb.48:
	v_dual_mov_b32 v1, 0 :: v_dual_add_nc_u32 v8, 0x230, v17
	v_dual_mov_b32 v2, 0 :: v_dual_add_nc_u32 v7, -1, v116
	v_or_b32_e32 v9, 8, v13
	s_mov_b32 s3, 0
	s_delay_alu instid0(VALU_DEP_2)
	v_dual_mov_b32 v4, v2 :: v_dual_mov_b32 v3, v1
	.p2align	6
.LBB98_49:                              ; =>This Inner Loop Header: Depth=1
	scratch_load_b128 v[18:21], v9, off offset:-8
	ds_load_b128 v[22:25], v8
	v_add_nc_u32_e32 v7, 1, v7
	v_add_nc_u32_e32 v8, 16, v8
	;; [unrolled: 1-line block ×3, first 2 shown]
	s_delay_alu instid0(VALU_DEP_3) | instskip(SKIP_4) | instid1(VALU_DEP_2)
	v_cmp_lt_u32_e32 vcc_lo, 7, v7
	s_or_b32 s3, vcc_lo, s3
	s_waitcnt vmcnt(0) lgkmcnt(0)
	v_mul_f64 v[10:11], v[24:25], v[20:21]
	v_mul_f64 v[14:15], v[22:23], v[20:21]
	v_fma_f64 v[10:11], v[22:23], v[18:19], -v[10:11]
	s_delay_alu instid0(VALU_DEP_2) | instskip(NEXT) | instid1(VALU_DEP_2)
	v_fma_f64 v[14:15], v[24:25], v[18:19], v[14:15]
	v_add_f64 v[3:4], v[3:4], v[10:11]
	s_delay_alu instid0(VALU_DEP_2)
	v_add_f64 v[1:2], v[1:2], v[14:15]
	s_and_not1_b32 exec_lo, exec_lo, s3
	s_cbranch_execnz .LBB98_49
; %bb.50:
	s_or_b32 exec_lo, exec_lo, s3
	v_mov_b32_e32 v7, 0
	ds_load_b128 v[7:10], v7 offset:144
	s_waitcnt lgkmcnt(0)
	v_mul_f64 v[11:12], v[1:2], v[9:10]
	v_mul_f64 v[14:15], v[3:4], v[9:10]
	s_delay_alu instid0(VALU_DEP_2) | instskip(NEXT) | instid1(VALU_DEP_2)
	v_fma_f64 v[9:10], v[3:4], v[7:8], -v[11:12]
	v_fma_f64 v[11:12], v[1:2], v[7:8], v[14:15]
	scratch_store_b128 off, v[9:12], off offset:144
.LBB98_51:
	s_or_b32 exec_lo, exec_lo, s2
	s_waitcnt_vscnt null, 0x0
	s_barrier
	buffer_gl0_inv
	scratch_load_b128 v[1:4], v135, off
	s_mov_b32 s2, exec_lo
	s_waitcnt vmcnt(0)
	ds_store_b128 v5, v[1:4]
	s_waitcnt lgkmcnt(0)
	s_barrier
	buffer_gl0_inv
	v_cmpx_gt_u32_e32 10, v116
	s_cbranch_execz .LBB98_55
; %bb.52:
	v_dual_mov_b32 v1, 0 :: v_dual_add_nc_u32 v8, 0x230, v17
	v_dual_mov_b32 v2, 0 :: v_dual_add_nc_u32 v7, -1, v116
	v_or_b32_e32 v9, 8, v13
	s_mov_b32 s3, 0
	s_delay_alu instid0(VALU_DEP_2)
	v_dual_mov_b32 v4, v2 :: v_dual_mov_b32 v3, v1
	.p2align	6
.LBB98_53:                              ; =>This Inner Loop Header: Depth=1
	scratch_load_b128 v[18:21], v9, off offset:-8
	ds_load_b128 v[22:25], v8
	v_add_nc_u32_e32 v7, 1, v7
	v_add_nc_u32_e32 v8, 16, v8
	;; [unrolled: 1-line block ×3, first 2 shown]
	s_delay_alu instid0(VALU_DEP_3) | instskip(SKIP_4) | instid1(VALU_DEP_2)
	v_cmp_lt_u32_e32 vcc_lo, 8, v7
	s_or_b32 s3, vcc_lo, s3
	s_waitcnt vmcnt(0) lgkmcnt(0)
	v_mul_f64 v[10:11], v[24:25], v[20:21]
	v_mul_f64 v[14:15], v[22:23], v[20:21]
	v_fma_f64 v[10:11], v[22:23], v[18:19], -v[10:11]
	s_delay_alu instid0(VALU_DEP_2) | instskip(NEXT) | instid1(VALU_DEP_2)
	v_fma_f64 v[14:15], v[24:25], v[18:19], v[14:15]
	v_add_f64 v[3:4], v[3:4], v[10:11]
	s_delay_alu instid0(VALU_DEP_2)
	v_add_f64 v[1:2], v[1:2], v[14:15]
	s_and_not1_b32 exec_lo, exec_lo, s3
	s_cbranch_execnz .LBB98_53
; %bb.54:
	s_or_b32 exec_lo, exec_lo, s3
	v_mov_b32_e32 v7, 0
	ds_load_b128 v[7:10], v7 offset:160
	s_waitcnt lgkmcnt(0)
	v_mul_f64 v[11:12], v[1:2], v[9:10]
	v_mul_f64 v[14:15], v[3:4], v[9:10]
	s_delay_alu instid0(VALU_DEP_2) | instskip(NEXT) | instid1(VALU_DEP_2)
	v_fma_f64 v[9:10], v[3:4], v[7:8], -v[11:12]
	v_fma_f64 v[11:12], v[1:2], v[7:8], v[14:15]
	scratch_store_b128 off, v[9:12], off offset:160
.LBB98_55:
	s_or_b32 exec_lo, exec_lo, s2
	s_waitcnt_vscnt null, 0x0
	s_barrier
	buffer_gl0_inv
	scratch_load_b128 v[1:4], v134, off
	s_mov_b32 s2, exec_lo
	s_waitcnt vmcnt(0)
	ds_store_b128 v5, v[1:4]
	s_waitcnt lgkmcnt(0)
	s_barrier
	buffer_gl0_inv
	v_cmpx_gt_u32_e32 11, v116
	s_cbranch_execz .LBB98_59
; %bb.56:
	v_dual_mov_b32 v1, 0 :: v_dual_add_nc_u32 v8, 0x230, v17
	v_dual_mov_b32 v2, 0 :: v_dual_add_nc_u32 v7, -1, v116
	v_or_b32_e32 v9, 8, v13
	s_mov_b32 s3, 0
	s_delay_alu instid0(VALU_DEP_2)
	v_dual_mov_b32 v4, v2 :: v_dual_mov_b32 v3, v1
	.p2align	6
.LBB98_57:                              ; =>This Inner Loop Header: Depth=1
	scratch_load_b128 v[18:21], v9, off offset:-8
	ds_load_b128 v[22:25], v8
	v_add_nc_u32_e32 v7, 1, v7
	v_add_nc_u32_e32 v8, 16, v8
	;; [unrolled: 1-line block ×3, first 2 shown]
	s_delay_alu instid0(VALU_DEP_3) | instskip(SKIP_4) | instid1(VALU_DEP_2)
	v_cmp_lt_u32_e32 vcc_lo, 9, v7
	s_or_b32 s3, vcc_lo, s3
	s_waitcnt vmcnt(0) lgkmcnt(0)
	v_mul_f64 v[10:11], v[24:25], v[20:21]
	v_mul_f64 v[14:15], v[22:23], v[20:21]
	v_fma_f64 v[10:11], v[22:23], v[18:19], -v[10:11]
	s_delay_alu instid0(VALU_DEP_2) | instskip(NEXT) | instid1(VALU_DEP_2)
	v_fma_f64 v[14:15], v[24:25], v[18:19], v[14:15]
	v_add_f64 v[3:4], v[3:4], v[10:11]
	s_delay_alu instid0(VALU_DEP_2)
	v_add_f64 v[1:2], v[1:2], v[14:15]
	s_and_not1_b32 exec_lo, exec_lo, s3
	s_cbranch_execnz .LBB98_57
; %bb.58:
	s_or_b32 exec_lo, exec_lo, s3
	v_mov_b32_e32 v7, 0
	ds_load_b128 v[7:10], v7 offset:176
	s_waitcnt lgkmcnt(0)
	v_mul_f64 v[11:12], v[1:2], v[9:10]
	v_mul_f64 v[14:15], v[3:4], v[9:10]
	s_delay_alu instid0(VALU_DEP_2) | instskip(NEXT) | instid1(VALU_DEP_2)
	v_fma_f64 v[9:10], v[3:4], v[7:8], -v[11:12]
	v_fma_f64 v[11:12], v[1:2], v[7:8], v[14:15]
	scratch_store_b128 off, v[9:12], off offset:176
.LBB98_59:
	s_or_b32 exec_lo, exec_lo, s2
	s_waitcnt_vscnt null, 0x0
	s_barrier
	buffer_gl0_inv
	scratch_load_b128 v[1:4], v131, off
	s_mov_b32 s2, exec_lo
	s_waitcnt vmcnt(0)
	ds_store_b128 v5, v[1:4]
	s_waitcnt lgkmcnt(0)
	s_barrier
	buffer_gl0_inv
	v_cmpx_gt_u32_e32 12, v116
	s_cbranch_execz .LBB98_63
; %bb.60:
	v_dual_mov_b32 v1, 0 :: v_dual_add_nc_u32 v8, 0x230, v17
	v_dual_mov_b32 v2, 0 :: v_dual_add_nc_u32 v7, -1, v116
	v_or_b32_e32 v9, 8, v13
	s_mov_b32 s3, 0
	s_delay_alu instid0(VALU_DEP_2)
	v_dual_mov_b32 v4, v2 :: v_dual_mov_b32 v3, v1
	.p2align	6
.LBB98_61:                              ; =>This Inner Loop Header: Depth=1
	scratch_load_b128 v[18:21], v9, off offset:-8
	ds_load_b128 v[22:25], v8
	v_add_nc_u32_e32 v7, 1, v7
	v_add_nc_u32_e32 v8, 16, v8
	;; [unrolled: 1-line block ×3, first 2 shown]
	s_delay_alu instid0(VALU_DEP_3) | instskip(SKIP_4) | instid1(VALU_DEP_2)
	v_cmp_lt_u32_e32 vcc_lo, 10, v7
	s_or_b32 s3, vcc_lo, s3
	s_waitcnt vmcnt(0) lgkmcnt(0)
	v_mul_f64 v[10:11], v[24:25], v[20:21]
	v_mul_f64 v[14:15], v[22:23], v[20:21]
	v_fma_f64 v[10:11], v[22:23], v[18:19], -v[10:11]
	s_delay_alu instid0(VALU_DEP_2) | instskip(NEXT) | instid1(VALU_DEP_2)
	v_fma_f64 v[14:15], v[24:25], v[18:19], v[14:15]
	v_add_f64 v[3:4], v[3:4], v[10:11]
	s_delay_alu instid0(VALU_DEP_2)
	v_add_f64 v[1:2], v[1:2], v[14:15]
	s_and_not1_b32 exec_lo, exec_lo, s3
	s_cbranch_execnz .LBB98_61
; %bb.62:
	s_or_b32 exec_lo, exec_lo, s3
	v_mov_b32_e32 v7, 0
	ds_load_b128 v[7:10], v7 offset:192
	s_waitcnt lgkmcnt(0)
	v_mul_f64 v[11:12], v[1:2], v[9:10]
	v_mul_f64 v[14:15], v[3:4], v[9:10]
	s_delay_alu instid0(VALU_DEP_2) | instskip(NEXT) | instid1(VALU_DEP_2)
	v_fma_f64 v[9:10], v[3:4], v[7:8], -v[11:12]
	v_fma_f64 v[11:12], v[1:2], v[7:8], v[14:15]
	scratch_store_b128 off, v[9:12], off offset:192
.LBB98_63:
	s_or_b32 exec_lo, exec_lo, s2
	s_waitcnt_vscnt null, 0x0
	s_barrier
	buffer_gl0_inv
	scratch_load_b128 v[1:4], v133, off
	s_mov_b32 s2, exec_lo
	s_waitcnt vmcnt(0)
	ds_store_b128 v5, v[1:4]
	s_waitcnt lgkmcnt(0)
	s_barrier
	buffer_gl0_inv
	v_cmpx_gt_u32_e32 13, v116
	s_cbranch_execz .LBB98_67
; %bb.64:
	v_dual_mov_b32 v1, 0 :: v_dual_add_nc_u32 v8, 0x230, v17
	v_dual_mov_b32 v2, 0 :: v_dual_add_nc_u32 v7, -1, v116
	v_or_b32_e32 v9, 8, v13
	s_mov_b32 s3, 0
	s_delay_alu instid0(VALU_DEP_2)
	v_dual_mov_b32 v4, v2 :: v_dual_mov_b32 v3, v1
	.p2align	6
.LBB98_65:                              ; =>This Inner Loop Header: Depth=1
	scratch_load_b128 v[18:21], v9, off offset:-8
	ds_load_b128 v[22:25], v8
	v_add_nc_u32_e32 v7, 1, v7
	v_add_nc_u32_e32 v8, 16, v8
	;; [unrolled: 1-line block ×3, first 2 shown]
	s_delay_alu instid0(VALU_DEP_3) | instskip(SKIP_4) | instid1(VALU_DEP_2)
	v_cmp_lt_u32_e32 vcc_lo, 11, v7
	s_or_b32 s3, vcc_lo, s3
	s_waitcnt vmcnt(0) lgkmcnt(0)
	v_mul_f64 v[10:11], v[24:25], v[20:21]
	v_mul_f64 v[14:15], v[22:23], v[20:21]
	v_fma_f64 v[10:11], v[22:23], v[18:19], -v[10:11]
	s_delay_alu instid0(VALU_DEP_2) | instskip(NEXT) | instid1(VALU_DEP_2)
	v_fma_f64 v[14:15], v[24:25], v[18:19], v[14:15]
	v_add_f64 v[3:4], v[3:4], v[10:11]
	s_delay_alu instid0(VALU_DEP_2)
	v_add_f64 v[1:2], v[1:2], v[14:15]
	s_and_not1_b32 exec_lo, exec_lo, s3
	s_cbranch_execnz .LBB98_65
; %bb.66:
	s_or_b32 exec_lo, exec_lo, s3
	v_mov_b32_e32 v7, 0
	ds_load_b128 v[7:10], v7 offset:208
	s_waitcnt lgkmcnt(0)
	v_mul_f64 v[11:12], v[1:2], v[9:10]
	v_mul_f64 v[14:15], v[3:4], v[9:10]
	s_delay_alu instid0(VALU_DEP_2) | instskip(NEXT) | instid1(VALU_DEP_2)
	v_fma_f64 v[9:10], v[3:4], v[7:8], -v[11:12]
	v_fma_f64 v[11:12], v[1:2], v[7:8], v[14:15]
	scratch_store_b128 off, v[9:12], off offset:208
.LBB98_67:
	s_or_b32 exec_lo, exec_lo, s2
	s_waitcnt_vscnt null, 0x0
	s_barrier
	buffer_gl0_inv
	scratch_load_b128 v[1:4], v130, off
	s_mov_b32 s2, exec_lo
	s_waitcnt vmcnt(0)
	ds_store_b128 v5, v[1:4]
	s_waitcnt lgkmcnt(0)
	s_barrier
	buffer_gl0_inv
	v_cmpx_gt_u32_e32 14, v116
	s_cbranch_execz .LBB98_71
; %bb.68:
	v_dual_mov_b32 v1, 0 :: v_dual_add_nc_u32 v8, 0x230, v17
	v_dual_mov_b32 v2, 0 :: v_dual_add_nc_u32 v7, -1, v116
	v_or_b32_e32 v9, 8, v13
	s_mov_b32 s3, 0
	s_delay_alu instid0(VALU_DEP_2)
	v_dual_mov_b32 v4, v2 :: v_dual_mov_b32 v3, v1
	.p2align	6
.LBB98_69:                              ; =>This Inner Loop Header: Depth=1
	scratch_load_b128 v[18:21], v9, off offset:-8
	ds_load_b128 v[22:25], v8
	v_add_nc_u32_e32 v7, 1, v7
	v_add_nc_u32_e32 v8, 16, v8
	v_add_nc_u32_e32 v9, 16, v9
	s_delay_alu instid0(VALU_DEP_3) | instskip(SKIP_4) | instid1(VALU_DEP_2)
	v_cmp_lt_u32_e32 vcc_lo, 12, v7
	s_or_b32 s3, vcc_lo, s3
	s_waitcnt vmcnt(0) lgkmcnt(0)
	v_mul_f64 v[10:11], v[24:25], v[20:21]
	v_mul_f64 v[14:15], v[22:23], v[20:21]
	v_fma_f64 v[10:11], v[22:23], v[18:19], -v[10:11]
	s_delay_alu instid0(VALU_DEP_2) | instskip(NEXT) | instid1(VALU_DEP_2)
	v_fma_f64 v[14:15], v[24:25], v[18:19], v[14:15]
	v_add_f64 v[3:4], v[3:4], v[10:11]
	s_delay_alu instid0(VALU_DEP_2)
	v_add_f64 v[1:2], v[1:2], v[14:15]
	s_and_not1_b32 exec_lo, exec_lo, s3
	s_cbranch_execnz .LBB98_69
; %bb.70:
	s_or_b32 exec_lo, exec_lo, s3
	v_mov_b32_e32 v7, 0
	ds_load_b128 v[7:10], v7 offset:224
	s_waitcnt lgkmcnt(0)
	v_mul_f64 v[11:12], v[1:2], v[9:10]
	v_mul_f64 v[14:15], v[3:4], v[9:10]
	s_delay_alu instid0(VALU_DEP_2) | instskip(NEXT) | instid1(VALU_DEP_2)
	v_fma_f64 v[9:10], v[3:4], v[7:8], -v[11:12]
	v_fma_f64 v[11:12], v[1:2], v[7:8], v[14:15]
	scratch_store_b128 off, v[9:12], off offset:224
.LBB98_71:
	s_or_b32 exec_lo, exec_lo, s2
	s_waitcnt_vscnt null, 0x0
	s_barrier
	buffer_gl0_inv
	scratch_load_b128 v[1:4], v128, off
	s_mov_b32 s2, exec_lo
	s_waitcnt vmcnt(0)
	ds_store_b128 v5, v[1:4]
	s_waitcnt lgkmcnt(0)
	s_barrier
	buffer_gl0_inv
	v_cmpx_gt_u32_e32 15, v116
	s_cbranch_execz .LBB98_75
; %bb.72:
	v_dual_mov_b32 v1, 0 :: v_dual_add_nc_u32 v8, 0x230, v17
	v_dual_mov_b32 v2, 0 :: v_dual_add_nc_u32 v7, -1, v116
	v_or_b32_e32 v9, 8, v13
	s_mov_b32 s3, 0
	s_delay_alu instid0(VALU_DEP_2)
	v_dual_mov_b32 v4, v2 :: v_dual_mov_b32 v3, v1
	.p2align	6
.LBB98_73:                              ; =>This Inner Loop Header: Depth=1
	scratch_load_b128 v[18:21], v9, off offset:-8
	ds_load_b128 v[22:25], v8
	v_add_nc_u32_e32 v7, 1, v7
	v_add_nc_u32_e32 v8, 16, v8
	;; [unrolled: 1-line block ×3, first 2 shown]
	s_delay_alu instid0(VALU_DEP_3) | instskip(SKIP_4) | instid1(VALU_DEP_2)
	v_cmp_lt_u32_e32 vcc_lo, 13, v7
	s_or_b32 s3, vcc_lo, s3
	s_waitcnt vmcnt(0) lgkmcnt(0)
	v_mul_f64 v[10:11], v[24:25], v[20:21]
	v_mul_f64 v[14:15], v[22:23], v[20:21]
	v_fma_f64 v[10:11], v[22:23], v[18:19], -v[10:11]
	s_delay_alu instid0(VALU_DEP_2) | instskip(NEXT) | instid1(VALU_DEP_2)
	v_fma_f64 v[14:15], v[24:25], v[18:19], v[14:15]
	v_add_f64 v[3:4], v[3:4], v[10:11]
	s_delay_alu instid0(VALU_DEP_2)
	v_add_f64 v[1:2], v[1:2], v[14:15]
	s_and_not1_b32 exec_lo, exec_lo, s3
	s_cbranch_execnz .LBB98_73
; %bb.74:
	s_or_b32 exec_lo, exec_lo, s3
	v_mov_b32_e32 v7, 0
	ds_load_b128 v[7:10], v7 offset:240
	s_waitcnt lgkmcnt(0)
	v_mul_f64 v[11:12], v[1:2], v[9:10]
	v_mul_f64 v[14:15], v[3:4], v[9:10]
	s_delay_alu instid0(VALU_DEP_2) | instskip(NEXT) | instid1(VALU_DEP_2)
	v_fma_f64 v[9:10], v[3:4], v[7:8], -v[11:12]
	v_fma_f64 v[11:12], v[1:2], v[7:8], v[14:15]
	scratch_store_b128 off, v[9:12], off offset:240
.LBB98_75:
	s_or_b32 exec_lo, exec_lo, s2
	s_waitcnt_vscnt null, 0x0
	s_barrier
	buffer_gl0_inv
	scratch_load_b128 v[1:4], v126, off
	s_mov_b32 s2, exec_lo
	s_waitcnt vmcnt(0)
	ds_store_b128 v5, v[1:4]
	s_waitcnt lgkmcnt(0)
	s_barrier
	buffer_gl0_inv
	v_cmpx_gt_u32_e32 16, v116
	s_cbranch_execz .LBB98_79
; %bb.76:
	v_dual_mov_b32 v1, 0 :: v_dual_add_nc_u32 v8, 0x230, v17
	v_dual_mov_b32 v2, 0 :: v_dual_add_nc_u32 v7, -1, v116
	v_or_b32_e32 v9, 8, v13
	s_mov_b32 s3, 0
	s_delay_alu instid0(VALU_DEP_2)
	v_dual_mov_b32 v4, v2 :: v_dual_mov_b32 v3, v1
	.p2align	6
.LBB98_77:                              ; =>This Inner Loop Header: Depth=1
	scratch_load_b128 v[18:21], v9, off offset:-8
	ds_load_b128 v[22:25], v8
	v_add_nc_u32_e32 v7, 1, v7
	v_add_nc_u32_e32 v8, 16, v8
	v_add_nc_u32_e32 v9, 16, v9
	s_delay_alu instid0(VALU_DEP_3) | instskip(SKIP_4) | instid1(VALU_DEP_2)
	v_cmp_lt_u32_e32 vcc_lo, 14, v7
	s_or_b32 s3, vcc_lo, s3
	s_waitcnt vmcnt(0) lgkmcnt(0)
	v_mul_f64 v[10:11], v[24:25], v[20:21]
	v_mul_f64 v[14:15], v[22:23], v[20:21]
	v_fma_f64 v[10:11], v[22:23], v[18:19], -v[10:11]
	s_delay_alu instid0(VALU_DEP_2) | instskip(NEXT) | instid1(VALU_DEP_2)
	v_fma_f64 v[14:15], v[24:25], v[18:19], v[14:15]
	v_add_f64 v[3:4], v[3:4], v[10:11]
	s_delay_alu instid0(VALU_DEP_2)
	v_add_f64 v[1:2], v[1:2], v[14:15]
	s_and_not1_b32 exec_lo, exec_lo, s3
	s_cbranch_execnz .LBB98_77
; %bb.78:
	s_or_b32 exec_lo, exec_lo, s3
	v_mov_b32_e32 v7, 0
	ds_load_b128 v[7:10], v7 offset:256
	s_waitcnt lgkmcnt(0)
	v_mul_f64 v[11:12], v[1:2], v[9:10]
	v_mul_f64 v[14:15], v[3:4], v[9:10]
	s_delay_alu instid0(VALU_DEP_2) | instskip(NEXT) | instid1(VALU_DEP_2)
	v_fma_f64 v[9:10], v[3:4], v[7:8], -v[11:12]
	v_fma_f64 v[11:12], v[1:2], v[7:8], v[14:15]
	scratch_store_b128 off, v[9:12], off offset:256
.LBB98_79:
	s_or_b32 exec_lo, exec_lo, s2
	s_waitcnt_vscnt null, 0x0
	s_barrier
	buffer_gl0_inv
	scratch_load_b128 v[1:4], v127, off
	s_mov_b32 s2, exec_lo
	s_waitcnt vmcnt(0)
	ds_store_b128 v5, v[1:4]
	s_waitcnt lgkmcnt(0)
	s_barrier
	buffer_gl0_inv
	v_cmpx_gt_u32_e32 17, v116
	s_cbranch_execz .LBB98_83
; %bb.80:
	v_dual_mov_b32 v1, 0 :: v_dual_add_nc_u32 v8, 0x230, v17
	v_dual_mov_b32 v2, 0 :: v_dual_add_nc_u32 v7, -1, v116
	v_or_b32_e32 v9, 8, v13
	s_mov_b32 s3, 0
	s_delay_alu instid0(VALU_DEP_2)
	v_dual_mov_b32 v4, v2 :: v_dual_mov_b32 v3, v1
	.p2align	6
.LBB98_81:                              ; =>This Inner Loop Header: Depth=1
	scratch_load_b128 v[18:21], v9, off offset:-8
	ds_load_b128 v[22:25], v8
	v_add_nc_u32_e32 v7, 1, v7
	v_add_nc_u32_e32 v8, 16, v8
	;; [unrolled: 1-line block ×3, first 2 shown]
	s_delay_alu instid0(VALU_DEP_3) | instskip(SKIP_4) | instid1(VALU_DEP_2)
	v_cmp_lt_u32_e32 vcc_lo, 15, v7
	s_or_b32 s3, vcc_lo, s3
	s_waitcnt vmcnt(0) lgkmcnt(0)
	v_mul_f64 v[10:11], v[24:25], v[20:21]
	v_mul_f64 v[14:15], v[22:23], v[20:21]
	v_fma_f64 v[10:11], v[22:23], v[18:19], -v[10:11]
	s_delay_alu instid0(VALU_DEP_2) | instskip(NEXT) | instid1(VALU_DEP_2)
	v_fma_f64 v[14:15], v[24:25], v[18:19], v[14:15]
	v_add_f64 v[3:4], v[3:4], v[10:11]
	s_delay_alu instid0(VALU_DEP_2)
	v_add_f64 v[1:2], v[1:2], v[14:15]
	s_and_not1_b32 exec_lo, exec_lo, s3
	s_cbranch_execnz .LBB98_81
; %bb.82:
	s_or_b32 exec_lo, exec_lo, s3
	v_mov_b32_e32 v7, 0
	ds_load_b128 v[7:10], v7 offset:272
	s_waitcnt lgkmcnt(0)
	v_mul_f64 v[11:12], v[1:2], v[9:10]
	v_mul_f64 v[14:15], v[3:4], v[9:10]
	s_delay_alu instid0(VALU_DEP_2) | instskip(NEXT) | instid1(VALU_DEP_2)
	v_fma_f64 v[9:10], v[3:4], v[7:8], -v[11:12]
	v_fma_f64 v[11:12], v[1:2], v[7:8], v[14:15]
	scratch_store_b128 off, v[9:12], off offset:272
.LBB98_83:
	s_or_b32 exec_lo, exec_lo, s2
	s_waitcnt_vscnt null, 0x0
	s_barrier
	buffer_gl0_inv
	scratch_load_b128 v[1:4], v125, off
	s_mov_b32 s2, exec_lo
	s_waitcnt vmcnt(0)
	ds_store_b128 v5, v[1:4]
	s_waitcnt lgkmcnt(0)
	s_barrier
	buffer_gl0_inv
	v_cmpx_gt_u32_e32 18, v116
	s_cbranch_execz .LBB98_87
; %bb.84:
	v_dual_mov_b32 v1, 0 :: v_dual_add_nc_u32 v8, 0x230, v17
	v_dual_mov_b32 v2, 0 :: v_dual_add_nc_u32 v7, -1, v116
	v_or_b32_e32 v9, 8, v13
	s_mov_b32 s3, 0
	s_delay_alu instid0(VALU_DEP_2)
	v_dual_mov_b32 v4, v2 :: v_dual_mov_b32 v3, v1
	.p2align	6
.LBB98_85:                              ; =>This Inner Loop Header: Depth=1
	scratch_load_b128 v[18:21], v9, off offset:-8
	ds_load_b128 v[22:25], v8
	v_add_nc_u32_e32 v7, 1, v7
	v_add_nc_u32_e32 v8, 16, v8
	v_add_nc_u32_e32 v9, 16, v9
	s_delay_alu instid0(VALU_DEP_3) | instskip(SKIP_4) | instid1(VALU_DEP_2)
	v_cmp_lt_u32_e32 vcc_lo, 16, v7
	s_or_b32 s3, vcc_lo, s3
	s_waitcnt vmcnt(0) lgkmcnt(0)
	v_mul_f64 v[10:11], v[24:25], v[20:21]
	v_mul_f64 v[14:15], v[22:23], v[20:21]
	v_fma_f64 v[10:11], v[22:23], v[18:19], -v[10:11]
	s_delay_alu instid0(VALU_DEP_2) | instskip(NEXT) | instid1(VALU_DEP_2)
	v_fma_f64 v[14:15], v[24:25], v[18:19], v[14:15]
	v_add_f64 v[3:4], v[3:4], v[10:11]
	s_delay_alu instid0(VALU_DEP_2)
	v_add_f64 v[1:2], v[1:2], v[14:15]
	s_and_not1_b32 exec_lo, exec_lo, s3
	s_cbranch_execnz .LBB98_85
; %bb.86:
	s_or_b32 exec_lo, exec_lo, s3
	v_mov_b32_e32 v7, 0
	ds_load_b128 v[7:10], v7 offset:288
	s_waitcnt lgkmcnt(0)
	v_mul_f64 v[11:12], v[1:2], v[9:10]
	v_mul_f64 v[14:15], v[3:4], v[9:10]
	s_delay_alu instid0(VALU_DEP_2) | instskip(NEXT) | instid1(VALU_DEP_2)
	v_fma_f64 v[9:10], v[3:4], v[7:8], -v[11:12]
	v_fma_f64 v[11:12], v[1:2], v[7:8], v[14:15]
	scratch_store_b128 off, v[9:12], off offset:288
.LBB98_87:
	s_or_b32 exec_lo, exec_lo, s2
	s_waitcnt_vscnt null, 0x0
	s_barrier
	buffer_gl0_inv
	scratch_load_b128 v[1:4], v124, off
	s_mov_b32 s2, exec_lo
	s_waitcnt vmcnt(0)
	ds_store_b128 v5, v[1:4]
	s_waitcnt lgkmcnt(0)
	s_barrier
	buffer_gl0_inv
	v_cmpx_gt_u32_e32 19, v116
	s_cbranch_execz .LBB98_91
; %bb.88:
	v_dual_mov_b32 v1, 0 :: v_dual_add_nc_u32 v8, 0x230, v17
	v_dual_mov_b32 v2, 0 :: v_dual_add_nc_u32 v7, -1, v116
	v_or_b32_e32 v9, 8, v13
	s_mov_b32 s3, 0
	s_delay_alu instid0(VALU_DEP_2)
	v_dual_mov_b32 v4, v2 :: v_dual_mov_b32 v3, v1
	.p2align	6
.LBB98_89:                              ; =>This Inner Loop Header: Depth=1
	scratch_load_b128 v[18:21], v9, off offset:-8
	ds_load_b128 v[22:25], v8
	v_add_nc_u32_e32 v7, 1, v7
	v_add_nc_u32_e32 v8, 16, v8
	;; [unrolled: 1-line block ×3, first 2 shown]
	s_delay_alu instid0(VALU_DEP_3) | instskip(SKIP_4) | instid1(VALU_DEP_2)
	v_cmp_lt_u32_e32 vcc_lo, 17, v7
	s_or_b32 s3, vcc_lo, s3
	s_waitcnt vmcnt(0) lgkmcnt(0)
	v_mul_f64 v[10:11], v[24:25], v[20:21]
	v_mul_f64 v[14:15], v[22:23], v[20:21]
	v_fma_f64 v[10:11], v[22:23], v[18:19], -v[10:11]
	s_delay_alu instid0(VALU_DEP_2) | instskip(NEXT) | instid1(VALU_DEP_2)
	v_fma_f64 v[14:15], v[24:25], v[18:19], v[14:15]
	v_add_f64 v[3:4], v[3:4], v[10:11]
	s_delay_alu instid0(VALU_DEP_2)
	v_add_f64 v[1:2], v[1:2], v[14:15]
	s_and_not1_b32 exec_lo, exec_lo, s3
	s_cbranch_execnz .LBB98_89
; %bb.90:
	s_or_b32 exec_lo, exec_lo, s3
	v_mov_b32_e32 v7, 0
	ds_load_b128 v[7:10], v7 offset:304
	s_waitcnt lgkmcnt(0)
	v_mul_f64 v[11:12], v[1:2], v[9:10]
	v_mul_f64 v[14:15], v[3:4], v[9:10]
	s_delay_alu instid0(VALU_DEP_2) | instskip(NEXT) | instid1(VALU_DEP_2)
	v_fma_f64 v[9:10], v[3:4], v[7:8], -v[11:12]
	v_fma_f64 v[11:12], v[1:2], v[7:8], v[14:15]
	scratch_store_b128 off, v[9:12], off offset:304
.LBB98_91:
	s_or_b32 exec_lo, exec_lo, s2
	s_waitcnt_vscnt null, 0x0
	s_barrier
	buffer_gl0_inv
	scratch_load_b128 v[1:4], v122, off
	s_mov_b32 s2, exec_lo
	s_waitcnt vmcnt(0)
	ds_store_b128 v5, v[1:4]
	s_waitcnt lgkmcnt(0)
	s_barrier
	buffer_gl0_inv
	v_cmpx_gt_u32_e32 20, v116
	s_cbranch_execz .LBB98_95
; %bb.92:
	v_dual_mov_b32 v1, 0 :: v_dual_add_nc_u32 v8, 0x230, v17
	v_dual_mov_b32 v2, 0 :: v_dual_add_nc_u32 v7, -1, v116
	v_or_b32_e32 v9, 8, v13
	s_mov_b32 s3, 0
	s_delay_alu instid0(VALU_DEP_2)
	v_dual_mov_b32 v4, v2 :: v_dual_mov_b32 v3, v1
	.p2align	6
.LBB98_93:                              ; =>This Inner Loop Header: Depth=1
	scratch_load_b128 v[18:21], v9, off offset:-8
	ds_load_b128 v[22:25], v8
	v_add_nc_u32_e32 v7, 1, v7
	v_add_nc_u32_e32 v8, 16, v8
	;; [unrolled: 1-line block ×3, first 2 shown]
	s_delay_alu instid0(VALU_DEP_3) | instskip(SKIP_4) | instid1(VALU_DEP_2)
	v_cmp_lt_u32_e32 vcc_lo, 18, v7
	s_or_b32 s3, vcc_lo, s3
	s_waitcnt vmcnt(0) lgkmcnt(0)
	v_mul_f64 v[10:11], v[24:25], v[20:21]
	v_mul_f64 v[14:15], v[22:23], v[20:21]
	v_fma_f64 v[10:11], v[22:23], v[18:19], -v[10:11]
	s_delay_alu instid0(VALU_DEP_2) | instskip(NEXT) | instid1(VALU_DEP_2)
	v_fma_f64 v[14:15], v[24:25], v[18:19], v[14:15]
	v_add_f64 v[3:4], v[3:4], v[10:11]
	s_delay_alu instid0(VALU_DEP_2)
	v_add_f64 v[1:2], v[1:2], v[14:15]
	s_and_not1_b32 exec_lo, exec_lo, s3
	s_cbranch_execnz .LBB98_93
; %bb.94:
	s_or_b32 exec_lo, exec_lo, s3
	v_mov_b32_e32 v7, 0
	ds_load_b128 v[7:10], v7 offset:320
	s_waitcnt lgkmcnt(0)
	v_mul_f64 v[11:12], v[1:2], v[9:10]
	v_mul_f64 v[14:15], v[3:4], v[9:10]
	s_delay_alu instid0(VALU_DEP_2) | instskip(NEXT) | instid1(VALU_DEP_2)
	v_fma_f64 v[9:10], v[3:4], v[7:8], -v[11:12]
	v_fma_f64 v[11:12], v[1:2], v[7:8], v[14:15]
	scratch_store_b128 off, v[9:12], off offset:320
.LBB98_95:
	s_or_b32 exec_lo, exec_lo, s2
	s_waitcnt_vscnt null, 0x0
	s_barrier
	buffer_gl0_inv
	scratch_load_b128 v[1:4], v123, off
	s_mov_b32 s2, exec_lo
	s_waitcnt vmcnt(0)
	ds_store_b128 v5, v[1:4]
	s_waitcnt lgkmcnt(0)
	s_barrier
	buffer_gl0_inv
	v_cmpx_gt_u32_e32 21, v116
	s_cbranch_execz .LBB98_99
; %bb.96:
	v_dual_mov_b32 v1, 0 :: v_dual_add_nc_u32 v8, 0x230, v17
	v_dual_mov_b32 v2, 0 :: v_dual_add_nc_u32 v7, -1, v116
	v_or_b32_e32 v9, 8, v13
	s_mov_b32 s3, 0
	s_delay_alu instid0(VALU_DEP_2)
	v_dual_mov_b32 v4, v2 :: v_dual_mov_b32 v3, v1
	.p2align	6
.LBB98_97:                              ; =>This Inner Loop Header: Depth=1
	scratch_load_b128 v[18:21], v9, off offset:-8
	ds_load_b128 v[22:25], v8
	v_add_nc_u32_e32 v7, 1, v7
	v_add_nc_u32_e32 v8, 16, v8
	;; [unrolled: 1-line block ×3, first 2 shown]
	s_delay_alu instid0(VALU_DEP_3) | instskip(SKIP_4) | instid1(VALU_DEP_2)
	v_cmp_lt_u32_e32 vcc_lo, 19, v7
	s_or_b32 s3, vcc_lo, s3
	s_waitcnt vmcnt(0) lgkmcnt(0)
	v_mul_f64 v[10:11], v[24:25], v[20:21]
	v_mul_f64 v[14:15], v[22:23], v[20:21]
	v_fma_f64 v[10:11], v[22:23], v[18:19], -v[10:11]
	s_delay_alu instid0(VALU_DEP_2) | instskip(NEXT) | instid1(VALU_DEP_2)
	v_fma_f64 v[14:15], v[24:25], v[18:19], v[14:15]
	v_add_f64 v[3:4], v[3:4], v[10:11]
	s_delay_alu instid0(VALU_DEP_2)
	v_add_f64 v[1:2], v[1:2], v[14:15]
	s_and_not1_b32 exec_lo, exec_lo, s3
	s_cbranch_execnz .LBB98_97
; %bb.98:
	s_or_b32 exec_lo, exec_lo, s3
	v_mov_b32_e32 v7, 0
	ds_load_b128 v[7:10], v7 offset:336
	s_waitcnt lgkmcnt(0)
	v_mul_f64 v[11:12], v[1:2], v[9:10]
	v_mul_f64 v[14:15], v[3:4], v[9:10]
	s_delay_alu instid0(VALU_DEP_2) | instskip(NEXT) | instid1(VALU_DEP_2)
	v_fma_f64 v[9:10], v[3:4], v[7:8], -v[11:12]
	v_fma_f64 v[11:12], v[1:2], v[7:8], v[14:15]
	scratch_store_b128 off, v[9:12], off offset:336
.LBB98_99:
	s_or_b32 exec_lo, exec_lo, s2
	s_waitcnt_vscnt null, 0x0
	s_barrier
	buffer_gl0_inv
	scratch_load_b128 v[1:4], v121, off
	s_mov_b32 s2, exec_lo
	s_waitcnt vmcnt(0)
	ds_store_b128 v5, v[1:4]
	s_waitcnt lgkmcnt(0)
	s_barrier
	buffer_gl0_inv
	v_cmpx_gt_u32_e32 22, v116
	s_cbranch_execz .LBB98_103
; %bb.100:
	v_dual_mov_b32 v1, 0 :: v_dual_add_nc_u32 v8, 0x230, v17
	v_dual_mov_b32 v2, 0 :: v_dual_add_nc_u32 v7, -1, v116
	v_or_b32_e32 v9, 8, v13
	s_mov_b32 s3, 0
	s_delay_alu instid0(VALU_DEP_2)
	v_dual_mov_b32 v4, v2 :: v_dual_mov_b32 v3, v1
	.p2align	6
.LBB98_101:                             ; =>This Inner Loop Header: Depth=1
	scratch_load_b128 v[18:21], v9, off offset:-8
	ds_load_b128 v[22:25], v8
	v_add_nc_u32_e32 v7, 1, v7
	v_add_nc_u32_e32 v8, 16, v8
	;; [unrolled: 1-line block ×3, first 2 shown]
	s_delay_alu instid0(VALU_DEP_3) | instskip(SKIP_4) | instid1(VALU_DEP_2)
	v_cmp_lt_u32_e32 vcc_lo, 20, v7
	s_or_b32 s3, vcc_lo, s3
	s_waitcnt vmcnt(0) lgkmcnt(0)
	v_mul_f64 v[10:11], v[24:25], v[20:21]
	v_mul_f64 v[14:15], v[22:23], v[20:21]
	v_fma_f64 v[10:11], v[22:23], v[18:19], -v[10:11]
	s_delay_alu instid0(VALU_DEP_2) | instskip(NEXT) | instid1(VALU_DEP_2)
	v_fma_f64 v[14:15], v[24:25], v[18:19], v[14:15]
	v_add_f64 v[3:4], v[3:4], v[10:11]
	s_delay_alu instid0(VALU_DEP_2)
	v_add_f64 v[1:2], v[1:2], v[14:15]
	s_and_not1_b32 exec_lo, exec_lo, s3
	s_cbranch_execnz .LBB98_101
; %bb.102:
	s_or_b32 exec_lo, exec_lo, s3
	v_mov_b32_e32 v7, 0
	ds_load_b128 v[7:10], v7 offset:352
	s_waitcnt lgkmcnt(0)
	v_mul_f64 v[11:12], v[1:2], v[9:10]
	v_mul_f64 v[14:15], v[3:4], v[9:10]
	s_delay_alu instid0(VALU_DEP_2) | instskip(NEXT) | instid1(VALU_DEP_2)
	v_fma_f64 v[9:10], v[3:4], v[7:8], -v[11:12]
	v_fma_f64 v[11:12], v[1:2], v[7:8], v[14:15]
	scratch_store_b128 off, v[9:12], off offset:352
.LBB98_103:
	s_or_b32 exec_lo, exec_lo, s2
	s_waitcnt_vscnt null, 0x0
	s_barrier
	buffer_gl0_inv
	scratch_load_b128 v[1:4], v150, off
	s_mov_b32 s2, exec_lo
	s_waitcnt vmcnt(0)
	ds_store_b128 v5, v[1:4]
	s_waitcnt lgkmcnt(0)
	s_barrier
	buffer_gl0_inv
	v_cmpx_gt_u32_e32 23, v116
	s_cbranch_execz .LBB98_107
; %bb.104:
	v_dual_mov_b32 v1, 0 :: v_dual_add_nc_u32 v8, 0x230, v17
	v_dual_mov_b32 v2, 0 :: v_dual_add_nc_u32 v7, -1, v116
	v_or_b32_e32 v9, 8, v13
	s_mov_b32 s3, 0
	s_delay_alu instid0(VALU_DEP_2)
	v_dual_mov_b32 v4, v2 :: v_dual_mov_b32 v3, v1
	.p2align	6
.LBB98_105:                             ; =>This Inner Loop Header: Depth=1
	scratch_load_b128 v[18:21], v9, off offset:-8
	ds_load_b128 v[22:25], v8
	v_add_nc_u32_e32 v7, 1, v7
	v_add_nc_u32_e32 v8, 16, v8
	;; [unrolled: 1-line block ×3, first 2 shown]
	s_delay_alu instid0(VALU_DEP_3) | instskip(SKIP_4) | instid1(VALU_DEP_2)
	v_cmp_lt_u32_e32 vcc_lo, 21, v7
	s_or_b32 s3, vcc_lo, s3
	s_waitcnt vmcnt(0) lgkmcnt(0)
	v_mul_f64 v[10:11], v[24:25], v[20:21]
	v_mul_f64 v[14:15], v[22:23], v[20:21]
	v_fma_f64 v[10:11], v[22:23], v[18:19], -v[10:11]
	s_delay_alu instid0(VALU_DEP_2) | instskip(NEXT) | instid1(VALU_DEP_2)
	v_fma_f64 v[14:15], v[24:25], v[18:19], v[14:15]
	v_add_f64 v[3:4], v[3:4], v[10:11]
	s_delay_alu instid0(VALU_DEP_2)
	v_add_f64 v[1:2], v[1:2], v[14:15]
	s_and_not1_b32 exec_lo, exec_lo, s3
	s_cbranch_execnz .LBB98_105
; %bb.106:
	s_or_b32 exec_lo, exec_lo, s3
	v_mov_b32_e32 v7, 0
	ds_load_b128 v[7:10], v7 offset:368
	s_waitcnt lgkmcnt(0)
	v_mul_f64 v[11:12], v[1:2], v[9:10]
	v_mul_f64 v[14:15], v[3:4], v[9:10]
	s_delay_alu instid0(VALU_DEP_2) | instskip(NEXT) | instid1(VALU_DEP_2)
	v_fma_f64 v[9:10], v[3:4], v[7:8], -v[11:12]
	v_fma_f64 v[11:12], v[1:2], v[7:8], v[14:15]
	scratch_store_b128 off, v[9:12], off offset:368
.LBB98_107:
	s_or_b32 exec_lo, exec_lo, s2
	s_waitcnt_vscnt null, 0x0
	s_barrier
	buffer_gl0_inv
	scratch_load_b128 v[1:4], v149, off
	s_mov_b32 s2, exec_lo
	s_waitcnt vmcnt(0)
	ds_store_b128 v5, v[1:4]
	s_waitcnt lgkmcnt(0)
	s_barrier
	buffer_gl0_inv
	v_cmpx_gt_u32_e32 24, v116
	s_cbranch_execz .LBB98_111
; %bb.108:
	v_dual_mov_b32 v1, 0 :: v_dual_add_nc_u32 v8, 0x230, v17
	v_dual_mov_b32 v2, 0 :: v_dual_add_nc_u32 v7, -1, v116
	v_or_b32_e32 v9, 8, v13
	s_mov_b32 s3, 0
	s_delay_alu instid0(VALU_DEP_2)
	v_dual_mov_b32 v4, v2 :: v_dual_mov_b32 v3, v1
	.p2align	6
.LBB98_109:                             ; =>This Inner Loop Header: Depth=1
	scratch_load_b128 v[18:21], v9, off offset:-8
	ds_load_b128 v[22:25], v8
	v_add_nc_u32_e32 v7, 1, v7
	v_add_nc_u32_e32 v8, 16, v8
	;; [unrolled: 1-line block ×3, first 2 shown]
	s_delay_alu instid0(VALU_DEP_3) | instskip(SKIP_4) | instid1(VALU_DEP_2)
	v_cmp_lt_u32_e32 vcc_lo, 22, v7
	s_or_b32 s3, vcc_lo, s3
	s_waitcnt vmcnt(0) lgkmcnt(0)
	v_mul_f64 v[10:11], v[24:25], v[20:21]
	v_mul_f64 v[14:15], v[22:23], v[20:21]
	v_fma_f64 v[10:11], v[22:23], v[18:19], -v[10:11]
	s_delay_alu instid0(VALU_DEP_2) | instskip(NEXT) | instid1(VALU_DEP_2)
	v_fma_f64 v[14:15], v[24:25], v[18:19], v[14:15]
	v_add_f64 v[3:4], v[3:4], v[10:11]
	s_delay_alu instid0(VALU_DEP_2)
	v_add_f64 v[1:2], v[1:2], v[14:15]
	s_and_not1_b32 exec_lo, exec_lo, s3
	s_cbranch_execnz .LBB98_109
; %bb.110:
	s_or_b32 exec_lo, exec_lo, s3
	v_mov_b32_e32 v7, 0
	ds_load_b128 v[7:10], v7 offset:384
	s_waitcnt lgkmcnt(0)
	v_mul_f64 v[11:12], v[1:2], v[9:10]
	v_mul_f64 v[14:15], v[3:4], v[9:10]
	s_delay_alu instid0(VALU_DEP_2) | instskip(NEXT) | instid1(VALU_DEP_2)
	v_fma_f64 v[9:10], v[3:4], v[7:8], -v[11:12]
	v_fma_f64 v[11:12], v[1:2], v[7:8], v[14:15]
	scratch_store_b128 off, v[9:12], off offset:384
.LBB98_111:
	s_or_b32 exec_lo, exec_lo, s2
	s_waitcnt_vscnt null, 0x0
	s_barrier
	buffer_gl0_inv
	scratch_load_b128 v[1:4], v148, off
	s_mov_b32 s2, exec_lo
	s_waitcnt vmcnt(0)
	ds_store_b128 v5, v[1:4]
	s_waitcnt lgkmcnt(0)
	s_barrier
	buffer_gl0_inv
	v_cmpx_gt_u32_e32 25, v116
	s_cbranch_execz .LBB98_115
; %bb.112:
	v_dual_mov_b32 v1, 0 :: v_dual_add_nc_u32 v8, 0x230, v17
	v_dual_mov_b32 v2, 0 :: v_dual_add_nc_u32 v7, -1, v116
	v_or_b32_e32 v9, 8, v13
	s_mov_b32 s3, 0
	s_delay_alu instid0(VALU_DEP_2)
	v_dual_mov_b32 v4, v2 :: v_dual_mov_b32 v3, v1
	.p2align	6
.LBB98_113:                             ; =>This Inner Loop Header: Depth=1
	scratch_load_b128 v[18:21], v9, off offset:-8
	ds_load_b128 v[22:25], v8
	v_add_nc_u32_e32 v7, 1, v7
	v_add_nc_u32_e32 v8, 16, v8
	;; [unrolled: 1-line block ×3, first 2 shown]
	s_delay_alu instid0(VALU_DEP_3) | instskip(SKIP_4) | instid1(VALU_DEP_2)
	v_cmp_lt_u32_e32 vcc_lo, 23, v7
	s_or_b32 s3, vcc_lo, s3
	s_waitcnt vmcnt(0) lgkmcnt(0)
	v_mul_f64 v[10:11], v[24:25], v[20:21]
	v_mul_f64 v[14:15], v[22:23], v[20:21]
	v_fma_f64 v[10:11], v[22:23], v[18:19], -v[10:11]
	s_delay_alu instid0(VALU_DEP_2) | instskip(NEXT) | instid1(VALU_DEP_2)
	v_fma_f64 v[14:15], v[24:25], v[18:19], v[14:15]
	v_add_f64 v[3:4], v[3:4], v[10:11]
	s_delay_alu instid0(VALU_DEP_2)
	v_add_f64 v[1:2], v[1:2], v[14:15]
	s_and_not1_b32 exec_lo, exec_lo, s3
	s_cbranch_execnz .LBB98_113
; %bb.114:
	s_or_b32 exec_lo, exec_lo, s3
	v_mov_b32_e32 v7, 0
	ds_load_b128 v[7:10], v7 offset:400
	s_waitcnt lgkmcnt(0)
	v_mul_f64 v[11:12], v[1:2], v[9:10]
	v_mul_f64 v[14:15], v[3:4], v[9:10]
	s_delay_alu instid0(VALU_DEP_2) | instskip(NEXT) | instid1(VALU_DEP_2)
	v_fma_f64 v[9:10], v[3:4], v[7:8], -v[11:12]
	v_fma_f64 v[11:12], v[1:2], v[7:8], v[14:15]
	scratch_store_b128 off, v[9:12], off offset:400
.LBB98_115:
	s_or_b32 exec_lo, exec_lo, s2
	s_waitcnt_vscnt null, 0x0
	s_barrier
	buffer_gl0_inv
	scratch_load_b128 v[1:4], v147, off
	s_mov_b32 s2, exec_lo
	s_waitcnt vmcnt(0)
	ds_store_b128 v5, v[1:4]
	s_waitcnt lgkmcnt(0)
	s_barrier
	buffer_gl0_inv
	v_cmpx_gt_u32_e32 26, v116
	s_cbranch_execz .LBB98_119
; %bb.116:
	v_dual_mov_b32 v1, 0 :: v_dual_add_nc_u32 v8, 0x230, v17
	v_dual_mov_b32 v2, 0 :: v_dual_add_nc_u32 v7, -1, v116
	v_or_b32_e32 v9, 8, v13
	s_mov_b32 s3, 0
	s_delay_alu instid0(VALU_DEP_2)
	v_dual_mov_b32 v4, v2 :: v_dual_mov_b32 v3, v1
	.p2align	6
.LBB98_117:                             ; =>This Inner Loop Header: Depth=1
	scratch_load_b128 v[18:21], v9, off offset:-8
	ds_load_b128 v[22:25], v8
	v_add_nc_u32_e32 v7, 1, v7
	v_add_nc_u32_e32 v8, 16, v8
	;; [unrolled: 1-line block ×3, first 2 shown]
	s_delay_alu instid0(VALU_DEP_3) | instskip(SKIP_4) | instid1(VALU_DEP_2)
	v_cmp_lt_u32_e32 vcc_lo, 24, v7
	s_or_b32 s3, vcc_lo, s3
	s_waitcnt vmcnt(0) lgkmcnt(0)
	v_mul_f64 v[10:11], v[24:25], v[20:21]
	v_mul_f64 v[14:15], v[22:23], v[20:21]
	v_fma_f64 v[10:11], v[22:23], v[18:19], -v[10:11]
	s_delay_alu instid0(VALU_DEP_2) | instskip(NEXT) | instid1(VALU_DEP_2)
	v_fma_f64 v[14:15], v[24:25], v[18:19], v[14:15]
	v_add_f64 v[3:4], v[3:4], v[10:11]
	s_delay_alu instid0(VALU_DEP_2)
	v_add_f64 v[1:2], v[1:2], v[14:15]
	s_and_not1_b32 exec_lo, exec_lo, s3
	s_cbranch_execnz .LBB98_117
; %bb.118:
	s_or_b32 exec_lo, exec_lo, s3
	v_mov_b32_e32 v7, 0
	ds_load_b128 v[7:10], v7 offset:416
	s_waitcnt lgkmcnt(0)
	v_mul_f64 v[11:12], v[1:2], v[9:10]
	v_mul_f64 v[14:15], v[3:4], v[9:10]
	s_delay_alu instid0(VALU_DEP_2) | instskip(NEXT) | instid1(VALU_DEP_2)
	v_fma_f64 v[9:10], v[3:4], v[7:8], -v[11:12]
	v_fma_f64 v[11:12], v[1:2], v[7:8], v[14:15]
	scratch_store_b128 off, v[9:12], off offset:416
.LBB98_119:
	s_or_b32 exec_lo, exec_lo, s2
	s_waitcnt_vscnt null, 0x0
	s_barrier
	buffer_gl0_inv
	scratch_load_b128 v[1:4], v146, off
	s_mov_b32 s2, exec_lo
	s_waitcnt vmcnt(0)
	ds_store_b128 v5, v[1:4]
	s_waitcnt lgkmcnt(0)
	s_barrier
	buffer_gl0_inv
	v_cmpx_gt_u32_e32 27, v116
	s_cbranch_execz .LBB98_123
; %bb.120:
	v_dual_mov_b32 v1, 0 :: v_dual_add_nc_u32 v8, 0x230, v17
	v_dual_mov_b32 v2, 0 :: v_dual_add_nc_u32 v7, -1, v116
	v_or_b32_e32 v9, 8, v13
	s_mov_b32 s3, 0
	s_delay_alu instid0(VALU_DEP_2)
	v_dual_mov_b32 v4, v2 :: v_dual_mov_b32 v3, v1
	.p2align	6
.LBB98_121:                             ; =>This Inner Loop Header: Depth=1
	scratch_load_b128 v[18:21], v9, off offset:-8
	ds_load_b128 v[22:25], v8
	v_add_nc_u32_e32 v7, 1, v7
	v_add_nc_u32_e32 v8, 16, v8
	;; [unrolled: 1-line block ×3, first 2 shown]
	s_delay_alu instid0(VALU_DEP_3) | instskip(SKIP_4) | instid1(VALU_DEP_2)
	v_cmp_lt_u32_e32 vcc_lo, 25, v7
	s_or_b32 s3, vcc_lo, s3
	s_waitcnt vmcnt(0) lgkmcnt(0)
	v_mul_f64 v[10:11], v[24:25], v[20:21]
	v_mul_f64 v[14:15], v[22:23], v[20:21]
	v_fma_f64 v[10:11], v[22:23], v[18:19], -v[10:11]
	s_delay_alu instid0(VALU_DEP_2) | instskip(NEXT) | instid1(VALU_DEP_2)
	v_fma_f64 v[14:15], v[24:25], v[18:19], v[14:15]
	v_add_f64 v[3:4], v[3:4], v[10:11]
	s_delay_alu instid0(VALU_DEP_2)
	v_add_f64 v[1:2], v[1:2], v[14:15]
	s_and_not1_b32 exec_lo, exec_lo, s3
	s_cbranch_execnz .LBB98_121
; %bb.122:
	s_or_b32 exec_lo, exec_lo, s3
	v_mov_b32_e32 v7, 0
	ds_load_b128 v[7:10], v7 offset:432
	s_waitcnt lgkmcnt(0)
	v_mul_f64 v[11:12], v[1:2], v[9:10]
	v_mul_f64 v[14:15], v[3:4], v[9:10]
	s_delay_alu instid0(VALU_DEP_2) | instskip(NEXT) | instid1(VALU_DEP_2)
	v_fma_f64 v[9:10], v[3:4], v[7:8], -v[11:12]
	v_fma_f64 v[11:12], v[1:2], v[7:8], v[14:15]
	scratch_store_b128 off, v[9:12], off offset:432
.LBB98_123:
	s_or_b32 exec_lo, exec_lo, s2
	s_waitcnt_vscnt null, 0x0
	s_barrier
	buffer_gl0_inv
	scratch_load_b128 v[1:4], v145, off
	s_mov_b32 s2, exec_lo
	s_waitcnt vmcnt(0)
	ds_store_b128 v5, v[1:4]
	s_waitcnt lgkmcnt(0)
	s_barrier
	buffer_gl0_inv
	v_cmpx_gt_u32_e32 28, v116
	s_cbranch_execz .LBB98_127
; %bb.124:
	v_dual_mov_b32 v1, 0 :: v_dual_add_nc_u32 v8, 0x230, v17
	v_dual_mov_b32 v2, 0 :: v_dual_add_nc_u32 v7, -1, v116
	v_or_b32_e32 v9, 8, v13
	s_mov_b32 s3, 0
	s_delay_alu instid0(VALU_DEP_2)
	v_dual_mov_b32 v4, v2 :: v_dual_mov_b32 v3, v1
	.p2align	6
.LBB98_125:                             ; =>This Inner Loop Header: Depth=1
	scratch_load_b128 v[18:21], v9, off offset:-8
	ds_load_b128 v[22:25], v8
	v_add_nc_u32_e32 v7, 1, v7
	v_add_nc_u32_e32 v8, 16, v8
	v_add_nc_u32_e32 v9, 16, v9
	s_delay_alu instid0(VALU_DEP_3) | instskip(SKIP_4) | instid1(VALU_DEP_2)
	v_cmp_lt_u32_e32 vcc_lo, 26, v7
	s_or_b32 s3, vcc_lo, s3
	s_waitcnt vmcnt(0) lgkmcnt(0)
	v_mul_f64 v[10:11], v[24:25], v[20:21]
	v_mul_f64 v[14:15], v[22:23], v[20:21]
	v_fma_f64 v[10:11], v[22:23], v[18:19], -v[10:11]
	s_delay_alu instid0(VALU_DEP_2) | instskip(NEXT) | instid1(VALU_DEP_2)
	v_fma_f64 v[14:15], v[24:25], v[18:19], v[14:15]
	v_add_f64 v[3:4], v[3:4], v[10:11]
	s_delay_alu instid0(VALU_DEP_2)
	v_add_f64 v[1:2], v[1:2], v[14:15]
	s_and_not1_b32 exec_lo, exec_lo, s3
	s_cbranch_execnz .LBB98_125
; %bb.126:
	s_or_b32 exec_lo, exec_lo, s3
	v_mov_b32_e32 v7, 0
	ds_load_b128 v[7:10], v7 offset:448
	s_waitcnt lgkmcnt(0)
	v_mul_f64 v[11:12], v[1:2], v[9:10]
	v_mul_f64 v[14:15], v[3:4], v[9:10]
	s_delay_alu instid0(VALU_DEP_2) | instskip(NEXT) | instid1(VALU_DEP_2)
	v_fma_f64 v[9:10], v[3:4], v[7:8], -v[11:12]
	v_fma_f64 v[11:12], v[1:2], v[7:8], v[14:15]
	scratch_store_b128 off, v[9:12], off offset:448
.LBB98_127:
	s_or_b32 exec_lo, exec_lo, s2
	s_waitcnt_vscnt null, 0x0
	s_barrier
	buffer_gl0_inv
	scratch_load_b128 v[1:4], v144, off
	s_mov_b32 s2, exec_lo
	s_waitcnt vmcnt(0)
	ds_store_b128 v5, v[1:4]
	s_waitcnt lgkmcnt(0)
	s_barrier
	buffer_gl0_inv
	v_cmpx_gt_u32_e32 29, v116
	s_cbranch_execz .LBB98_131
; %bb.128:
	v_dual_mov_b32 v1, 0 :: v_dual_add_nc_u32 v8, 0x230, v17
	v_dual_mov_b32 v2, 0 :: v_dual_add_nc_u32 v7, -1, v116
	v_or_b32_e32 v9, 8, v13
	s_mov_b32 s3, 0
	s_delay_alu instid0(VALU_DEP_2)
	v_dual_mov_b32 v4, v2 :: v_dual_mov_b32 v3, v1
	.p2align	6
.LBB98_129:                             ; =>This Inner Loop Header: Depth=1
	scratch_load_b128 v[18:21], v9, off offset:-8
	ds_load_b128 v[22:25], v8
	v_add_nc_u32_e32 v7, 1, v7
	v_add_nc_u32_e32 v8, 16, v8
	;; [unrolled: 1-line block ×3, first 2 shown]
	s_delay_alu instid0(VALU_DEP_3) | instskip(SKIP_4) | instid1(VALU_DEP_2)
	v_cmp_lt_u32_e32 vcc_lo, 27, v7
	s_or_b32 s3, vcc_lo, s3
	s_waitcnt vmcnt(0) lgkmcnt(0)
	v_mul_f64 v[10:11], v[24:25], v[20:21]
	v_mul_f64 v[14:15], v[22:23], v[20:21]
	v_fma_f64 v[10:11], v[22:23], v[18:19], -v[10:11]
	s_delay_alu instid0(VALU_DEP_2) | instskip(NEXT) | instid1(VALU_DEP_2)
	v_fma_f64 v[14:15], v[24:25], v[18:19], v[14:15]
	v_add_f64 v[3:4], v[3:4], v[10:11]
	s_delay_alu instid0(VALU_DEP_2)
	v_add_f64 v[1:2], v[1:2], v[14:15]
	s_and_not1_b32 exec_lo, exec_lo, s3
	s_cbranch_execnz .LBB98_129
; %bb.130:
	s_or_b32 exec_lo, exec_lo, s3
	v_mov_b32_e32 v7, 0
	ds_load_b128 v[7:10], v7 offset:464
	s_waitcnt lgkmcnt(0)
	v_mul_f64 v[11:12], v[1:2], v[9:10]
	v_mul_f64 v[14:15], v[3:4], v[9:10]
	s_delay_alu instid0(VALU_DEP_2) | instskip(NEXT) | instid1(VALU_DEP_2)
	v_fma_f64 v[9:10], v[3:4], v[7:8], -v[11:12]
	v_fma_f64 v[11:12], v[1:2], v[7:8], v[14:15]
	scratch_store_b128 off, v[9:12], off offset:464
.LBB98_131:
	s_or_b32 exec_lo, exec_lo, s2
	s_waitcnt_vscnt null, 0x0
	s_barrier
	buffer_gl0_inv
	scratch_load_b128 v[1:4], v143, off
	s_mov_b32 s2, exec_lo
	s_waitcnt vmcnt(0)
	ds_store_b128 v5, v[1:4]
	s_waitcnt lgkmcnt(0)
	s_barrier
	buffer_gl0_inv
	v_cmpx_gt_u32_e32 30, v116
	s_cbranch_execz .LBB98_135
; %bb.132:
	v_dual_mov_b32 v1, 0 :: v_dual_add_nc_u32 v8, 0x230, v17
	v_dual_mov_b32 v2, 0 :: v_dual_add_nc_u32 v7, -1, v116
	v_or_b32_e32 v9, 8, v13
	s_mov_b32 s3, 0
	s_delay_alu instid0(VALU_DEP_2)
	v_dual_mov_b32 v4, v2 :: v_dual_mov_b32 v3, v1
	.p2align	6
.LBB98_133:                             ; =>This Inner Loop Header: Depth=1
	scratch_load_b128 v[18:21], v9, off offset:-8
	ds_load_b128 v[22:25], v8
	v_add_nc_u32_e32 v7, 1, v7
	v_add_nc_u32_e32 v8, 16, v8
	;; [unrolled: 1-line block ×3, first 2 shown]
	s_delay_alu instid0(VALU_DEP_3) | instskip(SKIP_4) | instid1(VALU_DEP_2)
	v_cmp_lt_u32_e32 vcc_lo, 28, v7
	s_or_b32 s3, vcc_lo, s3
	s_waitcnt vmcnt(0) lgkmcnt(0)
	v_mul_f64 v[10:11], v[24:25], v[20:21]
	v_mul_f64 v[14:15], v[22:23], v[20:21]
	v_fma_f64 v[10:11], v[22:23], v[18:19], -v[10:11]
	s_delay_alu instid0(VALU_DEP_2) | instskip(NEXT) | instid1(VALU_DEP_2)
	v_fma_f64 v[14:15], v[24:25], v[18:19], v[14:15]
	v_add_f64 v[3:4], v[3:4], v[10:11]
	s_delay_alu instid0(VALU_DEP_2)
	v_add_f64 v[1:2], v[1:2], v[14:15]
	s_and_not1_b32 exec_lo, exec_lo, s3
	s_cbranch_execnz .LBB98_133
; %bb.134:
	s_or_b32 exec_lo, exec_lo, s3
	v_mov_b32_e32 v7, 0
	ds_load_b128 v[7:10], v7 offset:480
	s_waitcnt lgkmcnt(0)
	v_mul_f64 v[11:12], v[1:2], v[9:10]
	v_mul_f64 v[14:15], v[3:4], v[9:10]
	s_delay_alu instid0(VALU_DEP_2) | instskip(NEXT) | instid1(VALU_DEP_2)
	v_fma_f64 v[9:10], v[3:4], v[7:8], -v[11:12]
	v_fma_f64 v[11:12], v[1:2], v[7:8], v[14:15]
	scratch_store_b128 off, v[9:12], off offset:480
.LBB98_135:
	s_or_b32 exec_lo, exec_lo, s2
	s_waitcnt_vscnt null, 0x0
	s_barrier
	buffer_gl0_inv
	scratch_load_b128 v[1:4], v140, off
	s_mov_b32 s2, exec_lo
	s_waitcnt vmcnt(0)
	ds_store_b128 v5, v[1:4]
	s_waitcnt lgkmcnt(0)
	s_barrier
	buffer_gl0_inv
	v_cmpx_gt_u32_e32 31, v116
	s_cbranch_execz .LBB98_139
; %bb.136:
	v_dual_mov_b32 v1, 0 :: v_dual_add_nc_u32 v8, 0x230, v17
	v_dual_mov_b32 v2, 0 :: v_dual_add_nc_u32 v7, -1, v116
	v_or_b32_e32 v9, 8, v13
	s_mov_b32 s3, 0
	s_delay_alu instid0(VALU_DEP_2)
	v_dual_mov_b32 v4, v2 :: v_dual_mov_b32 v3, v1
	.p2align	6
.LBB98_137:                             ; =>This Inner Loop Header: Depth=1
	scratch_load_b128 v[18:21], v9, off offset:-8
	ds_load_b128 v[22:25], v8
	v_add_nc_u32_e32 v7, 1, v7
	v_add_nc_u32_e32 v8, 16, v8
	;; [unrolled: 1-line block ×3, first 2 shown]
	s_delay_alu instid0(VALU_DEP_3) | instskip(SKIP_4) | instid1(VALU_DEP_2)
	v_cmp_lt_u32_e32 vcc_lo, 29, v7
	s_or_b32 s3, vcc_lo, s3
	s_waitcnt vmcnt(0) lgkmcnt(0)
	v_mul_f64 v[10:11], v[24:25], v[20:21]
	v_mul_f64 v[14:15], v[22:23], v[20:21]
	v_fma_f64 v[10:11], v[22:23], v[18:19], -v[10:11]
	s_delay_alu instid0(VALU_DEP_2) | instskip(NEXT) | instid1(VALU_DEP_2)
	v_fma_f64 v[14:15], v[24:25], v[18:19], v[14:15]
	v_add_f64 v[3:4], v[3:4], v[10:11]
	s_delay_alu instid0(VALU_DEP_2)
	v_add_f64 v[1:2], v[1:2], v[14:15]
	s_and_not1_b32 exec_lo, exec_lo, s3
	s_cbranch_execnz .LBB98_137
; %bb.138:
	s_or_b32 exec_lo, exec_lo, s3
	v_mov_b32_e32 v7, 0
	ds_load_b128 v[7:10], v7 offset:496
	s_waitcnt lgkmcnt(0)
	v_mul_f64 v[11:12], v[1:2], v[9:10]
	v_mul_f64 v[14:15], v[3:4], v[9:10]
	s_delay_alu instid0(VALU_DEP_2) | instskip(NEXT) | instid1(VALU_DEP_2)
	v_fma_f64 v[9:10], v[3:4], v[7:8], -v[11:12]
	v_fma_f64 v[11:12], v[1:2], v[7:8], v[14:15]
	scratch_store_b128 off, v[9:12], off offset:496
.LBB98_139:
	s_or_b32 exec_lo, exec_lo, s2
	s_waitcnt_vscnt null, 0x0
	s_barrier
	buffer_gl0_inv
	scratch_load_b128 v[1:4], v137, off
	s_mov_b32 s2, exec_lo
	s_waitcnt vmcnt(0)
	ds_store_b128 v5, v[1:4]
	s_waitcnt lgkmcnt(0)
	s_barrier
	buffer_gl0_inv
	v_cmpx_gt_u32_e32 32, v116
	s_cbranch_execz .LBB98_143
; %bb.140:
	v_dual_mov_b32 v1, 0 :: v_dual_add_nc_u32 v8, 0x230, v17
	v_dual_mov_b32 v2, 0 :: v_dual_add_nc_u32 v7, -1, v116
	v_or_b32_e32 v9, 8, v13
	s_mov_b32 s3, 0
	s_delay_alu instid0(VALU_DEP_2)
	v_dual_mov_b32 v4, v2 :: v_dual_mov_b32 v3, v1
	.p2align	6
.LBB98_141:                             ; =>This Inner Loop Header: Depth=1
	scratch_load_b128 v[18:21], v9, off offset:-8
	ds_load_b128 v[22:25], v8
	v_add_nc_u32_e32 v7, 1, v7
	v_add_nc_u32_e32 v8, 16, v8
	;; [unrolled: 1-line block ×3, first 2 shown]
	s_delay_alu instid0(VALU_DEP_3) | instskip(SKIP_4) | instid1(VALU_DEP_2)
	v_cmp_lt_u32_e32 vcc_lo, 30, v7
	s_or_b32 s3, vcc_lo, s3
	s_waitcnt vmcnt(0) lgkmcnt(0)
	v_mul_f64 v[10:11], v[24:25], v[20:21]
	v_mul_f64 v[14:15], v[22:23], v[20:21]
	v_fma_f64 v[10:11], v[22:23], v[18:19], -v[10:11]
	s_delay_alu instid0(VALU_DEP_2) | instskip(NEXT) | instid1(VALU_DEP_2)
	v_fma_f64 v[14:15], v[24:25], v[18:19], v[14:15]
	v_add_f64 v[3:4], v[3:4], v[10:11]
	s_delay_alu instid0(VALU_DEP_2)
	v_add_f64 v[1:2], v[1:2], v[14:15]
	s_and_not1_b32 exec_lo, exec_lo, s3
	s_cbranch_execnz .LBB98_141
; %bb.142:
	s_or_b32 exec_lo, exec_lo, s3
	v_mov_b32_e32 v7, 0
	ds_load_b128 v[7:10], v7 offset:512
	s_waitcnt lgkmcnt(0)
	v_mul_f64 v[11:12], v[1:2], v[9:10]
	v_mul_f64 v[14:15], v[3:4], v[9:10]
	s_delay_alu instid0(VALU_DEP_2) | instskip(NEXT) | instid1(VALU_DEP_2)
	v_fma_f64 v[9:10], v[3:4], v[7:8], -v[11:12]
	v_fma_f64 v[11:12], v[1:2], v[7:8], v[14:15]
	scratch_store_b128 off, v[9:12], off offset:512
.LBB98_143:
	s_or_b32 exec_lo, exec_lo, s2
	s_waitcnt_vscnt null, 0x0
	s_barrier
	buffer_gl0_inv
	scratch_load_b128 v[1:4], v132, off
	s_mov_b32 s2, exec_lo
	s_waitcnt vmcnt(0)
	ds_store_b128 v5, v[1:4]
	s_waitcnt lgkmcnt(0)
	s_barrier
	buffer_gl0_inv
	v_cmpx_gt_u32_e32 33, v116
	s_cbranch_execz .LBB98_147
; %bb.144:
	v_dual_mov_b32 v1, 0 :: v_dual_add_nc_u32 v8, 0x230, v17
	v_dual_mov_b32 v2, 0 :: v_dual_add_nc_u32 v7, -1, v116
	v_or_b32_e32 v9, 8, v13
	s_mov_b32 s3, 0
	s_delay_alu instid0(VALU_DEP_2)
	v_dual_mov_b32 v4, v2 :: v_dual_mov_b32 v3, v1
	.p2align	6
.LBB98_145:                             ; =>This Inner Loop Header: Depth=1
	scratch_load_b128 v[14:17], v9, off offset:-8
	ds_load_b128 v[18:21], v8
	v_add_nc_u32_e32 v7, 1, v7
	v_add_nc_u32_e32 v8, 16, v8
	;; [unrolled: 1-line block ×3, first 2 shown]
	s_delay_alu instid0(VALU_DEP_3) | instskip(SKIP_4) | instid1(VALU_DEP_2)
	v_cmp_lt_u32_e32 vcc_lo, 31, v7
	s_or_b32 s3, vcc_lo, s3
	s_waitcnt vmcnt(0) lgkmcnt(0)
	v_mul_f64 v[10:11], v[20:21], v[16:17]
	v_mul_f64 v[16:17], v[18:19], v[16:17]
	v_fma_f64 v[10:11], v[18:19], v[14:15], -v[10:11]
	s_delay_alu instid0(VALU_DEP_2) | instskip(NEXT) | instid1(VALU_DEP_2)
	v_fma_f64 v[14:15], v[20:21], v[14:15], v[16:17]
	v_add_f64 v[3:4], v[3:4], v[10:11]
	s_delay_alu instid0(VALU_DEP_2)
	v_add_f64 v[1:2], v[1:2], v[14:15]
	s_and_not1_b32 exec_lo, exec_lo, s3
	s_cbranch_execnz .LBB98_145
; %bb.146:
	s_or_b32 exec_lo, exec_lo, s3
	v_mov_b32_e32 v7, 0
	ds_load_b128 v[7:10], v7 offset:528
	s_waitcnt lgkmcnt(0)
	v_mul_f64 v[11:12], v[1:2], v[9:10]
	v_mul_f64 v[14:15], v[3:4], v[9:10]
	s_delay_alu instid0(VALU_DEP_2) | instskip(NEXT) | instid1(VALU_DEP_2)
	v_fma_f64 v[9:10], v[3:4], v[7:8], -v[11:12]
	v_fma_f64 v[11:12], v[1:2], v[7:8], v[14:15]
	scratch_store_b128 off, v[9:12], off offset:528
.LBB98_147:
	s_or_b32 exec_lo, exec_lo, s2
	s_waitcnt_vscnt null, 0x0
	s_barrier
	buffer_gl0_inv
	scratch_load_b128 v[1:4], v129, off
	s_mov_b32 s2, exec_lo
	s_waitcnt vmcnt(0)
	ds_store_b128 v5, v[1:4]
	s_waitcnt lgkmcnt(0)
	s_barrier
	buffer_gl0_inv
	v_cmpx_ne_u32_e32 34, v116
	s_cbranch_execz .LBB98_151
; %bb.148:
	v_mov_b32_e32 v1, 0
	v_mov_b32_e32 v2, 0
	v_or_b32_e32 v7, 8, v13
	s_mov_b32 s3, 0
	s_delay_alu instid0(VALU_DEP_2)
	v_dual_mov_b32 v4, v2 :: v_dual_mov_b32 v3, v1
	.p2align	6
.LBB98_149:                             ; =>This Inner Loop Header: Depth=1
	scratch_load_b128 v[8:11], v7, off offset:-8
	ds_load_b128 v[12:15], v5
	v_add_nc_u32_e32 v6, 1, v6
	v_add_nc_u32_e32 v5, 16, v5
	v_add_nc_u32_e32 v7, 16, v7
	s_delay_alu instid0(VALU_DEP_3) | instskip(SKIP_4) | instid1(VALU_DEP_2)
	v_cmp_lt_u32_e32 vcc_lo, 32, v6
	s_or_b32 s3, vcc_lo, s3
	s_waitcnt vmcnt(0) lgkmcnt(0)
	v_mul_f64 v[16:17], v[14:15], v[10:11]
	v_mul_f64 v[10:11], v[12:13], v[10:11]
	v_fma_f64 v[12:13], v[12:13], v[8:9], -v[16:17]
	s_delay_alu instid0(VALU_DEP_2) | instskip(NEXT) | instid1(VALU_DEP_2)
	v_fma_f64 v[8:9], v[14:15], v[8:9], v[10:11]
	v_add_f64 v[3:4], v[3:4], v[12:13]
	s_delay_alu instid0(VALU_DEP_2)
	v_add_f64 v[1:2], v[1:2], v[8:9]
	s_and_not1_b32 exec_lo, exec_lo, s3
	s_cbranch_execnz .LBB98_149
; %bb.150:
	s_or_b32 exec_lo, exec_lo, s3
	v_mov_b32_e32 v5, 0
	ds_load_b128 v[5:8], v5 offset:544
	s_waitcnt lgkmcnt(0)
	v_mul_f64 v[9:10], v[1:2], v[7:8]
	v_mul_f64 v[7:8], v[3:4], v[7:8]
	s_delay_alu instid0(VALU_DEP_2) | instskip(NEXT) | instid1(VALU_DEP_2)
	v_fma_f64 v[3:4], v[3:4], v[5:6], -v[9:10]
	v_fma_f64 v[5:6], v[1:2], v[5:6], v[7:8]
	scratch_store_b128 off, v[3:6], off offset:544
.LBB98_151:
	s_or_b32 exec_lo, exec_lo, s2
	s_mov_b32 s3, -1
	s_waitcnt_vscnt null, 0x0
	s_barrier
	buffer_gl0_inv
.LBB98_152:
	s_and_b32 vcc_lo, exec_lo, s3
	s_cbranch_vccz .LBB98_154
; %bb.153:
	s_lshl_b64 s[2:3], s[10:11], 2
	v_mov_b32_e32 v1, 0
	s_add_u32 s2, s6, s2
	s_addc_u32 s3, s7, s3
	global_load_b32 v1, v1, s[2:3]
	s_waitcnt vmcnt(0)
	v_cmp_ne_u32_e32 vcc_lo, 0, v1
	s_cbranch_vccz .LBB98_155
.LBB98_154:
	s_endpgm
.LBB98_155:
	v_lshl_add_u32 v151, v116, 4, 0x230
	s_mov_b32 s2, exec_lo
	v_cmpx_eq_u32_e32 34, v116
	s_cbranch_execz .LBB98_157
; %bb.156:
	scratch_load_b128 v[1:4], v132, off
	v_mov_b32_e32 v5, 0
	s_delay_alu instid0(VALU_DEP_1)
	v_mov_b32_e32 v6, v5
	v_mov_b32_e32 v7, v5
	;; [unrolled: 1-line block ×3, first 2 shown]
	scratch_store_b128 off, v[5:8], off offset:528
	s_waitcnt vmcnt(0)
	ds_store_b128 v151, v[1:4]
.LBB98_157:
	s_or_b32 exec_lo, exec_lo, s2
	s_waitcnt lgkmcnt(0)
	s_waitcnt_vscnt null, 0x0
	s_barrier
	buffer_gl0_inv
	s_clause 0x1
	scratch_load_b128 v[2:5], off, off offset:544
	scratch_load_b128 v[6:9], off, off offset:528
	v_mov_b32_e32 v1, 0
	s_mov_b32 s2, exec_lo
	ds_load_b128 v[10:13], v1 offset:1104
	s_waitcnt vmcnt(1) lgkmcnt(0)
	v_mul_f64 v[14:15], v[12:13], v[4:5]
	v_mul_f64 v[4:5], v[10:11], v[4:5]
	s_delay_alu instid0(VALU_DEP_2) | instskip(NEXT) | instid1(VALU_DEP_2)
	v_fma_f64 v[10:11], v[10:11], v[2:3], -v[14:15]
	v_fma_f64 v[2:3], v[12:13], v[2:3], v[4:5]
	s_delay_alu instid0(VALU_DEP_2) | instskip(NEXT) | instid1(VALU_DEP_2)
	v_add_f64 v[4:5], v[10:11], 0
	v_add_f64 v[10:11], v[2:3], 0
	s_waitcnt vmcnt(0)
	s_delay_alu instid0(VALU_DEP_2) | instskip(NEXT) | instid1(VALU_DEP_2)
	v_add_f64 v[2:3], v[6:7], -v[4:5]
	v_add_f64 v[4:5], v[8:9], -v[10:11]
	scratch_store_b128 off, v[2:5], off offset:528
	v_cmpx_lt_u32_e32 32, v116
	s_cbranch_execz .LBB98_159
; %bb.158:
	scratch_load_b128 v[5:8], v137, off
	v_mov_b32_e32 v2, v1
	v_mov_b32_e32 v3, v1
	v_mov_b32_e32 v4, v1
	scratch_store_b128 off, v[1:4], off offset:512
	s_waitcnt vmcnt(0)
	ds_store_b128 v151, v[5:8]
.LBB98_159:
	s_or_b32 exec_lo, exec_lo, s2
	s_waitcnt lgkmcnt(0)
	s_waitcnt_vscnt null, 0x0
	s_barrier
	buffer_gl0_inv
	s_clause 0x2
	scratch_load_b128 v[2:5], off, off offset:528
	scratch_load_b128 v[6:9], off, off offset:544
	;; [unrolled: 1-line block ×3, first 2 shown]
	ds_load_b128 v[14:17], v1 offset:1088
	ds_load_b128 v[18:21], v1 offset:1104
	s_mov_b32 s2, exec_lo
	s_waitcnt vmcnt(2) lgkmcnt(1)
	v_mul_f64 v[22:23], v[16:17], v[4:5]
	v_mul_f64 v[4:5], v[14:15], v[4:5]
	s_waitcnt vmcnt(1) lgkmcnt(0)
	v_mul_f64 v[24:25], v[18:19], v[8:9]
	v_mul_f64 v[8:9], v[20:21], v[8:9]
	s_delay_alu instid0(VALU_DEP_4) | instskip(NEXT) | instid1(VALU_DEP_4)
	v_fma_f64 v[14:15], v[14:15], v[2:3], -v[22:23]
	v_fma_f64 v[1:2], v[16:17], v[2:3], v[4:5]
	s_delay_alu instid0(VALU_DEP_4) | instskip(NEXT) | instid1(VALU_DEP_4)
	v_fma_f64 v[3:4], v[20:21], v[6:7], v[24:25]
	v_fma_f64 v[5:6], v[18:19], v[6:7], -v[8:9]
	s_delay_alu instid0(VALU_DEP_4) | instskip(NEXT) | instid1(VALU_DEP_4)
	v_add_f64 v[7:8], v[14:15], 0
	v_add_f64 v[1:2], v[1:2], 0
	s_delay_alu instid0(VALU_DEP_2) | instskip(NEXT) | instid1(VALU_DEP_2)
	v_add_f64 v[5:6], v[7:8], v[5:6]
	v_add_f64 v[3:4], v[1:2], v[3:4]
	s_waitcnt vmcnt(0)
	s_delay_alu instid0(VALU_DEP_2) | instskip(NEXT) | instid1(VALU_DEP_2)
	v_add_f64 v[1:2], v[10:11], -v[5:6]
	v_add_f64 v[3:4], v[12:13], -v[3:4]
	scratch_store_b128 off, v[1:4], off offset:512
	v_cmpx_lt_u32_e32 31, v116
	s_cbranch_execz .LBB98_161
; %bb.160:
	scratch_load_b128 v[1:4], v140, off
	v_mov_b32_e32 v5, 0
	s_delay_alu instid0(VALU_DEP_1)
	v_mov_b32_e32 v6, v5
	v_mov_b32_e32 v7, v5
	;; [unrolled: 1-line block ×3, first 2 shown]
	scratch_store_b128 off, v[5:8], off offset:496
	s_waitcnt vmcnt(0)
	ds_store_b128 v151, v[1:4]
.LBB98_161:
	s_or_b32 exec_lo, exec_lo, s2
	s_waitcnt lgkmcnt(0)
	s_waitcnt_vscnt null, 0x0
	s_barrier
	buffer_gl0_inv
	s_clause 0x3
	scratch_load_b128 v[2:5], off, off offset:512
	scratch_load_b128 v[6:9], off, off offset:528
	;; [unrolled: 1-line block ×4, first 2 shown]
	v_mov_b32_e32 v1, 0
	ds_load_b128 v[18:21], v1 offset:1072
	ds_load_b128 v[22:25], v1 offset:1088
	s_mov_b32 s2, exec_lo
	s_waitcnt vmcnt(3) lgkmcnt(1)
	v_mul_f64 v[26:27], v[20:21], v[4:5]
	v_mul_f64 v[4:5], v[18:19], v[4:5]
	s_waitcnt vmcnt(2) lgkmcnt(0)
	v_mul_f64 v[28:29], v[22:23], v[8:9]
	v_mul_f64 v[8:9], v[24:25], v[8:9]
	s_delay_alu instid0(VALU_DEP_4) | instskip(NEXT) | instid1(VALU_DEP_4)
	v_fma_f64 v[18:19], v[18:19], v[2:3], -v[26:27]
	v_fma_f64 v[20:21], v[20:21], v[2:3], v[4:5]
	ds_load_b128 v[2:5], v1 offset:1104
	v_fma_f64 v[24:25], v[24:25], v[6:7], v[28:29]
	v_fma_f64 v[6:7], v[22:23], v[6:7], -v[8:9]
	s_waitcnt vmcnt(1) lgkmcnt(0)
	v_mul_f64 v[26:27], v[2:3], v[12:13]
	v_mul_f64 v[12:13], v[4:5], v[12:13]
	v_add_f64 v[8:9], v[18:19], 0
	v_add_f64 v[18:19], v[20:21], 0
	s_delay_alu instid0(VALU_DEP_4) | instskip(NEXT) | instid1(VALU_DEP_4)
	v_fma_f64 v[4:5], v[4:5], v[10:11], v[26:27]
	v_fma_f64 v[2:3], v[2:3], v[10:11], -v[12:13]
	s_delay_alu instid0(VALU_DEP_4) | instskip(NEXT) | instid1(VALU_DEP_4)
	v_add_f64 v[6:7], v[8:9], v[6:7]
	v_add_f64 v[8:9], v[18:19], v[24:25]
	s_delay_alu instid0(VALU_DEP_2) | instskip(NEXT) | instid1(VALU_DEP_2)
	v_add_f64 v[2:3], v[6:7], v[2:3]
	v_add_f64 v[4:5], v[8:9], v[4:5]
	s_waitcnt vmcnt(0)
	s_delay_alu instid0(VALU_DEP_2) | instskip(NEXT) | instid1(VALU_DEP_2)
	v_add_f64 v[2:3], v[14:15], -v[2:3]
	v_add_f64 v[4:5], v[16:17], -v[4:5]
	scratch_store_b128 off, v[2:5], off offset:496
	v_cmpx_lt_u32_e32 30, v116
	s_cbranch_execz .LBB98_163
; %bb.162:
	scratch_load_b128 v[5:8], v143, off
	v_mov_b32_e32 v2, v1
	v_mov_b32_e32 v3, v1
	;; [unrolled: 1-line block ×3, first 2 shown]
	scratch_store_b128 off, v[1:4], off offset:480
	s_waitcnt vmcnt(0)
	ds_store_b128 v151, v[5:8]
.LBB98_163:
	s_or_b32 exec_lo, exec_lo, s2
	s_waitcnt lgkmcnt(0)
	s_waitcnt_vscnt null, 0x0
	s_barrier
	buffer_gl0_inv
	s_clause 0x4
	scratch_load_b128 v[2:5], off, off offset:496
	scratch_load_b128 v[6:9], off, off offset:512
	;; [unrolled: 1-line block ×5, first 2 shown]
	ds_load_b128 v[22:25], v1 offset:1056
	ds_load_b128 v[26:29], v1 offset:1072
	s_mov_b32 s2, exec_lo
	s_waitcnt vmcnt(4) lgkmcnt(1)
	v_mul_f64 v[30:31], v[24:25], v[4:5]
	v_mul_f64 v[4:5], v[22:23], v[4:5]
	s_waitcnt vmcnt(3) lgkmcnt(0)
	v_mul_f64 v[32:33], v[26:27], v[8:9]
	v_mul_f64 v[8:9], v[28:29], v[8:9]
	s_delay_alu instid0(VALU_DEP_4) | instskip(NEXT) | instid1(VALU_DEP_4)
	v_fma_f64 v[30:31], v[22:23], v[2:3], -v[30:31]
	v_fma_f64 v[34:35], v[24:25], v[2:3], v[4:5]
	ds_load_b128 v[2:5], v1 offset:1088
	ds_load_b128 v[22:25], v1 offset:1104
	v_fma_f64 v[28:29], v[28:29], v[6:7], v[32:33]
	v_fma_f64 v[6:7], v[26:27], v[6:7], -v[8:9]
	s_waitcnt vmcnt(2) lgkmcnt(1)
	v_mul_f64 v[36:37], v[2:3], v[12:13]
	v_mul_f64 v[12:13], v[4:5], v[12:13]
	v_add_f64 v[8:9], v[30:31], 0
	v_add_f64 v[26:27], v[34:35], 0
	s_waitcnt vmcnt(1) lgkmcnt(0)
	v_mul_f64 v[30:31], v[22:23], v[16:17]
	v_mul_f64 v[16:17], v[24:25], v[16:17]
	v_fma_f64 v[4:5], v[4:5], v[10:11], v[36:37]
	v_fma_f64 v[1:2], v[2:3], v[10:11], -v[12:13]
	v_add_f64 v[6:7], v[8:9], v[6:7]
	v_add_f64 v[8:9], v[26:27], v[28:29]
	v_fma_f64 v[10:11], v[24:25], v[14:15], v[30:31]
	v_fma_f64 v[12:13], v[22:23], v[14:15], -v[16:17]
	s_delay_alu instid0(VALU_DEP_4) | instskip(NEXT) | instid1(VALU_DEP_4)
	v_add_f64 v[1:2], v[6:7], v[1:2]
	v_add_f64 v[3:4], v[8:9], v[4:5]
	s_delay_alu instid0(VALU_DEP_2) | instskip(NEXT) | instid1(VALU_DEP_2)
	v_add_f64 v[1:2], v[1:2], v[12:13]
	v_add_f64 v[3:4], v[3:4], v[10:11]
	s_waitcnt vmcnt(0)
	s_delay_alu instid0(VALU_DEP_2) | instskip(NEXT) | instid1(VALU_DEP_2)
	v_add_f64 v[1:2], v[18:19], -v[1:2]
	v_add_f64 v[3:4], v[20:21], -v[3:4]
	scratch_store_b128 off, v[1:4], off offset:480
	v_cmpx_lt_u32_e32 29, v116
	s_cbranch_execz .LBB98_165
; %bb.164:
	scratch_load_b128 v[1:4], v144, off
	v_mov_b32_e32 v5, 0
	s_delay_alu instid0(VALU_DEP_1)
	v_mov_b32_e32 v6, v5
	v_mov_b32_e32 v7, v5
	;; [unrolled: 1-line block ×3, first 2 shown]
	scratch_store_b128 off, v[5:8], off offset:464
	s_waitcnt vmcnt(0)
	ds_store_b128 v151, v[1:4]
.LBB98_165:
	s_or_b32 exec_lo, exec_lo, s2
	s_waitcnt lgkmcnt(0)
	s_waitcnt_vscnt null, 0x0
	s_barrier
	buffer_gl0_inv
	s_clause 0x5
	scratch_load_b128 v[2:5], off, off offset:480
	scratch_load_b128 v[6:9], off, off offset:496
	;; [unrolled: 1-line block ×6, first 2 shown]
	v_mov_b32_e32 v1, 0
	ds_load_b128 v[26:29], v1 offset:1040
	ds_load_b128 v[30:33], v1 offset:1056
	s_mov_b32 s2, exec_lo
	s_waitcnt vmcnt(5) lgkmcnt(1)
	v_mul_f64 v[34:35], v[28:29], v[4:5]
	v_mul_f64 v[4:5], v[26:27], v[4:5]
	s_waitcnt vmcnt(4) lgkmcnt(0)
	v_mul_f64 v[36:37], v[30:31], v[8:9]
	v_mul_f64 v[8:9], v[32:33], v[8:9]
	s_delay_alu instid0(VALU_DEP_4) | instskip(NEXT) | instid1(VALU_DEP_4)
	v_fma_f64 v[34:35], v[26:27], v[2:3], -v[34:35]
	v_fma_f64 v[38:39], v[28:29], v[2:3], v[4:5]
	ds_load_b128 v[2:5], v1 offset:1072
	ds_load_b128 v[26:29], v1 offset:1088
	v_fma_f64 v[32:33], v[32:33], v[6:7], v[36:37]
	v_fma_f64 v[6:7], v[30:31], v[6:7], -v[8:9]
	s_waitcnt vmcnt(3) lgkmcnt(1)
	v_mul_f64 v[40:41], v[2:3], v[12:13]
	v_mul_f64 v[12:13], v[4:5], v[12:13]
	v_add_f64 v[8:9], v[34:35], 0
	v_add_f64 v[30:31], v[38:39], 0
	s_waitcnt vmcnt(2) lgkmcnt(0)
	v_mul_f64 v[34:35], v[26:27], v[16:17]
	v_mul_f64 v[16:17], v[28:29], v[16:17]
	v_fma_f64 v[36:37], v[4:5], v[10:11], v[40:41]
	v_fma_f64 v[10:11], v[2:3], v[10:11], -v[12:13]
	ds_load_b128 v[2:5], v1 offset:1104
	v_add_f64 v[6:7], v[8:9], v[6:7]
	v_add_f64 v[8:9], v[30:31], v[32:33]
	v_fma_f64 v[28:29], v[28:29], v[14:15], v[34:35]
	v_fma_f64 v[14:15], v[26:27], v[14:15], -v[16:17]
	s_waitcnt vmcnt(1) lgkmcnt(0)
	v_mul_f64 v[12:13], v[2:3], v[20:21]
	v_mul_f64 v[20:21], v[4:5], v[20:21]
	v_add_f64 v[6:7], v[6:7], v[10:11]
	v_add_f64 v[8:9], v[8:9], v[36:37]
	s_delay_alu instid0(VALU_DEP_4) | instskip(NEXT) | instid1(VALU_DEP_4)
	v_fma_f64 v[4:5], v[4:5], v[18:19], v[12:13]
	v_fma_f64 v[2:3], v[2:3], v[18:19], -v[20:21]
	s_delay_alu instid0(VALU_DEP_4) | instskip(NEXT) | instid1(VALU_DEP_4)
	v_add_f64 v[6:7], v[6:7], v[14:15]
	v_add_f64 v[8:9], v[8:9], v[28:29]
	s_delay_alu instid0(VALU_DEP_2) | instskip(NEXT) | instid1(VALU_DEP_2)
	v_add_f64 v[2:3], v[6:7], v[2:3]
	v_add_f64 v[4:5], v[8:9], v[4:5]
	s_waitcnt vmcnt(0)
	s_delay_alu instid0(VALU_DEP_2) | instskip(NEXT) | instid1(VALU_DEP_2)
	v_add_f64 v[2:3], v[22:23], -v[2:3]
	v_add_f64 v[4:5], v[24:25], -v[4:5]
	scratch_store_b128 off, v[2:5], off offset:464
	v_cmpx_lt_u32_e32 28, v116
	s_cbranch_execz .LBB98_167
; %bb.166:
	scratch_load_b128 v[5:8], v145, off
	v_mov_b32_e32 v2, v1
	v_mov_b32_e32 v3, v1
	;; [unrolled: 1-line block ×3, first 2 shown]
	scratch_store_b128 off, v[1:4], off offset:448
	s_waitcnt vmcnt(0)
	ds_store_b128 v151, v[5:8]
.LBB98_167:
	s_or_b32 exec_lo, exec_lo, s2
	s_waitcnt lgkmcnt(0)
	s_waitcnt_vscnt null, 0x0
	s_barrier
	buffer_gl0_inv
	s_clause 0x5
	scratch_load_b128 v[2:5], off, off offset:464
	scratch_load_b128 v[6:9], off, off offset:480
	;; [unrolled: 1-line block ×6, first 2 shown]
	ds_load_b128 v[26:29], v1 offset:1024
	ds_load_b128 v[34:37], v1 offset:1040
	scratch_load_b128 v[30:33], off, off offset:448
	s_mov_b32 s2, exec_lo
	s_waitcnt vmcnt(6) lgkmcnt(1)
	v_mul_f64 v[38:39], v[28:29], v[4:5]
	v_mul_f64 v[4:5], v[26:27], v[4:5]
	s_waitcnt vmcnt(5) lgkmcnt(0)
	v_mul_f64 v[40:41], v[34:35], v[8:9]
	v_mul_f64 v[8:9], v[36:37], v[8:9]
	s_delay_alu instid0(VALU_DEP_4) | instskip(NEXT) | instid1(VALU_DEP_4)
	v_fma_f64 v[38:39], v[26:27], v[2:3], -v[38:39]
	v_fma_f64 v[42:43], v[28:29], v[2:3], v[4:5]
	ds_load_b128 v[2:5], v1 offset:1056
	ds_load_b128 v[26:29], v1 offset:1072
	v_fma_f64 v[36:37], v[36:37], v[6:7], v[40:41]
	v_fma_f64 v[6:7], v[34:35], v[6:7], -v[8:9]
	s_waitcnt vmcnt(4) lgkmcnt(1)
	v_mul_f64 v[44:45], v[2:3], v[12:13]
	v_mul_f64 v[12:13], v[4:5], v[12:13]
	v_add_f64 v[8:9], v[38:39], 0
	v_add_f64 v[34:35], v[42:43], 0
	s_waitcnt vmcnt(3) lgkmcnt(0)
	v_mul_f64 v[38:39], v[26:27], v[16:17]
	v_mul_f64 v[16:17], v[28:29], v[16:17]
	v_fma_f64 v[40:41], v[4:5], v[10:11], v[44:45]
	v_fma_f64 v[10:11], v[2:3], v[10:11], -v[12:13]
	v_add_f64 v[12:13], v[8:9], v[6:7]
	v_add_f64 v[34:35], v[34:35], v[36:37]
	ds_load_b128 v[2:5], v1 offset:1088
	ds_load_b128 v[6:9], v1 offset:1104
	v_fma_f64 v[28:29], v[28:29], v[14:15], v[38:39]
	v_fma_f64 v[14:15], v[26:27], v[14:15], -v[16:17]
	s_waitcnt vmcnt(2) lgkmcnt(1)
	v_mul_f64 v[36:37], v[2:3], v[20:21]
	v_mul_f64 v[20:21], v[4:5], v[20:21]
	s_waitcnt vmcnt(1) lgkmcnt(0)
	v_mul_f64 v[16:17], v[6:7], v[24:25]
	v_mul_f64 v[24:25], v[8:9], v[24:25]
	v_add_f64 v[10:11], v[12:13], v[10:11]
	v_add_f64 v[12:13], v[34:35], v[40:41]
	v_fma_f64 v[4:5], v[4:5], v[18:19], v[36:37]
	v_fma_f64 v[1:2], v[2:3], v[18:19], -v[20:21]
	v_fma_f64 v[8:9], v[8:9], v[22:23], v[16:17]
	v_fma_f64 v[6:7], v[6:7], v[22:23], -v[24:25]
	v_add_f64 v[10:11], v[10:11], v[14:15]
	v_add_f64 v[12:13], v[12:13], v[28:29]
	s_delay_alu instid0(VALU_DEP_2) | instskip(NEXT) | instid1(VALU_DEP_2)
	v_add_f64 v[1:2], v[10:11], v[1:2]
	v_add_f64 v[3:4], v[12:13], v[4:5]
	s_delay_alu instid0(VALU_DEP_2) | instskip(NEXT) | instid1(VALU_DEP_2)
	v_add_f64 v[1:2], v[1:2], v[6:7]
	v_add_f64 v[3:4], v[3:4], v[8:9]
	s_waitcnt vmcnt(0)
	s_delay_alu instid0(VALU_DEP_2) | instskip(NEXT) | instid1(VALU_DEP_2)
	v_add_f64 v[1:2], v[30:31], -v[1:2]
	v_add_f64 v[3:4], v[32:33], -v[3:4]
	scratch_store_b128 off, v[1:4], off offset:448
	v_cmpx_lt_u32_e32 27, v116
	s_cbranch_execz .LBB98_169
; %bb.168:
	scratch_load_b128 v[1:4], v146, off
	v_mov_b32_e32 v5, 0
	s_delay_alu instid0(VALU_DEP_1)
	v_mov_b32_e32 v6, v5
	v_mov_b32_e32 v7, v5
	;; [unrolled: 1-line block ×3, first 2 shown]
	scratch_store_b128 off, v[5:8], off offset:432
	s_waitcnt vmcnt(0)
	ds_store_b128 v151, v[1:4]
.LBB98_169:
	s_or_b32 exec_lo, exec_lo, s2
	s_waitcnt lgkmcnt(0)
	s_waitcnt_vscnt null, 0x0
	s_barrier
	buffer_gl0_inv
	s_clause 0x6
	scratch_load_b128 v[2:5], off, off offset:448
	scratch_load_b128 v[6:9], off, off offset:464
	;; [unrolled: 1-line block ×7, first 2 shown]
	v_mov_b32_e32 v1, 0
	scratch_load_b128 v[34:37], off, off offset:432
	s_mov_b32 s2, exec_lo
	ds_load_b128 v[30:33], v1 offset:1008
	ds_load_b128 v[38:41], v1 offset:1024
	s_waitcnt vmcnt(7) lgkmcnt(1)
	v_mul_f64 v[42:43], v[32:33], v[4:5]
	v_mul_f64 v[4:5], v[30:31], v[4:5]
	s_waitcnt vmcnt(6) lgkmcnt(0)
	v_mul_f64 v[44:45], v[38:39], v[8:9]
	v_mul_f64 v[8:9], v[40:41], v[8:9]
	s_delay_alu instid0(VALU_DEP_4) | instskip(NEXT) | instid1(VALU_DEP_4)
	v_fma_f64 v[42:43], v[30:31], v[2:3], -v[42:43]
	v_fma_f64 v[152:153], v[32:33], v[2:3], v[4:5]
	ds_load_b128 v[2:5], v1 offset:1040
	ds_load_b128 v[30:33], v1 offset:1056
	v_fma_f64 v[40:41], v[40:41], v[6:7], v[44:45]
	v_fma_f64 v[6:7], v[38:39], v[6:7], -v[8:9]
	s_waitcnt vmcnt(5) lgkmcnt(1)
	v_mul_f64 v[154:155], v[2:3], v[12:13]
	v_mul_f64 v[12:13], v[4:5], v[12:13]
	v_add_f64 v[8:9], v[42:43], 0
	v_add_f64 v[38:39], v[152:153], 0
	s_waitcnt vmcnt(4) lgkmcnt(0)
	v_mul_f64 v[42:43], v[30:31], v[16:17]
	v_mul_f64 v[16:17], v[32:33], v[16:17]
	v_fma_f64 v[44:45], v[4:5], v[10:11], v[154:155]
	v_fma_f64 v[10:11], v[2:3], v[10:11], -v[12:13]
	v_add_f64 v[12:13], v[8:9], v[6:7]
	v_add_f64 v[38:39], v[38:39], v[40:41]
	ds_load_b128 v[2:5], v1 offset:1072
	ds_load_b128 v[6:9], v1 offset:1088
	v_fma_f64 v[32:33], v[32:33], v[14:15], v[42:43]
	v_fma_f64 v[14:15], v[30:31], v[14:15], -v[16:17]
	s_waitcnt vmcnt(3) lgkmcnt(1)
	v_mul_f64 v[40:41], v[2:3], v[20:21]
	v_mul_f64 v[20:21], v[4:5], v[20:21]
	s_waitcnt vmcnt(2) lgkmcnt(0)
	v_mul_f64 v[16:17], v[6:7], v[24:25]
	v_mul_f64 v[24:25], v[8:9], v[24:25]
	v_add_f64 v[10:11], v[12:13], v[10:11]
	v_add_f64 v[12:13], v[38:39], v[44:45]
	v_fma_f64 v[30:31], v[4:5], v[18:19], v[40:41]
	v_fma_f64 v[18:19], v[2:3], v[18:19], -v[20:21]
	ds_load_b128 v[2:5], v1 offset:1104
	v_fma_f64 v[8:9], v[8:9], v[22:23], v[16:17]
	v_fma_f64 v[6:7], v[6:7], v[22:23], -v[24:25]
	v_add_f64 v[10:11], v[10:11], v[14:15]
	v_add_f64 v[12:13], v[12:13], v[32:33]
	s_waitcnt vmcnt(1) lgkmcnt(0)
	v_mul_f64 v[14:15], v[2:3], v[28:29]
	v_mul_f64 v[20:21], v[4:5], v[28:29]
	s_delay_alu instid0(VALU_DEP_4) | instskip(NEXT) | instid1(VALU_DEP_4)
	v_add_f64 v[10:11], v[10:11], v[18:19]
	v_add_f64 v[12:13], v[12:13], v[30:31]
	s_delay_alu instid0(VALU_DEP_4) | instskip(NEXT) | instid1(VALU_DEP_4)
	v_fma_f64 v[4:5], v[4:5], v[26:27], v[14:15]
	v_fma_f64 v[2:3], v[2:3], v[26:27], -v[20:21]
	s_delay_alu instid0(VALU_DEP_4) | instskip(NEXT) | instid1(VALU_DEP_4)
	v_add_f64 v[6:7], v[10:11], v[6:7]
	v_add_f64 v[8:9], v[12:13], v[8:9]
	s_delay_alu instid0(VALU_DEP_2) | instskip(NEXT) | instid1(VALU_DEP_2)
	v_add_f64 v[2:3], v[6:7], v[2:3]
	v_add_f64 v[4:5], v[8:9], v[4:5]
	s_waitcnt vmcnt(0)
	s_delay_alu instid0(VALU_DEP_2) | instskip(NEXT) | instid1(VALU_DEP_2)
	v_add_f64 v[2:3], v[34:35], -v[2:3]
	v_add_f64 v[4:5], v[36:37], -v[4:5]
	scratch_store_b128 off, v[2:5], off offset:432
	v_cmpx_lt_u32_e32 26, v116
	s_cbranch_execz .LBB98_171
; %bb.170:
	scratch_load_b128 v[5:8], v147, off
	v_mov_b32_e32 v2, v1
	v_mov_b32_e32 v3, v1
	;; [unrolled: 1-line block ×3, first 2 shown]
	scratch_store_b128 off, v[1:4], off offset:416
	s_waitcnt vmcnt(0)
	ds_store_b128 v151, v[5:8]
.LBB98_171:
	s_or_b32 exec_lo, exec_lo, s2
	s_waitcnt lgkmcnt(0)
	s_waitcnt_vscnt null, 0x0
	s_barrier
	buffer_gl0_inv
	s_clause 0x7
	scratch_load_b128 v[2:5], off, off offset:432
	scratch_load_b128 v[6:9], off, off offset:448
	;; [unrolled: 1-line block ×8, first 2 shown]
	ds_load_b128 v[34:37], v1 offset:992
	ds_load_b128 v[38:41], v1 offset:1008
	scratch_load_b128 v[42:45], off, off offset:416
	s_mov_b32 s2, exec_lo
	s_waitcnt vmcnt(8) lgkmcnt(1)
	v_mul_f64 v[152:153], v[36:37], v[4:5]
	v_mul_f64 v[4:5], v[34:35], v[4:5]
	s_waitcnt vmcnt(7) lgkmcnt(0)
	v_mul_f64 v[154:155], v[38:39], v[8:9]
	v_mul_f64 v[8:9], v[40:41], v[8:9]
	s_delay_alu instid0(VALU_DEP_4) | instskip(NEXT) | instid1(VALU_DEP_4)
	v_fma_f64 v[152:153], v[34:35], v[2:3], -v[152:153]
	v_fma_f64 v[156:157], v[36:37], v[2:3], v[4:5]
	ds_load_b128 v[2:5], v1 offset:1024
	ds_load_b128 v[34:37], v1 offset:1040
	v_fma_f64 v[40:41], v[40:41], v[6:7], v[154:155]
	v_fma_f64 v[6:7], v[38:39], v[6:7], -v[8:9]
	s_waitcnt vmcnt(6) lgkmcnt(1)
	v_mul_f64 v[158:159], v[2:3], v[12:13]
	v_mul_f64 v[12:13], v[4:5], v[12:13]
	v_add_f64 v[8:9], v[152:153], 0
	v_add_f64 v[38:39], v[156:157], 0
	s_waitcnt vmcnt(5) lgkmcnt(0)
	v_mul_f64 v[152:153], v[34:35], v[16:17]
	v_mul_f64 v[16:17], v[36:37], v[16:17]
	v_fma_f64 v[154:155], v[4:5], v[10:11], v[158:159]
	v_fma_f64 v[10:11], v[2:3], v[10:11], -v[12:13]
	v_add_f64 v[12:13], v[8:9], v[6:7]
	v_add_f64 v[38:39], v[38:39], v[40:41]
	ds_load_b128 v[2:5], v1 offset:1056
	ds_load_b128 v[6:9], v1 offset:1072
	v_fma_f64 v[36:37], v[36:37], v[14:15], v[152:153]
	v_fma_f64 v[14:15], v[34:35], v[14:15], -v[16:17]
	s_waitcnt vmcnt(4) lgkmcnt(1)
	v_mul_f64 v[40:41], v[2:3], v[20:21]
	v_mul_f64 v[20:21], v[4:5], v[20:21]
	s_waitcnt vmcnt(3) lgkmcnt(0)
	v_mul_f64 v[16:17], v[6:7], v[24:25]
	v_mul_f64 v[24:25], v[8:9], v[24:25]
	v_add_f64 v[10:11], v[12:13], v[10:11]
	v_add_f64 v[12:13], v[38:39], v[154:155]
	v_fma_f64 v[34:35], v[4:5], v[18:19], v[40:41]
	v_fma_f64 v[18:19], v[2:3], v[18:19], -v[20:21]
	v_fma_f64 v[8:9], v[8:9], v[22:23], v[16:17]
	v_fma_f64 v[6:7], v[6:7], v[22:23], -v[24:25]
	v_add_f64 v[14:15], v[10:11], v[14:15]
	v_add_f64 v[20:21], v[12:13], v[36:37]
	ds_load_b128 v[2:5], v1 offset:1088
	ds_load_b128 v[10:13], v1 offset:1104
	s_waitcnt vmcnt(2) lgkmcnt(1)
	v_mul_f64 v[36:37], v[2:3], v[28:29]
	v_mul_f64 v[28:29], v[4:5], v[28:29]
	v_add_f64 v[14:15], v[14:15], v[18:19]
	v_add_f64 v[16:17], v[20:21], v[34:35]
	s_waitcnt vmcnt(1) lgkmcnt(0)
	v_mul_f64 v[18:19], v[10:11], v[32:33]
	v_mul_f64 v[20:21], v[12:13], v[32:33]
	v_fma_f64 v[4:5], v[4:5], v[26:27], v[36:37]
	v_fma_f64 v[1:2], v[2:3], v[26:27], -v[28:29]
	v_add_f64 v[6:7], v[14:15], v[6:7]
	v_add_f64 v[8:9], v[16:17], v[8:9]
	v_fma_f64 v[12:13], v[12:13], v[30:31], v[18:19]
	v_fma_f64 v[10:11], v[10:11], v[30:31], -v[20:21]
	s_delay_alu instid0(VALU_DEP_4) | instskip(NEXT) | instid1(VALU_DEP_4)
	v_add_f64 v[1:2], v[6:7], v[1:2]
	v_add_f64 v[3:4], v[8:9], v[4:5]
	s_delay_alu instid0(VALU_DEP_2) | instskip(NEXT) | instid1(VALU_DEP_2)
	v_add_f64 v[1:2], v[1:2], v[10:11]
	v_add_f64 v[3:4], v[3:4], v[12:13]
	s_waitcnt vmcnt(0)
	s_delay_alu instid0(VALU_DEP_2) | instskip(NEXT) | instid1(VALU_DEP_2)
	v_add_f64 v[1:2], v[42:43], -v[1:2]
	v_add_f64 v[3:4], v[44:45], -v[3:4]
	scratch_store_b128 off, v[1:4], off offset:416
	v_cmpx_lt_u32_e32 25, v116
	s_cbranch_execz .LBB98_173
; %bb.172:
	scratch_load_b128 v[1:4], v148, off
	v_mov_b32_e32 v5, 0
	s_delay_alu instid0(VALU_DEP_1)
	v_mov_b32_e32 v6, v5
	v_mov_b32_e32 v7, v5
	;; [unrolled: 1-line block ×3, first 2 shown]
	scratch_store_b128 off, v[5:8], off offset:400
	s_waitcnt vmcnt(0)
	ds_store_b128 v151, v[1:4]
.LBB98_173:
	s_or_b32 exec_lo, exec_lo, s2
	s_waitcnt lgkmcnt(0)
	s_waitcnt_vscnt null, 0x0
	s_barrier
	buffer_gl0_inv
	s_clause 0x7
	scratch_load_b128 v[2:5], off, off offset:416
	scratch_load_b128 v[6:9], off, off offset:432
	;; [unrolled: 1-line block ×8, first 2 shown]
	v_mov_b32_e32 v1, 0
	s_mov_b32 s2, exec_lo
	ds_load_b128 v[34:37], v1 offset:976
	s_clause 0x1
	scratch_load_b128 v[38:41], off, off offset:544
	scratch_load_b128 v[42:45], off, off offset:400
	ds_load_b128 v[152:155], v1 offset:992
	s_waitcnt vmcnt(9) lgkmcnt(1)
	v_mul_f64 v[156:157], v[36:37], v[4:5]
	v_mul_f64 v[4:5], v[34:35], v[4:5]
	s_waitcnt vmcnt(8) lgkmcnt(0)
	v_mul_f64 v[158:159], v[152:153], v[8:9]
	v_mul_f64 v[8:9], v[154:155], v[8:9]
	s_delay_alu instid0(VALU_DEP_4) | instskip(NEXT) | instid1(VALU_DEP_4)
	v_fma_f64 v[156:157], v[34:35], v[2:3], -v[156:157]
	v_fma_f64 v[160:161], v[36:37], v[2:3], v[4:5]
	ds_load_b128 v[2:5], v1 offset:1008
	ds_load_b128 v[34:37], v1 offset:1024
	v_fma_f64 v[154:155], v[154:155], v[6:7], v[158:159]
	v_fma_f64 v[6:7], v[152:153], v[6:7], -v[8:9]
	s_waitcnt vmcnt(7) lgkmcnt(1)
	v_mul_f64 v[162:163], v[2:3], v[12:13]
	v_mul_f64 v[12:13], v[4:5], v[12:13]
	v_add_f64 v[8:9], v[156:157], 0
	v_add_f64 v[152:153], v[160:161], 0
	s_waitcnt vmcnt(6) lgkmcnt(0)
	v_mul_f64 v[156:157], v[34:35], v[16:17]
	v_mul_f64 v[16:17], v[36:37], v[16:17]
	v_fma_f64 v[158:159], v[4:5], v[10:11], v[162:163]
	v_fma_f64 v[10:11], v[2:3], v[10:11], -v[12:13]
	v_add_f64 v[12:13], v[8:9], v[6:7]
	v_add_f64 v[152:153], v[152:153], v[154:155]
	ds_load_b128 v[2:5], v1 offset:1040
	ds_load_b128 v[6:9], v1 offset:1056
	v_fma_f64 v[36:37], v[36:37], v[14:15], v[156:157]
	v_fma_f64 v[14:15], v[34:35], v[14:15], -v[16:17]
	s_waitcnt vmcnt(5) lgkmcnt(1)
	v_mul_f64 v[154:155], v[2:3], v[20:21]
	v_mul_f64 v[20:21], v[4:5], v[20:21]
	s_waitcnt vmcnt(4) lgkmcnt(0)
	v_mul_f64 v[16:17], v[6:7], v[24:25]
	v_mul_f64 v[24:25], v[8:9], v[24:25]
	v_add_f64 v[10:11], v[12:13], v[10:11]
	v_add_f64 v[12:13], v[152:153], v[158:159]
	v_fma_f64 v[34:35], v[4:5], v[18:19], v[154:155]
	v_fma_f64 v[18:19], v[2:3], v[18:19], -v[20:21]
	v_fma_f64 v[8:9], v[8:9], v[22:23], v[16:17]
	v_fma_f64 v[6:7], v[6:7], v[22:23], -v[24:25]
	v_add_f64 v[14:15], v[10:11], v[14:15]
	v_add_f64 v[20:21], v[12:13], v[36:37]
	ds_load_b128 v[2:5], v1 offset:1072
	ds_load_b128 v[10:13], v1 offset:1088
	s_waitcnt vmcnt(3) lgkmcnt(1)
	v_mul_f64 v[36:37], v[2:3], v[28:29]
	v_mul_f64 v[28:29], v[4:5], v[28:29]
	v_add_f64 v[14:15], v[14:15], v[18:19]
	v_add_f64 v[16:17], v[20:21], v[34:35]
	s_waitcnt vmcnt(2) lgkmcnt(0)
	v_mul_f64 v[18:19], v[10:11], v[32:33]
	v_mul_f64 v[20:21], v[12:13], v[32:33]
	v_fma_f64 v[22:23], v[4:5], v[26:27], v[36:37]
	v_fma_f64 v[24:25], v[2:3], v[26:27], -v[28:29]
	ds_load_b128 v[2:5], v1 offset:1104
	v_add_f64 v[6:7], v[14:15], v[6:7]
	v_add_f64 v[8:9], v[16:17], v[8:9]
	v_fma_f64 v[12:13], v[12:13], v[30:31], v[18:19]
	v_fma_f64 v[10:11], v[10:11], v[30:31], -v[20:21]
	s_waitcnt vmcnt(1) lgkmcnt(0)
	v_mul_f64 v[14:15], v[2:3], v[40:41]
	v_mul_f64 v[16:17], v[4:5], v[40:41]
	v_add_f64 v[6:7], v[6:7], v[24:25]
	v_add_f64 v[8:9], v[8:9], v[22:23]
	s_delay_alu instid0(VALU_DEP_4) | instskip(NEXT) | instid1(VALU_DEP_4)
	v_fma_f64 v[4:5], v[4:5], v[38:39], v[14:15]
	v_fma_f64 v[2:3], v[2:3], v[38:39], -v[16:17]
	s_delay_alu instid0(VALU_DEP_4) | instskip(NEXT) | instid1(VALU_DEP_4)
	v_add_f64 v[6:7], v[6:7], v[10:11]
	v_add_f64 v[8:9], v[8:9], v[12:13]
	s_delay_alu instid0(VALU_DEP_2) | instskip(NEXT) | instid1(VALU_DEP_2)
	v_add_f64 v[2:3], v[6:7], v[2:3]
	v_add_f64 v[4:5], v[8:9], v[4:5]
	s_waitcnt vmcnt(0)
	s_delay_alu instid0(VALU_DEP_2) | instskip(NEXT) | instid1(VALU_DEP_2)
	v_add_f64 v[2:3], v[42:43], -v[2:3]
	v_add_f64 v[4:5], v[44:45], -v[4:5]
	scratch_store_b128 off, v[2:5], off offset:400
	v_cmpx_lt_u32_e32 24, v116
	s_cbranch_execz .LBB98_175
; %bb.174:
	scratch_load_b128 v[5:8], v149, off
	v_mov_b32_e32 v2, v1
	v_mov_b32_e32 v3, v1
	;; [unrolled: 1-line block ×3, first 2 shown]
	scratch_store_b128 off, v[1:4], off offset:384
	s_waitcnt vmcnt(0)
	ds_store_b128 v151, v[5:8]
.LBB98_175:
	s_or_b32 exec_lo, exec_lo, s2
	s_waitcnt lgkmcnt(0)
	s_waitcnt_vscnt null, 0x0
	s_barrier
	buffer_gl0_inv
	s_clause 0x7
	scratch_load_b128 v[2:5], off, off offset:400
	scratch_load_b128 v[6:9], off, off offset:416
	;; [unrolled: 1-line block ×8, first 2 shown]
	ds_load_b128 v[34:37], v1 offset:960
	ds_load_b128 v[42:45], v1 offset:976
	s_clause 0x1
	scratch_load_b128 v[38:41], off, off offset:528
	scratch_load_b128 v[152:155], off, off offset:544
	s_mov_b32 s2, exec_lo
	s_waitcnt vmcnt(9) lgkmcnt(1)
	v_mul_f64 v[156:157], v[36:37], v[4:5]
	v_mul_f64 v[4:5], v[34:35], v[4:5]
	s_waitcnt vmcnt(8) lgkmcnt(0)
	v_mul_f64 v[158:159], v[42:43], v[8:9]
	v_mul_f64 v[8:9], v[44:45], v[8:9]
	s_delay_alu instid0(VALU_DEP_4) | instskip(NEXT) | instid1(VALU_DEP_4)
	v_fma_f64 v[34:35], v[34:35], v[2:3], -v[156:157]
	v_fma_f64 v[36:37], v[36:37], v[2:3], v[4:5]
	ds_load_b128 v[2:5], v1 offset:992
	v_fma_f64 v[44:45], v[44:45], v[6:7], v[158:159]
	v_fma_f64 v[42:43], v[42:43], v[6:7], -v[8:9]
	ds_load_b128 v[6:9], v1 offset:1008
	s_waitcnt vmcnt(7) lgkmcnt(1)
	v_mul_f64 v[156:157], v[2:3], v[12:13]
	v_mul_f64 v[12:13], v[4:5], v[12:13]
	s_waitcnt vmcnt(6) lgkmcnt(0)
	v_mul_f64 v[158:159], v[6:7], v[16:17]
	v_mul_f64 v[16:17], v[8:9], v[16:17]
	v_add_f64 v[34:35], v[34:35], 0
	v_add_f64 v[36:37], v[36:37], 0
	v_fma_f64 v[156:157], v[4:5], v[10:11], v[156:157]
	v_fma_f64 v[160:161], v[2:3], v[10:11], -v[12:13]
	ds_load_b128 v[2:5], v1 offset:1024
	scratch_load_b128 v[10:13], off, off offset:384
	v_add_f64 v[34:35], v[34:35], v[42:43]
	v_add_f64 v[36:37], v[36:37], v[44:45]
	v_fma_f64 v[44:45], v[8:9], v[14:15], v[158:159]
	v_fma_f64 v[14:15], v[6:7], v[14:15], -v[16:17]
	ds_load_b128 v[6:9], v1 offset:1040
	s_waitcnt vmcnt(6) lgkmcnt(1)
	v_mul_f64 v[42:43], v[2:3], v[20:21]
	v_mul_f64 v[20:21], v[4:5], v[20:21]
	v_add_f64 v[16:17], v[34:35], v[160:161]
	v_add_f64 v[34:35], v[36:37], v[156:157]
	s_waitcnt vmcnt(5) lgkmcnt(0)
	v_mul_f64 v[36:37], v[6:7], v[24:25]
	v_mul_f64 v[24:25], v[8:9], v[24:25]
	v_fma_f64 v[42:43], v[4:5], v[18:19], v[42:43]
	v_fma_f64 v[18:19], v[2:3], v[18:19], -v[20:21]
	ds_load_b128 v[2:5], v1 offset:1056
	v_add_f64 v[14:15], v[16:17], v[14:15]
	v_add_f64 v[16:17], v[34:35], v[44:45]
	v_fma_f64 v[34:35], v[8:9], v[22:23], v[36:37]
	v_fma_f64 v[22:23], v[6:7], v[22:23], -v[24:25]
	ds_load_b128 v[6:9], v1 offset:1072
	s_waitcnt vmcnt(4) lgkmcnt(1)
	v_mul_f64 v[20:21], v[2:3], v[28:29]
	v_mul_f64 v[28:29], v[4:5], v[28:29]
	s_waitcnt vmcnt(3) lgkmcnt(0)
	v_mul_f64 v[24:25], v[8:9], v[32:33]
	v_add_f64 v[14:15], v[14:15], v[18:19]
	v_add_f64 v[16:17], v[16:17], v[42:43]
	v_mul_f64 v[18:19], v[6:7], v[32:33]
	v_fma_f64 v[20:21], v[4:5], v[26:27], v[20:21]
	v_fma_f64 v[26:27], v[2:3], v[26:27], -v[28:29]
	ds_load_b128 v[2:5], v1 offset:1088
	v_fma_f64 v[24:25], v[6:7], v[30:31], -v[24:25]
	v_add_f64 v[14:15], v[14:15], v[22:23]
	v_add_f64 v[16:17], v[16:17], v[34:35]
	v_fma_f64 v[18:19], v[8:9], v[30:31], v[18:19]
	ds_load_b128 v[6:9], v1 offset:1104
	s_waitcnt vmcnt(2) lgkmcnt(1)
	v_mul_f64 v[22:23], v[2:3], v[40:41]
	v_mul_f64 v[28:29], v[4:5], v[40:41]
	v_add_f64 v[14:15], v[14:15], v[26:27]
	v_add_f64 v[16:17], v[16:17], v[20:21]
	s_waitcnt vmcnt(1) lgkmcnt(0)
	v_mul_f64 v[20:21], v[6:7], v[154:155]
	v_mul_f64 v[26:27], v[8:9], v[154:155]
	v_fma_f64 v[4:5], v[4:5], v[38:39], v[22:23]
	v_fma_f64 v[1:2], v[2:3], v[38:39], -v[28:29]
	v_add_f64 v[14:15], v[14:15], v[24:25]
	v_add_f64 v[16:17], v[16:17], v[18:19]
	v_fma_f64 v[8:9], v[8:9], v[152:153], v[20:21]
	v_fma_f64 v[6:7], v[6:7], v[152:153], -v[26:27]
	s_delay_alu instid0(VALU_DEP_4) | instskip(NEXT) | instid1(VALU_DEP_4)
	v_add_f64 v[1:2], v[14:15], v[1:2]
	v_add_f64 v[3:4], v[16:17], v[4:5]
	s_delay_alu instid0(VALU_DEP_2) | instskip(NEXT) | instid1(VALU_DEP_2)
	v_add_f64 v[1:2], v[1:2], v[6:7]
	v_add_f64 v[3:4], v[3:4], v[8:9]
	s_waitcnt vmcnt(0)
	s_delay_alu instid0(VALU_DEP_2) | instskip(NEXT) | instid1(VALU_DEP_2)
	v_add_f64 v[1:2], v[10:11], -v[1:2]
	v_add_f64 v[3:4], v[12:13], -v[3:4]
	scratch_store_b128 off, v[1:4], off offset:384
	v_cmpx_lt_u32_e32 23, v116
	s_cbranch_execz .LBB98_177
; %bb.176:
	scratch_load_b128 v[1:4], v150, off
	v_mov_b32_e32 v5, 0
	s_delay_alu instid0(VALU_DEP_1)
	v_mov_b32_e32 v6, v5
	v_mov_b32_e32 v7, v5
	;; [unrolled: 1-line block ×3, first 2 shown]
	scratch_store_b128 off, v[5:8], off offset:368
	s_waitcnt vmcnt(0)
	ds_store_b128 v151, v[1:4]
.LBB98_177:
	s_or_b32 exec_lo, exec_lo, s2
	s_waitcnt lgkmcnt(0)
	s_waitcnt_vscnt null, 0x0
	s_barrier
	buffer_gl0_inv
	s_clause 0x7
	scratch_load_b128 v[2:5], off, off offset:384
	scratch_load_b128 v[6:9], off, off offset:400
	;; [unrolled: 1-line block ×8, first 2 shown]
	v_mov_b32_e32 v1, 0
	s_clause 0x1
	scratch_load_b128 v[38:41], off, off offset:512
	scratch_load_b128 v[152:155], off, off offset:528
	s_mov_b32 s2, exec_lo
	ds_load_b128 v[34:37], v1 offset:944
	ds_load_b128 v[42:45], v1 offset:960
	s_waitcnt vmcnt(9) lgkmcnt(1)
	v_mul_f64 v[156:157], v[36:37], v[4:5]
	v_mul_f64 v[4:5], v[34:35], v[4:5]
	s_waitcnt vmcnt(8) lgkmcnt(0)
	v_mul_f64 v[158:159], v[42:43], v[8:9]
	v_mul_f64 v[8:9], v[44:45], v[8:9]
	s_delay_alu instid0(VALU_DEP_4) | instskip(NEXT) | instid1(VALU_DEP_4)
	v_fma_f64 v[156:157], v[34:35], v[2:3], -v[156:157]
	v_fma_f64 v[160:161], v[36:37], v[2:3], v[4:5]
	ds_load_b128 v[2:5], v1 offset:976
	scratch_load_b128 v[34:37], off, off offset:544
	v_fma_f64 v[44:45], v[44:45], v[6:7], v[158:159]
	v_fma_f64 v[42:43], v[42:43], v[6:7], -v[8:9]
	ds_load_b128 v[6:9], v1 offset:992
	s_waitcnt vmcnt(8) lgkmcnt(1)
	v_mul_f64 v[162:163], v[2:3], v[12:13]
	v_mul_f64 v[12:13], v[4:5], v[12:13]
	v_add_f64 v[156:157], v[156:157], 0
	v_add_f64 v[158:159], v[160:161], 0
	s_waitcnt vmcnt(7) lgkmcnt(0)
	v_mul_f64 v[160:161], v[6:7], v[16:17]
	v_mul_f64 v[16:17], v[8:9], v[16:17]
	v_fma_f64 v[162:163], v[4:5], v[10:11], v[162:163]
	v_fma_f64 v[10:11], v[2:3], v[10:11], -v[12:13]
	ds_load_b128 v[2:5], v1 offset:1008
	v_add_f64 v[12:13], v[156:157], v[42:43]
	v_add_f64 v[42:43], v[158:159], v[44:45]
	v_fma_f64 v[156:157], v[8:9], v[14:15], v[160:161]
	v_fma_f64 v[14:15], v[6:7], v[14:15], -v[16:17]
	ds_load_b128 v[6:9], v1 offset:1024
	s_waitcnt vmcnt(6) lgkmcnt(1)
	v_mul_f64 v[44:45], v[2:3], v[20:21]
	v_mul_f64 v[20:21], v[4:5], v[20:21]
	s_waitcnt vmcnt(5) lgkmcnt(0)
	v_mul_f64 v[158:159], v[6:7], v[24:25]
	v_mul_f64 v[24:25], v[8:9], v[24:25]
	v_add_f64 v[16:17], v[12:13], v[10:11]
	v_add_f64 v[42:43], v[42:43], v[162:163]
	scratch_load_b128 v[10:13], off, off offset:368
	v_fma_f64 v[44:45], v[4:5], v[18:19], v[44:45]
	v_fma_f64 v[18:19], v[2:3], v[18:19], -v[20:21]
	ds_load_b128 v[2:5], v1 offset:1040
	v_add_f64 v[14:15], v[16:17], v[14:15]
	v_add_f64 v[16:17], v[42:43], v[156:157]
	v_fma_f64 v[42:43], v[8:9], v[22:23], v[158:159]
	v_fma_f64 v[22:23], v[6:7], v[22:23], -v[24:25]
	ds_load_b128 v[6:9], v1 offset:1056
	s_waitcnt vmcnt(5) lgkmcnt(1)
	v_mul_f64 v[20:21], v[2:3], v[28:29]
	v_mul_f64 v[28:29], v[4:5], v[28:29]
	s_waitcnt vmcnt(4) lgkmcnt(0)
	v_mul_f64 v[24:25], v[8:9], v[32:33]
	v_add_f64 v[14:15], v[14:15], v[18:19]
	v_add_f64 v[16:17], v[16:17], v[44:45]
	v_mul_f64 v[18:19], v[6:7], v[32:33]
	v_fma_f64 v[20:21], v[4:5], v[26:27], v[20:21]
	v_fma_f64 v[26:27], v[2:3], v[26:27], -v[28:29]
	ds_load_b128 v[2:5], v1 offset:1072
	v_fma_f64 v[24:25], v[6:7], v[30:31], -v[24:25]
	v_add_f64 v[14:15], v[14:15], v[22:23]
	v_add_f64 v[16:17], v[16:17], v[42:43]
	v_fma_f64 v[18:19], v[8:9], v[30:31], v[18:19]
	ds_load_b128 v[6:9], v1 offset:1088
	s_waitcnt vmcnt(3) lgkmcnt(1)
	v_mul_f64 v[22:23], v[2:3], v[40:41]
	v_mul_f64 v[28:29], v[4:5], v[40:41]
	v_add_f64 v[14:15], v[14:15], v[26:27]
	v_add_f64 v[16:17], v[16:17], v[20:21]
	s_waitcnt vmcnt(2) lgkmcnt(0)
	v_mul_f64 v[20:21], v[6:7], v[154:155]
	v_mul_f64 v[26:27], v[8:9], v[154:155]
	v_fma_f64 v[22:23], v[4:5], v[38:39], v[22:23]
	v_fma_f64 v[28:29], v[2:3], v[38:39], -v[28:29]
	ds_load_b128 v[2:5], v1 offset:1104
	v_add_f64 v[14:15], v[14:15], v[24:25]
	v_add_f64 v[16:17], v[16:17], v[18:19]
	v_fma_f64 v[8:9], v[8:9], v[152:153], v[20:21]
	v_fma_f64 v[6:7], v[6:7], v[152:153], -v[26:27]
	s_waitcnt vmcnt(1) lgkmcnt(0)
	v_mul_f64 v[18:19], v[2:3], v[36:37]
	v_mul_f64 v[24:25], v[4:5], v[36:37]
	v_add_f64 v[14:15], v[14:15], v[28:29]
	v_add_f64 v[16:17], v[16:17], v[22:23]
	s_delay_alu instid0(VALU_DEP_4) | instskip(NEXT) | instid1(VALU_DEP_4)
	v_fma_f64 v[4:5], v[4:5], v[34:35], v[18:19]
	v_fma_f64 v[2:3], v[2:3], v[34:35], -v[24:25]
	s_delay_alu instid0(VALU_DEP_4) | instskip(NEXT) | instid1(VALU_DEP_4)
	v_add_f64 v[6:7], v[14:15], v[6:7]
	v_add_f64 v[8:9], v[16:17], v[8:9]
	s_delay_alu instid0(VALU_DEP_2) | instskip(NEXT) | instid1(VALU_DEP_2)
	v_add_f64 v[2:3], v[6:7], v[2:3]
	v_add_f64 v[4:5], v[8:9], v[4:5]
	s_waitcnt vmcnt(0)
	s_delay_alu instid0(VALU_DEP_2) | instskip(NEXT) | instid1(VALU_DEP_2)
	v_add_f64 v[2:3], v[10:11], -v[2:3]
	v_add_f64 v[4:5], v[12:13], -v[4:5]
	scratch_store_b128 off, v[2:5], off offset:368
	v_cmpx_lt_u32_e32 22, v116
	s_cbranch_execz .LBB98_179
; %bb.178:
	scratch_load_b128 v[5:8], v121, off
	v_mov_b32_e32 v2, v1
	v_mov_b32_e32 v3, v1
	;; [unrolled: 1-line block ×3, first 2 shown]
	scratch_store_b128 off, v[1:4], off offset:352
	s_waitcnt vmcnt(0)
	ds_store_b128 v151, v[5:8]
.LBB98_179:
	s_or_b32 exec_lo, exec_lo, s2
	s_waitcnt lgkmcnt(0)
	s_waitcnt_vscnt null, 0x0
	s_barrier
	buffer_gl0_inv
	s_clause 0x7
	scratch_load_b128 v[2:5], off, off offset:368
	scratch_load_b128 v[6:9], off, off offset:384
	scratch_load_b128 v[10:13], off, off offset:400
	scratch_load_b128 v[14:17], off, off offset:416
	scratch_load_b128 v[18:21], off, off offset:432
	scratch_load_b128 v[22:25], off, off offset:448
	scratch_load_b128 v[26:29], off, off offset:464
	scratch_load_b128 v[30:33], off, off offset:480
	ds_load_b128 v[34:37], v1 offset:928
	ds_load_b128 v[42:45], v1 offset:944
	s_clause 0x1
	scratch_load_b128 v[38:41], off, off offset:496
	scratch_load_b128 v[152:155], off, off offset:512
	s_mov_b32 s2, exec_lo
	s_waitcnt vmcnt(9) lgkmcnt(1)
	v_mul_f64 v[156:157], v[36:37], v[4:5]
	v_mul_f64 v[4:5], v[34:35], v[4:5]
	s_waitcnt vmcnt(8) lgkmcnt(0)
	v_mul_f64 v[158:159], v[42:43], v[8:9]
	v_mul_f64 v[8:9], v[44:45], v[8:9]
	s_delay_alu instid0(VALU_DEP_4) | instskip(NEXT) | instid1(VALU_DEP_4)
	v_fma_f64 v[156:157], v[34:35], v[2:3], -v[156:157]
	v_fma_f64 v[160:161], v[36:37], v[2:3], v[4:5]
	scratch_load_b128 v[34:37], off, off offset:528
	ds_load_b128 v[2:5], v1 offset:960
	v_fma_f64 v[158:159], v[44:45], v[6:7], v[158:159]
	v_fma_f64 v[164:165], v[42:43], v[6:7], -v[8:9]
	ds_load_b128 v[6:9], v1 offset:976
	scratch_load_b128 v[42:45], off, off offset:544
	s_waitcnt vmcnt(9) lgkmcnt(1)
	v_mul_f64 v[162:163], v[2:3], v[12:13]
	v_mul_f64 v[12:13], v[4:5], v[12:13]
	s_waitcnt vmcnt(8) lgkmcnt(0)
	v_mul_f64 v[166:167], v[6:7], v[16:17]
	v_mul_f64 v[16:17], v[8:9], v[16:17]
	v_add_f64 v[156:157], v[156:157], 0
	v_add_f64 v[160:161], v[160:161], 0
	v_fma_f64 v[162:163], v[4:5], v[10:11], v[162:163]
	v_fma_f64 v[10:11], v[2:3], v[10:11], -v[12:13]
	ds_load_b128 v[2:5], v1 offset:992
	v_add_f64 v[12:13], v[156:157], v[164:165]
	v_add_f64 v[156:157], v[160:161], v[158:159]
	v_fma_f64 v[160:161], v[8:9], v[14:15], v[166:167]
	v_fma_f64 v[14:15], v[6:7], v[14:15], -v[16:17]
	ds_load_b128 v[6:9], v1 offset:1008
	s_waitcnt vmcnt(7) lgkmcnt(1)
	v_mul_f64 v[158:159], v[2:3], v[20:21]
	v_mul_f64 v[20:21], v[4:5], v[20:21]
	s_waitcnt vmcnt(6) lgkmcnt(0)
	v_mul_f64 v[16:17], v[6:7], v[24:25]
	v_mul_f64 v[24:25], v[8:9], v[24:25]
	v_add_f64 v[10:11], v[12:13], v[10:11]
	v_add_f64 v[12:13], v[156:157], v[162:163]
	v_fma_f64 v[156:157], v[4:5], v[18:19], v[158:159]
	v_fma_f64 v[18:19], v[2:3], v[18:19], -v[20:21]
	ds_load_b128 v[2:5], v1 offset:1024
	v_fma_f64 v[16:17], v[8:9], v[22:23], v[16:17]
	v_fma_f64 v[22:23], v[6:7], v[22:23], -v[24:25]
	ds_load_b128 v[6:9], v1 offset:1040
	s_waitcnt vmcnt(5) lgkmcnt(1)
	v_mul_f64 v[158:159], v[2:3], v[28:29]
	v_mul_f64 v[28:29], v[4:5], v[28:29]
	v_add_f64 v[14:15], v[10:11], v[14:15]
	v_add_f64 v[20:21], v[12:13], v[160:161]
	scratch_load_b128 v[10:13], off, off offset:352
	s_waitcnt vmcnt(5) lgkmcnt(0)
	v_mul_f64 v[24:25], v[8:9], v[32:33]
	v_add_f64 v[14:15], v[14:15], v[18:19]
	v_add_f64 v[18:19], v[20:21], v[156:157]
	v_mul_f64 v[20:21], v[6:7], v[32:33]
	v_fma_f64 v[32:33], v[4:5], v[26:27], v[158:159]
	v_fma_f64 v[26:27], v[2:3], v[26:27], -v[28:29]
	ds_load_b128 v[2:5], v1 offset:1056
	v_fma_f64 v[24:25], v[6:7], v[30:31], -v[24:25]
	v_add_f64 v[14:15], v[14:15], v[22:23]
	v_add_f64 v[16:17], v[18:19], v[16:17]
	v_fma_f64 v[20:21], v[8:9], v[30:31], v[20:21]
	ds_load_b128 v[6:9], v1 offset:1072
	s_waitcnt vmcnt(4) lgkmcnt(1)
	v_mul_f64 v[18:19], v[2:3], v[40:41]
	v_mul_f64 v[22:23], v[4:5], v[40:41]
	s_waitcnt vmcnt(3) lgkmcnt(0)
	v_mul_f64 v[28:29], v[8:9], v[154:155]
	v_add_f64 v[14:15], v[14:15], v[26:27]
	v_add_f64 v[16:17], v[16:17], v[32:33]
	v_mul_f64 v[26:27], v[6:7], v[154:155]
	v_fma_f64 v[18:19], v[4:5], v[38:39], v[18:19]
	v_fma_f64 v[22:23], v[2:3], v[38:39], -v[22:23]
	ds_load_b128 v[2:5], v1 offset:1088
	v_fma_f64 v[28:29], v[6:7], v[152:153], -v[28:29]
	v_add_f64 v[14:15], v[14:15], v[24:25]
	v_add_f64 v[16:17], v[16:17], v[20:21]
	v_fma_f64 v[26:27], v[8:9], v[152:153], v[26:27]
	ds_load_b128 v[6:9], v1 offset:1104
	s_waitcnt vmcnt(2) lgkmcnt(1)
	v_mul_f64 v[20:21], v[2:3], v[36:37]
	v_mul_f64 v[24:25], v[4:5], v[36:37]
	v_add_f64 v[14:15], v[14:15], v[22:23]
	v_add_f64 v[16:17], v[16:17], v[18:19]
	s_waitcnt vmcnt(1) lgkmcnt(0)
	v_mul_f64 v[18:19], v[6:7], v[44:45]
	v_mul_f64 v[22:23], v[8:9], v[44:45]
	v_fma_f64 v[4:5], v[4:5], v[34:35], v[20:21]
	v_fma_f64 v[1:2], v[2:3], v[34:35], -v[24:25]
	v_add_f64 v[14:15], v[14:15], v[28:29]
	v_add_f64 v[16:17], v[16:17], v[26:27]
	v_fma_f64 v[8:9], v[8:9], v[42:43], v[18:19]
	v_fma_f64 v[6:7], v[6:7], v[42:43], -v[22:23]
	s_delay_alu instid0(VALU_DEP_4) | instskip(NEXT) | instid1(VALU_DEP_4)
	v_add_f64 v[1:2], v[14:15], v[1:2]
	v_add_f64 v[3:4], v[16:17], v[4:5]
	s_delay_alu instid0(VALU_DEP_2) | instskip(NEXT) | instid1(VALU_DEP_2)
	v_add_f64 v[1:2], v[1:2], v[6:7]
	v_add_f64 v[3:4], v[3:4], v[8:9]
	s_waitcnt vmcnt(0)
	s_delay_alu instid0(VALU_DEP_2) | instskip(NEXT) | instid1(VALU_DEP_2)
	v_add_f64 v[1:2], v[10:11], -v[1:2]
	v_add_f64 v[3:4], v[12:13], -v[3:4]
	scratch_store_b128 off, v[1:4], off offset:352
	v_cmpx_lt_u32_e32 21, v116
	s_cbranch_execz .LBB98_181
; %bb.180:
	scratch_load_b128 v[1:4], v123, off
	v_mov_b32_e32 v5, 0
	s_delay_alu instid0(VALU_DEP_1)
	v_mov_b32_e32 v6, v5
	v_mov_b32_e32 v7, v5
	v_mov_b32_e32 v8, v5
	scratch_store_b128 off, v[5:8], off offset:336
	s_waitcnt vmcnt(0)
	ds_store_b128 v151, v[1:4]
.LBB98_181:
	s_or_b32 exec_lo, exec_lo, s2
	s_waitcnt lgkmcnt(0)
	s_waitcnt_vscnt null, 0x0
	s_barrier
	buffer_gl0_inv
	s_clause 0x7
	scratch_load_b128 v[2:5], off, off offset:352
	scratch_load_b128 v[6:9], off, off offset:368
	;; [unrolled: 1-line block ×8, first 2 shown]
	v_mov_b32_e32 v1, 0
	s_mov_b32 s2, exec_lo
	ds_load_b128 v[34:37], v1 offset:912
	s_clause 0x1
	scratch_load_b128 v[38:41], off, off offset:480
	scratch_load_b128 v[42:45], off, off offset:336
	ds_load_b128 v[152:155], v1 offset:928
	scratch_load_b128 v[156:159], off, off offset:496
	s_waitcnt vmcnt(10) lgkmcnt(1)
	v_mul_f64 v[160:161], v[36:37], v[4:5]
	v_mul_f64 v[4:5], v[34:35], v[4:5]
	s_delay_alu instid0(VALU_DEP_2) | instskip(NEXT) | instid1(VALU_DEP_2)
	v_fma_f64 v[166:167], v[34:35], v[2:3], -v[160:161]
	v_fma_f64 v[168:169], v[36:37], v[2:3], v[4:5]
	scratch_load_b128 v[34:37], off, off offset:512
	ds_load_b128 v[2:5], v1 offset:944
	s_waitcnt vmcnt(10) lgkmcnt(1)
	v_mul_f64 v[164:165], v[152:153], v[8:9]
	v_mul_f64 v[8:9], v[154:155], v[8:9]
	ds_load_b128 v[160:163], v1 offset:960
	s_waitcnt vmcnt(9) lgkmcnt(1)
	v_mul_f64 v[170:171], v[2:3], v[12:13]
	v_mul_f64 v[12:13], v[4:5], v[12:13]
	v_fma_f64 v[154:155], v[154:155], v[6:7], v[164:165]
	v_fma_f64 v[152:153], v[152:153], v[6:7], -v[8:9]
	v_add_f64 v[164:165], v[166:167], 0
	v_add_f64 v[166:167], v[168:169], 0
	scratch_load_b128 v[6:9], off, off offset:528
	v_fma_f64 v[170:171], v[4:5], v[10:11], v[170:171]
	v_fma_f64 v[172:173], v[2:3], v[10:11], -v[12:13]
	scratch_load_b128 v[10:13], off, off offset:544
	ds_load_b128 v[2:5], v1 offset:976
	s_waitcnt vmcnt(10) lgkmcnt(1)
	v_mul_f64 v[168:169], v[160:161], v[16:17]
	v_mul_f64 v[16:17], v[162:163], v[16:17]
	v_add_f64 v[164:165], v[164:165], v[152:153]
	v_add_f64 v[166:167], v[166:167], v[154:155]
	s_waitcnt vmcnt(9) lgkmcnt(0)
	v_mul_f64 v[174:175], v[2:3], v[20:21]
	v_mul_f64 v[20:21], v[4:5], v[20:21]
	ds_load_b128 v[152:155], v1 offset:992
	v_fma_f64 v[162:163], v[162:163], v[14:15], v[168:169]
	v_fma_f64 v[14:15], v[160:161], v[14:15], -v[16:17]
	v_add_f64 v[16:17], v[164:165], v[172:173]
	v_add_f64 v[160:161], v[166:167], v[170:171]
	s_waitcnt vmcnt(8) lgkmcnt(0)
	v_mul_f64 v[164:165], v[152:153], v[24:25]
	v_mul_f64 v[24:25], v[154:155], v[24:25]
	v_fma_f64 v[166:167], v[4:5], v[18:19], v[174:175]
	v_fma_f64 v[18:19], v[2:3], v[18:19], -v[20:21]
	v_add_f64 v[20:21], v[16:17], v[14:15]
	v_add_f64 v[160:161], v[160:161], v[162:163]
	ds_load_b128 v[2:5], v1 offset:1008
	ds_load_b128 v[14:17], v1 offset:1024
	v_fma_f64 v[154:155], v[154:155], v[22:23], v[164:165]
	v_fma_f64 v[22:23], v[152:153], v[22:23], -v[24:25]
	s_waitcnt vmcnt(7) lgkmcnt(1)
	v_mul_f64 v[162:163], v[2:3], v[28:29]
	v_mul_f64 v[28:29], v[4:5], v[28:29]
	s_waitcnt vmcnt(6) lgkmcnt(0)
	v_mul_f64 v[24:25], v[14:15], v[32:33]
	v_mul_f64 v[32:33], v[16:17], v[32:33]
	v_add_f64 v[18:19], v[20:21], v[18:19]
	v_add_f64 v[20:21], v[160:161], v[166:167]
	v_fma_f64 v[152:153], v[4:5], v[26:27], v[162:163]
	v_fma_f64 v[26:27], v[2:3], v[26:27], -v[28:29]
	v_fma_f64 v[16:17], v[16:17], v[30:31], v[24:25]
	v_fma_f64 v[14:15], v[14:15], v[30:31], -v[32:33]
	v_add_f64 v[22:23], v[18:19], v[22:23]
	v_add_f64 v[28:29], v[20:21], v[154:155]
	ds_load_b128 v[2:5], v1 offset:1040
	ds_load_b128 v[18:21], v1 offset:1056
	s_waitcnt vmcnt(5) lgkmcnt(1)
	v_mul_f64 v[154:155], v[2:3], v[40:41]
	v_mul_f64 v[40:41], v[4:5], v[40:41]
	v_add_f64 v[22:23], v[22:23], v[26:27]
	v_add_f64 v[24:25], v[28:29], v[152:153]
	s_waitcnt vmcnt(3) lgkmcnt(0)
	v_mul_f64 v[26:27], v[18:19], v[158:159]
	v_mul_f64 v[28:29], v[20:21], v[158:159]
	v_fma_f64 v[30:31], v[4:5], v[38:39], v[154:155]
	v_fma_f64 v[32:33], v[2:3], v[38:39], -v[40:41]
	v_add_f64 v[22:23], v[22:23], v[14:15]
	v_add_f64 v[24:25], v[24:25], v[16:17]
	ds_load_b128 v[2:5], v1 offset:1072
	ds_load_b128 v[14:17], v1 offset:1088
	v_fma_f64 v[20:21], v[20:21], v[156:157], v[26:27]
	v_fma_f64 v[18:19], v[18:19], v[156:157], -v[28:29]
	s_waitcnt vmcnt(2) lgkmcnt(1)
	v_mul_f64 v[38:39], v[2:3], v[36:37]
	v_mul_f64 v[36:37], v[4:5], v[36:37]
	v_add_f64 v[22:23], v[22:23], v[32:33]
	v_add_f64 v[24:25], v[24:25], v[30:31]
	s_waitcnt vmcnt(1) lgkmcnt(0)
	v_mul_f64 v[26:27], v[14:15], v[8:9]
	v_mul_f64 v[8:9], v[16:17], v[8:9]
	v_fma_f64 v[28:29], v[4:5], v[34:35], v[38:39]
	v_fma_f64 v[30:31], v[2:3], v[34:35], -v[36:37]
	ds_load_b128 v[2:5], v1 offset:1104
	v_add_f64 v[18:19], v[22:23], v[18:19]
	v_add_f64 v[20:21], v[24:25], v[20:21]
	s_waitcnt vmcnt(0) lgkmcnt(0)
	v_mul_f64 v[22:23], v[2:3], v[12:13]
	v_mul_f64 v[12:13], v[4:5], v[12:13]
	v_fma_f64 v[16:17], v[16:17], v[6:7], v[26:27]
	v_fma_f64 v[6:7], v[14:15], v[6:7], -v[8:9]
	v_add_f64 v[8:9], v[18:19], v[30:31]
	v_add_f64 v[14:15], v[20:21], v[28:29]
	v_fma_f64 v[4:5], v[4:5], v[10:11], v[22:23]
	v_fma_f64 v[2:3], v[2:3], v[10:11], -v[12:13]
	s_delay_alu instid0(VALU_DEP_4) | instskip(NEXT) | instid1(VALU_DEP_4)
	v_add_f64 v[6:7], v[8:9], v[6:7]
	v_add_f64 v[8:9], v[14:15], v[16:17]
	s_delay_alu instid0(VALU_DEP_2) | instskip(NEXT) | instid1(VALU_DEP_2)
	v_add_f64 v[2:3], v[6:7], v[2:3]
	v_add_f64 v[4:5], v[8:9], v[4:5]
	s_delay_alu instid0(VALU_DEP_2) | instskip(NEXT) | instid1(VALU_DEP_2)
	v_add_f64 v[2:3], v[42:43], -v[2:3]
	v_add_f64 v[4:5], v[44:45], -v[4:5]
	scratch_store_b128 off, v[2:5], off offset:336
	v_cmpx_lt_u32_e32 20, v116
	s_cbranch_execz .LBB98_183
; %bb.182:
	scratch_load_b128 v[5:8], v122, off
	v_mov_b32_e32 v2, v1
	v_mov_b32_e32 v3, v1
	;; [unrolled: 1-line block ×3, first 2 shown]
	scratch_store_b128 off, v[1:4], off offset:320
	s_waitcnt vmcnt(0)
	ds_store_b128 v151, v[5:8]
.LBB98_183:
	s_or_b32 exec_lo, exec_lo, s2
	s_waitcnt lgkmcnt(0)
	s_waitcnt_vscnt null, 0x0
	s_barrier
	buffer_gl0_inv
	s_clause 0x8
	scratch_load_b128 v[2:5], off, off offset:336
	scratch_load_b128 v[6:9], off, off offset:352
	;; [unrolled: 1-line block ×9, first 2 shown]
	ds_load_b128 v[38:41], v1 offset:896
	ds_load_b128 v[42:45], v1 offset:912
	s_clause 0x1
	scratch_load_b128 v[152:155], off, off offset:320
	scratch_load_b128 v[156:159], off, off offset:480
	s_mov_b32 s2, exec_lo
	s_waitcnt vmcnt(10) lgkmcnt(1)
	v_mul_f64 v[160:161], v[40:41], v[4:5]
	v_mul_f64 v[4:5], v[38:39], v[4:5]
	s_waitcnt vmcnt(9) lgkmcnt(0)
	v_mul_f64 v[164:165], v[42:43], v[8:9]
	v_mul_f64 v[8:9], v[44:45], v[8:9]
	s_delay_alu instid0(VALU_DEP_4) | instskip(NEXT) | instid1(VALU_DEP_4)
	v_fma_f64 v[166:167], v[38:39], v[2:3], -v[160:161]
	v_fma_f64 v[168:169], v[40:41], v[2:3], v[4:5]
	ds_load_b128 v[2:5], v1 offset:928
	ds_load_b128 v[160:163], v1 offset:944
	scratch_load_b128 v[38:41], off, off offset:496
	v_fma_f64 v[44:45], v[44:45], v[6:7], v[164:165]
	v_fma_f64 v[42:43], v[42:43], v[6:7], -v[8:9]
	scratch_load_b128 v[6:9], off, off offset:512
	s_waitcnt vmcnt(10) lgkmcnt(1)
	v_mul_f64 v[170:171], v[2:3], v[12:13]
	v_mul_f64 v[12:13], v[4:5], v[12:13]
	v_add_f64 v[164:165], v[166:167], 0
	v_add_f64 v[166:167], v[168:169], 0
	s_waitcnt vmcnt(9) lgkmcnt(0)
	v_mul_f64 v[168:169], v[160:161], v[16:17]
	v_mul_f64 v[16:17], v[162:163], v[16:17]
	v_fma_f64 v[170:171], v[4:5], v[10:11], v[170:171]
	v_fma_f64 v[172:173], v[2:3], v[10:11], -v[12:13]
	ds_load_b128 v[2:5], v1 offset:960
	scratch_load_b128 v[10:13], off, off offset:528
	v_add_f64 v[164:165], v[164:165], v[42:43]
	v_add_f64 v[166:167], v[166:167], v[44:45]
	ds_load_b128 v[42:45], v1 offset:976
	v_fma_f64 v[162:163], v[162:163], v[14:15], v[168:169]
	v_fma_f64 v[160:161], v[160:161], v[14:15], -v[16:17]
	scratch_load_b128 v[14:17], off, off offset:544
	s_waitcnt vmcnt(10) lgkmcnt(1)
	v_mul_f64 v[174:175], v[2:3], v[20:21]
	v_mul_f64 v[20:21], v[4:5], v[20:21]
	s_waitcnt vmcnt(9) lgkmcnt(0)
	v_mul_f64 v[168:169], v[42:43], v[24:25]
	v_mul_f64 v[24:25], v[44:45], v[24:25]
	v_add_f64 v[164:165], v[164:165], v[172:173]
	v_add_f64 v[166:167], v[166:167], v[170:171]
	v_fma_f64 v[170:171], v[4:5], v[18:19], v[174:175]
	v_fma_f64 v[172:173], v[2:3], v[18:19], -v[20:21]
	ds_load_b128 v[2:5], v1 offset:992
	ds_load_b128 v[18:21], v1 offset:1008
	v_fma_f64 v[44:45], v[44:45], v[22:23], v[168:169]
	v_fma_f64 v[22:23], v[42:43], v[22:23], -v[24:25]
	v_add_f64 v[160:161], v[164:165], v[160:161]
	v_add_f64 v[162:163], v[166:167], v[162:163]
	s_waitcnt vmcnt(8) lgkmcnt(1)
	v_mul_f64 v[164:165], v[2:3], v[28:29]
	v_mul_f64 v[28:29], v[4:5], v[28:29]
	s_delay_alu instid0(VALU_DEP_4) | instskip(NEXT) | instid1(VALU_DEP_4)
	v_add_f64 v[24:25], v[160:161], v[172:173]
	v_add_f64 v[42:43], v[162:163], v[170:171]
	s_waitcnt vmcnt(7) lgkmcnt(0)
	v_mul_f64 v[160:161], v[18:19], v[32:33]
	v_mul_f64 v[32:33], v[20:21], v[32:33]
	v_fma_f64 v[162:163], v[4:5], v[26:27], v[164:165]
	v_fma_f64 v[26:27], v[2:3], v[26:27], -v[28:29]
	v_add_f64 v[28:29], v[24:25], v[22:23]
	v_add_f64 v[42:43], v[42:43], v[44:45]
	ds_load_b128 v[2:5], v1 offset:1024
	ds_load_b128 v[22:25], v1 offset:1040
	v_fma_f64 v[20:21], v[20:21], v[30:31], v[160:161]
	v_fma_f64 v[18:19], v[18:19], v[30:31], -v[32:33]
	s_waitcnt vmcnt(6) lgkmcnt(1)
	v_mul_f64 v[44:45], v[2:3], v[36:37]
	v_mul_f64 v[36:37], v[4:5], v[36:37]
	s_waitcnt vmcnt(4) lgkmcnt(0)
	v_mul_f64 v[30:31], v[22:23], v[158:159]
	v_mul_f64 v[32:33], v[24:25], v[158:159]
	v_add_f64 v[26:27], v[28:29], v[26:27]
	v_add_f64 v[28:29], v[42:43], v[162:163]
	v_fma_f64 v[42:43], v[4:5], v[34:35], v[44:45]
	v_fma_f64 v[34:35], v[2:3], v[34:35], -v[36:37]
	v_fma_f64 v[24:25], v[24:25], v[156:157], v[30:31]
	v_fma_f64 v[22:23], v[22:23], v[156:157], -v[32:33]
	v_add_f64 v[26:27], v[26:27], v[18:19]
	v_add_f64 v[28:29], v[28:29], v[20:21]
	ds_load_b128 v[2:5], v1 offset:1056
	ds_load_b128 v[18:21], v1 offset:1072
	s_waitcnt vmcnt(3) lgkmcnt(1)
	v_mul_f64 v[36:37], v[2:3], v[40:41]
	v_mul_f64 v[40:41], v[4:5], v[40:41]
	s_waitcnt vmcnt(2) lgkmcnt(0)
	v_mul_f64 v[30:31], v[18:19], v[8:9]
	v_mul_f64 v[8:9], v[20:21], v[8:9]
	v_add_f64 v[26:27], v[26:27], v[34:35]
	v_add_f64 v[28:29], v[28:29], v[42:43]
	v_fma_f64 v[32:33], v[4:5], v[38:39], v[36:37]
	v_fma_f64 v[34:35], v[2:3], v[38:39], -v[40:41]
	v_fma_f64 v[20:21], v[20:21], v[6:7], v[30:31]
	v_fma_f64 v[6:7], v[18:19], v[6:7], -v[8:9]
	v_add_f64 v[26:27], v[26:27], v[22:23]
	v_add_f64 v[28:29], v[28:29], v[24:25]
	ds_load_b128 v[2:5], v1 offset:1088
	ds_load_b128 v[22:25], v1 offset:1104
	s_waitcnt vmcnt(1) lgkmcnt(1)
	v_mul_f64 v[36:37], v[2:3], v[12:13]
	v_mul_f64 v[12:13], v[4:5], v[12:13]
	v_add_f64 v[8:9], v[26:27], v[34:35]
	v_add_f64 v[18:19], v[28:29], v[32:33]
	s_waitcnt vmcnt(0) lgkmcnt(0)
	v_mul_f64 v[26:27], v[22:23], v[16:17]
	v_mul_f64 v[16:17], v[24:25], v[16:17]
	v_fma_f64 v[4:5], v[4:5], v[10:11], v[36:37]
	v_fma_f64 v[1:2], v[2:3], v[10:11], -v[12:13]
	v_add_f64 v[6:7], v[8:9], v[6:7]
	v_add_f64 v[8:9], v[18:19], v[20:21]
	v_fma_f64 v[10:11], v[24:25], v[14:15], v[26:27]
	v_fma_f64 v[12:13], v[22:23], v[14:15], -v[16:17]
	s_delay_alu instid0(VALU_DEP_4) | instskip(NEXT) | instid1(VALU_DEP_4)
	v_add_f64 v[1:2], v[6:7], v[1:2]
	v_add_f64 v[3:4], v[8:9], v[4:5]
	s_delay_alu instid0(VALU_DEP_2) | instskip(NEXT) | instid1(VALU_DEP_2)
	v_add_f64 v[1:2], v[1:2], v[12:13]
	v_add_f64 v[3:4], v[3:4], v[10:11]
	s_delay_alu instid0(VALU_DEP_2) | instskip(NEXT) | instid1(VALU_DEP_2)
	v_add_f64 v[1:2], v[152:153], -v[1:2]
	v_add_f64 v[3:4], v[154:155], -v[3:4]
	scratch_store_b128 off, v[1:4], off offset:320
	v_cmpx_lt_u32_e32 19, v116
	s_cbranch_execz .LBB98_185
; %bb.184:
	scratch_load_b128 v[1:4], v124, off
	v_mov_b32_e32 v5, 0
	s_delay_alu instid0(VALU_DEP_1)
	v_mov_b32_e32 v6, v5
	v_mov_b32_e32 v7, v5
	;; [unrolled: 1-line block ×3, first 2 shown]
	scratch_store_b128 off, v[5:8], off offset:304
	s_waitcnt vmcnt(0)
	ds_store_b128 v151, v[1:4]
.LBB98_185:
	s_or_b32 exec_lo, exec_lo, s2
	s_waitcnt lgkmcnt(0)
	s_waitcnt_vscnt null, 0x0
	s_barrier
	buffer_gl0_inv
	s_clause 0x7
	scratch_load_b128 v[2:5], off, off offset:320
	scratch_load_b128 v[6:9], off, off offset:336
	scratch_load_b128 v[10:13], off, off offset:352
	scratch_load_b128 v[14:17], off, off offset:368
	scratch_load_b128 v[18:21], off, off offset:384
	scratch_load_b128 v[22:25], off, off offset:400
	scratch_load_b128 v[26:29], off, off offset:416
	scratch_load_b128 v[30:33], off, off offset:432
	v_mov_b32_e32 v1, 0
	s_mov_b32 s2, exec_lo
	ds_load_b128 v[34:37], v1 offset:880
	s_clause 0x1
	scratch_load_b128 v[38:41], off, off offset:448
	scratch_load_b128 v[42:45], off, off offset:304
	ds_load_b128 v[152:155], v1 offset:896
	scratch_load_b128 v[156:159], off, off offset:464
	s_waitcnt vmcnt(10) lgkmcnt(1)
	v_mul_f64 v[160:161], v[36:37], v[4:5]
	v_mul_f64 v[4:5], v[34:35], v[4:5]
	s_delay_alu instid0(VALU_DEP_2) | instskip(NEXT) | instid1(VALU_DEP_2)
	v_fma_f64 v[166:167], v[34:35], v[2:3], -v[160:161]
	v_fma_f64 v[168:169], v[36:37], v[2:3], v[4:5]
	scratch_load_b128 v[34:37], off, off offset:480
	ds_load_b128 v[2:5], v1 offset:912
	s_waitcnt vmcnt(10) lgkmcnt(1)
	v_mul_f64 v[164:165], v[152:153], v[8:9]
	v_mul_f64 v[8:9], v[154:155], v[8:9]
	ds_load_b128 v[160:163], v1 offset:928
	s_waitcnt vmcnt(9) lgkmcnt(1)
	v_mul_f64 v[170:171], v[2:3], v[12:13]
	v_mul_f64 v[12:13], v[4:5], v[12:13]
	v_fma_f64 v[154:155], v[154:155], v[6:7], v[164:165]
	v_fma_f64 v[152:153], v[152:153], v[6:7], -v[8:9]
	v_add_f64 v[164:165], v[166:167], 0
	v_add_f64 v[166:167], v[168:169], 0
	scratch_load_b128 v[6:9], off, off offset:496
	v_fma_f64 v[170:171], v[4:5], v[10:11], v[170:171]
	v_fma_f64 v[172:173], v[2:3], v[10:11], -v[12:13]
	scratch_load_b128 v[10:13], off, off offset:512
	ds_load_b128 v[2:5], v1 offset:944
	s_waitcnt vmcnt(10) lgkmcnt(1)
	v_mul_f64 v[168:169], v[160:161], v[16:17]
	v_mul_f64 v[16:17], v[162:163], v[16:17]
	v_add_f64 v[164:165], v[164:165], v[152:153]
	v_add_f64 v[166:167], v[166:167], v[154:155]
	s_waitcnt vmcnt(9) lgkmcnt(0)
	v_mul_f64 v[174:175], v[2:3], v[20:21]
	v_mul_f64 v[20:21], v[4:5], v[20:21]
	ds_load_b128 v[152:155], v1 offset:960
	v_fma_f64 v[162:163], v[162:163], v[14:15], v[168:169]
	v_fma_f64 v[160:161], v[160:161], v[14:15], -v[16:17]
	scratch_load_b128 v[14:17], off, off offset:528
	v_add_f64 v[164:165], v[164:165], v[172:173]
	v_add_f64 v[166:167], v[166:167], v[170:171]
	v_fma_f64 v[170:171], v[4:5], v[18:19], v[174:175]
	v_fma_f64 v[172:173], v[2:3], v[18:19], -v[20:21]
	scratch_load_b128 v[18:21], off, off offset:544
	ds_load_b128 v[2:5], v1 offset:976
	s_waitcnt vmcnt(10) lgkmcnt(1)
	v_mul_f64 v[168:169], v[152:153], v[24:25]
	v_mul_f64 v[24:25], v[154:155], v[24:25]
	s_waitcnt vmcnt(9) lgkmcnt(0)
	v_mul_f64 v[174:175], v[2:3], v[28:29]
	v_mul_f64 v[28:29], v[4:5], v[28:29]
	v_add_f64 v[164:165], v[164:165], v[160:161]
	v_add_f64 v[166:167], v[166:167], v[162:163]
	ds_load_b128 v[160:163], v1 offset:992
	v_fma_f64 v[154:155], v[154:155], v[22:23], v[168:169]
	v_fma_f64 v[22:23], v[152:153], v[22:23], -v[24:25]
	v_add_f64 v[24:25], v[164:165], v[172:173]
	v_add_f64 v[152:153], v[166:167], v[170:171]
	s_waitcnt vmcnt(8) lgkmcnt(0)
	v_mul_f64 v[164:165], v[160:161], v[32:33]
	v_mul_f64 v[32:33], v[162:163], v[32:33]
	v_fma_f64 v[166:167], v[4:5], v[26:27], v[174:175]
	v_fma_f64 v[26:27], v[2:3], v[26:27], -v[28:29]
	v_add_f64 v[28:29], v[24:25], v[22:23]
	v_add_f64 v[152:153], v[152:153], v[154:155]
	ds_load_b128 v[2:5], v1 offset:1008
	ds_load_b128 v[22:25], v1 offset:1024
	v_fma_f64 v[162:163], v[162:163], v[30:31], v[164:165]
	v_fma_f64 v[30:31], v[160:161], v[30:31], -v[32:33]
	s_waitcnt vmcnt(7) lgkmcnt(1)
	v_mul_f64 v[154:155], v[2:3], v[40:41]
	v_mul_f64 v[40:41], v[4:5], v[40:41]
	s_waitcnt vmcnt(5) lgkmcnt(0)
	v_mul_f64 v[32:33], v[22:23], v[158:159]
	v_add_f64 v[26:27], v[28:29], v[26:27]
	v_add_f64 v[28:29], v[152:153], v[166:167]
	v_mul_f64 v[152:153], v[24:25], v[158:159]
	v_fma_f64 v[154:155], v[4:5], v[38:39], v[154:155]
	v_fma_f64 v[38:39], v[2:3], v[38:39], -v[40:41]
	v_fma_f64 v[24:25], v[24:25], v[156:157], v[32:33]
	v_add_f64 v[30:31], v[26:27], v[30:31]
	v_add_f64 v[40:41], v[28:29], v[162:163]
	ds_load_b128 v[2:5], v1 offset:1040
	ds_load_b128 v[26:29], v1 offset:1056
	v_fma_f64 v[22:23], v[22:23], v[156:157], -v[152:153]
	s_waitcnt vmcnt(4) lgkmcnt(1)
	v_mul_f64 v[158:159], v[2:3], v[36:37]
	v_mul_f64 v[36:37], v[4:5], v[36:37]
	v_add_f64 v[30:31], v[30:31], v[38:39]
	v_add_f64 v[32:33], v[40:41], v[154:155]
	s_waitcnt vmcnt(3) lgkmcnt(0)
	v_mul_f64 v[38:39], v[26:27], v[8:9]
	v_mul_f64 v[8:9], v[28:29], v[8:9]
	v_fma_f64 v[40:41], v[4:5], v[34:35], v[158:159]
	v_fma_f64 v[34:35], v[2:3], v[34:35], -v[36:37]
	v_add_f64 v[30:31], v[30:31], v[22:23]
	v_add_f64 v[32:33], v[32:33], v[24:25]
	ds_load_b128 v[2:5], v1 offset:1072
	ds_load_b128 v[22:25], v1 offset:1088
	v_fma_f64 v[28:29], v[28:29], v[6:7], v[38:39]
	v_fma_f64 v[6:7], v[26:27], v[6:7], -v[8:9]
	s_waitcnt vmcnt(2) lgkmcnt(1)
	v_mul_f64 v[36:37], v[2:3], v[12:13]
	v_mul_f64 v[12:13], v[4:5], v[12:13]
	v_add_f64 v[8:9], v[30:31], v[34:35]
	v_add_f64 v[26:27], v[32:33], v[40:41]
	s_waitcnt vmcnt(1) lgkmcnt(0)
	v_mul_f64 v[30:31], v[22:23], v[16:17]
	v_mul_f64 v[16:17], v[24:25], v[16:17]
	v_fma_f64 v[32:33], v[4:5], v[10:11], v[36:37]
	v_fma_f64 v[10:11], v[2:3], v[10:11], -v[12:13]
	ds_load_b128 v[2:5], v1 offset:1104
	v_add_f64 v[6:7], v[8:9], v[6:7]
	v_add_f64 v[8:9], v[26:27], v[28:29]
	v_fma_f64 v[24:25], v[24:25], v[14:15], v[30:31]
	v_fma_f64 v[14:15], v[22:23], v[14:15], -v[16:17]
	s_waitcnt vmcnt(0) lgkmcnt(0)
	v_mul_f64 v[12:13], v[2:3], v[20:21]
	v_mul_f64 v[20:21], v[4:5], v[20:21]
	v_add_f64 v[6:7], v[6:7], v[10:11]
	v_add_f64 v[8:9], v[8:9], v[32:33]
	s_delay_alu instid0(VALU_DEP_4) | instskip(NEXT) | instid1(VALU_DEP_4)
	v_fma_f64 v[4:5], v[4:5], v[18:19], v[12:13]
	v_fma_f64 v[2:3], v[2:3], v[18:19], -v[20:21]
	s_delay_alu instid0(VALU_DEP_4) | instskip(NEXT) | instid1(VALU_DEP_4)
	v_add_f64 v[6:7], v[6:7], v[14:15]
	v_add_f64 v[8:9], v[8:9], v[24:25]
	s_delay_alu instid0(VALU_DEP_2) | instskip(NEXT) | instid1(VALU_DEP_2)
	v_add_f64 v[2:3], v[6:7], v[2:3]
	v_add_f64 v[4:5], v[8:9], v[4:5]
	s_delay_alu instid0(VALU_DEP_2) | instskip(NEXT) | instid1(VALU_DEP_2)
	v_add_f64 v[2:3], v[42:43], -v[2:3]
	v_add_f64 v[4:5], v[44:45], -v[4:5]
	scratch_store_b128 off, v[2:5], off offset:304
	v_cmpx_lt_u32_e32 18, v116
	s_cbranch_execz .LBB98_187
; %bb.186:
	scratch_load_b128 v[5:8], v125, off
	v_mov_b32_e32 v2, v1
	v_mov_b32_e32 v3, v1
	;; [unrolled: 1-line block ×3, first 2 shown]
	scratch_store_b128 off, v[1:4], off offset:288
	s_waitcnt vmcnt(0)
	ds_store_b128 v151, v[5:8]
.LBB98_187:
	s_or_b32 exec_lo, exec_lo, s2
	s_waitcnt lgkmcnt(0)
	s_waitcnt_vscnt null, 0x0
	s_barrier
	buffer_gl0_inv
	s_clause 0x8
	scratch_load_b128 v[2:5], off, off offset:304
	scratch_load_b128 v[6:9], off, off offset:320
	;; [unrolled: 1-line block ×9, first 2 shown]
	ds_load_b128 v[38:41], v1 offset:864
	ds_load_b128 v[42:45], v1 offset:880
	s_clause 0x1
	scratch_load_b128 v[152:155], off, off offset:288
	scratch_load_b128 v[156:159], off, off offset:448
	s_mov_b32 s2, exec_lo
	s_waitcnt vmcnt(10) lgkmcnt(1)
	v_mul_f64 v[160:161], v[40:41], v[4:5]
	v_mul_f64 v[4:5], v[38:39], v[4:5]
	s_waitcnt vmcnt(9) lgkmcnt(0)
	v_mul_f64 v[164:165], v[42:43], v[8:9]
	v_mul_f64 v[8:9], v[44:45], v[8:9]
	s_delay_alu instid0(VALU_DEP_4) | instskip(NEXT) | instid1(VALU_DEP_4)
	v_fma_f64 v[166:167], v[38:39], v[2:3], -v[160:161]
	v_fma_f64 v[168:169], v[40:41], v[2:3], v[4:5]
	ds_load_b128 v[2:5], v1 offset:896
	ds_load_b128 v[160:163], v1 offset:912
	scratch_load_b128 v[38:41], off, off offset:464
	v_fma_f64 v[44:45], v[44:45], v[6:7], v[164:165]
	v_fma_f64 v[42:43], v[42:43], v[6:7], -v[8:9]
	scratch_load_b128 v[6:9], off, off offset:480
	s_waitcnt vmcnt(10) lgkmcnt(1)
	v_mul_f64 v[170:171], v[2:3], v[12:13]
	v_mul_f64 v[12:13], v[4:5], v[12:13]
	v_add_f64 v[164:165], v[166:167], 0
	v_add_f64 v[166:167], v[168:169], 0
	s_waitcnt vmcnt(9) lgkmcnt(0)
	v_mul_f64 v[168:169], v[160:161], v[16:17]
	v_mul_f64 v[16:17], v[162:163], v[16:17]
	v_fma_f64 v[170:171], v[4:5], v[10:11], v[170:171]
	v_fma_f64 v[172:173], v[2:3], v[10:11], -v[12:13]
	ds_load_b128 v[2:5], v1 offset:928
	scratch_load_b128 v[10:13], off, off offset:496
	v_add_f64 v[164:165], v[164:165], v[42:43]
	v_add_f64 v[166:167], v[166:167], v[44:45]
	ds_load_b128 v[42:45], v1 offset:944
	v_fma_f64 v[162:163], v[162:163], v[14:15], v[168:169]
	v_fma_f64 v[160:161], v[160:161], v[14:15], -v[16:17]
	scratch_load_b128 v[14:17], off, off offset:512
	s_waitcnt vmcnt(10) lgkmcnt(1)
	v_mul_f64 v[174:175], v[2:3], v[20:21]
	v_mul_f64 v[20:21], v[4:5], v[20:21]
	s_waitcnt vmcnt(9) lgkmcnt(0)
	v_mul_f64 v[168:169], v[42:43], v[24:25]
	v_mul_f64 v[24:25], v[44:45], v[24:25]
	v_add_f64 v[164:165], v[164:165], v[172:173]
	v_add_f64 v[166:167], v[166:167], v[170:171]
	v_fma_f64 v[170:171], v[4:5], v[18:19], v[174:175]
	v_fma_f64 v[172:173], v[2:3], v[18:19], -v[20:21]
	ds_load_b128 v[2:5], v1 offset:960
	scratch_load_b128 v[18:21], off, off offset:528
	v_fma_f64 v[44:45], v[44:45], v[22:23], v[168:169]
	v_fma_f64 v[42:43], v[42:43], v[22:23], -v[24:25]
	scratch_load_b128 v[22:25], off, off offset:544
	v_add_f64 v[164:165], v[164:165], v[160:161]
	v_add_f64 v[166:167], v[166:167], v[162:163]
	ds_load_b128 v[160:163], v1 offset:976
	s_waitcnt vmcnt(10) lgkmcnt(1)
	v_mul_f64 v[174:175], v[2:3], v[28:29]
	v_mul_f64 v[28:29], v[4:5], v[28:29]
	s_waitcnt vmcnt(9) lgkmcnt(0)
	v_mul_f64 v[168:169], v[160:161], v[32:33]
	v_mul_f64 v[32:33], v[162:163], v[32:33]
	v_add_f64 v[164:165], v[164:165], v[172:173]
	v_add_f64 v[166:167], v[166:167], v[170:171]
	v_fma_f64 v[170:171], v[4:5], v[26:27], v[174:175]
	v_fma_f64 v[172:173], v[2:3], v[26:27], -v[28:29]
	ds_load_b128 v[2:5], v1 offset:992
	ds_load_b128 v[26:29], v1 offset:1008
	v_fma_f64 v[162:163], v[162:163], v[30:31], v[168:169]
	v_fma_f64 v[30:31], v[160:161], v[30:31], -v[32:33]
	v_add_f64 v[42:43], v[164:165], v[42:43]
	v_add_f64 v[44:45], v[166:167], v[44:45]
	s_waitcnt vmcnt(8) lgkmcnt(1)
	v_mul_f64 v[164:165], v[2:3], v[36:37]
	v_mul_f64 v[36:37], v[4:5], v[36:37]
	s_delay_alu instid0(VALU_DEP_4) | instskip(NEXT) | instid1(VALU_DEP_4)
	v_add_f64 v[32:33], v[42:43], v[172:173]
	v_add_f64 v[42:43], v[44:45], v[170:171]
	s_waitcnt vmcnt(6) lgkmcnt(0)
	v_mul_f64 v[44:45], v[26:27], v[158:159]
	v_mul_f64 v[158:159], v[28:29], v[158:159]
	v_fma_f64 v[160:161], v[4:5], v[34:35], v[164:165]
	v_fma_f64 v[34:35], v[2:3], v[34:35], -v[36:37]
	v_add_f64 v[36:37], v[32:33], v[30:31]
	v_add_f64 v[42:43], v[42:43], v[162:163]
	ds_load_b128 v[2:5], v1 offset:1024
	ds_load_b128 v[30:33], v1 offset:1040
	v_fma_f64 v[28:29], v[28:29], v[156:157], v[44:45]
	v_fma_f64 v[26:27], v[26:27], v[156:157], -v[158:159]
	s_waitcnt vmcnt(5) lgkmcnt(1)
	v_mul_f64 v[162:163], v[2:3], v[40:41]
	v_mul_f64 v[40:41], v[4:5], v[40:41]
	v_add_f64 v[34:35], v[36:37], v[34:35]
	v_add_f64 v[36:37], v[42:43], v[160:161]
	s_waitcnt vmcnt(4) lgkmcnt(0)
	v_mul_f64 v[42:43], v[30:31], v[8:9]
	v_mul_f64 v[8:9], v[32:33], v[8:9]
	v_fma_f64 v[44:45], v[4:5], v[38:39], v[162:163]
	v_fma_f64 v[38:39], v[2:3], v[38:39], -v[40:41]
	v_add_f64 v[34:35], v[34:35], v[26:27]
	v_add_f64 v[36:37], v[36:37], v[28:29]
	ds_load_b128 v[2:5], v1 offset:1056
	ds_load_b128 v[26:29], v1 offset:1072
	v_fma_f64 v[32:33], v[32:33], v[6:7], v[42:43]
	v_fma_f64 v[6:7], v[30:31], v[6:7], -v[8:9]
	s_waitcnt vmcnt(3) lgkmcnt(1)
	v_mul_f64 v[40:41], v[2:3], v[12:13]
	v_mul_f64 v[12:13], v[4:5], v[12:13]
	;; [unrolled: 16-line block ×3, first 2 shown]
	s_waitcnt vmcnt(0) lgkmcnt(0)
	v_mul_f64 v[16:17], v[6:7], v[24:25]
	v_mul_f64 v[24:25], v[8:9], v[24:25]
	v_add_f64 v[10:11], v[12:13], v[10:11]
	v_add_f64 v[12:13], v[30:31], v[36:37]
	v_fma_f64 v[4:5], v[4:5], v[18:19], v[32:33]
	v_fma_f64 v[1:2], v[2:3], v[18:19], -v[20:21]
	v_fma_f64 v[8:9], v[8:9], v[22:23], v[16:17]
	v_fma_f64 v[6:7], v[6:7], v[22:23], -v[24:25]
	v_add_f64 v[10:11], v[10:11], v[14:15]
	v_add_f64 v[12:13], v[12:13], v[28:29]
	s_delay_alu instid0(VALU_DEP_2) | instskip(NEXT) | instid1(VALU_DEP_2)
	v_add_f64 v[1:2], v[10:11], v[1:2]
	v_add_f64 v[3:4], v[12:13], v[4:5]
	s_delay_alu instid0(VALU_DEP_2) | instskip(NEXT) | instid1(VALU_DEP_2)
	;; [unrolled: 3-line block ×3, first 2 shown]
	v_add_f64 v[1:2], v[152:153], -v[1:2]
	v_add_f64 v[3:4], v[154:155], -v[3:4]
	scratch_store_b128 off, v[1:4], off offset:288
	v_cmpx_lt_u32_e32 17, v116
	s_cbranch_execz .LBB98_189
; %bb.188:
	scratch_load_b128 v[1:4], v127, off
	v_mov_b32_e32 v5, 0
	s_delay_alu instid0(VALU_DEP_1)
	v_mov_b32_e32 v6, v5
	v_mov_b32_e32 v7, v5
	;; [unrolled: 1-line block ×3, first 2 shown]
	scratch_store_b128 off, v[5:8], off offset:272
	s_waitcnt vmcnt(0)
	ds_store_b128 v151, v[1:4]
.LBB98_189:
	s_or_b32 exec_lo, exec_lo, s2
	s_waitcnt lgkmcnt(0)
	s_waitcnt_vscnt null, 0x0
	s_barrier
	buffer_gl0_inv
	s_clause 0x7
	scratch_load_b128 v[2:5], off, off offset:288
	scratch_load_b128 v[6:9], off, off offset:304
	;; [unrolled: 1-line block ×8, first 2 shown]
	v_mov_b32_e32 v1, 0
	s_mov_b32 s2, exec_lo
	ds_load_b128 v[34:37], v1 offset:848
	s_clause 0x1
	scratch_load_b128 v[38:41], off, off offset:416
	scratch_load_b128 v[42:45], off, off offset:272
	ds_load_b128 v[152:155], v1 offset:864
	scratch_load_b128 v[156:159], off, off offset:432
	s_waitcnt vmcnt(10) lgkmcnt(1)
	v_mul_f64 v[160:161], v[36:37], v[4:5]
	v_mul_f64 v[4:5], v[34:35], v[4:5]
	s_delay_alu instid0(VALU_DEP_2) | instskip(NEXT) | instid1(VALU_DEP_2)
	v_fma_f64 v[166:167], v[34:35], v[2:3], -v[160:161]
	v_fma_f64 v[168:169], v[36:37], v[2:3], v[4:5]
	scratch_load_b128 v[34:37], off, off offset:448
	ds_load_b128 v[2:5], v1 offset:880
	s_waitcnt vmcnt(10) lgkmcnt(1)
	v_mul_f64 v[164:165], v[152:153], v[8:9]
	v_mul_f64 v[8:9], v[154:155], v[8:9]
	ds_load_b128 v[160:163], v1 offset:896
	s_waitcnt vmcnt(9) lgkmcnt(1)
	v_mul_f64 v[170:171], v[2:3], v[12:13]
	v_mul_f64 v[12:13], v[4:5], v[12:13]
	v_fma_f64 v[154:155], v[154:155], v[6:7], v[164:165]
	v_fma_f64 v[152:153], v[152:153], v[6:7], -v[8:9]
	v_add_f64 v[164:165], v[166:167], 0
	v_add_f64 v[166:167], v[168:169], 0
	scratch_load_b128 v[6:9], off, off offset:464
	v_fma_f64 v[170:171], v[4:5], v[10:11], v[170:171]
	v_fma_f64 v[172:173], v[2:3], v[10:11], -v[12:13]
	scratch_load_b128 v[10:13], off, off offset:480
	ds_load_b128 v[2:5], v1 offset:912
	s_waitcnt vmcnt(10) lgkmcnt(1)
	v_mul_f64 v[168:169], v[160:161], v[16:17]
	v_mul_f64 v[16:17], v[162:163], v[16:17]
	v_add_f64 v[164:165], v[164:165], v[152:153]
	v_add_f64 v[166:167], v[166:167], v[154:155]
	s_waitcnt vmcnt(9) lgkmcnt(0)
	v_mul_f64 v[174:175], v[2:3], v[20:21]
	v_mul_f64 v[20:21], v[4:5], v[20:21]
	ds_load_b128 v[152:155], v1 offset:928
	v_fma_f64 v[162:163], v[162:163], v[14:15], v[168:169]
	v_fma_f64 v[160:161], v[160:161], v[14:15], -v[16:17]
	scratch_load_b128 v[14:17], off, off offset:496
	v_add_f64 v[164:165], v[164:165], v[172:173]
	v_add_f64 v[166:167], v[166:167], v[170:171]
	v_fma_f64 v[170:171], v[4:5], v[18:19], v[174:175]
	v_fma_f64 v[172:173], v[2:3], v[18:19], -v[20:21]
	scratch_load_b128 v[18:21], off, off offset:512
	ds_load_b128 v[2:5], v1 offset:944
	s_waitcnt vmcnt(10) lgkmcnt(1)
	v_mul_f64 v[168:169], v[152:153], v[24:25]
	v_mul_f64 v[24:25], v[154:155], v[24:25]
	s_waitcnt vmcnt(9) lgkmcnt(0)
	v_mul_f64 v[174:175], v[2:3], v[28:29]
	v_mul_f64 v[28:29], v[4:5], v[28:29]
	v_add_f64 v[164:165], v[164:165], v[160:161]
	v_add_f64 v[166:167], v[166:167], v[162:163]
	ds_load_b128 v[160:163], v1 offset:960
	v_fma_f64 v[154:155], v[154:155], v[22:23], v[168:169]
	v_fma_f64 v[152:153], v[152:153], v[22:23], -v[24:25]
	scratch_load_b128 v[22:25], off, off offset:528
	v_add_f64 v[164:165], v[164:165], v[172:173]
	v_add_f64 v[166:167], v[166:167], v[170:171]
	v_fma_f64 v[170:171], v[4:5], v[26:27], v[174:175]
	v_fma_f64 v[172:173], v[2:3], v[26:27], -v[28:29]
	scratch_load_b128 v[26:29], off, off offset:544
	ds_load_b128 v[2:5], v1 offset:976
	s_waitcnt vmcnt(10) lgkmcnt(1)
	v_mul_f64 v[168:169], v[160:161], v[32:33]
	v_mul_f64 v[32:33], v[162:163], v[32:33]
	s_waitcnt vmcnt(9) lgkmcnt(0)
	v_mul_f64 v[174:175], v[2:3], v[40:41]
	v_mul_f64 v[40:41], v[4:5], v[40:41]
	v_add_f64 v[164:165], v[164:165], v[152:153]
	v_add_f64 v[166:167], v[166:167], v[154:155]
	ds_load_b128 v[152:155], v1 offset:992
	v_fma_f64 v[162:163], v[162:163], v[30:31], v[168:169]
	v_fma_f64 v[30:31], v[160:161], v[30:31], -v[32:33]
	v_add_f64 v[32:33], v[164:165], v[172:173]
	v_add_f64 v[160:161], v[166:167], v[170:171]
	s_waitcnt vmcnt(7) lgkmcnt(0)
	v_mul_f64 v[164:165], v[152:153], v[158:159]
	v_mul_f64 v[158:159], v[154:155], v[158:159]
	v_fma_f64 v[166:167], v[4:5], v[38:39], v[174:175]
	v_fma_f64 v[38:39], v[2:3], v[38:39], -v[40:41]
	v_add_f64 v[40:41], v[32:33], v[30:31]
	v_add_f64 v[160:161], v[160:161], v[162:163]
	ds_load_b128 v[2:5], v1 offset:1008
	ds_load_b128 v[30:33], v1 offset:1024
	v_fma_f64 v[154:155], v[154:155], v[156:157], v[164:165]
	v_fma_f64 v[152:153], v[152:153], v[156:157], -v[158:159]
	s_waitcnt vmcnt(6) lgkmcnt(1)
	v_mul_f64 v[162:163], v[2:3], v[36:37]
	v_mul_f64 v[36:37], v[4:5], v[36:37]
	v_add_f64 v[38:39], v[40:41], v[38:39]
	v_add_f64 v[40:41], v[160:161], v[166:167]
	s_waitcnt vmcnt(5) lgkmcnt(0)
	v_mul_f64 v[156:157], v[30:31], v[8:9]
	v_mul_f64 v[8:9], v[32:33], v[8:9]
	v_fma_f64 v[158:159], v[4:5], v[34:35], v[162:163]
	v_fma_f64 v[160:161], v[2:3], v[34:35], -v[36:37]
	ds_load_b128 v[2:5], v1 offset:1040
	ds_load_b128 v[34:37], v1 offset:1056
	v_add_f64 v[38:39], v[38:39], v[152:153]
	v_add_f64 v[40:41], v[40:41], v[154:155]
	s_waitcnt vmcnt(4) lgkmcnt(1)
	v_mul_f64 v[152:153], v[2:3], v[12:13]
	v_mul_f64 v[12:13], v[4:5], v[12:13]
	v_fma_f64 v[32:33], v[32:33], v[6:7], v[156:157]
	v_fma_f64 v[6:7], v[30:31], v[6:7], -v[8:9]
	v_add_f64 v[8:9], v[38:39], v[160:161]
	v_add_f64 v[30:31], v[40:41], v[158:159]
	s_waitcnt vmcnt(3) lgkmcnt(0)
	v_mul_f64 v[38:39], v[34:35], v[16:17]
	v_mul_f64 v[16:17], v[36:37], v[16:17]
	v_fma_f64 v[40:41], v[4:5], v[10:11], v[152:153]
	v_fma_f64 v[10:11], v[2:3], v[10:11], -v[12:13]
	v_add_f64 v[12:13], v[8:9], v[6:7]
	v_add_f64 v[30:31], v[30:31], v[32:33]
	ds_load_b128 v[2:5], v1 offset:1072
	ds_load_b128 v[6:9], v1 offset:1088
	v_fma_f64 v[36:37], v[36:37], v[14:15], v[38:39]
	v_fma_f64 v[14:15], v[34:35], v[14:15], -v[16:17]
	s_waitcnt vmcnt(2) lgkmcnt(1)
	v_mul_f64 v[32:33], v[2:3], v[20:21]
	v_mul_f64 v[20:21], v[4:5], v[20:21]
	s_waitcnt vmcnt(1) lgkmcnt(0)
	v_mul_f64 v[16:17], v[6:7], v[24:25]
	v_mul_f64 v[24:25], v[8:9], v[24:25]
	v_add_f64 v[10:11], v[12:13], v[10:11]
	v_add_f64 v[12:13], v[30:31], v[40:41]
	v_fma_f64 v[30:31], v[4:5], v[18:19], v[32:33]
	v_fma_f64 v[18:19], v[2:3], v[18:19], -v[20:21]
	ds_load_b128 v[2:5], v1 offset:1104
	v_fma_f64 v[8:9], v[8:9], v[22:23], v[16:17]
	v_fma_f64 v[6:7], v[6:7], v[22:23], -v[24:25]
	v_add_f64 v[10:11], v[10:11], v[14:15]
	v_add_f64 v[12:13], v[12:13], v[36:37]
	s_waitcnt vmcnt(0) lgkmcnt(0)
	v_mul_f64 v[14:15], v[2:3], v[28:29]
	v_mul_f64 v[20:21], v[4:5], v[28:29]
	s_delay_alu instid0(VALU_DEP_4) | instskip(NEXT) | instid1(VALU_DEP_4)
	v_add_f64 v[10:11], v[10:11], v[18:19]
	v_add_f64 v[12:13], v[12:13], v[30:31]
	s_delay_alu instid0(VALU_DEP_4) | instskip(NEXT) | instid1(VALU_DEP_4)
	v_fma_f64 v[4:5], v[4:5], v[26:27], v[14:15]
	v_fma_f64 v[2:3], v[2:3], v[26:27], -v[20:21]
	s_delay_alu instid0(VALU_DEP_4) | instskip(NEXT) | instid1(VALU_DEP_4)
	v_add_f64 v[6:7], v[10:11], v[6:7]
	v_add_f64 v[8:9], v[12:13], v[8:9]
	s_delay_alu instid0(VALU_DEP_2) | instskip(NEXT) | instid1(VALU_DEP_2)
	v_add_f64 v[2:3], v[6:7], v[2:3]
	v_add_f64 v[4:5], v[8:9], v[4:5]
	s_delay_alu instid0(VALU_DEP_2) | instskip(NEXT) | instid1(VALU_DEP_2)
	v_add_f64 v[2:3], v[42:43], -v[2:3]
	v_add_f64 v[4:5], v[44:45], -v[4:5]
	scratch_store_b128 off, v[2:5], off offset:272
	v_cmpx_lt_u32_e32 16, v116
	s_cbranch_execz .LBB98_191
; %bb.190:
	scratch_load_b128 v[5:8], v126, off
	v_mov_b32_e32 v2, v1
	v_mov_b32_e32 v3, v1
	;; [unrolled: 1-line block ×3, first 2 shown]
	scratch_store_b128 off, v[1:4], off offset:256
	s_waitcnt vmcnt(0)
	ds_store_b128 v151, v[5:8]
.LBB98_191:
	s_or_b32 exec_lo, exec_lo, s2
	s_waitcnt lgkmcnt(0)
	s_waitcnt_vscnt null, 0x0
	s_barrier
	buffer_gl0_inv
	s_clause 0x8
	scratch_load_b128 v[2:5], off, off offset:272
	scratch_load_b128 v[6:9], off, off offset:288
	;; [unrolled: 1-line block ×9, first 2 shown]
	ds_load_b128 v[38:41], v1 offset:832
	ds_load_b128 v[42:45], v1 offset:848
	s_clause 0x1
	scratch_load_b128 v[152:155], off, off offset:256
	scratch_load_b128 v[156:159], off, off offset:416
	s_mov_b32 s2, exec_lo
	s_waitcnt vmcnt(10) lgkmcnt(1)
	v_mul_f64 v[160:161], v[40:41], v[4:5]
	v_mul_f64 v[4:5], v[38:39], v[4:5]
	s_waitcnt vmcnt(9) lgkmcnt(0)
	v_mul_f64 v[164:165], v[42:43], v[8:9]
	v_mul_f64 v[8:9], v[44:45], v[8:9]
	s_delay_alu instid0(VALU_DEP_4) | instskip(NEXT) | instid1(VALU_DEP_4)
	v_fma_f64 v[166:167], v[38:39], v[2:3], -v[160:161]
	v_fma_f64 v[168:169], v[40:41], v[2:3], v[4:5]
	ds_load_b128 v[2:5], v1 offset:864
	ds_load_b128 v[160:163], v1 offset:880
	scratch_load_b128 v[38:41], off, off offset:432
	v_fma_f64 v[44:45], v[44:45], v[6:7], v[164:165]
	v_fma_f64 v[42:43], v[42:43], v[6:7], -v[8:9]
	scratch_load_b128 v[6:9], off, off offset:448
	s_waitcnt vmcnt(10) lgkmcnt(1)
	v_mul_f64 v[170:171], v[2:3], v[12:13]
	v_mul_f64 v[12:13], v[4:5], v[12:13]
	v_add_f64 v[164:165], v[166:167], 0
	v_add_f64 v[166:167], v[168:169], 0
	s_waitcnt vmcnt(9) lgkmcnt(0)
	v_mul_f64 v[168:169], v[160:161], v[16:17]
	v_mul_f64 v[16:17], v[162:163], v[16:17]
	v_fma_f64 v[170:171], v[4:5], v[10:11], v[170:171]
	v_fma_f64 v[172:173], v[2:3], v[10:11], -v[12:13]
	ds_load_b128 v[2:5], v1 offset:896
	scratch_load_b128 v[10:13], off, off offset:464
	v_add_f64 v[164:165], v[164:165], v[42:43]
	v_add_f64 v[166:167], v[166:167], v[44:45]
	ds_load_b128 v[42:45], v1 offset:912
	v_fma_f64 v[162:163], v[162:163], v[14:15], v[168:169]
	v_fma_f64 v[160:161], v[160:161], v[14:15], -v[16:17]
	scratch_load_b128 v[14:17], off, off offset:480
	s_waitcnt vmcnt(10) lgkmcnt(1)
	v_mul_f64 v[174:175], v[2:3], v[20:21]
	v_mul_f64 v[20:21], v[4:5], v[20:21]
	s_waitcnt vmcnt(9) lgkmcnt(0)
	v_mul_f64 v[168:169], v[42:43], v[24:25]
	v_mul_f64 v[24:25], v[44:45], v[24:25]
	v_add_f64 v[164:165], v[164:165], v[172:173]
	v_add_f64 v[166:167], v[166:167], v[170:171]
	v_fma_f64 v[170:171], v[4:5], v[18:19], v[174:175]
	v_fma_f64 v[172:173], v[2:3], v[18:19], -v[20:21]
	ds_load_b128 v[2:5], v1 offset:928
	scratch_load_b128 v[18:21], off, off offset:496
	v_fma_f64 v[44:45], v[44:45], v[22:23], v[168:169]
	v_fma_f64 v[42:43], v[42:43], v[22:23], -v[24:25]
	scratch_load_b128 v[22:25], off, off offset:512
	v_add_f64 v[164:165], v[164:165], v[160:161]
	v_add_f64 v[166:167], v[166:167], v[162:163]
	ds_load_b128 v[160:163], v1 offset:944
	s_waitcnt vmcnt(10) lgkmcnt(1)
	v_mul_f64 v[174:175], v[2:3], v[28:29]
	v_mul_f64 v[28:29], v[4:5], v[28:29]
	s_waitcnt vmcnt(9) lgkmcnt(0)
	v_mul_f64 v[168:169], v[160:161], v[32:33]
	v_mul_f64 v[32:33], v[162:163], v[32:33]
	v_add_f64 v[164:165], v[164:165], v[172:173]
	v_add_f64 v[166:167], v[166:167], v[170:171]
	v_fma_f64 v[170:171], v[4:5], v[26:27], v[174:175]
	v_fma_f64 v[172:173], v[2:3], v[26:27], -v[28:29]
	ds_load_b128 v[2:5], v1 offset:960
	scratch_load_b128 v[26:29], off, off offset:528
	v_fma_f64 v[162:163], v[162:163], v[30:31], v[168:169]
	v_fma_f64 v[160:161], v[160:161], v[30:31], -v[32:33]
	scratch_load_b128 v[30:33], off, off offset:544
	v_add_f64 v[164:165], v[164:165], v[42:43]
	v_add_f64 v[166:167], v[166:167], v[44:45]
	ds_load_b128 v[42:45], v1 offset:976
	s_waitcnt vmcnt(10) lgkmcnt(1)
	v_mul_f64 v[174:175], v[2:3], v[36:37]
	v_mul_f64 v[36:37], v[4:5], v[36:37]
	s_waitcnt vmcnt(8) lgkmcnt(0)
	v_mul_f64 v[168:169], v[42:43], v[158:159]
	v_mul_f64 v[158:159], v[44:45], v[158:159]
	v_add_f64 v[164:165], v[164:165], v[172:173]
	v_add_f64 v[166:167], v[166:167], v[170:171]
	v_fma_f64 v[170:171], v[4:5], v[34:35], v[174:175]
	v_fma_f64 v[172:173], v[2:3], v[34:35], -v[36:37]
	ds_load_b128 v[2:5], v1 offset:992
	ds_load_b128 v[34:37], v1 offset:1008
	v_fma_f64 v[44:45], v[44:45], v[156:157], v[168:169]
	v_fma_f64 v[42:43], v[42:43], v[156:157], -v[158:159]
	v_add_f64 v[160:161], v[164:165], v[160:161]
	v_add_f64 v[162:163], v[166:167], v[162:163]
	s_waitcnt vmcnt(7) lgkmcnt(1)
	v_mul_f64 v[164:165], v[2:3], v[40:41]
	v_mul_f64 v[40:41], v[4:5], v[40:41]
	s_delay_alu instid0(VALU_DEP_4) | instskip(NEXT) | instid1(VALU_DEP_4)
	v_add_f64 v[156:157], v[160:161], v[172:173]
	v_add_f64 v[158:159], v[162:163], v[170:171]
	s_waitcnt vmcnt(6) lgkmcnt(0)
	v_mul_f64 v[160:161], v[34:35], v[8:9]
	v_mul_f64 v[8:9], v[36:37], v[8:9]
	v_fma_f64 v[162:163], v[4:5], v[38:39], v[164:165]
	v_fma_f64 v[164:165], v[2:3], v[38:39], -v[40:41]
	ds_load_b128 v[2:5], v1 offset:1024
	ds_load_b128 v[38:41], v1 offset:1040
	v_add_f64 v[42:43], v[156:157], v[42:43]
	v_add_f64 v[44:45], v[158:159], v[44:45]
	v_fma_f64 v[36:37], v[36:37], v[6:7], v[160:161]
	s_waitcnt vmcnt(5) lgkmcnt(1)
	v_mul_f64 v[156:157], v[2:3], v[12:13]
	v_mul_f64 v[12:13], v[4:5], v[12:13]
	v_fma_f64 v[6:7], v[34:35], v[6:7], -v[8:9]
	v_add_f64 v[8:9], v[42:43], v[164:165]
	v_add_f64 v[34:35], v[44:45], v[162:163]
	s_waitcnt vmcnt(4) lgkmcnt(0)
	v_mul_f64 v[42:43], v[38:39], v[16:17]
	v_mul_f64 v[16:17], v[40:41], v[16:17]
	v_fma_f64 v[44:45], v[4:5], v[10:11], v[156:157]
	v_fma_f64 v[10:11], v[2:3], v[10:11], -v[12:13]
	v_add_f64 v[12:13], v[8:9], v[6:7]
	v_add_f64 v[34:35], v[34:35], v[36:37]
	ds_load_b128 v[2:5], v1 offset:1056
	ds_load_b128 v[6:9], v1 offset:1072
	v_fma_f64 v[40:41], v[40:41], v[14:15], v[42:43]
	v_fma_f64 v[14:15], v[38:39], v[14:15], -v[16:17]
	s_waitcnt vmcnt(3) lgkmcnt(1)
	v_mul_f64 v[36:37], v[2:3], v[20:21]
	v_mul_f64 v[20:21], v[4:5], v[20:21]
	s_waitcnt vmcnt(2) lgkmcnt(0)
	v_mul_f64 v[16:17], v[6:7], v[24:25]
	v_mul_f64 v[24:25], v[8:9], v[24:25]
	v_add_f64 v[10:11], v[12:13], v[10:11]
	v_add_f64 v[12:13], v[34:35], v[44:45]
	v_fma_f64 v[34:35], v[4:5], v[18:19], v[36:37]
	v_fma_f64 v[18:19], v[2:3], v[18:19], -v[20:21]
	v_fma_f64 v[8:9], v[8:9], v[22:23], v[16:17]
	v_fma_f64 v[6:7], v[6:7], v[22:23], -v[24:25]
	v_add_f64 v[14:15], v[10:11], v[14:15]
	v_add_f64 v[20:21], v[12:13], v[40:41]
	ds_load_b128 v[2:5], v1 offset:1088
	ds_load_b128 v[10:13], v1 offset:1104
	s_waitcnt vmcnt(1) lgkmcnt(1)
	v_mul_f64 v[36:37], v[2:3], v[28:29]
	v_mul_f64 v[28:29], v[4:5], v[28:29]
	v_add_f64 v[14:15], v[14:15], v[18:19]
	v_add_f64 v[16:17], v[20:21], v[34:35]
	s_waitcnt vmcnt(0) lgkmcnt(0)
	v_mul_f64 v[18:19], v[10:11], v[32:33]
	v_mul_f64 v[20:21], v[12:13], v[32:33]
	v_fma_f64 v[4:5], v[4:5], v[26:27], v[36:37]
	v_fma_f64 v[1:2], v[2:3], v[26:27], -v[28:29]
	v_add_f64 v[6:7], v[14:15], v[6:7]
	v_add_f64 v[8:9], v[16:17], v[8:9]
	v_fma_f64 v[12:13], v[12:13], v[30:31], v[18:19]
	v_fma_f64 v[10:11], v[10:11], v[30:31], -v[20:21]
	s_delay_alu instid0(VALU_DEP_4) | instskip(NEXT) | instid1(VALU_DEP_4)
	v_add_f64 v[1:2], v[6:7], v[1:2]
	v_add_f64 v[3:4], v[8:9], v[4:5]
	s_delay_alu instid0(VALU_DEP_2) | instskip(NEXT) | instid1(VALU_DEP_2)
	v_add_f64 v[1:2], v[1:2], v[10:11]
	v_add_f64 v[3:4], v[3:4], v[12:13]
	s_delay_alu instid0(VALU_DEP_2) | instskip(NEXT) | instid1(VALU_DEP_2)
	v_add_f64 v[1:2], v[152:153], -v[1:2]
	v_add_f64 v[3:4], v[154:155], -v[3:4]
	scratch_store_b128 off, v[1:4], off offset:256
	v_cmpx_lt_u32_e32 15, v116
	s_cbranch_execz .LBB98_193
; %bb.192:
	scratch_load_b128 v[1:4], v128, off
	v_mov_b32_e32 v5, 0
	s_delay_alu instid0(VALU_DEP_1)
	v_mov_b32_e32 v6, v5
	v_mov_b32_e32 v7, v5
	;; [unrolled: 1-line block ×3, first 2 shown]
	scratch_store_b128 off, v[5:8], off offset:240
	s_waitcnt vmcnt(0)
	ds_store_b128 v151, v[1:4]
.LBB98_193:
	s_or_b32 exec_lo, exec_lo, s2
	s_waitcnt lgkmcnt(0)
	s_waitcnt_vscnt null, 0x0
	s_barrier
	buffer_gl0_inv
	s_clause 0x7
	scratch_load_b128 v[2:5], off, off offset:256
	scratch_load_b128 v[6:9], off, off offset:272
	;; [unrolled: 1-line block ×8, first 2 shown]
	v_mov_b32_e32 v1, 0
	s_mov_b32 s2, exec_lo
	ds_load_b128 v[34:37], v1 offset:816
	s_clause 0x1
	scratch_load_b128 v[38:41], off, off offset:384
	scratch_load_b128 v[42:45], off, off offset:240
	ds_load_b128 v[152:155], v1 offset:832
	scratch_load_b128 v[156:159], off, off offset:400
	s_waitcnt vmcnt(10) lgkmcnt(1)
	v_mul_f64 v[160:161], v[36:37], v[4:5]
	v_mul_f64 v[4:5], v[34:35], v[4:5]
	s_delay_alu instid0(VALU_DEP_2) | instskip(NEXT) | instid1(VALU_DEP_2)
	v_fma_f64 v[166:167], v[34:35], v[2:3], -v[160:161]
	v_fma_f64 v[168:169], v[36:37], v[2:3], v[4:5]
	scratch_load_b128 v[34:37], off, off offset:416
	ds_load_b128 v[2:5], v1 offset:848
	s_waitcnt vmcnt(10) lgkmcnt(1)
	v_mul_f64 v[164:165], v[152:153], v[8:9]
	v_mul_f64 v[8:9], v[154:155], v[8:9]
	ds_load_b128 v[160:163], v1 offset:864
	s_waitcnt vmcnt(9) lgkmcnt(1)
	v_mul_f64 v[170:171], v[2:3], v[12:13]
	v_mul_f64 v[12:13], v[4:5], v[12:13]
	v_fma_f64 v[154:155], v[154:155], v[6:7], v[164:165]
	v_fma_f64 v[152:153], v[152:153], v[6:7], -v[8:9]
	v_add_f64 v[164:165], v[166:167], 0
	v_add_f64 v[166:167], v[168:169], 0
	scratch_load_b128 v[6:9], off, off offset:432
	v_fma_f64 v[170:171], v[4:5], v[10:11], v[170:171]
	v_fma_f64 v[172:173], v[2:3], v[10:11], -v[12:13]
	scratch_load_b128 v[10:13], off, off offset:448
	ds_load_b128 v[2:5], v1 offset:880
	s_waitcnt vmcnt(10) lgkmcnt(1)
	v_mul_f64 v[168:169], v[160:161], v[16:17]
	v_mul_f64 v[16:17], v[162:163], v[16:17]
	v_add_f64 v[164:165], v[164:165], v[152:153]
	v_add_f64 v[166:167], v[166:167], v[154:155]
	s_waitcnt vmcnt(9) lgkmcnt(0)
	v_mul_f64 v[174:175], v[2:3], v[20:21]
	v_mul_f64 v[20:21], v[4:5], v[20:21]
	ds_load_b128 v[152:155], v1 offset:896
	v_fma_f64 v[162:163], v[162:163], v[14:15], v[168:169]
	v_fma_f64 v[160:161], v[160:161], v[14:15], -v[16:17]
	scratch_load_b128 v[14:17], off, off offset:464
	v_add_f64 v[164:165], v[164:165], v[172:173]
	v_add_f64 v[166:167], v[166:167], v[170:171]
	v_fma_f64 v[170:171], v[4:5], v[18:19], v[174:175]
	v_fma_f64 v[172:173], v[2:3], v[18:19], -v[20:21]
	scratch_load_b128 v[18:21], off, off offset:480
	ds_load_b128 v[2:5], v1 offset:912
	s_waitcnt vmcnt(10) lgkmcnt(1)
	v_mul_f64 v[168:169], v[152:153], v[24:25]
	v_mul_f64 v[24:25], v[154:155], v[24:25]
	s_waitcnt vmcnt(9) lgkmcnt(0)
	v_mul_f64 v[174:175], v[2:3], v[28:29]
	v_mul_f64 v[28:29], v[4:5], v[28:29]
	v_add_f64 v[164:165], v[164:165], v[160:161]
	v_add_f64 v[166:167], v[166:167], v[162:163]
	ds_load_b128 v[160:163], v1 offset:928
	v_fma_f64 v[154:155], v[154:155], v[22:23], v[168:169]
	v_fma_f64 v[152:153], v[152:153], v[22:23], -v[24:25]
	scratch_load_b128 v[22:25], off, off offset:496
	v_add_f64 v[164:165], v[164:165], v[172:173]
	v_add_f64 v[166:167], v[166:167], v[170:171]
	v_fma_f64 v[170:171], v[4:5], v[26:27], v[174:175]
	v_fma_f64 v[172:173], v[2:3], v[26:27], -v[28:29]
	scratch_load_b128 v[26:29], off, off offset:512
	ds_load_b128 v[2:5], v1 offset:944
	s_waitcnt vmcnt(10) lgkmcnt(1)
	v_mul_f64 v[168:169], v[160:161], v[32:33]
	v_mul_f64 v[32:33], v[162:163], v[32:33]
	s_waitcnt vmcnt(9) lgkmcnt(0)
	v_mul_f64 v[174:175], v[2:3], v[40:41]
	v_mul_f64 v[40:41], v[4:5], v[40:41]
	v_add_f64 v[164:165], v[164:165], v[152:153]
	v_add_f64 v[166:167], v[166:167], v[154:155]
	ds_load_b128 v[152:155], v1 offset:960
	v_fma_f64 v[162:163], v[162:163], v[30:31], v[168:169]
	v_fma_f64 v[160:161], v[160:161], v[30:31], -v[32:33]
	scratch_load_b128 v[30:33], off, off offset:528
	v_add_f64 v[164:165], v[164:165], v[172:173]
	v_add_f64 v[166:167], v[166:167], v[170:171]
	v_fma_f64 v[172:173], v[4:5], v[38:39], v[174:175]
	v_fma_f64 v[174:175], v[2:3], v[38:39], -v[40:41]
	scratch_load_b128 v[38:41], off, off offset:544
	ds_load_b128 v[2:5], v1 offset:976
	s_waitcnt vmcnt(9) lgkmcnt(1)
	v_mul_f64 v[168:169], v[152:153], v[158:159]
	v_mul_f64 v[170:171], v[154:155], v[158:159]
	v_add_f64 v[164:165], v[164:165], v[160:161]
	v_add_f64 v[162:163], v[166:167], v[162:163]
	ds_load_b128 v[158:161], v1 offset:992
	v_fma_f64 v[154:155], v[154:155], v[156:157], v[168:169]
	v_fma_f64 v[152:153], v[152:153], v[156:157], -v[170:171]
	s_waitcnt vmcnt(8) lgkmcnt(1)
	v_mul_f64 v[166:167], v[2:3], v[36:37]
	v_mul_f64 v[36:37], v[4:5], v[36:37]
	v_add_f64 v[156:157], v[164:165], v[174:175]
	v_add_f64 v[162:163], v[162:163], v[172:173]
	s_delay_alu instid0(VALU_DEP_4) | instskip(NEXT) | instid1(VALU_DEP_4)
	v_fma_f64 v[166:167], v[4:5], v[34:35], v[166:167]
	v_fma_f64 v[168:169], v[2:3], v[34:35], -v[36:37]
	ds_load_b128 v[2:5], v1 offset:1008
	ds_load_b128 v[34:37], v1 offset:1024
	s_waitcnt vmcnt(7) lgkmcnt(2)
	v_mul_f64 v[164:165], v[158:159], v[8:9]
	v_mul_f64 v[8:9], v[160:161], v[8:9]
	v_add_f64 v[152:153], v[156:157], v[152:153]
	v_add_f64 v[154:155], v[162:163], v[154:155]
	s_waitcnt vmcnt(6) lgkmcnt(1)
	v_mul_f64 v[156:157], v[2:3], v[12:13]
	v_mul_f64 v[12:13], v[4:5], v[12:13]
	v_fma_f64 v[160:161], v[160:161], v[6:7], v[164:165]
	v_fma_f64 v[6:7], v[158:159], v[6:7], -v[8:9]
	v_add_f64 v[8:9], v[152:153], v[168:169]
	v_add_f64 v[152:153], v[154:155], v[166:167]
	s_waitcnt vmcnt(5) lgkmcnt(0)
	v_mul_f64 v[154:155], v[34:35], v[16:17]
	v_mul_f64 v[16:17], v[36:37], v[16:17]
	v_fma_f64 v[156:157], v[4:5], v[10:11], v[156:157]
	v_fma_f64 v[10:11], v[2:3], v[10:11], -v[12:13]
	v_add_f64 v[12:13], v[8:9], v[6:7]
	v_add_f64 v[152:153], v[152:153], v[160:161]
	ds_load_b128 v[2:5], v1 offset:1040
	ds_load_b128 v[6:9], v1 offset:1056
	v_fma_f64 v[36:37], v[36:37], v[14:15], v[154:155]
	v_fma_f64 v[14:15], v[34:35], v[14:15], -v[16:17]
	s_waitcnt vmcnt(4) lgkmcnt(1)
	v_mul_f64 v[158:159], v[2:3], v[20:21]
	v_mul_f64 v[20:21], v[4:5], v[20:21]
	s_waitcnt vmcnt(3) lgkmcnt(0)
	v_mul_f64 v[16:17], v[6:7], v[24:25]
	v_mul_f64 v[24:25], v[8:9], v[24:25]
	v_add_f64 v[10:11], v[12:13], v[10:11]
	v_add_f64 v[12:13], v[152:153], v[156:157]
	v_fma_f64 v[34:35], v[4:5], v[18:19], v[158:159]
	v_fma_f64 v[18:19], v[2:3], v[18:19], -v[20:21]
	v_fma_f64 v[8:9], v[8:9], v[22:23], v[16:17]
	v_fma_f64 v[6:7], v[6:7], v[22:23], -v[24:25]
	v_add_f64 v[14:15], v[10:11], v[14:15]
	v_add_f64 v[20:21], v[12:13], v[36:37]
	ds_load_b128 v[2:5], v1 offset:1072
	ds_load_b128 v[10:13], v1 offset:1088
	s_waitcnt vmcnt(2) lgkmcnt(1)
	v_mul_f64 v[36:37], v[2:3], v[28:29]
	v_mul_f64 v[28:29], v[4:5], v[28:29]
	v_add_f64 v[14:15], v[14:15], v[18:19]
	v_add_f64 v[16:17], v[20:21], v[34:35]
	s_waitcnt vmcnt(1) lgkmcnt(0)
	v_mul_f64 v[18:19], v[10:11], v[32:33]
	v_mul_f64 v[20:21], v[12:13], v[32:33]
	v_fma_f64 v[22:23], v[4:5], v[26:27], v[36:37]
	v_fma_f64 v[24:25], v[2:3], v[26:27], -v[28:29]
	ds_load_b128 v[2:5], v1 offset:1104
	v_add_f64 v[6:7], v[14:15], v[6:7]
	v_add_f64 v[8:9], v[16:17], v[8:9]
	v_fma_f64 v[12:13], v[12:13], v[30:31], v[18:19]
	v_fma_f64 v[10:11], v[10:11], v[30:31], -v[20:21]
	s_waitcnt vmcnt(0) lgkmcnt(0)
	v_mul_f64 v[14:15], v[2:3], v[40:41]
	v_mul_f64 v[16:17], v[4:5], v[40:41]
	v_add_f64 v[6:7], v[6:7], v[24:25]
	v_add_f64 v[8:9], v[8:9], v[22:23]
	s_delay_alu instid0(VALU_DEP_4) | instskip(NEXT) | instid1(VALU_DEP_4)
	v_fma_f64 v[4:5], v[4:5], v[38:39], v[14:15]
	v_fma_f64 v[2:3], v[2:3], v[38:39], -v[16:17]
	s_delay_alu instid0(VALU_DEP_4) | instskip(NEXT) | instid1(VALU_DEP_4)
	v_add_f64 v[6:7], v[6:7], v[10:11]
	v_add_f64 v[8:9], v[8:9], v[12:13]
	s_delay_alu instid0(VALU_DEP_2) | instskip(NEXT) | instid1(VALU_DEP_2)
	v_add_f64 v[2:3], v[6:7], v[2:3]
	v_add_f64 v[4:5], v[8:9], v[4:5]
	s_delay_alu instid0(VALU_DEP_2) | instskip(NEXT) | instid1(VALU_DEP_2)
	v_add_f64 v[2:3], v[42:43], -v[2:3]
	v_add_f64 v[4:5], v[44:45], -v[4:5]
	scratch_store_b128 off, v[2:5], off offset:240
	v_cmpx_lt_u32_e32 14, v116
	s_cbranch_execz .LBB98_195
; %bb.194:
	scratch_load_b128 v[5:8], v130, off
	v_mov_b32_e32 v2, v1
	v_mov_b32_e32 v3, v1
	;; [unrolled: 1-line block ×3, first 2 shown]
	scratch_store_b128 off, v[1:4], off offset:224
	s_waitcnt vmcnt(0)
	ds_store_b128 v151, v[5:8]
.LBB98_195:
	s_or_b32 exec_lo, exec_lo, s2
	s_waitcnt lgkmcnt(0)
	s_waitcnt_vscnt null, 0x0
	s_barrier
	buffer_gl0_inv
	s_clause 0x8
	scratch_load_b128 v[2:5], off, off offset:240
	scratch_load_b128 v[6:9], off, off offset:256
	;; [unrolled: 1-line block ×9, first 2 shown]
	ds_load_b128 v[38:41], v1 offset:800
	ds_load_b128 v[42:45], v1 offset:816
	s_clause 0x1
	scratch_load_b128 v[152:155], off, off offset:224
	scratch_load_b128 v[156:159], off, off offset:384
	s_mov_b32 s2, exec_lo
	s_waitcnt vmcnt(10) lgkmcnt(1)
	v_mul_f64 v[160:161], v[40:41], v[4:5]
	v_mul_f64 v[4:5], v[38:39], v[4:5]
	s_waitcnt vmcnt(9) lgkmcnt(0)
	v_mul_f64 v[164:165], v[42:43], v[8:9]
	v_mul_f64 v[8:9], v[44:45], v[8:9]
	s_delay_alu instid0(VALU_DEP_4) | instskip(NEXT) | instid1(VALU_DEP_4)
	v_fma_f64 v[166:167], v[38:39], v[2:3], -v[160:161]
	v_fma_f64 v[168:169], v[40:41], v[2:3], v[4:5]
	ds_load_b128 v[2:5], v1 offset:832
	ds_load_b128 v[160:163], v1 offset:848
	scratch_load_b128 v[38:41], off, off offset:400
	v_fma_f64 v[44:45], v[44:45], v[6:7], v[164:165]
	v_fma_f64 v[42:43], v[42:43], v[6:7], -v[8:9]
	scratch_load_b128 v[6:9], off, off offset:416
	s_waitcnt vmcnt(10) lgkmcnt(1)
	v_mul_f64 v[170:171], v[2:3], v[12:13]
	v_mul_f64 v[12:13], v[4:5], v[12:13]
	v_add_f64 v[164:165], v[166:167], 0
	v_add_f64 v[166:167], v[168:169], 0
	s_waitcnt vmcnt(9) lgkmcnt(0)
	v_mul_f64 v[168:169], v[160:161], v[16:17]
	v_mul_f64 v[16:17], v[162:163], v[16:17]
	v_fma_f64 v[170:171], v[4:5], v[10:11], v[170:171]
	v_fma_f64 v[172:173], v[2:3], v[10:11], -v[12:13]
	ds_load_b128 v[2:5], v1 offset:864
	scratch_load_b128 v[10:13], off, off offset:432
	v_add_f64 v[164:165], v[164:165], v[42:43]
	v_add_f64 v[166:167], v[166:167], v[44:45]
	ds_load_b128 v[42:45], v1 offset:880
	v_fma_f64 v[162:163], v[162:163], v[14:15], v[168:169]
	v_fma_f64 v[160:161], v[160:161], v[14:15], -v[16:17]
	scratch_load_b128 v[14:17], off, off offset:448
	s_waitcnt vmcnt(10) lgkmcnt(1)
	v_mul_f64 v[174:175], v[2:3], v[20:21]
	v_mul_f64 v[20:21], v[4:5], v[20:21]
	s_waitcnt vmcnt(9) lgkmcnt(0)
	v_mul_f64 v[168:169], v[42:43], v[24:25]
	v_mul_f64 v[24:25], v[44:45], v[24:25]
	v_add_f64 v[164:165], v[164:165], v[172:173]
	v_add_f64 v[166:167], v[166:167], v[170:171]
	v_fma_f64 v[170:171], v[4:5], v[18:19], v[174:175]
	v_fma_f64 v[172:173], v[2:3], v[18:19], -v[20:21]
	ds_load_b128 v[2:5], v1 offset:896
	scratch_load_b128 v[18:21], off, off offset:464
	v_fma_f64 v[44:45], v[44:45], v[22:23], v[168:169]
	v_fma_f64 v[42:43], v[42:43], v[22:23], -v[24:25]
	scratch_load_b128 v[22:25], off, off offset:480
	v_add_f64 v[164:165], v[164:165], v[160:161]
	v_add_f64 v[166:167], v[166:167], v[162:163]
	ds_load_b128 v[160:163], v1 offset:912
	s_waitcnt vmcnt(10) lgkmcnt(1)
	v_mul_f64 v[174:175], v[2:3], v[28:29]
	v_mul_f64 v[28:29], v[4:5], v[28:29]
	s_waitcnt vmcnt(9) lgkmcnt(0)
	v_mul_f64 v[168:169], v[160:161], v[32:33]
	v_mul_f64 v[32:33], v[162:163], v[32:33]
	v_add_f64 v[164:165], v[164:165], v[172:173]
	v_add_f64 v[166:167], v[166:167], v[170:171]
	v_fma_f64 v[170:171], v[4:5], v[26:27], v[174:175]
	v_fma_f64 v[172:173], v[2:3], v[26:27], -v[28:29]
	ds_load_b128 v[2:5], v1 offset:928
	scratch_load_b128 v[26:29], off, off offset:496
	v_fma_f64 v[162:163], v[162:163], v[30:31], v[168:169]
	v_fma_f64 v[160:161], v[160:161], v[30:31], -v[32:33]
	scratch_load_b128 v[30:33], off, off offset:512
	v_add_f64 v[164:165], v[164:165], v[42:43]
	v_add_f64 v[166:167], v[166:167], v[44:45]
	ds_load_b128 v[42:45], v1 offset:944
	s_waitcnt vmcnt(10) lgkmcnt(1)
	v_mul_f64 v[174:175], v[2:3], v[36:37]
	v_mul_f64 v[36:37], v[4:5], v[36:37]
	s_waitcnt vmcnt(8) lgkmcnt(0)
	v_mul_f64 v[168:169], v[42:43], v[158:159]
	v_add_f64 v[164:165], v[164:165], v[172:173]
	v_add_f64 v[166:167], v[166:167], v[170:171]
	v_mul_f64 v[170:171], v[44:45], v[158:159]
	v_fma_f64 v[172:173], v[4:5], v[34:35], v[174:175]
	v_fma_f64 v[174:175], v[2:3], v[34:35], -v[36:37]
	ds_load_b128 v[2:5], v1 offset:960
	scratch_load_b128 v[34:37], off, off offset:528
	v_fma_f64 v[44:45], v[44:45], v[156:157], v[168:169]
	v_add_f64 v[164:165], v[164:165], v[160:161]
	v_add_f64 v[162:163], v[166:167], v[162:163]
	ds_load_b128 v[158:161], v1 offset:976
	v_fma_f64 v[156:157], v[42:43], v[156:157], -v[170:171]
	s_waitcnt vmcnt(8) lgkmcnt(1)
	v_mul_f64 v[166:167], v[2:3], v[40:41]
	v_mul_f64 v[176:177], v[4:5], v[40:41]
	scratch_load_b128 v[40:43], off, off offset:544
	s_waitcnt vmcnt(8) lgkmcnt(0)
	v_mul_f64 v[168:169], v[158:159], v[8:9]
	v_mul_f64 v[8:9], v[160:161], v[8:9]
	v_add_f64 v[164:165], v[164:165], v[174:175]
	v_add_f64 v[162:163], v[162:163], v[172:173]
	v_fma_f64 v[166:167], v[4:5], v[38:39], v[166:167]
	v_fma_f64 v[38:39], v[2:3], v[38:39], -v[176:177]
	v_fma_f64 v[160:161], v[160:161], v[6:7], v[168:169]
	v_fma_f64 v[6:7], v[158:159], v[6:7], -v[8:9]
	v_add_f64 v[156:157], v[164:165], v[156:157]
	v_add_f64 v[44:45], v[162:163], v[44:45]
	ds_load_b128 v[2:5], v1 offset:992
	ds_load_b128 v[162:165], v1 offset:1008
	s_waitcnt vmcnt(7) lgkmcnt(1)
	v_mul_f64 v[170:171], v[2:3], v[12:13]
	v_mul_f64 v[12:13], v[4:5], v[12:13]
	v_add_f64 v[8:9], v[156:157], v[38:39]
	v_add_f64 v[38:39], v[44:45], v[166:167]
	s_waitcnt vmcnt(6) lgkmcnt(0)
	v_mul_f64 v[44:45], v[162:163], v[16:17]
	v_mul_f64 v[16:17], v[164:165], v[16:17]
	v_fma_f64 v[156:157], v[4:5], v[10:11], v[170:171]
	v_fma_f64 v[10:11], v[2:3], v[10:11], -v[12:13]
	v_add_f64 v[12:13], v[8:9], v[6:7]
	v_add_f64 v[38:39], v[38:39], v[160:161]
	ds_load_b128 v[2:5], v1 offset:1024
	ds_load_b128 v[6:9], v1 offset:1040
	v_fma_f64 v[44:45], v[164:165], v[14:15], v[44:45]
	v_fma_f64 v[14:15], v[162:163], v[14:15], -v[16:17]
	s_waitcnt vmcnt(5) lgkmcnt(1)
	v_mul_f64 v[158:159], v[2:3], v[20:21]
	v_mul_f64 v[20:21], v[4:5], v[20:21]
	s_waitcnt vmcnt(4) lgkmcnt(0)
	v_mul_f64 v[16:17], v[6:7], v[24:25]
	v_mul_f64 v[24:25], v[8:9], v[24:25]
	v_add_f64 v[10:11], v[12:13], v[10:11]
	v_add_f64 v[12:13], v[38:39], v[156:157]
	v_fma_f64 v[38:39], v[4:5], v[18:19], v[158:159]
	v_fma_f64 v[18:19], v[2:3], v[18:19], -v[20:21]
	v_fma_f64 v[8:9], v[8:9], v[22:23], v[16:17]
	v_fma_f64 v[6:7], v[6:7], v[22:23], -v[24:25]
	v_add_f64 v[14:15], v[10:11], v[14:15]
	v_add_f64 v[20:21], v[12:13], v[44:45]
	ds_load_b128 v[2:5], v1 offset:1056
	ds_load_b128 v[10:13], v1 offset:1072
	s_waitcnt vmcnt(3) lgkmcnt(1)
	v_mul_f64 v[44:45], v[2:3], v[28:29]
	v_mul_f64 v[28:29], v[4:5], v[28:29]
	v_add_f64 v[14:15], v[14:15], v[18:19]
	v_add_f64 v[16:17], v[20:21], v[38:39]
	s_waitcnt vmcnt(2) lgkmcnt(0)
	v_mul_f64 v[18:19], v[10:11], v[32:33]
	v_mul_f64 v[20:21], v[12:13], v[32:33]
	v_fma_f64 v[22:23], v[4:5], v[26:27], v[44:45]
	v_fma_f64 v[24:25], v[2:3], v[26:27], -v[28:29]
	v_add_f64 v[14:15], v[14:15], v[6:7]
	v_add_f64 v[16:17], v[16:17], v[8:9]
	ds_load_b128 v[2:5], v1 offset:1088
	ds_load_b128 v[6:9], v1 offset:1104
	v_fma_f64 v[12:13], v[12:13], v[30:31], v[18:19]
	v_fma_f64 v[10:11], v[10:11], v[30:31], -v[20:21]
	s_waitcnt vmcnt(1) lgkmcnt(1)
	v_mul_f64 v[26:27], v[2:3], v[36:37]
	v_mul_f64 v[28:29], v[4:5], v[36:37]
	s_waitcnt vmcnt(0) lgkmcnt(0)
	v_mul_f64 v[18:19], v[6:7], v[42:43]
	v_add_f64 v[14:15], v[14:15], v[24:25]
	v_add_f64 v[16:17], v[16:17], v[22:23]
	v_mul_f64 v[20:21], v[8:9], v[42:43]
	v_fma_f64 v[4:5], v[4:5], v[34:35], v[26:27]
	v_fma_f64 v[1:2], v[2:3], v[34:35], -v[28:29]
	v_fma_f64 v[8:9], v[8:9], v[40:41], v[18:19]
	v_add_f64 v[10:11], v[14:15], v[10:11]
	v_add_f64 v[12:13], v[16:17], v[12:13]
	v_fma_f64 v[6:7], v[6:7], v[40:41], -v[20:21]
	s_delay_alu instid0(VALU_DEP_3) | instskip(NEXT) | instid1(VALU_DEP_3)
	v_add_f64 v[1:2], v[10:11], v[1:2]
	v_add_f64 v[3:4], v[12:13], v[4:5]
	s_delay_alu instid0(VALU_DEP_2) | instskip(NEXT) | instid1(VALU_DEP_2)
	v_add_f64 v[1:2], v[1:2], v[6:7]
	v_add_f64 v[3:4], v[3:4], v[8:9]
	s_delay_alu instid0(VALU_DEP_2) | instskip(NEXT) | instid1(VALU_DEP_2)
	v_add_f64 v[1:2], v[152:153], -v[1:2]
	v_add_f64 v[3:4], v[154:155], -v[3:4]
	scratch_store_b128 off, v[1:4], off offset:224
	v_cmpx_lt_u32_e32 13, v116
	s_cbranch_execz .LBB98_197
; %bb.196:
	scratch_load_b128 v[1:4], v133, off
	v_mov_b32_e32 v5, 0
	s_delay_alu instid0(VALU_DEP_1)
	v_mov_b32_e32 v6, v5
	v_mov_b32_e32 v7, v5
	v_mov_b32_e32 v8, v5
	scratch_store_b128 off, v[5:8], off offset:208
	s_waitcnt vmcnt(0)
	ds_store_b128 v151, v[1:4]
.LBB98_197:
	s_or_b32 exec_lo, exec_lo, s2
	s_waitcnt lgkmcnt(0)
	s_waitcnt_vscnt null, 0x0
	s_barrier
	buffer_gl0_inv
	s_clause 0x7
	scratch_load_b128 v[2:5], off, off offset:224
	scratch_load_b128 v[6:9], off, off offset:240
	;; [unrolled: 1-line block ×8, first 2 shown]
	v_mov_b32_e32 v1, 0
	s_mov_b32 s2, exec_lo
	ds_load_b128 v[34:37], v1 offset:784
	s_clause 0x1
	scratch_load_b128 v[38:41], off, off offset:352
	scratch_load_b128 v[42:45], off, off offset:208
	ds_load_b128 v[152:155], v1 offset:800
	scratch_load_b128 v[156:159], off, off offset:368
	s_waitcnt vmcnt(10) lgkmcnt(1)
	v_mul_f64 v[160:161], v[36:37], v[4:5]
	v_mul_f64 v[4:5], v[34:35], v[4:5]
	s_delay_alu instid0(VALU_DEP_2) | instskip(NEXT) | instid1(VALU_DEP_2)
	v_fma_f64 v[166:167], v[34:35], v[2:3], -v[160:161]
	v_fma_f64 v[168:169], v[36:37], v[2:3], v[4:5]
	scratch_load_b128 v[34:37], off, off offset:384
	ds_load_b128 v[2:5], v1 offset:816
	s_waitcnt vmcnt(10) lgkmcnt(1)
	v_mul_f64 v[164:165], v[152:153], v[8:9]
	v_mul_f64 v[8:9], v[154:155], v[8:9]
	ds_load_b128 v[160:163], v1 offset:832
	s_waitcnt vmcnt(9) lgkmcnt(1)
	v_mul_f64 v[170:171], v[2:3], v[12:13]
	v_mul_f64 v[12:13], v[4:5], v[12:13]
	v_fma_f64 v[154:155], v[154:155], v[6:7], v[164:165]
	v_fma_f64 v[152:153], v[152:153], v[6:7], -v[8:9]
	v_add_f64 v[164:165], v[166:167], 0
	v_add_f64 v[166:167], v[168:169], 0
	scratch_load_b128 v[6:9], off, off offset:400
	v_fma_f64 v[170:171], v[4:5], v[10:11], v[170:171]
	v_fma_f64 v[172:173], v[2:3], v[10:11], -v[12:13]
	scratch_load_b128 v[10:13], off, off offset:416
	ds_load_b128 v[2:5], v1 offset:848
	s_waitcnt vmcnt(10) lgkmcnt(1)
	v_mul_f64 v[168:169], v[160:161], v[16:17]
	v_mul_f64 v[16:17], v[162:163], v[16:17]
	v_add_f64 v[164:165], v[164:165], v[152:153]
	v_add_f64 v[166:167], v[166:167], v[154:155]
	s_waitcnt vmcnt(9) lgkmcnt(0)
	v_mul_f64 v[174:175], v[2:3], v[20:21]
	v_mul_f64 v[20:21], v[4:5], v[20:21]
	ds_load_b128 v[152:155], v1 offset:864
	v_fma_f64 v[162:163], v[162:163], v[14:15], v[168:169]
	v_fma_f64 v[160:161], v[160:161], v[14:15], -v[16:17]
	scratch_load_b128 v[14:17], off, off offset:432
	v_add_f64 v[164:165], v[164:165], v[172:173]
	v_add_f64 v[166:167], v[166:167], v[170:171]
	v_fma_f64 v[170:171], v[4:5], v[18:19], v[174:175]
	v_fma_f64 v[172:173], v[2:3], v[18:19], -v[20:21]
	scratch_load_b128 v[18:21], off, off offset:448
	ds_load_b128 v[2:5], v1 offset:880
	s_waitcnt vmcnt(10) lgkmcnt(1)
	v_mul_f64 v[168:169], v[152:153], v[24:25]
	v_mul_f64 v[24:25], v[154:155], v[24:25]
	s_waitcnt vmcnt(9) lgkmcnt(0)
	v_mul_f64 v[174:175], v[2:3], v[28:29]
	v_mul_f64 v[28:29], v[4:5], v[28:29]
	v_add_f64 v[164:165], v[164:165], v[160:161]
	v_add_f64 v[166:167], v[166:167], v[162:163]
	ds_load_b128 v[160:163], v1 offset:896
	v_fma_f64 v[154:155], v[154:155], v[22:23], v[168:169]
	v_fma_f64 v[152:153], v[152:153], v[22:23], -v[24:25]
	scratch_load_b128 v[22:25], off, off offset:464
	v_add_f64 v[164:165], v[164:165], v[172:173]
	v_add_f64 v[166:167], v[166:167], v[170:171]
	v_fma_f64 v[170:171], v[4:5], v[26:27], v[174:175]
	v_fma_f64 v[172:173], v[2:3], v[26:27], -v[28:29]
	scratch_load_b128 v[26:29], off, off offset:480
	ds_load_b128 v[2:5], v1 offset:912
	s_waitcnt vmcnt(10) lgkmcnt(1)
	v_mul_f64 v[168:169], v[160:161], v[32:33]
	v_mul_f64 v[32:33], v[162:163], v[32:33]
	s_waitcnt vmcnt(9) lgkmcnt(0)
	v_mul_f64 v[174:175], v[2:3], v[40:41]
	v_mul_f64 v[40:41], v[4:5], v[40:41]
	v_add_f64 v[164:165], v[164:165], v[152:153]
	v_add_f64 v[166:167], v[166:167], v[154:155]
	ds_load_b128 v[152:155], v1 offset:928
	v_fma_f64 v[162:163], v[162:163], v[30:31], v[168:169]
	v_fma_f64 v[160:161], v[160:161], v[30:31], -v[32:33]
	scratch_load_b128 v[30:33], off, off offset:496
	v_add_f64 v[164:165], v[164:165], v[172:173]
	v_add_f64 v[166:167], v[166:167], v[170:171]
	v_fma_f64 v[172:173], v[4:5], v[38:39], v[174:175]
	v_fma_f64 v[174:175], v[2:3], v[38:39], -v[40:41]
	scratch_load_b128 v[38:41], off, off offset:512
	ds_load_b128 v[2:5], v1 offset:944
	s_waitcnt vmcnt(9) lgkmcnt(1)
	v_mul_f64 v[168:169], v[152:153], v[158:159]
	v_mul_f64 v[170:171], v[154:155], v[158:159]
	v_add_f64 v[164:165], v[164:165], v[160:161]
	v_add_f64 v[162:163], v[166:167], v[162:163]
	ds_load_b128 v[158:161], v1 offset:960
	v_fma_f64 v[168:169], v[154:155], v[156:157], v[168:169]
	v_fma_f64 v[156:157], v[152:153], v[156:157], -v[170:171]
	scratch_load_b128 v[152:155], off, off offset:528
	s_waitcnt vmcnt(9) lgkmcnt(1)
	v_mul_f64 v[166:167], v[2:3], v[36:37]
	v_mul_f64 v[36:37], v[4:5], v[36:37]
	v_add_f64 v[164:165], v[164:165], v[174:175]
	v_add_f64 v[162:163], v[162:163], v[172:173]
	s_delay_alu instid0(VALU_DEP_4) | instskip(NEXT) | instid1(VALU_DEP_4)
	v_fma_f64 v[166:167], v[4:5], v[34:35], v[166:167]
	v_fma_f64 v[172:173], v[2:3], v[34:35], -v[36:37]
	scratch_load_b128 v[34:37], off, off offset:544
	ds_load_b128 v[2:5], v1 offset:976
	s_waitcnt vmcnt(9) lgkmcnt(1)
	v_mul_f64 v[170:171], v[158:159], v[8:9]
	v_mul_f64 v[8:9], v[160:161], v[8:9]
	s_waitcnt vmcnt(8) lgkmcnt(0)
	v_mul_f64 v[174:175], v[2:3], v[12:13]
	v_mul_f64 v[12:13], v[4:5], v[12:13]
	v_add_f64 v[156:157], v[164:165], v[156:157]
	v_add_f64 v[168:169], v[162:163], v[168:169]
	ds_load_b128 v[162:165], v1 offset:992
	v_fma_f64 v[160:161], v[160:161], v[6:7], v[170:171]
	v_fma_f64 v[6:7], v[158:159], v[6:7], -v[8:9]
	v_add_f64 v[8:9], v[156:157], v[172:173]
	v_add_f64 v[156:157], v[168:169], v[166:167]
	s_waitcnt vmcnt(7) lgkmcnt(0)
	v_mul_f64 v[158:159], v[162:163], v[16:17]
	v_mul_f64 v[16:17], v[164:165], v[16:17]
	v_fma_f64 v[166:167], v[4:5], v[10:11], v[174:175]
	v_fma_f64 v[10:11], v[2:3], v[10:11], -v[12:13]
	v_add_f64 v[12:13], v[8:9], v[6:7]
	v_add_f64 v[156:157], v[156:157], v[160:161]
	ds_load_b128 v[2:5], v1 offset:1008
	ds_load_b128 v[6:9], v1 offset:1024
	v_fma_f64 v[158:159], v[164:165], v[14:15], v[158:159]
	v_fma_f64 v[14:15], v[162:163], v[14:15], -v[16:17]
	s_waitcnt vmcnt(6) lgkmcnt(1)
	v_mul_f64 v[160:161], v[2:3], v[20:21]
	v_mul_f64 v[20:21], v[4:5], v[20:21]
	s_waitcnt vmcnt(5) lgkmcnt(0)
	v_mul_f64 v[16:17], v[6:7], v[24:25]
	v_mul_f64 v[24:25], v[8:9], v[24:25]
	v_add_f64 v[10:11], v[12:13], v[10:11]
	v_add_f64 v[12:13], v[156:157], v[166:167]
	v_fma_f64 v[156:157], v[4:5], v[18:19], v[160:161]
	v_fma_f64 v[18:19], v[2:3], v[18:19], -v[20:21]
	v_fma_f64 v[8:9], v[8:9], v[22:23], v[16:17]
	v_fma_f64 v[6:7], v[6:7], v[22:23], -v[24:25]
	v_add_f64 v[14:15], v[10:11], v[14:15]
	v_add_f64 v[20:21], v[12:13], v[158:159]
	ds_load_b128 v[2:5], v1 offset:1040
	ds_load_b128 v[10:13], v1 offset:1056
	s_waitcnt vmcnt(4) lgkmcnt(1)
	v_mul_f64 v[158:159], v[2:3], v[28:29]
	v_mul_f64 v[28:29], v[4:5], v[28:29]
	v_add_f64 v[14:15], v[14:15], v[18:19]
	v_add_f64 v[16:17], v[20:21], v[156:157]
	s_waitcnt vmcnt(3) lgkmcnt(0)
	v_mul_f64 v[18:19], v[10:11], v[32:33]
	v_mul_f64 v[20:21], v[12:13], v[32:33]
	v_fma_f64 v[22:23], v[4:5], v[26:27], v[158:159]
	v_fma_f64 v[24:25], v[2:3], v[26:27], -v[28:29]
	v_add_f64 v[14:15], v[14:15], v[6:7]
	v_add_f64 v[16:17], v[16:17], v[8:9]
	ds_load_b128 v[2:5], v1 offset:1072
	ds_load_b128 v[6:9], v1 offset:1088
	v_fma_f64 v[12:13], v[12:13], v[30:31], v[18:19]
	v_fma_f64 v[10:11], v[10:11], v[30:31], -v[20:21]
	s_waitcnt vmcnt(2) lgkmcnt(1)
	v_mul_f64 v[26:27], v[2:3], v[40:41]
	v_mul_f64 v[28:29], v[4:5], v[40:41]
	s_waitcnt vmcnt(1) lgkmcnt(0)
	v_mul_f64 v[18:19], v[6:7], v[154:155]
	v_mul_f64 v[20:21], v[8:9], v[154:155]
	v_add_f64 v[14:15], v[14:15], v[24:25]
	v_add_f64 v[16:17], v[16:17], v[22:23]
	v_fma_f64 v[22:23], v[4:5], v[38:39], v[26:27]
	v_fma_f64 v[24:25], v[2:3], v[38:39], -v[28:29]
	ds_load_b128 v[2:5], v1 offset:1104
	v_fma_f64 v[8:9], v[8:9], v[152:153], v[18:19]
	v_fma_f64 v[6:7], v[6:7], v[152:153], -v[20:21]
	v_add_f64 v[10:11], v[14:15], v[10:11]
	v_add_f64 v[12:13], v[16:17], v[12:13]
	s_waitcnt vmcnt(0) lgkmcnt(0)
	v_mul_f64 v[14:15], v[2:3], v[36:37]
	v_mul_f64 v[16:17], v[4:5], v[36:37]
	s_delay_alu instid0(VALU_DEP_4) | instskip(NEXT) | instid1(VALU_DEP_4)
	v_add_f64 v[10:11], v[10:11], v[24:25]
	v_add_f64 v[12:13], v[12:13], v[22:23]
	s_delay_alu instid0(VALU_DEP_4) | instskip(NEXT) | instid1(VALU_DEP_4)
	v_fma_f64 v[4:5], v[4:5], v[34:35], v[14:15]
	v_fma_f64 v[2:3], v[2:3], v[34:35], -v[16:17]
	s_delay_alu instid0(VALU_DEP_4) | instskip(NEXT) | instid1(VALU_DEP_4)
	v_add_f64 v[6:7], v[10:11], v[6:7]
	v_add_f64 v[8:9], v[12:13], v[8:9]
	s_delay_alu instid0(VALU_DEP_2) | instskip(NEXT) | instid1(VALU_DEP_2)
	v_add_f64 v[2:3], v[6:7], v[2:3]
	v_add_f64 v[4:5], v[8:9], v[4:5]
	s_delay_alu instid0(VALU_DEP_2) | instskip(NEXT) | instid1(VALU_DEP_2)
	v_add_f64 v[2:3], v[42:43], -v[2:3]
	v_add_f64 v[4:5], v[44:45], -v[4:5]
	scratch_store_b128 off, v[2:5], off offset:208
	v_cmpx_lt_u32_e32 12, v116
	s_cbranch_execz .LBB98_199
; %bb.198:
	scratch_load_b128 v[5:8], v131, off
	v_mov_b32_e32 v2, v1
	v_mov_b32_e32 v3, v1
	;; [unrolled: 1-line block ×3, first 2 shown]
	scratch_store_b128 off, v[1:4], off offset:192
	s_waitcnt vmcnt(0)
	ds_store_b128 v151, v[5:8]
.LBB98_199:
	s_or_b32 exec_lo, exec_lo, s2
	s_waitcnt lgkmcnt(0)
	s_waitcnt_vscnt null, 0x0
	s_barrier
	buffer_gl0_inv
	s_clause 0x8
	scratch_load_b128 v[2:5], off, off offset:208
	scratch_load_b128 v[6:9], off, off offset:224
	;; [unrolled: 1-line block ×9, first 2 shown]
	ds_load_b128 v[38:41], v1 offset:768
	ds_load_b128 v[42:45], v1 offset:784
	s_clause 0x1
	scratch_load_b128 v[152:155], off, off offset:192
	scratch_load_b128 v[156:159], off, off offset:352
	s_mov_b32 s2, exec_lo
	s_waitcnt vmcnt(10) lgkmcnt(1)
	v_mul_f64 v[160:161], v[40:41], v[4:5]
	v_mul_f64 v[4:5], v[38:39], v[4:5]
	s_waitcnt vmcnt(9) lgkmcnt(0)
	v_mul_f64 v[164:165], v[42:43], v[8:9]
	v_mul_f64 v[8:9], v[44:45], v[8:9]
	s_delay_alu instid0(VALU_DEP_4) | instskip(NEXT) | instid1(VALU_DEP_4)
	v_fma_f64 v[166:167], v[38:39], v[2:3], -v[160:161]
	v_fma_f64 v[168:169], v[40:41], v[2:3], v[4:5]
	ds_load_b128 v[2:5], v1 offset:800
	ds_load_b128 v[160:163], v1 offset:816
	scratch_load_b128 v[38:41], off, off offset:368
	v_fma_f64 v[44:45], v[44:45], v[6:7], v[164:165]
	v_fma_f64 v[42:43], v[42:43], v[6:7], -v[8:9]
	scratch_load_b128 v[6:9], off, off offset:384
	s_waitcnt vmcnt(10) lgkmcnt(1)
	v_mul_f64 v[170:171], v[2:3], v[12:13]
	v_mul_f64 v[12:13], v[4:5], v[12:13]
	v_add_f64 v[164:165], v[166:167], 0
	v_add_f64 v[166:167], v[168:169], 0
	s_waitcnt vmcnt(9) lgkmcnt(0)
	v_mul_f64 v[168:169], v[160:161], v[16:17]
	v_mul_f64 v[16:17], v[162:163], v[16:17]
	v_fma_f64 v[170:171], v[4:5], v[10:11], v[170:171]
	v_fma_f64 v[172:173], v[2:3], v[10:11], -v[12:13]
	ds_load_b128 v[2:5], v1 offset:832
	scratch_load_b128 v[10:13], off, off offset:400
	v_add_f64 v[164:165], v[164:165], v[42:43]
	v_add_f64 v[166:167], v[166:167], v[44:45]
	ds_load_b128 v[42:45], v1 offset:848
	v_fma_f64 v[162:163], v[162:163], v[14:15], v[168:169]
	v_fma_f64 v[160:161], v[160:161], v[14:15], -v[16:17]
	scratch_load_b128 v[14:17], off, off offset:416
	s_waitcnt vmcnt(10) lgkmcnt(1)
	v_mul_f64 v[174:175], v[2:3], v[20:21]
	v_mul_f64 v[20:21], v[4:5], v[20:21]
	s_waitcnt vmcnt(9) lgkmcnt(0)
	v_mul_f64 v[168:169], v[42:43], v[24:25]
	v_mul_f64 v[24:25], v[44:45], v[24:25]
	v_add_f64 v[164:165], v[164:165], v[172:173]
	v_add_f64 v[166:167], v[166:167], v[170:171]
	v_fma_f64 v[170:171], v[4:5], v[18:19], v[174:175]
	v_fma_f64 v[172:173], v[2:3], v[18:19], -v[20:21]
	ds_load_b128 v[2:5], v1 offset:864
	scratch_load_b128 v[18:21], off, off offset:432
	v_fma_f64 v[44:45], v[44:45], v[22:23], v[168:169]
	v_fma_f64 v[42:43], v[42:43], v[22:23], -v[24:25]
	scratch_load_b128 v[22:25], off, off offset:448
	v_add_f64 v[164:165], v[164:165], v[160:161]
	v_add_f64 v[166:167], v[166:167], v[162:163]
	ds_load_b128 v[160:163], v1 offset:880
	s_waitcnt vmcnt(10) lgkmcnt(1)
	v_mul_f64 v[174:175], v[2:3], v[28:29]
	v_mul_f64 v[28:29], v[4:5], v[28:29]
	s_waitcnt vmcnt(9) lgkmcnt(0)
	v_mul_f64 v[168:169], v[160:161], v[32:33]
	v_mul_f64 v[32:33], v[162:163], v[32:33]
	v_add_f64 v[164:165], v[164:165], v[172:173]
	v_add_f64 v[166:167], v[166:167], v[170:171]
	v_fma_f64 v[170:171], v[4:5], v[26:27], v[174:175]
	v_fma_f64 v[172:173], v[2:3], v[26:27], -v[28:29]
	ds_load_b128 v[2:5], v1 offset:896
	scratch_load_b128 v[26:29], off, off offset:464
	v_fma_f64 v[162:163], v[162:163], v[30:31], v[168:169]
	v_fma_f64 v[160:161], v[160:161], v[30:31], -v[32:33]
	scratch_load_b128 v[30:33], off, off offset:480
	v_add_f64 v[164:165], v[164:165], v[42:43]
	v_add_f64 v[166:167], v[166:167], v[44:45]
	ds_load_b128 v[42:45], v1 offset:912
	s_waitcnt vmcnt(10) lgkmcnt(1)
	v_mul_f64 v[174:175], v[2:3], v[36:37]
	v_mul_f64 v[36:37], v[4:5], v[36:37]
	s_waitcnt vmcnt(8) lgkmcnt(0)
	v_mul_f64 v[168:169], v[42:43], v[158:159]
	v_add_f64 v[164:165], v[164:165], v[172:173]
	v_add_f64 v[166:167], v[166:167], v[170:171]
	v_mul_f64 v[170:171], v[44:45], v[158:159]
	v_fma_f64 v[172:173], v[4:5], v[34:35], v[174:175]
	v_fma_f64 v[174:175], v[2:3], v[34:35], -v[36:37]
	ds_load_b128 v[2:5], v1 offset:928
	scratch_load_b128 v[34:37], off, off offset:496
	v_fma_f64 v[44:45], v[44:45], v[156:157], v[168:169]
	v_add_f64 v[164:165], v[164:165], v[160:161]
	v_add_f64 v[162:163], v[166:167], v[162:163]
	ds_load_b128 v[158:161], v1 offset:944
	v_fma_f64 v[156:157], v[42:43], v[156:157], -v[170:171]
	s_waitcnt vmcnt(8) lgkmcnt(1)
	v_mul_f64 v[166:167], v[2:3], v[40:41]
	v_mul_f64 v[176:177], v[4:5], v[40:41]
	scratch_load_b128 v[40:43], off, off offset:512
	s_waitcnt vmcnt(8) lgkmcnt(0)
	v_mul_f64 v[170:171], v[158:159], v[8:9]
	v_mul_f64 v[8:9], v[160:161], v[8:9]
	v_add_f64 v[164:165], v[164:165], v[174:175]
	v_add_f64 v[162:163], v[162:163], v[172:173]
	v_fma_f64 v[172:173], v[4:5], v[38:39], v[166:167]
	v_fma_f64 v[38:39], v[2:3], v[38:39], -v[176:177]
	ds_load_b128 v[2:5], v1 offset:960
	ds_load_b128 v[166:169], v1 offset:976
	v_fma_f64 v[160:161], v[160:161], v[6:7], v[170:171]
	v_fma_f64 v[158:159], v[158:159], v[6:7], -v[8:9]
	scratch_load_b128 v[6:9], off, off offset:544
	v_add_f64 v[156:157], v[164:165], v[156:157]
	v_add_f64 v[44:45], v[162:163], v[44:45]
	scratch_load_b128 v[162:165], off, off offset:528
	s_waitcnt vmcnt(9) lgkmcnt(1)
	v_mul_f64 v[174:175], v[2:3], v[12:13]
	v_mul_f64 v[12:13], v[4:5], v[12:13]
	v_add_f64 v[38:39], v[156:157], v[38:39]
	v_add_f64 v[44:45], v[44:45], v[172:173]
	s_waitcnt vmcnt(8) lgkmcnt(0)
	v_mul_f64 v[156:157], v[166:167], v[16:17]
	v_mul_f64 v[16:17], v[168:169], v[16:17]
	v_fma_f64 v[170:171], v[4:5], v[10:11], v[174:175]
	v_fma_f64 v[172:173], v[2:3], v[10:11], -v[12:13]
	ds_load_b128 v[2:5], v1 offset:992
	ds_load_b128 v[10:13], v1 offset:1008
	v_add_f64 v[38:39], v[38:39], v[158:159]
	v_add_f64 v[44:45], v[44:45], v[160:161]
	s_waitcnt vmcnt(7) lgkmcnt(1)
	v_mul_f64 v[158:159], v[2:3], v[20:21]
	v_mul_f64 v[20:21], v[4:5], v[20:21]
	v_fma_f64 v[156:157], v[168:169], v[14:15], v[156:157]
	v_fma_f64 v[14:15], v[166:167], v[14:15], -v[16:17]
	v_add_f64 v[16:17], v[38:39], v[172:173]
	v_add_f64 v[38:39], v[44:45], v[170:171]
	s_waitcnt vmcnt(6) lgkmcnt(0)
	v_mul_f64 v[44:45], v[10:11], v[24:25]
	v_mul_f64 v[24:25], v[12:13], v[24:25]
	v_fma_f64 v[158:159], v[4:5], v[18:19], v[158:159]
	v_fma_f64 v[18:19], v[2:3], v[18:19], -v[20:21]
	v_add_f64 v[20:21], v[16:17], v[14:15]
	v_add_f64 v[38:39], v[38:39], v[156:157]
	ds_load_b128 v[2:5], v1 offset:1024
	ds_load_b128 v[14:17], v1 offset:1040
	v_fma_f64 v[12:13], v[12:13], v[22:23], v[44:45]
	v_fma_f64 v[10:11], v[10:11], v[22:23], -v[24:25]
	s_waitcnt vmcnt(5) lgkmcnt(1)
	v_mul_f64 v[156:157], v[2:3], v[28:29]
	v_mul_f64 v[28:29], v[4:5], v[28:29]
	s_waitcnt vmcnt(4) lgkmcnt(0)
	v_mul_f64 v[22:23], v[14:15], v[32:33]
	v_mul_f64 v[24:25], v[16:17], v[32:33]
	v_add_f64 v[18:19], v[20:21], v[18:19]
	v_add_f64 v[20:21], v[38:39], v[158:159]
	v_fma_f64 v[32:33], v[4:5], v[26:27], v[156:157]
	v_fma_f64 v[26:27], v[2:3], v[26:27], -v[28:29]
	v_fma_f64 v[16:17], v[16:17], v[30:31], v[22:23]
	v_fma_f64 v[14:15], v[14:15], v[30:31], -v[24:25]
	v_add_f64 v[18:19], v[18:19], v[10:11]
	v_add_f64 v[20:21], v[20:21], v[12:13]
	ds_load_b128 v[2:5], v1 offset:1056
	ds_load_b128 v[10:13], v1 offset:1072
	s_waitcnt vmcnt(3) lgkmcnt(1)
	v_mul_f64 v[28:29], v[2:3], v[36:37]
	v_mul_f64 v[36:37], v[4:5], v[36:37]
	s_waitcnt vmcnt(2) lgkmcnt(0)
	v_mul_f64 v[22:23], v[10:11], v[42:43]
	v_add_f64 v[18:19], v[18:19], v[26:27]
	v_add_f64 v[20:21], v[20:21], v[32:33]
	v_mul_f64 v[24:25], v[12:13], v[42:43]
	v_fma_f64 v[26:27], v[4:5], v[34:35], v[28:29]
	v_fma_f64 v[28:29], v[2:3], v[34:35], -v[36:37]
	v_fma_f64 v[12:13], v[12:13], v[40:41], v[22:23]
	v_add_f64 v[18:19], v[18:19], v[14:15]
	v_add_f64 v[20:21], v[20:21], v[16:17]
	ds_load_b128 v[2:5], v1 offset:1088
	ds_load_b128 v[14:17], v1 offset:1104
	v_fma_f64 v[10:11], v[10:11], v[40:41], -v[24:25]
	s_waitcnt vmcnt(0) lgkmcnt(1)
	v_mul_f64 v[30:31], v[2:3], v[164:165]
	v_mul_f64 v[32:33], v[4:5], v[164:165]
	s_waitcnt lgkmcnt(0)
	v_mul_f64 v[22:23], v[14:15], v[8:9]
	v_mul_f64 v[8:9], v[16:17], v[8:9]
	v_add_f64 v[18:19], v[18:19], v[28:29]
	v_add_f64 v[20:21], v[20:21], v[26:27]
	v_fma_f64 v[4:5], v[4:5], v[162:163], v[30:31]
	v_fma_f64 v[1:2], v[2:3], v[162:163], -v[32:33]
	v_fma_f64 v[16:17], v[16:17], v[6:7], v[22:23]
	v_fma_f64 v[6:7], v[14:15], v[6:7], -v[8:9]
	v_add_f64 v[10:11], v[18:19], v[10:11]
	v_add_f64 v[12:13], v[20:21], v[12:13]
	s_delay_alu instid0(VALU_DEP_2) | instskip(NEXT) | instid1(VALU_DEP_2)
	v_add_f64 v[1:2], v[10:11], v[1:2]
	v_add_f64 v[3:4], v[12:13], v[4:5]
	s_delay_alu instid0(VALU_DEP_2) | instskip(NEXT) | instid1(VALU_DEP_2)
	;; [unrolled: 3-line block ×3, first 2 shown]
	v_add_f64 v[1:2], v[152:153], -v[1:2]
	v_add_f64 v[3:4], v[154:155], -v[3:4]
	scratch_store_b128 off, v[1:4], off offset:192
	v_cmpx_lt_u32_e32 11, v116
	s_cbranch_execz .LBB98_201
; %bb.200:
	scratch_load_b128 v[1:4], v134, off
	v_mov_b32_e32 v5, 0
	s_delay_alu instid0(VALU_DEP_1)
	v_mov_b32_e32 v6, v5
	v_mov_b32_e32 v7, v5
	;; [unrolled: 1-line block ×3, first 2 shown]
	scratch_store_b128 off, v[5:8], off offset:176
	s_waitcnt vmcnt(0)
	ds_store_b128 v151, v[1:4]
.LBB98_201:
	s_or_b32 exec_lo, exec_lo, s2
	s_waitcnt lgkmcnt(0)
	s_waitcnt_vscnt null, 0x0
	s_barrier
	buffer_gl0_inv
	s_clause 0x7
	scratch_load_b128 v[2:5], off, off offset:192
	scratch_load_b128 v[6:9], off, off offset:208
	scratch_load_b128 v[10:13], off, off offset:224
	scratch_load_b128 v[14:17], off, off offset:240
	scratch_load_b128 v[18:21], off, off offset:256
	scratch_load_b128 v[22:25], off, off offset:272
	scratch_load_b128 v[26:29], off, off offset:288
	scratch_load_b128 v[30:33], off, off offset:304
	v_mov_b32_e32 v1, 0
	s_mov_b32 s2, exec_lo
	ds_load_b128 v[34:37], v1 offset:752
	s_clause 0x1
	scratch_load_b128 v[38:41], off, off offset:320
	scratch_load_b128 v[42:45], off, off offset:176
	ds_load_b128 v[152:155], v1 offset:768
	scratch_load_b128 v[156:159], off, off offset:336
	s_waitcnt vmcnt(10) lgkmcnt(1)
	v_mul_f64 v[160:161], v[36:37], v[4:5]
	v_mul_f64 v[4:5], v[34:35], v[4:5]
	s_delay_alu instid0(VALU_DEP_2) | instskip(NEXT) | instid1(VALU_DEP_2)
	v_fma_f64 v[166:167], v[34:35], v[2:3], -v[160:161]
	v_fma_f64 v[168:169], v[36:37], v[2:3], v[4:5]
	scratch_load_b128 v[34:37], off, off offset:352
	ds_load_b128 v[2:5], v1 offset:784
	s_waitcnt vmcnt(10) lgkmcnt(1)
	v_mul_f64 v[164:165], v[152:153], v[8:9]
	v_mul_f64 v[8:9], v[154:155], v[8:9]
	ds_load_b128 v[160:163], v1 offset:800
	s_waitcnt vmcnt(9) lgkmcnt(1)
	v_mul_f64 v[170:171], v[2:3], v[12:13]
	v_mul_f64 v[12:13], v[4:5], v[12:13]
	v_fma_f64 v[154:155], v[154:155], v[6:7], v[164:165]
	v_fma_f64 v[152:153], v[152:153], v[6:7], -v[8:9]
	v_add_f64 v[164:165], v[166:167], 0
	v_add_f64 v[166:167], v[168:169], 0
	scratch_load_b128 v[6:9], off, off offset:368
	v_fma_f64 v[170:171], v[4:5], v[10:11], v[170:171]
	v_fma_f64 v[172:173], v[2:3], v[10:11], -v[12:13]
	scratch_load_b128 v[10:13], off, off offset:384
	ds_load_b128 v[2:5], v1 offset:816
	s_waitcnt vmcnt(10) lgkmcnt(1)
	v_mul_f64 v[168:169], v[160:161], v[16:17]
	v_mul_f64 v[16:17], v[162:163], v[16:17]
	v_add_f64 v[164:165], v[164:165], v[152:153]
	v_add_f64 v[166:167], v[166:167], v[154:155]
	s_waitcnt vmcnt(9) lgkmcnt(0)
	v_mul_f64 v[174:175], v[2:3], v[20:21]
	v_mul_f64 v[20:21], v[4:5], v[20:21]
	ds_load_b128 v[152:155], v1 offset:832
	v_fma_f64 v[162:163], v[162:163], v[14:15], v[168:169]
	v_fma_f64 v[160:161], v[160:161], v[14:15], -v[16:17]
	scratch_load_b128 v[14:17], off, off offset:400
	v_add_f64 v[164:165], v[164:165], v[172:173]
	v_add_f64 v[166:167], v[166:167], v[170:171]
	v_fma_f64 v[170:171], v[4:5], v[18:19], v[174:175]
	v_fma_f64 v[172:173], v[2:3], v[18:19], -v[20:21]
	scratch_load_b128 v[18:21], off, off offset:416
	ds_load_b128 v[2:5], v1 offset:848
	s_waitcnt vmcnt(10) lgkmcnt(1)
	v_mul_f64 v[168:169], v[152:153], v[24:25]
	v_mul_f64 v[24:25], v[154:155], v[24:25]
	s_waitcnt vmcnt(9) lgkmcnt(0)
	v_mul_f64 v[174:175], v[2:3], v[28:29]
	v_mul_f64 v[28:29], v[4:5], v[28:29]
	v_add_f64 v[164:165], v[164:165], v[160:161]
	v_add_f64 v[166:167], v[166:167], v[162:163]
	ds_load_b128 v[160:163], v1 offset:864
	v_fma_f64 v[154:155], v[154:155], v[22:23], v[168:169]
	v_fma_f64 v[152:153], v[152:153], v[22:23], -v[24:25]
	scratch_load_b128 v[22:25], off, off offset:432
	v_add_f64 v[164:165], v[164:165], v[172:173]
	v_add_f64 v[166:167], v[166:167], v[170:171]
	v_fma_f64 v[170:171], v[4:5], v[26:27], v[174:175]
	v_fma_f64 v[172:173], v[2:3], v[26:27], -v[28:29]
	scratch_load_b128 v[26:29], off, off offset:448
	ds_load_b128 v[2:5], v1 offset:880
	s_waitcnt vmcnt(10) lgkmcnt(1)
	v_mul_f64 v[168:169], v[160:161], v[32:33]
	v_mul_f64 v[32:33], v[162:163], v[32:33]
	s_waitcnt vmcnt(9) lgkmcnt(0)
	v_mul_f64 v[174:175], v[2:3], v[40:41]
	v_mul_f64 v[40:41], v[4:5], v[40:41]
	v_add_f64 v[164:165], v[164:165], v[152:153]
	v_add_f64 v[166:167], v[166:167], v[154:155]
	ds_load_b128 v[152:155], v1 offset:896
	v_fma_f64 v[162:163], v[162:163], v[30:31], v[168:169]
	v_fma_f64 v[160:161], v[160:161], v[30:31], -v[32:33]
	scratch_load_b128 v[30:33], off, off offset:464
	v_add_f64 v[164:165], v[164:165], v[172:173]
	v_add_f64 v[166:167], v[166:167], v[170:171]
	v_fma_f64 v[172:173], v[4:5], v[38:39], v[174:175]
	v_fma_f64 v[174:175], v[2:3], v[38:39], -v[40:41]
	scratch_load_b128 v[38:41], off, off offset:480
	ds_load_b128 v[2:5], v1 offset:912
	s_waitcnt vmcnt(9) lgkmcnt(1)
	v_mul_f64 v[168:169], v[152:153], v[158:159]
	v_mul_f64 v[170:171], v[154:155], v[158:159]
	v_add_f64 v[164:165], v[164:165], v[160:161]
	v_add_f64 v[162:163], v[166:167], v[162:163]
	ds_load_b128 v[158:161], v1 offset:928
	v_fma_f64 v[168:169], v[154:155], v[156:157], v[168:169]
	v_fma_f64 v[156:157], v[152:153], v[156:157], -v[170:171]
	scratch_load_b128 v[152:155], off, off offset:496
	s_waitcnt vmcnt(9) lgkmcnt(1)
	v_mul_f64 v[166:167], v[2:3], v[36:37]
	v_mul_f64 v[36:37], v[4:5], v[36:37]
	v_add_f64 v[164:165], v[164:165], v[174:175]
	v_add_f64 v[162:163], v[162:163], v[172:173]
	s_delay_alu instid0(VALU_DEP_4) | instskip(NEXT) | instid1(VALU_DEP_4)
	v_fma_f64 v[166:167], v[4:5], v[34:35], v[166:167]
	v_fma_f64 v[172:173], v[2:3], v[34:35], -v[36:37]
	scratch_load_b128 v[34:37], off, off offset:512
	ds_load_b128 v[2:5], v1 offset:944
	s_waitcnt vmcnt(9) lgkmcnt(1)
	v_mul_f64 v[170:171], v[158:159], v[8:9]
	v_mul_f64 v[8:9], v[160:161], v[8:9]
	s_waitcnt vmcnt(8) lgkmcnt(0)
	v_mul_f64 v[174:175], v[2:3], v[12:13]
	v_mul_f64 v[12:13], v[4:5], v[12:13]
	v_add_f64 v[156:157], v[164:165], v[156:157]
	v_add_f64 v[168:169], v[162:163], v[168:169]
	ds_load_b128 v[162:165], v1 offset:960
	v_fma_f64 v[160:161], v[160:161], v[6:7], v[170:171]
	v_fma_f64 v[158:159], v[158:159], v[6:7], -v[8:9]
	scratch_load_b128 v[6:9], off, off offset:528
	v_fma_f64 v[170:171], v[4:5], v[10:11], v[174:175]
	v_add_f64 v[156:157], v[156:157], v[172:173]
	v_add_f64 v[166:167], v[168:169], v[166:167]
	v_fma_f64 v[172:173], v[2:3], v[10:11], -v[12:13]
	scratch_load_b128 v[10:13], off, off offset:544
	ds_load_b128 v[2:5], v1 offset:976
	s_waitcnt vmcnt(9) lgkmcnt(1)
	v_mul_f64 v[168:169], v[162:163], v[16:17]
	v_mul_f64 v[16:17], v[164:165], v[16:17]
	v_add_f64 v[174:175], v[156:157], v[158:159]
	v_add_f64 v[160:161], v[166:167], v[160:161]
	s_waitcnt vmcnt(8) lgkmcnt(0)
	v_mul_f64 v[166:167], v[2:3], v[20:21]
	v_mul_f64 v[20:21], v[4:5], v[20:21]
	ds_load_b128 v[156:159], v1 offset:992
	v_fma_f64 v[164:165], v[164:165], v[14:15], v[168:169]
	v_fma_f64 v[14:15], v[162:163], v[14:15], -v[16:17]
	s_waitcnt vmcnt(7) lgkmcnt(0)
	v_mul_f64 v[162:163], v[156:157], v[24:25]
	v_mul_f64 v[24:25], v[158:159], v[24:25]
	v_add_f64 v[16:17], v[174:175], v[172:173]
	v_add_f64 v[160:161], v[160:161], v[170:171]
	v_fma_f64 v[166:167], v[4:5], v[18:19], v[166:167]
	v_fma_f64 v[18:19], v[2:3], v[18:19], -v[20:21]
	v_fma_f64 v[158:159], v[158:159], v[22:23], v[162:163]
	v_fma_f64 v[22:23], v[156:157], v[22:23], -v[24:25]
	v_add_f64 v[20:21], v[16:17], v[14:15]
	v_add_f64 v[160:161], v[160:161], v[164:165]
	ds_load_b128 v[2:5], v1 offset:1008
	ds_load_b128 v[14:17], v1 offset:1024
	s_waitcnt vmcnt(6) lgkmcnt(1)
	v_mul_f64 v[164:165], v[2:3], v[28:29]
	v_mul_f64 v[28:29], v[4:5], v[28:29]
	s_waitcnt vmcnt(5) lgkmcnt(0)
	v_mul_f64 v[24:25], v[14:15], v[32:33]
	v_mul_f64 v[32:33], v[16:17], v[32:33]
	v_add_f64 v[18:19], v[20:21], v[18:19]
	v_add_f64 v[20:21], v[160:161], v[166:167]
	v_fma_f64 v[156:157], v[4:5], v[26:27], v[164:165]
	v_fma_f64 v[26:27], v[2:3], v[26:27], -v[28:29]
	v_fma_f64 v[16:17], v[16:17], v[30:31], v[24:25]
	v_fma_f64 v[14:15], v[14:15], v[30:31], -v[32:33]
	v_add_f64 v[22:23], v[18:19], v[22:23]
	v_add_f64 v[28:29], v[20:21], v[158:159]
	ds_load_b128 v[2:5], v1 offset:1040
	ds_load_b128 v[18:21], v1 offset:1056
	s_waitcnt vmcnt(4) lgkmcnt(1)
	v_mul_f64 v[158:159], v[2:3], v[40:41]
	v_mul_f64 v[40:41], v[4:5], v[40:41]
	v_add_f64 v[22:23], v[22:23], v[26:27]
	v_add_f64 v[24:25], v[28:29], v[156:157]
	s_waitcnt vmcnt(3) lgkmcnt(0)
	v_mul_f64 v[26:27], v[18:19], v[154:155]
	v_mul_f64 v[28:29], v[20:21], v[154:155]
	v_fma_f64 v[30:31], v[4:5], v[38:39], v[158:159]
	v_fma_f64 v[32:33], v[2:3], v[38:39], -v[40:41]
	v_add_f64 v[22:23], v[22:23], v[14:15]
	v_add_f64 v[24:25], v[24:25], v[16:17]
	ds_load_b128 v[2:5], v1 offset:1072
	ds_load_b128 v[14:17], v1 offset:1088
	v_fma_f64 v[20:21], v[20:21], v[152:153], v[26:27]
	v_fma_f64 v[18:19], v[18:19], v[152:153], -v[28:29]
	s_waitcnt vmcnt(2) lgkmcnt(1)
	v_mul_f64 v[38:39], v[2:3], v[36:37]
	v_mul_f64 v[36:37], v[4:5], v[36:37]
	s_waitcnt vmcnt(1) lgkmcnt(0)
	v_mul_f64 v[26:27], v[14:15], v[8:9]
	v_mul_f64 v[8:9], v[16:17], v[8:9]
	v_add_f64 v[22:23], v[22:23], v[32:33]
	v_add_f64 v[24:25], v[24:25], v[30:31]
	v_fma_f64 v[28:29], v[4:5], v[34:35], v[38:39]
	v_fma_f64 v[30:31], v[2:3], v[34:35], -v[36:37]
	ds_load_b128 v[2:5], v1 offset:1104
	v_fma_f64 v[16:17], v[16:17], v[6:7], v[26:27]
	v_fma_f64 v[6:7], v[14:15], v[6:7], -v[8:9]
	v_add_f64 v[18:19], v[22:23], v[18:19]
	v_add_f64 v[20:21], v[24:25], v[20:21]
	s_waitcnt vmcnt(0) lgkmcnt(0)
	v_mul_f64 v[22:23], v[2:3], v[12:13]
	v_mul_f64 v[12:13], v[4:5], v[12:13]
	s_delay_alu instid0(VALU_DEP_4) | instskip(NEXT) | instid1(VALU_DEP_4)
	v_add_f64 v[8:9], v[18:19], v[30:31]
	v_add_f64 v[14:15], v[20:21], v[28:29]
	s_delay_alu instid0(VALU_DEP_4) | instskip(NEXT) | instid1(VALU_DEP_4)
	v_fma_f64 v[4:5], v[4:5], v[10:11], v[22:23]
	v_fma_f64 v[2:3], v[2:3], v[10:11], -v[12:13]
	s_delay_alu instid0(VALU_DEP_4) | instskip(NEXT) | instid1(VALU_DEP_4)
	v_add_f64 v[6:7], v[8:9], v[6:7]
	v_add_f64 v[8:9], v[14:15], v[16:17]
	s_delay_alu instid0(VALU_DEP_2) | instskip(NEXT) | instid1(VALU_DEP_2)
	v_add_f64 v[2:3], v[6:7], v[2:3]
	v_add_f64 v[4:5], v[8:9], v[4:5]
	s_delay_alu instid0(VALU_DEP_2) | instskip(NEXT) | instid1(VALU_DEP_2)
	v_add_f64 v[2:3], v[42:43], -v[2:3]
	v_add_f64 v[4:5], v[44:45], -v[4:5]
	scratch_store_b128 off, v[2:5], off offset:176
	v_cmpx_lt_u32_e32 10, v116
	s_cbranch_execz .LBB98_203
; %bb.202:
	scratch_load_b128 v[5:8], v135, off
	v_mov_b32_e32 v2, v1
	v_mov_b32_e32 v3, v1
	;; [unrolled: 1-line block ×3, first 2 shown]
	scratch_store_b128 off, v[1:4], off offset:160
	s_waitcnt vmcnt(0)
	ds_store_b128 v151, v[5:8]
.LBB98_203:
	s_or_b32 exec_lo, exec_lo, s2
	s_waitcnt lgkmcnt(0)
	s_waitcnt_vscnt null, 0x0
	s_barrier
	buffer_gl0_inv
	s_clause 0x8
	scratch_load_b128 v[2:5], off, off offset:176
	scratch_load_b128 v[6:9], off, off offset:192
	;; [unrolled: 1-line block ×9, first 2 shown]
	ds_load_b128 v[38:41], v1 offset:736
	ds_load_b128 v[42:45], v1 offset:752
	s_clause 0x1
	scratch_load_b128 v[152:155], off, off offset:160
	scratch_load_b128 v[156:159], off, off offset:320
	s_mov_b32 s2, exec_lo
	s_waitcnt vmcnt(10) lgkmcnt(1)
	v_mul_f64 v[160:161], v[40:41], v[4:5]
	v_mul_f64 v[4:5], v[38:39], v[4:5]
	s_waitcnt vmcnt(9) lgkmcnt(0)
	v_mul_f64 v[164:165], v[42:43], v[8:9]
	v_mul_f64 v[8:9], v[44:45], v[8:9]
	s_delay_alu instid0(VALU_DEP_4) | instskip(NEXT) | instid1(VALU_DEP_4)
	v_fma_f64 v[166:167], v[38:39], v[2:3], -v[160:161]
	v_fma_f64 v[168:169], v[40:41], v[2:3], v[4:5]
	ds_load_b128 v[2:5], v1 offset:768
	ds_load_b128 v[160:163], v1 offset:784
	scratch_load_b128 v[38:41], off, off offset:336
	v_fma_f64 v[44:45], v[44:45], v[6:7], v[164:165]
	v_fma_f64 v[42:43], v[42:43], v[6:7], -v[8:9]
	scratch_load_b128 v[6:9], off, off offset:352
	s_waitcnt vmcnt(10) lgkmcnt(1)
	v_mul_f64 v[170:171], v[2:3], v[12:13]
	v_mul_f64 v[12:13], v[4:5], v[12:13]
	v_add_f64 v[164:165], v[166:167], 0
	v_add_f64 v[166:167], v[168:169], 0
	s_waitcnt vmcnt(9) lgkmcnt(0)
	v_mul_f64 v[168:169], v[160:161], v[16:17]
	v_mul_f64 v[16:17], v[162:163], v[16:17]
	v_fma_f64 v[170:171], v[4:5], v[10:11], v[170:171]
	v_fma_f64 v[172:173], v[2:3], v[10:11], -v[12:13]
	ds_load_b128 v[2:5], v1 offset:800
	scratch_load_b128 v[10:13], off, off offset:368
	v_add_f64 v[164:165], v[164:165], v[42:43]
	v_add_f64 v[166:167], v[166:167], v[44:45]
	ds_load_b128 v[42:45], v1 offset:816
	v_fma_f64 v[162:163], v[162:163], v[14:15], v[168:169]
	v_fma_f64 v[160:161], v[160:161], v[14:15], -v[16:17]
	scratch_load_b128 v[14:17], off, off offset:384
	s_waitcnt vmcnt(10) lgkmcnt(1)
	v_mul_f64 v[174:175], v[2:3], v[20:21]
	v_mul_f64 v[20:21], v[4:5], v[20:21]
	s_waitcnt vmcnt(9) lgkmcnt(0)
	v_mul_f64 v[168:169], v[42:43], v[24:25]
	v_mul_f64 v[24:25], v[44:45], v[24:25]
	v_add_f64 v[164:165], v[164:165], v[172:173]
	v_add_f64 v[166:167], v[166:167], v[170:171]
	v_fma_f64 v[170:171], v[4:5], v[18:19], v[174:175]
	v_fma_f64 v[172:173], v[2:3], v[18:19], -v[20:21]
	ds_load_b128 v[2:5], v1 offset:832
	scratch_load_b128 v[18:21], off, off offset:400
	v_fma_f64 v[44:45], v[44:45], v[22:23], v[168:169]
	v_fma_f64 v[42:43], v[42:43], v[22:23], -v[24:25]
	scratch_load_b128 v[22:25], off, off offset:416
	v_add_f64 v[164:165], v[164:165], v[160:161]
	v_add_f64 v[166:167], v[166:167], v[162:163]
	ds_load_b128 v[160:163], v1 offset:848
	s_waitcnt vmcnt(10) lgkmcnt(1)
	v_mul_f64 v[174:175], v[2:3], v[28:29]
	v_mul_f64 v[28:29], v[4:5], v[28:29]
	s_waitcnt vmcnt(9) lgkmcnt(0)
	v_mul_f64 v[168:169], v[160:161], v[32:33]
	v_mul_f64 v[32:33], v[162:163], v[32:33]
	v_add_f64 v[164:165], v[164:165], v[172:173]
	v_add_f64 v[166:167], v[166:167], v[170:171]
	v_fma_f64 v[170:171], v[4:5], v[26:27], v[174:175]
	v_fma_f64 v[172:173], v[2:3], v[26:27], -v[28:29]
	ds_load_b128 v[2:5], v1 offset:864
	scratch_load_b128 v[26:29], off, off offset:432
	v_fma_f64 v[162:163], v[162:163], v[30:31], v[168:169]
	v_fma_f64 v[160:161], v[160:161], v[30:31], -v[32:33]
	scratch_load_b128 v[30:33], off, off offset:448
	v_add_f64 v[164:165], v[164:165], v[42:43]
	v_add_f64 v[166:167], v[166:167], v[44:45]
	ds_load_b128 v[42:45], v1 offset:880
	s_waitcnt vmcnt(10) lgkmcnt(1)
	v_mul_f64 v[174:175], v[2:3], v[36:37]
	v_mul_f64 v[36:37], v[4:5], v[36:37]
	s_waitcnt vmcnt(8) lgkmcnt(0)
	v_mul_f64 v[168:169], v[42:43], v[158:159]
	v_add_f64 v[164:165], v[164:165], v[172:173]
	v_add_f64 v[166:167], v[166:167], v[170:171]
	v_mul_f64 v[170:171], v[44:45], v[158:159]
	v_fma_f64 v[172:173], v[4:5], v[34:35], v[174:175]
	v_fma_f64 v[174:175], v[2:3], v[34:35], -v[36:37]
	ds_load_b128 v[2:5], v1 offset:896
	scratch_load_b128 v[34:37], off, off offset:464
	v_fma_f64 v[44:45], v[44:45], v[156:157], v[168:169]
	v_add_f64 v[164:165], v[164:165], v[160:161]
	v_add_f64 v[162:163], v[166:167], v[162:163]
	ds_load_b128 v[158:161], v1 offset:912
	v_fma_f64 v[156:157], v[42:43], v[156:157], -v[170:171]
	s_waitcnt vmcnt(8) lgkmcnt(1)
	v_mul_f64 v[166:167], v[2:3], v[40:41]
	v_mul_f64 v[176:177], v[4:5], v[40:41]
	scratch_load_b128 v[40:43], off, off offset:480
	s_waitcnt vmcnt(8) lgkmcnt(0)
	v_mul_f64 v[170:171], v[158:159], v[8:9]
	v_mul_f64 v[8:9], v[160:161], v[8:9]
	v_add_f64 v[164:165], v[164:165], v[174:175]
	v_add_f64 v[162:163], v[162:163], v[172:173]
	v_fma_f64 v[172:173], v[4:5], v[38:39], v[166:167]
	v_fma_f64 v[38:39], v[2:3], v[38:39], -v[176:177]
	ds_load_b128 v[2:5], v1 offset:928
	ds_load_b128 v[166:169], v1 offset:944
	v_fma_f64 v[160:161], v[160:161], v[6:7], v[170:171]
	v_fma_f64 v[158:159], v[158:159], v[6:7], -v[8:9]
	scratch_load_b128 v[6:9], off, off offset:512
	v_add_f64 v[156:157], v[164:165], v[156:157]
	v_add_f64 v[44:45], v[162:163], v[44:45]
	scratch_load_b128 v[162:165], off, off offset:496
	s_waitcnt vmcnt(9) lgkmcnt(1)
	v_mul_f64 v[174:175], v[2:3], v[12:13]
	v_mul_f64 v[12:13], v[4:5], v[12:13]
	s_waitcnt vmcnt(8) lgkmcnt(0)
	v_mul_f64 v[170:171], v[166:167], v[16:17]
	v_mul_f64 v[16:17], v[168:169], v[16:17]
	v_add_f64 v[38:39], v[156:157], v[38:39]
	v_add_f64 v[44:45], v[44:45], v[172:173]
	v_fma_f64 v[172:173], v[4:5], v[10:11], v[174:175]
	v_fma_f64 v[174:175], v[2:3], v[10:11], -v[12:13]
	ds_load_b128 v[2:5], v1 offset:960
	scratch_load_b128 v[10:13], off, off offset:528
	v_fma_f64 v[168:169], v[168:169], v[14:15], v[170:171]
	v_fma_f64 v[166:167], v[166:167], v[14:15], -v[16:17]
	scratch_load_b128 v[14:17], off, off offset:544
	v_add_f64 v[38:39], v[38:39], v[158:159]
	v_add_f64 v[44:45], v[44:45], v[160:161]
	ds_load_b128 v[156:159], v1 offset:976
	s_waitcnt vmcnt(9) lgkmcnt(1)
	v_mul_f64 v[160:161], v[2:3], v[20:21]
	v_mul_f64 v[20:21], v[4:5], v[20:21]
	s_waitcnt vmcnt(8) lgkmcnt(0)
	v_mul_f64 v[170:171], v[156:157], v[24:25]
	v_mul_f64 v[24:25], v[158:159], v[24:25]
	v_add_f64 v[38:39], v[38:39], v[174:175]
	v_add_f64 v[44:45], v[44:45], v[172:173]
	v_fma_f64 v[160:161], v[4:5], v[18:19], v[160:161]
	v_fma_f64 v[172:173], v[2:3], v[18:19], -v[20:21]
	ds_load_b128 v[2:5], v1 offset:992
	ds_load_b128 v[18:21], v1 offset:1008
	v_fma_f64 v[158:159], v[158:159], v[22:23], v[170:171]
	v_fma_f64 v[22:23], v[156:157], v[22:23], -v[24:25]
	v_add_f64 v[38:39], v[38:39], v[166:167]
	v_add_f64 v[44:45], v[44:45], v[168:169]
	s_waitcnt vmcnt(7) lgkmcnt(1)
	v_mul_f64 v[166:167], v[2:3], v[28:29]
	v_mul_f64 v[28:29], v[4:5], v[28:29]
	s_delay_alu instid0(VALU_DEP_4) | instskip(NEXT) | instid1(VALU_DEP_4)
	v_add_f64 v[24:25], v[38:39], v[172:173]
	v_add_f64 v[38:39], v[44:45], v[160:161]
	s_waitcnt vmcnt(6) lgkmcnt(0)
	v_mul_f64 v[44:45], v[18:19], v[32:33]
	v_mul_f64 v[32:33], v[20:21], v[32:33]
	v_fma_f64 v[156:157], v[4:5], v[26:27], v[166:167]
	v_fma_f64 v[26:27], v[2:3], v[26:27], -v[28:29]
	v_add_f64 v[28:29], v[24:25], v[22:23]
	v_add_f64 v[38:39], v[38:39], v[158:159]
	ds_load_b128 v[2:5], v1 offset:1024
	ds_load_b128 v[22:25], v1 offset:1040
	v_fma_f64 v[20:21], v[20:21], v[30:31], v[44:45]
	v_fma_f64 v[18:19], v[18:19], v[30:31], -v[32:33]
	s_waitcnt vmcnt(5) lgkmcnt(1)
	v_mul_f64 v[158:159], v[2:3], v[36:37]
	v_mul_f64 v[36:37], v[4:5], v[36:37]
	s_waitcnt vmcnt(4) lgkmcnt(0)
	v_mul_f64 v[30:31], v[22:23], v[42:43]
	v_add_f64 v[26:27], v[28:29], v[26:27]
	v_add_f64 v[28:29], v[38:39], v[156:157]
	v_mul_f64 v[32:33], v[24:25], v[42:43]
	v_fma_f64 v[38:39], v[4:5], v[34:35], v[158:159]
	v_fma_f64 v[34:35], v[2:3], v[34:35], -v[36:37]
	v_fma_f64 v[24:25], v[24:25], v[40:41], v[30:31]
	v_add_f64 v[26:27], v[26:27], v[18:19]
	v_add_f64 v[28:29], v[28:29], v[20:21]
	ds_load_b128 v[2:5], v1 offset:1056
	ds_load_b128 v[18:21], v1 offset:1072
	v_fma_f64 v[22:23], v[22:23], v[40:41], -v[32:33]
	s_waitcnt vmcnt(2) lgkmcnt(1)
	v_mul_f64 v[36:37], v[2:3], v[164:165]
	v_mul_f64 v[42:43], v[4:5], v[164:165]
	s_waitcnt lgkmcnt(0)
	v_mul_f64 v[30:31], v[18:19], v[8:9]
	v_mul_f64 v[8:9], v[20:21], v[8:9]
	v_add_f64 v[26:27], v[26:27], v[34:35]
	v_add_f64 v[28:29], v[28:29], v[38:39]
	v_fma_f64 v[32:33], v[4:5], v[162:163], v[36:37]
	v_fma_f64 v[34:35], v[2:3], v[162:163], -v[42:43]
	v_fma_f64 v[20:21], v[20:21], v[6:7], v[30:31]
	v_fma_f64 v[6:7], v[18:19], v[6:7], -v[8:9]
	v_add_f64 v[26:27], v[26:27], v[22:23]
	v_add_f64 v[28:29], v[28:29], v[24:25]
	ds_load_b128 v[2:5], v1 offset:1088
	ds_load_b128 v[22:25], v1 offset:1104
	s_waitcnt vmcnt(1) lgkmcnt(1)
	v_mul_f64 v[36:37], v[2:3], v[12:13]
	v_mul_f64 v[12:13], v[4:5], v[12:13]
	v_add_f64 v[8:9], v[26:27], v[34:35]
	v_add_f64 v[18:19], v[28:29], v[32:33]
	s_waitcnt vmcnt(0) lgkmcnt(0)
	v_mul_f64 v[26:27], v[22:23], v[16:17]
	v_mul_f64 v[16:17], v[24:25], v[16:17]
	v_fma_f64 v[4:5], v[4:5], v[10:11], v[36:37]
	v_fma_f64 v[1:2], v[2:3], v[10:11], -v[12:13]
	v_add_f64 v[6:7], v[8:9], v[6:7]
	v_add_f64 v[8:9], v[18:19], v[20:21]
	v_fma_f64 v[10:11], v[24:25], v[14:15], v[26:27]
	v_fma_f64 v[12:13], v[22:23], v[14:15], -v[16:17]
	s_delay_alu instid0(VALU_DEP_4) | instskip(NEXT) | instid1(VALU_DEP_4)
	v_add_f64 v[1:2], v[6:7], v[1:2]
	v_add_f64 v[3:4], v[8:9], v[4:5]
	s_delay_alu instid0(VALU_DEP_2) | instskip(NEXT) | instid1(VALU_DEP_2)
	v_add_f64 v[1:2], v[1:2], v[12:13]
	v_add_f64 v[3:4], v[3:4], v[10:11]
	s_delay_alu instid0(VALU_DEP_2) | instskip(NEXT) | instid1(VALU_DEP_2)
	v_add_f64 v[1:2], v[152:153], -v[1:2]
	v_add_f64 v[3:4], v[154:155], -v[3:4]
	scratch_store_b128 off, v[1:4], off offset:160
	v_cmpx_lt_u32_e32 9, v116
	s_cbranch_execz .LBB98_205
; %bb.204:
	scratch_load_b128 v[1:4], v138, off
	v_mov_b32_e32 v5, 0
	s_delay_alu instid0(VALU_DEP_1)
	v_mov_b32_e32 v6, v5
	v_mov_b32_e32 v7, v5
	;; [unrolled: 1-line block ×3, first 2 shown]
	scratch_store_b128 off, v[5:8], off offset:144
	s_waitcnt vmcnt(0)
	ds_store_b128 v151, v[1:4]
.LBB98_205:
	s_or_b32 exec_lo, exec_lo, s2
	s_waitcnt lgkmcnt(0)
	s_waitcnt_vscnt null, 0x0
	s_barrier
	buffer_gl0_inv
	s_clause 0x7
	scratch_load_b128 v[2:5], off, off offset:160
	scratch_load_b128 v[6:9], off, off offset:176
	;; [unrolled: 1-line block ×8, first 2 shown]
	v_mov_b32_e32 v1, 0
	s_mov_b32 s2, exec_lo
	ds_load_b128 v[34:37], v1 offset:720
	s_clause 0x1
	scratch_load_b128 v[38:41], off, off offset:288
	scratch_load_b128 v[42:45], off, off offset:144
	ds_load_b128 v[152:155], v1 offset:736
	scratch_load_b128 v[156:159], off, off offset:304
	s_waitcnt vmcnt(10) lgkmcnt(1)
	v_mul_f64 v[160:161], v[36:37], v[4:5]
	v_mul_f64 v[4:5], v[34:35], v[4:5]
	s_delay_alu instid0(VALU_DEP_2) | instskip(NEXT) | instid1(VALU_DEP_2)
	v_fma_f64 v[166:167], v[34:35], v[2:3], -v[160:161]
	v_fma_f64 v[168:169], v[36:37], v[2:3], v[4:5]
	scratch_load_b128 v[34:37], off, off offset:320
	ds_load_b128 v[2:5], v1 offset:752
	s_waitcnt vmcnt(10) lgkmcnt(1)
	v_mul_f64 v[164:165], v[152:153], v[8:9]
	v_mul_f64 v[8:9], v[154:155], v[8:9]
	ds_load_b128 v[160:163], v1 offset:768
	s_waitcnt vmcnt(9) lgkmcnt(1)
	v_mul_f64 v[170:171], v[2:3], v[12:13]
	v_mul_f64 v[12:13], v[4:5], v[12:13]
	v_fma_f64 v[154:155], v[154:155], v[6:7], v[164:165]
	v_fma_f64 v[152:153], v[152:153], v[6:7], -v[8:9]
	v_add_f64 v[164:165], v[166:167], 0
	v_add_f64 v[166:167], v[168:169], 0
	scratch_load_b128 v[6:9], off, off offset:336
	v_fma_f64 v[170:171], v[4:5], v[10:11], v[170:171]
	v_fma_f64 v[172:173], v[2:3], v[10:11], -v[12:13]
	scratch_load_b128 v[10:13], off, off offset:352
	ds_load_b128 v[2:5], v1 offset:784
	s_waitcnt vmcnt(10) lgkmcnt(1)
	v_mul_f64 v[168:169], v[160:161], v[16:17]
	v_mul_f64 v[16:17], v[162:163], v[16:17]
	v_add_f64 v[164:165], v[164:165], v[152:153]
	v_add_f64 v[166:167], v[166:167], v[154:155]
	s_waitcnt vmcnt(9) lgkmcnt(0)
	v_mul_f64 v[174:175], v[2:3], v[20:21]
	v_mul_f64 v[20:21], v[4:5], v[20:21]
	ds_load_b128 v[152:155], v1 offset:800
	v_fma_f64 v[162:163], v[162:163], v[14:15], v[168:169]
	v_fma_f64 v[160:161], v[160:161], v[14:15], -v[16:17]
	scratch_load_b128 v[14:17], off, off offset:368
	v_add_f64 v[164:165], v[164:165], v[172:173]
	v_add_f64 v[166:167], v[166:167], v[170:171]
	v_fma_f64 v[170:171], v[4:5], v[18:19], v[174:175]
	v_fma_f64 v[172:173], v[2:3], v[18:19], -v[20:21]
	scratch_load_b128 v[18:21], off, off offset:384
	ds_load_b128 v[2:5], v1 offset:816
	s_waitcnt vmcnt(10) lgkmcnt(1)
	v_mul_f64 v[168:169], v[152:153], v[24:25]
	v_mul_f64 v[24:25], v[154:155], v[24:25]
	s_waitcnt vmcnt(9) lgkmcnt(0)
	v_mul_f64 v[174:175], v[2:3], v[28:29]
	v_mul_f64 v[28:29], v[4:5], v[28:29]
	v_add_f64 v[164:165], v[164:165], v[160:161]
	v_add_f64 v[166:167], v[166:167], v[162:163]
	ds_load_b128 v[160:163], v1 offset:832
	v_fma_f64 v[154:155], v[154:155], v[22:23], v[168:169]
	v_fma_f64 v[152:153], v[152:153], v[22:23], -v[24:25]
	scratch_load_b128 v[22:25], off, off offset:400
	v_add_f64 v[164:165], v[164:165], v[172:173]
	v_add_f64 v[166:167], v[166:167], v[170:171]
	v_fma_f64 v[170:171], v[4:5], v[26:27], v[174:175]
	v_fma_f64 v[172:173], v[2:3], v[26:27], -v[28:29]
	scratch_load_b128 v[26:29], off, off offset:416
	ds_load_b128 v[2:5], v1 offset:848
	s_waitcnt vmcnt(10) lgkmcnt(1)
	v_mul_f64 v[168:169], v[160:161], v[32:33]
	v_mul_f64 v[32:33], v[162:163], v[32:33]
	s_waitcnt vmcnt(9) lgkmcnt(0)
	v_mul_f64 v[174:175], v[2:3], v[40:41]
	v_mul_f64 v[40:41], v[4:5], v[40:41]
	v_add_f64 v[164:165], v[164:165], v[152:153]
	v_add_f64 v[166:167], v[166:167], v[154:155]
	ds_load_b128 v[152:155], v1 offset:864
	v_fma_f64 v[162:163], v[162:163], v[30:31], v[168:169]
	v_fma_f64 v[160:161], v[160:161], v[30:31], -v[32:33]
	scratch_load_b128 v[30:33], off, off offset:432
	v_add_f64 v[164:165], v[164:165], v[172:173]
	v_add_f64 v[166:167], v[166:167], v[170:171]
	v_fma_f64 v[172:173], v[4:5], v[38:39], v[174:175]
	v_fma_f64 v[174:175], v[2:3], v[38:39], -v[40:41]
	scratch_load_b128 v[38:41], off, off offset:448
	ds_load_b128 v[2:5], v1 offset:880
	s_waitcnt vmcnt(9) lgkmcnt(1)
	v_mul_f64 v[168:169], v[152:153], v[158:159]
	v_mul_f64 v[170:171], v[154:155], v[158:159]
	v_add_f64 v[164:165], v[164:165], v[160:161]
	v_add_f64 v[162:163], v[166:167], v[162:163]
	ds_load_b128 v[158:161], v1 offset:896
	v_fma_f64 v[168:169], v[154:155], v[156:157], v[168:169]
	v_fma_f64 v[156:157], v[152:153], v[156:157], -v[170:171]
	scratch_load_b128 v[152:155], off, off offset:464
	s_waitcnt vmcnt(9) lgkmcnt(1)
	v_mul_f64 v[166:167], v[2:3], v[36:37]
	v_mul_f64 v[36:37], v[4:5], v[36:37]
	v_add_f64 v[164:165], v[164:165], v[174:175]
	v_add_f64 v[162:163], v[162:163], v[172:173]
	s_delay_alu instid0(VALU_DEP_4) | instskip(NEXT) | instid1(VALU_DEP_4)
	v_fma_f64 v[166:167], v[4:5], v[34:35], v[166:167]
	v_fma_f64 v[172:173], v[2:3], v[34:35], -v[36:37]
	scratch_load_b128 v[34:37], off, off offset:480
	ds_load_b128 v[2:5], v1 offset:912
	s_waitcnt vmcnt(9) lgkmcnt(1)
	v_mul_f64 v[170:171], v[158:159], v[8:9]
	v_mul_f64 v[8:9], v[160:161], v[8:9]
	s_waitcnt vmcnt(8) lgkmcnt(0)
	v_mul_f64 v[174:175], v[2:3], v[12:13]
	v_mul_f64 v[12:13], v[4:5], v[12:13]
	v_add_f64 v[156:157], v[164:165], v[156:157]
	v_add_f64 v[168:169], v[162:163], v[168:169]
	ds_load_b128 v[162:165], v1 offset:928
	v_fma_f64 v[160:161], v[160:161], v[6:7], v[170:171]
	v_fma_f64 v[158:159], v[158:159], v[6:7], -v[8:9]
	scratch_load_b128 v[6:9], off, off offset:496
	v_fma_f64 v[170:171], v[4:5], v[10:11], v[174:175]
	v_add_f64 v[156:157], v[156:157], v[172:173]
	v_add_f64 v[166:167], v[168:169], v[166:167]
	v_fma_f64 v[172:173], v[2:3], v[10:11], -v[12:13]
	scratch_load_b128 v[10:13], off, off offset:512
	ds_load_b128 v[2:5], v1 offset:944
	s_waitcnt vmcnt(9) lgkmcnt(1)
	v_mul_f64 v[168:169], v[162:163], v[16:17]
	v_mul_f64 v[16:17], v[164:165], v[16:17]
	v_add_f64 v[174:175], v[156:157], v[158:159]
	v_add_f64 v[160:161], v[166:167], v[160:161]
	s_waitcnt vmcnt(8) lgkmcnt(0)
	v_mul_f64 v[166:167], v[2:3], v[20:21]
	v_mul_f64 v[20:21], v[4:5], v[20:21]
	ds_load_b128 v[156:159], v1 offset:960
	v_fma_f64 v[164:165], v[164:165], v[14:15], v[168:169]
	v_fma_f64 v[162:163], v[162:163], v[14:15], -v[16:17]
	scratch_load_b128 v[14:17], off, off offset:528
	v_add_f64 v[168:169], v[174:175], v[172:173]
	v_add_f64 v[160:161], v[160:161], v[170:171]
	v_fma_f64 v[166:167], v[4:5], v[18:19], v[166:167]
	v_fma_f64 v[172:173], v[2:3], v[18:19], -v[20:21]
	scratch_load_b128 v[18:21], off, off offset:544
	ds_load_b128 v[2:5], v1 offset:976
	s_waitcnt vmcnt(9) lgkmcnt(1)
	v_mul_f64 v[170:171], v[156:157], v[24:25]
	v_mul_f64 v[24:25], v[158:159], v[24:25]
	s_waitcnt vmcnt(8) lgkmcnt(0)
	v_mul_f64 v[174:175], v[2:3], v[28:29]
	v_mul_f64 v[28:29], v[4:5], v[28:29]
	v_add_f64 v[168:169], v[168:169], v[162:163]
	v_add_f64 v[164:165], v[160:161], v[164:165]
	ds_load_b128 v[160:163], v1 offset:992
	v_fma_f64 v[158:159], v[158:159], v[22:23], v[170:171]
	v_fma_f64 v[22:23], v[156:157], v[22:23], -v[24:25]
	v_add_f64 v[24:25], v[168:169], v[172:173]
	v_add_f64 v[156:157], v[164:165], v[166:167]
	s_waitcnt vmcnt(7) lgkmcnt(0)
	v_mul_f64 v[164:165], v[160:161], v[32:33]
	v_mul_f64 v[32:33], v[162:163], v[32:33]
	v_fma_f64 v[166:167], v[4:5], v[26:27], v[174:175]
	v_fma_f64 v[26:27], v[2:3], v[26:27], -v[28:29]
	v_add_f64 v[28:29], v[24:25], v[22:23]
	v_add_f64 v[156:157], v[156:157], v[158:159]
	ds_load_b128 v[2:5], v1 offset:1008
	ds_load_b128 v[22:25], v1 offset:1024
	v_fma_f64 v[162:163], v[162:163], v[30:31], v[164:165]
	v_fma_f64 v[30:31], v[160:161], v[30:31], -v[32:33]
	s_waitcnt vmcnt(6) lgkmcnt(1)
	v_mul_f64 v[158:159], v[2:3], v[40:41]
	v_mul_f64 v[40:41], v[4:5], v[40:41]
	s_waitcnt vmcnt(5) lgkmcnt(0)
	v_mul_f64 v[32:33], v[22:23], v[154:155]
	v_mul_f64 v[154:155], v[24:25], v[154:155]
	v_add_f64 v[26:27], v[28:29], v[26:27]
	v_add_f64 v[28:29], v[156:157], v[166:167]
	v_fma_f64 v[156:157], v[4:5], v[38:39], v[158:159]
	v_fma_f64 v[38:39], v[2:3], v[38:39], -v[40:41]
	v_fma_f64 v[24:25], v[24:25], v[152:153], v[32:33]
	v_fma_f64 v[22:23], v[22:23], v[152:153], -v[154:155]
	v_add_f64 v[30:31], v[26:27], v[30:31]
	v_add_f64 v[40:41], v[28:29], v[162:163]
	ds_load_b128 v[2:5], v1 offset:1040
	ds_load_b128 v[26:29], v1 offset:1056
	s_waitcnt vmcnt(4) lgkmcnt(1)
	v_mul_f64 v[158:159], v[2:3], v[36:37]
	v_mul_f64 v[36:37], v[4:5], v[36:37]
	v_add_f64 v[30:31], v[30:31], v[38:39]
	v_add_f64 v[32:33], v[40:41], v[156:157]
	s_waitcnt vmcnt(3) lgkmcnt(0)
	v_mul_f64 v[38:39], v[26:27], v[8:9]
	v_mul_f64 v[8:9], v[28:29], v[8:9]
	v_fma_f64 v[40:41], v[4:5], v[34:35], v[158:159]
	v_fma_f64 v[34:35], v[2:3], v[34:35], -v[36:37]
	v_add_f64 v[30:31], v[30:31], v[22:23]
	v_add_f64 v[32:33], v[32:33], v[24:25]
	ds_load_b128 v[2:5], v1 offset:1072
	ds_load_b128 v[22:25], v1 offset:1088
	v_fma_f64 v[28:29], v[28:29], v[6:7], v[38:39]
	v_fma_f64 v[6:7], v[26:27], v[6:7], -v[8:9]
	s_waitcnt vmcnt(2) lgkmcnt(1)
	v_mul_f64 v[36:37], v[2:3], v[12:13]
	v_mul_f64 v[12:13], v[4:5], v[12:13]
	v_add_f64 v[8:9], v[30:31], v[34:35]
	v_add_f64 v[26:27], v[32:33], v[40:41]
	s_waitcnt vmcnt(1) lgkmcnt(0)
	v_mul_f64 v[30:31], v[22:23], v[16:17]
	v_mul_f64 v[16:17], v[24:25], v[16:17]
	v_fma_f64 v[32:33], v[4:5], v[10:11], v[36:37]
	v_fma_f64 v[10:11], v[2:3], v[10:11], -v[12:13]
	ds_load_b128 v[2:5], v1 offset:1104
	v_add_f64 v[6:7], v[8:9], v[6:7]
	v_add_f64 v[8:9], v[26:27], v[28:29]
	v_fma_f64 v[24:25], v[24:25], v[14:15], v[30:31]
	v_fma_f64 v[14:15], v[22:23], v[14:15], -v[16:17]
	s_waitcnt vmcnt(0) lgkmcnt(0)
	v_mul_f64 v[12:13], v[2:3], v[20:21]
	v_mul_f64 v[20:21], v[4:5], v[20:21]
	v_add_f64 v[6:7], v[6:7], v[10:11]
	v_add_f64 v[8:9], v[8:9], v[32:33]
	s_delay_alu instid0(VALU_DEP_4) | instskip(NEXT) | instid1(VALU_DEP_4)
	v_fma_f64 v[4:5], v[4:5], v[18:19], v[12:13]
	v_fma_f64 v[2:3], v[2:3], v[18:19], -v[20:21]
	s_delay_alu instid0(VALU_DEP_4) | instskip(NEXT) | instid1(VALU_DEP_4)
	v_add_f64 v[6:7], v[6:7], v[14:15]
	v_add_f64 v[8:9], v[8:9], v[24:25]
	s_delay_alu instid0(VALU_DEP_2) | instskip(NEXT) | instid1(VALU_DEP_2)
	v_add_f64 v[2:3], v[6:7], v[2:3]
	v_add_f64 v[4:5], v[8:9], v[4:5]
	s_delay_alu instid0(VALU_DEP_2) | instskip(NEXT) | instid1(VALU_DEP_2)
	v_add_f64 v[2:3], v[42:43], -v[2:3]
	v_add_f64 v[4:5], v[44:45], -v[4:5]
	scratch_store_b128 off, v[2:5], off offset:144
	v_cmpx_lt_u32_e32 8, v116
	s_cbranch_execz .LBB98_207
; %bb.206:
	scratch_load_b128 v[5:8], v136, off
	v_mov_b32_e32 v2, v1
	v_mov_b32_e32 v3, v1
	;; [unrolled: 1-line block ×3, first 2 shown]
	scratch_store_b128 off, v[1:4], off offset:128
	s_waitcnt vmcnt(0)
	ds_store_b128 v151, v[5:8]
.LBB98_207:
	s_or_b32 exec_lo, exec_lo, s2
	s_waitcnt lgkmcnt(0)
	s_waitcnt_vscnt null, 0x0
	s_barrier
	buffer_gl0_inv
	s_clause 0x8
	scratch_load_b128 v[2:5], off, off offset:144
	scratch_load_b128 v[6:9], off, off offset:160
	;; [unrolled: 1-line block ×9, first 2 shown]
	ds_load_b128 v[38:41], v1 offset:704
	ds_load_b128 v[42:45], v1 offset:720
	s_clause 0x1
	scratch_load_b128 v[152:155], off, off offset:128
	scratch_load_b128 v[156:159], off, off offset:288
	s_mov_b32 s2, exec_lo
	s_waitcnt vmcnt(10) lgkmcnt(1)
	v_mul_f64 v[160:161], v[40:41], v[4:5]
	v_mul_f64 v[4:5], v[38:39], v[4:5]
	s_waitcnt vmcnt(9) lgkmcnt(0)
	v_mul_f64 v[164:165], v[42:43], v[8:9]
	v_mul_f64 v[8:9], v[44:45], v[8:9]
	s_delay_alu instid0(VALU_DEP_4) | instskip(NEXT) | instid1(VALU_DEP_4)
	v_fma_f64 v[166:167], v[38:39], v[2:3], -v[160:161]
	v_fma_f64 v[168:169], v[40:41], v[2:3], v[4:5]
	ds_load_b128 v[2:5], v1 offset:736
	ds_load_b128 v[160:163], v1 offset:752
	scratch_load_b128 v[38:41], off, off offset:304
	v_fma_f64 v[44:45], v[44:45], v[6:7], v[164:165]
	v_fma_f64 v[42:43], v[42:43], v[6:7], -v[8:9]
	scratch_load_b128 v[6:9], off, off offset:320
	s_waitcnt vmcnt(10) lgkmcnt(1)
	v_mul_f64 v[170:171], v[2:3], v[12:13]
	v_mul_f64 v[12:13], v[4:5], v[12:13]
	v_add_f64 v[164:165], v[166:167], 0
	v_add_f64 v[166:167], v[168:169], 0
	s_waitcnt vmcnt(9) lgkmcnt(0)
	v_mul_f64 v[168:169], v[160:161], v[16:17]
	v_mul_f64 v[16:17], v[162:163], v[16:17]
	v_fma_f64 v[170:171], v[4:5], v[10:11], v[170:171]
	v_fma_f64 v[172:173], v[2:3], v[10:11], -v[12:13]
	ds_load_b128 v[2:5], v1 offset:768
	scratch_load_b128 v[10:13], off, off offset:336
	v_add_f64 v[164:165], v[164:165], v[42:43]
	v_add_f64 v[166:167], v[166:167], v[44:45]
	ds_load_b128 v[42:45], v1 offset:784
	v_fma_f64 v[162:163], v[162:163], v[14:15], v[168:169]
	v_fma_f64 v[160:161], v[160:161], v[14:15], -v[16:17]
	scratch_load_b128 v[14:17], off, off offset:352
	s_waitcnt vmcnt(10) lgkmcnt(1)
	v_mul_f64 v[174:175], v[2:3], v[20:21]
	v_mul_f64 v[20:21], v[4:5], v[20:21]
	s_waitcnt vmcnt(9) lgkmcnt(0)
	v_mul_f64 v[168:169], v[42:43], v[24:25]
	v_mul_f64 v[24:25], v[44:45], v[24:25]
	v_add_f64 v[164:165], v[164:165], v[172:173]
	v_add_f64 v[166:167], v[166:167], v[170:171]
	v_fma_f64 v[170:171], v[4:5], v[18:19], v[174:175]
	v_fma_f64 v[172:173], v[2:3], v[18:19], -v[20:21]
	ds_load_b128 v[2:5], v1 offset:800
	scratch_load_b128 v[18:21], off, off offset:368
	v_fma_f64 v[44:45], v[44:45], v[22:23], v[168:169]
	v_fma_f64 v[42:43], v[42:43], v[22:23], -v[24:25]
	scratch_load_b128 v[22:25], off, off offset:384
	v_add_f64 v[164:165], v[164:165], v[160:161]
	v_add_f64 v[166:167], v[166:167], v[162:163]
	ds_load_b128 v[160:163], v1 offset:816
	s_waitcnt vmcnt(10) lgkmcnt(1)
	v_mul_f64 v[174:175], v[2:3], v[28:29]
	v_mul_f64 v[28:29], v[4:5], v[28:29]
	s_waitcnt vmcnt(9) lgkmcnt(0)
	v_mul_f64 v[168:169], v[160:161], v[32:33]
	v_mul_f64 v[32:33], v[162:163], v[32:33]
	v_add_f64 v[164:165], v[164:165], v[172:173]
	v_add_f64 v[166:167], v[166:167], v[170:171]
	v_fma_f64 v[170:171], v[4:5], v[26:27], v[174:175]
	v_fma_f64 v[172:173], v[2:3], v[26:27], -v[28:29]
	ds_load_b128 v[2:5], v1 offset:832
	scratch_load_b128 v[26:29], off, off offset:400
	v_fma_f64 v[162:163], v[162:163], v[30:31], v[168:169]
	v_fma_f64 v[160:161], v[160:161], v[30:31], -v[32:33]
	scratch_load_b128 v[30:33], off, off offset:416
	v_add_f64 v[164:165], v[164:165], v[42:43]
	v_add_f64 v[166:167], v[166:167], v[44:45]
	ds_load_b128 v[42:45], v1 offset:848
	s_waitcnt vmcnt(10) lgkmcnt(1)
	v_mul_f64 v[174:175], v[2:3], v[36:37]
	v_mul_f64 v[36:37], v[4:5], v[36:37]
	s_waitcnt vmcnt(8) lgkmcnt(0)
	v_mul_f64 v[168:169], v[42:43], v[158:159]
	v_add_f64 v[164:165], v[164:165], v[172:173]
	v_add_f64 v[166:167], v[166:167], v[170:171]
	v_mul_f64 v[170:171], v[44:45], v[158:159]
	v_fma_f64 v[172:173], v[4:5], v[34:35], v[174:175]
	v_fma_f64 v[174:175], v[2:3], v[34:35], -v[36:37]
	ds_load_b128 v[2:5], v1 offset:864
	scratch_load_b128 v[34:37], off, off offset:432
	v_fma_f64 v[44:45], v[44:45], v[156:157], v[168:169]
	v_add_f64 v[164:165], v[164:165], v[160:161]
	v_add_f64 v[162:163], v[166:167], v[162:163]
	ds_load_b128 v[158:161], v1 offset:880
	v_fma_f64 v[156:157], v[42:43], v[156:157], -v[170:171]
	s_waitcnt vmcnt(8) lgkmcnt(1)
	v_mul_f64 v[166:167], v[2:3], v[40:41]
	v_mul_f64 v[176:177], v[4:5], v[40:41]
	scratch_load_b128 v[40:43], off, off offset:448
	s_waitcnt vmcnt(8) lgkmcnt(0)
	v_mul_f64 v[170:171], v[158:159], v[8:9]
	v_mul_f64 v[8:9], v[160:161], v[8:9]
	v_add_f64 v[164:165], v[164:165], v[174:175]
	v_add_f64 v[162:163], v[162:163], v[172:173]
	v_fma_f64 v[172:173], v[4:5], v[38:39], v[166:167]
	v_fma_f64 v[38:39], v[2:3], v[38:39], -v[176:177]
	ds_load_b128 v[2:5], v1 offset:896
	ds_load_b128 v[166:169], v1 offset:912
	v_fma_f64 v[160:161], v[160:161], v[6:7], v[170:171]
	v_fma_f64 v[158:159], v[158:159], v[6:7], -v[8:9]
	scratch_load_b128 v[6:9], off, off offset:480
	v_add_f64 v[156:157], v[164:165], v[156:157]
	v_add_f64 v[44:45], v[162:163], v[44:45]
	scratch_load_b128 v[162:165], off, off offset:464
	s_waitcnt vmcnt(9) lgkmcnt(1)
	v_mul_f64 v[174:175], v[2:3], v[12:13]
	v_mul_f64 v[12:13], v[4:5], v[12:13]
	s_waitcnt vmcnt(8) lgkmcnt(0)
	v_mul_f64 v[170:171], v[166:167], v[16:17]
	v_mul_f64 v[16:17], v[168:169], v[16:17]
	v_add_f64 v[38:39], v[156:157], v[38:39]
	v_add_f64 v[44:45], v[44:45], v[172:173]
	v_fma_f64 v[172:173], v[4:5], v[10:11], v[174:175]
	v_fma_f64 v[174:175], v[2:3], v[10:11], -v[12:13]
	ds_load_b128 v[2:5], v1 offset:928
	scratch_load_b128 v[10:13], off, off offset:496
	v_fma_f64 v[168:169], v[168:169], v[14:15], v[170:171]
	v_fma_f64 v[166:167], v[166:167], v[14:15], -v[16:17]
	scratch_load_b128 v[14:17], off, off offset:512
	v_add_f64 v[38:39], v[38:39], v[158:159]
	v_add_f64 v[44:45], v[44:45], v[160:161]
	ds_load_b128 v[156:159], v1 offset:944
	s_waitcnt vmcnt(9) lgkmcnt(1)
	v_mul_f64 v[160:161], v[2:3], v[20:21]
	v_mul_f64 v[20:21], v[4:5], v[20:21]
	s_waitcnt vmcnt(8) lgkmcnt(0)
	v_mul_f64 v[170:171], v[156:157], v[24:25]
	v_mul_f64 v[24:25], v[158:159], v[24:25]
	v_add_f64 v[38:39], v[38:39], v[174:175]
	v_add_f64 v[44:45], v[44:45], v[172:173]
	v_fma_f64 v[160:161], v[4:5], v[18:19], v[160:161]
	v_fma_f64 v[172:173], v[2:3], v[18:19], -v[20:21]
	ds_load_b128 v[2:5], v1 offset:960
	scratch_load_b128 v[18:21], off, off offset:528
	v_fma_f64 v[158:159], v[158:159], v[22:23], v[170:171]
	v_fma_f64 v[156:157], v[156:157], v[22:23], -v[24:25]
	scratch_load_b128 v[22:25], off, off offset:544
	v_add_f64 v[38:39], v[38:39], v[166:167]
	v_add_f64 v[44:45], v[44:45], v[168:169]
	ds_load_b128 v[166:169], v1 offset:976
	s_waitcnt vmcnt(9) lgkmcnt(1)
	v_mul_f64 v[174:175], v[2:3], v[28:29]
	v_mul_f64 v[28:29], v[4:5], v[28:29]
	v_add_f64 v[38:39], v[38:39], v[172:173]
	v_add_f64 v[44:45], v[44:45], v[160:161]
	s_waitcnt vmcnt(8) lgkmcnt(0)
	v_mul_f64 v[160:161], v[166:167], v[32:33]
	v_mul_f64 v[32:33], v[168:169], v[32:33]
	v_fma_f64 v[170:171], v[4:5], v[26:27], v[174:175]
	v_fma_f64 v[172:173], v[2:3], v[26:27], -v[28:29]
	ds_load_b128 v[2:5], v1 offset:992
	ds_load_b128 v[26:29], v1 offset:1008
	v_add_f64 v[38:39], v[38:39], v[156:157]
	v_add_f64 v[44:45], v[44:45], v[158:159]
	s_waitcnt vmcnt(7) lgkmcnt(1)
	v_mul_f64 v[156:157], v[2:3], v[36:37]
	v_mul_f64 v[36:37], v[4:5], v[36:37]
	v_fma_f64 v[158:159], v[168:169], v[30:31], v[160:161]
	v_fma_f64 v[30:31], v[166:167], v[30:31], -v[32:33]
	v_add_f64 v[32:33], v[38:39], v[172:173]
	v_add_f64 v[38:39], v[44:45], v[170:171]
	s_waitcnt vmcnt(6) lgkmcnt(0)
	v_mul_f64 v[44:45], v[26:27], v[42:43]
	v_mul_f64 v[42:43], v[28:29], v[42:43]
	v_fma_f64 v[156:157], v[4:5], v[34:35], v[156:157]
	v_fma_f64 v[34:35], v[2:3], v[34:35], -v[36:37]
	v_add_f64 v[36:37], v[32:33], v[30:31]
	v_add_f64 v[38:39], v[38:39], v[158:159]
	ds_load_b128 v[2:5], v1 offset:1024
	ds_load_b128 v[30:33], v1 offset:1040
	v_fma_f64 v[28:29], v[28:29], v[40:41], v[44:45]
	v_fma_f64 v[26:27], v[26:27], v[40:41], -v[42:43]
	s_waitcnt vmcnt(4) lgkmcnt(1)
	v_mul_f64 v[158:159], v[2:3], v[164:165]
	v_mul_f64 v[160:161], v[4:5], v[164:165]
	v_add_f64 v[34:35], v[36:37], v[34:35]
	v_add_f64 v[36:37], v[38:39], v[156:157]
	s_waitcnt lgkmcnt(0)
	v_mul_f64 v[38:39], v[30:31], v[8:9]
	v_mul_f64 v[8:9], v[32:33], v[8:9]
	v_fma_f64 v[40:41], v[4:5], v[162:163], v[158:159]
	v_fma_f64 v[42:43], v[2:3], v[162:163], -v[160:161]
	v_add_f64 v[34:35], v[34:35], v[26:27]
	v_add_f64 v[36:37], v[36:37], v[28:29]
	ds_load_b128 v[2:5], v1 offset:1056
	ds_load_b128 v[26:29], v1 offset:1072
	v_fma_f64 v[32:33], v[32:33], v[6:7], v[38:39]
	v_fma_f64 v[6:7], v[30:31], v[6:7], -v[8:9]
	s_waitcnt vmcnt(3) lgkmcnt(1)
	v_mul_f64 v[44:45], v[2:3], v[12:13]
	v_mul_f64 v[12:13], v[4:5], v[12:13]
	v_add_f64 v[8:9], v[34:35], v[42:43]
	v_add_f64 v[30:31], v[36:37], v[40:41]
	s_waitcnt vmcnt(2) lgkmcnt(0)
	v_mul_f64 v[34:35], v[26:27], v[16:17]
	v_mul_f64 v[16:17], v[28:29], v[16:17]
	v_fma_f64 v[36:37], v[4:5], v[10:11], v[44:45]
	v_fma_f64 v[10:11], v[2:3], v[10:11], -v[12:13]
	v_add_f64 v[12:13], v[8:9], v[6:7]
	v_add_f64 v[30:31], v[30:31], v[32:33]
	ds_load_b128 v[2:5], v1 offset:1088
	ds_load_b128 v[6:9], v1 offset:1104
	v_fma_f64 v[28:29], v[28:29], v[14:15], v[34:35]
	v_fma_f64 v[14:15], v[26:27], v[14:15], -v[16:17]
	s_waitcnt vmcnt(1) lgkmcnt(1)
	v_mul_f64 v[32:33], v[2:3], v[20:21]
	v_mul_f64 v[20:21], v[4:5], v[20:21]
	s_waitcnt vmcnt(0) lgkmcnt(0)
	v_mul_f64 v[16:17], v[6:7], v[24:25]
	v_mul_f64 v[24:25], v[8:9], v[24:25]
	v_add_f64 v[10:11], v[12:13], v[10:11]
	v_add_f64 v[12:13], v[30:31], v[36:37]
	v_fma_f64 v[4:5], v[4:5], v[18:19], v[32:33]
	v_fma_f64 v[1:2], v[2:3], v[18:19], -v[20:21]
	v_fma_f64 v[8:9], v[8:9], v[22:23], v[16:17]
	v_fma_f64 v[6:7], v[6:7], v[22:23], -v[24:25]
	v_add_f64 v[10:11], v[10:11], v[14:15]
	v_add_f64 v[12:13], v[12:13], v[28:29]
	s_delay_alu instid0(VALU_DEP_2) | instskip(NEXT) | instid1(VALU_DEP_2)
	v_add_f64 v[1:2], v[10:11], v[1:2]
	v_add_f64 v[3:4], v[12:13], v[4:5]
	s_delay_alu instid0(VALU_DEP_2) | instskip(NEXT) | instid1(VALU_DEP_2)
	;; [unrolled: 3-line block ×3, first 2 shown]
	v_add_f64 v[1:2], v[152:153], -v[1:2]
	v_add_f64 v[3:4], v[154:155], -v[3:4]
	scratch_store_b128 off, v[1:4], off offset:128
	v_cmpx_lt_u32_e32 7, v116
	s_cbranch_execz .LBB98_209
; %bb.208:
	scratch_load_b128 v[1:4], v139, off
	v_mov_b32_e32 v5, 0
	s_delay_alu instid0(VALU_DEP_1)
	v_mov_b32_e32 v6, v5
	v_mov_b32_e32 v7, v5
	;; [unrolled: 1-line block ×3, first 2 shown]
	scratch_store_b128 off, v[5:8], off offset:112
	s_waitcnt vmcnt(0)
	ds_store_b128 v151, v[1:4]
.LBB98_209:
	s_or_b32 exec_lo, exec_lo, s2
	s_waitcnt lgkmcnt(0)
	s_waitcnt_vscnt null, 0x0
	s_barrier
	buffer_gl0_inv
	s_clause 0x7
	scratch_load_b128 v[2:5], off, off offset:128
	scratch_load_b128 v[6:9], off, off offset:144
	;; [unrolled: 1-line block ×8, first 2 shown]
	v_mov_b32_e32 v1, 0
	s_mov_b32 s2, exec_lo
	ds_load_b128 v[38:41], v1 offset:688
	s_clause 0x1
	scratch_load_b128 v[34:37], off, off offset:256
	scratch_load_b128 v[42:45], off, off offset:112
	ds_load_b128 v[152:155], v1 offset:704
	scratch_load_b128 v[156:159], off, off offset:272
	s_waitcnt vmcnt(10) lgkmcnt(1)
	v_mul_f64 v[160:161], v[40:41], v[4:5]
	v_mul_f64 v[4:5], v[38:39], v[4:5]
	s_delay_alu instid0(VALU_DEP_2) | instskip(NEXT) | instid1(VALU_DEP_2)
	v_fma_f64 v[166:167], v[38:39], v[2:3], -v[160:161]
	v_fma_f64 v[168:169], v[40:41], v[2:3], v[4:5]
	scratch_load_b128 v[38:41], off, off offset:288
	ds_load_b128 v[2:5], v1 offset:720
	s_waitcnt vmcnt(10) lgkmcnt(1)
	v_mul_f64 v[164:165], v[152:153], v[8:9]
	v_mul_f64 v[8:9], v[154:155], v[8:9]
	ds_load_b128 v[160:163], v1 offset:736
	s_waitcnt vmcnt(9) lgkmcnt(1)
	v_mul_f64 v[170:171], v[2:3], v[12:13]
	v_mul_f64 v[12:13], v[4:5], v[12:13]
	v_fma_f64 v[154:155], v[154:155], v[6:7], v[164:165]
	v_fma_f64 v[152:153], v[152:153], v[6:7], -v[8:9]
	v_add_f64 v[164:165], v[166:167], 0
	v_add_f64 v[166:167], v[168:169], 0
	scratch_load_b128 v[6:9], off, off offset:304
	v_fma_f64 v[170:171], v[4:5], v[10:11], v[170:171]
	v_fma_f64 v[172:173], v[2:3], v[10:11], -v[12:13]
	scratch_load_b128 v[10:13], off, off offset:320
	ds_load_b128 v[2:5], v1 offset:752
	s_waitcnt vmcnt(10) lgkmcnt(1)
	v_mul_f64 v[168:169], v[160:161], v[16:17]
	v_mul_f64 v[16:17], v[162:163], v[16:17]
	v_add_f64 v[164:165], v[164:165], v[152:153]
	v_add_f64 v[166:167], v[166:167], v[154:155]
	s_waitcnt vmcnt(9) lgkmcnt(0)
	v_mul_f64 v[174:175], v[2:3], v[20:21]
	v_mul_f64 v[20:21], v[4:5], v[20:21]
	ds_load_b128 v[152:155], v1 offset:768
	v_fma_f64 v[162:163], v[162:163], v[14:15], v[168:169]
	v_fma_f64 v[160:161], v[160:161], v[14:15], -v[16:17]
	scratch_load_b128 v[14:17], off, off offset:336
	v_add_f64 v[164:165], v[164:165], v[172:173]
	v_add_f64 v[166:167], v[166:167], v[170:171]
	v_fma_f64 v[170:171], v[4:5], v[18:19], v[174:175]
	v_fma_f64 v[172:173], v[2:3], v[18:19], -v[20:21]
	scratch_load_b128 v[18:21], off, off offset:352
	ds_load_b128 v[2:5], v1 offset:784
	s_waitcnt vmcnt(10) lgkmcnt(1)
	v_mul_f64 v[168:169], v[152:153], v[24:25]
	v_mul_f64 v[24:25], v[154:155], v[24:25]
	s_waitcnt vmcnt(9) lgkmcnt(0)
	v_mul_f64 v[174:175], v[2:3], v[28:29]
	v_mul_f64 v[28:29], v[4:5], v[28:29]
	v_add_f64 v[164:165], v[164:165], v[160:161]
	v_add_f64 v[166:167], v[166:167], v[162:163]
	ds_load_b128 v[160:163], v1 offset:800
	v_fma_f64 v[154:155], v[154:155], v[22:23], v[168:169]
	v_fma_f64 v[152:153], v[152:153], v[22:23], -v[24:25]
	scratch_load_b128 v[22:25], off, off offset:368
	v_add_f64 v[164:165], v[164:165], v[172:173]
	v_add_f64 v[166:167], v[166:167], v[170:171]
	v_fma_f64 v[170:171], v[4:5], v[26:27], v[174:175]
	v_fma_f64 v[172:173], v[2:3], v[26:27], -v[28:29]
	scratch_load_b128 v[26:29], off, off offset:384
	ds_load_b128 v[2:5], v1 offset:816
	s_waitcnt vmcnt(10) lgkmcnt(1)
	v_mul_f64 v[168:169], v[160:161], v[32:33]
	v_mul_f64 v[32:33], v[162:163], v[32:33]
	s_waitcnt vmcnt(9) lgkmcnt(0)
	v_mul_f64 v[174:175], v[2:3], v[36:37]
	v_mul_f64 v[36:37], v[4:5], v[36:37]
	v_add_f64 v[164:165], v[164:165], v[152:153]
	v_add_f64 v[166:167], v[166:167], v[154:155]
	ds_load_b128 v[152:155], v1 offset:832
	v_fma_f64 v[162:163], v[162:163], v[30:31], v[168:169]
	v_fma_f64 v[160:161], v[160:161], v[30:31], -v[32:33]
	scratch_load_b128 v[30:33], off, off offset:400
	v_add_f64 v[164:165], v[164:165], v[172:173]
	v_add_f64 v[166:167], v[166:167], v[170:171]
	v_fma_f64 v[172:173], v[4:5], v[34:35], v[174:175]
	v_fma_f64 v[174:175], v[2:3], v[34:35], -v[36:37]
	scratch_load_b128 v[34:37], off, off offset:416
	ds_load_b128 v[2:5], v1 offset:848
	s_waitcnt vmcnt(9) lgkmcnt(1)
	v_mul_f64 v[168:169], v[152:153], v[158:159]
	v_mul_f64 v[170:171], v[154:155], v[158:159]
	v_add_f64 v[164:165], v[164:165], v[160:161]
	v_add_f64 v[162:163], v[166:167], v[162:163]
	ds_load_b128 v[158:161], v1 offset:864
	v_fma_f64 v[168:169], v[154:155], v[156:157], v[168:169]
	v_fma_f64 v[156:157], v[152:153], v[156:157], -v[170:171]
	scratch_load_b128 v[152:155], off, off offset:432
	s_waitcnt vmcnt(9) lgkmcnt(1)
	v_mul_f64 v[166:167], v[2:3], v[40:41]
	v_mul_f64 v[40:41], v[4:5], v[40:41]
	v_add_f64 v[164:165], v[164:165], v[174:175]
	v_add_f64 v[162:163], v[162:163], v[172:173]
	s_delay_alu instid0(VALU_DEP_4) | instskip(NEXT) | instid1(VALU_DEP_4)
	v_fma_f64 v[166:167], v[4:5], v[38:39], v[166:167]
	v_fma_f64 v[172:173], v[2:3], v[38:39], -v[40:41]
	scratch_load_b128 v[38:41], off, off offset:448
	ds_load_b128 v[2:5], v1 offset:880
	s_waitcnt vmcnt(9) lgkmcnt(1)
	v_mul_f64 v[170:171], v[158:159], v[8:9]
	v_mul_f64 v[8:9], v[160:161], v[8:9]
	s_waitcnt vmcnt(8) lgkmcnt(0)
	v_mul_f64 v[174:175], v[2:3], v[12:13]
	v_mul_f64 v[12:13], v[4:5], v[12:13]
	v_add_f64 v[156:157], v[164:165], v[156:157]
	v_add_f64 v[168:169], v[162:163], v[168:169]
	ds_load_b128 v[162:165], v1 offset:896
	v_fma_f64 v[160:161], v[160:161], v[6:7], v[170:171]
	v_fma_f64 v[158:159], v[158:159], v[6:7], -v[8:9]
	scratch_load_b128 v[6:9], off, off offset:464
	v_fma_f64 v[170:171], v[4:5], v[10:11], v[174:175]
	v_add_f64 v[156:157], v[156:157], v[172:173]
	v_add_f64 v[166:167], v[168:169], v[166:167]
	v_fma_f64 v[172:173], v[2:3], v[10:11], -v[12:13]
	scratch_load_b128 v[10:13], off, off offset:480
	ds_load_b128 v[2:5], v1 offset:912
	s_waitcnt vmcnt(9) lgkmcnt(1)
	v_mul_f64 v[168:169], v[162:163], v[16:17]
	v_mul_f64 v[16:17], v[164:165], v[16:17]
	v_add_f64 v[174:175], v[156:157], v[158:159]
	v_add_f64 v[160:161], v[166:167], v[160:161]
	s_waitcnt vmcnt(8) lgkmcnt(0)
	v_mul_f64 v[166:167], v[2:3], v[20:21]
	v_mul_f64 v[20:21], v[4:5], v[20:21]
	ds_load_b128 v[156:159], v1 offset:928
	v_fma_f64 v[164:165], v[164:165], v[14:15], v[168:169]
	v_fma_f64 v[162:163], v[162:163], v[14:15], -v[16:17]
	scratch_load_b128 v[14:17], off, off offset:496
	v_add_f64 v[168:169], v[174:175], v[172:173]
	v_add_f64 v[160:161], v[160:161], v[170:171]
	v_fma_f64 v[166:167], v[4:5], v[18:19], v[166:167]
	v_fma_f64 v[172:173], v[2:3], v[18:19], -v[20:21]
	scratch_load_b128 v[18:21], off, off offset:512
	ds_load_b128 v[2:5], v1 offset:944
	s_waitcnt vmcnt(9) lgkmcnt(1)
	v_mul_f64 v[170:171], v[156:157], v[24:25]
	v_mul_f64 v[24:25], v[158:159], v[24:25]
	s_waitcnt vmcnt(8) lgkmcnt(0)
	v_mul_f64 v[174:175], v[2:3], v[28:29]
	v_mul_f64 v[28:29], v[4:5], v[28:29]
	v_add_f64 v[168:169], v[168:169], v[162:163]
	v_add_f64 v[164:165], v[160:161], v[164:165]
	ds_load_b128 v[160:163], v1 offset:960
	v_fma_f64 v[158:159], v[158:159], v[22:23], v[170:171]
	v_fma_f64 v[156:157], v[156:157], v[22:23], -v[24:25]
	scratch_load_b128 v[22:25], off, off offset:528
	v_fma_f64 v[170:171], v[4:5], v[26:27], v[174:175]
	v_add_f64 v[168:169], v[168:169], v[172:173]
	v_add_f64 v[164:165], v[164:165], v[166:167]
	v_fma_f64 v[172:173], v[2:3], v[26:27], -v[28:29]
	scratch_load_b128 v[26:29], off, off offset:544
	ds_load_b128 v[2:5], v1 offset:976
	s_waitcnt vmcnt(9) lgkmcnt(1)
	v_mul_f64 v[166:167], v[160:161], v[32:33]
	v_mul_f64 v[32:33], v[162:163], v[32:33]
	s_waitcnt vmcnt(8) lgkmcnt(0)
	v_mul_f64 v[174:175], v[2:3], v[36:37]
	v_mul_f64 v[36:37], v[4:5], v[36:37]
	v_add_f64 v[168:169], v[168:169], v[156:157]
	v_add_f64 v[164:165], v[164:165], v[158:159]
	ds_load_b128 v[156:159], v1 offset:992
	v_fma_f64 v[162:163], v[162:163], v[30:31], v[166:167]
	v_fma_f64 v[30:31], v[160:161], v[30:31], -v[32:33]
	v_fma_f64 v[166:167], v[4:5], v[34:35], v[174:175]
	v_fma_f64 v[34:35], v[2:3], v[34:35], -v[36:37]
	v_add_f64 v[32:33], v[168:169], v[172:173]
	v_add_f64 v[160:161], v[164:165], v[170:171]
	s_waitcnt vmcnt(7) lgkmcnt(0)
	v_mul_f64 v[164:165], v[156:157], v[154:155]
	v_mul_f64 v[154:155], v[158:159], v[154:155]
	s_delay_alu instid0(VALU_DEP_4) | instskip(NEXT) | instid1(VALU_DEP_4)
	v_add_f64 v[36:37], v[32:33], v[30:31]
	v_add_f64 v[160:161], v[160:161], v[162:163]
	ds_load_b128 v[2:5], v1 offset:1008
	ds_load_b128 v[30:33], v1 offset:1024
	v_fma_f64 v[158:159], v[158:159], v[152:153], v[164:165]
	v_fma_f64 v[152:153], v[156:157], v[152:153], -v[154:155]
	s_waitcnt vmcnt(6) lgkmcnt(1)
	v_mul_f64 v[162:163], v[2:3], v[40:41]
	v_mul_f64 v[40:41], v[4:5], v[40:41]
	s_waitcnt vmcnt(5) lgkmcnt(0)
	v_mul_f64 v[154:155], v[30:31], v[8:9]
	v_mul_f64 v[8:9], v[32:33], v[8:9]
	v_add_f64 v[34:35], v[36:37], v[34:35]
	v_add_f64 v[36:37], v[160:161], v[166:167]
	v_fma_f64 v[156:157], v[4:5], v[38:39], v[162:163]
	v_fma_f64 v[38:39], v[2:3], v[38:39], -v[40:41]
	v_fma_f64 v[32:33], v[32:33], v[6:7], v[154:155]
	v_fma_f64 v[6:7], v[30:31], v[6:7], -v[8:9]
	v_add_f64 v[40:41], v[34:35], v[152:153]
	v_add_f64 v[152:153], v[36:37], v[158:159]
	ds_load_b128 v[2:5], v1 offset:1040
	ds_load_b128 v[34:37], v1 offset:1056
	s_waitcnt vmcnt(4) lgkmcnt(1)
	v_mul_f64 v[158:159], v[2:3], v[12:13]
	v_mul_f64 v[12:13], v[4:5], v[12:13]
	v_add_f64 v[8:9], v[40:41], v[38:39]
	v_add_f64 v[30:31], v[152:153], v[156:157]
	s_waitcnt vmcnt(3) lgkmcnt(0)
	v_mul_f64 v[38:39], v[34:35], v[16:17]
	v_mul_f64 v[16:17], v[36:37], v[16:17]
	v_fma_f64 v[40:41], v[4:5], v[10:11], v[158:159]
	v_fma_f64 v[10:11], v[2:3], v[10:11], -v[12:13]
	v_add_f64 v[12:13], v[8:9], v[6:7]
	v_add_f64 v[30:31], v[30:31], v[32:33]
	ds_load_b128 v[2:5], v1 offset:1072
	ds_load_b128 v[6:9], v1 offset:1088
	v_fma_f64 v[36:37], v[36:37], v[14:15], v[38:39]
	v_fma_f64 v[14:15], v[34:35], v[14:15], -v[16:17]
	s_waitcnt vmcnt(2) lgkmcnt(1)
	v_mul_f64 v[32:33], v[2:3], v[20:21]
	v_mul_f64 v[20:21], v[4:5], v[20:21]
	s_waitcnt vmcnt(1) lgkmcnt(0)
	v_mul_f64 v[16:17], v[6:7], v[24:25]
	v_mul_f64 v[24:25], v[8:9], v[24:25]
	v_add_f64 v[10:11], v[12:13], v[10:11]
	v_add_f64 v[12:13], v[30:31], v[40:41]
	v_fma_f64 v[30:31], v[4:5], v[18:19], v[32:33]
	v_fma_f64 v[18:19], v[2:3], v[18:19], -v[20:21]
	ds_load_b128 v[2:5], v1 offset:1104
	v_fma_f64 v[8:9], v[8:9], v[22:23], v[16:17]
	v_fma_f64 v[6:7], v[6:7], v[22:23], -v[24:25]
	v_add_f64 v[10:11], v[10:11], v[14:15]
	v_add_f64 v[12:13], v[12:13], v[36:37]
	s_waitcnt vmcnt(0) lgkmcnt(0)
	v_mul_f64 v[14:15], v[2:3], v[28:29]
	v_mul_f64 v[20:21], v[4:5], v[28:29]
	s_delay_alu instid0(VALU_DEP_4) | instskip(NEXT) | instid1(VALU_DEP_4)
	v_add_f64 v[10:11], v[10:11], v[18:19]
	v_add_f64 v[12:13], v[12:13], v[30:31]
	s_delay_alu instid0(VALU_DEP_4) | instskip(NEXT) | instid1(VALU_DEP_4)
	v_fma_f64 v[4:5], v[4:5], v[26:27], v[14:15]
	v_fma_f64 v[2:3], v[2:3], v[26:27], -v[20:21]
	s_delay_alu instid0(VALU_DEP_4) | instskip(NEXT) | instid1(VALU_DEP_4)
	v_add_f64 v[6:7], v[10:11], v[6:7]
	v_add_f64 v[8:9], v[12:13], v[8:9]
	s_delay_alu instid0(VALU_DEP_2) | instskip(NEXT) | instid1(VALU_DEP_2)
	v_add_f64 v[2:3], v[6:7], v[2:3]
	v_add_f64 v[4:5], v[8:9], v[4:5]
	s_delay_alu instid0(VALU_DEP_2) | instskip(NEXT) | instid1(VALU_DEP_2)
	v_add_f64 v[2:3], v[42:43], -v[2:3]
	v_add_f64 v[4:5], v[44:45], -v[4:5]
	scratch_store_b128 off, v[2:5], off offset:112
	v_cmpx_lt_u32_e32 6, v116
	s_cbranch_execz .LBB98_211
; %bb.210:
	scratch_load_b128 v[5:8], v141, off
	v_mov_b32_e32 v2, v1
	v_mov_b32_e32 v3, v1
	;; [unrolled: 1-line block ×3, first 2 shown]
	scratch_store_b128 off, v[1:4], off offset:96
	s_waitcnt vmcnt(0)
	ds_store_b128 v151, v[5:8]
.LBB98_211:
	s_or_b32 exec_lo, exec_lo, s2
	s_waitcnt lgkmcnt(0)
	s_waitcnt_vscnt null, 0x0
	s_barrier
	buffer_gl0_inv
	s_clause 0x8
	scratch_load_b128 v[2:5], off, off offset:112
	scratch_load_b128 v[6:9], off, off offset:128
	scratch_load_b128 v[10:13], off, off offset:144
	scratch_load_b128 v[14:17], off, off offset:160
	scratch_load_b128 v[18:21], off, off offset:176
	scratch_load_b128 v[22:25], off, off offset:192
	scratch_load_b128 v[26:29], off, off offset:208
	scratch_load_b128 v[30:33], off, off offset:224
	scratch_load_b128 v[34:37], off, off offset:240
	ds_load_b128 v[42:45], v1 offset:672
	ds_load_b128 v[38:41], v1 offset:688
	s_clause 0x1
	scratch_load_b128 v[152:155], off, off offset:96
	scratch_load_b128 v[156:159], off, off offset:256
	s_mov_b32 s2, exec_lo
	s_waitcnt vmcnt(10) lgkmcnt(1)
	v_mul_f64 v[160:161], v[44:45], v[4:5]
	v_mul_f64 v[4:5], v[42:43], v[4:5]
	s_waitcnt vmcnt(9) lgkmcnt(0)
	v_mul_f64 v[164:165], v[38:39], v[8:9]
	v_mul_f64 v[8:9], v[40:41], v[8:9]
	s_delay_alu instid0(VALU_DEP_4) | instskip(NEXT) | instid1(VALU_DEP_4)
	v_fma_f64 v[166:167], v[42:43], v[2:3], -v[160:161]
	v_fma_f64 v[168:169], v[44:45], v[2:3], v[4:5]
	ds_load_b128 v[2:5], v1 offset:704
	ds_load_b128 v[160:163], v1 offset:720
	scratch_load_b128 v[42:45], off, off offset:272
	v_fma_f64 v[40:41], v[40:41], v[6:7], v[164:165]
	v_fma_f64 v[38:39], v[38:39], v[6:7], -v[8:9]
	scratch_load_b128 v[6:9], off, off offset:288
	s_waitcnt vmcnt(10) lgkmcnt(1)
	v_mul_f64 v[170:171], v[2:3], v[12:13]
	v_mul_f64 v[12:13], v[4:5], v[12:13]
	v_add_f64 v[164:165], v[166:167], 0
	v_add_f64 v[166:167], v[168:169], 0
	s_waitcnt vmcnt(9) lgkmcnt(0)
	v_mul_f64 v[168:169], v[160:161], v[16:17]
	v_mul_f64 v[16:17], v[162:163], v[16:17]
	v_fma_f64 v[170:171], v[4:5], v[10:11], v[170:171]
	v_fma_f64 v[172:173], v[2:3], v[10:11], -v[12:13]
	ds_load_b128 v[2:5], v1 offset:736
	scratch_load_b128 v[10:13], off, off offset:304
	v_add_f64 v[164:165], v[164:165], v[38:39]
	v_add_f64 v[166:167], v[166:167], v[40:41]
	ds_load_b128 v[38:41], v1 offset:752
	v_fma_f64 v[162:163], v[162:163], v[14:15], v[168:169]
	v_fma_f64 v[160:161], v[160:161], v[14:15], -v[16:17]
	scratch_load_b128 v[14:17], off, off offset:320
	s_waitcnt vmcnt(10) lgkmcnt(1)
	v_mul_f64 v[174:175], v[2:3], v[20:21]
	v_mul_f64 v[20:21], v[4:5], v[20:21]
	s_waitcnt vmcnt(9) lgkmcnt(0)
	v_mul_f64 v[168:169], v[38:39], v[24:25]
	v_mul_f64 v[24:25], v[40:41], v[24:25]
	v_add_f64 v[164:165], v[164:165], v[172:173]
	v_add_f64 v[166:167], v[166:167], v[170:171]
	v_fma_f64 v[170:171], v[4:5], v[18:19], v[174:175]
	v_fma_f64 v[172:173], v[2:3], v[18:19], -v[20:21]
	ds_load_b128 v[2:5], v1 offset:768
	scratch_load_b128 v[18:21], off, off offset:336
	v_fma_f64 v[40:41], v[40:41], v[22:23], v[168:169]
	v_fma_f64 v[38:39], v[38:39], v[22:23], -v[24:25]
	scratch_load_b128 v[22:25], off, off offset:352
	v_add_f64 v[164:165], v[164:165], v[160:161]
	v_add_f64 v[166:167], v[166:167], v[162:163]
	ds_load_b128 v[160:163], v1 offset:784
	s_waitcnt vmcnt(10) lgkmcnt(1)
	v_mul_f64 v[174:175], v[2:3], v[28:29]
	v_mul_f64 v[28:29], v[4:5], v[28:29]
	s_waitcnt vmcnt(9) lgkmcnt(0)
	v_mul_f64 v[168:169], v[160:161], v[32:33]
	v_mul_f64 v[32:33], v[162:163], v[32:33]
	v_add_f64 v[164:165], v[164:165], v[172:173]
	v_add_f64 v[166:167], v[166:167], v[170:171]
	v_fma_f64 v[170:171], v[4:5], v[26:27], v[174:175]
	v_fma_f64 v[172:173], v[2:3], v[26:27], -v[28:29]
	ds_load_b128 v[2:5], v1 offset:800
	scratch_load_b128 v[26:29], off, off offset:368
	v_fma_f64 v[162:163], v[162:163], v[30:31], v[168:169]
	v_fma_f64 v[160:161], v[160:161], v[30:31], -v[32:33]
	scratch_load_b128 v[30:33], off, off offset:384
	v_add_f64 v[164:165], v[164:165], v[38:39]
	v_add_f64 v[166:167], v[166:167], v[40:41]
	ds_load_b128 v[38:41], v1 offset:816
	s_waitcnt vmcnt(10) lgkmcnt(1)
	v_mul_f64 v[174:175], v[2:3], v[36:37]
	v_mul_f64 v[36:37], v[4:5], v[36:37]
	s_waitcnt vmcnt(8) lgkmcnt(0)
	v_mul_f64 v[168:169], v[38:39], v[158:159]
	v_add_f64 v[164:165], v[164:165], v[172:173]
	v_add_f64 v[166:167], v[166:167], v[170:171]
	v_mul_f64 v[170:171], v[40:41], v[158:159]
	v_fma_f64 v[172:173], v[4:5], v[34:35], v[174:175]
	v_fma_f64 v[174:175], v[2:3], v[34:35], -v[36:37]
	ds_load_b128 v[2:5], v1 offset:832
	scratch_load_b128 v[34:37], off, off offset:400
	v_fma_f64 v[168:169], v[40:41], v[156:157], v[168:169]
	v_add_f64 v[164:165], v[164:165], v[160:161]
	v_add_f64 v[162:163], v[166:167], v[162:163]
	ds_load_b128 v[158:161], v1 offset:848
	v_fma_f64 v[156:157], v[38:39], v[156:157], -v[170:171]
	scratch_load_b128 v[38:41], off, off offset:416
	s_waitcnt vmcnt(9) lgkmcnt(1)
	v_mul_f64 v[166:167], v[2:3], v[44:45]
	v_mul_f64 v[44:45], v[4:5], v[44:45]
	s_waitcnt vmcnt(8) lgkmcnt(0)
	v_mul_f64 v[170:171], v[158:159], v[8:9]
	v_mul_f64 v[8:9], v[160:161], v[8:9]
	v_add_f64 v[164:165], v[164:165], v[174:175]
	v_add_f64 v[162:163], v[162:163], v[172:173]
	v_fma_f64 v[166:167], v[4:5], v[42:43], v[166:167]
	v_fma_f64 v[172:173], v[2:3], v[42:43], -v[44:45]
	ds_load_b128 v[2:5], v1 offset:864
	scratch_load_b128 v[42:45], off, off offset:432
	v_fma_f64 v[160:161], v[160:161], v[6:7], v[170:171]
	v_fma_f64 v[158:159], v[158:159], v[6:7], -v[8:9]
	scratch_load_b128 v[6:9], off, off offset:448
	v_add_f64 v[156:157], v[164:165], v[156:157]
	v_add_f64 v[168:169], v[162:163], v[168:169]
	ds_load_b128 v[162:165], v1 offset:880
	s_waitcnt vmcnt(9) lgkmcnt(1)
	v_mul_f64 v[174:175], v[2:3], v[12:13]
	v_mul_f64 v[12:13], v[4:5], v[12:13]
	v_add_f64 v[156:157], v[156:157], v[172:173]
	v_add_f64 v[166:167], v[168:169], v[166:167]
	s_waitcnt vmcnt(8) lgkmcnt(0)
	v_mul_f64 v[168:169], v[162:163], v[16:17]
	v_mul_f64 v[16:17], v[164:165], v[16:17]
	v_fma_f64 v[170:171], v[4:5], v[10:11], v[174:175]
	v_fma_f64 v[172:173], v[2:3], v[10:11], -v[12:13]
	ds_load_b128 v[2:5], v1 offset:896
	scratch_load_b128 v[10:13], off, off offset:464
	v_add_f64 v[174:175], v[156:157], v[158:159]
	v_add_f64 v[160:161], v[166:167], v[160:161]
	ds_load_b128 v[156:159], v1 offset:912
	s_waitcnt vmcnt(8) lgkmcnt(1)
	v_mul_f64 v[166:167], v[2:3], v[20:21]
	v_mul_f64 v[20:21], v[4:5], v[20:21]
	v_fma_f64 v[164:165], v[164:165], v[14:15], v[168:169]
	v_fma_f64 v[162:163], v[162:163], v[14:15], -v[16:17]
	scratch_load_b128 v[14:17], off, off offset:480
	v_add_f64 v[168:169], v[174:175], v[172:173]
	v_add_f64 v[160:161], v[160:161], v[170:171]
	s_waitcnt vmcnt(8) lgkmcnt(0)
	v_mul_f64 v[170:171], v[156:157], v[24:25]
	v_mul_f64 v[24:25], v[158:159], v[24:25]
	v_fma_f64 v[166:167], v[4:5], v[18:19], v[166:167]
	v_fma_f64 v[172:173], v[2:3], v[18:19], -v[20:21]
	ds_load_b128 v[2:5], v1 offset:928
	scratch_load_b128 v[18:21], off, off offset:496
	v_add_f64 v[168:169], v[168:169], v[162:163]
	v_add_f64 v[164:165], v[160:161], v[164:165]
	ds_load_b128 v[160:163], v1 offset:944
	s_waitcnt vmcnt(8) lgkmcnt(1)
	v_mul_f64 v[174:175], v[2:3], v[28:29]
	v_mul_f64 v[28:29], v[4:5], v[28:29]
	v_fma_f64 v[158:159], v[158:159], v[22:23], v[170:171]
	v_fma_f64 v[156:157], v[156:157], v[22:23], -v[24:25]
	scratch_load_b128 v[22:25], off, off offset:512
	;; [unrolled: 18-line block ×3, first 2 shown]
	v_add_f64 v[166:167], v[168:169], v[172:173]
	v_add_f64 v[164:165], v[164:165], v[170:171]
	s_waitcnt vmcnt(8) lgkmcnt(0)
	v_mul_f64 v[168:169], v[156:157], v[40:41]
	v_mul_f64 v[40:41], v[158:159], v[40:41]
	v_fma_f64 v[170:171], v[4:5], v[34:35], v[174:175]
	v_fma_f64 v[172:173], v[2:3], v[34:35], -v[36:37]
	ds_load_b128 v[2:5], v1 offset:992
	ds_load_b128 v[34:37], v1 offset:1008
	v_add_f64 v[160:161], v[166:167], v[160:161]
	v_add_f64 v[162:163], v[164:165], v[162:163]
	s_waitcnt vmcnt(7) lgkmcnt(1)
	v_mul_f64 v[164:165], v[2:3], v[44:45]
	v_mul_f64 v[44:45], v[4:5], v[44:45]
	v_fma_f64 v[158:159], v[158:159], v[38:39], v[168:169]
	v_fma_f64 v[38:39], v[156:157], v[38:39], -v[40:41]
	v_add_f64 v[40:41], v[160:161], v[172:173]
	v_add_f64 v[156:157], v[162:163], v[170:171]
	s_waitcnt vmcnt(6) lgkmcnt(0)
	v_mul_f64 v[160:161], v[34:35], v[8:9]
	v_mul_f64 v[8:9], v[36:37], v[8:9]
	v_fma_f64 v[162:163], v[4:5], v[42:43], v[164:165]
	v_fma_f64 v[42:43], v[2:3], v[42:43], -v[44:45]
	v_add_f64 v[44:45], v[40:41], v[38:39]
	v_add_f64 v[156:157], v[156:157], v[158:159]
	ds_load_b128 v[2:5], v1 offset:1024
	ds_load_b128 v[38:41], v1 offset:1040
	v_fma_f64 v[36:37], v[36:37], v[6:7], v[160:161]
	v_fma_f64 v[6:7], v[34:35], v[6:7], -v[8:9]
	s_waitcnt vmcnt(5) lgkmcnt(1)
	v_mul_f64 v[158:159], v[2:3], v[12:13]
	v_mul_f64 v[12:13], v[4:5], v[12:13]
	v_add_f64 v[8:9], v[44:45], v[42:43]
	v_add_f64 v[34:35], v[156:157], v[162:163]
	s_waitcnt vmcnt(4) lgkmcnt(0)
	v_mul_f64 v[42:43], v[38:39], v[16:17]
	v_mul_f64 v[16:17], v[40:41], v[16:17]
	v_fma_f64 v[44:45], v[4:5], v[10:11], v[158:159]
	v_fma_f64 v[10:11], v[2:3], v[10:11], -v[12:13]
	v_add_f64 v[12:13], v[8:9], v[6:7]
	v_add_f64 v[34:35], v[34:35], v[36:37]
	ds_load_b128 v[2:5], v1 offset:1056
	ds_load_b128 v[6:9], v1 offset:1072
	v_fma_f64 v[40:41], v[40:41], v[14:15], v[42:43]
	v_fma_f64 v[14:15], v[38:39], v[14:15], -v[16:17]
	s_waitcnt vmcnt(3) lgkmcnt(1)
	v_mul_f64 v[36:37], v[2:3], v[20:21]
	v_mul_f64 v[20:21], v[4:5], v[20:21]
	s_waitcnt vmcnt(2) lgkmcnt(0)
	v_mul_f64 v[16:17], v[6:7], v[24:25]
	v_mul_f64 v[24:25], v[8:9], v[24:25]
	v_add_f64 v[10:11], v[12:13], v[10:11]
	v_add_f64 v[12:13], v[34:35], v[44:45]
	v_fma_f64 v[34:35], v[4:5], v[18:19], v[36:37]
	v_fma_f64 v[18:19], v[2:3], v[18:19], -v[20:21]
	v_fma_f64 v[8:9], v[8:9], v[22:23], v[16:17]
	v_fma_f64 v[6:7], v[6:7], v[22:23], -v[24:25]
	v_add_f64 v[14:15], v[10:11], v[14:15]
	v_add_f64 v[20:21], v[12:13], v[40:41]
	ds_load_b128 v[2:5], v1 offset:1088
	ds_load_b128 v[10:13], v1 offset:1104
	s_waitcnt vmcnt(1) lgkmcnt(1)
	v_mul_f64 v[36:37], v[2:3], v[28:29]
	v_mul_f64 v[28:29], v[4:5], v[28:29]
	v_add_f64 v[14:15], v[14:15], v[18:19]
	v_add_f64 v[16:17], v[20:21], v[34:35]
	s_waitcnt vmcnt(0) lgkmcnt(0)
	v_mul_f64 v[18:19], v[10:11], v[32:33]
	v_mul_f64 v[20:21], v[12:13], v[32:33]
	v_fma_f64 v[4:5], v[4:5], v[26:27], v[36:37]
	v_fma_f64 v[1:2], v[2:3], v[26:27], -v[28:29]
	v_add_f64 v[6:7], v[14:15], v[6:7]
	v_add_f64 v[8:9], v[16:17], v[8:9]
	v_fma_f64 v[12:13], v[12:13], v[30:31], v[18:19]
	v_fma_f64 v[10:11], v[10:11], v[30:31], -v[20:21]
	s_delay_alu instid0(VALU_DEP_4) | instskip(NEXT) | instid1(VALU_DEP_4)
	v_add_f64 v[1:2], v[6:7], v[1:2]
	v_add_f64 v[3:4], v[8:9], v[4:5]
	s_delay_alu instid0(VALU_DEP_2) | instskip(NEXT) | instid1(VALU_DEP_2)
	v_add_f64 v[1:2], v[1:2], v[10:11]
	v_add_f64 v[3:4], v[3:4], v[12:13]
	s_delay_alu instid0(VALU_DEP_2) | instskip(NEXT) | instid1(VALU_DEP_2)
	v_add_f64 v[1:2], v[152:153], -v[1:2]
	v_add_f64 v[3:4], v[154:155], -v[3:4]
	scratch_store_b128 off, v[1:4], off offset:96
	v_cmpx_lt_u32_e32 5, v116
	s_cbranch_execz .LBB98_213
; %bb.212:
	scratch_load_b128 v[1:4], v142, off
	v_mov_b32_e32 v5, 0
	s_delay_alu instid0(VALU_DEP_1)
	v_mov_b32_e32 v6, v5
	v_mov_b32_e32 v7, v5
	v_mov_b32_e32 v8, v5
	scratch_store_b128 off, v[5:8], off offset:80
	s_waitcnt vmcnt(0)
	ds_store_b128 v151, v[1:4]
.LBB98_213:
	s_or_b32 exec_lo, exec_lo, s2
	s_waitcnt lgkmcnt(0)
	s_waitcnt_vscnt null, 0x0
	s_barrier
	buffer_gl0_inv
	s_clause 0x7
	scratch_load_b128 v[2:5], off, off offset:96
	scratch_load_b128 v[6:9], off, off offset:112
	;; [unrolled: 1-line block ×8, first 2 shown]
	v_mov_b32_e32 v1, 0
	s_mov_b32 s2, exec_lo
	ds_load_b128 v[38:41], v1 offset:656
	s_clause 0x1
	scratch_load_b128 v[34:37], off, off offset:224
	scratch_load_b128 v[42:45], off, off offset:80
	ds_load_b128 v[152:155], v1 offset:672
	scratch_load_b128 v[156:159], off, off offset:240
	s_waitcnt vmcnt(10) lgkmcnt(1)
	v_mul_f64 v[160:161], v[40:41], v[4:5]
	v_mul_f64 v[4:5], v[38:39], v[4:5]
	s_delay_alu instid0(VALU_DEP_2) | instskip(NEXT) | instid1(VALU_DEP_2)
	v_fma_f64 v[166:167], v[38:39], v[2:3], -v[160:161]
	v_fma_f64 v[168:169], v[40:41], v[2:3], v[4:5]
	scratch_load_b128 v[38:41], off, off offset:256
	ds_load_b128 v[2:5], v1 offset:688
	s_waitcnt vmcnt(10) lgkmcnt(1)
	v_mul_f64 v[164:165], v[152:153], v[8:9]
	v_mul_f64 v[8:9], v[154:155], v[8:9]
	ds_load_b128 v[160:163], v1 offset:704
	s_waitcnt vmcnt(9) lgkmcnt(1)
	v_mul_f64 v[170:171], v[2:3], v[12:13]
	v_mul_f64 v[12:13], v[4:5], v[12:13]
	v_fma_f64 v[154:155], v[154:155], v[6:7], v[164:165]
	v_fma_f64 v[152:153], v[152:153], v[6:7], -v[8:9]
	v_add_f64 v[164:165], v[166:167], 0
	v_add_f64 v[166:167], v[168:169], 0
	scratch_load_b128 v[6:9], off, off offset:272
	v_fma_f64 v[170:171], v[4:5], v[10:11], v[170:171]
	v_fma_f64 v[172:173], v[2:3], v[10:11], -v[12:13]
	scratch_load_b128 v[10:13], off, off offset:288
	ds_load_b128 v[2:5], v1 offset:720
	s_waitcnt vmcnt(10) lgkmcnt(1)
	v_mul_f64 v[168:169], v[160:161], v[16:17]
	v_mul_f64 v[16:17], v[162:163], v[16:17]
	v_add_f64 v[164:165], v[164:165], v[152:153]
	v_add_f64 v[166:167], v[166:167], v[154:155]
	s_waitcnt vmcnt(9) lgkmcnt(0)
	v_mul_f64 v[174:175], v[2:3], v[20:21]
	v_mul_f64 v[20:21], v[4:5], v[20:21]
	ds_load_b128 v[152:155], v1 offset:736
	v_fma_f64 v[162:163], v[162:163], v[14:15], v[168:169]
	v_fma_f64 v[160:161], v[160:161], v[14:15], -v[16:17]
	scratch_load_b128 v[14:17], off, off offset:304
	v_add_f64 v[164:165], v[164:165], v[172:173]
	v_add_f64 v[166:167], v[166:167], v[170:171]
	v_fma_f64 v[170:171], v[4:5], v[18:19], v[174:175]
	v_fma_f64 v[172:173], v[2:3], v[18:19], -v[20:21]
	scratch_load_b128 v[18:21], off, off offset:320
	ds_load_b128 v[2:5], v1 offset:752
	s_waitcnt vmcnt(10) lgkmcnt(1)
	v_mul_f64 v[168:169], v[152:153], v[24:25]
	v_mul_f64 v[24:25], v[154:155], v[24:25]
	s_waitcnt vmcnt(9) lgkmcnt(0)
	v_mul_f64 v[174:175], v[2:3], v[28:29]
	v_mul_f64 v[28:29], v[4:5], v[28:29]
	v_add_f64 v[164:165], v[164:165], v[160:161]
	v_add_f64 v[166:167], v[166:167], v[162:163]
	ds_load_b128 v[160:163], v1 offset:768
	v_fma_f64 v[154:155], v[154:155], v[22:23], v[168:169]
	v_fma_f64 v[152:153], v[152:153], v[22:23], -v[24:25]
	scratch_load_b128 v[22:25], off, off offset:336
	v_add_f64 v[164:165], v[164:165], v[172:173]
	v_add_f64 v[166:167], v[166:167], v[170:171]
	v_fma_f64 v[170:171], v[4:5], v[26:27], v[174:175]
	v_fma_f64 v[172:173], v[2:3], v[26:27], -v[28:29]
	scratch_load_b128 v[26:29], off, off offset:352
	ds_load_b128 v[2:5], v1 offset:784
	s_waitcnt vmcnt(10) lgkmcnt(1)
	v_mul_f64 v[168:169], v[160:161], v[32:33]
	v_mul_f64 v[32:33], v[162:163], v[32:33]
	s_waitcnt vmcnt(9) lgkmcnt(0)
	v_mul_f64 v[174:175], v[2:3], v[36:37]
	v_mul_f64 v[36:37], v[4:5], v[36:37]
	v_add_f64 v[164:165], v[164:165], v[152:153]
	v_add_f64 v[166:167], v[166:167], v[154:155]
	ds_load_b128 v[152:155], v1 offset:800
	v_fma_f64 v[162:163], v[162:163], v[30:31], v[168:169]
	v_fma_f64 v[160:161], v[160:161], v[30:31], -v[32:33]
	scratch_load_b128 v[30:33], off, off offset:368
	v_add_f64 v[164:165], v[164:165], v[172:173]
	v_add_f64 v[166:167], v[166:167], v[170:171]
	v_fma_f64 v[172:173], v[4:5], v[34:35], v[174:175]
	v_fma_f64 v[174:175], v[2:3], v[34:35], -v[36:37]
	scratch_load_b128 v[34:37], off, off offset:384
	ds_load_b128 v[2:5], v1 offset:816
	s_waitcnt vmcnt(9) lgkmcnt(1)
	v_mul_f64 v[168:169], v[152:153], v[158:159]
	v_mul_f64 v[170:171], v[154:155], v[158:159]
	v_add_f64 v[164:165], v[164:165], v[160:161]
	v_add_f64 v[162:163], v[166:167], v[162:163]
	ds_load_b128 v[158:161], v1 offset:832
	v_fma_f64 v[168:169], v[154:155], v[156:157], v[168:169]
	v_fma_f64 v[156:157], v[152:153], v[156:157], -v[170:171]
	scratch_load_b128 v[152:155], off, off offset:400
	s_waitcnt vmcnt(9) lgkmcnt(1)
	v_mul_f64 v[166:167], v[2:3], v[40:41]
	v_mul_f64 v[40:41], v[4:5], v[40:41]
	v_add_f64 v[164:165], v[164:165], v[174:175]
	v_add_f64 v[162:163], v[162:163], v[172:173]
	s_delay_alu instid0(VALU_DEP_4) | instskip(NEXT) | instid1(VALU_DEP_4)
	v_fma_f64 v[166:167], v[4:5], v[38:39], v[166:167]
	v_fma_f64 v[172:173], v[2:3], v[38:39], -v[40:41]
	scratch_load_b128 v[38:41], off, off offset:416
	ds_load_b128 v[2:5], v1 offset:848
	s_waitcnt vmcnt(9) lgkmcnt(1)
	v_mul_f64 v[170:171], v[158:159], v[8:9]
	v_mul_f64 v[8:9], v[160:161], v[8:9]
	s_waitcnt vmcnt(8) lgkmcnt(0)
	v_mul_f64 v[174:175], v[2:3], v[12:13]
	v_mul_f64 v[12:13], v[4:5], v[12:13]
	v_add_f64 v[156:157], v[164:165], v[156:157]
	v_add_f64 v[168:169], v[162:163], v[168:169]
	ds_load_b128 v[162:165], v1 offset:864
	v_fma_f64 v[160:161], v[160:161], v[6:7], v[170:171]
	v_fma_f64 v[158:159], v[158:159], v[6:7], -v[8:9]
	scratch_load_b128 v[6:9], off, off offset:432
	v_fma_f64 v[170:171], v[4:5], v[10:11], v[174:175]
	v_add_f64 v[156:157], v[156:157], v[172:173]
	v_add_f64 v[166:167], v[168:169], v[166:167]
	v_fma_f64 v[172:173], v[2:3], v[10:11], -v[12:13]
	scratch_load_b128 v[10:13], off, off offset:448
	ds_load_b128 v[2:5], v1 offset:880
	s_waitcnt vmcnt(9) lgkmcnt(1)
	v_mul_f64 v[168:169], v[162:163], v[16:17]
	v_mul_f64 v[16:17], v[164:165], v[16:17]
	v_add_f64 v[174:175], v[156:157], v[158:159]
	v_add_f64 v[160:161], v[166:167], v[160:161]
	s_waitcnt vmcnt(8) lgkmcnt(0)
	v_mul_f64 v[166:167], v[2:3], v[20:21]
	v_mul_f64 v[20:21], v[4:5], v[20:21]
	ds_load_b128 v[156:159], v1 offset:896
	v_fma_f64 v[164:165], v[164:165], v[14:15], v[168:169]
	v_fma_f64 v[162:163], v[162:163], v[14:15], -v[16:17]
	scratch_load_b128 v[14:17], off, off offset:464
	v_add_f64 v[168:169], v[174:175], v[172:173]
	v_add_f64 v[160:161], v[160:161], v[170:171]
	v_fma_f64 v[166:167], v[4:5], v[18:19], v[166:167]
	v_fma_f64 v[172:173], v[2:3], v[18:19], -v[20:21]
	scratch_load_b128 v[18:21], off, off offset:480
	ds_load_b128 v[2:5], v1 offset:912
	s_waitcnt vmcnt(9) lgkmcnt(1)
	v_mul_f64 v[170:171], v[156:157], v[24:25]
	v_mul_f64 v[24:25], v[158:159], v[24:25]
	s_waitcnt vmcnt(8) lgkmcnt(0)
	v_mul_f64 v[174:175], v[2:3], v[28:29]
	v_mul_f64 v[28:29], v[4:5], v[28:29]
	v_add_f64 v[168:169], v[168:169], v[162:163]
	v_add_f64 v[164:165], v[160:161], v[164:165]
	ds_load_b128 v[160:163], v1 offset:928
	v_fma_f64 v[158:159], v[158:159], v[22:23], v[170:171]
	v_fma_f64 v[156:157], v[156:157], v[22:23], -v[24:25]
	scratch_load_b128 v[22:25], off, off offset:496
	v_fma_f64 v[170:171], v[4:5], v[26:27], v[174:175]
	v_add_f64 v[168:169], v[168:169], v[172:173]
	v_add_f64 v[164:165], v[164:165], v[166:167]
	v_fma_f64 v[172:173], v[2:3], v[26:27], -v[28:29]
	scratch_load_b128 v[26:29], off, off offset:512
	ds_load_b128 v[2:5], v1 offset:944
	s_waitcnt vmcnt(9) lgkmcnt(1)
	v_mul_f64 v[166:167], v[160:161], v[32:33]
	v_mul_f64 v[32:33], v[162:163], v[32:33]
	s_waitcnt vmcnt(8) lgkmcnt(0)
	v_mul_f64 v[174:175], v[2:3], v[36:37]
	v_mul_f64 v[36:37], v[4:5], v[36:37]
	v_add_f64 v[168:169], v[168:169], v[156:157]
	v_add_f64 v[164:165], v[164:165], v[158:159]
	ds_load_b128 v[156:159], v1 offset:960
	v_fma_f64 v[162:163], v[162:163], v[30:31], v[166:167]
	v_fma_f64 v[160:161], v[160:161], v[30:31], -v[32:33]
	scratch_load_b128 v[30:33], off, off offset:528
	v_add_f64 v[166:167], v[168:169], v[172:173]
	v_add_f64 v[164:165], v[164:165], v[170:171]
	v_fma_f64 v[170:171], v[4:5], v[34:35], v[174:175]
	v_fma_f64 v[172:173], v[2:3], v[34:35], -v[36:37]
	scratch_load_b128 v[34:37], off, off offset:544
	ds_load_b128 v[2:5], v1 offset:976
	s_waitcnt vmcnt(9) lgkmcnt(1)
	v_mul_f64 v[168:169], v[156:157], v[154:155]
	v_mul_f64 v[154:155], v[158:159], v[154:155]
	s_waitcnt vmcnt(8) lgkmcnt(0)
	v_mul_f64 v[174:175], v[2:3], v[40:41]
	v_mul_f64 v[40:41], v[4:5], v[40:41]
	v_add_f64 v[166:167], v[166:167], v[160:161]
	v_add_f64 v[164:165], v[164:165], v[162:163]
	ds_load_b128 v[160:163], v1 offset:992
	v_fma_f64 v[158:159], v[158:159], v[152:153], v[168:169]
	v_fma_f64 v[152:153], v[156:157], v[152:153], -v[154:155]
	v_fma_f64 v[168:169], v[2:3], v[38:39], -v[40:41]
	v_add_f64 v[154:155], v[166:167], v[172:173]
	v_add_f64 v[156:157], v[164:165], v[170:171]
	s_waitcnt vmcnt(7) lgkmcnt(0)
	v_mul_f64 v[164:165], v[160:161], v[8:9]
	v_mul_f64 v[8:9], v[162:163], v[8:9]
	v_fma_f64 v[166:167], v[4:5], v[38:39], v[174:175]
	ds_load_b128 v[2:5], v1 offset:1008
	ds_load_b128 v[38:41], v1 offset:1024
	v_add_f64 v[152:153], v[154:155], v[152:153]
	v_add_f64 v[154:155], v[156:157], v[158:159]
	s_waitcnt vmcnt(6) lgkmcnt(1)
	v_mul_f64 v[156:157], v[2:3], v[12:13]
	v_mul_f64 v[12:13], v[4:5], v[12:13]
	v_fma_f64 v[158:159], v[162:163], v[6:7], v[164:165]
	v_fma_f64 v[6:7], v[160:161], v[6:7], -v[8:9]
	v_add_f64 v[8:9], v[152:153], v[168:169]
	v_add_f64 v[152:153], v[154:155], v[166:167]
	s_waitcnt vmcnt(5) lgkmcnt(0)
	v_mul_f64 v[154:155], v[38:39], v[16:17]
	v_mul_f64 v[16:17], v[40:41], v[16:17]
	v_fma_f64 v[156:157], v[4:5], v[10:11], v[156:157]
	v_fma_f64 v[10:11], v[2:3], v[10:11], -v[12:13]
	v_add_f64 v[12:13], v[8:9], v[6:7]
	v_add_f64 v[152:153], v[152:153], v[158:159]
	ds_load_b128 v[2:5], v1 offset:1040
	ds_load_b128 v[6:9], v1 offset:1056
	v_fma_f64 v[40:41], v[40:41], v[14:15], v[154:155]
	v_fma_f64 v[14:15], v[38:39], v[14:15], -v[16:17]
	s_waitcnt vmcnt(4) lgkmcnt(1)
	v_mul_f64 v[158:159], v[2:3], v[20:21]
	v_mul_f64 v[20:21], v[4:5], v[20:21]
	s_waitcnt vmcnt(3) lgkmcnt(0)
	v_mul_f64 v[16:17], v[6:7], v[24:25]
	v_mul_f64 v[24:25], v[8:9], v[24:25]
	v_add_f64 v[10:11], v[12:13], v[10:11]
	v_add_f64 v[12:13], v[152:153], v[156:157]
	v_fma_f64 v[38:39], v[4:5], v[18:19], v[158:159]
	v_fma_f64 v[18:19], v[2:3], v[18:19], -v[20:21]
	v_fma_f64 v[8:9], v[8:9], v[22:23], v[16:17]
	v_fma_f64 v[6:7], v[6:7], v[22:23], -v[24:25]
	v_add_f64 v[14:15], v[10:11], v[14:15]
	v_add_f64 v[20:21], v[12:13], v[40:41]
	ds_load_b128 v[2:5], v1 offset:1072
	ds_load_b128 v[10:13], v1 offset:1088
	s_waitcnt vmcnt(2) lgkmcnt(1)
	v_mul_f64 v[40:41], v[2:3], v[28:29]
	v_mul_f64 v[28:29], v[4:5], v[28:29]
	v_add_f64 v[14:15], v[14:15], v[18:19]
	v_add_f64 v[16:17], v[20:21], v[38:39]
	s_waitcnt vmcnt(1) lgkmcnt(0)
	v_mul_f64 v[18:19], v[10:11], v[32:33]
	v_mul_f64 v[20:21], v[12:13], v[32:33]
	v_fma_f64 v[22:23], v[4:5], v[26:27], v[40:41]
	v_fma_f64 v[24:25], v[2:3], v[26:27], -v[28:29]
	ds_load_b128 v[2:5], v1 offset:1104
	v_add_f64 v[6:7], v[14:15], v[6:7]
	v_add_f64 v[8:9], v[16:17], v[8:9]
	v_fma_f64 v[12:13], v[12:13], v[30:31], v[18:19]
	v_fma_f64 v[10:11], v[10:11], v[30:31], -v[20:21]
	s_waitcnt vmcnt(0) lgkmcnt(0)
	v_mul_f64 v[14:15], v[2:3], v[36:37]
	v_mul_f64 v[16:17], v[4:5], v[36:37]
	v_add_f64 v[6:7], v[6:7], v[24:25]
	v_add_f64 v[8:9], v[8:9], v[22:23]
	s_delay_alu instid0(VALU_DEP_4) | instskip(NEXT) | instid1(VALU_DEP_4)
	v_fma_f64 v[4:5], v[4:5], v[34:35], v[14:15]
	v_fma_f64 v[2:3], v[2:3], v[34:35], -v[16:17]
	s_delay_alu instid0(VALU_DEP_4) | instskip(NEXT) | instid1(VALU_DEP_4)
	v_add_f64 v[6:7], v[6:7], v[10:11]
	v_add_f64 v[8:9], v[8:9], v[12:13]
	s_delay_alu instid0(VALU_DEP_2) | instskip(NEXT) | instid1(VALU_DEP_2)
	v_add_f64 v[2:3], v[6:7], v[2:3]
	v_add_f64 v[4:5], v[8:9], v[4:5]
	s_delay_alu instid0(VALU_DEP_2) | instskip(NEXT) | instid1(VALU_DEP_2)
	v_add_f64 v[2:3], v[42:43], -v[2:3]
	v_add_f64 v[4:5], v[44:45], -v[4:5]
	scratch_store_b128 off, v[2:5], off offset:80
	v_cmpx_lt_u32_e32 4, v116
	s_cbranch_execz .LBB98_215
; %bb.214:
	scratch_load_b128 v[5:8], v117, off
	v_mov_b32_e32 v2, v1
	v_mov_b32_e32 v3, v1
	v_mov_b32_e32 v4, v1
	scratch_store_b128 off, v[1:4], off offset:64
	s_waitcnt vmcnt(0)
	ds_store_b128 v151, v[5:8]
.LBB98_215:
	s_or_b32 exec_lo, exec_lo, s2
	s_waitcnt lgkmcnt(0)
	s_waitcnt_vscnt null, 0x0
	s_barrier
	buffer_gl0_inv
	s_clause 0x8
	scratch_load_b128 v[2:5], off, off offset:80
	scratch_load_b128 v[6:9], off, off offset:96
	;; [unrolled: 1-line block ×9, first 2 shown]
	ds_load_b128 v[42:45], v1 offset:640
	ds_load_b128 v[38:41], v1 offset:656
	s_clause 0x1
	scratch_load_b128 v[152:155], off, off offset:64
	scratch_load_b128 v[156:159], off, off offset:224
	s_mov_b32 s2, exec_lo
	s_waitcnt vmcnt(10) lgkmcnt(1)
	v_mul_f64 v[160:161], v[44:45], v[4:5]
	v_mul_f64 v[4:5], v[42:43], v[4:5]
	s_waitcnt vmcnt(9) lgkmcnt(0)
	v_mul_f64 v[164:165], v[38:39], v[8:9]
	v_mul_f64 v[8:9], v[40:41], v[8:9]
	s_delay_alu instid0(VALU_DEP_4) | instskip(NEXT) | instid1(VALU_DEP_4)
	v_fma_f64 v[166:167], v[42:43], v[2:3], -v[160:161]
	v_fma_f64 v[168:169], v[44:45], v[2:3], v[4:5]
	ds_load_b128 v[2:5], v1 offset:672
	ds_load_b128 v[160:163], v1 offset:688
	scratch_load_b128 v[42:45], off, off offset:240
	v_fma_f64 v[40:41], v[40:41], v[6:7], v[164:165]
	v_fma_f64 v[38:39], v[38:39], v[6:7], -v[8:9]
	scratch_load_b128 v[6:9], off, off offset:256
	s_waitcnt vmcnt(10) lgkmcnt(1)
	v_mul_f64 v[170:171], v[2:3], v[12:13]
	v_mul_f64 v[12:13], v[4:5], v[12:13]
	v_add_f64 v[164:165], v[166:167], 0
	v_add_f64 v[166:167], v[168:169], 0
	s_waitcnt vmcnt(9) lgkmcnt(0)
	v_mul_f64 v[168:169], v[160:161], v[16:17]
	v_mul_f64 v[16:17], v[162:163], v[16:17]
	v_fma_f64 v[170:171], v[4:5], v[10:11], v[170:171]
	v_fma_f64 v[172:173], v[2:3], v[10:11], -v[12:13]
	ds_load_b128 v[2:5], v1 offset:704
	scratch_load_b128 v[10:13], off, off offset:272
	v_add_f64 v[164:165], v[164:165], v[38:39]
	v_add_f64 v[166:167], v[166:167], v[40:41]
	ds_load_b128 v[38:41], v1 offset:720
	v_fma_f64 v[162:163], v[162:163], v[14:15], v[168:169]
	v_fma_f64 v[160:161], v[160:161], v[14:15], -v[16:17]
	scratch_load_b128 v[14:17], off, off offset:288
	s_waitcnt vmcnt(10) lgkmcnt(1)
	v_mul_f64 v[174:175], v[2:3], v[20:21]
	v_mul_f64 v[20:21], v[4:5], v[20:21]
	s_waitcnt vmcnt(9) lgkmcnt(0)
	v_mul_f64 v[168:169], v[38:39], v[24:25]
	v_mul_f64 v[24:25], v[40:41], v[24:25]
	v_add_f64 v[164:165], v[164:165], v[172:173]
	v_add_f64 v[166:167], v[166:167], v[170:171]
	v_fma_f64 v[170:171], v[4:5], v[18:19], v[174:175]
	v_fma_f64 v[172:173], v[2:3], v[18:19], -v[20:21]
	ds_load_b128 v[2:5], v1 offset:736
	scratch_load_b128 v[18:21], off, off offset:304
	v_fma_f64 v[40:41], v[40:41], v[22:23], v[168:169]
	v_fma_f64 v[38:39], v[38:39], v[22:23], -v[24:25]
	scratch_load_b128 v[22:25], off, off offset:320
	v_add_f64 v[164:165], v[164:165], v[160:161]
	v_add_f64 v[166:167], v[166:167], v[162:163]
	ds_load_b128 v[160:163], v1 offset:752
	s_waitcnt vmcnt(10) lgkmcnt(1)
	v_mul_f64 v[174:175], v[2:3], v[28:29]
	v_mul_f64 v[28:29], v[4:5], v[28:29]
	s_waitcnt vmcnt(9) lgkmcnt(0)
	v_mul_f64 v[168:169], v[160:161], v[32:33]
	v_mul_f64 v[32:33], v[162:163], v[32:33]
	v_add_f64 v[164:165], v[164:165], v[172:173]
	v_add_f64 v[166:167], v[166:167], v[170:171]
	v_fma_f64 v[170:171], v[4:5], v[26:27], v[174:175]
	v_fma_f64 v[172:173], v[2:3], v[26:27], -v[28:29]
	ds_load_b128 v[2:5], v1 offset:768
	scratch_load_b128 v[26:29], off, off offset:336
	v_fma_f64 v[162:163], v[162:163], v[30:31], v[168:169]
	v_fma_f64 v[160:161], v[160:161], v[30:31], -v[32:33]
	scratch_load_b128 v[30:33], off, off offset:352
	v_add_f64 v[164:165], v[164:165], v[38:39]
	v_add_f64 v[166:167], v[166:167], v[40:41]
	ds_load_b128 v[38:41], v1 offset:784
	s_waitcnt vmcnt(10) lgkmcnt(1)
	v_mul_f64 v[174:175], v[2:3], v[36:37]
	v_mul_f64 v[36:37], v[4:5], v[36:37]
	s_waitcnt vmcnt(8) lgkmcnt(0)
	v_mul_f64 v[168:169], v[38:39], v[158:159]
	v_add_f64 v[164:165], v[164:165], v[172:173]
	v_add_f64 v[166:167], v[166:167], v[170:171]
	v_mul_f64 v[170:171], v[40:41], v[158:159]
	v_fma_f64 v[172:173], v[4:5], v[34:35], v[174:175]
	v_fma_f64 v[174:175], v[2:3], v[34:35], -v[36:37]
	ds_load_b128 v[2:5], v1 offset:800
	scratch_load_b128 v[34:37], off, off offset:368
	v_fma_f64 v[168:169], v[40:41], v[156:157], v[168:169]
	v_add_f64 v[164:165], v[164:165], v[160:161]
	v_add_f64 v[162:163], v[166:167], v[162:163]
	ds_load_b128 v[158:161], v1 offset:816
	v_fma_f64 v[156:157], v[38:39], v[156:157], -v[170:171]
	scratch_load_b128 v[38:41], off, off offset:384
	s_waitcnt vmcnt(9) lgkmcnt(1)
	v_mul_f64 v[166:167], v[2:3], v[44:45]
	v_mul_f64 v[44:45], v[4:5], v[44:45]
	s_waitcnt vmcnt(8) lgkmcnt(0)
	v_mul_f64 v[170:171], v[158:159], v[8:9]
	v_mul_f64 v[8:9], v[160:161], v[8:9]
	v_add_f64 v[164:165], v[164:165], v[174:175]
	v_add_f64 v[162:163], v[162:163], v[172:173]
	v_fma_f64 v[166:167], v[4:5], v[42:43], v[166:167]
	v_fma_f64 v[172:173], v[2:3], v[42:43], -v[44:45]
	ds_load_b128 v[2:5], v1 offset:832
	scratch_load_b128 v[42:45], off, off offset:400
	v_fma_f64 v[160:161], v[160:161], v[6:7], v[170:171]
	v_fma_f64 v[158:159], v[158:159], v[6:7], -v[8:9]
	scratch_load_b128 v[6:9], off, off offset:416
	v_add_f64 v[156:157], v[164:165], v[156:157]
	v_add_f64 v[168:169], v[162:163], v[168:169]
	ds_load_b128 v[162:165], v1 offset:848
	s_waitcnt vmcnt(9) lgkmcnt(1)
	v_mul_f64 v[174:175], v[2:3], v[12:13]
	v_mul_f64 v[12:13], v[4:5], v[12:13]
	v_add_f64 v[156:157], v[156:157], v[172:173]
	v_add_f64 v[166:167], v[168:169], v[166:167]
	s_waitcnt vmcnt(8) lgkmcnt(0)
	v_mul_f64 v[168:169], v[162:163], v[16:17]
	v_mul_f64 v[16:17], v[164:165], v[16:17]
	v_fma_f64 v[170:171], v[4:5], v[10:11], v[174:175]
	v_fma_f64 v[172:173], v[2:3], v[10:11], -v[12:13]
	ds_load_b128 v[2:5], v1 offset:864
	scratch_load_b128 v[10:13], off, off offset:432
	v_add_f64 v[174:175], v[156:157], v[158:159]
	v_add_f64 v[160:161], v[166:167], v[160:161]
	ds_load_b128 v[156:159], v1 offset:880
	s_waitcnt vmcnt(8) lgkmcnt(1)
	v_mul_f64 v[166:167], v[2:3], v[20:21]
	v_mul_f64 v[20:21], v[4:5], v[20:21]
	v_fma_f64 v[164:165], v[164:165], v[14:15], v[168:169]
	v_fma_f64 v[162:163], v[162:163], v[14:15], -v[16:17]
	scratch_load_b128 v[14:17], off, off offset:448
	v_add_f64 v[168:169], v[174:175], v[172:173]
	v_add_f64 v[160:161], v[160:161], v[170:171]
	s_waitcnt vmcnt(8) lgkmcnt(0)
	v_mul_f64 v[170:171], v[156:157], v[24:25]
	v_mul_f64 v[24:25], v[158:159], v[24:25]
	v_fma_f64 v[166:167], v[4:5], v[18:19], v[166:167]
	v_fma_f64 v[172:173], v[2:3], v[18:19], -v[20:21]
	ds_load_b128 v[2:5], v1 offset:896
	scratch_load_b128 v[18:21], off, off offset:464
	v_add_f64 v[168:169], v[168:169], v[162:163]
	v_add_f64 v[164:165], v[160:161], v[164:165]
	ds_load_b128 v[160:163], v1 offset:912
	s_waitcnt vmcnt(8) lgkmcnt(1)
	v_mul_f64 v[174:175], v[2:3], v[28:29]
	v_mul_f64 v[28:29], v[4:5], v[28:29]
	v_fma_f64 v[158:159], v[158:159], v[22:23], v[170:171]
	v_fma_f64 v[156:157], v[156:157], v[22:23], -v[24:25]
	scratch_load_b128 v[22:25], off, off offset:480
	;; [unrolled: 18-line block ×4, first 2 shown]
	s_waitcnt vmcnt(8) lgkmcnt(0)
	v_mul_f64 v[168:169], v[160:161], v[8:9]
	v_mul_f64 v[8:9], v[162:163], v[8:9]
	v_add_f64 v[166:167], v[166:167], v[172:173]
	v_add_f64 v[164:165], v[164:165], v[170:171]
	v_fma_f64 v[170:171], v[4:5], v[42:43], v[174:175]
	v_fma_f64 v[172:173], v[2:3], v[42:43], -v[44:45]
	ds_load_b128 v[2:5], v1 offset:992
	ds_load_b128 v[42:45], v1 offset:1008
	v_fma_f64 v[162:163], v[162:163], v[6:7], v[168:169]
	v_fma_f64 v[6:7], v[160:161], v[6:7], -v[8:9]
	v_add_f64 v[156:157], v[166:167], v[156:157]
	v_add_f64 v[158:159], v[164:165], v[158:159]
	s_waitcnt vmcnt(7) lgkmcnt(1)
	v_mul_f64 v[164:165], v[2:3], v[12:13]
	v_mul_f64 v[12:13], v[4:5], v[12:13]
	s_delay_alu instid0(VALU_DEP_4) | instskip(NEXT) | instid1(VALU_DEP_4)
	v_add_f64 v[8:9], v[156:157], v[172:173]
	v_add_f64 v[156:157], v[158:159], v[170:171]
	s_waitcnt vmcnt(6) lgkmcnt(0)
	v_mul_f64 v[158:159], v[42:43], v[16:17]
	v_mul_f64 v[16:17], v[44:45], v[16:17]
	v_fma_f64 v[160:161], v[4:5], v[10:11], v[164:165]
	v_fma_f64 v[10:11], v[2:3], v[10:11], -v[12:13]
	v_add_f64 v[12:13], v[8:9], v[6:7]
	v_add_f64 v[156:157], v[156:157], v[162:163]
	ds_load_b128 v[2:5], v1 offset:1024
	ds_load_b128 v[6:9], v1 offset:1040
	v_fma_f64 v[44:45], v[44:45], v[14:15], v[158:159]
	v_fma_f64 v[14:15], v[42:43], v[14:15], -v[16:17]
	s_waitcnt vmcnt(5) lgkmcnt(1)
	v_mul_f64 v[162:163], v[2:3], v[20:21]
	v_mul_f64 v[20:21], v[4:5], v[20:21]
	s_waitcnt vmcnt(4) lgkmcnt(0)
	v_mul_f64 v[16:17], v[6:7], v[24:25]
	v_mul_f64 v[24:25], v[8:9], v[24:25]
	v_add_f64 v[10:11], v[12:13], v[10:11]
	v_add_f64 v[12:13], v[156:157], v[160:161]
	v_fma_f64 v[42:43], v[4:5], v[18:19], v[162:163]
	v_fma_f64 v[18:19], v[2:3], v[18:19], -v[20:21]
	v_fma_f64 v[8:9], v[8:9], v[22:23], v[16:17]
	v_fma_f64 v[6:7], v[6:7], v[22:23], -v[24:25]
	v_add_f64 v[14:15], v[10:11], v[14:15]
	v_add_f64 v[20:21], v[12:13], v[44:45]
	ds_load_b128 v[2:5], v1 offset:1056
	ds_load_b128 v[10:13], v1 offset:1072
	s_waitcnt vmcnt(3) lgkmcnt(1)
	v_mul_f64 v[44:45], v[2:3], v[28:29]
	v_mul_f64 v[28:29], v[4:5], v[28:29]
	v_add_f64 v[14:15], v[14:15], v[18:19]
	v_add_f64 v[16:17], v[20:21], v[42:43]
	s_waitcnt vmcnt(2) lgkmcnt(0)
	v_mul_f64 v[18:19], v[10:11], v[32:33]
	v_mul_f64 v[20:21], v[12:13], v[32:33]
	v_fma_f64 v[22:23], v[4:5], v[26:27], v[44:45]
	v_fma_f64 v[24:25], v[2:3], v[26:27], -v[28:29]
	v_add_f64 v[14:15], v[14:15], v[6:7]
	v_add_f64 v[16:17], v[16:17], v[8:9]
	ds_load_b128 v[2:5], v1 offset:1088
	ds_load_b128 v[6:9], v1 offset:1104
	v_fma_f64 v[12:13], v[12:13], v[30:31], v[18:19]
	v_fma_f64 v[10:11], v[10:11], v[30:31], -v[20:21]
	s_waitcnt vmcnt(1) lgkmcnt(1)
	v_mul_f64 v[26:27], v[2:3], v[36:37]
	v_mul_f64 v[28:29], v[4:5], v[36:37]
	s_waitcnt vmcnt(0) lgkmcnt(0)
	v_mul_f64 v[18:19], v[6:7], v[40:41]
	v_mul_f64 v[20:21], v[8:9], v[40:41]
	v_add_f64 v[14:15], v[14:15], v[24:25]
	v_add_f64 v[16:17], v[16:17], v[22:23]
	v_fma_f64 v[4:5], v[4:5], v[34:35], v[26:27]
	v_fma_f64 v[1:2], v[2:3], v[34:35], -v[28:29]
	v_fma_f64 v[8:9], v[8:9], v[38:39], v[18:19]
	v_fma_f64 v[6:7], v[6:7], v[38:39], -v[20:21]
	v_add_f64 v[10:11], v[14:15], v[10:11]
	v_add_f64 v[12:13], v[16:17], v[12:13]
	s_delay_alu instid0(VALU_DEP_2) | instskip(NEXT) | instid1(VALU_DEP_2)
	v_add_f64 v[1:2], v[10:11], v[1:2]
	v_add_f64 v[3:4], v[12:13], v[4:5]
	s_delay_alu instid0(VALU_DEP_2) | instskip(NEXT) | instid1(VALU_DEP_2)
	;; [unrolled: 3-line block ×3, first 2 shown]
	v_add_f64 v[1:2], v[152:153], -v[1:2]
	v_add_f64 v[3:4], v[154:155], -v[3:4]
	scratch_store_b128 off, v[1:4], off offset:64
	v_cmpx_lt_u32_e32 3, v116
	s_cbranch_execz .LBB98_217
; %bb.216:
	scratch_load_b128 v[1:4], v118, off
	v_mov_b32_e32 v5, 0
	s_delay_alu instid0(VALU_DEP_1)
	v_mov_b32_e32 v6, v5
	v_mov_b32_e32 v7, v5
	;; [unrolled: 1-line block ×3, first 2 shown]
	scratch_store_b128 off, v[5:8], off offset:48
	s_waitcnt vmcnt(0)
	ds_store_b128 v151, v[1:4]
.LBB98_217:
	s_or_b32 exec_lo, exec_lo, s2
	s_waitcnt lgkmcnt(0)
	s_waitcnt_vscnt null, 0x0
	s_barrier
	buffer_gl0_inv
	s_clause 0x7
	scratch_load_b128 v[2:5], off, off offset:64
	scratch_load_b128 v[6:9], off, off offset:80
	;; [unrolled: 1-line block ×8, first 2 shown]
	v_mov_b32_e32 v1, 0
	s_mov_b32 s2, exec_lo
	ds_load_b128 v[38:41], v1 offset:624
	s_clause 0x1
	scratch_load_b128 v[34:37], off, off offset:192
	scratch_load_b128 v[42:45], off, off offset:48
	ds_load_b128 v[152:155], v1 offset:640
	scratch_load_b128 v[156:159], off, off offset:208
	s_waitcnt vmcnt(10) lgkmcnt(1)
	v_mul_f64 v[160:161], v[40:41], v[4:5]
	v_mul_f64 v[4:5], v[38:39], v[4:5]
	s_delay_alu instid0(VALU_DEP_2) | instskip(NEXT) | instid1(VALU_DEP_2)
	v_fma_f64 v[166:167], v[38:39], v[2:3], -v[160:161]
	v_fma_f64 v[168:169], v[40:41], v[2:3], v[4:5]
	scratch_load_b128 v[38:41], off, off offset:224
	ds_load_b128 v[2:5], v1 offset:656
	s_waitcnt vmcnt(10) lgkmcnt(1)
	v_mul_f64 v[164:165], v[152:153], v[8:9]
	v_mul_f64 v[8:9], v[154:155], v[8:9]
	ds_load_b128 v[160:163], v1 offset:672
	s_waitcnt vmcnt(9) lgkmcnt(1)
	v_mul_f64 v[170:171], v[2:3], v[12:13]
	v_mul_f64 v[12:13], v[4:5], v[12:13]
	v_fma_f64 v[154:155], v[154:155], v[6:7], v[164:165]
	v_fma_f64 v[152:153], v[152:153], v[6:7], -v[8:9]
	v_add_f64 v[164:165], v[166:167], 0
	v_add_f64 v[166:167], v[168:169], 0
	scratch_load_b128 v[6:9], off, off offset:240
	v_fma_f64 v[170:171], v[4:5], v[10:11], v[170:171]
	v_fma_f64 v[172:173], v[2:3], v[10:11], -v[12:13]
	scratch_load_b128 v[10:13], off, off offset:256
	ds_load_b128 v[2:5], v1 offset:688
	s_waitcnt vmcnt(10) lgkmcnt(1)
	v_mul_f64 v[168:169], v[160:161], v[16:17]
	v_mul_f64 v[16:17], v[162:163], v[16:17]
	v_add_f64 v[164:165], v[164:165], v[152:153]
	v_add_f64 v[166:167], v[166:167], v[154:155]
	s_waitcnt vmcnt(9) lgkmcnt(0)
	v_mul_f64 v[174:175], v[2:3], v[20:21]
	v_mul_f64 v[20:21], v[4:5], v[20:21]
	ds_load_b128 v[152:155], v1 offset:704
	v_fma_f64 v[162:163], v[162:163], v[14:15], v[168:169]
	v_fma_f64 v[160:161], v[160:161], v[14:15], -v[16:17]
	scratch_load_b128 v[14:17], off, off offset:272
	v_add_f64 v[164:165], v[164:165], v[172:173]
	v_add_f64 v[166:167], v[166:167], v[170:171]
	v_fma_f64 v[170:171], v[4:5], v[18:19], v[174:175]
	v_fma_f64 v[172:173], v[2:3], v[18:19], -v[20:21]
	scratch_load_b128 v[18:21], off, off offset:288
	ds_load_b128 v[2:5], v1 offset:720
	s_waitcnt vmcnt(10) lgkmcnt(1)
	v_mul_f64 v[168:169], v[152:153], v[24:25]
	v_mul_f64 v[24:25], v[154:155], v[24:25]
	s_waitcnt vmcnt(9) lgkmcnt(0)
	v_mul_f64 v[174:175], v[2:3], v[28:29]
	v_mul_f64 v[28:29], v[4:5], v[28:29]
	v_add_f64 v[164:165], v[164:165], v[160:161]
	v_add_f64 v[166:167], v[166:167], v[162:163]
	ds_load_b128 v[160:163], v1 offset:736
	v_fma_f64 v[154:155], v[154:155], v[22:23], v[168:169]
	v_fma_f64 v[152:153], v[152:153], v[22:23], -v[24:25]
	scratch_load_b128 v[22:25], off, off offset:304
	v_add_f64 v[164:165], v[164:165], v[172:173]
	v_add_f64 v[166:167], v[166:167], v[170:171]
	v_fma_f64 v[170:171], v[4:5], v[26:27], v[174:175]
	v_fma_f64 v[172:173], v[2:3], v[26:27], -v[28:29]
	scratch_load_b128 v[26:29], off, off offset:320
	ds_load_b128 v[2:5], v1 offset:752
	s_waitcnt vmcnt(10) lgkmcnt(1)
	v_mul_f64 v[168:169], v[160:161], v[32:33]
	v_mul_f64 v[32:33], v[162:163], v[32:33]
	s_waitcnt vmcnt(9) lgkmcnt(0)
	v_mul_f64 v[174:175], v[2:3], v[36:37]
	v_mul_f64 v[36:37], v[4:5], v[36:37]
	v_add_f64 v[164:165], v[164:165], v[152:153]
	v_add_f64 v[166:167], v[166:167], v[154:155]
	ds_load_b128 v[152:155], v1 offset:768
	v_fma_f64 v[162:163], v[162:163], v[30:31], v[168:169]
	v_fma_f64 v[160:161], v[160:161], v[30:31], -v[32:33]
	scratch_load_b128 v[30:33], off, off offset:336
	v_add_f64 v[164:165], v[164:165], v[172:173]
	v_add_f64 v[166:167], v[166:167], v[170:171]
	v_fma_f64 v[172:173], v[4:5], v[34:35], v[174:175]
	v_fma_f64 v[174:175], v[2:3], v[34:35], -v[36:37]
	scratch_load_b128 v[34:37], off, off offset:352
	ds_load_b128 v[2:5], v1 offset:784
	s_waitcnt vmcnt(9) lgkmcnt(1)
	v_mul_f64 v[168:169], v[152:153], v[158:159]
	v_mul_f64 v[170:171], v[154:155], v[158:159]
	v_add_f64 v[164:165], v[164:165], v[160:161]
	v_add_f64 v[162:163], v[166:167], v[162:163]
	ds_load_b128 v[158:161], v1 offset:800
	v_fma_f64 v[168:169], v[154:155], v[156:157], v[168:169]
	v_fma_f64 v[156:157], v[152:153], v[156:157], -v[170:171]
	scratch_load_b128 v[152:155], off, off offset:368
	s_waitcnt vmcnt(9) lgkmcnt(1)
	v_mul_f64 v[166:167], v[2:3], v[40:41]
	v_mul_f64 v[40:41], v[4:5], v[40:41]
	v_add_f64 v[164:165], v[164:165], v[174:175]
	v_add_f64 v[162:163], v[162:163], v[172:173]
	s_delay_alu instid0(VALU_DEP_4) | instskip(NEXT) | instid1(VALU_DEP_4)
	v_fma_f64 v[166:167], v[4:5], v[38:39], v[166:167]
	v_fma_f64 v[172:173], v[2:3], v[38:39], -v[40:41]
	scratch_load_b128 v[38:41], off, off offset:384
	ds_load_b128 v[2:5], v1 offset:816
	s_waitcnt vmcnt(9) lgkmcnt(1)
	v_mul_f64 v[170:171], v[158:159], v[8:9]
	v_mul_f64 v[8:9], v[160:161], v[8:9]
	s_waitcnt vmcnt(8) lgkmcnt(0)
	v_mul_f64 v[174:175], v[2:3], v[12:13]
	v_mul_f64 v[12:13], v[4:5], v[12:13]
	v_add_f64 v[156:157], v[164:165], v[156:157]
	v_add_f64 v[168:169], v[162:163], v[168:169]
	ds_load_b128 v[162:165], v1 offset:832
	v_fma_f64 v[160:161], v[160:161], v[6:7], v[170:171]
	v_fma_f64 v[158:159], v[158:159], v[6:7], -v[8:9]
	scratch_load_b128 v[6:9], off, off offset:400
	v_fma_f64 v[170:171], v[4:5], v[10:11], v[174:175]
	v_add_f64 v[156:157], v[156:157], v[172:173]
	v_add_f64 v[166:167], v[168:169], v[166:167]
	v_fma_f64 v[172:173], v[2:3], v[10:11], -v[12:13]
	scratch_load_b128 v[10:13], off, off offset:416
	ds_load_b128 v[2:5], v1 offset:848
	s_waitcnt vmcnt(9) lgkmcnt(1)
	v_mul_f64 v[168:169], v[162:163], v[16:17]
	v_mul_f64 v[16:17], v[164:165], v[16:17]
	v_add_f64 v[174:175], v[156:157], v[158:159]
	v_add_f64 v[160:161], v[166:167], v[160:161]
	s_waitcnt vmcnt(8) lgkmcnt(0)
	v_mul_f64 v[166:167], v[2:3], v[20:21]
	v_mul_f64 v[20:21], v[4:5], v[20:21]
	ds_load_b128 v[156:159], v1 offset:864
	v_fma_f64 v[164:165], v[164:165], v[14:15], v[168:169]
	v_fma_f64 v[162:163], v[162:163], v[14:15], -v[16:17]
	scratch_load_b128 v[14:17], off, off offset:432
	v_add_f64 v[168:169], v[174:175], v[172:173]
	v_add_f64 v[160:161], v[160:161], v[170:171]
	v_fma_f64 v[166:167], v[4:5], v[18:19], v[166:167]
	v_fma_f64 v[172:173], v[2:3], v[18:19], -v[20:21]
	scratch_load_b128 v[18:21], off, off offset:448
	ds_load_b128 v[2:5], v1 offset:880
	s_waitcnt vmcnt(9) lgkmcnt(1)
	v_mul_f64 v[170:171], v[156:157], v[24:25]
	v_mul_f64 v[24:25], v[158:159], v[24:25]
	s_waitcnt vmcnt(8) lgkmcnt(0)
	v_mul_f64 v[174:175], v[2:3], v[28:29]
	v_mul_f64 v[28:29], v[4:5], v[28:29]
	v_add_f64 v[168:169], v[168:169], v[162:163]
	v_add_f64 v[164:165], v[160:161], v[164:165]
	ds_load_b128 v[160:163], v1 offset:896
	v_fma_f64 v[158:159], v[158:159], v[22:23], v[170:171]
	v_fma_f64 v[156:157], v[156:157], v[22:23], -v[24:25]
	scratch_load_b128 v[22:25], off, off offset:464
	v_fma_f64 v[170:171], v[4:5], v[26:27], v[174:175]
	v_add_f64 v[168:169], v[168:169], v[172:173]
	v_add_f64 v[164:165], v[164:165], v[166:167]
	v_fma_f64 v[172:173], v[2:3], v[26:27], -v[28:29]
	scratch_load_b128 v[26:29], off, off offset:480
	ds_load_b128 v[2:5], v1 offset:912
	s_waitcnt vmcnt(9) lgkmcnt(1)
	v_mul_f64 v[166:167], v[160:161], v[32:33]
	v_mul_f64 v[32:33], v[162:163], v[32:33]
	s_waitcnt vmcnt(8) lgkmcnt(0)
	v_mul_f64 v[174:175], v[2:3], v[36:37]
	v_mul_f64 v[36:37], v[4:5], v[36:37]
	v_add_f64 v[168:169], v[168:169], v[156:157]
	v_add_f64 v[164:165], v[164:165], v[158:159]
	ds_load_b128 v[156:159], v1 offset:928
	v_fma_f64 v[162:163], v[162:163], v[30:31], v[166:167]
	v_fma_f64 v[160:161], v[160:161], v[30:31], -v[32:33]
	scratch_load_b128 v[30:33], off, off offset:496
	v_add_f64 v[166:167], v[168:169], v[172:173]
	v_add_f64 v[164:165], v[164:165], v[170:171]
	v_fma_f64 v[170:171], v[4:5], v[34:35], v[174:175]
	v_fma_f64 v[172:173], v[2:3], v[34:35], -v[36:37]
	scratch_load_b128 v[34:37], off, off offset:512
	ds_load_b128 v[2:5], v1 offset:944
	s_waitcnt vmcnt(9) lgkmcnt(1)
	v_mul_f64 v[168:169], v[156:157], v[154:155]
	v_mul_f64 v[154:155], v[158:159], v[154:155]
	s_waitcnt vmcnt(8) lgkmcnt(0)
	v_mul_f64 v[174:175], v[2:3], v[40:41]
	v_mul_f64 v[40:41], v[4:5], v[40:41]
	v_add_f64 v[166:167], v[166:167], v[160:161]
	v_add_f64 v[164:165], v[164:165], v[162:163]
	ds_load_b128 v[160:163], v1 offset:960
	v_fma_f64 v[158:159], v[158:159], v[152:153], v[168:169]
	v_fma_f64 v[156:157], v[156:157], v[152:153], -v[154:155]
	scratch_load_b128 v[152:155], off, off offset:528
	v_add_f64 v[166:167], v[166:167], v[172:173]
	v_add_f64 v[164:165], v[164:165], v[170:171]
	v_fma_f64 v[170:171], v[4:5], v[38:39], v[174:175]
	v_fma_f64 v[172:173], v[2:3], v[38:39], -v[40:41]
	scratch_load_b128 v[38:41], off, off offset:544
	ds_load_b128 v[2:5], v1 offset:976
	s_waitcnt vmcnt(9) lgkmcnt(1)
	v_mul_f64 v[168:169], v[160:161], v[8:9]
	v_mul_f64 v[8:9], v[162:163], v[8:9]
	s_waitcnt vmcnt(8) lgkmcnt(0)
	v_mul_f64 v[174:175], v[2:3], v[12:13]
	v_mul_f64 v[12:13], v[4:5], v[12:13]
	v_add_f64 v[166:167], v[166:167], v[156:157]
	v_add_f64 v[164:165], v[164:165], v[158:159]
	ds_load_b128 v[156:159], v1 offset:992
	v_fma_f64 v[162:163], v[162:163], v[6:7], v[168:169]
	v_fma_f64 v[6:7], v[160:161], v[6:7], -v[8:9]
	v_add_f64 v[8:9], v[166:167], v[172:173]
	v_add_f64 v[160:161], v[164:165], v[170:171]
	s_waitcnt vmcnt(7) lgkmcnt(0)
	v_mul_f64 v[164:165], v[156:157], v[16:17]
	v_mul_f64 v[16:17], v[158:159], v[16:17]
	v_fma_f64 v[166:167], v[4:5], v[10:11], v[174:175]
	v_fma_f64 v[10:11], v[2:3], v[10:11], -v[12:13]
	v_add_f64 v[12:13], v[8:9], v[6:7]
	v_add_f64 v[160:161], v[160:161], v[162:163]
	ds_load_b128 v[2:5], v1 offset:1008
	ds_load_b128 v[6:9], v1 offset:1024
	v_fma_f64 v[158:159], v[158:159], v[14:15], v[164:165]
	v_fma_f64 v[14:15], v[156:157], v[14:15], -v[16:17]
	s_waitcnt vmcnt(6) lgkmcnt(1)
	v_mul_f64 v[162:163], v[2:3], v[20:21]
	v_mul_f64 v[20:21], v[4:5], v[20:21]
	s_waitcnt vmcnt(5) lgkmcnt(0)
	v_mul_f64 v[16:17], v[6:7], v[24:25]
	v_mul_f64 v[24:25], v[8:9], v[24:25]
	v_add_f64 v[10:11], v[12:13], v[10:11]
	v_add_f64 v[12:13], v[160:161], v[166:167]
	v_fma_f64 v[156:157], v[4:5], v[18:19], v[162:163]
	v_fma_f64 v[18:19], v[2:3], v[18:19], -v[20:21]
	v_fma_f64 v[8:9], v[8:9], v[22:23], v[16:17]
	v_fma_f64 v[6:7], v[6:7], v[22:23], -v[24:25]
	v_add_f64 v[14:15], v[10:11], v[14:15]
	v_add_f64 v[20:21], v[12:13], v[158:159]
	ds_load_b128 v[2:5], v1 offset:1040
	ds_load_b128 v[10:13], v1 offset:1056
	s_waitcnt vmcnt(4) lgkmcnt(1)
	v_mul_f64 v[158:159], v[2:3], v[28:29]
	v_mul_f64 v[28:29], v[4:5], v[28:29]
	v_add_f64 v[14:15], v[14:15], v[18:19]
	v_add_f64 v[16:17], v[20:21], v[156:157]
	s_waitcnt vmcnt(3) lgkmcnt(0)
	v_mul_f64 v[18:19], v[10:11], v[32:33]
	v_mul_f64 v[20:21], v[12:13], v[32:33]
	v_fma_f64 v[22:23], v[4:5], v[26:27], v[158:159]
	v_fma_f64 v[24:25], v[2:3], v[26:27], -v[28:29]
	v_add_f64 v[14:15], v[14:15], v[6:7]
	v_add_f64 v[16:17], v[16:17], v[8:9]
	ds_load_b128 v[2:5], v1 offset:1072
	ds_load_b128 v[6:9], v1 offset:1088
	v_fma_f64 v[12:13], v[12:13], v[30:31], v[18:19]
	v_fma_f64 v[10:11], v[10:11], v[30:31], -v[20:21]
	s_waitcnt vmcnt(2) lgkmcnt(1)
	v_mul_f64 v[26:27], v[2:3], v[36:37]
	v_mul_f64 v[28:29], v[4:5], v[36:37]
	s_waitcnt vmcnt(1) lgkmcnt(0)
	v_mul_f64 v[18:19], v[6:7], v[154:155]
	v_mul_f64 v[20:21], v[8:9], v[154:155]
	v_add_f64 v[14:15], v[14:15], v[24:25]
	v_add_f64 v[16:17], v[16:17], v[22:23]
	v_fma_f64 v[22:23], v[4:5], v[34:35], v[26:27]
	v_fma_f64 v[24:25], v[2:3], v[34:35], -v[28:29]
	ds_load_b128 v[2:5], v1 offset:1104
	v_fma_f64 v[8:9], v[8:9], v[152:153], v[18:19]
	v_fma_f64 v[6:7], v[6:7], v[152:153], -v[20:21]
	v_add_f64 v[10:11], v[14:15], v[10:11]
	v_add_f64 v[12:13], v[16:17], v[12:13]
	s_waitcnt vmcnt(0) lgkmcnt(0)
	v_mul_f64 v[14:15], v[2:3], v[40:41]
	v_mul_f64 v[16:17], v[4:5], v[40:41]
	s_delay_alu instid0(VALU_DEP_4) | instskip(NEXT) | instid1(VALU_DEP_4)
	v_add_f64 v[10:11], v[10:11], v[24:25]
	v_add_f64 v[12:13], v[12:13], v[22:23]
	s_delay_alu instid0(VALU_DEP_4) | instskip(NEXT) | instid1(VALU_DEP_4)
	v_fma_f64 v[4:5], v[4:5], v[38:39], v[14:15]
	v_fma_f64 v[2:3], v[2:3], v[38:39], -v[16:17]
	s_delay_alu instid0(VALU_DEP_4) | instskip(NEXT) | instid1(VALU_DEP_4)
	v_add_f64 v[6:7], v[10:11], v[6:7]
	v_add_f64 v[8:9], v[12:13], v[8:9]
	s_delay_alu instid0(VALU_DEP_2) | instskip(NEXT) | instid1(VALU_DEP_2)
	v_add_f64 v[2:3], v[6:7], v[2:3]
	v_add_f64 v[4:5], v[8:9], v[4:5]
	s_delay_alu instid0(VALU_DEP_2) | instskip(NEXT) | instid1(VALU_DEP_2)
	v_add_f64 v[2:3], v[42:43], -v[2:3]
	v_add_f64 v[4:5], v[44:45], -v[4:5]
	scratch_store_b128 off, v[2:5], off offset:48
	v_cmpx_lt_u32_e32 2, v116
	s_cbranch_execz .LBB98_219
; %bb.218:
	scratch_load_b128 v[5:8], v119, off
	v_mov_b32_e32 v2, v1
	v_mov_b32_e32 v3, v1
	;; [unrolled: 1-line block ×3, first 2 shown]
	scratch_store_b128 off, v[1:4], off offset:32
	s_waitcnt vmcnt(0)
	ds_store_b128 v151, v[5:8]
.LBB98_219:
	s_or_b32 exec_lo, exec_lo, s2
	s_waitcnt lgkmcnt(0)
	s_waitcnt_vscnt null, 0x0
	s_barrier
	buffer_gl0_inv
	s_clause 0x8
	scratch_load_b128 v[2:5], off, off offset:48
	scratch_load_b128 v[6:9], off, off offset:64
	;; [unrolled: 1-line block ×9, first 2 shown]
	ds_load_b128 v[42:45], v1 offset:608
	ds_load_b128 v[38:41], v1 offset:624
	s_clause 0x1
	scratch_load_b128 v[152:155], off, off offset:32
	scratch_load_b128 v[156:159], off, off offset:192
	s_mov_b32 s2, exec_lo
	s_waitcnt vmcnt(10) lgkmcnt(1)
	v_mul_f64 v[160:161], v[44:45], v[4:5]
	v_mul_f64 v[4:5], v[42:43], v[4:5]
	s_waitcnt vmcnt(9) lgkmcnt(0)
	v_mul_f64 v[164:165], v[38:39], v[8:9]
	v_mul_f64 v[8:9], v[40:41], v[8:9]
	s_delay_alu instid0(VALU_DEP_4) | instskip(NEXT) | instid1(VALU_DEP_4)
	v_fma_f64 v[166:167], v[42:43], v[2:3], -v[160:161]
	v_fma_f64 v[168:169], v[44:45], v[2:3], v[4:5]
	ds_load_b128 v[2:5], v1 offset:640
	ds_load_b128 v[160:163], v1 offset:656
	scratch_load_b128 v[42:45], off, off offset:208
	v_fma_f64 v[40:41], v[40:41], v[6:7], v[164:165]
	v_fma_f64 v[38:39], v[38:39], v[6:7], -v[8:9]
	scratch_load_b128 v[6:9], off, off offset:224
	s_waitcnt vmcnt(10) lgkmcnt(1)
	v_mul_f64 v[170:171], v[2:3], v[12:13]
	v_mul_f64 v[12:13], v[4:5], v[12:13]
	v_add_f64 v[164:165], v[166:167], 0
	v_add_f64 v[166:167], v[168:169], 0
	s_waitcnt vmcnt(9) lgkmcnt(0)
	v_mul_f64 v[168:169], v[160:161], v[16:17]
	v_mul_f64 v[16:17], v[162:163], v[16:17]
	v_fma_f64 v[170:171], v[4:5], v[10:11], v[170:171]
	v_fma_f64 v[172:173], v[2:3], v[10:11], -v[12:13]
	ds_load_b128 v[2:5], v1 offset:672
	scratch_load_b128 v[10:13], off, off offset:240
	v_add_f64 v[164:165], v[164:165], v[38:39]
	v_add_f64 v[166:167], v[166:167], v[40:41]
	ds_load_b128 v[38:41], v1 offset:688
	v_fma_f64 v[162:163], v[162:163], v[14:15], v[168:169]
	v_fma_f64 v[160:161], v[160:161], v[14:15], -v[16:17]
	scratch_load_b128 v[14:17], off, off offset:256
	s_waitcnt vmcnt(10) lgkmcnt(1)
	v_mul_f64 v[174:175], v[2:3], v[20:21]
	v_mul_f64 v[20:21], v[4:5], v[20:21]
	s_waitcnt vmcnt(9) lgkmcnt(0)
	v_mul_f64 v[168:169], v[38:39], v[24:25]
	v_mul_f64 v[24:25], v[40:41], v[24:25]
	v_add_f64 v[164:165], v[164:165], v[172:173]
	v_add_f64 v[166:167], v[166:167], v[170:171]
	v_fma_f64 v[170:171], v[4:5], v[18:19], v[174:175]
	v_fma_f64 v[172:173], v[2:3], v[18:19], -v[20:21]
	ds_load_b128 v[2:5], v1 offset:704
	scratch_load_b128 v[18:21], off, off offset:272
	v_fma_f64 v[40:41], v[40:41], v[22:23], v[168:169]
	v_fma_f64 v[38:39], v[38:39], v[22:23], -v[24:25]
	scratch_load_b128 v[22:25], off, off offset:288
	v_add_f64 v[164:165], v[164:165], v[160:161]
	v_add_f64 v[166:167], v[166:167], v[162:163]
	ds_load_b128 v[160:163], v1 offset:720
	s_waitcnt vmcnt(10) lgkmcnt(1)
	v_mul_f64 v[174:175], v[2:3], v[28:29]
	v_mul_f64 v[28:29], v[4:5], v[28:29]
	s_waitcnt vmcnt(9) lgkmcnt(0)
	v_mul_f64 v[168:169], v[160:161], v[32:33]
	v_mul_f64 v[32:33], v[162:163], v[32:33]
	v_add_f64 v[164:165], v[164:165], v[172:173]
	v_add_f64 v[166:167], v[166:167], v[170:171]
	v_fma_f64 v[170:171], v[4:5], v[26:27], v[174:175]
	v_fma_f64 v[172:173], v[2:3], v[26:27], -v[28:29]
	ds_load_b128 v[2:5], v1 offset:736
	scratch_load_b128 v[26:29], off, off offset:304
	v_fma_f64 v[162:163], v[162:163], v[30:31], v[168:169]
	v_fma_f64 v[160:161], v[160:161], v[30:31], -v[32:33]
	scratch_load_b128 v[30:33], off, off offset:320
	v_add_f64 v[164:165], v[164:165], v[38:39]
	v_add_f64 v[166:167], v[166:167], v[40:41]
	ds_load_b128 v[38:41], v1 offset:752
	s_waitcnt vmcnt(10) lgkmcnt(1)
	v_mul_f64 v[174:175], v[2:3], v[36:37]
	v_mul_f64 v[36:37], v[4:5], v[36:37]
	s_waitcnt vmcnt(8) lgkmcnt(0)
	v_mul_f64 v[168:169], v[38:39], v[158:159]
	v_add_f64 v[164:165], v[164:165], v[172:173]
	v_add_f64 v[166:167], v[166:167], v[170:171]
	v_mul_f64 v[170:171], v[40:41], v[158:159]
	v_fma_f64 v[172:173], v[4:5], v[34:35], v[174:175]
	v_fma_f64 v[174:175], v[2:3], v[34:35], -v[36:37]
	ds_load_b128 v[2:5], v1 offset:768
	scratch_load_b128 v[34:37], off, off offset:336
	v_fma_f64 v[168:169], v[40:41], v[156:157], v[168:169]
	v_add_f64 v[164:165], v[164:165], v[160:161]
	v_add_f64 v[162:163], v[166:167], v[162:163]
	ds_load_b128 v[158:161], v1 offset:784
	v_fma_f64 v[156:157], v[38:39], v[156:157], -v[170:171]
	scratch_load_b128 v[38:41], off, off offset:352
	s_waitcnt vmcnt(9) lgkmcnt(1)
	v_mul_f64 v[166:167], v[2:3], v[44:45]
	v_mul_f64 v[44:45], v[4:5], v[44:45]
	s_waitcnt vmcnt(8) lgkmcnt(0)
	v_mul_f64 v[170:171], v[158:159], v[8:9]
	v_mul_f64 v[8:9], v[160:161], v[8:9]
	v_add_f64 v[164:165], v[164:165], v[174:175]
	v_add_f64 v[162:163], v[162:163], v[172:173]
	v_fma_f64 v[166:167], v[4:5], v[42:43], v[166:167]
	v_fma_f64 v[172:173], v[2:3], v[42:43], -v[44:45]
	ds_load_b128 v[2:5], v1 offset:800
	scratch_load_b128 v[42:45], off, off offset:368
	v_fma_f64 v[160:161], v[160:161], v[6:7], v[170:171]
	v_fma_f64 v[158:159], v[158:159], v[6:7], -v[8:9]
	scratch_load_b128 v[6:9], off, off offset:384
	v_add_f64 v[156:157], v[164:165], v[156:157]
	v_add_f64 v[168:169], v[162:163], v[168:169]
	ds_load_b128 v[162:165], v1 offset:816
	s_waitcnt vmcnt(9) lgkmcnt(1)
	v_mul_f64 v[174:175], v[2:3], v[12:13]
	v_mul_f64 v[12:13], v[4:5], v[12:13]
	v_add_f64 v[156:157], v[156:157], v[172:173]
	v_add_f64 v[166:167], v[168:169], v[166:167]
	s_waitcnt vmcnt(8) lgkmcnt(0)
	v_mul_f64 v[168:169], v[162:163], v[16:17]
	v_mul_f64 v[16:17], v[164:165], v[16:17]
	v_fma_f64 v[170:171], v[4:5], v[10:11], v[174:175]
	v_fma_f64 v[172:173], v[2:3], v[10:11], -v[12:13]
	ds_load_b128 v[2:5], v1 offset:832
	scratch_load_b128 v[10:13], off, off offset:400
	v_add_f64 v[174:175], v[156:157], v[158:159]
	v_add_f64 v[160:161], v[166:167], v[160:161]
	ds_load_b128 v[156:159], v1 offset:848
	s_waitcnt vmcnt(8) lgkmcnt(1)
	v_mul_f64 v[166:167], v[2:3], v[20:21]
	v_mul_f64 v[20:21], v[4:5], v[20:21]
	v_fma_f64 v[164:165], v[164:165], v[14:15], v[168:169]
	v_fma_f64 v[162:163], v[162:163], v[14:15], -v[16:17]
	scratch_load_b128 v[14:17], off, off offset:416
	v_add_f64 v[168:169], v[174:175], v[172:173]
	v_add_f64 v[160:161], v[160:161], v[170:171]
	s_waitcnt vmcnt(8) lgkmcnt(0)
	v_mul_f64 v[170:171], v[156:157], v[24:25]
	v_mul_f64 v[24:25], v[158:159], v[24:25]
	v_fma_f64 v[166:167], v[4:5], v[18:19], v[166:167]
	v_fma_f64 v[172:173], v[2:3], v[18:19], -v[20:21]
	ds_load_b128 v[2:5], v1 offset:864
	scratch_load_b128 v[18:21], off, off offset:432
	v_add_f64 v[168:169], v[168:169], v[162:163]
	v_add_f64 v[164:165], v[160:161], v[164:165]
	ds_load_b128 v[160:163], v1 offset:880
	s_waitcnt vmcnt(8) lgkmcnt(1)
	v_mul_f64 v[174:175], v[2:3], v[28:29]
	v_mul_f64 v[28:29], v[4:5], v[28:29]
	v_fma_f64 v[158:159], v[158:159], v[22:23], v[170:171]
	v_fma_f64 v[156:157], v[156:157], v[22:23], -v[24:25]
	scratch_load_b128 v[22:25], off, off offset:448
	v_add_f64 v[168:169], v[168:169], v[172:173]
	v_add_f64 v[164:165], v[164:165], v[166:167]
	s_waitcnt vmcnt(8) lgkmcnt(0)
	v_mul_f64 v[166:167], v[160:161], v[32:33]
	v_mul_f64 v[32:33], v[162:163], v[32:33]
	v_fma_f64 v[170:171], v[4:5], v[26:27], v[174:175]
	v_fma_f64 v[172:173], v[2:3], v[26:27], -v[28:29]
	ds_load_b128 v[2:5], v1 offset:896
	scratch_load_b128 v[26:29], off, off offset:464
	v_add_f64 v[168:169], v[168:169], v[156:157]
	v_add_f64 v[164:165], v[164:165], v[158:159]
	ds_load_b128 v[156:159], v1 offset:912
	s_waitcnt vmcnt(8) lgkmcnt(1)
	v_mul_f64 v[174:175], v[2:3], v[36:37]
	v_mul_f64 v[36:37], v[4:5], v[36:37]
	v_fma_f64 v[162:163], v[162:163], v[30:31], v[166:167]
	v_fma_f64 v[160:161], v[160:161], v[30:31], -v[32:33]
	scratch_load_b128 v[30:33], off, off offset:480
	v_add_f64 v[166:167], v[168:169], v[172:173]
	v_add_f64 v[164:165], v[164:165], v[170:171]
	s_waitcnt vmcnt(8) lgkmcnt(0)
	v_mul_f64 v[168:169], v[156:157], v[40:41]
	v_mul_f64 v[40:41], v[158:159], v[40:41]
	v_fma_f64 v[170:171], v[4:5], v[34:35], v[174:175]
	v_fma_f64 v[172:173], v[2:3], v[34:35], -v[36:37]
	ds_load_b128 v[2:5], v1 offset:928
	scratch_load_b128 v[34:37], off, off offset:496
	v_add_f64 v[166:167], v[166:167], v[160:161]
	v_add_f64 v[164:165], v[164:165], v[162:163]
	ds_load_b128 v[160:163], v1 offset:944
	s_waitcnt vmcnt(8) lgkmcnt(1)
	v_mul_f64 v[174:175], v[2:3], v[44:45]
	v_mul_f64 v[44:45], v[4:5], v[44:45]
	v_fma_f64 v[158:159], v[158:159], v[38:39], v[168:169]
	v_fma_f64 v[156:157], v[156:157], v[38:39], -v[40:41]
	scratch_load_b128 v[38:41], off, off offset:512
	s_waitcnt vmcnt(8) lgkmcnt(0)
	v_mul_f64 v[168:169], v[160:161], v[8:9]
	v_mul_f64 v[8:9], v[162:163], v[8:9]
	v_add_f64 v[166:167], v[166:167], v[172:173]
	v_add_f64 v[164:165], v[164:165], v[170:171]
	v_fma_f64 v[170:171], v[4:5], v[42:43], v[174:175]
	v_fma_f64 v[172:173], v[2:3], v[42:43], -v[44:45]
	ds_load_b128 v[2:5], v1 offset:960
	scratch_load_b128 v[42:45], off, off offset:528
	v_fma_f64 v[162:163], v[162:163], v[6:7], v[168:169]
	v_fma_f64 v[160:161], v[160:161], v[6:7], -v[8:9]
	scratch_load_b128 v[6:9], off, off offset:544
	v_add_f64 v[166:167], v[166:167], v[156:157]
	v_add_f64 v[164:165], v[164:165], v[158:159]
	ds_load_b128 v[156:159], v1 offset:976
	s_waitcnt vmcnt(9) lgkmcnt(1)
	v_mul_f64 v[174:175], v[2:3], v[12:13]
	v_mul_f64 v[12:13], v[4:5], v[12:13]
	s_waitcnt vmcnt(8) lgkmcnt(0)
	v_mul_f64 v[168:169], v[156:157], v[16:17]
	v_mul_f64 v[16:17], v[158:159], v[16:17]
	v_add_f64 v[166:167], v[166:167], v[172:173]
	v_add_f64 v[164:165], v[164:165], v[170:171]
	v_fma_f64 v[170:171], v[4:5], v[10:11], v[174:175]
	v_fma_f64 v[172:173], v[2:3], v[10:11], -v[12:13]
	ds_load_b128 v[2:5], v1 offset:992
	ds_load_b128 v[10:13], v1 offset:1008
	v_fma_f64 v[158:159], v[158:159], v[14:15], v[168:169]
	v_fma_f64 v[14:15], v[156:157], v[14:15], -v[16:17]
	v_add_f64 v[160:161], v[166:167], v[160:161]
	v_add_f64 v[162:163], v[164:165], v[162:163]
	s_waitcnt vmcnt(7) lgkmcnt(1)
	v_mul_f64 v[164:165], v[2:3], v[20:21]
	v_mul_f64 v[20:21], v[4:5], v[20:21]
	s_delay_alu instid0(VALU_DEP_4) | instskip(NEXT) | instid1(VALU_DEP_4)
	v_add_f64 v[16:17], v[160:161], v[172:173]
	v_add_f64 v[156:157], v[162:163], v[170:171]
	s_waitcnt vmcnt(6) lgkmcnt(0)
	v_mul_f64 v[160:161], v[10:11], v[24:25]
	v_mul_f64 v[24:25], v[12:13], v[24:25]
	v_fma_f64 v[162:163], v[4:5], v[18:19], v[164:165]
	v_fma_f64 v[18:19], v[2:3], v[18:19], -v[20:21]
	v_add_f64 v[20:21], v[16:17], v[14:15]
	v_add_f64 v[156:157], v[156:157], v[158:159]
	ds_load_b128 v[2:5], v1 offset:1024
	ds_load_b128 v[14:17], v1 offset:1040
	v_fma_f64 v[12:13], v[12:13], v[22:23], v[160:161]
	v_fma_f64 v[10:11], v[10:11], v[22:23], -v[24:25]
	s_waitcnt vmcnt(5) lgkmcnt(1)
	v_mul_f64 v[158:159], v[2:3], v[28:29]
	v_mul_f64 v[28:29], v[4:5], v[28:29]
	s_waitcnt vmcnt(4) lgkmcnt(0)
	v_mul_f64 v[22:23], v[14:15], v[32:33]
	v_mul_f64 v[24:25], v[16:17], v[32:33]
	v_add_f64 v[18:19], v[20:21], v[18:19]
	v_add_f64 v[20:21], v[156:157], v[162:163]
	v_fma_f64 v[32:33], v[4:5], v[26:27], v[158:159]
	v_fma_f64 v[26:27], v[2:3], v[26:27], -v[28:29]
	v_fma_f64 v[16:17], v[16:17], v[30:31], v[22:23]
	v_fma_f64 v[14:15], v[14:15], v[30:31], -v[24:25]
	v_add_f64 v[18:19], v[18:19], v[10:11]
	v_add_f64 v[20:21], v[20:21], v[12:13]
	ds_load_b128 v[2:5], v1 offset:1056
	ds_load_b128 v[10:13], v1 offset:1072
	s_waitcnt vmcnt(3) lgkmcnt(1)
	v_mul_f64 v[28:29], v[2:3], v[36:37]
	v_mul_f64 v[36:37], v[4:5], v[36:37]
	s_waitcnt vmcnt(2) lgkmcnt(0)
	v_mul_f64 v[22:23], v[10:11], v[40:41]
	v_mul_f64 v[24:25], v[12:13], v[40:41]
	v_add_f64 v[18:19], v[18:19], v[26:27]
	v_add_f64 v[20:21], v[20:21], v[32:33]
	v_fma_f64 v[26:27], v[4:5], v[34:35], v[28:29]
	v_fma_f64 v[28:29], v[2:3], v[34:35], -v[36:37]
	v_fma_f64 v[12:13], v[12:13], v[38:39], v[22:23]
	v_fma_f64 v[10:11], v[10:11], v[38:39], -v[24:25]
	v_add_f64 v[18:19], v[18:19], v[14:15]
	v_add_f64 v[20:21], v[20:21], v[16:17]
	ds_load_b128 v[2:5], v1 offset:1088
	ds_load_b128 v[14:17], v1 offset:1104
	s_waitcnt vmcnt(1) lgkmcnt(1)
	v_mul_f64 v[30:31], v[2:3], v[44:45]
	v_mul_f64 v[32:33], v[4:5], v[44:45]
	s_waitcnt vmcnt(0) lgkmcnt(0)
	v_mul_f64 v[22:23], v[14:15], v[8:9]
	v_mul_f64 v[8:9], v[16:17], v[8:9]
	v_add_f64 v[18:19], v[18:19], v[28:29]
	v_add_f64 v[20:21], v[20:21], v[26:27]
	v_fma_f64 v[4:5], v[4:5], v[42:43], v[30:31]
	v_fma_f64 v[1:2], v[2:3], v[42:43], -v[32:33]
	v_fma_f64 v[16:17], v[16:17], v[6:7], v[22:23]
	v_fma_f64 v[6:7], v[14:15], v[6:7], -v[8:9]
	v_add_f64 v[10:11], v[18:19], v[10:11]
	v_add_f64 v[12:13], v[20:21], v[12:13]
	s_delay_alu instid0(VALU_DEP_2) | instskip(NEXT) | instid1(VALU_DEP_2)
	v_add_f64 v[1:2], v[10:11], v[1:2]
	v_add_f64 v[3:4], v[12:13], v[4:5]
	s_delay_alu instid0(VALU_DEP_2) | instskip(NEXT) | instid1(VALU_DEP_2)
	;; [unrolled: 3-line block ×3, first 2 shown]
	v_add_f64 v[1:2], v[152:153], -v[1:2]
	v_add_f64 v[3:4], v[154:155], -v[3:4]
	scratch_store_b128 off, v[1:4], off offset:32
	v_cmpx_lt_u32_e32 1, v116
	s_cbranch_execz .LBB98_221
; %bb.220:
	scratch_load_b128 v[1:4], v120, off
	v_mov_b32_e32 v5, 0
	s_delay_alu instid0(VALU_DEP_1)
	v_mov_b32_e32 v6, v5
	v_mov_b32_e32 v7, v5
	;; [unrolled: 1-line block ×3, first 2 shown]
	scratch_store_b128 off, v[5:8], off offset:16
	s_waitcnt vmcnt(0)
	ds_store_b128 v151, v[1:4]
.LBB98_221:
	s_or_b32 exec_lo, exec_lo, s2
	s_waitcnt lgkmcnt(0)
	s_waitcnt_vscnt null, 0x0
	s_barrier
	buffer_gl0_inv
	s_clause 0x7
	scratch_load_b128 v[2:5], off, off offset:32
	scratch_load_b128 v[6:9], off, off offset:48
	scratch_load_b128 v[10:13], off, off offset:64
	scratch_load_b128 v[14:17], off, off offset:80
	scratch_load_b128 v[18:21], off, off offset:96
	scratch_load_b128 v[22:25], off, off offset:112
	scratch_load_b128 v[26:29], off, off offset:128
	scratch_load_b128 v[30:33], off, off offset:144
	v_mov_b32_e32 v1, 0
	s_mov_b32 s2, exec_lo
	ds_load_b128 v[38:41], v1 offset:592
	s_clause 0x1
	scratch_load_b128 v[34:37], off, off offset:160
	scratch_load_b128 v[42:45], off, off offset:16
	ds_load_b128 v[152:155], v1 offset:608
	scratch_load_b128 v[156:159], off, off offset:176
	s_waitcnt vmcnt(10) lgkmcnt(1)
	v_mul_f64 v[160:161], v[40:41], v[4:5]
	v_mul_f64 v[4:5], v[38:39], v[4:5]
	s_delay_alu instid0(VALU_DEP_2) | instskip(NEXT) | instid1(VALU_DEP_2)
	v_fma_f64 v[166:167], v[38:39], v[2:3], -v[160:161]
	v_fma_f64 v[168:169], v[40:41], v[2:3], v[4:5]
	scratch_load_b128 v[38:41], off, off offset:192
	ds_load_b128 v[2:5], v1 offset:624
	s_waitcnt vmcnt(10) lgkmcnt(1)
	v_mul_f64 v[164:165], v[152:153], v[8:9]
	v_mul_f64 v[8:9], v[154:155], v[8:9]
	ds_load_b128 v[160:163], v1 offset:640
	s_waitcnt vmcnt(9) lgkmcnt(1)
	v_mul_f64 v[170:171], v[2:3], v[12:13]
	v_mul_f64 v[12:13], v[4:5], v[12:13]
	v_fma_f64 v[154:155], v[154:155], v[6:7], v[164:165]
	v_fma_f64 v[152:153], v[152:153], v[6:7], -v[8:9]
	v_add_f64 v[164:165], v[166:167], 0
	v_add_f64 v[166:167], v[168:169], 0
	scratch_load_b128 v[6:9], off, off offset:208
	v_fma_f64 v[170:171], v[4:5], v[10:11], v[170:171]
	v_fma_f64 v[172:173], v[2:3], v[10:11], -v[12:13]
	scratch_load_b128 v[10:13], off, off offset:224
	ds_load_b128 v[2:5], v1 offset:656
	s_waitcnt vmcnt(10) lgkmcnt(1)
	v_mul_f64 v[168:169], v[160:161], v[16:17]
	v_mul_f64 v[16:17], v[162:163], v[16:17]
	v_add_f64 v[164:165], v[164:165], v[152:153]
	v_add_f64 v[166:167], v[166:167], v[154:155]
	s_waitcnt vmcnt(9) lgkmcnt(0)
	v_mul_f64 v[174:175], v[2:3], v[20:21]
	v_mul_f64 v[20:21], v[4:5], v[20:21]
	ds_load_b128 v[152:155], v1 offset:672
	v_fma_f64 v[162:163], v[162:163], v[14:15], v[168:169]
	v_fma_f64 v[160:161], v[160:161], v[14:15], -v[16:17]
	scratch_load_b128 v[14:17], off, off offset:240
	v_add_f64 v[164:165], v[164:165], v[172:173]
	v_add_f64 v[166:167], v[166:167], v[170:171]
	v_fma_f64 v[170:171], v[4:5], v[18:19], v[174:175]
	v_fma_f64 v[172:173], v[2:3], v[18:19], -v[20:21]
	scratch_load_b128 v[18:21], off, off offset:256
	ds_load_b128 v[2:5], v1 offset:688
	s_waitcnt vmcnt(10) lgkmcnt(1)
	v_mul_f64 v[168:169], v[152:153], v[24:25]
	v_mul_f64 v[24:25], v[154:155], v[24:25]
	s_waitcnt vmcnt(9) lgkmcnt(0)
	v_mul_f64 v[174:175], v[2:3], v[28:29]
	v_mul_f64 v[28:29], v[4:5], v[28:29]
	v_add_f64 v[164:165], v[164:165], v[160:161]
	v_add_f64 v[166:167], v[166:167], v[162:163]
	ds_load_b128 v[160:163], v1 offset:704
	v_fma_f64 v[154:155], v[154:155], v[22:23], v[168:169]
	v_fma_f64 v[152:153], v[152:153], v[22:23], -v[24:25]
	scratch_load_b128 v[22:25], off, off offset:272
	v_add_f64 v[164:165], v[164:165], v[172:173]
	v_add_f64 v[166:167], v[166:167], v[170:171]
	v_fma_f64 v[170:171], v[4:5], v[26:27], v[174:175]
	v_fma_f64 v[172:173], v[2:3], v[26:27], -v[28:29]
	scratch_load_b128 v[26:29], off, off offset:288
	ds_load_b128 v[2:5], v1 offset:720
	s_waitcnt vmcnt(10) lgkmcnt(1)
	v_mul_f64 v[168:169], v[160:161], v[32:33]
	v_mul_f64 v[32:33], v[162:163], v[32:33]
	s_waitcnt vmcnt(9) lgkmcnt(0)
	v_mul_f64 v[174:175], v[2:3], v[36:37]
	v_mul_f64 v[36:37], v[4:5], v[36:37]
	v_add_f64 v[164:165], v[164:165], v[152:153]
	v_add_f64 v[166:167], v[166:167], v[154:155]
	ds_load_b128 v[152:155], v1 offset:736
	v_fma_f64 v[162:163], v[162:163], v[30:31], v[168:169]
	v_fma_f64 v[160:161], v[160:161], v[30:31], -v[32:33]
	scratch_load_b128 v[30:33], off, off offset:304
	v_add_f64 v[164:165], v[164:165], v[172:173]
	v_add_f64 v[166:167], v[166:167], v[170:171]
	v_fma_f64 v[172:173], v[4:5], v[34:35], v[174:175]
	v_fma_f64 v[174:175], v[2:3], v[34:35], -v[36:37]
	scratch_load_b128 v[34:37], off, off offset:320
	ds_load_b128 v[2:5], v1 offset:752
	s_waitcnt vmcnt(9) lgkmcnt(1)
	v_mul_f64 v[168:169], v[152:153], v[158:159]
	v_mul_f64 v[170:171], v[154:155], v[158:159]
	v_add_f64 v[164:165], v[164:165], v[160:161]
	v_add_f64 v[162:163], v[166:167], v[162:163]
	ds_load_b128 v[158:161], v1 offset:768
	v_fma_f64 v[168:169], v[154:155], v[156:157], v[168:169]
	v_fma_f64 v[156:157], v[152:153], v[156:157], -v[170:171]
	scratch_load_b128 v[152:155], off, off offset:336
	s_waitcnt vmcnt(9) lgkmcnt(1)
	v_mul_f64 v[166:167], v[2:3], v[40:41]
	v_mul_f64 v[40:41], v[4:5], v[40:41]
	v_add_f64 v[164:165], v[164:165], v[174:175]
	v_add_f64 v[162:163], v[162:163], v[172:173]
	s_delay_alu instid0(VALU_DEP_4) | instskip(NEXT) | instid1(VALU_DEP_4)
	v_fma_f64 v[166:167], v[4:5], v[38:39], v[166:167]
	v_fma_f64 v[172:173], v[2:3], v[38:39], -v[40:41]
	scratch_load_b128 v[38:41], off, off offset:352
	ds_load_b128 v[2:5], v1 offset:784
	s_waitcnt vmcnt(9) lgkmcnt(1)
	v_mul_f64 v[170:171], v[158:159], v[8:9]
	v_mul_f64 v[8:9], v[160:161], v[8:9]
	s_waitcnt vmcnt(8) lgkmcnt(0)
	v_mul_f64 v[174:175], v[2:3], v[12:13]
	v_mul_f64 v[12:13], v[4:5], v[12:13]
	v_add_f64 v[156:157], v[164:165], v[156:157]
	v_add_f64 v[168:169], v[162:163], v[168:169]
	ds_load_b128 v[162:165], v1 offset:800
	v_fma_f64 v[160:161], v[160:161], v[6:7], v[170:171]
	v_fma_f64 v[158:159], v[158:159], v[6:7], -v[8:9]
	scratch_load_b128 v[6:9], off, off offset:368
	v_fma_f64 v[170:171], v[4:5], v[10:11], v[174:175]
	v_add_f64 v[156:157], v[156:157], v[172:173]
	v_add_f64 v[166:167], v[168:169], v[166:167]
	v_fma_f64 v[172:173], v[2:3], v[10:11], -v[12:13]
	scratch_load_b128 v[10:13], off, off offset:384
	ds_load_b128 v[2:5], v1 offset:816
	s_waitcnt vmcnt(9) lgkmcnt(1)
	v_mul_f64 v[168:169], v[162:163], v[16:17]
	v_mul_f64 v[16:17], v[164:165], v[16:17]
	v_add_f64 v[174:175], v[156:157], v[158:159]
	v_add_f64 v[160:161], v[166:167], v[160:161]
	s_waitcnt vmcnt(8) lgkmcnt(0)
	v_mul_f64 v[166:167], v[2:3], v[20:21]
	v_mul_f64 v[20:21], v[4:5], v[20:21]
	ds_load_b128 v[156:159], v1 offset:832
	v_fma_f64 v[164:165], v[164:165], v[14:15], v[168:169]
	v_fma_f64 v[162:163], v[162:163], v[14:15], -v[16:17]
	scratch_load_b128 v[14:17], off, off offset:400
	v_add_f64 v[168:169], v[174:175], v[172:173]
	v_add_f64 v[160:161], v[160:161], v[170:171]
	v_fma_f64 v[166:167], v[4:5], v[18:19], v[166:167]
	v_fma_f64 v[172:173], v[2:3], v[18:19], -v[20:21]
	scratch_load_b128 v[18:21], off, off offset:416
	ds_load_b128 v[2:5], v1 offset:848
	s_waitcnt vmcnt(9) lgkmcnt(1)
	v_mul_f64 v[170:171], v[156:157], v[24:25]
	v_mul_f64 v[24:25], v[158:159], v[24:25]
	s_waitcnt vmcnt(8) lgkmcnt(0)
	v_mul_f64 v[174:175], v[2:3], v[28:29]
	v_mul_f64 v[28:29], v[4:5], v[28:29]
	v_add_f64 v[168:169], v[168:169], v[162:163]
	v_add_f64 v[164:165], v[160:161], v[164:165]
	ds_load_b128 v[160:163], v1 offset:864
	v_fma_f64 v[158:159], v[158:159], v[22:23], v[170:171]
	v_fma_f64 v[156:157], v[156:157], v[22:23], -v[24:25]
	scratch_load_b128 v[22:25], off, off offset:432
	v_fma_f64 v[170:171], v[4:5], v[26:27], v[174:175]
	v_add_f64 v[168:169], v[168:169], v[172:173]
	v_add_f64 v[164:165], v[164:165], v[166:167]
	v_fma_f64 v[172:173], v[2:3], v[26:27], -v[28:29]
	scratch_load_b128 v[26:29], off, off offset:448
	ds_load_b128 v[2:5], v1 offset:880
	s_waitcnt vmcnt(9) lgkmcnt(1)
	v_mul_f64 v[166:167], v[160:161], v[32:33]
	v_mul_f64 v[32:33], v[162:163], v[32:33]
	s_waitcnt vmcnt(8) lgkmcnt(0)
	v_mul_f64 v[174:175], v[2:3], v[36:37]
	v_mul_f64 v[36:37], v[4:5], v[36:37]
	v_add_f64 v[168:169], v[168:169], v[156:157]
	v_add_f64 v[164:165], v[164:165], v[158:159]
	ds_load_b128 v[156:159], v1 offset:896
	v_fma_f64 v[162:163], v[162:163], v[30:31], v[166:167]
	v_fma_f64 v[160:161], v[160:161], v[30:31], -v[32:33]
	scratch_load_b128 v[30:33], off, off offset:464
	v_add_f64 v[166:167], v[168:169], v[172:173]
	v_add_f64 v[164:165], v[164:165], v[170:171]
	v_fma_f64 v[170:171], v[4:5], v[34:35], v[174:175]
	v_fma_f64 v[172:173], v[2:3], v[34:35], -v[36:37]
	scratch_load_b128 v[34:37], off, off offset:480
	ds_load_b128 v[2:5], v1 offset:912
	s_waitcnt vmcnt(9) lgkmcnt(1)
	v_mul_f64 v[168:169], v[156:157], v[154:155]
	v_mul_f64 v[154:155], v[158:159], v[154:155]
	s_waitcnt vmcnt(8) lgkmcnt(0)
	v_mul_f64 v[174:175], v[2:3], v[40:41]
	v_mul_f64 v[40:41], v[4:5], v[40:41]
	v_add_f64 v[166:167], v[166:167], v[160:161]
	v_add_f64 v[164:165], v[164:165], v[162:163]
	ds_load_b128 v[160:163], v1 offset:928
	v_fma_f64 v[158:159], v[158:159], v[152:153], v[168:169]
	v_fma_f64 v[156:157], v[156:157], v[152:153], -v[154:155]
	scratch_load_b128 v[152:155], off, off offset:496
	v_add_f64 v[166:167], v[166:167], v[172:173]
	v_add_f64 v[164:165], v[164:165], v[170:171]
	v_fma_f64 v[170:171], v[4:5], v[38:39], v[174:175]
	;; [unrolled: 18-line block ×3, first 2 shown]
	v_fma_f64 v[172:173], v[2:3], v[10:11], -v[12:13]
	scratch_load_b128 v[10:13], off, off offset:544
	ds_load_b128 v[2:5], v1 offset:976
	s_waitcnt vmcnt(9) lgkmcnt(1)
	v_mul_f64 v[168:169], v[156:157], v[16:17]
	v_mul_f64 v[16:17], v[158:159], v[16:17]
	s_waitcnt vmcnt(8) lgkmcnt(0)
	v_mul_f64 v[174:175], v[2:3], v[20:21]
	v_mul_f64 v[20:21], v[4:5], v[20:21]
	v_add_f64 v[166:167], v[166:167], v[160:161]
	v_add_f64 v[164:165], v[164:165], v[162:163]
	ds_load_b128 v[160:163], v1 offset:992
	v_fma_f64 v[158:159], v[158:159], v[14:15], v[168:169]
	v_fma_f64 v[14:15], v[156:157], v[14:15], -v[16:17]
	v_add_f64 v[16:17], v[166:167], v[172:173]
	v_add_f64 v[156:157], v[164:165], v[170:171]
	s_waitcnt vmcnt(7) lgkmcnt(0)
	v_mul_f64 v[164:165], v[160:161], v[24:25]
	v_mul_f64 v[24:25], v[162:163], v[24:25]
	v_fma_f64 v[166:167], v[4:5], v[18:19], v[174:175]
	v_fma_f64 v[18:19], v[2:3], v[18:19], -v[20:21]
	v_add_f64 v[20:21], v[16:17], v[14:15]
	v_add_f64 v[156:157], v[156:157], v[158:159]
	ds_load_b128 v[2:5], v1 offset:1008
	ds_load_b128 v[14:17], v1 offset:1024
	v_fma_f64 v[162:163], v[162:163], v[22:23], v[164:165]
	v_fma_f64 v[22:23], v[160:161], v[22:23], -v[24:25]
	s_waitcnt vmcnt(6) lgkmcnt(1)
	v_mul_f64 v[158:159], v[2:3], v[28:29]
	v_mul_f64 v[28:29], v[4:5], v[28:29]
	s_waitcnt vmcnt(5) lgkmcnt(0)
	v_mul_f64 v[24:25], v[14:15], v[32:33]
	v_mul_f64 v[32:33], v[16:17], v[32:33]
	v_add_f64 v[18:19], v[20:21], v[18:19]
	v_add_f64 v[20:21], v[156:157], v[166:167]
	v_fma_f64 v[156:157], v[4:5], v[26:27], v[158:159]
	v_fma_f64 v[26:27], v[2:3], v[26:27], -v[28:29]
	v_fma_f64 v[16:17], v[16:17], v[30:31], v[24:25]
	v_fma_f64 v[14:15], v[14:15], v[30:31], -v[32:33]
	v_add_f64 v[22:23], v[18:19], v[22:23]
	v_add_f64 v[28:29], v[20:21], v[162:163]
	ds_load_b128 v[2:5], v1 offset:1040
	ds_load_b128 v[18:21], v1 offset:1056
	s_waitcnt vmcnt(4) lgkmcnt(1)
	v_mul_f64 v[158:159], v[2:3], v[36:37]
	v_mul_f64 v[36:37], v[4:5], v[36:37]
	v_add_f64 v[22:23], v[22:23], v[26:27]
	v_add_f64 v[24:25], v[28:29], v[156:157]
	s_waitcnt vmcnt(3) lgkmcnt(0)
	v_mul_f64 v[26:27], v[18:19], v[154:155]
	v_mul_f64 v[28:29], v[20:21], v[154:155]
	v_fma_f64 v[30:31], v[4:5], v[34:35], v[158:159]
	v_fma_f64 v[32:33], v[2:3], v[34:35], -v[36:37]
	v_add_f64 v[22:23], v[22:23], v[14:15]
	v_add_f64 v[24:25], v[24:25], v[16:17]
	ds_load_b128 v[2:5], v1 offset:1072
	ds_load_b128 v[14:17], v1 offset:1088
	v_fma_f64 v[20:21], v[20:21], v[152:153], v[26:27]
	v_fma_f64 v[18:19], v[18:19], v[152:153], -v[28:29]
	s_waitcnt vmcnt(2) lgkmcnt(1)
	v_mul_f64 v[34:35], v[2:3], v[40:41]
	v_mul_f64 v[36:37], v[4:5], v[40:41]
	s_waitcnt vmcnt(1) lgkmcnt(0)
	v_mul_f64 v[26:27], v[14:15], v[8:9]
	v_mul_f64 v[8:9], v[16:17], v[8:9]
	v_add_f64 v[22:23], v[22:23], v[32:33]
	v_add_f64 v[24:25], v[24:25], v[30:31]
	v_fma_f64 v[28:29], v[4:5], v[38:39], v[34:35]
	v_fma_f64 v[30:31], v[2:3], v[38:39], -v[36:37]
	ds_load_b128 v[2:5], v1 offset:1104
	v_fma_f64 v[16:17], v[16:17], v[6:7], v[26:27]
	v_fma_f64 v[6:7], v[14:15], v[6:7], -v[8:9]
	v_add_f64 v[18:19], v[22:23], v[18:19]
	v_add_f64 v[20:21], v[24:25], v[20:21]
	s_waitcnt vmcnt(0) lgkmcnt(0)
	v_mul_f64 v[22:23], v[2:3], v[12:13]
	v_mul_f64 v[12:13], v[4:5], v[12:13]
	s_delay_alu instid0(VALU_DEP_4) | instskip(NEXT) | instid1(VALU_DEP_4)
	v_add_f64 v[8:9], v[18:19], v[30:31]
	v_add_f64 v[14:15], v[20:21], v[28:29]
	s_delay_alu instid0(VALU_DEP_4) | instskip(NEXT) | instid1(VALU_DEP_4)
	v_fma_f64 v[4:5], v[4:5], v[10:11], v[22:23]
	v_fma_f64 v[2:3], v[2:3], v[10:11], -v[12:13]
	s_delay_alu instid0(VALU_DEP_4) | instskip(NEXT) | instid1(VALU_DEP_4)
	v_add_f64 v[6:7], v[8:9], v[6:7]
	v_add_f64 v[8:9], v[14:15], v[16:17]
	s_delay_alu instid0(VALU_DEP_2) | instskip(NEXT) | instid1(VALU_DEP_2)
	v_add_f64 v[2:3], v[6:7], v[2:3]
	v_add_f64 v[4:5], v[8:9], v[4:5]
	s_delay_alu instid0(VALU_DEP_2) | instskip(NEXT) | instid1(VALU_DEP_2)
	v_add_f64 v[2:3], v[42:43], -v[2:3]
	v_add_f64 v[4:5], v[44:45], -v[4:5]
	scratch_store_b128 off, v[2:5], off offset:16
	v_cmpx_ne_u32_e32 0, v116
	s_cbranch_execz .LBB98_223
; %bb.222:
	scratch_load_b128 v[5:8], off, off
	v_mov_b32_e32 v2, v1
	v_mov_b32_e32 v3, v1
	v_mov_b32_e32 v4, v1
	scratch_store_b128 off, v[1:4], off
	s_waitcnt vmcnt(0)
	ds_store_b128 v151, v[5:8]
.LBB98_223:
	s_or_b32 exec_lo, exec_lo, s2
	s_waitcnt lgkmcnt(0)
	s_waitcnt_vscnt null, 0x0
	s_barrier
	buffer_gl0_inv
	s_clause 0x8
	scratch_load_b128 v[2:5], off, off offset:16
	scratch_load_b128 v[6:9], off, off offset:32
	;; [unrolled: 1-line block ×9, first 2 shown]
	ds_load_b128 v[42:45], v1 offset:576
	ds_load_b128 v[38:41], v1 offset:592
	s_clause 0x1
	scratch_load_b128 v[151:154], off, off
	scratch_load_b128 v[155:158], off, off offset:160
	s_and_b32 vcc_lo, exec_lo, s14
	s_waitcnt vmcnt(10) lgkmcnt(1)
	v_mul_f64 v[159:160], v[44:45], v[4:5]
	v_mul_f64 v[4:5], v[42:43], v[4:5]
	s_waitcnt vmcnt(9) lgkmcnt(0)
	v_mul_f64 v[163:164], v[38:39], v[8:9]
	v_mul_f64 v[8:9], v[40:41], v[8:9]
	s_delay_alu instid0(VALU_DEP_4) | instskip(NEXT) | instid1(VALU_DEP_4)
	v_fma_f64 v[165:166], v[42:43], v[2:3], -v[159:160]
	v_fma_f64 v[167:168], v[44:45], v[2:3], v[4:5]
	ds_load_b128 v[2:5], v1 offset:608
	ds_load_b128 v[159:162], v1 offset:624
	scratch_load_b128 v[42:45], off, off offset:176
	v_fma_f64 v[40:41], v[40:41], v[6:7], v[163:164]
	v_fma_f64 v[38:39], v[38:39], v[6:7], -v[8:9]
	scratch_load_b128 v[6:9], off, off offset:192
	s_waitcnt vmcnt(10) lgkmcnt(1)
	v_mul_f64 v[169:170], v[2:3], v[12:13]
	v_mul_f64 v[12:13], v[4:5], v[12:13]
	v_add_f64 v[163:164], v[165:166], 0
	v_add_f64 v[165:166], v[167:168], 0
	s_waitcnt vmcnt(9) lgkmcnt(0)
	v_mul_f64 v[167:168], v[159:160], v[16:17]
	v_mul_f64 v[16:17], v[161:162], v[16:17]
	v_fma_f64 v[169:170], v[4:5], v[10:11], v[169:170]
	v_fma_f64 v[171:172], v[2:3], v[10:11], -v[12:13]
	ds_load_b128 v[2:5], v1 offset:640
	scratch_load_b128 v[10:13], off, off offset:208
	v_add_f64 v[163:164], v[163:164], v[38:39]
	v_add_f64 v[165:166], v[165:166], v[40:41]
	ds_load_b128 v[38:41], v1 offset:656
	v_fma_f64 v[161:162], v[161:162], v[14:15], v[167:168]
	v_fma_f64 v[159:160], v[159:160], v[14:15], -v[16:17]
	scratch_load_b128 v[14:17], off, off offset:224
	s_waitcnt vmcnt(10) lgkmcnt(1)
	v_mul_f64 v[173:174], v[2:3], v[20:21]
	v_mul_f64 v[20:21], v[4:5], v[20:21]
	s_waitcnt vmcnt(9) lgkmcnt(0)
	v_mul_f64 v[167:168], v[38:39], v[24:25]
	v_mul_f64 v[24:25], v[40:41], v[24:25]
	v_add_f64 v[163:164], v[163:164], v[171:172]
	v_add_f64 v[165:166], v[165:166], v[169:170]
	v_fma_f64 v[169:170], v[4:5], v[18:19], v[173:174]
	v_fma_f64 v[171:172], v[2:3], v[18:19], -v[20:21]
	ds_load_b128 v[2:5], v1 offset:672
	scratch_load_b128 v[18:21], off, off offset:240
	v_fma_f64 v[40:41], v[40:41], v[22:23], v[167:168]
	v_fma_f64 v[38:39], v[38:39], v[22:23], -v[24:25]
	scratch_load_b128 v[22:25], off, off offset:256
	v_add_f64 v[163:164], v[163:164], v[159:160]
	v_add_f64 v[165:166], v[165:166], v[161:162]
	ds_load_b128 v[159:162], v1 offset:688
	s_waitcnt vmcnt(10) lgkmcnt(1)
	v_mul_f64 v[173:174], v[2:3], v[28:29]
	v_mul_f64 v[28:29], v[4:5], v[28:29]
	s_waitcnt vmcnt(9) lgkmcnt(0)
	v_mul_f64 v[167:168], v[159:160], v[32:33]
	v_mul_f64 v[32:33], v[161:162], v[32:33]
	v_add_f64 v[163:164], v[163:164], v[171:172]
	v_add_f64 v[165:166], v[165:166], v[169:170]
	v_fma_f64 v[169:170], v[4:5], v[26:27], v[173:174]
	v_fma_f64 v[171:172], v[2:3], v[26:27], -v[28:29]
	ds_load_b128 v[2:5], v1 offset:704
	scratch_load_b128 v[26:29], off, off offset:272
	v_fma_f64 v[161:162], v[161:162], v[30:31], v[167:168]
	v_fma_f64 v[159:160], v[159:160], v[30:31], -v[32:33]
	scratch_load_b128 v[30:33], off, off offset:288
	v_add_f64 v[163:164], v[163:164], v[38:39]
	v_add_f64 v[165:166], v[165:166], v[40:41]
	ds_load_b128 v[38:41], v1 offset:720
	s_waitcnt vmcnt(10) lgkmcnt(1)
	v_mul_f64 v[173:174], v[2:3], v[36:37]
	v_mul_f64 v[36:37], v[4:5], v[36:37]
	s_waitcnt vmcnt(8) lgkmcnt(0)
	v_mul_f64 v[167:168], v[38:39], v[157:158]
	v_add_f64 v[163:164], v[163:164], v[171:172]
	v_add_f64 v[165:166], v[165:166], v[169:170]
	v_mul_f64 v[169:170], v[40:41], v[157:158]
	v_fma_f64 v[171:172], v[4:5], v[34:35], v[173:174]
	v_fma_f64 v[173:174], v[2:3], v[34:35], -v[36:37]
	ds_load_b128 v[2:5], v1 offset:736
	scratch_load_b128 v[34:37], off, off offset:304
	v_fma_f64 v[167:168], v[40:41], v[155:156], v[167:168]
	v_add_f64 v[163:164], v[163:164], v[159:160]
	v_add_f64 v[161:162], v[165:166], v[161:162]
	ds_load_b128 v[157:160], v1 offset:752
	v_fma_f64 v[155:156], v[38:39], v[155:156], -v[169:170]
	scratch_load_b128 v[38:41], off, off offset:320
	s_waitcnt vmcnt(9) lgkmcnt(1)
	v_mul_f64 v[165:166], v[2:3], v[44:45]
	v_mul_f64 v[44:45], v[4:5], v[44:45]
	s_waitcnt vmcnt(8) lgkmcnt(0)
	v_mul_f64 v[169:170], v[157:158], v[8:9]
	v_mul_f64 v[8:9], v[159:160], v[8:9]
	v_add_f64 v[163:164], v[163:164], v[173:174]
	v_add_f64 v[161:162], v[161:162], v[171:172]
	v_fma_f64 v[165:166], v[4:5], v[42:43], v[165:166]
	v_fma_f64 v[171:172], v[2:3], v[42:43], -v[44:45]
	ds_load_b128 v[2:5], v1 offset:768
	scratch_load_b128 v[42:45], off, off offset:336
	v_fma_f64 v[159:160], v[159:160], v[6:7], v[169:170]
	v_fma_f64 v[157:158], v[157:158], v[6:7], -v[8:9]
	scratch_load_b128 v[6:9], off, off offset:352
	v_add_f64 v[155:156], v[163:164], v[155:156]
	v_add_f64 v[167:168], v[161:162], v[167:168]
	ds_load_b128 v[161:164], v1 offset:784
	s_waitcnt vmcnt(9) lgkmcnt(1)
	v_mul_f64 v[173:174], v[2:3], v[12:13]
	v_mul_f64 v[12:13], v[4:5], v[12:13]
	v_add_f64 v[155:156], v[155:156], v[171:172]
	v_add_f64 v[165:166], v[167:168], v[165:166]
	s_waitcnt vmcnt(8) lgkmcnt(0)
	v_mul_f64 v[167:168], v[161:162], v[16:17]
	v_mul_f64 v[16:17], v[163:164], v[16:17]
	v_fma_f64 v[169:170], v[4:5], v[10:11], v[173:174]
	v_fma_f64 v[171:172], v[2:3], v[10:11], -v[12:13]
	ds_load_b128 v[2:5], v1 offset:800
	scratch_load_b128 v[10:13], off, off offset:368
	v_add_f64 v[173:174], v[155:156], v[157:158]
	v_add_f64 v[159:160], v[165:166], v[159:160]
	ds_load_b128 v[155:158], v1 offset:816
	s_waitcnt vmcnt(8) lgkmcnt(1)
	v_mul_f64 v[165:166], v[2:3], v[20:21]
	v_mul_f64 v[20:21], v[4:5], v[20:21]
	v_fma_f64 v[163:164], v[163:164], v[14:15], v[167:168]
	v_fma_f64 v[161:162], v[161:162], v[14:15], -v[16:17]
	scratch_load_b128 v[14:17], off, off offset:384
	v_add_f64 v[167:168], v[173:174], v[171:172]
	v_add_f64 v[159:160], v[159:160], v[169:170]
	s_waitcnt vmcnt(8) lgkmcnt(0)
	v_mul_f64 v[169:170], v[155:156], v[24:25]
	v_mul_f64 v[24:25], v[157:158], v[24:25]
	v_fma_f64 v[165:166], v[4:5], v[18:19], v[165:166]
	v_fma_f64 v[171:172], v[2:3], v[18:19], -v[20:21]
	ds_load_b128 v[2:5], v1 offset:832
	scratch_load_b128 v[18:21], off, off offset:400
	v_add_f64 v[167:168], v[167:168], v[161:162]
	v_add_f64 v[163:164], v[159:160], v[163:164]
	ds_load_b128 v[159:162], v1 offset:848
	s_waitcnt vmcnt(8) lgkmcnt(1)
	v_mul_f64 v[173:174], v[2:3], v[28:29]
	v_mul_f64 v[28:29], v[4:5], v[28:29]
	v_fma_f64 v[157:158], v[157:158], v[22:23], v[169:170]
	v_fma_f64 v[155:156], v[155:156], v[22:23], -v[24:25]
	scratch_load_b128 v[22:25], off, off offset:416
	;; [unrolled: 18-line block ×4, first 2 shown]
	s_waitcnt vmcnt(8) lgkmcnt(0)
	v_mul_f64 v[167:168], v[159:160], v[8:9]
	v_mul_f64 v[8:9], v[161:162], v[8:9]
	v_add_f64 v[165:166], v[165:166], v[171:172]
	v_add_f64 v[163:164], v[163:164], v[169:170]
	v_fma_f64 v[169:170], v[4:5], v[42:43], v[173:174]
	v_fma_f64 v[171:172], v[2:3], v[42:43], -v[44:45]
	ds_load_b128 v[2:5], v1 offset:928
	scratch_load_b128 v[42:45], off, off offset:496
	v_fma_f64 v[161:162], v[161:162], v[6:7], v[167:168]
	v_fma_f64 v[159:160], v[159:160], v[6:7], -v[8:9]
	scratch_load_b128 v[6:9], off, off offset:512
	v_add_f64 v[165:166], v[165:166], v[155:156]
	v_add_f64 v[163:164], v[163:164], v[157:158]
	ds_load_b128 v[155:158], v1 offset:944
	s_waitcnt vmcnt(9) lgkmcnt(1)
	v_mul_f64 v[173:174], v[2:3], v[12:13]
	v_mul_f64 v[12:13], v[4:5], v[12:13]
	s_waitcnt vmcnt(8) lgkmcnt(0)
	v_mul_f64 v[167:168], v[155:156], v[16:17]
	v_mul_f64 v[16:17], v[157:158], v[16:17]
	v_add_f64 v[165:166], v[165:166], v[171:172]
	v_add_f64 v[163:164], v[163:164], v[169:170]
	v_fma_f64 v[169:170], v[4:5], v[10:11], v[173:174]
	v_fma_f64 v[171:172], v[2:3], v[10:11], -v[12:13]
	ds_load_b128 v[2:5], v1 offset:960
	scratch_load_b128 v[10:13], off, off offset:528
	v_fma_f64 v[157:158], v[157:158], v[14:15], v[167:168]
	v_fma_f64 v[155:156], v[155:156], v[14:15], -v[16:17]
	scratch_load_b128 v[14:17], off, off offset:544
	v_add_f64 v[165:166], v[165:166], v[159:160]
	v_add_f64 v[163:164], v[163:164], v[161:162]
	ds_load_b128 v[159:162], v1 offset:976
	s_waitcnt vmcnt(9) lgkmcnt(1)
	v_mul_f64 v[173:174], v[2:3], v[20:21]
	v_mul_f64 v[20:21], v[4:5], v[20:21]
	s_waitcnt vmcnt(8) lgkmcnt(0)
	v_mul_f64 v[167:168], v[159:160], v[24:25]
	v_mul_f64 v[24:25], v[161:162], v[24:25]
	v_add_f64 v[165:166], v[165:166], v[171:172]
	v_add_f64 v[163:164], v[163:164], v[169:170]
	v_fma_f64 v[169:170], v[4:5], v[18:19], v[173:174]
	v_fma_f64 v[171:172], v[2:3], v[18:19], -v[20:21]
	ds_load_b128 v[2:5], v1 offset:992
	ds_load_b128 v[18:21], v1 offset:1008
	v_fma_f64 v[161:162], v[161:162], v[22:23], v[167:168]
	v_fma_f64 v[22:23], v[159:160], v[22:23], -v[24:25]
	v_add_f64 v[155:156], v[165:166], v[155:156]
	v_add_f64 v[157:158], v[163:164], v[157:158]
	s_waitcnt vmcnt(7) lgkmcnt(1)
	v_mul_f64 v[163:164], v[2:3], v[28:29]
	v_mul_f64 v[28:29], v[4:5], v[28:29]
	s_delay_alu instid0(VALU_DEP_4) | instskip(NEXT) | instid1(VALU_DEP_4)
	v_add_f64 v[24:25], v[155:156], v[171:172]
	v_add_f64 v[155:156], v[157:158], v[169:170]
	s_waitcnt vmcnt(6) lgkmcnt(0)
	v_mul_f64 v[157:158], v[18:19], v[32:33]
	v_mul_f64 v[32:33], v[20:21], v[32:33]
	v_fma_f64 v[159:160], v[4:5], v[26:27], v[163:164]
	v_fma_f64 v[26:27], v[2:3], v[26:27], -v[28:29]
	v_add_f64 v[28:29], v[24:25], v[22:23]
	v_add_f64 v[155:156], v[155:156], v[161:162]
	ds_load_b128 v[2:5], v1 offset:1024
	ds_load_b128 v[22:25], v1 offset:1040
	v_fma_f64 v[20:21], v[20:21], v[30:31], v[157:158]
	v_fma_f64 v[18:19], v[18:19], v[30:31], -v[32:33]
	s_waitcnt vmcnt(5) lgkmcnt(1)
	v_mul_f64 v[161:162], v[2:3], v[36:37]
	v_mul_f64 v[36:37], v[4:5], v[36:37]
	s_waitcnt vmcnt(4) lgkmcnt(0)
	v_mul_f64 v[30:31], v[22:23], v[40:41]
	v_mul_f64 v[32:33], v[24:25], v[40:41]
	v_add_f64 v[26:27], v[28:29], v[26:27]
	v_add_f64 v[28:29], v[155:156], v[159:160]
	v_fma_f64 v[40:41], v[4:5], v[34:35], v[161:162]
	v_fma_f64 v[34:35], v[2:3], v[34:35], -v[36:37]
	v_fma_f64 v[24:25], v[24:25], v[38:39], v[30:31]
	v_fma_f64 v[22:23], v[22:23], v[38:39], -v[32:33]
	v_add_f64 v[26:27], v[26:27], v[18:19]
	v_add_f64 v[28:29], v[28:29], v[20:21]
	ds_load_b128 v[2:5], v1 offset:1056
	ds_load_b128 v[18:21], v1 offset:1072
	s_waitcnt vmcnt(3) lgkmcnt(1)
	v_mul_f64 v[36:37], v[2:3], v[44:45]
	v_mul_f64 v[44:45], v[4:5], v[44:45]
	s_waitcnt vmcnt(2) lgkmcnt(0)
	v_mul_f64 v[30:31], v[18:19], v[8:9]
	v_mul_f64 v[8:9], v[20:21], v[8:9]
	v_add_f64 v[26:27], v[26:27], v[34:35]
	v_add_f64 v[28:29], v[28:29], v[40:41]
	v_fma_f64 v[32:33], v[4:5], v[42:43], v[36:37]
	v_fma_f64 v[34:35], v[2:3], v[42:43], -v[44:45]
	v_fma_f64 v[20:21], v[20:21], v[6:7], v[30:31]
	v_fma_f64 v[6:7], v[18:19], v[6:7], -v[8:9]
	v_add_f64 v[26:27], v[26:27], v[22:23]
	v_add_f64 v[28:29], v[28:29], v[24:25]
	ds_load_b128 v[2:5], v1 offset:1088
	ds_load_b128 v[22:25], v1 offset:1104
	s_waitcnt vmcnt(1) lgkmcnt(1)
	v_mul_f64 v[36:37], v[2:3], v[12:13]
	v_mul_f64 v[12:13], v[4:5], v[12:13]
	v_add_f64 v[8:9], v[26:27], v[34:35]
	v_add_f64 v[18:19], v[28:29], v[32:33]
	s_waitcnt vmcnt(0) lgkmcnt(0)
	v_mul_f64 v[26:27], v[22:23], v[16:17]
	v_mul_f64 v[16:17], v[24:25], v[16:17]
	v_fma_f64 v[4:5], v[4:5], v[10:11], v[36:37]
	v_fma_f64 v[1:2], v[2:3], v[10:11], -v[12:13]
	v_add_f64 v[6:7], v[8:9], v[6:7]
	v_add_f64 v[8:9], v[18:19], v[20:21]
	v_fma_f64 v[10:11], v[24:25], v[14:15], v[26:27]
	v_fma_f64 v[12:13], v[22:23], v[14:15], -v[16:17]
	s_delay_alu instid0(VALU_DEP_4) | instskip(NEXT) | instid1(VALU_DEP_4)
	v_add_f64 v[1:2], v[6:7], v[1:2]
	v_add_f64 v[3:4], v[8:9], v[4:5]
	s_delay_alu instid0(VALU_DEP_2) | instskip(NEXT) | instid1(VALU_DEP_2)
	v_add_f64 v[1:2], v[1:2], v[12:13]
	v_add_f64 v[3:4], v[3:4], v[10:11]
	s_delay_alu instid0(VALU_DEP_2) | instskip(NEXT) | instid1(VALU_DEP_2)
	v_add_f64 v[1:2], v[151:152], -v[1:2]
	v_add_f64 v[3:4], v[153:154], -v[3:4]
	scratch_store_b128 off, v[1:4], off
	s_cbranch_vccz .LBB98_293
; %bb.224:
	v_dual_mov_b32 v1, s8 :: v_dual_mov_b32 v2, s9
	s_load_b64 s[0:1], s[0:1], 0x4
	flat_load_b32 v1, v[1:2] offset:132
	v_bfe_u32 v2, v0, 10, 10
	v_bfe_u32 v0, v0, 20, 10
	s_waitcnt lgkmcnt(0)
	s_lshr_b32 s0, s0, 16
	s_delay_alu instid0(VALU_DEP_2) | instskip(SKIP_1) | instid1(SALU_CYCLE_1)
	v_mul_u32_u24_e32 v2, s1, v2
	s_mul_i32 s0, s0, s1
	v_mul_u32_u24_e32 v3, s0, v116
	s_mov_b32 s0, exec_lo
	s_delay_alu instid0(VALU_DEP_1) | instskip(NEXT) | instid1(VALU_DEP_1)
	v_add3_u32 v0, v3, v2, v0
	v_lshl_add_u32 v0, v0, 4, 0x468
	s_waitcnt vmcnt(0)
	v_cmpx_ne_u32_e32 34, v1
	s_cbranch_execz .LBB98_226
; %bb.225:
	v_lshl_add_u32 v9, v1, 4, 0
	s_clause 0x1
	scratch_load_b128 v[1:4], v132, off
	scratch_load_b128 v[5:8], v9, off offset:-16
	s_waitcnt vmcnt(1)
	ds_store_2addr_b64 v0, v[1:2], v[3:4] offset1:1
	s_waitcnt vmcnt(0)
	s_clause 0x1
	scratch_store_b128 v132, v[5:8], off
	scratch_store_b128 v9, v[1:4], off offset:-16
.LBB98_226:
	s_or_b32 exec_lo, exec_lo, s0
	v_dual_mov_b32 v1, s8 :: v_dual_mov_b32 v2, s9
	s_mov_b32 s0, exec_lo
	flat_load_b32 v1, v[1:2] offset:128
	s_waitcnt vmcnt(0) lgkmcnt(0)
	v_cmpx_ne_u32_e32 33, v1
	s_cbranch_execz .LBB98_228
; %bb.227:
	v_lshl_add_u32 v9, v1, 4, 0
	s_clause 0x1
	scratch_load_b128 v[1:4], v137, off
	scratch_load_b128 v[5:8], v9, off offset:-16
	s_waitcnt vmcnt(1)
	ds_store_2addr_b64 v0, v[1:2], v[3:4] offset1:1
	s_waitcnt vmcnt(0)
	s_clause 0x1
	scratch_store_b128 v137, v[5:8], off
	scratch_store_b128 v9, v[1:4], off offset:-16
.LBB98_228:
	s_or_b32 exec_lo, exec_lo, s0
	v_dual_mov_b32 v1, s8 :: v_dual_mov_b32 v2, s9
	s_mov_b32 s0, exec_lo
	flat_load_b32 v1, v[1:2] offset:124
	s_waitcnt vmcnt(0) lgkmcnt(0)
	;; [unrolled: 19-line block ×32, first 2 shown]
	v_cmpx_ne_u32_e32 2, v1
	s_cbranch_execz .LBB98_290
; %bb.289:
	v_lshl_add_u32 v9, v1, 4, 0
	s_clause 0x1
	scratch_load_b128 v[1:4], v120, off
	scratch_load_b128 v[5:8], v9, off offset:-16
	s_waitcnt vmcnt(1)
	ds_store_2addr_b64 v0, v[1:2], v[3:4] offset1:1
	s_waitcnt vmcnt(0)
	s_clause 0x1
	scratch_store_b128 v120, v[5:8], off
	scratch_store_b128 v9, v[1:4], off offset:-16
.LBB98_290:
	s_or_b32 exec_lo, exec_lo, s0
	v_dual_mov_b32 v1, s8 :: v_dual_mov_b32 v2, s9
	s_mov_b32 s0, exec_lo
	flat_load_b32 v1, v[1:2]
	s_waitcnt vmcnt(0) lgkmcnt(0)
	v_cmpx_ne_u32_e32 1, v1
	s_cbranch_execz .LBB98_292
; %bb.291:
	v_lshl_add_u32 v9, v1, 4, 0
	scratch_load_b128 v[1:4], off, off
	scratch_load_b128 v[5:8], v9, off offset:-16
	s_waitcnt vmcnt(1)
	ds_store_2addr_b64 v0, v[1:2], v[3:4] offset1:1
	s_waitcnt vmcnt(0)
	scratch_store_b128 off, v[5:8], off
	scratch_store_b128 v9, v[1:4], off offset:-16
.LBB98_292:
	s_or_b32 exec_lo, exec_lo, s0
.LBB98_293:
	scratch_load_b128 v[0:3], off, off
	s_clause 0x19
	scratch_load_b128 v[4:7], v120, off
	scratch_load_b128 v[8:11], v119, off
	;; [unrolled: 1-line block ×26, first 2 shown]
	s_waitcnt vmcnt(26)
	global_store_b128 v[46:47], v[0:3], off
	s_clause 0x1
	scratch_load_b128 v[0:3], v146, off
	scratch_load_b128 v[44:47], v145, off
	s_waitcnt vmcnt(27)
	global_store_b128 v[48:49], v[4:7], off
	s_clause 0x1
	scratch_load_b128 v[4:7], v144, off
	scratch_load_b128 v[141:144], v143, off
	;; [unrolled: 5-line block ×4, first 2 shown]
	s_waitcnt vmcnt(30)
	global_store_b128 v[54:55], v[16:19], off
	s_waitcnt vmcnt(29)
	global_store_b128 v[56:57], v[20:23], off
	;; [unrolled: 2-line block ×31, first 2 shown]
	s_endpgm
	.section	.rodata,"a",@progbits
	.p2align	6, 0x0
	.amdhsa_kernel _ZN9rocsolver6v33100L18getri_kernel_smallILi35E19rocblas_complex_numIdEPKPS3_EEvT1_iilPiilS8_bb
		.amdhsa_group_segment_fixed_size 2152
		.amdhsa_private_segment_fixed_size 576
		.amdhsa_kernarg_size 60
		.amdhsa_user_sgpr_count 15
		.amdhsa_user_sgpr_dispatch_ptr 1
		.amdhsa_user_sgpr_queue_ptr 0
		.amdhsa_user_sgpr_kernarg_segment_ptr 1
		.amdhsa_user_sgpr_dispatch_id 0
		.amdhsa_user_sgpr_private_segment_size 0
		.amdhsa_wavefront_size32 1
		.amdhsa_uses_dynamic_stack 0
		.amdhsa_enable_private_segment 1
		.amdhsa_system_sgpr_workgroup_id_x 1
		.amdhsa_system_sgpr_workgroup_id_y 0
		.amdhsa_system_sgpr_workgroup_id_z 0
		.amdhsa_system_sgpr_workgroup_info 0
		.amdhsa_system_vgpr_workitem_id 2
		.amdhsa_next_free_vgpr 215
		.amdhsa_next_free_sgpr 42
		.amdhsa_reserve_vcc 1
		.amdhsa_float_round_mode_32 0
		.amdhsa_float_round_mode_16_64 0
		.amdhsa_float_denorm_mode_32 3
		.amdhsa_float_denorm_mode_16_64 3
		.amdhsa_dx10_clamp 1
		.amdhsa_ieee_mode 1
		.amdhsa_fp16_overflow 0
		.amdhsa_workgroup_processor_mode 1
		.amdhsa_memory_ordered 1
		.amdhsa_forward_progress 0
		.amdhsa_shared_vgpr_count 0
		.amdhsa_exception_fp_ieee_invalid_op 0
		.amdhsa_exception_fp_denorm_src 0
		.amdhsa_exception_fp_ieee_div_zero 0
		.amdhsa_exception_fp_ieee_overflow 0
		.amdhsa_exception_fp_ieee_underflow 0
		.amdhsa_exception_fp_ieee_inexact 0
		.amdhsa_exception_int_div_zero 0
	.end_amdhsa_kernel
	.section	.text._ZN9rocsolver6v33100L18getri_kernel_smallILi35E19rocblas_complex_numIdEPKPS3_EEvT1_iilPiilS8_bb,"axG",@progbits,_ZN9rocsolver6v33100L18getri_kernel_smallILi35E19rocblas_complex_numIdEPKPS3_EEvT1_iilPiilS8_bb,comdat
.Lfunc_end98:
	.size	_ZN9rocsolver6v33100L18getri_kernel_smallILi35E19rocblas_complex_numIdEPKPS3_EEvT1_iilPiilS8_bb, .Lfunc_end98-_ZN9rocsolver6v33100L18getri_kernel_smallILi35E19rocblas_complex_numIdEPKPS3_EEvT1_iilPiilS8_bb
                                        ; -- End function
	.section	.AMDGPU.csdata,"",@progbits
; Kernel info:
; codeLenInByte = 62352
; NumSgprs: 44
; NumVgprs: 215
; ScratchSize: 576
; MemoryBound: 0
; FloatMode: 240
; IeeeMode: 1
; LDSByteSize: 2152 bytes/workgroup (compile time only)
; SGPRBlocks: 5
; VGPRBlocks: 26
; NumSGPRsForWavesPerEU: 44
; NumVGPRsForWavesPerEU: 215
; Occupancy: 7
; WaveLimiterHint : 1
; COMPUTE_PGM_RSRC2:SCRATCH_EN: 1
; COMPUTE_PGM_RSRC2:USER_SGPR: 15
; COMPUTE_PGM_RSRC2:TRAP_HANDLER: 0
; COMPUTE_PGM_RSRC2:TGID_X_EN: 1
; COMPUTE_PGM_RSRC2:TGID_Y_EN: 0
; COMPUTE_PGM_RSRC2:TGID_Z_EN: 0
; COMPUTE_PGM_RSRC2:TIDIG_COMP_CNT: 2
	.section	.text._ZN9rocsolver6v33100L18getri_kernel_smallILi36E19rocblas_complex_numIdEPKPS3_EEvT1_iilPiilS8_bb,"axG",@progbits,_ZN9rocsolver6v33100L18getri_kernel_smallILi36E19rocblas_complex_numIdEPKPS3_EEvT1_iilPiilS8_bb,comdat
	.globl	_ZN9rocsolver6v33100L18getri_kernel_smallILi36E19rocblas_complex_numIdEPKPS3_EEvT1_iilPiilS8_bb ; -- Begin function _ZN9rocsolver6v33100L18getri_kernel_smallILi36E19rocblas_complex_numIdEPKPS3_EEvT1_iilPiilS8_bb
	.p2align	8
	.type	_ZN9rocsolver6v33100L18getri_kernel_smallILi36E19rocblas_complex_numIdEPKPS3_EEvT1_iilPiilS8_bb,@function
_ZN9rocsolver6v33100L18getri_kernel_smallILi36E19rocblas_complex_numIdEPKPS3_EEvT1_iilPiilS8_bb: ; @_ZN9rocsolver6v33100L18getri_kernel_smallILi36E19rocblas_complex_numIdEPKPS3_EEvT1_iilPiilS8_bb
; %bb.0:
	v_and_b32_e32 v118, 0x3ff, v0
	s_mov_b32 s4, exec_lo
	s_delay_alu instid0(VALU_DEP_1)
	v_cmpx_gt_u32_e32 36, v118
	s_cbranch_execz .LBB99_158
; %bb.1:
	s_clause 0x1
	s_load_b32 s17, s[2:3], 0x38
	s_load_b64 s[8:9], s[2:3], 0x0
	s_mov_b32 s10, s15
	s_load_b128 s[4:7], s[2:3], 0x28
	s_waitcnt lgkmcnt(0)
	s_bitcmp1_b32 s17, 8
	s_cselect_b32 s16, -1, 0
	s_ashr_i32 s11, s15, 31
	s_delay_alu instid0(SALU_CYCLE_1) | instskip(NEXT) | instid1(SALU_CYCLE_1)
	s_lshl_b64 s[12:13], s[10:11], 3
	s_add_u32 s8, s8, s12
	s_addc_u32 s9, s9, s13
	s_load_b64 s[14:15], s[8:9], 0x0
	s_bfe_u32 s8, s17, 0x10008
	s_delay_alu instid0(SALU_CYCLE_1)
	s_cmp_eq_u32 s8, 0
                                        ; implicit-def: $sgpr8_sgpr9
	s_cbranch_scc1 .LBB99_3
; %bb.2:
	s_clause 0x1
	s_load_b32 s8, s[2:3], 0x20
	s_load_b64 s[12:13], s[2:3], 0x18
	s_mul_i32 s5, s10, s5
	s_mul_hi_u32 s9, s10, s4
	s_mul_i32 s18, s11, s4
	s_add_i32 s5, s9, s5
	s_mul_i32 s4, s10, s4
	s_add_i32 s5, s5, s18
	s_delay_alu instid0(SALU_CYCLE_1)
	s_lshl_b64 s[4:5], s[4:5], 2
	s_waitcnt lgkmcnt(0)
	s_ashr_i32 s9, s8, 31
	s_add_u32 s12, s12, s4
	s_addc_u32 s13, s13, s5
	s_lshl_b64 s[4:5], s[8:9], 2
	s_delay_alu instid0(SALU_CYCLE_1)
	s_add_u32 s8, s12, s4
	s_addc_u32 s9, s13, s5
.LBB99_3:
	s_load_b64 s[4:5], s[2:3], 0x8
	v_lshlrev_b32_e32 v13, 4, v118
	s_movk_i32 s18, 0xc0
	s_movk_i32 s19, 0xd0
	;; [unrolled: 1-line block ×18, first 2 shown]
	s_waitcnt lgkmcnt(0)
	v_add3_u32 v5, s5, s5, v118
	s_ashr_i32 s3, s4, 31
	s_mov_b32 s2, s4
	s_mov_b32 s12, s5
	s_lshl_b64 s[2:3], s[2:3], 4
	v_add_nc_u32_e32 v9, s5, v5
	v_ashrrev_i32_e32 v6, 31, v5
	s_add_u32 s2, s14, s2
	s_addc_u32 s3, s15, s3
	v_add_co_u32 v48, s4, s2, v13
	v_add_nc_u32_e32 v11, s5, v9
	s_ashr_i32 s13, s5, 31
	v_add_co_ci_u32_e64 v49, null, s3, 0, s4
	v_lshlrev_b64 v[14:15], 4, v[5:6]
	s_lshl_b64 s[12:13], s[12:13], 4
	v_add_nc_u32_e32 v18, s5, v11
	v_add_co_u32 v46, vcc_lo, v48, s12
	v_ashrrev_i32_e32 v10, 31, v9
	v_add_co_ci_u32_e32 v47, vcc_lo, s13, v49, vcc_lo
	v_ashrrev_i32_e32 v12, 31, v11
	v_add_co_u32 v50, vcc_lo, s2, v14
	v_add_nc_u32_e32 v22, s5, v18
	v_add_co_ci_u32_e32 v51, vcc_lo, s3, v15, vcc_lo
	v_lshlrev_b64 v[14:15], 4, v[9:10]
	v_ashrrev_i32_e32 v19, 31, v18
	v_lshlrev_b64 v[16:17], 4, v[11:12]
	v_add_nc_u32_e32 v34, s5, v22
	v_ashrrev_i32_e32 v23, 31, v22
	s_clause 0x1
	global_load_b128 v[1:4], v13, s[2:3]
	global_load_b128 v[5:8], v[46:47], off
	v_add_co_u32 v52, vcc_lo, s2, v14
	v_lshlrev_b64 v[24:25], 4, v[18:19]
	v_add_co_ci_u32_e32 v53, vcc_lo, s3, v15, vcc_lo
	v_add_co_u32 v54, vcc_lo, s2, v16
	v_ashrrev_i32_e32 v35, 31, v34
	v_add_co_ci_u32_e32 v55, vcc_lo, s3, v17, vcc_lo
	v_lshlrev_b64 v[22:23], 4, v[22:23]
	v_add_co_u32 v56, vcc_lo, s2, v24
	v_add_co_ci_u32_e32 v57, vcc_lo, s3, v25, vcc_lo
	v_lshlrev_b64 v[24:25], 4, v[34:35]
	s_delay_alu instid0(VALU_DEP_4)
	v_add_co_u32 v58, vcc_lo, s2, v22
	s_clause 0x1
	global_load_b128 v[9:12], v[50:51], off
	global_load_b128 v[14:17], v[52:53], off
	v_add_co_ci_u32_e32 v59, vcc_lo, s3, v23, vcc_lo
	v_add_co_u32 v60, vcc_lo, s2, v24
	v_add_co_ci_u32_e32 v61, vcc_lo, s3, v25, vcc_lo
	s_clause 0x3
	global_load_b128 v[18:21], v[54:55], off
	global_load_b128 v[22:25], v[56:57], off
	;; [unrolled: 1-line block ×4, first 2 shown]
	v_add_nc_u32_e32 v34, s5, v34
	s_movk_i32 s4, 0x60
	s_movk_i32 s12, 0x80
	;; [unrolled: 1-line block ×4, first 2 shown]
	v_add_nc_u32_e32 v36, s5, v34
	v_ashrrev_i32_e32 v35, 31, v34
	s_movk_i32 s15, 0xb0
	s_movk_i32 s37, 0x1e0
	;; [unrolled: 1-line block ×3, first 2 shown]
	v_add_nc_u32_e32 v38, s5, v36
	v_ashrrev_i32_e32 v37, 31, v36
	v_lshlrev_b64 v[34:35], 4, v[34:35]
	s_movk_i32 s39, 0x200
	s_movk_i32 s40, 0x210
	v_add_nc_u32_e32 v40, s5, v38
	v_ashrrev_i32_e32 v39, 31, v38
	v_lshlrev_b64 v[42:43], 4, v[36:37]
	v_add_co_u32 v62, vcc_lo, s2, v34
	s_delay_alu instid0(VALU_DEP_4) | instskip(SKIP_3) | instid1(VALU_DEP_4)
	v_add_nc_u32_e32 v44, s5, v40
	v_ashrrev_i32_e32 v41, 31, v40
	v_lshlrev_b64 v[38:39], 4, v[38:39]
	v_add_co_ci_u32_e32 v63, vcc_lo, s3, v35, vcc_lo
	v_add_nc_u32_e32 v70, s5, v44
	v_ashrrev_i32_e32 v45, 31, v44
	v_add_co_u32 v64, vcc_lo, s2, v42
	v_lshlrev_b64 v[68:69], 4, v[40:41]
	s_delay_alu instid0(VALU_DEP_4) | instskip(SKIP_3) | instid1(VALU_DEP_4)
	v_add_nc_u32_e32 v72, s5, v70
	v_ashrrev_i32_e32 v71, 31, v70
	v_add_co_ci_u32_e32 v65, vcc_lo, s3, v43, vcc_lo
	v_add_co_u32 v66, vcc_lo, s2, v38
	v_add_nc_u32_e32 v76, s5, v72
	v_lshlrev_b64 v[74:75], 4, v[44:45]
	v_add_co_ci_u32_e32 v67, vcc_lo, s3, v39, vcc_lo
	v_add_co_u32 v68, vcc_lo, s2, v68
	v_lshlrev_b64 v[78:79], 4, v[70:71]
	v_ashrrev_i32_e32 v73, 31, v72
	v_add_nc_u32_e32 v80, s5, v76
	v_add_co_ci_u32_e32 v69, vcc_lo, s3, v69, vcc_lo
	v_add_co_u32 v70, vcc_lo, s2, v74
	v_add_co_ci_u32_e32 v71, vcc_lo, s3, v75, vcc_lo
	v_lshlrev_b64 v[74:75], 4, v[72:73]
	v_add_co_u32 v72, vcc_lo, s2, v78
	v_add_nc_u32_e32 v78, s5, v80
	v_ashrrev_i32_e32 v77, 31, v76
	v_ashrrev_i32_e32 v81, 31, v80
	v_add_co_ci_u32_e32 v73, vcc_lo, s3, v79, vcc_lo
	s_delay_alu instid0(VALU_DEP_4) | instskip(NEXT) | instid1(VALU_DEP_4)
	v_add_nc_u32_e32 v82, s5, v78
	v_lshlrev_b64 v[76:77], 4, v[76:77]
	v_ashrrev_i32_e32 v79, 31, v78
	v_add_co_u32 v74, vcc_lo, s2, v74
	s_delay_alu instid0(VALU_DEP_4) | instskip(SKIP_3) | instid1(VALU_DEP_4)
	v_add_nc_u32_e32 v84, s5, v82
	v_lshlrev_b64 v[80:81], 4, v[80:81]
	v_ashrrev_i32_e32 v83, 31, v82
	v_add_co_ci_u32_e32 v75, vcc_lo, s3, v75, vcc_lo
	v_add_nc_u32_e32 v88, s5, v84
	v_add_co_u32 v76, vcc_lo, s2, v76
	v_lshlrev_b64 v[86:87], 4, v[78:79]
	v_ashrrev_i32_e32 v85, 31, v84
	s_delay_alu instid0(VALU_DEP_4) | instskip(SKIP_2) | instid1(VALU_DEP_3)
	v_add_nc_u32_e32 v90, s5, v88
	v_add_co_ci_u32_e32 v77, vcc_lo, s3, v77, vcc_lo
	v_add_co_u32 v78, vcc_lo, s2, v80
	v_add_nc_u32_e32 v92, s5, v90
	v_lshlrev_b64 v[82:83], 4, v[82:83]
	v_ashrrev_i32_e32 v89, 31, v88
	v_add_co_ci_u32_e32 v79, vcc_lo, s3, v81, vcc_lo
	s_delay_alu instid0(VALU_DEP_4) | instskip(SKIP_3) | instid1(VALU_DEP_4)
	v_add_nc_u32_e32 v94, s5, v92
	v_add_co_u32 v80, vcc_lo, s2, v86
	v_lshlrev_b64 v[84:85], 4, v[84:85]
	v_ashrrev_i32_e32 v91, 31, v90
	v_add_nc_u32_e32 v96, s5, v94
	v_add_co_ci_u32_e32 v81, vcc_lo, s3, v87, vcc_lo
	v_add_co_u32 v82, vcc_lo, s2, v82
	s_delay_alu instid0(VALU_DEP_3) | instskip(SKIP_3) | instid1(VALU_DEP_4)
	v_add_nc_u32_e32 v98, s5, v96
	v_lshlrev_b64 v[86:87], 4, v[88:89]
	v_ashrrev_i32_e32 v93, 31, v92
	v_add_co_ci_u32_e32 v83, vcc_lo, s3, v83, vcc_lo
	v_add_nc_u32_e32 v100, s5, v98
	v_add_co_u32 v84, vcc_lo, s2, v84
	v_lshlrev_b64 v[88:89], 4, v[90:91]
	v_ashrrev_i32_e32 v95, 31, v94
	s_delay_alu instid0(VALU_DEP_4) | instskip(SKIP_2) | instid1(VALU_DEP_3)
	v_add_nc_u32_e32 v102, s5, v100
	v_add_co_ci_u32_e32 v85, vcc_lo, s3, v85, vcc_lo
	v_add_co_u32 v86, vcc_lo, s2, v86
	v_add_nc_u32_e32 v104, s5, v102
	v_lshlrev_b64 v[90:91], 4, v[92:93]
	v_ashrrev_i32_e32 v97, 31, v96
	v_add_co_ci_u32_e32 v87, vcc_lo, s3, v87, vcc_lo
	s_delay_alu instid0(VALU_DEP_4) | instskip(SKIP_3) | instid1(VALU_DEP_4)
	v_add_nc_u32_e32 v106, s5, v104
	v_add_co_u32 v88, vcc_lo, s2, v88
	v_lshlrev_b64 v[92:93], 4, v[94:95]
	v_ashrrev_i32_e32 v99, 31, v98
	v_add_nc_u32_e32 v108, s5, v106
	v_ashrrev_i32_e32 v101, 31, v100
	v_ashrrev_i32_e32 v103, 31, v102
	v_add_co_ci_u32_e32 v89, vcc_lo, s3, v89, vcc_lo
	s_delay_alu instid0(VALU_DEP_4) | instskip(SKIP_3) | instid1(VALU_DEP_4)
	v_add_nc_u32_e32 v110, s5, v108
	v_add_co_u32 v90, vcc_lo, s2, v90
	v_lshlrev_b64 v[94:95], 4, v[96:97]
	v_add_co_ci_u32_e32 v91, vcc_lo, s3, v91, vcc_lo
	v_add_nc_u32_e32 v112, s5, v110
	v_lshlrev_b64 v[96:97], 4, v[98:99]
	v_lshlrev_b64 v[98:99], 4, v[100:101]
	;; [unrolled: 1-line block ×3, first 2 shown]
	v_add_co_u32 v92, vcc_lo, s2, v92
	v_add_nc_u32_e32 v114, s5, v112
	v_add_co_ci_u32_e32 v93, vcc_lo, s3, v93, vcc_lo
	v_add_co_u32 v94, vcc_lo, s2, v94
	s_delay_alu instid0(VALU_DEP_3) | instskip(SKIP_2) | instid1(VALU_DEP_3)
	v_add_nc_u32_e32 v116, s5, v114
	v_add_co_ci_u32_e32 v95, vcc_lo, s3, v95, vcc_lo
	v_add_co_u32 v96, vcc_lo, s2, v96
	v_add_nc_u32_e32 v102, s5, v116
	v_ashrrev_i32_e32 v105, 31, v104
	v_add_co_ci_u32_e32 v97, vcc_lo, s3, v97, vcc_lo
	v_add_co_u32 v98, vcc_lo, s2, v98
	s_delay_alu instid0(VALU_DEP_4) | instskip(SKIP_3) | instid1(VALU_DEP_4)
	v_ashrrev_i32_e32 v103, 31, v102
	v_ashrrev_i32_e32 v107, 31, v106
	v_add_co_ci_u32_e32 v99, vcc_lo, s3, v99, vcc_lo
	v_lshlrev_b64 v[104:105], 4, v[104:105]
	v_lshlrev_b64 v[102:103], 4, v[102:103]
	v_add_co_u32 v100, vcc_lo, s2, v100
	v_ashrrev_i32_e32 v109, 31, v108
	v_add_co_ci_u32_e32 v101, vcc_lo, s3, v101, vcc_lo
	v_lshlrev_b64 v[106:107], 4, v[106:107]
	v_add_co_u32 v102, vcc_lo, s2, v102
	v_ashrrev_i32_e32 v111, 31, v110
	v_add_co_ci_u32_e32 v103, vcc_lo, s3, v103, vcc_lo
	v_add_co_u32 v104, vcc_lo, s2, v104
	v_lshlrev_b64 v[108:109], 4, v[108:109]
	v_ashrrev_i32_e32 v113, 31, v112
	v_add_co_ci_u32_e32 v105, vcc_lo, s3, v105, vcc_lo
	v_add_co_u32 v106, vcc_lo, s2, v106
	v_lshlrev_b64 v[110:111], 4, v[110:111]
	;; [unrolled: 4-line block ×4, first 2 shown]
	v_add_co_ci_u32_e32 v111, vcc_lo, s3, v111, vcc_lo
	v_add_co_u32 v112, vcc_lo, s2, v112
	v_lshlrev_b64 v[116:117], 4, v[116:117]
	v_add_co_ci_u32_e32 v113, vcc_lo, s3, v113, vcc_lo
	v_add_co_u32 v114, vcc_lo, s2, v114
	v_add_co_ci_u32_e32 v115, vcc_lo, s3, v115, vcc_lo
	s_clause 0x13
	global_load_b128 v[34:37], v[62:63], off
	global_load_b128 v[38:41], v[64:65], off
	;; [unrolled: 1-line block ×20, first 2 shown]
	v_add_co_u32 v116, vcc_lo, s2, v116
	v_add_co_ci_u32_e32 v117, vcc_lo, s3, v117, vcc_lo
	s_movk_i32 s2, 0x50
	s_movk_i32 s5, 0x70
	;; [unrolled: 1-line block ×4, first 2 shown]
	v_add_nc_u32_e64 v122, 0, 16
	v_add_nc_u32_e64 v120, 0, 32
	;; [unrolled: 1-line block ×21, first 2 shown]
	s_mov_b32 s3, -1
	s_bitcmp0_b32 s17, 0
	s_waitcnt vmcnt(27)
	scratch_store_b128 off, v[1:4], off
	s_waitcnt vmcnt(26)
	scratch_store_b128 off, v[5:8], off offset:16
	s_clause 0x1
	global_load_b128 v[1:4], v[100:101], off
	global_load_b128 v[5:8], v[104:105], off
	s_waitcnt vmcnt(27)
	scratch_store_b128 off, v[9:12], off offset:32
	s_waitcnt vmcnt(26)
	scratch_store_b128 off, v[14:17], off offset:48
	s_clause 0x1
	global_load_b128 v[9:12], v[106:107], off
	global_load_b128 v[14:17], v[108:109], off
	s_waitcnt vmcnt(26)
	s_clause 0x1
	scratch_store_b128 off, v[22:25], off offset:80
	scratch_store_b128 off, v[18:21], off offset:64
	s_clause 0x1
	global_load_b128 v[18:21], v[110:111], off
	global_load_b128 v[22:25], v[112:113], off
	s_waitcnt vmcnt(27)
	scratch_store_b128 off, v[26:29], off offset:96
	s_waitcnt vmcnt(26)
	scratch_store_b128 off, v[30:33], off offset:112
	s_clause 0x1
	global_load_b128 v[26:29], v[114:115], off
	global_load_b128 v[30:33], v[116:117], off
	s_waitcnt vmcnt(27)
	scratch_store_b128 off, v[34:37], off offset:128
	s_waitcnt vmcnt(26)
	scratch_store_b128 off, v[38:41], off offset:144
	;; [unrolled: 2-line block ×4, first 2 shown]
	v_add_nc_u32_e64 v125, s24, 0
	s_waitcnt vmcnt(23)
	scratch_store_b128 off, v[144:147], off offset:192
	v_add_nc_u32_e64 v126, s25, 0
	v_add_nc_u32_e64 v147, s33, 0
	v_add_nc_u32_e64 v146, s34, 0
	v_add_nc_u32_e64 v145, s35, 0
	v_add_nc_u32_e64 v144, s36, 0
	v_add_nc_u32_e64 v124, s41, 0
	v_add_nc_u32_e64 v123, s42, 0
	s_waitcnt vmcnt(22)
	scratch_store_b128 off, v[148:151], off offset:208
	s_waitcnt vmcnt(21)
	scratch_store_b128 off, v[152:155], off offset:224
	;; [unrolled: 2-line block ×19, first 2 shown]
	v_add_nc_u32_e64 v153, s26, 0
	v_add_nc_u32_e64 v152, s27, 0
	v_add_nc_u32_e64 v151, s28, 0
	v_add_nc_u32_e64 v150, s29, 0
	v_add_nc_u32_e64 v149, s30, 0
	v_add_nc_u32_e64 v148, s31, 0
	s_waitcnt vmcnt(2)
	scratch_store_b128 off, v[22:25], off offset:512
	s_waitcnt vmcnt(1)
	scratch_store_b128 off, v[26:29], off offset:528
	s_waitcnt vmcnt(0)
	s_clause 0x1
	scratch_store_b128 off, v[30:33], off offset:544
	scratch_store_b128 off, v[204:207], off offset:560
	s_cbranch_scc1 .LBB99_156
; %bb.4:
	v_cmp_eq_u32_e64 s2, 0, v118
	s_delay_alu instid0(VALU_DEP_1)
	s_and_saveexec_b32 s3, s2
	s_cbranch_execz .LBB99_6
; %bb.5:
	v_mov_b32_e32 v1, 0
	ds_store_b32 v1, v1 offset:1152
.LBB99_6:
	s_or_b32 exec_lo, exec_lo, s3
	s_waitcnt lgkmcnt(0)
	s_waitcnt_vscnt null, 0x0
	s_barrier
	buffer_gl0_inv
	scratch_load_b128 v[1:4], v13, off
	s_waitcnt vmcnt(0)
	v_cmp_eq_f64_e32 vcc_lo, 0, v[1:2]
	v_cmp_eq_f64_e64 s3, 0, v[3:4]
	s_delay_alu instid0(VALU_DEP_1) | instskip(NEXT) | instid1(SALU_CYCLE_1)
	s_and_b32 s3, vcc_lo, s3
	s_and_saveexec_b32 s4, s3
	s_cbranch_execz .LBB99_10
; %bb.7:
	v_mov_b32_e32 v1, 0
	s_mov_b32 s5, 0
	ds_load_b32 v2, v1 offset:1152
	s_waitcnt lgkmcnt(0)
	v_readfirstlane_b32 s3, v2
	v_add_nc_u32_e32 v2, 1, v118
	s_delay_alu instid0(VALU_DEP_2) | instskip(NEXT) | instid1(VALU_DEP_1)
	s_cmp_eq_u32 s3, 0
	v_cmp_gt_i32_e32 vcc_lo, s3, v2
	s_cselect_b32 s12, -1, 0
	s_delay_alu instid0(SALU_CYCLE_1) | instskip(NEXT) | instid1(SALU_CYCLE_1)
	s_or_b32 s12, s12, vcc_lo
	s_and_b32 exec_lo, exec_lo, s12
	s_cbranch_execz .LBB99_10
; %bb.8:
	v_mov_b32_e32 v3, s3
.LBB99_9:                               ; =>This Inner Loop Header: Depth=1
	ds_cmpstore_rtn_b32 v3, v1, v2, v3 offset:1152
	s_waitcnt lgkmcnt(0)
	v_cmp_ne_u32_e32 vcc_lo, 0, v3
	v_cmp_le_i32_e64 s3, v3, v2
	s_delay_alu instid0(VALU_DEP_1) | instskip(NEXT) | instid1(SALU_CYCLE_1)
	s_and_b32 s3, vcc_lo, s3
	s_and_b32 s3, exec_lo, s3
	s_delay_alu instid0(SALU_CYCLE_1) | instskip(NEXT) | instid1(SALU_CYCLE_1)
	s_or_b32 s5, s3, s5
	s_and_not1_b32 exec_lo, exec_lo, s5
	s_cbranch_execnz .LBB99_9
.LBB99_10:
	s_or_b32 exec_lo, exec_lo, s4
	v_mov_b32_e32 v1, 0
	s_barrier
	buffer_gl0_inv
	ds_load_b32 v2, v1 offset:1152
	s_and_saveexec_b32 s3, s2
	s_cbranch_execz .LBB99_12
; %bb.11:
	s_lshl_b64 s[4:5], s[10:11], 2
	s_delay_alu instid0(SALU_CYCLE_1)
	s_add_u32 s4, s6, s4
	s_addc_u32 s5, s7, s5
	s_waitcnt lgkmcnt(0)
	global_store_b32 v1, v2, s[4:5]
.LBB99_12:
	s_or_b32 exec_lo, exec_lo, s3
	s_waitcnt lgkmcnt(0)
	v_cmp_ne_u32_e32 vcc_lo, 0, v2
	s_mov_b32 s3, 0
	s_cbranch_vccnz .LBB99_156
; %bb.13:
	v_add_nc_u32_e32 v14, 0, v13
                                        ; implicit-def: $vgpr9_vgpr10
	scratch_load_b128 v[1:4], v14, off
	s_waitcnt vmcnt(0)
	v_mov_b32_e32 v5, v1
	v_cmp_gt_f64_e32 vcc_lo, 0, v[1:2]
	v_xor_b32_e32 v6, 0x80000000, v2
	v_xor_b32_e32 v7, 0x80000000, v4
	s_delay_alu instid0(VALU_DEP_2) | instskip(SKIP_1) | instid1(VALU_DEP_3)
	v_cndmask_b32_e32 v6, v2, v6, vcc_lo
	v_cmp_gt_f64_e32 vcc_lo, 0, v[3:4]
	v_dual_cndmask_b32 v8, v4, v7 :: v_dual_mov_b32 v7, v3
	s_delay_alu instid0(VALU_DEP_1) | instskip(SKIP_1) | instid1(SALU_CYCLE_1)
	v_cmp_ngt_f64_e32 vcc_lo, v[5:6], v[7:8]
                                        ; implicit-def: $vgpr5_vgpr6
	s_and_saveexec_b32 s3, vcc_lo
	s_xor_b32 s3, exec_lo, s3
	s_cbranch_execz .LBB99_15
; %bb.14:
	v_div_scale_f64 v[5:6], null, v[3:4], v[3:4], v[1:2]
	v_div_scale_f64 v[11:12], vcc_lo, v[1:2], v[3:4], v[1:2]
	s_delay_alu instid0(VALU_DEP_2) | instskip(SKIP_2) | instid1(VALU_DEP_1)
	v_rcp_f64_e32 v[7:8], v[5:6]
	s_waitcnt_depctr 0xfff
	v_fma_f64 v[9:10], -v[5:6], v[7:8], 1.0
	v_fma_f64 v[7:8], v[7:8], v[9:10], v[7:8]
	s_delay_alu instid0(VALU_DEP_1) | instskip(NEXT) | instid1(VALU_DEP_1)
	v_fma_f64 v[9:10], -v[5:6], v[7:8], 1.0
	v_fma_f64 v[7:8], v[7:8], v[9:10], v[7:8]
	s_delay_alu instid0(VALU_DEP_1) | instskip(NEXT) | instid1(VALU_DEP_1)
	v_mul_f64 v[9:10], v[11:12], v[7:8]
	v_fma_f64 v[5:6], -v[5:6], v[9:10], v[11:12]
	s_delay_alu instid0(VALU_DEP_1) | instskip(NEXT) | instid1(VALU_DEP_1)
	v_div_fmas_f64 v[5:6], v[5:6], v[7:8], v[9:10]
	v_div_fixup_f64 v[5:6], v[5:6], v[3:4], v[1:2]
	s_delay_alu instid0(VALU_DEP_1) | instskip(NEXT) | instid1(VALU_DEP_1)
	v_fma_f64 v[1:2], v[1:2], v[5:6], v[3:4]
	v_div_scale_f64 v[3:4], null, v[1:2], v[1:2], 1.0
	v_div_scale_f64 v[11:12], vcc_lo, 1.0, v[1:2], 1.0
	s_delay_alu instid0(VALU_DEP_2) | instskip(SKIP_2) | instid1(VALU_DEP_1)
	v_rcp_f64_e32 v[7:8], v[3:4]
	s_waitcnt_depctr 0xfff
	v_fma_f64 v[9:10], -v[3:4], v[7:8], 1.0
	v_fma_f64 v[7:8], v[7:8], v[9:10], v[7:8]
	s_delay_alu instid0(VALU_DEP_1) | instskip(NEXT) | instid1(VALU_DEP_1)
	v_fma_f64 v[9:10], -v[3:4], v[7:8], 1.0
	v_fma_f64 v[7:8], v[7:8], v[9:10], v[7:8]
	s_delay_alu instid0(VALU_DEP_1) | instskip(NEXT) | instid1(VALU_DEP_1)
	v_mul_f64 v[9:10], v[11:12], v[7:8]
	v_fma_f64 v[3:4], -v[3:4], v[9:10], v[11:12]
	s_delay_alu instid0(VALU_DEP_1) | instskip(NEXT) | instid1(VALU_DEP_1)
	v_div_fmas_f64 v[3:4], v[3:4], v[7:8], v[9:10]
	v_div_fixup_f64 v[7:8], v[3:4], v[1:2], 1.0
                                        ; implicit-def: $vgpr1_vgpr2
	s_delay_alu instid0(VALU_DEP_1) | instskip(SKIP_1) | instid1(VALU_DEP_2)
	v_mul_f64 v[5:6], v[5:6], v[7:8]
	v_xor_b32_e32 v8, 0x80000000, v8
	v_xor_b32_e32 v10, 0x80000000, v6
	s_delay_alu instid0(VALU_DEP_3)
	v_mov_b32_e32 v9, v5
.LBB99_15:
	s_and_not1_saveexec_b32 s3, s3
	s_cbranch_execz .LBB99_17
; %bb.16:
	v_div_scale_f64 v[5:6], null, v[1:2], v[1:2], v[3:4]
	v_div_scale_f64 v[11:12], vcc_lo, v[3:4], v[1:2], v[3:4]
	s_delay_alu instid0(VALU_DEP_2) | instskip(SKIP_2) | instid1(VALU_DEP_1)
	v_rcp_f64_e32 v[7:8], v[5:6]
	s_waitcnt_depctr 0xfff
	v_fma_f64 v[9:10], -v[5:6], v[7:8], 1.0
	v_fma_f64 v[7:8], v[7:8], v[9:10], v[7:8]
	s_delay_alu instid0(VALU_DEP_1) | instskip(NEXT) | instid1(VALU_DEP_1)
	v_fma_f64 v[9:10], -v[5:6], v[7:8], 1.0
	v_fma_f64 v[7:8], v[7:8], v[9:10], v[7:8]
	s_delay_alu instid0(VALU_DEP_1) | instskip(NEXT) | instid1(VALU_DEP_1)
	v_mul_f64 v[9:10], v[11:12], v[7:8]
	v_fma_f64 v[5:6], -v[5:6], v[9:10], v[11:12]
	s_delay_alu instid0(VALU_DEP_1) | instskip(NEXT) | instid1(VALU_DEP_1)
	v_div_fmas_f64 v[5:6], v[5:6], v[7:8], v[9:10]
	v_div_fixup_f64 v[7:8], v[5:6], v[1:2], v[3:4]
	s_delay_alu instid0(VALU_DEP_1) | instskip(NEXT) | instid1(VALU_DEP_1)
	v_fma_f64 v[1:2], v[3:4], v[7:8], v[1:2]
	v_div_scale_f64 v[3:4], null, v[1:2], v[1:2], 1.0
	s_delay_alu instid0(VALU_DEP_1) | instskip(SKIP_2) | instid1(VALU_DEP_1)
	v_rcp_f64_e32 v[5:6], v[3:4]
	s_waitcnt_depctr 0xfff
	v_fma_f64 v[9:10], -v[3:4], v[5:6], 1.0
	v_fma_f64 v[5:6], v[5:6], v[9:10], v[5:6]
	s_delay_alu instid0(VALU_DEP_1) | instskip(NEXT) | instid1(VALU_DEP_1)
	v_fma_f64 v[9:10], -v[3:4], v[5:6], 1.0
	v_fma_f64 v[5:6], v[5:6], v[9:10], v[5:6]
	v_div_scale_f64 v[9:10], vcc_lo, 1.0, v[1:2], 1.0
	s_delay_alu instid0(VALU_DEP_1) | instskip(NEXT) | instid1(VALU_DEP_1)
	v_mul_f64 v[11:12], v[9:10], v[5:6]
	v_fma_f64 v[3:4], -v[3:4], v[11:12], v[9:10]
	s_delay_alu instid0(VALU_DEP_1) | instskip(NEXT) | instid1(VALU_DEP_1)
	v_div_fmas_f64 v[3:4], v[3:4], v[5:6], v[11:12]
	v_div_fixup_f64 v[5:6], v[3:4], v[1:2], 1.0
	s_delay_alu instid0(VALU_DEP_1)
	v_mul_f64 v[7:8], v[7:8], -v[5:6]
	v_xor_b32_e32 v10, 0x80000000, v6
	v_mov_b32_e32 v9, v5
.LBB99_17:
	s_or_b32 exec_lo, exec_lo, s3
	scratch_store_b128 v14, v[5:8], off
	scratch_load_b128 v[1:4], v122, off
	v_xor_b32_e32 v12, 0x80000000, v8
	v_mov_b32_e32 v11, v7
	v_add_nc_u32_e32 v5, 0x240, v13
	ds_store_b128 v13, v[9:12]
	s_waitcnt vmcnt(0)
	ds_store_b128 v13, v[1:4] offset:576
	s_waitcnt lgkmcnt(0)
	s_waitcnt_vscnt null, 0x0
	s_barrier
	buffer_gl0_inv
	s_and_saveexec_b32 s3, s2
	s_cbranch_execz .LBB99_19
; %bb.18:
	scratch_load_b128 v[1:4], v14, off
	ds_load_b128 v[6:9], v5
	v_mov_b32_e32 v10, 0
	ds_load_b128 v[15:18], v10 offset:16
	s_waitcnt vmcnt(0) lgkmcnt(1)
	v_mul_f64 v[10:11], v[6:7], v[3:4]
	v_mul_f64 v[3:4], v[8:9], v[3:4]
	s_delay_alu instid0(VALU_DEP_2) | instskip(NEXT) | instid1(VALU_DEP_2)
	v_fma_f64 v[8:9], v[8:9], v[1:2], v[10:11]
	v_fma_f64 v[1:2], v[6:7], v[1:2], -v[3:4]
	s_delay_alu instid0(VALU_DEP_2) | instskip(NEXT) | instid1(VALU_DEP_2)
	v_add_f64 v[3:4], v[8:9], 0
	v_add_f64 v[1:2], v[1:2], 0
	s_waitcnt lgkmcnt(0)
	s_delay_alu instid0(VALU_DEP_2) | instskip(NEXT) | instid1(VALU_DEP_2)
	v_mul_f64 v[6:7], v[3:4], v[17:18]
	v_mul_f64 v[8:9], v[1:2], v[17:18]
	s_delay_alu instid0(VALU_DEP_2) | instskip(NEXT) | instid1(VALU_DEP_2)
	v_fma_f64 v[1:2], v[1:2], v[15:16], -v[6:7]
	v_fma_f64 v[3:4], v[3:4], v[15:16], v[8:9]
	scratch_store_b128 off, v[1:4], off offset:16
.LBB99_19:
	s_or_b32 exec_lo, exec_lo, s3
	s_waitcnt_vscnt null, 0x0
	s_barrier
	buffer_gl0_inv
	scratch_load_b128 v[1:4], v120, off
	s_mov_b32 s3, exec_lo
	s_waitcnt vmcnt(0)
	ds_store_b128 v5, v[1:4]
	s_waitcnt lgkmcnt(0)
	s_barrier
	buffer_gl0_inv
	v_cmpx_gt_u32_e32 2, v118
	s_cbranch_execz .LBB99_23
; %bb.20:
	scratch_load_b128 v[1:4], v14, off
	ds_load_b128 v[6:9], v5
	s_waitcnt vmcnt(0) lgkmcnt(0)
	v_mul_f64 v[10:11], v[8:9], v[3:4]
	v_mul_f64 v[3:4], v[6:7], v[3:4]
	s_delay_alu instid0(VALU_DEP_2) | instskip(NEXT) | instid1(VALU_DEP_2)
	v_fma_f64 v[6:7], v[6:7], v[1:2], -v[10:11]
	v_fma_f64 v[3:4], v[8:9], v[1:2], v[3:4]
	s_delay_alu instid0(VALU_DEP_2) | instskip(NEXT) | instid1(VALU_DEP_2)
	v_add_f64 v[1:2], v[6:7], 0
	v_add_f64 v[3:4], v[3:4], 0
	s_and_saveexec_b32 s4, s2
	s_cbranch_execz .LBB99_22
; %bb.21:
	scratch_load_b128 v[6:9], off, off offset:16
	v_mov_b32_e32 v10, 0
	ds_load_b128 v[15:18], v10 offset:592
	s_waitcnt vmcnt(0) lgkmcnt(0)
	v_mul_f64 v[10:11], v[15:16], v[8:9]
	v_mul_f64 v[8:9], v[17:18], v[8:9]
	s_delay_alu instid0(VALU_DEP_2) | instskip(NEXT) | instid1(VALU_DEP_2)
	v_fma_f64 v[10:11], v[17:18], v[6:7], v[10:11]
	v_fma_f64 v[6:7], v[15:16], v[6:7], -v[8:9]
	s_delay_alu instid0(VALU_DEP_2) | instskip(NEXT) | instid1(VALU_DEP_2)
	v_add_f64 v[3:4], v[3:4], v[10:11]
	v_add_f64 v[1:2], v[1:2], v[6:7]
.LBB99_22:
	s_or_b32 exec_lo, exec_lo, s4
	v_mov_b32_e32 v6, 0
	ds_load_b128 v[6:9], v6 offset:32
	s_waitcnt lgkmcnt(0)
	v_mul_f64 v[10:11], v[3:4], v[8:9]
	v_mul_f64 v[8:9], v[1:2], v[8:9]
	s_delay_alu instid0(VALU_DEP_2) | instskip(NEXT) | instid1(VALU_DEP_2)
	v_fma_f64 v[1:2], v[1:2], v[6:7], -v[10:11]
	v_fma_f64 v[3:4], v[3:4], v[6:7], v[8:9]
	scratch_store_b128 off, v[1:4], off offset:32
.LBB99_23:
	s_or_b32 exec_lo, exec_lo, s3
	s_waitcnt_vscnt null, 0x0
	s_barrier
	buffer_gl0_inv
	scratch_load_b128 v[1:4], v121, off
	v_add_nc_u32_e32 v6, -1, v118
	s_mov_b32 s2, exec_lo
	s_waitcnt vmcnt(0)
	ds_store_b128 v5, v[1:4]
	s_waitcnt lgkmcnt(0)
	s_barrier
	buffer_gl0_inv
	v_cmpx_gt_u32_e32 3, v118
	s_cbranch_execz .LBB99_27
; %bb.24:
	v_dual_mov_b32 v1, 0 :: v_dual_add_nc_u32 v8, 0x240, v13
	v_dual_mov_b32 v2, 0 :: v_dual_add_nc_u32 v7, -1, v118
	v_or_b32_e32 v9, 8, v14
	s_mov_b32 s3, 0
	s_delay_alu instid0(VALU_DEP_2)
	v_dual_mov_b32 v4, v2 :: v_dual_mov_b32 v3, v1
	.p2align	6
.LBB99_25:                              ; =>This Inner Loop Header: Depth=1
	scratch_load_b128 v[15:18], v9, off offset:-8
	ds_load_b128 v[19:22], v8
	v_add_nc_u32_e32 v7, 1, v7
	v_add_nc_u32_e32 v8, 16, v8
	;; [unrolled: 1-line block ×3, first 2 shown]
	s_delay_alu instid0(VALU_DEP_3) | instskip(SKIP_4) | instid1(VALU_DEP_2)
	v_cmp_lt_u32_e32 vcc_lo, 1, v7
	s_or_b32 s3, vcc_lo, s3
	s_waitcnt vmcnt(0) lgkmcnt(0)
	v_mul_f64 v[10:11], v[21:22], v[17:18]
	v_mul_f64 v[17:18], v[19:20], v[17:18]
	v_fma_f64 v[10:11], v[19:20], v[15:16], -v[10:11]
	s_delay_alu instid0(VALU_DEP_2) | instskip(NEXT) | instid1(VALU_DEP_2)
	v_fma_f64 v[15:16], v[21:22], v[15:16], v[17:18]
	v_add_f64 v[3:4], v[3:4], v[10:11]
	s_delay_alu instid0(VALU_DEP_2)
	v_add_f64 v[1:2], v[1:2], v[15:16]
	s_and_not1_b32 exec_lo, exec_lo, s3
	s_cbranch_execnz .LBB99_25
; %bb.26:
	s_or_b32 exec_lo, exec_lo, s3
	v_mov_b32_e32 v7, 0
	ds_load_b128 v[7:10], v7 offset:48
	s_waitcnt lgkmcnt(0)
	v_mul_f64 v[11:12], v[1:2], v[9:10]
	v_mul_f64 v[15:16], v[3:4], v[9:10]
	s_delay_alu instid0(VALU_DEP_2) | instskip(NEXT) | instid1(VALU_DEP_2)
	v_fma_f64 v[9:10], v[3:4], v[7:8], -v[11:12]
	v_fma_f64 v[11:12], v[1:2], v[7:8], v[15:16]
	scratch_store_b128 off, v[9:12], off offset:48
.LBB99_27:
	s_or_b32 exec_lo, exec_lo, s2
	s_waitcnt_vscnt null, 0x0
	s_barrier
	buffer_gl0_inv
	scratch_load_b128 v[1:4], v119, off
	s_mov_b32 s2, exec_lo
	s_waitcnt vmcnt(0)
	ds_store_b128 v5, v[1:4]
	s_waitcnt lgkmcnt(0)
	s_barrier
	buffer_gl0_inv
	v_cmpx_gt_u32_e32 4, v118
	s_cbranch_execz .LBB99_31
; %bb.28:
	v_dual_mov_b32 v1, 0 :: v_dual_add_nc_u32 v8, 0x240, v13
	v_dual_mov_b32 v2, 0 :: v_dual_add_nc_u32 v7, -1, v118
	v_or_b32_e32 v9, 8, v14
	s_mov_b32 s3, 0
	s_delay_alu instid0(VALU_DEP_2)
	v_dual_mov_b32 v4, v2 :: v_dual_mov_b32 v3, v1
	.p2align	6
.LBB99_29:                              ; =>This Inner Loop Header: Depth=1
	scratch_load_b128 v[15:18], v9, off offset:-8
	ds_load_b128 v[19:22], v8
	v_add_nc_u32_e32 v7, 1, v7
	v_add_nc_u32_e32 v8, 16, v8
	;; [unrolled: 1-line block ×3, first 2 shown]
	s_delay_alu instid0(VALU_DEP_3) | instskip(SKIP_4) | instid1(VALU_DEP_2)
	v_cmp_lt_u32_e32 vcc_lo, 2, v7
	s_or_b32 s3, vcc_lo, s3
	s_waitcnt vmcnt(0) lgkmcnt(0)
	v_mul_f64 v[10:11], v[21:22], v[17:18]
	v_mul_f64 v[17:18], v[19:20], v[17:18]
	v_fma_f64 v[10:11], v[19:20], v[15:16], -v[10:11]
	s_delay_alu instid0(VALU_DEP_2) | instskip(NEXT) | instid1(VALU_DEP_2)
	v_fma_f64 v[15:16], v[21:22], v[15:16], v[17:18]
	v_add_f64 v[3:4], v[3:4], v[10:11]
	s_delay_alu instid0(VALU_DEP_2)
	v_add_f64 v[1:2], v[1:2], v[15:16]
	s_and_not1_b32 exec_lo, exec_lo, s3
	s_cbranch_execnz .LBB99_29
; %bb.30:
	s_or_b32 exec_lo, exec_lo, s3
	v_mov_b32_e32 v7, 0
	ds_load_b128 v[7:10], v7 offset:64
	s_waitcnt lgkmcnt(0)
	v_mul_f64 v[11:12], v[1:2], v[9:10]
	v_mul_f64 v[15:16], v[3:4], v[9:10]
	s_delay_alu instid0(VALU_DEP_2) | instskip(NEXT) | instid1(VALU_DEP_2)
	v_fma_f64 v[9:10], v[3:4], v[7:8], -v[11:12]
	v_fma_f64 v[11:12], v[1:2], v[7:8], v[15:16]
	scratch_store_b128 off, v[9:12], off offset:64
.LBB99_31:
	s_or_b32 exec_lo, exec_lo, s2
	s_waitcnt_vscnt null, 0x0
	s_barrier
	buffer_gl0_inv
	scratch_load_b128 v[1:4], v143, off
	s_mov_b32 s2, exec_lo
	s_waitcnt vmcnt(0)
	ds_store_b128 v5, v[1:4]
	s_waitcnt lgkmcnt(0)
	s_barrier
	buffer_gl0_inv
	v_cmpx_gt_u32_e32 5, v118
	s_cbranch_execz .LBB99_35
; %bb.32:
	v_dual_mov_b32 v1, 0 :: v_dual_add_nc_u32 v8, 0x240, v13
	v_dual_mov_b32 v2, 0 :: v_dual_add_nc_u32 v7, -1, v118
	v_or_b32_e32 v9, 8, v14
	s_mov_b32 s3, 0
	s_delay_alu instid0(VALU_DEP_2)
	v_dual_mov_b32 v4, v2 :: v_dual_mov_b32 v3, v1
	.p2align	6
.LBB99_33:                              ; =>This Inner Loop Header: Depth=1
	scratch_load_b128 v[15:18], v9, off offset:-8
	ds_load_b128 v[19:22], v8
	v_add_nc_u32_e32 v7, 1, v7
	v_add_nc_u32_e32 v8, 16, v8
	;; [unrolled: 1-line block ×3, first 2 shown]
	s_delay_alu instid0(VALU_DEP_3) | instskip(SKIP_4) | instid1(VALU_DEP_2)
	v_cmp_lt_u32_e32 vcc_lo, 3, v7
	s_or_b32 s3, vcc_lo, s3
	s_waitcnt vmcnt(0) lgkmcnt(0)
	v_mul_f64 v[10:11], v[21:22], v[17:18]
	v_mul_f64 v[17:18], v[19:20], v[17:18]
	v_fma_f64 v[10:11], v[19:20], v[15:16], -v[10:11]
	s_delay_alu instid0(VALU_DEP_2) | instskip(NEXT) | instid1(VALU_DEP_2)
	v_fma_f64 v[15:16], v[21:22], v[15:16], v[17:18]
	v_add_f64 v[3:4], v[3:4], v[10:11]
	s_delay_alu instid0(VALU_DEP_2)
	v_add_f64 v[1:2], v[1:2], v[15:16]
	s_and_not1_b32 exec_lo, exec_lo, s3
	s_cbranch_execnz .LBB99_33
; %bb.34:
	s_or_b32 exec_lo, exec_lo, s3
	v_mov_b32_e32 v7, 0
	ds_load_b128 v[7:10], v7 offset:80
	s_waitcnt lgkmcnt(0)
	v_mul_f64 v[11:12], v[1:2], v[9:10]
	v_mul_f64 v[15:16], v[3:4], v[9:10]
	s_delay_alu instid0(VALU_DEP_2) | instskip(NEXT) | instid1(VALU_DEP_2)
	v_fma_f64 v[9:10], v[3:4], v[7:8], -v[11:12]
	v_fma_f64 v[11:12], v[1:2], v[7:8], v[15:16]
	scratch_store_b128 off, v[9:12], off offset:80
.LBB99_35:
	s_or_b32 exec_lo, exec_lo, s2
	s_waitcnt_vscnt null, 0x0
	s_barrier
	buffer_gl0_inv
	scratch_load_b128 v[1:4], v141, off
	s_mov_b32 s2, exec_lo
	s_waitcnt vmcnt(0)
	ds_store_b128 v5, v[1:4]
	s_waitcnt lgkmcnt(0)
	s_barrier
	buffer_gl0_inv
	v_cmpx_gt_u32_e32 6, v118
	s_cbranch_execz .LBB99_39
; %bb.36:
	v_dual_mov_b32 v1, 0 :: v_dual_add_nc_u32 v8, 0x240, v13
	v_dual_mov_b32 v2, 0 :: v_dual_add_nc_u32 v7, -1, v118
	v_or_b32_e32 v9, 8, v14
	s_mov_b32 s3, 0
	s_delay_alu instid0(VALU_DEP_2)
	v_dual_mov_b32 v4, v2 :: v_dual_mov_b32 v3, v1
	.p2align	6
.LBB99_37:                              ; =>This Inner Loop Header: Depth=1
	scratch_load_b128 v[15:18], v9, off offset:-8
	ds_load_b128 v[19:22], v8
	v_add_nc_u32_e32 v7, 1, v7
	v_add_nc_u32_e32 v8, 16, v8
	;; [unrolled: 1-line block ×3, first 2 shown]
	s_delay_alu instid0(VALU_DEP_3) | instskip(SKIP_4) | instid1(VALU_DEP_2)
	v_cmp_lt_u32_e32 vcc_lo, 4, v7
	s_or_b32 s3, vcc_lo, s3
	s_waitcnt vmcnt(0) lgkmcnt(0)
	v_mul_f64 v[10:11], v[21:22], v[17:18]
	v_mul_f64 v[17:18], v[19:20], v[17:18]
	v_fma_f64 v[10:11], v[19:20], v[15:16], -v[10:11]
	s_delay_alu instid0(VALU_DEP_2) | instskip(NEXT) | instid1(VALU_DEP_2)
	v_fma_f64 v[15:16], v[21:22], v[15:16], v[17:18]
	v_add_f64 v[3:4], v[3:4], v[10:11]
	s_delay_alu instid0(VALU_DEP_2)
	v_add_f64 v[1:2], v[1:2], v[15:16]
	s_and_not1_b32 exec_lo, exec_lo, s3
	s_cbranch_execnz .LBB99_37
; %bb.38:
	s_or_b32 exec_lo, exec_lo, s3
	v_mov_b32_e32 v7, 0
	ds_load_b128 v[7:10], v7 offset:96
	s_waitcnt lgkmcnt(0)
	v_mul_f64 v[11:12], v[1:2], v[9:10]
	v_mul_f64 v[15:16], v[3:4], v[9:10]
	s_delay_alu instid0(VALU_DEP_2) | instskip(NEXT) | instid1(VALU_DEP_2)
	v_fma_f64 v[9:10], v[3:4], v[7:8], -v[11:12]
	v_fma_f64 v[11:12], v[1:2], v[7:8], v[15:16]
	scratch_store_b128 off, v[9:12], off offset:96
.LBB99_39:
	s_or_b32 exec_lo, exec_lo, s2
	s_waitcnt_vscnt null, 0x0
	s_barrier
	buffer_gl0_inv
	scratch_load_b128 v[1:4], v142, off
	s_mov_b32 s2, exec_lo
	s_waitcnt vmcnt(0)
	ds_store_b128 v5, v[1:4]
	s_waitcnt lgkmcnt(0)
	s_barrier
	buffer_gl0_inv
	v_cmpx_gt_u32_e32 7, v118
	s_cbranch_execz .LBB99_43
; %bb.40:
	v_dual_mov_b32 v1, 0 :: v_dual_add_nc_u32 v8, 0x240, v13
	v_dual_mov_b32 v2, 0 :: v_dual_add_nc_u32 v7, -1, v118
	v_or_b32_e32 v9, 8, v14
	s_mov_b32 s3, 0
	s_delay_alu instid0(VALU_DEP_2)
	v_dual_mov_b32 v4, v2 :: v_dual_mov_b32 v3, v1
	.p2align	6
.LBB99_41:                              ; =>This Inner Loop Header: Depth=1
	scratch_load_b128 v[15:18], v9, off offset:-8
	ds_load_b128 v[19:22], v8
	v_add_nc_u32_e32 v7, 1, v7
	v_add_nc_u32_e32 v8, 16, v8
	;; [unrolled: 1-line block ×3, first 2 shown]
	s_delay_alu instid0(VALU_DEP_3) | instskip(SKIP_4) | instid1(VALU_DEP_2)
	v_cmp_lt_u32_e32 vcc_lo, 5, v7
	s_or_b32 s3, vcc_lo, s3
	s_waitcnt vmcnt(0) lgkmcnt(0)
	v_mul_f64 v[10:11], v[21:22], v[17:18]
	v_mul_f64 v[17:18], v[19:20], v[17:18]
	v_fma_f64 v[10:11], v[19:20], v[15:16], -v[10:11]
	s_delay_alu instid0(VALU_DEP_2) | instskip(NEXT) | instid1(VALU_DEP_2)
	v_fma_f64 v[15:16], v[21:22], v[15:16], v[17:18]
	v_add_f64 v[3:4], v[3:4], v[10:11]
	s_delay_alu instid0(VALU_DEP_2)
	v_add_f64 v[1:2], v[1:2], v[15:16]
	s_and_not1_b32 exec_lo, exec_lo, s3
	s_cbranch_execnz .LBB99_41
; %bb.42:
	s_or_b32 exec_lo, exec_lo, s3
	v_mov_b32_e32 v7, 0
	ds_load_b128 v[7:10], v7 offset:112
	s_waitcnt lgkmcnt(0)
	v_mul_f64 v[11:12], v[1:2], v[9:10]
	v_mul_f64 v[15:16], v[3:4], v[9:10]
	s_delay_alu instid0(VALU_DEP_2) | instskip(NEXT) | instid1(VALU_DEP_2)
	v_fma_f64 v[9:10], v[3:4], v[7:8], -v[11:12]
	v_fma_f64 v[11:12], v[1:2], v[7:8], v[15:16]
	scratch_store_b128 off, v[9:12], off offset:112
.LBB99_43:
	s_or_b32 exec_lo, exec_lo, s2
	s_waitcnt_vscnt null, 0x0
	s_barrier
	buffer_gl0_inv
	scratch_load_b128 v[1:4], v140, off
	s_mov_b32 s2, exec_lo
	s_waitcnt vmcnt(0)
	ds_store_b128 v5, v[1:4]
	s_waitcnt lgkmcnt(0)
	s_barrier
	buffer_gl0_inv
	v_cmpx_gt_u32_e32 8, v118
	s_cbranch_execz .LBB99_47
; %bb.44:
	v_dual_mov_b32 v1, 0 :: v_dual_add_nc_u32 v8, 0x240, v13
	v_dual_mov_b32 v2, 0 :: v_dual_add_nc_u32 v7, -1, v118
	v_or_b32_e32 v9, 8, v14
	s_mov_b32 s3, 0
	s_delay_alu instid0(VALU_DEP_2)
	v_dual_mov_b32 v4, v2 :: v_dual_mov_b32 v3, v1
	.p2align	6
.LBB99_45:                              ; =>This Inner Loop Header: Depth=1
	scratch_load_b128 v[15:18], v9, off offset:-8
	ds_load_b128 v[19:22], v8
	v_add_nc_u32_e32 v7, 1, v7
	v_add_nc_u32_e32 v8, 16, v8
	;; [unrolled: 1-line block ×3, first 2 shown]
	s_delay_alu instid0(VALU_DEP_3) | instskip(SKIP_4) | instid1(VALU_DEP_2)
	v_cmp_lt_u32_e32 vcc_lo, 6, v7
	s_or_b32 s3, vcc_lo, s3
	s_waitcnt vmcnt(0) lgkmcnt(0)
	v_mul_f64 v[10:11], v[21:22], v[17:18]
	v_mul_f64 v[17:18], v[19:20], v[17:18]
	v_fma_f64 v[10:11], v[19:20], v[15:16], -v[10:11]
	s_delay_alu instid0(VALU_DEP_2) | instskip(NEXT) | instid1(VALU_DEP_2)
	v_fma_f64 v[15:16], v[21:22], v[15:16], v[17:18]
	v_add_f64 v[3:4], v[3:4], v[10:11]
	s_delay_alu instid0(VALU_DEP_2)
	v_add_f64 v[1:2], v[1:2], v[15:16]
	s_and_not1_b32 exec_lo, exec_lo, s3
	s_cbranch_execnz .LBB99_45
; %bb.46:
	s_or_b32 exec_lo, exec_lo, s3
	v_mov_b32_e32 v7, 0
	ds_load_b128 v[7:10], v7 offset:128
	s_waitcnt lgkmcnt(0)
	v_mul_f64 v[11:12], v[1:2], v[9:10]
	v_mul_f64 v[15:16], v[3:4], v[9:10]
	s_delay_alu instid0(VALU_DEP_2) | instskip(NEXT) | instid1(VALU_DEP_2)
	v_fma_f64 v[9:10], v[3:4], v[7:8], -v[11:12]
	v_fma_f64 v[11:12], v[1:2], v[7:8], v[15:16]
	scratch_store_b128 off, v[9:12], off offset:128
.LBB99_47:
	s_or_b32 exec_lo, exec_lo, s2
	s_waitcnt_vscnt null, 0x0
	s_barrier
	buffer_gl0_inv
	scratch_load_b128 v[1:4], v138, off
	s_mov_b32 s2, exec_lo
	s_waitcnt vmcnt(0)
	ds_store_b128 v5, v[1:4]
	s_waitcnt lgkmcnt(0)
	s_barrier
	buffer_gl0_inv
	v_cmpx_gt_u32_e32 9, v118
	s_cbranch_execz .LBB99_51
; %bb.48:
	v_dual_mov_b32 v1, 0 :: v_dual_add_nc_u32 v8, 0x240, v13
	v_dual_mov_b32 v2, 0 :: v_dual_add_nc_u32 v7, -1, v118
	v_or_b32_e32 v9, 8, v14
	s_mov_b32 s3, 0
	s_delay_alu instid0(VALU_DEP_2)
	v_dual_mov_b32 v4, v2 :: v_dual_mov_b32 v3, v1
	.p2align	6
.LBB99_49:                              ; =>This Inner Loop Header: Depth=1
	scratch_load_b128 v[15:18], v9, off offset:-8
	ds_load_b128 v[19:22], v8
	v_add_nc_u32_e32 v7, 1, v7
	v_add_nc_u32_e32 v8, 16, v8
	;; [unrolled: 1-line block ×3, first 2 shown]
	s_delay_alu instid0(VALU_DEP_3) | instskip(SKIP_4) | instid1(VALU_DEP_2)
	v_cmp_lt_u32_e32 vcc_lo, 7, v7
	s_or_b32 s3, vcc_lo, s3
	s_waitcnt vmcnt(0) lgkmcnt(0)
	v_mul_f64 v[10:11], v[21:22], v[17:18]
	v_mul_f64 v[17:18], v[19:20], v[17:18]
	v_fma_f64 v[10:11], v[19:20], v[15:16], -v[10:11]
	s_delay_alu instid0(VALU_DEP_2) | instskip(NEXT) | instid1(VALU_DEP_2)
	v_fma_f64 v[15:16], v[21:22], v[15:16], v[17:18]
	v_add_f64 v[3:4], v[3:4], v[10:11]
	s_delay_alu instid0(VALU_DEP_2)
	v_add_f64 v[1:2], v[1:2], v[15:16]
	s_and_not1_b32 exec_lo, exec_lo, s3
	s_cbranch_execnz .LBB99_49
; %bb.50:
	s_or_b32 exec_lo, exec_lo, s3
	v_mov_b32_e32 v7, 0
	ds_load_b128 v[7:10], v7 offset:144
	s_waitcnt lgkmcnt(0)
	v_mul_f64 v[11:12], v[1:2], v[9:10]
	v_mul_f64 v[15:16], v[3:4], v[9:10]
	s_delay_alu instid0(VALU_DEP_2) | instskip(NEXT) | instid1(VALU_DEP_2)
	v_fma_f64 v[9:10], v[3:4], v[7:8], -v[11:12]
	v_fma_f64 v[11:12], v[1:2], v[7:8], v[15:16]
	scratch_store_b128 off, v[9:12], off offset:144
.LBB99_51:
	s_or_b32 exec_lo, exec_lo, s2
	s_waitcnt_vscnt null, 0x0
	s_barrier
	buffer_gl0_inv
	scratch_load_b128 v[1:4], v135, off
	s_mov_b32 s2, exec_lo
	s_waitcnt vmcnt(0)
	ds_store_b128 v5, v[1:4]
	s_waitcnt lgkmcnt(0)
	s_barrier
	buffer_gl0_inv
	v_cmpx_gt_u32_e32 10, v118
	s_cbranch_execz .LBB99_55
; %bb.52:
	v_dual_mov_b32 v1, 0 :: v_dual_add_nc_u32 v8, 0x240, v13
	v_dual_mov_b32 v2, 0 :: v_dual_add_nc_u32 v7, -1, v118
	v_or_b32_e32 v9, 8, v14
	s_mov_b32 s3, 0
	s_delay_alu instid0(VALU_DEP_2)
	v_dual_mov_b32 v4, v2 :: v_dual_mov_b32 v3, v1
	.p2align	6
.LBB99_53:                              ; =>This Inner Loop Header: Depth=1
	scratch_load_b128 v[15:18], v9, off offset:-8
	ds_load_b128 v[19:22], v8
	v_add_nc_u32_e32 v7, 1, v7
	v_add_nc_u32_e32 v8, 16, v8
	;; [unrolled: 1-line block ×3, first 2 shown]
	s_delay_alu instid0(VALU_DEP_3) | instskip(SKIP_4) | instid1(VALU_DEP_2)
	v_cmp_lt_u32_e32 vcc_lo, 8, v7
	s_or_b32 s3, vcc_lo, s3
	s_waitcnt vmcnt(0) lgkmcnt(0)
	v_mul_f64 v[10:11], v[21:22], v[17:18]
	v_mul_f64 v[17:18], v[19:20], v[17:18]
	v_fma_f64 v[10:11], v[19:20], v[15:16], -v[10:11]
	s_delay_alu instid0(VALU_DEP_2) | instskip(NEXT) | instid1(VALU_DEP_2)
	v_fma_f64 v[15:16], v[21:22], v[15:16], v[17:18]
	v_add_f64 v[3:4], v[3:4], v[10:11]
	s_delay_alu instid0(VALU_DEP_2)
	v_add_f64 v[1:2], v[1:2], v[15:16]
	s_and_not1_b32 exec_lo, exec_lo, s3
	s_cbranch_execnz .LBB99_53
; %bb.54:
	s_or_b32 exec_lo, exec_lo, s3
	v_mov_b32_e32 v7, 0
	ds_load_b128 v[7:10], v7 offset:160
	s_waitcnt lgkmcnt(0)
	v_mul_f64 v[11:12], v[1:2], v[9:10]
	v_mul_f64 v[15:16], v[3:4], v[9:10]
	s_delay_alu instid0(VALU_DEP_2) | instskip(NEXT) | instid1(VALU_DEP_2)
	v_fma_f64 v[9:10], v[3:4], v[7:8], -v[11:12]
	v_fma_f64 v[11:12], v[1:2], v[7:8], v[15:16]
	scratch_store_b128 off, v[9:12], off offset:160
.LBB99_55:
	s_or_b32 exec_lo, exec_lo, s2
	s_waitcnt_vscnt null, 0x0
	s_barrier
	buffer_gl0_inv
	scratch_load_b128 v[1:4], v137, off
	s_mov_b32 s2, exec_lo
	s_waitcnt vmcnt(0)
	ds_store_b128 v5, v[1:4]
	s_waitcnt lgkmcnt(0)
	s_barrier
	buffer_gl0_inv
	v_cmpx_gt_u32_e32 11, v118
	s_cbranch_execz .LBB99_59
; %bb.56:
	v_dual_mov_b32 v1, 0 :: v_dual_add_nc_u32 v8, 0x240, v13
	v_dual_mov_b32 v2, 0 :: v_dual_add_nc_u32 v7, -1, v118
	v_or_b32_e32 v9, 8, v14
	s_mov_b32 s3, 0
	s_delay_alu instid0(VALU_DEP_2)
	v_dual_mov_b32 v4, v2 :: v_dual_mov_b32 v3, v1
	.p2align	6
.LBB99_57:                              ; =>This Inner Loop Header: Depth=1
	scratch_load_b128 v[15:18], v9, off offset:-8
	ds_load_b128 v[19:22], v8
	v_add_nc_u32_e32 v7, 1, v7
	v_add_nc_u32_e32 v8, 16, v8
	v_add_nc_u32_e32 v9, 16, v9
	s_delay_alu instid0(VALU_DEP_3) | instskip(SKIP_4) | instid1(VALU_DEP_2)
	v_cmp_lt_u32_e32 vcc_lo, 9, v7
	s_or_b32 s3, vcc_lo, s3
	s_waitcnt vmcnt(0) lgkmcnt(0)
	v_mul_f64 v[10:11], v[21:22], v[17:18]
	v_mul_f64 v[17:18], v[19:20], v[17:18]
	v_fma_f64 v[10:11], v[19:20], v[15:16], -v[10:11]
	s_delay_alu instid0(VALU_DEP_2) | instskip(NEXT) | instid1(VALU_DEP_2)
	v_fma_f64 v[15:16], v[21:22], v[15:16], v[17:18]
	v_add_f64 v[3:4], v[3:4], v[10:11]
	s_delay_alu instid0(VALU_DEP_2)
	v_add_f64 v[1:2], v[1:2], v[15:16]
	s_and_not1_b32 exec_lo, exec_lo, s3
	s_cbranch_execnz .LBB99_57
; %bb.58:
	s_or_b32 exec_lo, exec_lo, s3
	v_mov_b32_e32 v7, 0
	ds_load_b128 v[7:10], v7 offset:176
	s_waitcnt lgkmcnt(0)
	v_mul_f64 v[11:12], v[1:2], v[9:10]
	v_mul_f64 v[15:16], v[3:4], v[9:10]
	s_delay_alu instid0(VALU_DEP_2) | instskip(NEXT) | instid1(VALU_DEP_2)
	v_fma_f64 v[9:10], v[3:4], v[7:8], -v[11:12]
	v_fma_f64 v[11:12], v[1:2], v[7:8], v[15:16]
	scratch_store_b128 off, v[9:12], off offset:176
.LBB99_59:
	s_or_b32 exec_lo, exec_lo, s2
	s_waitcnt_vscnt null, 0x0
	s_barrier
	buffer_gl0_inv
	scratch_load_b128 v[1:4], v134, off
	s_mov_b32 s2, exec_lo
	s_waitcnt vmcnt(0)
	ds_store_b128 v5, v[1:4]
	s_waitcnt lgkmcnt(0)
	s_barrier
	buffer_gl0_inv
	v_cmpx_gt_u32_e32 12, v118
	s_cbranch_execz .LBB99_63
; %bb.60:
	v_dual_mov_b32 v1, 0 :: v_dual_add_nc_u32 v8, 0x240, v13
	v_dual_mov_b32 v2, 0 :: v_dual_add_nc_u32 v7, -1, v118
	v_or_b32_e32 v9, 8, v14
	s_mov_b32 s3, 0
	s_delay_alu instid0(VALU_DEP_2)
	v_dual_mov_b32 v4, v2 :: v_dual_mov_b32 v3, v1
	.p2align	6
.LBB99_61:                              ; =>This Inner Loop Header: Depth=1
	scratch_load_b128 v[15:18], v9, off offset:-8
	ds_load_b128 v[19:22], v8
	v_add_nc_u32_e32 v7, 1, v7
	v_add_nc_u32_e32 v8, 16, v8
	;; [unrolled: 1-line block ×3, first 2 shown]
	s_delay_alu instid0(VALU_DEP_3) | instskip(SKIP_4) | instid1(VALU_DEP_2)
	v_cmp_lt_u32_e32 vcc_lo, 10, v7
	s_or_b32 s3, vcc_lo, s3
	s_waitcnt vmcnt(0) lgkmcnt(0)
	v_mul_f64 v[10:11], v[21:22], v[17:18]
	v_mul_f64 v[17:18], v[19:20], v[17:18]
	v_fma_f64 v[10:11], v[19:20], v[15:16], -v[10:11]
	s_delay_alu instid0(VALU_DEP_2) | instskip(NEXT) | instid1(VALU_DEP_2)
	v_fma_f64 v[15:16], v[21:22], v[15:16], v[17:18]
	v_add_f64 v[3:4], v[3:4], v[10:11]
	s_delay_alu instid0(VALU_DEP_2)
	v_add_f64 v[1:2], v[1:2], v[15:16]
	s_and_not1_b32 exec_lo, exec_lo, s3
	s_cbranch_execnz .LBB99_61
; %bb.62:
	s_or_b32 exec_lo, exec_lo, s3
	v_mov_b32_e32 v7, 0
	ds_load_b128 v[7:10], v7 offset:192
	s_waitcnt lgkmcnt(0)
	v_mul_f64 v[11:12], v[1:2], v[9:10]
	v_mul_f64 v[15:16], v[3:4], v[9:10]
	s_delay_alu instid0(VALU_DEP_2) | instskip(NEXT) | instid1(VALU_DEP_2)
	v_fma_f64 v[9:10], v[3:4], v[7:8], -v[11:12]
	v_fma_f64 v[11:12], v[1:2], v[7:8], v[15:16]
	scratch_store_b128 off, v[9:12], off offset:192
.LBB99_63:
	s_or_b32 exec_lo, exec_lo, s2
	s_waitcnt_vscnt null, 0x0
	s_barrier
	buffer_gl0_inv
	scratch_load_b128 v[1:4], v133, off
	s_mov_b32 s2, exec_lo
	s_waitcnt vmcnt(0)
	ds_store_b128 v5, v[1:4]
	s_waitcnt lgkmcnt(0)
	s_barrier
	buffer_gl0_inv
	v_cmpx_gt_u32_e32 13, v118
	s_cbranch_execz .LBB99_67
; %bb.64:
	v_dual_mov_b32 v1, 0 :: v_dual_add_nc_u32 v8, 0x240, v13
	v_dual_mov_b32 v2, 0 :: v_dual_add_nc_u32 v7, -1, v118
	v_or_b32_e32 v9, 8, v14
	s_mov_b32 s3, 0
	s_delay_alu instid0(VALU_DEP_2)
	v_dual_mov_b32 v4, v2 :: v_dual_mov_b32 v3, v1
	.p2align	6
.LBB99_65:                              ; =>This Inner Loop Header: Depth=1
	scratch_load_b128 v[15:18], v9, off offset:-8
	ds_load_b128 v[19:22], v8
	v_add_nc_u32_e32 v7, 1, v7
	v_add_nc_u32_e32 v8, 16, v8
	;; [unrolled: 1-line block ×3, first 2 shown]
	s_delay_alu instid0(VALU_DEP_3) | instskip(SKIP_4) | instid1(VALU_DEP_2)
	v_cmp_lt_u32_e32 vcc_lo, 11, v7
	s_or_b32 s3, vcc_lo, s3
	s_waitcnt vmcnt(0) lgkmcnt(0)
	v_mul_f64 v[10:11], v[21:22], v[17:18]
	v_mul_f64 v[17:18], v[19:20], v[17:18]
	v_fma_f64 v[10:11], v[19:20], v[15:16], -v[10:11]
	s_delay_alu instid0(VALU_DEP_2) | instskip(NEXT) | instid1(VALU_DEP_2)
	v_fma_f64 v[15:16], v[21:22], v[15:16], v[17:18]
	v_add_f64 v[3:4], v[3:4], v[10:11]
	s_delay_alu instid0(VALU_DEP_2)
	v_add_f64 v[1:2], v[1:2], v[15:16]
	s_and_not1_b32 exec_lo, exec_lo, s3
	s_cbranch_execnz .LBB99_65
; %bb.66:
	s_or_b32 exec_lo, exec_lo, s3
	v_mov_b32_e32 v7, 0
	ds_load_b128 v[7:10], v7 offset:208
	s_waitcnt lgkmcnt(0)
	v_mul_f64 v[11:12], v[1:2], v[9:10]
	v_mul_f64 v[15:16], v[3:4], v[9:10]
	s_delay_alu instid0(VALU_DEP_2) | instskip(NEXT) | instid1(VALU_DEP_2)
	v_fma_f64 v[9:10], v[3:4], v[7:8], -v[11:12]
	v_fma_f64 v[11:12], v[1:2], v[7:8], v[15:16]
	scratch_store_b128 off, v[9:12], off offset:208
.LBB99_67:
	s_or_b32 exec_lo, exec_lo, s2
	s_waitcnt_vscnt null, 0x0
	s_barrier
	buffer_gl0_inv
	scratch_load_b128 v[1:4], v130, off
	s_mov_b32 s2, exec_lo
	s_waitcnt vmcnt(0)
	ds_store_b128 v5, v[1:4]
	s_waitcnt lgkmcnt(0)
	s_barrier
	buffer_gl0_inv
	v_cmpx_gt_u32_e32 14, v118
	s_cbranch_execz .LBB99_71
; %bb.68:
	v_dual_mov_b32 v1, 0 :: v_dual_add_nc_u32 v8, 0x240, v13
	v_dual_mov_b32 v2, 0 :: v_dual_add_nc_u32 v7, -1, v118
	v_or_b32_e32 v9, 8, v14
	s_mov_b32 s3, 0
	s_delay_alu instid0(VALU_DEP_2)
	v_dual_mov_b32 v4, v2 :: v_dual_mov_b32 v3, v1
	.p2align	6
.LBB99_69:                              ; =>This Inner Loop Header: Depth=1
	scratch_load_b128 v[15:18], v9, off offset:-8
	ds_load_b128 v[19:22], v8
	v_add_nc_u32_e32 v7, 1, v7
	v_add_nc_u32_e32 v8, 16, v8
	;; [unrolled: 1-line block ×3, first 2 shown]
	s_delay_alu instid0(VALU_DEP_3) | instskip(SKIP_4) | instid1(VALU_DEP_2)
	v_cmp_lt_u32_e32 vcc_lo, 12, v7
	s_or_b32 s3, vcc_lo, s3
	s_waitcnt vmcnt(0) lgkmcnt(0)
	v_mul_f64 v[10:11], v[21:22], v[17:18]
	v_mul_f64 v[17:18], v[19:20], v[17:18]
	v_fma_f64 v[10:11], v[19:20], v[15:16], -v[10:11]
	s_delay_alu instid0(VALU_DEP_2) | instskip(NEXT) | instid1(VALU_DEP_2)
	v_fma_f64 v[15:16], v[21:22], v[15:16], v[17:18]
	v_add_f64 v[3:4], v[3:4], v[10:11]
	s_delay_alu instid0(VALU_DEP_2)
	v_add_f64 v[1:2], v[1:2], v[15:16]
	s_and_not1_b32 exec_lo, exec_lo, s3
	s_cbranch_execnz .LBB99_69
; %bb.70:
	s_or_b32 exec_lo, exec_lo, s3
	v_mov_b32_e32 v7, 0
	ds_load_b128 v[7:10], v7 offset:224
	s_waitcnt lgkmcnt(0)
	v_mul_f64 v[11:12], v[1:2], v[9:10]
	v_mul_f64 v[15:16], v[3:4], v[9:10]
	s_delay_alu instid0(VALU_DEP_2) | instskip(NEXT) | instid1(VALU_DEP_2)
	v_fma_f64 v[9:10], v[3:4], v[7:8], -v[11:12]
	v_fma_f64 v[11:12], v[1:2], v[7:8], v[15:16]
	scratch_store_b128 off, v[9:12], off offset:224
.LBB99_71:
	s_or_b32 exec_lo, exec_lo, s2
	s_waitcnt_vscnt null, 0x0
	s_barrier
	buffer_gl0_inv
	scratch_load_b128 v[1:4], v132, off
	s_mov_b32 s2, exec_lo
	s_waitcnt vmcnt(0)
	ds_store_b128 v5, v[1:4]
	s_waitcnt lgkmcnt(0)
	s_barrier
	buffer_gl0_inv
	v_cmpx_gt_u32_e32 15, v118
	s_cbranch_execz .LBB99_75
; %bb.72:
	v_dual_mov_b32 v1, 0 :: v_dual_add_nc_u32 v8, 0x240, v13
	v_dual_mov_b32 v2, 0 :: v_dual_add_nc_u32 v7, -1, v118
	v_or_b32_e32 v9, 8, v14
	s_mov_b32 s3, 0
	s_delay_alu instid0(VALU_DEP_2)
	v_dual_mov_b32 v4, v2 :: v_dual_mov_b32 v3, v1
	.p2align	6
.LBB99_73:                              ; =>This Inner Loop Header: Depth=1
	scratch_load_b128 v[15:18], v9, off offset:-8
	ds_load_b128 v[19:22], v8
	v_add_nc_u32_e32 v7, 1, v7
	v_add_nc_u32_e32 v8, 16, v8
	;; [unrolled: 1-line block ×3, first 2 shown]
	s_delay_alu instid0(VALU_DEP_3) | instskip(SKIP_4) | instid1(VALU_DEP_2)
	v_cmp_lt_u32_e32 vcc_lo, 13, v7
	s_or_b32 s3, vcc_lo, s3
	s_waitcnt vmcnt(0) lgkmcnt(0)
	v_mul_f64 v[10:11], v[21:22], v[17:18]
	v_mul_f64 v[17:18], v[19:20], v[17:18]
	v_fma_f64 v[10:11], v[19:20], v[15:16], -v[10:11]
	s_delay_alu instid0(VALU_DEP_2) | instskip(NEXT) | instid1(VALU_DEP_2)
	v_fma_f64 v[15:16], v[21:22], v[15:16], v[17:18]
	v_add_f64 v[3:4], v[3:4], v[10:11]
	s_delay_alu instid0(VALU_DEP_2)
	v_add_f64 v[1:2], v[1:2], v[15:16]
	s_and_not1_b32 exec_lo, exec_lo, s3
	s_cbranch_execnz .LBB99_73
; %bb.74:
	s_or_b32 exec_lo, exec_lo, s3
	v_mov_b32_e32 v7, 0
	ds_load_b128 v[7:10], v7 offset:240
	s_waitcnt lgkmcnt(0)
	v_mul_f64 v[11:12], v[1:2], v[9:10]
	v_mul_f64 v[15:16], v[3:4], v[9:10]
	s_delay_alu instid0(VALU_DEP_2) | instskip(NEXT) | instid1(VALU_DEP_2)
	v_fma_f64 v[9:10], v[3:4], v[7:8], -v[11:12]
	v_fma_f64 v[11:12], v[1:2], v[7:8], v[15:16]
	scratch_store_b128 off, v[9:12], off offset:240
.LBB99_75:
	s_or_b32 exec_lo, exec_lo, s2
	s_waitcnt_vscnt null, 0x0
	s_barrier
	buffer_gl0_inv
	scratch_load_b128 v[1:4], v129, off
	s_mov_b32 s2, exec_lo
	s_waitcnt vmcnt(0)
	ds_store_b128 v5, v[1:4]
	s_waitcnt lgkmcnt(0)
	s_barrier
	buffer_gl0_inv
	v_cmpx_gt_u32_e32 16, v118
	s_cbranch_execz .LBB99_79
; %bb.76:
	v_dual_mov_b32 v1, 0 :: v_dual_add_nc_u32 v8, 0x240, v13
	v_dual_mov_b32 v2, 0 :: v_dual_add_nc_u32 v7, -1, v118
	v_or_b32_e32 v9, 8, v14
	s_mov_b32 s3, 0
	s_delay_alu instid0(VALU_DEP_2)
	v_dual_mov_b32 v4, v2 :: v_dual_mov_b32 v3, v1
	.p2align	6
.LBB99_77:                              ; =>This Inner Loop Header: Depth=1
	scratch_load_b128 v[15:18], v9, off offset:-8
	ds_load_b128 v[19:22], v8
	v_add_nc_u32_e32 v7, 1, v7
	v_add_nc_u32_e32 v8, 16, v8
	;; [unrolled: 1-line block ×3, first 2 shown]
	s_delay_alu instid0(VALU_DEP_3) | instskip(SKIP_4) | instid1(VALU_DEP_2)
	v_cmp_lt_u32_e32 vcc_lo, 14, v7
	s_or_b32 s3, vcc_lo, s3
	s_waitcnt vmcnt(0) lgkmcnt(0)
	v_mul_f64 v[10:11], v[21:22], v[17:18]
	v_mul_f64 v[17:18], v[19:20], v[17:18]
	v_fma_f64 v[10:11], v[19:20], v[15:16], -v[10:11]
	s_delay_alu instid0(VALU_DEP_2) | instskip(NEXT) | instid1(VALU_DEP_2)
	v_fma_f64 v[15:16], v[21:22], v[15:16], v[17:18]
	v_add_f64 v[3:4], v[3:4], v[10:11]
	s_delay_alu instid0(VALU_DEP_2)
	v_add_f64 v[1:2], v[1:2], v[15:16]
	s_and_not1_b32 exec_lo, exec_lo, s3
	s_cbranch_execnz .LBB99_77
; %bb.78:
	s_or_b32 exec_lo, exec_lo, s3
	v_mov_b32_e32 v7, 0
	ds_load_b128 v[7:10], v7 offset:256
	s_waitcnt lgkmcnt(0)
	v_mul_f64 v[11:12], v[1:2], v[9:10]
	v_mul_f64 v[15:16], v[3:4], v[9:10]
	s_delay_alu instid0(VALU_DEP_2) | instskip(NEXT) | instid1(VALU_DEP_2)
	v_fma_f64 v[9:10], v[3:4], v[7:8], -v[11:12]
	v_fma_f64 v[11:12], v[1:2], v[7:8], v[15:16]
	scratch_store_b128 off, v[9:12], off offset:256
.LBB99_79:
	s_or_b32 exec_lo, exec_lo, s2
	s_waitcnt_vscnt null, 0x0
	s_barrier
	buffer_gl0_inv
	scratch_load_b128 v[1:4], v127, off
	s_mov_b32 s2, exec_lo
	s_waitcnt vmcnt(0)
	ds_store_b128 v5, v[1:4]
	s_waitcnt lgkmcnt(0)
	s_barrier
	buffer_gl0_inv
	v_cmpx_gt_u32_e32 17, v118
	s_cbranch_execz .LBB99_83
; %bb.80:
	v_dual_mov_b32 v1, 0 :: v_dual_add_nc_u32 v8, 0x240, v13
	v_dual_mov_b32 v2, 0 :: v_dual_add_nc_u32 v7, -1, v118
	v_or_b32_e32 v9, 8, v14
	s_mov_b32 s3, 0
	s_delay_alu instid0(VALU_DEP_2)
	v_dual_mov_b32 v4, v2 :: v_dual_mov_b32 v3, v1
	.p2align	6
.LBB99_81:                              ; =>This Inner Loop Header: Depth=1
	scratch_load_b128 v[15:18], v9, off offset:-8
	ds_load_b128 v[19:22], v8
	v_add_nc_u32_e32 v7, 1, v7
	v_add_nc_u32_e32 v8, 16, v8
	;; [unrolled: 1-line block ×3, first 2 shown]
	s_delay_alu instid0(VALU_DEP_3) | instskip(SKIP_4) | instid1(VALU_DEP_2)
	v_cmp_lt_u32_e32 vcc_lo, 15, v7
	s_or_b32 s3, vcc_lo, s3
	s_waitcnt vmcnt(0) lgkmcnt(0)
	v_mul_f64 v[10:11], v[21:22], v[17:18]
	v_mul_f64 v[17:18], v[19:20], v[17:18]
	v_fma_f64 v[10:11], v[19:20], v[15:16], -v[10:11]
	s_delay_alu instid0(VALU_DEP_2) | instskip(NEXT) | instid1(VALU_DEP_2)
	v_fma_f64 v[15:16], v[21:22], v[15:16], v[17:18]
	v_add_f64 v[3:4], v[3:4], v[10:11]
	s_delay_alu instid0(VALU_DEP_2)
	v_add_f64 v[1:2], v[1:2], v[15:16]
	s_and_not1_b32 exec_lo, exec_lo, s3
	s_cbranch_execnz .LBB99_81
; %bb.82:
	s_or_b32 exec_lo, exec_lo, s3
	v_mov_b32_e32 v7, 0
	ds_load_b128 v[7:10], v7 offset:272
	s_waitcnt lgkmcnt(0)
	v_mul_f64 v[11:12], v[1:2], v[9:10]
	v_mul_f64 v[15:16], v[3:4], v[9:10]
	s_delay_alu instid0(VALU_DEP_2) | instskip(NEXT) | instid1(VALU_DEP_2)
	v_fma_f64 v[9:10], v[3:4], v[7:8], -v[11:12]
	v_fma_f64 v[11:12], v[1:2], v[7:8], v[15:16]
	scratch_store_b128 off, v[9:12], off offset:272
.LBB99_83:
	s_or_b32 exec_lo, exec_lo, s2
	s_waitcnt_vscnt null, 0x0
	s_barrier
	buffer_gl0_inv
	scratch_load_b128 v[1:4], v125, off
	s_mov_b32 s2, exec_lo
	s_waitcnt vmcnt(0)
	ds_store_b128 v5, v[1:4]
	s_waitcnt lgkmcnt(0)
	s_barrier
	buffer_gl0_inv
	v_cmpx_gt_u32_e32 18, v118
	s_cbranch_execz .LBB99_87
; %bb.84:
	v_dual_mov_b32 v1, 0 :: v_dual_add_nc_u32 v8, 0x240, v13
	v_dual_mov_b32 v2, 0 :: v_dual_add_nc_u32 v7, -1, v118
	v_or_b32_e32 v9, 8, v14
	s_mov_b32 s3, 0
	s_delay_alu instid0(VALU_DEP_2)
	v_dual_mov_b32 v4, v2 :: v_dual_mov_b32 v3, v1
	.p2align	6
.LBB99_85:                              ; =>This Inner Loop Header: Depth=1
	scratch_load_b128 v[15:18], v9, off offset:-8
	ds_load_b128 v[19:22], v8
	v_add_nc_u32_e32 v7, 1, v7
	v_add_nc_u32_e32 v8, 16, v8
	v_add_nc_u32_e32 v9, 16, v9
	s_delay_alu instid0(VALU_DEP_3) | instskip(SKIP_4) | instid1(VALU_DEP_2)
	v_cmp_lt_u32_e32 vcc_lo, 16, v7
	s_or_b32 s3, vcc_lo, s3
	s_waitcnt vmcnt(0) lgkmcnt(0)
	v_mul_f64 v[10:11], v[21:22], v[17:18]
	v_mul_f64 v[17:18], v[19:20], v[17:18]
	v_fma_f64 v[10:11], v[19:20], v[15:16], -v[10:11]
	s_delay_alu instid0(VALU_DEP_2) | instskip(NEXT) | instid1(VALU_DEP_2)
	v_fma_f64 v[15:16], v[21:22], v[15:16], v[17:18]
	v_add_f64 v[3:4], v[3:4], v[10:11]
	s_delay_alu instid0(VALU_DEP_2)
	v_add_f64 v[1:2], v[1:2], v[15:16]
	s_and_not1_b32 exec_lo, exec_lo, s3
	s_cbranch_execnz .LBB99_85
; %bb.86:
	s_or_b32 exec_lo, exec_lo, s3
	v_mov_b32_e32 v7, 0
	ds_load_b128 v[7:10], v7 offset:288
	s_waitcnt lgkmcnt(0)
	v_mul_f64 v[11:12], v[1:2], v[9:10]
	v_mul_f64 v[15:16], v[3:4], v[9:10]
	s_delay_alu instid0(VALU_DEP_2) | instskip(NEXT) | instid1(VALU_DEP_2)
	v_fma_f64 v[9:10], v[3:4], v[7:8], -v[11:12]
	v_fma_f64 v[11:12], v[1:2], v[7:8], v[15:16]
	scratch_store_b128 off, v[9:12], off offset:288
.LBB99_87:
	s_or_b32 exec_lo, exec_lo, s2
	s_waitcnt_vscnt null, 0x0
	s_barrier
	buffer_gl0_inv
	scratch_load_b128 v[1:4], v126, off
	s_mov_b32 s2, exec_lo
	s_waitcnt vmcnt(0)
	ds_store_b128 v5, v[1:4]
	s_waitcnt lgkmcnt(0)
	s_barrier
	buffer_gl0_inv
	v_cmpx_gt_u32_e32 19, v118
	s_cbranch_execz .LBB99_91
; %bb.88:
	v_dual_mov_b32 v1, 0 :: v_dual_add_nc_u32 v8, 0x240, v13
	v_dual_mov_b32 v2, 0 :: v_dual_add_nc_u32 v7, -1, v118
	v_or_b32_e32 v9, 8, v14
	s_mov_b32 s3, 0
	s_delay_alu instid0(VALU_DEP_2)
	v_dual_mov_b32 v4, v2 :: v_dual_mov_b32 v3, v1
	.p2align	6
.LBB99_89:                              ; =>This Inner Loop Header: Depth=1
	scratch_load_b128 v[15:18], v9, off offset:-8
	ds_load_b128 v[19:22], v8
	v_add_nc_u32_e32 v7, 1, v7
	v_add_nc_u32_e32 v8, 16, v8
	v_add_nc_u32_e32 v9, 16, v9
	s_delay_alu instid0(VALU_DEP_3) | instskip(SKIP_4) | instid1(VALU_DEP_2)
	v_cmp_lt_u32_e32 vcc_lo, 17, v7
	s_or_b32 s3, vcc_lo, s3
	s_waitcnt vmcnt(0) lgkmcnt(0)
	v_mul_f64 v[10:11], v[21:22], v[17:18]
	v_mul_f64 v[17:18], v[19:20], v[17:18]
	v_fma_f64 v[10:11], v[19:20], v[15:16], -v[10:11]
	s_delay_alu instid0(VALU_DEP_2) | instskip(NEXT) | instid1(VALU_DEP_2)
	v_fma_f64 v[15:16], v[21:22], v[15:16], v[17:18]
	v_add_f64 v[3:4], v[3:4], v[10:11]
	s_delay_alu instid0(VALU_DEP_2)
	v_add_f64 v[1:2], v[1:2], v[15:16]
	s_and_not1_b32 exec_lo, exec_lo, s3
	s_cbranch_execnz .LBB99_89
; %bb.90:
	s_or_b32 exec_lo, exec_lo, s3
	v_mov_b32_e32 v7, 0
	ds_load_b128 v[7:10], v7 offset:304
	s_waitcnt lgkmcnt(0)
	v_mul_f64 v[11:12], v[1:2], v[9:10]
	v_mul_f64 v[15:16], v[3:4], v[9:10]
	s_delay_alu instid0(VALU_DEP_2) | instskip(NEXT) | instid1(VALU_DEP_2)
	v_fma_f64 v[9:10], v[3:4], v[7:8], -v[11:12]
	v_fma_f64 v[11:12], v[1:2], v[7:8], v[15:16]
	scratch_store_b128 off, v[9:12], off offset:304
.LBB99_91:
	s_or_b32 exec_lo, exec_lo, s2
	s_waitcnt_vscnt null, 0x0
	s_barrier
	buffer_gl0_inv
	scratch_load_b128 v[1:4], v153, off
	s_mov_b32 s2, exec_lo
	s_waitcnt vmcnt(0)
	ds_store_b128 v5, v[1:4]
	s_waitcnt lgkmcnt(0)
	s_barrier
	buffer_gl0_inv
	v_cmpx_gt_u32_e32 20, v118
	s_cbranch_execz .LBB99_95
; %bb.92:
	v_dual_mov_b32 v1, 0 :: v_dual_add_nc_u32 v8, 0x240, v13
	v_dual_mov_b32 v2, 0 :: v_dual_add_nc_u32 v7, -1, v118
	v_or_b32_e32 v9, 8, v14
	s_mov_b32 s3, 0
	s_delay_alu instid0(VALU_DEP_2)
	v_dual_mov_b32 v4, v2 :: v_dual_mov_b32 v3, v1
	.p2align	6
.LBB99_93:                              ; =>This Inner Loop Header: Depth=1
	scratch_load_b128 v[15:18], v9, off offset:-8
	ds_load_b128 v[19:22], v8
	v_add_nc_u32_e32 v7, 1, v7
	v_add_nc_u32_e32 v8, 16, v8
	;; [unrolled: 1-line block ×3, first 2 shown]
	s_delay_alu instid0(VALU_DEP_3) | instskip(SKIP_4) | instid1(VALU_DEP_2)
	v_cmp_lt_u32_e32 vcc_lo, 18, v7
	s_or_b32 s3, vcc_lo, s3
	s_waitcnt vmcnt(0) lgkmcnt(0)
	v_mul_f64 v[10:11], v[21:22], v[17:18]
	v_mul_f64 v[17:18], v[19:20], v[17:18]
	v_fma_f64 v[10:11], v[19:20], v[15:16], -v[10:11]
	s_delay_alu instid0(VALU_DEP_2) | instskip(NEXT) | instid1(VALU_DEP_2)
	v_fma_f64 v[15:16], v[21:22], v[15:16], v[17:18]
	v_add_f64 v[3:4], v[3:4], v[10:11]
	s_delay_alu instid0(VALU_DEP_2)
	v_add_f64 v[1:2], v[1:2], v[15:16]
	s_and_not1_b32 exec_lo, exec_lo, s3
	s_cbranch_execnz .LBB99_93
; %bb.94:
	s_or_b32 exec_lo, exec_lo, s3
	v_mov_b32_e32 v7, 0
	ds_load_b128 v[7:10], v7 offset:320
	s_waitcnt lgkmcnt(0)
	v_mul_f64 v[11:12], v[1:2], v[9:10]
	v_mul_f64 v[15:16], v[3:4], v[9:10]
	s_delay_alu instid0(VALU_DEP_2) | instskip(NEXT) | instid1(VALU_DEP_2)
	v_fma_f64 v[9:10], v[3:4], v[7:8], -v[11:12]
	v_fma_f64 v[11:12], v[1:2], v[7:8], v[15:16]
	scratch_store_b128 off, v[9:12], off offset:320
.LBB99_95:
	s_or_b32 exec_lo, exec_lo, s2
	s_waitcnt_vscnt null, 0x0
	s_barrier
	buffer_gl0_inv
	scratch_load_b128 v[1:4], v152, off
	s_mov_b32 s2, exec_lo
	s_waitcnt vmcnt(0)
	ds_store_b128 v5, v[1:4]
	s_waitcnt lgkmcnt(0)
	s_barrier
	buffer_gl0_inv
	v_cmpx_gt_u32_e32 21, v118
	s_cbranch_execz .LBB99_99
; %bb.96:
	v_dual_mov_b32 v1, 0 :: v_dual_add_nc_u32 v8, 0x240, v13
	v_dual_mov_b32 v2, 0 :: v_dual_add_nc_u32 v7, -1, v118
	v_or_b32_e32 v9, 8, v14
	s_mov_b32 s3, 0
	s_delay_alu instid0(VALU_DEP_2)
	v_dual_mov_b32 v4, v2 :: v_dual_mov_b32 v3, v1
	.p2align	6
.LBB99_97:                              ; =>This Inner Loop Header: Depth=1
	scratch_load_b128 v[15:18], v9, off offset:-8
	ds_load_b128 v[19:22], v8
	v_add_nc_u32_e32 v7, 1, v7
	v_add_nc_u32_e32 v8, 16, v8
	;; [unrolled: 1-line block ×3, first 2 shown]
	s_delay_alu instid0(VALU_DEP_3) | instskip(SKIP_4) | instid1(VALU_DEP_2)
	v_cmp_lt_u32_e32 vcc_lo, 19, v7
	s_or_b32 s3, vcc_lo, s3
	s_waitcnt vmcnt(0) lgkmcnt(0)
	v_mul_f64 v[10:11], v[21:22], v[17:18]
	v_mul_f64 v[17:18], v[19:20], v[17:18]
	v_fma_f64 v[10:11], v[19:20], v[15:16], -v[10:11]
	s_delay_alu instid0(VALU_DEP_2) | instskip(NEXT) | instid1(VALU_DEP_2)
	v_fma_f64 v[15:16], v[21:22], v[15:16], v[17:18]
	v_add_f64 v[3:4], v[3:4], v[10:11]
	s_delay_alu instid0(VALU_DEP_2)
	v_add_f64 v[1:2], v[1:2], v[15:16]
	s_and_not1_b32 exec_lo, exec_lo, s3
	s_cbranch_execnz .LBB99_97
; %bb.98:
	s_or_b32 exec_lo, exec_lo, s3
	v_mov_b32_e32 v7, 0
	ds_load_b128 v[7:10], v7 offset:336
	s_waitcnt lgkmcnt(0)
	v_mul_f64 v[11:12], v[1:2], v[9:10]
	v_mul_f64 v[15:16], v[3:4], v[9:10]
	s_delay_alu instid0(VALU_DEP_2) | instskip(NEXT) | instid1(VALU_DEP_2)
	v_fma_f64 v[9:10], v[3:4], v[7:8], -v[11:12]
	v_fma_f64 v[11:12], v[1:2], v[7:8], v[15:16]
	scratch_store_b128 off, v[9:12], off offset:336
.LBB99_99:
	s_or_b32 exec_lo, exec_lo, s2
	s_waitcnt_vscnt null, 0x0
	s_barrier
	buffer_gl0_inv
	scratch_load_b128 v[1:4], v151, off
	s_mov_b32 s2, exec_lo
	s_waitcnt vmcnt(0)
	ds_store_b128 v5, v[1:4]
	s_waitcnt lgkmcnt(0)
	s_barrier
	buffer_gl0_inv
	v_cmpx_gt_u32_e32 22, v118
	s_cbranch_execz .LBB99_103
; %bb.100:
	v_dual_mov_b32 v1, 0 :: v_dual_add_nc_u32 v8, 0x240, v13
	v_dual_mov_b32 v2, 0 :: v_dual_add_nc_u32 v7, -1, v118
	v_or_b32_e32 v9, 8, v14
	s_mov_b32 s3, 0
	s_delay_alu instid0(VALU_DEP_2)
	v_dual_mov_b32 v4, v2 :: v_dual_mov_b32 v3, v1
	.p2align	6
.LBB99_101:                             ; =>This Inner Loop Header: Depth=1
	scratch_load_b128 v[15:18], v9, off offset:-8
	ds_load_b128 v[19:22], v8
	v_add_nc_u32_e32 v7, 1, v7
	v_add_nc_u32_e32 v8, 16, v8
	;; [unrolled: 1-line block ×3, first 2 shown]
	s_delay_alu instid0(VALU_DEP_3) | instskip(SKIP_4) | instid1(VALU_DEP_2)
	v_cmp_lt_u32_e32 vcc_lo, 20, v7
	s_or_b32 s3, vcc_lo, s3
	s_waitcnt vmcnt(0) lgkmcnt(0)
	v_mul_f64 v[10:11], v[21:22], v[17:18]
	v_mul_f64 v[17:18], v[19:20], v[17:18]
	v_fma_f64 v[10:11], v[19:20], v[15:16], -v[10:11]
	s_delay_alu instid0(VALU_DEP_2) | instskip(NEXT) | instid1(VALU_DEP_2)
	v_fma_f64 v[15:16], v[21:22], v[15:16], v[17:18]
	v_add_f64 v[3:4], v[3:4], v[10:11]
	s_delay_alu instid0(VALU_DEP_2)
	v_add_f64 v[1:2], v[1:2], v[15:16]
	s_and_not1_b32 exec_lo, exec_lo, s3
	s_cbranch_execnz .LBB99_101
; %bb.102:
	s_or_b32 exec_lo, exec_lo, s3
	v_mov_b32_e32 v7, 0
	ds_load_b128 v[7:10], v7 offset:352
	s_waitcnt lgkmcnt(0)
	v_mul_f64 v[11:12], v[1:2], v[9:10]
	v_mul_f64 v[15:16], v[3:4], v[9:10]
	s_delay_alu instid0(VALU_DEP_2) | instskip(NEXT) | instid1(VALU_DEP_2)
	v_fma_f64 v[9:10], v[3:4], v[7:8], -v[11:12]
	v_fma_f64 v[11:12], v[1:2], v[7:8], v[15:16]
	scratch_store_b128 off, v[9:12], off offset:352
.LBB99_103:
	s_or_b32 exec_lo, exec_lo, s2
	s_waitcnt_vscnt null, 0x0
	s_barrier
	buffer_gl0_inv
	scratch_load_b128 v[1:4], v150, off
	s_mov_b32 s2, exec_lo
	s_waitcnt vmcnt(0)
	ds_store_b128 v5, v[1:4]
	s_waitcnt lgkmcnt(0)
	s_barrier
	buffer_gl0_inv
	v_cmpx_gt_u32_e32 23, v118
	s_cbranch_execz .LBB99_107
; %bb.104:
	v_dual_mov_b32 v1, 0 :: v_dual_add_nc_u32 v8, 0x240, v13
	v_dual_mov_b32 v2, 0 :: v_dual_add_nc_u32 v7, -1, v118
	v_or_b32_e32 v9, 8, v14
	s_mov_b32 s3, 0
	s_delay_alu instid0(VALU_DEP_2)
	v_dual_mov_b32 v4, v2 :: v_dual_mov_b32 v3, v1
	.p2align	6
.LBB99_105:                             ; =>This Inner Loop Header: Depth=1
	scratch_load_b128 v[15:18], v9, off offset:-8
	ds_load_b128 v[19:22], v8
	v_add_nc_u32_e32 v7, 1, v7
	v_add_nc_u32_e32 v8, 16, v8
	;; [unrolled: 1-line block ×3, first 2 shown]
	s_delay_alu instid0(VALU_DEP_3) | instskip(SKIP_4) | instid1(VALU_DEP_2)
	v_cmp_lt_u32_e32 vcc_lo, 21, v7
	s_or_b32 s3, vcc_lo, s3
	s_waitcnt vmcnt(0) lgkmcnt(0)
	v_mul_f64 v[10:11], v[21:22], v[17:18]
	v_mul_f64 v[17:18], v[19:20], v[17:18]
	v_fma_f64 v[10:11], v[19:20], v[15:16], -v[10:11]
	s_delay_alu instid0(VALU_DEP_2) | instskip(NEXT) | instid1(VALU_DEP_2)
	v_fma_f64 v[15:16], v[21:22], v[15:16], v[17:18]
	v_add_f64 v[3:4], v[3:4], v[10:11]
	s_delay_alu instid0(VALU_DEP_2)
	v_add_f64 v[1:2], v[1:2], v[15:16]
	s_and_not1_b32 exec_lo, exec_lo, s3
	s_cbranch_execnz .LBB99_105
; %bb.106:
	s_or_b32 exec_lo, exec_lo, s3
	v_mov_b32_e32 v7, 0
	ds_load_b128 v[7:10], v7 offset:368
	s_waitcnt lgkmcnt(0)
	v_mul_f64 v[11:12], v[1:2], v[9:10]
	v_mul_f64 v[15:16], v[3:4], v[9:10]
	s_delay_alu instid0(VALU_DEP_2) | instskip(NEXT) | instid1(VALU_DEP_2)
	v_fma_f64 v[9:10], v[3:4], v[7:8], -v[11:12]
	v_fma_f64 v[11:12], v[1:2], v[7:8], v[15:16]
	scratch_store_b128 off, v[9:12], off offset:368
.LBB99_107:
	s_or_b32 exec_lo, exec_lo, s2
	s_waitcnt_vscnt null, 0x0
	s_barrier
	buffer_gl0_inv
	scratch_load_b128 v[1:4], v149, off
	s_mov_b32 s2, exec_lo
	s_waitcnt vmcnt(0)
	ds_store_b128 v5, v[1:4]
	s_waitcnt lgkmcnt(0)
	s_barrier
	buffer_gl0_inv
	v_cmpx_gt_u32_e32 24, v118
	s_cbranch_execz .LBB99_111
; %bb.108:
	v_dual_mov_b32 v1, 0 :: v_dual_add_nc_u32 v8, 0x240, v13
	v_dual_mov_b32 v2, 0 :: v_dual_add_nc_u32 v7, -1, v118
	v_or_b32_e32 v9, 8, v14
	s_mov_b32 s3, 0
	s_delay_alu instid0(VALU_DEP_2)
	v_dual_mov_b32 v4, v2 :: v_dual_mov_b32 v3, v1
	.p2align	6
.LBB99_109:                             ; =>This Inner Loop Header: Depth=1
	scratch_load_b128 v[15:18], v9, off offset:-8
	ds_load_b128 v[19:22], v8
	v_add_nc_u32_e32 v7, 1, v7
	v_add_nc_u32_e32 v8, 16, v8
	;; [unrolled: 1-line block ×3, first 2 shown]
	s_delay_alu instid0(VALU_DEP_3) | instskip(SKIP_4) | instid1(VALU_DEP_2)
	v_cmp_lt_u32_e32 vcc_lo, 22, v7
	s_or_b32 s3, vcc_lo, s3
	s_waitcnt vmcnt(0) lgkmcnt(0)
	v_mul_f64 v[10:11], v[21:22], v[17:18]
	v_mul_f64 v[17:18], v[19:20], v[17:18]
	v_fma_f64 v[10:11], v[19:20], v[15:16], -v[10:11]
	s_delay_alu instid0(VALU_DEP_2) | instskip(NEXT) | instid1(VALU_DEP_2)
	v_fma_f64 v[15:16], v[21:22], v[15:16], v[17:18]
	v_add_f64 v[3:4], v[3:4], v[10:11]
	s_delay_alu instid0(VALU_DEP_2)
	v_add_f64 v[1:2], v[1:2], v[15:16]
	s_and_not1_b32 exec_lo, exec_lo, s3
	s_cbranch_execnz .LBB99_109
; %bb.110:
	s_or_b32 exec_lo, exec_lo, s3
	v_mov_b32_e32 v7, 0
	ds_load_b128 v[7:10], v7 offset:384
	s_waitcnt lgkmcnt(0)
	v_mul_f64 v[11:12], v[1:2], v[9:10]
	v_mul_f64 v[15:16], v[3:4], v[9:10]
	s_delay_alu instid0(VALU_DEP_2) | instskip(NEXT) | instid1(VALU_DEP_2)
	v_fma_f64 v[9:10], v[3:4], v[7:8], -v[11:12]
	v_fma_f64 v[11:12], v[1:2], v[7:8], v[15:16]
	scratch_store_b128 off, v[9:12], off offset:384
.LBB99_111:
	s_or_b32 exec_lo, exec_lo, s2
	s_waitcnt_vscnt null, 0x0
	s_barrier
	buffer_gl0_inv
	scratch_load_b128 v[1:4], v148, off
	s_mov_b32 s2, exec_lo
	s_waitcnt vmcnt(0)
	ds_store_b128 v5, v[1:4]
	s_waitcnt lgkmcnt(0)
	s_barrier
	buffer_gl0_inv
	v_cmpx_gt_u32_e32 25, v118
	s_cbranch_execz .LBB99_115
; %bb.112:
	v_dual_mov_b32 v1, 0 :: v_dual_add_nc_u32 v8, 0x240, v13
	v_dual_mov_b32 v2, 0 :: v_dual_add_nc_u32 v7, -1, v118
	v_or_b32_e32 v9, 8, v14
	s_mov_b32 s3, 0
	s_delay_alu instid0(VALU_DEP_2)
	v_dual_mov_b32 v4, v2 :: v_dual_mov_b32 v3, v1
	.p2align	6
.LBB99_113:                             ; =>This Inner Loop Header: Depth=1
	scratch_load_b128 v[15:18], v9, off offset:-8
	ds_load_b128 v[19:22], v8
	v_add_nc_u32_e32 v7, 1, v7
	v_add_nc_u32_e32 v8, 16, v8
	;; [unrolled: 1-line block ×3, first 2 shown]
	s_delay_alu instid0(VALU_DEP_3) | instskip(SKIP_4) | instid1(VALU_DEP_2)
	v_cmp_lt_u32_e32 vcc_lo, 23, v7
	s_or_b32 s3, vcc_lo, s3
	s_waitcnt vmcnt(0) lgkmcnt(0)
	v_mul_f64 v[10:11], v[21:22], v[17:18]
	v_mul_f64 v[17:18], v[19:20], v[17:18]
	v_fma_f64 v[10:11], v[19:20], v[15:16], -v[10:11]
	s_delay_alu instid0(VALU_DEP_2) | instskip(NEXT) | instid1(VALU_DEP_2)
	v_fma_f64 v[15:16], v[21:22], v[15:16], v[17:18]
	v_add_f64 v[3:4], v[3:4], v[10:11]
	s_delay_alu instid0(VALU_DEP_2)
	v_add_f64 v[1:2], v[1:2], v[15:16]
	s_and_not1_b32 exec_lo, exec_lo, s3
	s_cbranch_execnz .LBB99_113
; %bb.114:
	s_or_b32 exec_lo, exec_lo, s3
	v_mov_b32_e32 v7, 0
	ds_load_b128 v[7:10], v7 offset:400
	s_waitcnt lgkmcnt(0)
	v_mul_f64 v[11:12], v[1:2], v[9:10]
	v_mul_f64 v[15:16], v[3:4], v[9:10]
	s_delay_alu instid0(VALU_DEP_2) | instskip(NEXT) | instid1(VALU_DEP_2)
	v_fma_f64 v[9:10], v[3:4], v[7:8], -v[11:12]
	v_fma_f64 v[11:12], v[1:2], v[7:8], v[15:16]
	scratch_store_b128 off, v[9:12], off offset:400
.LBB99_115:
	s_or_b32 exec_lo, exec_lo, s2
	s_waitcnt_vscnt null, 0x0
	s_barrier
	buffer_gl0_inv
	scratch_load_b128 v[1:4], v147, off
	s_mov_b32 s2, exec_lo
	s_waitcnt vmcnt(0)
	ds_store_b128 v5, v[1:4]
	s_waitcnt lgkmcnt(0)
	s_barrier
	buffer_gl0_inv
	v_cmpx_gt_u32_e32 26, v118
	s_cbranch_execz .LBB99_119
; %bb.116:
	v_dual_mov_b32 v1, 0 :: v_dual_add_nc_u32 v8, 0x240, v13
	v_dual_mov_b32 v2, 0 :: v_dual_add_nc_u32 v7, -1, v118
	v_or_b32_e32 v9, 8, v14
	s_mov_b32 s3, 0
	s_delay_alu instid0(VALU_DEP_2)
	v_dual_mov_b32 v4, v2 :: v_dual_mov_b32 v3, v1
	.p2align	6
.LBB99_117:                             ; =>This Inner Loop Header: Depth=1
	scratch_load_b128 v[15:18], v9, off offset:-8
	ds_load_b128 v[19:22], v8
	v_add_nc_u32_e32 v7, 1, v7
	v_add_nc_u32_e32 v8, 16, v8
	;; [unrolled: 1-line block ×3, first 2 shown]
	s_delay_alu instid0(VALU_DEP_3) | instskip(SKIP_4) | instid1(VALU_DEP_2)
	v_cmp_lt_u32_e32 vcc_lo, 24, v7
	s_or_b32 s3, vcc_lo, s3
	s_waitcnt vmcnt(0) lgkmcnt(0)
	v_mul_f64 v[10:11], v[21:22], v[17:18]
	v_mul_f64 v[17:18], v[19:20], v[17:18]
	v_fma_f64 v[10:11], v[19:20], v[15:16], -v[10:11]
	s_delay_alu instid0(VALU_DEP_2) | instskip(NEXT) | instid1(VALU_DEP_2)
	v_fma_f64 v[15:16], v[21:22], v[15:16], v[17:18]
	v_add_f64 v[3:4], v[3:4], v[10:11]
	s_delay_alu instid0(VALU_DEP_2)
	v_add_f64 v[1:2], v[1:2], v[15:16]
	s_and_not1_b32 exec_lo, exec_lo, s3
	s_cbranch_execnz .LBB99_117
; %bb.118:
	s_or_b32 exec_lo, exec_lo, s3
	v_mov_b32_e32 v7, 0
	ds_load_b128 v[7:10], v7 offset:416
	s_waitcnt lgkmcnt(0)
	v_mul_f64 v[11:12], v[1:2], v[9:10]
	v_mul_f64 v[15:16], v[3:4], v[9:10]
	s_delay_alu instid0(VALU_DEP_2) | instskip(NEXT) | instid1(VALU_DEP_2)
	v_fma_f64 v[9:10], v[3:4], v[7:8], -v[11:12]
	v_fma_f64 v[11:12], v[1:2], v[7:8], v[15:16]
	scratch_store_b128 off, v[9:12], off offset:416
.LBB99_119:
	s_or_b32 exec_lo, exec_lo, s2
	s_waitcnt_vscnt null, 0x0
	s_barrier
	buffer_gl0_inv
	scratch_load_b128 v[1:4], v146, off
	s_mov_b32 s2, exec_lo
	s_waitcnt vmcnt(0)
	ds_store_b128 v5, v[1:4]
	s_waitcnt lgkmcnt(0)
	s_barrier
	buffer_gl0_inv
	v_cmpx_gt_u32_e32 27, v118
	s_cbranch_execz .LBB99_123
; %bb.120:
	v_dual_mov_b32 v1, 0 :: v_dual_add_nc_u32 v8, 0x240, v13
	v_dual_mov_b32 v2, 0 :: v_dual_add_nc_u32 v7, -1, v118
	v_or_b32_e32 v9, 8, v14
	s_mov_b32 s3, 0
	s_delay_alu instid0(VALU_DEP_2)
	v_dual_mov_b32 v4, v2 :: v_dual_mov_b32 v3, v1
	.p2align	6
.LBB99_121:                             ; =>This Inner Loop Header: Depth=1
	scratch_load_b128 v[15:18], v9, off offset:-8
	ds_load_b128 v[19:22], v8
	v_add_nc_u32_e32 v7, 1, v7
	v_add_nc_u32_e32 v8, 16, v8
	;; [unrolled: 1-line block ×3, first 2 shown]
	s_delay_alu instid0(VALU_DEP_3) | instskip(SKIP_4) | instid1(VALU_DEP_2)
	v_cmp_lt_u32_e32 vcc_lo, 25, v7
	s_or_b32 s3, vcc_lo, s3
	s_waitcnt vmcnt(0) lgkmcnt(0)
	v_mul_f64 v[10:11], v[21:22], v[17:18]
	v_mul_f64 v[17:18], v[19:20], v[17:18]
	v_fma_f64 v[10:11], v[19:20], v[15:16], -v[10:11]
	s_delay_alu instid0(VALU_DEP_2) | instskip(NEXT) | instid1(VALU_DEP_2)
	v_fma_f64 v[15:16], v[21:22], v[15:16], v[17:18]
	v_add_f64 v[3:4], v[3:4], v[10:11]
	s_delay_alu instid0(VALU_DEP_2)
	v_add_f64 v[1:2], v[1:2], v[15:16]
	s_and_not1_b32 exec_lo, exec_lo, s3
	s_cbranch_execnz .LBB99_121
; %bb.122:
	s_or_b32 exec_lo, exec_lo, s3
	v_mov_b32_e32 v7, 0
	ds_load_b128 v[7:10], v7 offset:432
	s_waitcnt lgkmcnt(0)
	v_mul_f64 v[11:12], v[1:2], v[9:10]
	v_mul_f64 v[15:16], v[3:4], v[9:10]
	s_delay_alu instid0(VALU_DEP_2) | instskip(NEXT) | instid1(VALU_DEP_2)
	v_fma_f64 v[9:10], v[3:4], v[7:8], -v[11:12]
	v_fma_f64 v[11:12], v[1:2], v[7:8], v[15:16]
	scratch_store_b128 off, v[9:12], off offset:432
.LBB99_123:
	s_or_b32 exec_lo, exec_lo, s2
	s_waitcnt_vscnt null, 0x0
	s_barrier
	buffer_gl0_inv
	scratch_load_b128 v[1:4], v145, off
	s_mov_b32 s2, exec_lo
	s_waitcnt vmcnt(0)
	ds_store_b128 v5, v[1:4]
	s_waitcnt lgkmcnt(0)
	s_barrier
	buffer_gl0_inv
	v_cmpx_gt_u32_e32 28, v118
	s_cbranch_execz .LBB99_127
; %bb.124:
	v_dual_mov_b32 v1, 0 :: v_dual_add_nc_u32 v8, 0x240, v13
	v_dual_mov_b32 v2, 0 :: v_dual_add_nc_u32 v7, -1, v118
	v_or_b32_e32 v9, 8, v14
	s_mov_b32 s3, 0
	s_delay_alu instid0(VALU_DEP_2)
	v_dual_mov_b32 v4, v2 :: v_dual_mov_b32 v3, v1
	.p2align	6
.LBB99_125:                             ; =>This Inner Loop Header: Depth=1
	scratch_load_b128 v[15:18], v9, off offset:-8
	ds_load_b128 v[19:22], v8
	v_add_nc_u32_e32 v7, 1, v7
	v_add_nc_u32_e32 v8, 16, v8
	;; [unrolled: 1-line block ×3, first 2 shown]
	s_delay_alu instid0(VALU_DEP_3) | instskip(SKIP_4) | instid1(VALU_DEP_2)
	v_cmp_lt_u32_e32 vcc_lo, 26, v7
	s_or_b32 s3, vcc_lo, s3
	s_waitcnt vmcnt(0) lgkmcnt(0)
	v_mul_f64 v[10:11], v[21:22], v[17:18]
	v_mul_f64 v[17:18], v[19:20], v[17:18]
	v_fma_f64 v[10:11], v[19:20], v[15:16], -v[10:11]
	s_delay_alu instid0(VALU_DEP_2) | instskip(NEXT) | instid1(VALU_DEP_2)
	v_fma_f64 v[15:16], v[21:22], v[15:16], v[17:18]
	v_add_f64 v[3:4], v[3:4], v[10:11]
	s_delay_alu instid0(VALU_DEP_2)
	v_add_f64 v[1:2], v[1:2], v[15:16]
	s_and_not1_b32 exec_lo, exec_lo, s3
	s_cbranch_execnz .LBB99_125
; %bb.126:
	s_or_b32 exec_lo, exec_lo, s3
	v_mov_b32_e32 v7, 0
	ds_load_b128 v[7:10], v7 offset:448
	s_waitcnt lgkmcnt(0)
	v_mul_f64 v[11:12], v[1:2], v[9:10]
	v_mul_f64 v[15:16], v[3:4], v[9:10]
	s_delay_alu instid0(VALU_DEP_2) | instskip(NEXT) | instid1(VALU_DEP_2)
	v_fma_f64 v[9:10], v[3:4], v[7:8], -v[11:12]
	v_fma_f64 v[11:12], v[1:2], v[7:8], v[15:16]
	scratch_store_b128 off, v[9:12], off offset:448
.LBB99_127:
	s_or_b32 exec_lo, exec_lo, s2
	s_waitcnt_vscnt null, 0x0
	s_barrier
	buffer_gl0_inv
	scratch_load_b128 v[1:4], v144, off
	s_mov_b32 s2, exec_lo
	s_waitcnt vmcnt(0)
	ds_store_b128 v5, v[1:4]
	s_waitcnt lgkmcnt(0)
	s_barrier
	buffer_gl0_inv
	v_cmpx_gt_u32_e32 29, v118
	s_cbranch_execz .LBB99_131
; %bb.128:
	v_dual_mov_b32 v1, 0 :: v_dual_add_nc_u32 v8, 0x240, v13
	v_dual_mov_b32 v2, 0 :: v_dual_add_nc_u32 v7, -1, v118
	v_or_b32_e32 v9, 8, v14
	s_mov_b32 s3, 0
	s_delay_alu instid0(VALU_DEP_2)
	v_dual_mov_b32 v4, v2 :: v_dual_mov_b32 v3, v1
	.p2align	6
.LBB99_129:                             ; =>This Inner Loop Header: Depth=1
	scratch_load_b128 v[15:18], v9, off offset:-8
	ds_load_b128 v[19:22], v8
	v_add_nc_u32_e32 v7, 1, v7
	v_add_nc_u32_e32 v8, 16, v8
	;; [unrolled: 1-line block ×3, first 2 shown]
	s_delay_alu instid0(VALU_DEP_3) | instskip(SKIP_4) | instid1(VALU_DEP_2)
	v_cmp_lt_u32_e32 vcc_lo, 27, v7
	s_or_b32 s3, vcc_lo, s3
	s_waitcnt vmcnt(0) lgkmcnt(0)
	v_mul_f64 v[10:11], v[21:22], v[17:18]
	v_mul_f64 v[17:18], v[19:20], v[17:18]
	v_fma_f64 v[10:11], v[19:20], v[15:16], -v[10:11]
	s_delay_alu instid0(VALU_DEP_2) | instskip(NEXT) | instid1(VALU_DEP_2)
	v_fma_f64 v[15:16], v[21:22], v[15:16], v[17:18]
	v_add_f64 v[3:4], v[3:4], v[10:11]
	s_delay_alu instid0(VALU_DEP_2)
	v_add_f64 v[1:2], v[1:2], v[15:16]
	s_and_not1_b32 exec_lo, exec_lo, s3
	s_cbranch_execnz .LBB99_129
; %bb.130:
	s_or_b32 exec_lo, exec_lo, s3
	v_mov_b32_e32 v7, 0
	ds_load_b128 v[7:10], v7 offset:464
	s_waitcnt lgkmcnt(0)
	v_mul_f64 v[11:12], v[1:2], v[9:10]
	v_mul_f64 v[15:16], v[3:4], v[9:10]
	s_delay_alu instid0(VALU_DEP_2) | instskip(NEXT) | instid1(VALU_DEP_2)
	v_fma_f64 v[9:10], v[3:4], v[7:8], -v[11:12]
	v_fma_f64 v[11:12], v[1:2], v[7:8], v[15:16]
	scratch_store_b128 off, v[9:12], off offset:464
.LBB99_131:
	s_or_b32 exec_lo, exec_lo, s2
	s_waitcnt_vscnt null, 0x0
	s_barrier
	buffer_gl0_inv
	scratch_load_b128 v[1:4], v139, off
	s_mov_b32 s2, exec_lo
	s_waitcnt vmcnt(0)
	ds_store_b128 v5, v[1:4]
	s_waitcnt lgkmcnt(0)
	s_barrier
	buffer_gl0_inv
	v_cmpx_gt_u32_e32 30, v118
	s_cbranch_execz .LBB99_135
; %bb.132:
	v_dual_mov_b32 v1, 0 :: v_dual_add_nc_u32 v8, 0x240, v13
	v_dual_mov_b32 v2, 0 :: v_dual_add_nc_u32 v7, -1, v118
	v_or_b32_e32 v9, 8, v14
	s_mov_b32 s3, 0
	s_delay_alu instid0(VALU_DEP_2)
	v_dual_mov_b32 v4, v2 :: v_dual_mov_b32 v3, v1
	.p2align	6
.LBB99_133:                             ; =>This Inner Loop Header: Depth=1
	scratch_load_b128 v[15:18], v9, off offset:-8
	ds_load_b128 v[19:22], v8
	v_add_nc_u32_e32 v7, 1, v7
	v_add_nc_u32_e32 v8, 16, v8
	;; [unrolled: 1-line block ×3, first 2 shown]
	s_delay_alu instid0(VALU_DEP_3) | instskip(SKIP_4) | instid1(VALU_DEP_2)
	v_cmp_lt_u32_e32 vcc_lo, 28, v7
	s_or_b32 s3, vcc_lo, s3
	s_waitcnt vmcnt(0) lgkmcnt(0)
	v_mul_f64 v[10:11], v[21:22], v[17:18]
	v_mul_f64 v[17:18], v[19:20], v[17:18]
	v_fma_f64 v[10:11], v[19:20], v[15:16], -v[10:11]
	s_delay_alu instid0(VALU_DEP_2) | instskip(NEXT) | instid1(VALU_DEP_2)
	v_fma_f64 v[15:16], v[21:22], v[15:16], v[17:18]
	v_add_f64 v[3:4], v[3:4], v[10:11]
	s_delay_alu instid0(VALU_DEP_2)
	v_add_f64 v[1:2], v[1:2], v[15:16]
	s_and_not1_b32 exec_lo, exec_lo, s3
	s_cbranch_execnz .LBB99_133
; %bb.134:
	s_or_b32 exec_lo, exec_lo, s3
	v_mov_b32_e32 v7, 0
	ds_load_b128 v[7:10], v7 offset:480
	s_waitcnt lgkmcnt(0)
	v_mul_f64 v[11:12], v[1:2], v[9:10]
	v_mul_f64 v[15:16], v[3:4], v[9:10]
	s_delay_alu instid0(VALU_DEP_2) | instskip(NEXT) | instid1(VALU_DEP_2)
	v_fma_f64 v[9:10], v[3:4], v[7:8], -v[11:12]
	v_fma_f64 v[11:12], v[1:2], v[7:8], v[15:16]
	scratch_store_b128 off, v[9:12], off offset:480
.LBB99_135:
	s_or_b32 exec_lo, exec_lo, s2
	s_waitcnt_vscnt null, 0x0
	s_barrier
	buffer_gl0_inv
	scratch_load_b128 v[1:4], v136, off
	s_mov_b32 s2, exec_lo
	s_waitcnt vmcnt(0)
	ds_store_b128 v5, v[1:4]
	s_waitcnt lgkmcnt(0)
	s_barrier
	buffer_gl0_inv
	v_cmpx_gt_u32_e32 31, v118
	s_cbranch_execz .LBB99_139
; %bb.136:
	v_dual_mov_b32 v1, 0 :: v_dual_add_nc_u32 v8, 0x240, v13
	v_dual_mov_b32 v2, 0 :: v_dual_add_nc_u32 v7, -1, v118
	v_or_b32_e32 v9, 8, v14
	s_mov_b32 s3, 0
	s_delay_alu instid0(VALU_DEP_2)
	v_dual_mov_b32 v4, v2 :: v_dual_mov_b32 v3, v1
	.p2align	6
.LBB99_137:                             ; =>This Inner Loop Header: Depth=1
	scratch_load_b128 v[15:18], v9, off offset:-8
	ds_load_b128 v[19:22], v8
	v_add_nc_u32_e32 v7, 1, v7
	v_add_nc_u32_e32 v8, 16, v8
	;; [unrolled: 1-line block ×3, first 2 shown]
	s_delay_alu instid0(VALU_DEP_3) | instskip(SKIP_4) | instid1(VALU_DEP_2)
	v_cmp_lt_u32_e32 vcc_lo, 29, v7
	s_or_b32 s3, vcc_lo, s3
	s_waitcnt vmcnt(0) lgkmcnt(0)
	v_mul_f64 v[10:11], v[21:22], v[17:18]
	v_mul_f64 v[17:18], v[19:20], v[17:18]
	v_fma_f64 v[10:11], v[19:20], v[15:16], -v[10:11]
	s_delay_alu instid0(VALU_DEP_2) | instskip(NEXT) | instid1(VALU_DEP_2)
	v_fma_f64 v[15:16], v[21:22], v[15:16], v[17:18]
	v_add_f64 v[3:4], v[3:4], v[10:11]
	s_delay_alu instid0(VALU_DEP_2)
	v_add_f64 v[1:2], v[1:2], v[15:16]
	s_and_not1_b32 exec_lo, exec_lo, s3
	s_cbranch_execnz .LBB99_137
; %bb.138:
	s_or_b32 exec_lo, exec_lo, s3
	v_mov_b32_e32 v7, 0
	ds_load_b128 v[7:10], v7 offset:496
	s_waitcnt lgkmcnt(0)
	v_mul_f64 v[11:12], v[1:2], v[9:10]
	v_mul_f64 v[15:16], v[3:4], v[9:10]
	s_delay_alu instid0(VALU_DEP_2) | instskip(NEXT) | instid1(VALU_DEP_2)
	v_fma_f64 v[9:10], v[3:4], v[7:8], -v[11:12]
	v_fma_f64 v[11:12], v[1:2], v[7:8], v[15:16]
	scratch_store_b128 off, v[9:12], off offset:496
.LBB99_139:
	s_or_b32 exec_lo, exec_lo, s2
	s_waitcnt_vscnt null, 0x0
	s_barrier
	buffer_gl0_inv
	scratch_load_b128 v[1:4], v131, off
	s_mov_b32 s2, exec_lo
	s_waitcnt vmcnt(0)
	ds_store_b128 v5, v[1:4]
	s_waitcnt lgkmcnt(0)
	s_barrier
	buffer_gl0_inv
	v_cmpx_gt_u32_e32 32, v118
	s_cbranch_execz .LBB99_143
; %bb.140:
	v_dual_mov_b32 v1, 0 :: v_dual_add_nc_u32 v8, 0x240, v13
	v_dual_mov_b32 v2, 0 :: v_dual_add_nc_u32 v7, -1, v118
	v_or_b32_e32 v9, 8, v14
	s_mov_b32 s3, 0
	s_delay_alu instid0(VALU_DEP_2)
	v_dual_mov_b32 v4, v2 :: v_dual_mov_b32 v3, v1
	.p2align	6
.LBB99_141:                             ; =>This Inner Loop Header: Depth=1
	scratch_load_b128 v[15:18], v9, off offset:-8
	ds_load_b128 v[19:22], v8
	v_add_nc_u32_e32 v7, 1, v7
	v_add_nc_u32_e32 v8, 16, v8
	;; [unrolled: 1-line block ×3, first 2 shown]
	s_delay_alu instid0(VALU_DEP_3) | instskip(SKIP_4) | instid1(VALU_DEP_2)
	v_cmp_lt_u32_e32 vcc_lo, 30, v7
	s_or_b32 s3, vcc_lo, s3
	s_waitcnt vmcnt(0) lgkmcnt(0)
	v_mul_f64 v[10:11], v[21:22], v[17:18]
	v_mul_f64 v[17:18], v[19:20], v[17:18]
	v_fma_f64 v[10:11], v[19:20], v[15:16], -v[10:11]
	s_delay_alu instid0(VALU_DEP_2) | instskip(NEXT) | instid1(VALU_DEP_2)
	v_fma_f64 v[15:16], v[21:22], v[15:16], v[17:18]
	v_add_f64 v[3:4], v[3:4], v[10:11]
	s_delay_alu instid0(VALU_DEP_2)
	v_add_f64 v[1:2], v[1:2], v[15:16]
	s_and_not1_b32 exec_lo, exec_lo, s3
	s_cbranch_execnz .LBB99_141
; %bb.142:
	s_or_b32 exec_lo, exec_lo, s3
	v_mov_b32_e32 v7, 0
	ds_load_b128 v[7:10], v7 offset:512
	s_waitcnt lgkmcnt(0)
	v_mul_f64 v[11:12], v[1:2], v[9:10]
	v_mul_f64 v[15:16], v[3:4], v[9:10]
	s_delay_alu instid0(VALU_DEP_2) | instskip(NEXT) | instid1(VALU_DEP_2)
	v_fma_f64 v[9:10], v[3:4], v[7:8], -v[11:12]
	v_fma_f64 v[11:12], v[1:2], v[7:8], v[15:16]
	scratch_store_b128 off, v[9:12], off offset:512
.LBB99_143:
	s_or_b32 exec_lo, exec_lo, s2
	s_waitcnt_vscnt null, 0x0
	s_barrier
	buffer_gl0_inv
	scratch_load_b128 v[1:4], v128, off
	s_mov_b32 s2, exec_lo
	s_waitcnt vmcnt(0)
	ds_store_b128 v5, v[1:4]
	s_waitcnt lgkmcnt(0)
	s_barrier
	buffer_gl0_inv
	v_cmpx_gt_u32_e32 33, v118
	s_cbranch_execz .LBB99_147
; %bb.144:
	v_dual_mov_b32 v1, 0 :: v_dual_add_nc_u32 v8, 0x240, v13
	v_dual_mov_b32 v2, 0 :: v_dual_add_nc_u32 v7, -1, v118
	v_or_b32_e32 v9, 8, v14
	s_mov_b32 s3, 0
	s_delay_alu instid0(VALU_DEP_2)
	v_dual_mov_b32 v4, v2 :: v_dual_mov_b32 v3, v1
	.p2align	6
.LBB99_145:                             ; =>This Inner Loop Header: Depth=1
	scratch_load_b128 v[15:18], v9, off offset:-8
	ds_load_b128 v[19:22], v8
	v_add_nc_u32_e32 v7, 1, v7
	v_add_nc_u32_e32 v8, 16, v8
	;; [unrolled: 1-line block ×3, first 2 shown]
	s_delay_alu instid0(VALU_DEP_3) | instskip(SKIP_4) | instid1(VALU_DEP_2)
	v_cmp_lt_u32_e32 vcc_lo, 31, v7
	s_or_b32 s3, vcc_lo, s3
	s_waitcnt vmcnt(0) lgkmcnt(0)
	v_mul_f64 v[10:11], v[21:22], v[17:18]
	v_mul_f64 v[17:18], v[19:20], v[17:18]
	v_fma_f64 v[10:11], v[19:20], v[15:16], -v[10:11]
	s_delay_alu instid0(VALU_DEP_2) | instskip(NEXT) | instid1(VALU_DEP_2)
	v_fma_f64 v[15:16], v[21:22], v[15:16], v[17:18]
	v_add_f64 v[3:4], v[3:4], v[10:11]
	s_delay_alu instid0(VALU_DEP_2)
	v_add_f64 v[1:2], v[1:2], v[15:16]
	s_and_not1_b32 exec_lo, exec_lo, s3
	s_cbranch_execnz .LBB99_145
; %bb.146:
	s_or_b32 exec_lo, exec_lo, s3
	v_mov_b32_e32 v7, 0
	ds_load_b128 v[7:10], v7 offset:528
	s_waitcnt lgkmcnt(0)
	v_mul_f64 v[11:12], v[1:2], v[9:10]
	v_mul_f64 v[15:16], v[3:4], v[9:10]
	s_delay_alu instid0(VALU_DEP_2) | instskip(NEXT) | instid1(VALU_DEP_2)
	v_fma_f64 v[9:10], v[3:4], v[7:8], -v[11:12]
	v_fma_f64 v[11:12], v[1:2], v[7:8], v[15:16]
	scratch_store_b128 off, v[9:12], off offset:528
.LBB99_147:
	s_or_b32 exec_lo, exec_lo, s2
	s_waitcnt_vscnt null, 0x0
	s_barrier
	buffer_gl0_inv
	scratch_load_b128 v[1:4], v124, off
	s_mov_b32 s2, exec_lo
	s_waitcnt vmcnt(0)
	ds_store_b128 v5, v[1:4]
	s_waitcnt lgkmcnt(0)
	s_barrier
	buffer_gl0_inv
	v_cmpx_gt_u32_e32 34, v118
	s_cbranch_execz .LBB99_151
; %bb.148:
	v_dual_mov_b32 v1, 0 :: v_dual_add_nc_u32 v8, 0x240, v13
	v_dual_mov_b32 v2, 0 :: v_dual_add_nc_u32 v7, -1, v118
	v_or_b32_e32 v9, 8, v14
	s_mov_b32 s3, 0
	s_delay_alu instid0(VALU_DEP_2)
	v_dual_mov_b32 v4, v2 :: v_dual_mov_b32 v3, v1
	.p2align	6
.LBB99_149:                             ; =>This Inner Loop Header: Depth=1
	scratch_load_b128 v[10:13], v9, off offset:-8
	ds_load_b128 v[15:18], v8
	v_add_nc_u32_e32 v7, 1, v7
	v_add_nc_u32_e32 v8, 16, v8
	;; [unrolled: 1-line block ×3, first 2 shown]
	s_delay_alu instid0(VALU_DEP_3) | instskip(SKIP_4) | instid1(VALU_DEP_2)
	v_cmp_lt_u32_e32 vcc_lo, 32, v7
	s_or_b32 s3, vcc_lo, s3
	s_waitcnt vmcnt(0) lgkmcnt(0)
	v_mul_f64 v[19:20], v[17:18], v[12:13]
	v_mul_f64 v[12:13], v[15:16], v[12:13]
	v_fma_f64 v[15:16], v[15:16], v[10:11], -v[19:20]
	s_delay_alu instid0(VALU_DEP_2) | instskip(NEXT) | instid1(VALU_DEP_2)
	v_fma_f64 v[10:11], v[17:18], v[10:11], v[12:13]
	v_add_f64 v[3:4], v[3:4], v[15:16]
	s_delay_alu instid0(VALU_DEP_2)
	v_add_f64 v[1:2], v[1:2], v[10:11]
	s_and_not1_b32 exec_lo, exec_lo, s3
	s_cbranch_execnz .LBB99_149
; %bb.150:
	s_or_b32 exec_lo, exec_lo, s3
	v_mov_b32_e32 v7, 0
	ds_load_b128 v[7:10], v7 offset:544
	s_waitcnt lgkmcnt(0)
	v_mul_f64 v[11:12], v[1:2], v[9:10]
	v_mul_f64 v[15:16], v[3:4], v[9:10]
	s_delay_alu instid0(VALU_DEP_2) | instskip(NEXT) | instid1(VALU_DEP_2)
	v_fma_f64 v[9:10], v[3:4], v[7:8], -v[11:12]
	v_fma_f64 v[11:12], v[1:2], v[7:8], v[15:16]
	scratch_store_b128 off, v[9:12], off offset:544
.LBB99_151:
	s_or_b32 exec_lo, exec_lo, s2
	s_waitcnt_vscnt null, 0x0
	s_barrier
	buffer_gl0_inv
	scratch_load_b128 v[1:4], v123, off
	s_mov_b32 s2, exec_lo
	s_waitcnt vmcnt(0)
	ds_store_b128 v5, v[1:4]
	s_waitcnt lgkmcnt(0)
	s_barrier
	buffer_gl0_inv
	v_cmpx_ne_u32_e32 35, v118
	s_cbranch_execz .LBB99_155
; %bb.152:
	v_mov_b32_e32 v1, 0
	v_mov_b32_e32 v2, 0
	v_or_b32_e32 v7, 8, v14
	s_mov_b32 s3, 0
	s_delay_alu instid0(VALU_DEP_2)
	v_dual_mov_b32 v4, v2 :: v_dual_mov_b32 v3, v1
	.p2align	6
.LBB99_153:                             ; =>This Inner Loop Header: Depth=1
	scratch_load_b128 v[8:11], v7, off offset:-8
	ds_load_b128 v[12:15], v5
	v_add_nc_u32_e32 v6, 1, v6
	v_add_nc_u32_e32 v5, 16, v5
	;; [unrolled: 1-line block ×3, first 2 shown]
	s_delay_alu instid0(VALU_DEP_3) | instskip(SKIP_4) | instid1(VALU_DEP_2)
	v_cmp_lt_u32_e32 vcc_lo, 33, v6
	s_or_b32 s3, vcc_lo, s3
	s_waitcnt vmcnt(0) lgkmcnt(0)
	v_mul_f64 v[16:17], v[14:15], v[10:11]
	v_mul_f64 v[10:11], v[12:13], v[10:11]
	v_fma_f64 v[12:13], v[12:13], v[8:9], -v[16:17]
	s_delay_alu instid0(VALU_DEP_2) | instskip(NEXT) | instid1(VALU_DEP_2)
	v_fma_f64 v[8:9], v[14:15], v[8:9], v[10:11]
	v_add_f64 v[3:4], v[3:4], v[12:13]
	s_delay_alu instid0(VALU_DEP_2)
	v_add_f64 v[1:2], v[1:2], v[8:9]
	s_and_not1_b32 exec_lo, exec_lo, s3
	s_cbranch_execnz .LBB99_153
; %bb.154:
	s_or_b32 exec_lo, exec_lo, s3
	v_mov_b32_e32 v5, 0
	ds_load_b128 v[5:8], v5 offset:560
	s_waitcnt lgkmcnt(0)
	v_mul_f64 v[9:10], v[1:2], v[7:8]
	v_mul_f64 v[7:8], v[3:4], v[7:8]
	s_delay_alu instid0(VALU_DEP_2) | instskip(NEXT) | instid1(VALU_DEP_2)
	v_fma_f64 v[3:4], v[3:4], v[5:6], -v[9:10]
	v_fma_f64 v[5:6], v[1:2], v[5:6], v[7:8]
	scratch_store_b128 off, v[3:6], off offset:560
.LBB99_155:
	s_or_b32 exec_lo, exec_lo, s2
	s_mov_b32 s3, -1
	s_waitcnt_vscnt null, 0x0
	s_barrier
	buffer_gl0_inv
.LBB99_156:
	s_and_b32 vcc_lo, exec_lo, s3
	s_cbranch_vccz .LBB99_158
; %bb.157:
	s_lshl_b64 s[2:3], s[10:11], 2
	v_mov_b32_e32 v1, 0
	s_add_u32 s2, s6, s2
	s_addc_u32 s3, s7, s3
	global_load_b32 v1, v1, s[2:3]
	s_waitcnt vmcnt(0)
	v_cmp_ne_u32_e32 vcc_lo, 0, v1
	s_cbranch_vccz .LBB99_159
.LBB99_158:
	s_endpgm
.LBB99_159:
	v_lshl_add_u32 v154, v118, 4, 0x240
	s_mov_b32 s2, exec_lo
	v_cmpx_eq_u32_e32 35, v118
	s_cbranch_execz .LBB99_161
; %bb.160:
	scratch_load_b128 v[1:4], v124, off
	v_mov_b32_e32 v5, 0
	s_delay_alu instid0(VALU_DEP_1)
	v_mov_b32_e32 v6, v5
	v_mov_b32_e32 v7, v5
	;; [unrolled: 1-line block ×3, first 2 shown]
	scratch_store_b128 off, v[5:8], off offset:544
	s_waitcnt vmcnt(0)
	ds_store_b128 v154, v[1:4]
.LBB99_161:
	s_or_b32 exec_lo, exec_lo, s2
	s_waitcnt lgkmcnt(0)
	s_waitcnt_vscnt null, 0x0
	s_barrier
	buffer_gl0_inv
	s_clause 0x1
	scratch_load_b128 v[2:5], off, off offset:560
	scratch_load_b128 v[6:9], off, off offset:544
	v_mov_b32_e32 v1, 0
	s_mov_b32 s2, exec_lo
	ds_load_b128 v[10:13], v1 offset:1136
	s_waitcnt vmcnt(1) lgkmcnt(0)
	v_mul_f64 v[14:15], v[12:13], v[4:5]
	v_mul_f64 v[4:5], v[10:11], v[4:5]
	s_delay_alu instid0(VALU_DEP_2) | instskip(NEXT) | instid1(VALU_DEP_2)
	v_fma_f64 v[10:11], v[10:11], v[2:3], -v[14:15]
	v_fma_f64 v[2:3], v[12:13], v[2:3], v[4:5]
	s_delay_alu instid0(VALU_DEP_2) | instskip(NEXT) | instid1(VALU_DEP_2)
	v_add_f64 v[4:5], v[10:11], 0
	v_add_f64 v[10:11], v[2:3], 0
	s_waitcnt vmcnt(0)
	s_delay_alu instid0(VALU_DEP_2) | instskip(NEXT) | instid1(VALU_DEP_2)
	v_add_f64 v[2:3], v[6:7], -v[4:5]
	v_add_f64 v[4:5], v[8:9], -v[10:11]
	scratch_store_b128 off, v[2:5], off offset:544
	v_cmpx_lt_u32_e32 33, v118
	s_cbranch_execz .LBB99_163
; %bb.162:
	scratch_load_b128 v[5:8], v128, off
	v_mov_b32_e32 v2, v1
	v_mov_b32_e32 v3, v1
	;; [unrolled: 1-line block ×3, first 2 shown]
	scratch_store_b128 off, v[1:4], off offset:528
	s_waitcnt vmcnt(0)
	ds_store_b128 v154, v[5:8]
.LBB99_163:
	s_or_b32 exec_lo, exec_lo, s2
	s_waitcnt lgkmcnt(0)
	s_waitcnt_vscnt null, 0x0
	s_barrier
	buffer_gl0_inv
	s_clause 0x2
	scratch_load_b128 v[2:5], off, off offset:544
	scratch_load_b128 v[6:9], off, off offset:560
	;; [unrolled: 1-line block ×3, first 2 shown]
	ds_load_b128 v[14:17], v1 offset:1120
	ds_load_b128 v[18:21], v1 offset:1136
	s_mov_b32 s2, exec_lo
	s_waitcnt vmcnt(2) lgkmcnt(1)
	v_mul_f64 v[22:23], v[16:17], v[4:5]
	v_mul_f64 v[4:5], v[14:15], v[4:5]
	s_waitcnt vmcnt(1) lgkmcnt(0)
	v_mul_f64 v[24:25], v[18:19], v[8:9]
	v_mul_f64 v[8:9], v[20:21], v[8:9]
	s_delay_alu instid0(VALU_DEP_4) | instskip(NEXT) | instid1(VALU_DEP_4)
	v_fma_f64 v[14:15], v[14:15], v[2:3], -v[22:23]
	v_fma_f64 v[1:2], v[16:17], v[2:3], v[4:5]
	s_delay_alu instid0(VALU_DEP_4) | instskip(NEXT) | instid1(VALU_DEP_4)
	v_fma_f64 v[3:4], v[20:21], v[6:7], v[24:25]
	v_fma_f64 v[5:6], v[18:19], v[6:7], -v[8:9]
	s_delay_alu instid0(VALU_DEP_4) | instskip(NEXT) | instid1(VALU_DEP_4)
	v_add_f64 v[7:8], v[14:15], 0
	v_add_f64 v[1:2], v[1:2], 0
	s_delay_alu instid0(VALU_DEP_2) | instskip(NEXT) | instid1(VALU_DEP_2)
	v_add_f64 v[5:6], v[7:8], v[5:6]
	v_add_f64 v[3:4], v[1:2], v[3:4]
	s_waitcnt vmcnt(0)
	s_delay_alu instid0(VALU_DEP_2) | instskip(NEXT) | instid1(VALU_DEP_2)
	v_add_f64 v[1:2], v[10:11], -v[5:6]
	v_add_f64 v[3:4], v[12:13], -v[3:4]
	scratch_store_b128 off, v[1:4], off offset:528
	v_cmpx_lt_u32_e32 32, v118
	s_cbranch_execz .LBB99_165
; %bb.164:
	scratch_load_b128 v[1:4], v131, off
	v_mov_b32_e32 v5, 0
	s_delay_alu instid0(VALU_DEP_1)
	v_mov_b32_e32 v6, v5
	v_mov_b32_e32 v7, v5
	;; [unrolled: 1-line block ×3, first 2 shown]
	scratch_store_b128 off, v[5:8], off offset:512
	s_waitcnt vmcnt(0)
	ds_store_b128 v154, v[1:4]
.LBB99_165:
	s_or_b32 exec_lo, exec_lo, s2
	s_waitcnt lgkmcnt(0)
	s_waitcnt_vscnt null, 0x0
	s_barrier
	buffer_gl0_inv
	s_clause 0x3
	scratch_load_b128 v[2:5], off, off offset:528
	scratch_load_b128 v[6:9], off, off offset:544
	;; [unrolled: 1-line block ×4, first 2 shown]
	v_mov_b32_e32 v1, 0
	ds_load_b128 v[18:21], v1 offset:1104
	ds_load_b128 v[22:25], v1 offset:1120
	s_mov_b32 s2, exec_lo
	s_waitcnt vmcnt(3) lgkmcnt(1)
	v_mul_f64 v[26:27], v[20:21], v[4:5]
	v_mul_f64 v[4:5], v[18:19], v[4:5]
	s_waitcnt vmcnt(2) lgkmcnt(0)
	v_mul_f64 v[28:29], v[22:23], v[8:9]
	v_mul_f64 v[8:9], v[24:25], v[8:9]
	s_delay_alu instid0(VALU_DEP_4) | instskip(NEXT) | instid1(VALU_DEP_4)
	v_fma_f64 v[18:19], v[18:19], v[2:3], -v[26:27]
	v_fma_f64 v[20:21], v[20:21], v[2:3], v[4:5]
	ds_load_b128 v[2:5], v1 offset:1136
	v_fma_f64 v[24:25], v[24:25], v[6:7], v[28:29]
	v_fma_f64 v[6:7], v[22:23], v[6:7], -v[8:9]
	s_waitcnt vmcnt(1) lgkmcnt(0)
	v_mul_f64 v[26:27], v[2:3], v[12:13]
	v_mul_f64 v[12:13], v[4:5], v[12:13]
	v_add_f64 v[8:9], v[18:19], 0
	v_add_f64 v[18:19], v[20:21], 0
	s_delay_alu instid0(VALU_DEP_4) | instskip(NEXT) | instid1(VALU_DEP_4)
	v_fma_f64 v[4:5], v[4:5], v[10:11], v[26:27]
	v_fma_f64 v[2:3], v[2:3], v[10:11], -v[12:13]
	s_delay_alu instid0(VALU_DEP_4) | instskip(NEXT) | instid1(VALU_DEP_4)
	v_add_f64 v[6:7], v[8:9], v[6:7]
	v_add_f64 v[8:9], v[18:19], v[24:25]
	s_delay_alu instid0(VALU_DEP_2) | instskip(NEXT) | instid1(VALU_DEP_2)
	v_add_f64 v[2:3], v[6:7], v[2:3]
	v_add_f64 v[4:5], v[8:9], v[4:5]
	s_waitcnt vmcnt(0)
	s_delay_alu instid0(VALU_DEP_2) | instskip(NEXT) | instid1(VALU_DEP_2)
	v_add_f64 v[2:3], v[14:15], -v[2:3]
	v_add_f64 v[4:5], v[16:17], -v[4:5]
	scratch_store_b128 off, v[2:5], off offset:512
	v_cmpx_lt_u32_e32 31, v118
	s_cbranch_execz .LBB99_167
; %bb.166:
	scratch_load_b128 v[5:8], v136, off
	v_mov_b32_e32 v2, v1
	v_mov_b32_e32 v3, v1
	;; [unrolled: 1-line block ×3, first 2 shown]
	scratch_store_b128 off, v[1:4], off offset:496
	s_waitcnt vmcnt(0)
	ds_store_b128 v154, v[5:8]
.LBB99_167:
	s_or_b32 exec_lo, exec_lo, s2
	s_waitcnt lgkmcnt(0)
	s_waitcnt_vscnt null, 0x0
	s_barrier
	buffer_gl0_inv
	s_clause 0x4
	scratch_load_b128 v[2:5], off, off offset:512
	scratch_load_b128 v[6:9], off, off offset:528
	;; [unrolled: 1-line block ×5, first 2 shown]
	ds_load_b128 v[22:25], v1 offset:1088
	ds_load_b128 v[26:29], v1 offset:1104
	s_mov_b32 s2, exec_lo
	s_waitcnt vmcnt(4) lgkmcnt(1)
	v_mul_f64 v[30:31], v[24:25], v[4:5]
	v_mul_f64 v[4:5], v[22:23], v[4:5]
	s_waitcnt vmcnt(3) lgkmcnt(0)
	v_mul_f64 v[32:33], v[26:27], v[8:9]
	v_mul_f64 v[8:9], v[28:29], v[8:9]
	s_delay_alu instid0(VALU_DEP_4) | instskip(NEXT) | instid1(VALU_DEP_4)
	v_fma_f64 v[30:31], v[22:23], v[2:3], -v[30:31]
	v_fma_f64 v[34:35], v[24:25], v[2:3], v[4:5]
	ds_load_b128 v[2:5], v1 offset:1120
	ds_load_b128 v[22:25], v1 offset:1136
	v_fma_f64 v[28:29], v[28:29], v[6:7], v[32:33]
	v_fma_f64 v[6:7], v[26:27], v[6:7], -v[8:9]
	s_waitcnt vmcnt(2) lgkmcnt(1)
	v_mul_f64 v[36:37], v[2:3], v[12:13]
	v_mul_f64 v[12:13], v[4:5], v[12:13]
	v_add_f64 v[8:9], v[30:31], 0
	v_add_f64 v[26:27], v[34:35], 0
	s_waitcnt vmcnt(1) lgkmcnt(0)
	v_mul_f64 v[30:31], v[22:23], v[16:17]
	v_mul_f64 v[16:17], v[24:25], v[16:17]
	v_fma_f64 v[4:5], v[4:5], v[10:11], v[36:37]
	v_fma_f64 v[1:2], v[2:3], v[10:11], -v[12:13]
	v_add_f64 v[6:7], v[8:9], v[6:7]
	v_add_f64 v[8:9], v[26:27], v[28:29]
	v_fma_f64 v[10:11], v[24:25], v[14:15], v[30:31]
	v_fma_f64 v[12:13], v[22:23], v[14:15], -v[16:17]
	s_delay_alu instid0(VALU_DEP_4) | instskip(NEXT) | instid1(VALU_DEP_4)
	v_add_f64 v[1:2], v[6:7], v[1:2]
	v_add_f64 v[3:4], v[8:9], v[4:5]
	s_delay_alu instid0(VALU_DEP_2) | instskip(NEXT) | instid1(VALU_DEP_2)
	v_add_f64 v[1:2], v[1:2], v[12:13]
	v_add_f64 v[3:4], v[3:4], v[10:11]
	s_waitcnt vmcnt(0)
	s_delay_alu instid0(VALU_DEP_2) | instskip(NEXT) | instid1(VALU_DEP_2)
	v_add_f64 v[1:2], v[18:19], -v[1:2]
	v_add_f64 v[3:4], v[20:21], -v[3:4]
	scratch_store_b128 off, v[1:4], off offset:496
	v_cmpx_lt_u32_e32 30, v118
	s_cbranch_execz .LBB99_169
; %bb.168:
	scratch_load_b128 v[1:4], v139, off
	v_mov_b32_e32 v5, 0
	s_delay_alu instid0(VALU_DEP_1)
	v_mov_b32_e32 v6, v5
	v_mov_b32_e32 v7, v5
	;; [unrolled: 1-line block ×3, first 2 shown]
	scratch_store_b128 off, v[5:8], off offset:480
	s_waitcnt vmcnt(0)
	ds_store_b128 v154, v[1:4]
.LBB99_169:
	s_or_b32 exec_lo, exec_lo, s2
	s_waitcnt lgkmcnt(0)
	s_waitcnt_vscnt null, 0x0
	s_barrier
	buffer_gl0_inv
	s_clause 0x5
	scratch_load_b128 v[2:5], off, off offset:496
	scratch_load_b128 v[6:9], off, off offset:512
	;; [unrolled: 1-line block ×6, first 2 shown]
	v_mov_b32_e32 v1, 0
	ds_load_b128 v[26:29], v1 offset:1072
	ds_load_b128 v[30:33], v1 offset:1088
	s_mov_b32 s2, exec_lo
	s_waitcnt vmcnt(5) lgkmcnt(1)
	v_mul_f64 v[34:35], v[28:29], v[4:5]
	v_mul_f64 v[4:5], v[26:27], v[4:5]
	s_waitcnt vmcnt(4) lgkmcnt(0)
	v_mul_f64 v[36:37], v[30:31], v[8:9]
	v_mul_f64 v[8:9], v[32:33], v[8:9]
	s_delay_alu instid0(VALU_DEP_4) | instskip(NEXT) | instid1(VALU_DEP_4)
	v_fma_f64 v[34:35], v[26:27], v[2:3], -v[34:35]
	v_fma_f64 v[38:39], v[28:29], v[2:3], v[4:5]
	ds_load_b128 v[2:5], v1 offset:1104
	ds_load_b128 v[26:29], v1 offset:1120
	v_fma_f64 v[32:33], v[32:33], v[6:7], v[36:37]
	v_fma_f64 v[6:7], v[30:31], v[6:7], -v[8:9]
	s_waitcnt vmcnt(3) lgkmcnt(1)
	v_mul_f64 v[40:41], v[2:3], v[12:13]
	v_mul_f64 v[12:13], v[4:5], v[12:13]
	v_add_f64 v[8:9], v[34:35], 0
	v_add_f64 v[30:31], v[38:39], 0
	s_waitcnt vmcnt(2) lgkmcnt(0)
	v_mul_f64 v[34:35], v[26:27], v[16:17]
	v_mul_f64 v[16:17], v[28:29], v[16:17]
	v_fma_f64 v[36:37], v[4:5], v[10:11], v[40:41]
	v_fma_f64 v[10:11], v[2:3], v[10:11], -v[12:13]
	ds_load_b128 v[2:5], v1 offset:1136
	v_add_f64 v[6:7], v[8:9], v[6:7]
	v_add_f64 v[8:9], v[30:31], v[32:33]
	v_fma_f64 v[28:29], v[28:29], v[14:15], v[34:35]
	v_fma_f64 v[14:15], v[26:27], v[14:15], -v[16:17]
	s_waitcnt vmcnt(1) lgkmcnt(0)
	v_mul_f64 v[12:13], v[2:3], v[20:21]
	v_mul_f64 v[20:21], v[4:5], v[20:21]
	v_add_f64 v[6:7], v[6:7], v[10:11]
	v_add_f64 v[8:9], v[8:9], v[36:37]
	s_delay_alu instid0(VALU_DEP_4) | instskip(NEXT) | instid1(VALU_DEP_4)
	v_fma_f64 v[4:5], v[4:5], v[18:19], v[12:13]
	v_fma_f64 v[2:3], v[2:3], v[18:19], -v[20:21]
	s_delay_alu instid0(VALU_DEP_4) | instskip(NEXT) | instid1(VALU_DEP_4)
	v_add_f64 v[6:7], v[6:7], v[14:15]
	v_add_f64 v[8:9], v[8:9], v[28:29]
	s_delay_alu instid0(VALU_DEP_2) | instskip(NEXT) | instid1(VALU_DEP_2)
	v_add_f64 v[2:3], v[6:7], v[2:3]
	v_add_f64 v[4:5], v[8:9], v[4:5]
	s_waitcnt vmcnt(0)
	s_delay_alu instid0(VALU_DEP_2) | instskip(NEXT) | instid1(VALU_DEP_2)
	v_add_f64 v[2:3], v[22:23], -v[2:3]
	v_add_f64 v[4:5], v[24:25], -v[4:5]
	scratch_store_b128 off, v[2:5], off offset:480
	v_cmpx_lt_u32_e32 29, v118
	s_cbranch_execz .LBB99_171
; %bb.170:
	scratch_load_b128 v[5:8], v144, off
	v_mov_b32_e32 v2, v1
	v_mov_b32_e32 v3, v1
	;; [unrolled: 1-line block ×3, first 2 shown]
	scratch_store_b128 off, v[1:4], off offset:464
	s_waitcnt vmcnt(0)
	ds_store_b128 v154, v[5:8]
.LBB99_171:
	s_or_b32 exec_lo, exec_lo, s2
	s_waitcnt lgkmcnt(0)
	s_waitcnt_vscnt null, 0x0
	s_barrier
	buffer_gl0_inv
	s_clause 0x5
	scratch_load_b128 v[2:5], off, off offset:480
	scratch_load_b128 v[6:9], off, off offset:496
	scratch_load_b128 v[10:13], off, off offset:512
	scratch_load_b128 v[14:17], off, off offset:528
	scratch_load_b128 v[18:21], off, off offset:544
	scratch_load_b128 v[22:25], off, off offset:560
	ds_load_b128 v[26:29], v1 offset:1056
	ds_load_b128 v[34:37], v1 offset:1072
	scratch_load_b128 v[30:33], off, off offset:464
	s_mov_b32 s2, exec_lo
	s_waitcnt vmcnt(6) lgkmcnt(1)
	v_mul_f64 v[38:39], v[28:29], v[4:5]
	v_mul_f64 v[4:5], v[26:27], v[4:5]
	s_waitcnt vmcnt(5) lgkmcnt(0)
	v_mul_f64 v[40:41], v[34:35], v[8:9]
	v_mul_f64 v[8:9], v[36:37], v[8:9]
	s_delay_alu instid0(VALU_DEP_4) | instskip(NEXT) | instid1(VALU_DEP_4)
	v_fma_f64 v[38:39], v[26:27], v[2:3], -v[38:39]
	v_fma_f64 v[42:43], v[28:29], v[2:3], v[4:5]
	ds_load_b128 v[2:5], v1 offset:1088
	ds_load_b128 v[26:29], v1 offset:1104
	v_fma_f64 v[36:37], v[36:37], v[6:7], v[40:41]
	v_fma_f64 v[6:7], v[34:35], v[6:7], -v[8:9]
	s_waitcnt vmcnt(4) lgkmcnt(1)
	v_mul_f64 v[44:45], v[2:3], v[12:13]
	v_mul_f64 v[12:13], v[4:5], v[12:13]
	v_add_f64 v[8:9], v[38:39], 0
	v_add_f64 v[34:35], v[42:43], 0
	s_waitcnt vmcnt(3) lgkmcnt(0)
	v_mul_f64 v[38:39], v[26:27], v[16:17]
	v_mul_f64 v[16:17], v[28:29], v[16:17]
	v_fma_f64 v[40:41], v[4:5], v[10:11], v[44:45]
	v_fma_f64 v[10:11], v[2:3], v[10:11], -v[12:13]
	v_add_f64 v[12:13], v[8:9], v[6:7]
	v_add_f64 v[34:35], v[34:35], v[36:37]
	ds_load_b128 v[2:5], v1 offset:1120
	ds_load_b128 v[6:9], v1 offset:1136
	v_fma_f64 v[28:29], v[28:29], v[14:15], v[38:39]
	v_fma_f64 v[14:15], v[26:27], v[14:15], -v[16:17]
	s_waitcnt vmcnt(2) lgkmcnt(1)
	v_mul_f64 v[36:37], v[2:3], v[20:21]
	v_mul_f64 v[20:21], v[4:5], v[20:21]
	s_waitcnt vmcnt(1) lgkmcnt(0)
	v_mul_f64 v[16:17], v[6:7], v[24:25]
	v_mul_f64 v[24:25], v[8:9], v[24:25]
	v_add_f64 v[10:11], v[12:13], v[10:11]
	v_add_f64 v[12:13], v[34:35], v[40:41]
	v_fma_f64 v[4:5], v[4:5], v[18:19], v[36:37]
	v_fma_f64 v[1:2], v[2:3], v[18:19], -v[20:21]
	v_fma_f64 v[8:9], v[8:9], v[22:23], v[16:17]
	v_fma_f64 v[6:7], v[6:7], v[22:23], -v[24:25]
	v_add_f64 v[10:11], v[10:11], v[14:15]
	v_add_f64 v[12:13], v[12:13], v[28:29]
	s_delay_alu instid0(VALU_DEP_2) | instskip(NEXT) | instid1(VALU_DEP_2)
	v_add_f64 v[1:2], v[10:11], v[1:2]
	v_add_f64 v[3:4], v[12:13], v[4:5]
	s_delay_alu instid0(VALU_DEP_2) | instskip(NEXT) | instid1(VALU_DEP_2)
	v_add_f64 v[1:2], v[1:2], v[6:7]
	v_add_f64 v[3:4], v[3:4], v[8:9]
	s_waitcnt vmcnt(0)
	s_delay_alu instid0(VALU_DEP_2) | instskip(NEXT) | instid1(VALU_DEP_2)
	v_add_f64 v[1:2], v[30:31], -v[1:2]
	v_add_f64 v[3:4], v[32:33], -v[3:4]
	scratch_store_b128 off, v[1:4], off offset:464
	v_cmpx_lt_u32_e32 28, v118
	s_cbranch_execz .LBB99_173
; %bb.172:
	scratch_load_b128 v[1:4], v145, off
	v_mov_b32_e32 v5, 0
	s_delay_alu instid0(VALU_DEP_1)
	v_mov_b32_e32 v6, v5
	v_mov_b32_e32 v7, v5
	;; [unrolled: 1-line block ×3, first 2 shown]
	scratch_store_b128 off, v[5:8], off offset:448
	s_waitcnt vmcnt(0)
	ds_store_b128 v154, v[1:4]
.LBB99_173:
	s_or_b32 exec_lo, exec_lo, s2
	s_waitcnt lgkmcnt(0)
	s_waitcnt_vscnt null, 0x0
	s_barrier
	buffer_gl0_inv
	s_clause 0x6
	scratch_load_b128 v[2:5], off, off offset:464
	scratch_load_b128 v[6:9], off, off offset:480
	;; [unrolled: 1-line block ×7, first 2 shown]
	v_mov_b32_e32 v1, 0
	scratch_load_b128 v[34:37], off, off offset:448
	s_mov_b32 s2, exec_lo
	ds_load_b128 v[30:33], v1 offset:1040
	ds_load_b128 v[38:41], v1 offset:1056
	s_waitcnt vmcnt(7) lgkmcnt(1)
	v_mul_f64 v[42:43], v[32:33], v[4:5]
	v_mul_f64 v[4:5], v[30:31], v[4:5]
	s_waitcnt vmcnt(6) lgkmcnt(0)
	v_mul_f64 v[44:45], v[38:39], v[8:9]
	v_mul_f64 v[8:9], v[40:41], v[8:9]
	s_delay_alu instid0(VALU_DEP_4) | instskip(NEXT) | instid1(VALU_DEP_4)
	v_fma_f64 v[42:43], v[30:31], v[2:3], -v[42:43]
	v_fma_f64 v[155:156], v[32:33], v[2:3], v[4:5]
	ds_load_b128 v[2:5], v1 offset:1072
	ds_load_b128 v[30:33], v1 offset:1088
	v_fma_f64 v[40:41], v[40:41], v[6:7], v[44:45]
	v_fma_f64 v[6:7], v[38:39], v[6:7], -v[8:9]
	s_waitcnt vmcnt(5) lgkmcnt(1)
	v_mul_f64 v[157:158], v[2:3], v[12:13]
	v_mul_f64 v[12:13], v[4:5], v[12:13]
	v_add_f64 v[8:9], v[42:43], 0
	v_add_f64 v[38:39], v[155:156], 0
	s_waitcnt vmcnt(4) lgkmcnt(0)
	v_mul_f64 v[42:43], v[30:31], v[16:17]
	v_mul_f64 v[16:17], v[32:33], v[16:17]
	v_fma_f64 v[44:45], v[4:5], v[10:11], v[157:158]
	v_fma_f64 v[10:11], v[2:3], v[10:11], -v[12:13]
	v_add_f64 v[12:13], v[8:9], v[6:7]
	v_add_f64 v[38:39], v[38:39], v[40:41]
	ds_load_b128 v[2:5], v1 offset:1104
	ds_load_b128 v[6:9], v1 offset:1120
	v_fma_f64 v[32:33], v[32:33], v[14:15], v[42:43]
	v_fma_f64 v[14:15], v[30:31], v[14:15], -v[16:17]
	s_waitcnt vmcnt(3) lgkmcnt(1)
	v_mul_f64 v[40:41], v[2:3], v[20:21]
	v_mul_f64 v[20:21], v[4:5], v[20:21]
	s_waitcnt vmcnt(2) lgkmcnt(0)
	v_mul_f64 v[16:17], v[6:7], v[24:25]
	v_mul_f64 v[24:25], v[8:9], v[24:25]
	v_add_f64 v[10:11], v[12:13], v[10:11]
	v_add_f64 v[12:13], v[38:39], v[44:45]
	v_fma_f64 v[30:31], v[4:5], v[18:19], v[40:41]
	v_fma_f64 v[18:19], v[2:3], v[18:19], -v[20:21]
	ds_load_b128 v[2:5], v1 offset:1136
	v_fma_f64 v[8:9], v[8:9], v[22:23], v[16:17]
	v_fma_f64 v[6:7], v[6:7], v[22:23], -v[24:25]
	v_add_f64 v[10:11], v[10:11], v[14:15]
	v_add_f64 v[12:13], v[12:13], v[32:33]
	s_waitcnt vmcnt(1) lgkmcnt(0)
	v_mul_f64 v[14:15], v[2:3], v[28:29]
	v_mul_f64 v[20:21], v[4:5], v[28:29]
	s_delay_alu instid0(VALU_DEP_4) | instskip(NEXT) | instid1(VALU_DEP_4)
	v_add_f64 v[10:11], v[10:11], v[18:19]
	v_add_f64 v[12:13], v[12:13], v[30:31]
	s_delay_alu instid0(VALU_DEP_4) | instskip(NEXT) | instid1(VALU_DEP_4)
	v_fma_f64 v[4:5], v[4:5], v[26:27], v[14:15]
	v_fma_f64 v[2:3], v[2:3], v[26:27], -v[20:21]
	s_delay_alu instid0(VALU_DEP_4) | instskip(NEXT) | instid1(VALU_DEP_4)
	v_add_f64 v[6:7], v[10:11], v[6:7]
	v_add_f64 v[8:9], v[12:13], v[8:9]
	s_delay_alu instid0(VALU_DEP_2) | instskip(NEXT) | instid1(VALU_DEP_2)
	v_add_f64 v[2:3], v[6:7], v[2:3]
	v_add_f64 v[4:5], v[8:9], v[4:5]
	s_waitcnt vmcnt(0)
	s_delay_alu instid0(VALU_DEP_2) | instskip(NEXT) | instid1(VALU_DEP_2)
	v_add_f64 v[2:3], v[34:35], -v[2:3]
	v_add_f64 v[4:5], v[36:37], -v[4:5]
	scratch_store_b128 off, v[2:5], off offset:448
	v_cmpx_lt_u32_e32 27, v118
	s_cbranch_execz .LBB99_175
; %bb.174:
	scratch_load_b128 v[5:8], v146, off
	v_mov_b32_e32 v2, v1
	v_mov_b32_e32 v3, v1
	;; [unrolled: 1-line block ×3, first 2 shown]
	scratch_store_b128 off, v[1:4], off offset:432
	s_waitcnt vmcnt(0)
	ds_store_b128 v154, v[5:8]
.LBB99_175:
	s_or_b32 exec_lo, exec_lo, s2
	s_waitcnt lgkmcnt(0)
	s_waitcnt_vscnt null, 0x0
	s_barrier
	buffer_gl0_inv
	s_clause 0x7
	scratch_load_b128 v[2:5], off, off offset:448
	scratch_load_b128 v[6:9], off, off offset:464
	;; [unrolled: 1-line block ×8, first 2 shown]
	ds_load_b128 v[34:37], v1 offset:1024
	ds_load_b128 v[38:41], v1 offset:1040
	scratch_load_b128 v[42:45], off, off offset:432
	s_mov_b32 s2, exec_lo
	s_waitcnt vmcnt(8) lgkmcnt(1)
	v_mul_f64 v[155:156], v[36:37], v[4:5]
	v_mul_f64 v[4:5], v[34:35], v[4:5]
	s_waitcnt vmcnt(7) lgkmcnt(0)
	v_mul_f64 v[157:158], v[38:39], v[8:9]
	v_mul_f64 v[8:9], v[40:41], v[8:9]
	s_delay_alu instid0(VALU_DEP_4) | instskip(NEXT) | instid1(VALU_DEP_4)
	v_fma_f64 v[155:156], v[34:35], v[2:3], -v[155:156]
	v_fma_f64 v[159:160], v[36:37], v[2:3], v[4:5]
	ds_load_b128 v[2:5], v1 offset:1056
	ds_load_b128 v[34:37], v1 offset:1072
	v_fma_f64 v[40:41], v[40:41], v[6:7], v[157:158]
	v_fma_f64 v[6:7], v[38:39], v[6:7], -v[8:9]
	s_waitcnt vmcnt(6) lgkmcnt(1)
	v_mul_f64 v[161:162], v[2:3], v[12:13]
	v_mul_f64 v[12:13], v[4:5], v[12:13]
	v_add_f64 v[8:9], v[155:156], 0
	v_add_f64 v[38:39], v[159:160], 0
	s_waitcnt vmcnt(5) lgkmcnt(0)
	v_mul_f64 v[155:156], v[34:35], v[16:17]
	v_mul_f64 v[16:17], v[36:37], v[16:17]
	v_fma_f64 v[157:158], v[4:5], v[10:11], v[161:162]
	v_fma_f64 v[10:11], v[2:3], v[10:11], -v[12:13]
	v_add_f64 v[12:13], v[8:9], v[6:7]
	v_add_f64 v[38:39], v[38:39], v[40:41]
	ds_load_b128 v[2:5], v1 offset:1088
	ds_load_b128 v[6:9], v1 offset:1104
	v_fma_f64 v[36:37], v[36:37], v[14:15], v[155:156]
	v_fma_f64 v[14:15], v[34:35], v[14:15], -v[16:17]
	s_waitcnt vmcnt(4) lgkmcnt(1)
	v_mul_f64 v[40:41], v[2:3], v[20:21]
	v_mul_f64 v[20:21], v[4:5], v[20:21]
	s_waitcnt vmcnt(3) lgkmcnt(0)
	v_mul_f64 v[16:17], v[6:7], v[24:25]
	v_mul_f64 v[24:25], v[8:9], v[24:25]
	v_add_f64 v[10:11], v[12:13], v[10:11]
	v_add_f64 v[12:13], v[38:39], v[157:158]
	v_fma_f64 v[34:35], v[4:5], v[18:19], v[40:41]
	v_fma_f64 v[18:19], v[2:3], v[18:19], -v[20:21]
	v_fma_f64 v[8:9], v[8:9], v[22:23], v[16:17]
	v_fma_f64 v[6:7], v[6:7], v[22:23], -v[24:25]
	v_add_f64 v[14:15], v[10:11], v[14:15]
	v_add_f64 v[20:21], v[12:13], v[36:37]
	ds_load_b128 v[2:5], v1 offset:1120
	ds_load_b128 v[10:13], v1 offset:1136
	s_waitcnt vmcnt(2) lgkmcnt(1)
	v_mul_f64 v[36:37], v[2:3], v[28:29]
	v_mul_f64 v[28:29], v[4:5], v[28:29]
	v_add_f64 v[14:15], v[14:15], v[18:19]
	v_add_f64 v[16:17], v[20:21], v[34:35]
	s_waitcnt vmcnt(1) lgkmcnt(0)
	v_mul_f64 v[18:19], v[10:11], v[32:33]
	v_mul_f64 v[20:21], v[12:13], v[32:33]
	v_fma_f64 v[4:5], v[4:5], v[26:27], v[36:37]
	v_fma_f64 v[1:2], v[2:3], v[26:27], -v[28:29]
	v_add_f64 v[6:7], v[14:15], v[6:7]
	v_add_f64 v[8:9], v[16:17], v[8:9]
	v_fma_f64 v[12:13], v[12:13], v[30:31], v[18:19]
	v_fma_f64 v[10:11], v[10:11], v[30:31], -v[20:21]
	s_delay_alu instid0(VALU_DEP_4) | instskip(NEXT) | instid1(VALU_DEP_4)
	v_add_f64 v[1:2], v[6:7], v[1:2]
	v_add_f64 v[3:4], v[8:9], v[4:5]
	s_delay_alu instid0(VALU_DEP_2) | instskip(NEXT) | instid1(VALU_DEP_2)
	v_add_f64 v[1:2], v[1:2], v[10:11]
	v_add_f64 v[3:4], v[3:4], v[12:13]
	s_waitcnt vmcnt(0)
	s_delay_alu instid0(VALU_DEP_2) | instskip(NEXT) | instid1(VALU_DEP_2)
	v_add_f64 v[1:2], v[42:43], -v[1:2]
	v_add_f64 v[3:4], v[44:45], -v[3:4]
	scratch_store_b128 off, v[1:4], off offset:432
	v_cmpx_lt_u32_e32 26, v118
	s_cbranch_execz .LBB99_177
; %bb.176:
	scratch_load_b128 v[1:4], v147, off
	v_mov_b32_e32 v5, 0
	s_delay_alu instid0(VALU_DEP_1)
	v_mov_b32_e32 v6, v5
	v_mov_b32_e32 v7, v5
	;; [unrolled: 1-line block ×3, first 2 shown]
	scratch_store_b128 off, v[5:8], off offset:416
	s_waitcnt vmcnt(0)
	ds_store_b128 v154, v[1:4]
.LBB99_177:
	s_or_b32 exec_lo, exec_lo, s2
	s_waitcnt lgkmcnt(0)
	s_waitcnt_vscnt null, 0x0
	s_barrier
	buffer_gl0_inv
	s_clause 0x7
	scratch_load_b128 v[2:5], off, off offset:432
	scratch_load_b128 v[6:9], off, off offset:448
	scratch_load_b128 v[10:13], off, off offset:464
	scratch_load_b128 v[14:17], off, off offset:480
	scratch_load_b128 v[18:21], off, off offset:496
	scratch_load_b128 v[22:25], off, off offset:512
	scratch_load_b128 v[26:29], off, off offset:528
	scratch_load_b128 v[30:33], off, off offset:544
	v_mov_b32_e32 v1, 0
	scratch_load_b128 v[38:41], off, off offset:560
	s_mov_b32 s2, exec_lo
	ds_load_b128 v[34:37], v1 offset:1008
	ds_load_b128 v[42:45], v1 offset:1024
	s_waitcnt vmcnt(8) lgkmcnt(1)
	v_mul_f64 v[155:156], v[36:37], v[4:5]
	v_mul_f64 v[4:5], v[34:35], v[4:5]
	s_waitcnt vmcnt(7) lgkmcnt(0)
	v_mul_f64 v[157:158], v[42:43], v[8:9]
	v_mul_f64 v[8:9], v[44:45], v[8:9]
	s_delay_alu instid0(VALU_DEP_4) | instskip(NEXT) | instid1(VALU_DEP_4)
	v_fma_f64 v[34:35], v[34:35], v[2:3], -v[155:156]
	v_fma_f64 v[36:37], v[36:37], v[2:3], v[4:5]
	ds_load_b128 v[2:5], v1 offset:1040
	v_fma_f64 v[44:45], v[44:45], v[6:7], v[157:158]
	v_fma_f64 v[42:43], v[42:43], v[6:7], -v[8:9]
	ds_load_b128 v[6:9], v1 offset:1056
	s_waitcnt vmcnt(6) lgkmcnt(1)
	v_mul_f64 v[155:156], v[2:3], v[12:13]
	v_mul_f64 v[12:13], v[4:5], v[12:13]
	s_waitcnt vmcnt(5) lgkmcnt(0)
	v_mul_f64 v[161:162], v[6:7], v[16:17]
	v_mul_f64 v[16:17], v[8:9], v[16:17]
	v_add_f64 v[157:158], v[34:35], 0
	v_add_f64 v[159:160], v[36:37], 0
	scratch_load_b128 v[34:37], off, off offset:416
	v_fma_f64 v[155:156], v[4:5], v[10:11], v[155:156]
	v_fma_f64 v[10:11], v[2:3], v[10:11], -v[12:13]
	ds_load_b128 v[2:5], v1 offset:1072
	v_add_f64 v[12:13], v[157:158], v[42:43]
	v_add_f64 v[42:43], v[159:160], v[44:45]
	v_fma_f64 v[157:158], v[8:9], v[14:15], v[161:162]
	v_fma_f64 v[14:15], v[6:7], v[14:15], -v[16:17]
	ds_load_b128 v[6:9], v1 offset:1088
	s_waitcnt vmcnt(5) lgkmcnt(1)
	v_mul_f64 v[44:45], v[2:3], v[20:21]
	v_mul_f64 v[20:21], v[4:5], v[20:21]
	s_waitcnt vmcnt(4) lgkmcnt(0)
	v_mul_f64 v[16:17], v[6:7], v[24:25]
	v_mul_f64 v[24:25], v[8:9], v[24:25]
	v_add_f64 v[10:11], v[12:13], v[10:11]
	v_add_f64 v[12:13], v[42:43], v[155:156]
	v_fma_f64 v[42:43], v[4:5], v[18:19], v[44:45]
	v_fma_f64 v[18:19], v[2:3], v[18:19], -v[20:21]
	ds_load_b128 v[2:5], v1 offset:1104
	v_fma_f64 v[16:17], v[8:9], v[22:23], v[16:17]
	v_fma_f64 v[22:23], v[6:7], v[22:23], -v[24:25]
	ds_load_b128 v[6:9], v1 offset:1120
	s_waitcnt vmcnt(3) lgkmcnt(1)
	v_mul_f64 v[20:21], v[4:5], v[28:29]
	v_add_f64 v[10:11], v[10:11], v[14:15]
	v_add_f64 v[12:13], v[12:13], v[157:158]
	v_mul_f64 v[14:15], v[2:3], v[28:29]
	s_waitcnt vmcnt(2) lgkmcnt(0)
	v_mul_f64 v[24:25], v[8:9], v[32:33]
	v_fma_f64 v[20:21], v[2:3], v[26:27], -v[20:21]
	v_add_f64 v[10:11], v[10:11], v[18:19]
	v_add_f64 v[12:13], v[12:13], v[42:43]
	v_mul_f64 v[18:19], v[6:7], v[32:33]
	v_fma_f64 v[14:15], v[4:5], v[26:27], v[14:15]
	ds_load_b128 v[2:5], v1 offset:1136
	v_fma_f64 v[6:7], v[6:7], v[30:31], -v[24:25]
	v_add_f64 v[10:11], v[10:11], v[22:23]
	v_add_f64 v[12:13], v[12:13], v[16:17]
	s_waitcnt vmcnt(1) lgkmcnt(0)
	v_mul_f64 v[16:17], v[2:3], v[40:41]
	v_mul_f64 v[22:23], v[4:5], v[40:41]
	v_fma_f64 v[8:9], v[8:9], v[30:31], v[18:19]
	v_add_f64 v[10:11], v[10:11], v[20:21]
	v_add_f64 v[12:13], v[12:13], v[14:15]
	v_fma_f64 v[4:5], v[4:5], v[38:39], v[16:17]
	v_fma_f64 v[2:3], v[2:3], v[38:39], -v[22:23]
	s_delay_alu instid0(VALU_DEP_4) | instskip(NEXT) | instid1(VALU_DEP_4)
	v_add_f64 v[6:7], v[10:11], v[6:7]
	v_add_f64 v[8:9], v[12:13], v[8:9]
	s_delay_alu instid0(VALU_DEP_2) | instskip(NEXT) | instid1(VALU_DEP_2)
	v_add_f64 v[2:3], v[6:7], v[2:3]
	v_add_f64 v[4:5], v[8:9], v[4:5]
	s_waitcnt vmcnt(0)
	s_delay_alu instid0(VALU_DEP_2) | instskip(NEXT) | instid1(VALU_DEP_2)
	v_add_f64 v[2:3], v[34:35], -v[2:3]
	v_add_f64 v[4:5], v[36:37], -v[4:5]
	scratch_store_b128 off, v[2:5], off offset:416
	v_cmpx_lt_u32_e32 25, v118
	s_cbranch_execz .LBB99_179
; %bb.178:
	scratch_load_b128 v[5:8], v148, off
	v_mov_b32_e32 v2, v1
	v_mov_b32_e32 v3, v1
	;; [unrolled: 1-line block ×3, first 2 shown]
	scratch_store_b128 off, v[1:4], off offset:400
	s_waitcnt vmcnt(0)
	ds_store_b128 v154, v[5:8]
.LBB99_179:
	s_or_b32 exec_lo, exec_lo, s2
	s_waitcnt lgkmcnt(0)
	s_waitcnt_vscnt null, 0x0
	s_barrier
	buffer_gl0_inv
	s_clause 0x7
	scratch_load_b128 v[2:5], off, off offset:416
	scratch_load_b128 v[6:9], off, off offset:432
	;; [unrolled: 1-line block ×8, first 2 shown]
	ds_load_b128 v[34:37], v1 offset:992
	ds_load_b128 v[42:45], v1 offset:1008
	s_clause 0x1
	scratch_load_b128 v[38:41], off, off offset:544
	scratch_load_b128 v[155:158], off, off offset:560
	s_mov_b32 s2, exec_lo
	s_waitcnt vmcnt(9) lgkmcnt(1)
	v_mul_f64 v[159:160], v[36:37], v[4:5]
	v_mul_f64 v[4:5], v[34:35], v[4:5]
	s_waitcnt vmcnt(8) lgkmcnt(0)
	v_mul_f64 v[161:162], v[42:43], v[8:9]
	v_mul_f64 v[8:9], v[44:45], v[8:9]
	s_delay_alu instid0(VALU_DEP_4) | instskip(NEXT) | instid1(VALU_DEP_4)
	v_fma_f64 v[34:35], v[34:35], v[2:3], -v[159:160]
	v_fma_f64 v[36:37], v[36:37], v[2:3], v[4:5]
	ds_load_b128 v[2:5], v1 offset:1024
	v_fma_f64 v[44:45], v[44:45], v[6:7], v[161:162]
	v_fma_f64 v[42:43], v[42:43], v[6:7], -v[8:9]
	ds_load_b128 v[6:9], v1 offset:1040
	s_waitcnt vmcnt(7) lgkmcnt(1)
	v_mul_f64 v[159:160], v[2:3], v[12:13]
	v_mul_f64 v[12:13], v[4:5], v[12:13]
	s_waitcnt vmcnt(6) lgkmcnt(0)
	v_mul_f64 v[161:162], v[6:7], v[16:17]
	v_mul_f64 v[16:17], v[8:9], v[16:17]
	v_add_f64 v[34:35], v[34:35], 0
	v_add_f64 v[36:37], v[36:37], 0
	v_fma_f64 v[159:160], v[4:5], v[10:11], v[159:160]
	v_fma_f64 v[163:164], v[2:3], v[10:11], -v[12:13]
	ds_load_b128 v[2:5], v1 offset:1056
	scratch_load_b128 v[10:13], off, off offset:400
	v_add_f64 v[34:35], v[34:35], v[42:43]
	v_add_f64 v[36:37], v[36:37], v[44:45]
	v_fma_f64 v[44:45], v[8:9], v[14:15], v[161:162]
	v_fma_f64 v[14:15], v[6:7], v[14:15], -v[16:17]
	ds_load_b128 v[6:9], v1 offset:1072
	s_waitcnt vmcnt(6) lgkmcnt(1)
	v_mul_f64 v[42:43], v[2:3], v[20:21]
	v_mul_f64 v[20:21], v[4:5], v[20:21]
	v_add_f64 v[16:17], v[34:35], v[163:164]
	v_add_f64 v[34:35], v[36:37], v[159:160]
	s_waitcnt vmcnt(5) lgkmcnt(0)
	v_mul_f64 v[36:37], v[6:7], v[24:25]
	v_mul_f64 v[24:25], v[8:9], v[24:25]
	v_fma_f64 v[42:43], v[4:5], v[18:19], v[42:43]
	v_fma_f64 v[18:19], v[2:3], v[18:19], -v[20:21]
	ds_load_b128 v[2:5], v1 offset:1088
	v_add_f64 v[14:15], v[16:17], v[14:15]
	v_add_f64 v[16:17], v[34:35], v[44:45]
	v_fma_f64 v[34:35], v[8:9], v[22:23], v[36:37]
	v_fma_f64 v[22:23], v[6:7], v[22:23], -v[24:25]
	ds_load_b128 v[6:9], v1 offset:1104
	s_waitcnt vmcnt(4) lgkmcnt(1)
	v_mul_f64 v[20:21], v[2:3], v[28:29]
	v_mul_f64 v[28:29], v[4:5], v[28:29]
	s_waitcnt vmcnt(3) lgkmcnt(0)
	v_mul_f64 v[24:25], v[8:9], v[32:33]
	v_add_f64 v[14:15], v[14:15], v[18:19]
	v_add_f64 v[16:17], v[16:17], v[42:43]
	v_mul_f64 v[18:19], v[6:7], v[32:33]
	v_fma_f64 v[20:21], v[4:5], v[26:27], v[20:21]
	v_fma_f64 v[26:27], v[2:3], v[26:27], -v[28:29]
	ds_load_b128 v[2:5], v1 offset:1120
	v_fma_f64 v[24:25], v[6:7], v[30:31], -v[24:25]
	v_add_f64 v[14:15], v[14:15], v[22:23]
	v_add_f64 v[16:17], v[16:17], v[34:35]
	v_fma_f64 v[18:19], v[8:9], v[30:31], v[18:19]
	ds_load_b128 v[6:9], v1 offset:1136
	s_waitcnt vmcnt(2) lgkmcnt(1)
	v_mul_f64 v[22:23], v[2:3], v[40:41]
	v_mul_f64 v[28:29], v[4:5], v[40:41]
	v_add_f64 v[14:15], v[14:15], v[26:27]
	v_add_f64 v[16:17], v[16:17], v[20:21]
	s_waitcnt vmcnt(1) lgkmcnt(0)
	v_mul_f64 v[20:21], v[6:7], v[157:158]
	v_mul_f64 v[26:27], v[8:9], v[157:158]
	v_fma_f64 v[4:5], v[4:5], v[38:39], v[22:23]
	v_fma_f64 v[1:2], v[2:3], v[38:39], -v[28:29]
	v_add_f64 v[14:15], v[14:15], v[24:25]
	v_add_f64 v[16:17], v[16:17], v[18:19]
	v_fma_f64 v[8:9], v[8:9], v[155:156], v[20:21]
	v_fma_f64 v[6:7], v[6:7], v[155:156], -v[26:27]
	s_delay_alu instid0(VALU_DEP_4) | instskip(NEXT) | instid1(VALU_DEP_4)
	v_add_f64 v[1:2], v[14:15], v[1:2]
	v_add_f64 v[3:4], v[16:17], v[4:5]
	s_delay_alu instid0(VALU_DEP_2) | instskip(NEXT) | instid1(VALU_DEP_2)
	v_add_f64 v[1:2], v[1:2], v[6:7]
	v_add_f64 v[3:4], v[3:4], v[8:9]
	s_waitcnt vmcnt(0)
	s_delay_alu instid0(VALU_DEP_2) | instskip(NEXT) | instid1(VALU_DEP_2)
	v_add_f64 v[1:2], v[10:11], -v[1:2]
	v_add_f64 v[3:4], v[12:13], -v[3:4]
	scratch_store_b128 off, v[1:4], off offset:400
	v_cmpx_lt_u32_e32 24, v118
	s_cbranch_execz .LBB99_181
; %bb.180:
	scratch_load_b128 v[1:4], v149, off
	v_mov_b32_e32 v5, 0
	s_delay_alu instid0(VALU_DEP_1)
	v_mov_b32_e32 v6, v5
	v_mov_b32_e32 v7, v5
	;; [unrolled: 1-line block ×3, first 2 shown]
	scratch_store_b128 off, v[5:8], off offset:384
	s_waitcnt vmcnt(0)
	ds_store_b128 v154, v[1:4]
.LBB99_181:
	s_or_b32 exec_lo, exec_lo, s2
	s_waitcnt lgkmcnt(0)
	s_waitcnt_vscnt null, 0x0
	s_barrier
	buffer_gl0_inv
	s_clause 0x7
	scratch_load_b128 v[2:5], off, off offset:400
	scratch_load_b128 v[6:9], off, off offset:416
	;; [unrolled: 1-line block ×8, first 2 shown]
	v_mov_b32_e32 v1, 0
	s_clause 0x1
	scratch_load_b128 v[38:41], off, off offset:528
	scratch_load_b128 v[155:158], off, off offset:544
	s_mov_b32 s2, exec_lo
	ds_load_b128 v[34:37], v1 offset:976
	ds_load_b128 v[42:45], v1 offset:992
	s_waitcnt vmcnt(9) lgkmcnt(1)
	v_mul_f64 v[159:160], v[36:37], v[4:5]
	v_mul_f64 v[4:5], v[34:35], v[4:5]
	s_waitcnt vmcnt(8) lgkmcnt(0)
	v_mul_f64 v[161:162], v[42:43], v[8:9]
	v_mul_f64 v[8:9], v[44:45], v[8:9]
	s_delay_alu instid0(VALU_DEP_4) | instskip(NEXT) | instid1(VALU_DEP_4)
	v_fma_f64 v[159:160], v[34:35], v[2:3], -v[159:160]
	v_fma_f64 v[163:164], v[36:37], v[2:3], v[4:5]
	ds_load_b128 v[2:5], v1 offset:1008
	scratch_load_b128 v[34:37], off, off offset:560
	v_fma_f64 v[44:45], v[44:45], v[6:7], v[161:162]
	v_fma_f64 v[42:43], v[42:43], v[6:7], -v[8:9]
	ds_load_b128 v[6:9], v1 offset:1024
	s_waitcnt vmcnt(8) lgkmcnt(1)
	v_mul_f64 v[165:166], v[2:3], v[12:13]
	v_mul_f64 v[12:13], v[4:5], v[12:13]
	v_add_f64 v[159:160], v[159:160], 0
	v_add_f64 v[161:162], v[163:164], 0
	s_waitcnt vmcnt(7) lgkmcnt(0)
	v_mul_f64 v[163:164], v[6:7], v[16:17]
	v_mul_f64 v[16:17], v[8:9], v[16:17]
	v_fma_f64 v[165:166], v[4:5], v[10:11], v[165:166]
	v_fma_f64 v[10:11], v[2:3], v[10:11], -v[12:13]
	ds_load_b128 v[2:5], v1 offset:1040
	v_add_f64 v[12:13], v[159:160], v[42:43]
	v_add_f64 v[42:43], v[161:162], v[44:45]
	v_fma_f64 v[159:160], v[8:9], v[14:15], v[163:164]
	v_fma_f64 v[14:15], v[6:7], v[14:15], -v[16:17]
	ds_load_b128 v[6:9], v1 offset:1056
	s_waitcnt vmcnt(6) lgkmcnt(1)
	v_mul_f64 v[44:45], v[2:3], v[20:21]
	v_mul_f64 v[20:21], v[4:5], v[20:21]
	s_waitcnt vmcnt(5) lgkmcnt(0)
	v_mul_f64 v[161:162], v[6:7], v[24:25]
	v_mul_f64 v[24:25], v[8:9], v[24:25]
	v_add_f64 v[16:17], v[12:13], v[10:11]
	v_add_f64 v[42:43], v[42:43], v[165:166]
	scratch_load_b128 v[10:13], off, off offset:384
	v_fma_f64 v[44:45], v[4:5], v[18:19], v[44:45]
	v_fma_f64 v[18:19], v[2:3], v[18:19], -v[20:21]
	ds_load_b128 v[2:5], v1 offset:1072
	v_add_f64 v[14:15], v[16:17], v[14:15]
	v_add_f64 v[16:17], v[42:43], v[159:160]
	v_fma_f64 v[42:43], v[8:9], v[22:23], v[161:162]
	v_fma_f64 v[22:23], v[6:7], v[22:23], -v[24:25]
	ds_load_b128 v[6:9], v1 offset:1088
	s_waitcnt vmcnt(5) lgkmcnt(1)
	v_mul_f64 v[20:21], v[2:3], v[28:29]
	v_mul_f64 v[28:29], v[4:5], v[28:29]
	s_waitcnt vmcnt(4) lgkmcnt(0)
	v_mul_f64 v[24:25], v[8:9], v[32:33]
	v_add_f64 v[14:15], v[14:15], v[18:19]
	v_add_f64 v[16:17], v[16:17], v[44:45]
	v_mul_f64 v[18:19], v[6:7], v[32:33]
	v_fma_f64 v[20:21], v[4:5], v[26:27], v[20:21]
	v_fma_f64 v[26:27], v[2:3], v[26:27], -v[28:29]
	ds_load_b128 v[2:5], v1 offset:1104
	v_fma_f64 v[24:25], v[6:7], v[30:31], -v[24:25]
	v_add_f64 v[14:15], v[14:15], v[22:23]
	v_add_f64 v[16:17], v[16:17], v[42:43]
	v_fma_f64 v[18:19], v[8:9], v[30:31], v[18:19]
	ds_load_b128 v[6:9], v1 offset:1120
	s_waitcnt vmcnt(3) lgkmcnt(1)
	v_mul_f64 v[22:23], v[2:3], v[40:41]
	v_mul_f64 v[28:29], v[4:5], v[40:41]
	v_add_f64 v[14:15], v[14:15], v[26:27]
	v_add_f64 v[16:17], v[16:17], v[20:21]
	s_waitcnt vmcnt(2) lgkmcnt(0)
	v_mul_f64 v[20:21], v[6:7], v[157:158]
	v_mul_f64 v[26:27], v[8:9], v[157:158]
	v_fma_f64 v[22:23], v[4:5], v[38:39], v[22:23]
	v_fma_f64 v[28:29], v[2:3], v[38:39], -v[28:29]
	ds_load_b128 v[2:5], v1 offset:1136
	v_add_f64 v[14:15], v[14:15], v[24:25]
	v_add_f64 v[16:17], v[16:17], v[18:19]
	v_fma_f64 v[8:9], v[8:9], v[155:156], v[20:21]
	v_fma_f64 v[6:7], v[6:7], v[155:156], -v[26:27]
	s_waitcnt vmcnt(1) lgkmcnt(0)
	v_mul_f64 v[18:19], v[2:3], v[36:37]
	v_mul_f64 v[24:25], v[4:5], v[36:37]
	v_add_f64 v[14:15], v[14:15], v[28:29]
	v_add_f64 v[16:17], v[16:17], v[22:23]
	s_delay_alu instid0(VALU_DEP_4) | instskip(NEXT) | instid1(VALU_DEP_4)
	v_fma_f64 v[4:5], v[4:5], v[34:35], v[18:19]
	v_fma_f64 v[2:3], v[2:3], v[34:35], -v[24:25]
	s_delay_alu instid0(VALU_DEP_4) | instskip(NEXT) | instid1(VALU_DEP_4)
	v_add_f64 v[6:7], v[14:15], v[6:7]
	v_add_f64 v[8:9], v[16:17], v[8:9]
	s_delay_alu instid0(VALU_DEP_2) | instskip(NEXT) | instid1(VALU_DEP_2)
	v_add_f64 v[2:3], v[6:7], v[2:3]
	v_add_f64 v[4:5], v[8:9], v[4:5]
	s_waitcnt vmcnt(0)
	s_delay_alu instid0(VALU_DEP_2) | instskip(NEXT) | instid1(VALU_DEP_2)
	v_add_f64 v[2:3], v[10:11], -v[2:3]
	v_add_f64 v[4:5], v[12:13], -v[4:5]
	scratch_store_b128 off, v[2:5], off offset:384
	v_cmpx_lt_u32_e32 23, v118
	s_cbranch_execz .LBB99_183
; %bb.182:
	scratch_load_b128 v[5:8], v150, off
	v_mov_b32_e32 v2, v1
	v_mov_b32_e32 v3, v1
	;; [unrolled: 1-line block ×3, first 2 shown]
	scratch_store_b128 off, v[1:4], off offset:368
	s_waitcnt vmcnt(0)
	ds_store_b128 v154, v[5:8]
.LBB99_183:
	s_or_b32 exec_lo, exec_lo, s2
	s_waitcnt lgkmcnt(0)
	s_waitcnt_vscnt null, 0x0
	s_barrier
	buffer_gl0_inv
	s_clause 0x8
	scratch_load_b128 v[2:5], off, off offset:384
	scratch_load_b128 v[6:9], off, off offset:400
	;; [unrolled: 1-line block ×9, first 2 shown]
	ds_load_b128 v[38:41], v1 offset:960
	ds_load_b128 v[42:45], v1 offset:976
	s_clause 0x1
	scratch_load_b128 v[155:158], off, off offset:368
	scratch_load_b128 v[159:162], off, off offset:528
	s_mov_b32 s2, exec_lo
	s_waitcnt vmcnt(10) lgkmcnt(1)
	v_mul_f64 v[163:164], v[40:41], v[4:5]
	v_mul_f64 v[4:5], v[38:39], v[4:5]
	s_waitcnt vmcnt(9) lgkmcnt(0)
	v_mul_f64 v[167:168], v[42:43], v[8:9]
	v_mul_f64 v[8:9], v[44:45], v[8:9]
	s_delay_alu instid0(VALU_DEP_4) | instskip(NEXT) | instid1(VALU_DEP_4)
	v_fma_f64 v[169:170], v[38:39], v[2:3], -v[163:164]
	v_fma_f64 v[171:172], v[40:41], v[2:3], v[4:5]
	ds_load_b128 v[2:5], v1 offset:992
	ds_load_b128 v[163:166], v1 offset:1008
	scratch_load_b128 v[38:41], off, off offset:544
	v_fma_f64 v[44:45], v[44:45], v[6:7], v[167:168]
	v_fma_f64 v[42:43], v[42:43], v[6:7], -v[8:9]
	scratch_load_b128 v[6:9], off, off offset:560
	s_waitcnt vmcnt(10) lgkmcnt(1)
	v_mul_f64 v[173:174], v[2:3], v[12:13]
	v_mul_f64 v[12:13], v[4:5], v[12:13]
	v_add_f64 v[167:168], v[169:170], 0
	v_add_f64 v[169:170], v[171:172], 0
	s_waitcnt vmcnt(9) lgkmcnt(0)
	v_mul_f64 v[171:172], v[163:164], v[16:17]
	v_mul_f64 v[16:17], v[165:166], v[16:17]
	v_fma_f64 v[173:174], v[4:5], v[10:11], v[173:174]
	v_fma_f64 v[175:176], v[2:3], v[10:11], -v[12:13]
	ds_load_b128 v[2:5], v1 offset:1024
	ds_load_b128 v[10:13], v1 offset:1040
	v_add_f64 v[42:43], v[167:168], v[42:43]
	v_add_f64 v[44:45], v[169:170], v[44:45]
	v_fma_f64 v[165:166], v[165:166], v[14:15], v[171:172]
	v_fma_f64 v[14:15], v[163:164], v[14:15], -v[16:17]
	s_waitcnt vmcnt(8) lgkmcnt(1)
	v_mul_f64 v[167:168], v[2:3], v[20:21]
	v_mul_f64 v[20:21], v[4:5], v[20:21]
	v_add_f64 v[16:17], v[42:43], v[175:176]
	v_add_f64 v[42:43], v[44:45], v[173:174]
	s_waitcnt vmcnt(7) lgkmcnt(0)
	v_mul_f64 v[44:45], v[10:11], v[24:25]
	v_mul_f64 v[24:25], v[12:13], v[24:25]
	v_fma_f64 v[163:164], v[4:5], v[18:19], v[167:168]
	v_fma_f64 v[18:19], v[2:3], v[18:19], -v[20:21]
	v_add_f64 v[20:21], v[16:17], v[14:15]
	v_add_f64 v[42:43], v[42:43], v[165:166]
	ds_load_b128 v[2:5], v1 offset:1056
	ds_load_b128 v[14:17], v1 offset:1072
	v_fma_f64 v[12:13], v[12:13], v[22:23], v[44:45]
	v_fma_f64 v[10:11], v[10:11], v[22:23], -v[24:25]
	s_waitcnt vmcnt(6) lgkmcnt(1)
	v_mul_f64 v[165:166], v[2:3], v[28:29]
	v_mul_f64 v[28:29], v[4:5], v[28:29]
	s_waitcnt vmcnt(5) lgkmcnt(0)
	v_mul_f64 v[22:23], v[14:15], v[32:33]
	v_mul_f64 v[24:25], v[16:17], v[32:33]
	v_add_f64 v[18:19], v[20:21], v[18:19]
	v_add_f64 v[20:21], v[42:43], v[163:164]
	v_fma_f64 v[32:33], v[4:5], v[26:27], v[165:166]
	v_fma_f64 v[26:27], v[2:3], v[26:27], -v[28:29]
	v_fma_f64 v[16:17], v[16:17], v[30:31], v[22:23]
	v_fma_f64 v[14:15], v[14:15], v[30:31], -v[24:25]
	v_add_f64 v[18:19], v[18:19], v[10:11]
	v_add_f64 v[20:21], v[20:21], v[12:13]
	ds_load_b128 v[2:5], v1 offset:1088
	ds_load_b128 v[10:13], v1 offset:1104
	s_waitcnt vmcnt(4) lgkmcnt(1)
	v_mul_f64 v[28:29], v[2:3], v[36:37]
	v_mul_f64 v[36:37], v[4:5], v[36:37]
	s_waitcnt vmcnt(2) lgkmcnt(0)
	v_mul_f64 v[22:23], v[10:11], v[161:162]
	v_mul_f64 v[24:25], v[12:13], v[161:162]
	v_add_f64 v[18:19], v[18:19], v[26:27]
	v_add_f64 v[20:21], v[20:21], v[32:33]
	v_fma_f64 v[26:27], v[4:5], v[34:35], v[28:29]
	v_fma_f64 v[28:29], v[2:3], v[34:35], -v[36:37]
	v_fma_f64 v[12:13], v[12:13], v[159:160], v[22:23]
	v_fma_f64 v[10:11], v[10:11], v[159:160], -v[24:25]
	v_add_f64 v[18:19], v[18:19], v[14:15]
	v_add_f64 v[20:21], v[20:21], v[16:17]
	ds_load_b128 v[2:5], v1 offset:1120
	ds_load_b128 v[14:17], v1 offset:1136
	s_waitcnt vmcnt(1) lgkmcnt(1)
	v_mul_f64 v[30:31], v[2:3], v[40:41]
	v_mul_f64 v[32:33], v[4:5], v[40:41]
	s_waitcnt vmcnt(0) lgkmcnt(0)
	v_mul_f64 v[22:23], v[14:15], v[8:9]
	v_mul_f64 v[8:9], v[16:17], v[8:9]
	v_add_f64 v[18:19], v[18:19], v[28:29]
	v_add_f64 v[20:21], v[20:21], v[26:27]
	v_fma_f64 v[4:5], v[4:5], v[38:39], v[30:31]
	v_fma_f64 v[1:2], v[2:3], v[38:39], -v[32:33]
	v_fma_f64 v[16:17], v[16:17], v[6:7], v[22:23]
	v_fma_f64 v[6:7], v[14:15], v[6:7], -v[8:9]
	v_add_f64 v[10:11], v[18:19], v[10:11]
	v_add_f64 v[12:13], v[20:21], v[12:13]
	s_delay_alu instid0(VALU_DEP_2) | instskip(NEXT) | instid1(VALU_DEP_2)
	v_add_f64 v[1:2], v[10:11], v[1:2]
	v_add_f64 v[3:4], v[12:13], v[4:5]
	s_delay_alu instid0(VALU_DEP_2) | instskip(NEXT) | instid1(VALU_DEP_2)
	;; [unrolled: 3-line block ×3, first 2 shown]
	v_add_f64 v[1:2], v[155:156], -v[1:2]
	v_add_f64 v[3:4], v[157:158], -v[3:4]
	scratch_store_b128 off, v[1:4], off offset:368
	v_cmpx_lt_u32_e32 22, v118
	s_cbranch_execz .LBB99_185
; %bb.184:
	scratch_load_b128 v[1:4], v151, off
	v_mov_b32_e32 v5, 0
	s_delay_alu instid0(VALU_DEP_1)
	v_mov_b32_e32 v6, v5
	v_mov_b32_e32 v7, v5
	;; [unrolled: 1-line block ×3, first 2 shown]
	scratch_store_b128 off, v[5:8], off offset:352
	s_waitcnt vmcnt(0)
	ds_store_b128 v154, v[1:4]
.LBB99_185:
	s_or_b32 exec_lo, exec_lo, s2
	s_waitcnt lgkmcnt(0)
	s_waitcnt_vscnt null, 0x0
	s_barrier
	buffer_gl0_inv
	s_clause 0x7
	scratch_load_b128 v[2:5], off, off offset:368
	scratch_load_b128 v[6:9], off, off offset:384
	;; [unrolled: 1-line block ×8, first 2 shown]
	v_mov_b32_e32 v1, 0
	s_mov_b32 s2, exec_lo
	ds_load_b128 v[34:37], v1 offset:944
	s_clause 0x1
	scratch_load_b128 v[38:41], off, off offset:496
	scratch_load_b128 v[42:45], off, off offset:352
	ds_load_b128 v[155:158], v1 offset:960
	scratch_load_b128 v[159:162], off, off offset:512
	s_waitcnt vmcnt(10) lgkmcnt(1)
	v_mul_f64 v[163:164], v[36:37], v[4:5]
	v_mul_f64 v[4:5], v[34:35], v[4:5]
	s_delay_alu instid0(VALU_DEP_2) | instskip(NEXT) | instid1(VALU_DEP_2)
	v_fma_f64 v[169:170], v[34:35], v[2:3], -v[163:164]
	v_fma_f64 v[171:172], v[36:37], v[2:3], v[4:5]
	scratch_load_b128 v[34:37], off, off offset:528
	ds_load_b128 v[2:5], v1 offset:976
	s_waitcnt vmcnt(10) lgkmcnt(1)
	v_mul_f64 v[167:168], v[155:156], v[8:9]
	v_mul_f64 v[8:9], v[157:158], v[8:9]
	ds_load_b128 v[163:166], v1 offset:992
	s_waitcnt vmcnt(9) lgkmcnt(1)
	v_mul_f64 v[173:174], v[2:3], v[12:13]
	v_mul_f64 v[12:13], v[4:5], v[12:13]
	v_fma_f64 v[157:158], v[157:158], v[6:7], v[167:168]
	v_fma_f64 v[155:156], v[155:156], v[6:7], -v[8:9]
	v_add_f64 v[167:168], v[169:170], 0
	v_add_f64 v[169:170], v[171:172], 0
	scratch_load_b128 v[6:9], off, off offset:544
	v_fma_f64 v[173:174], v[4:5], v[10:11], v[173:174]
	v_fma_f64 v[175:176], v[2:3], v[10:11], -v[12:13]
	scratch_load_b128 v[10:13], off, off offset:560
	ds_load_b128 v[2:5], v1 offset:1008
	s_waitcnt vmcnt(10) lgkmcnt(1)
	v_mul_f64 v[171:172], v[163:164], v[16:17]
	v_mul_f64 v[16:17], v[165:166], v[16:17]
	v_add_f64 v[167:168], v[167:168], v[155:156]
	v_add_f64 v[169:170], v[169:170], v[157:158]
	s_waitcnt vmcnt(9) lgkmcnt(0)
	v_mul_f64 v[177:178], v[2:3], v[20:21]
	v_mul_f64 v[20:21], v[4:5], v[20:21]
	ds_load_b128 v[155:158], v1 offset:1024
	v_fma_f64 v[165:166], v[165:166], v[14:15], v[171:172]
	v_fma_f64 v[14:15], v[163:164], v[14:15], -v[16:17]
	v_add_f64 v[16:17], v[167:168], v[175:176]
	v_add_f64 v[163:164], v[169:170], v[173:174]
	s_waitcnt vmcnt(8) lgkmcnt(0)
	v_mul_f64 v[167:168], v[155:156], v[24:25]
	v_mul_f64 v[24:25], v[157:158], v[24:25]
	v_fma_f64 v[169:170], v[4:5], v[18:19], v[177:178]
	v_fma_f64 v[18:19], v[2:3], v[18:19], -v[20:21]
	v_add_f64 v[20:21], v[16:17], v[14:15]
	v_add_f64 v[163:164], v[163:164], v[165:166]
	ds_load_b128 v[2:5], v1 offset:1040
	ds_load_b128 v[14:17], v1 offset:1056
	v_fma_f64 v[157:158], v[157:158], v[22:23], v[167:168]
	v_fma_f64 v[22:23], v[155:156], v[22:23], -v[24:25]
	s_waitcnt vmcnt(7) lgkmcnt(1)
	v_mul_f64 v[165:166], v[2:3], v[28:29]
	v_mul_f64 v[28:29], v[4:5], v[28:29]
	s_waitcnt vmcnt(6) lgkmcnt(0)
	v_mul_f64 v[24:25], v[14:15], v[32:33]
	v_mul_f64 v[32:33], v[16:17], v[32:33]
	v_add_f64 v[18:19], v[20:21], v[18:19]
	v_add_f64 v[20:21], v[163:164], v[169:170]
	v_fma_f64 v[155:156], v[4:5], v[26:27], v[165:166]
	v_fma_f64 v[26:27], v[2:3], v[26:27], -v[28:29]
	v_fma_f64 v[16:17], v[16:17], v[30:31], v[24:25]
	v_fma_f64 v[14:15], v[14:15], v[30:31], -v[32:33]
	v_add_f64 v[22:23], v[18:19], v[22:23]
	v_add_f64 v[28:29], v[20:21], v[157:158]
	ds_load_b128 v[2:5], v1 offset:1072
	ds_load_b128 v[18:21], v1 offset:1088
	s_waitcnt vmcnt(5) lgkmcnt(1)
	v_mul_f64 v[157:158], v[2:3], v[40:41]
	v_mul_f64 v[40:41], v[4:5], v[40:41]
	v_add_f64 v[22:23], v[22:23], v[26:27]
	v_add_f64 v[24:25], v[28:29], v[155:156]
	s_waitcnt vmcnt(3) lgkmcnt(0)
	v_mul_f64 v[26:27], v[18:19], v[161:162]
	v_mul_f64 v[28:29], v[20:21], v[161:162]
	v_fma_f64 v[30:31], v[4:5], v[38:39], v[157:158]
	v_fma_f64 v[32:33], v[2:3], v[38:39], -v[40:41]
	v_add_f64 v[22:23], v[22:23], v[14:15]
	v_add_f64 v[24:25], v[24:25], v[16:17]
	ds_load_b128 v[2:5], v1 offset:1104
	ds_load_b128 v[14:17], v1 offset:1120
	v_fma_f64 v[20:21], v[20:21], v[159:160], v[26:27]
	v_fma_f64 v[18:19], v[18:19], v[159:160], -v[28:29]
	s_waitcnt vmcnt(2) lgkmcnt(1)
	v_mul_f64 v[38:39], v[2:3], v[36:37]
	v_mul_f64 v[36:37], v[4:5], v[36:37]
	v_add_f64 v[22:23], v[22:23], v[32:33]
	v_add_f64 v[24:25], v[24:25], v[30:31]
	s_waitcnt vmcnt(1) lgkmcnt(0)
	v_mul_f64 v[26:27], v[14:15], v[8:9]
	v_mul_f64 v[8:9], v[16:17], v[8:9]
	v_fma_f64 v[28:29], v[4:5], v[34:35], v[38:39]
	v_fma_f64 v[30:31], v[2:3], v[34:35], -v[36:37]
	ds_load_b128 v[2:5], v1 offset:1136
	v_add_f64 v[18:19], v[22:23], v[18:19]
	v_add_f64 v[20:21], v[24:25], v[20:21]
	s_waitcnt vmcnt(0) lgkmcnt(0)
	v_mul_f64 v[22:23], v[2:3], v[12:13]
	v_mul_f64 v[12:13], v[4:5], v[12:13]
	v_fma_f64 v[16:17], v[16:17], v[6:7], v[26:27]
	v_fma_f64 v[6:7], v[14:15], v[6:7], -v[8:9]
	v_add_f64 v[8:9], v[18:19], v[30:31]
	v_add_f64 v[14:15], v[20:21], v[28:29]
	v_fma_f64 v[4:5], v[4:5], v[10:11], v[22:23]
	v_fma_f64 v[2:3], v[2:3], v[10:11], -v[12:13]
	s_delay_alu instid0(VALU_DEP_4) | instskip(NEXT) | instid1(VALU_DEP_4)
	v_add_f64 v[6:7], v[8:9], v[6:7]
	v_add_f64 v[8:9], v[14:15], v[16:17]
	s_delay_alu instid0(VALU_DEP_2) | instskip(NEXT) | instid1(VALU_DEP_2)
	v_add_f64 v[2:3], v[6:7], v[2:3]
	v_add_f64 v[4:5], v[8:9], v[4:5]
	s_delay_alu instid0(VALU_DEP_2) | instskip(NEXT) | instid1(VALU_DEP_2)
	v_add_f64 v[2:3], v[42:43], -v[2:3]
	v_add_f64 v[4:5], v[44:45], -v[4:5]
	scratch_store_b128 off, v[2:5], off offset:352
	v_cmpx_lt_u32_e32 21, v118
	s_cbranch_execz .LBB99_187
; %bb.186:
	scratch_load_b128 v[5:8], v152, off
	v_mov_b32_e32 v2, v1
	v_mov_b32_e32 v3, v1
	;; [unrolled: 1-line block ×3, first 2 shown]
	scratch_store_b128 off, v[1:4], off offset:336
	s_waitcnt vmcnt(0)
	ds_store_b128 v154, v[5:8]
.LBB99_187:
	s_or_b32 exec_lo, exec_lo, s2
	s_waitcnt lgkmcnt(0)
	s_waitcnt_vscnt null, 0x0
	s_barrier
	buffer_gl0_inv
	s_clause 0x8
	scratch_load_b128 v[2:5], off, off offset:352
	scratch_load_b128 v[6:9], off, off offset:368
	;; [unrolled: 1-line block ×9, first 2 shown]
	ds_load_b128 v[38:41], v1 offset:928
	ds_load_b128 v[42:45], v1 offset:944
	s_clause 0x1
	scratch_load_b128 v[155:158], off, off offset:336
	scratch_load_b128 v[159:162], off, off offset:496
	s_mov_b32 s2, exec_lo
	s_waitcnt vmcnt(10) lgkmcnt(1)
	v_mul_f64 v[163:164], v[40:41], v[4:5]
	v_mul_f64 v[4:5], v[38:39], v[4:5]
	s_waitcnt vmcnt(9) lgkmcnt(0)
	v_mul_f64 v[167:168], v[42:43], v[8:9]
	v_mul_f64 v[8:9], v[44:45], v[8:9]
	s_delay_alu instid0(VALU_DEP_4) | instskip(NEXT) | instid1(VALU_DEP_4)
	v_fma_f64 v[169:170], v[38:39], v[2:3], -v[163:164]
	v_fma_f64 v[171:172], v[40:41], v[2:3], v[4:5]
	ds_load_b128 v[2:5], v1 offset:960
	ds_load_b128 v[163:166], v1 offset:976
	scratch_load_b128 v[38:41], off, off offset:512
	v_fma_f64 v[44:45], v[44:45], v[6:7], v[167:168]
	v_fma_f64 v[42:43], v[42:43], v[6:7], -v[8:9]
	scratch_load_b128 v[6:9], off, off offset:528
	s_waitcnt vmcnt(10) lgkmcnt(1)
	v_mul_f64 v[173:174], v[2:3], v[12:13]
	v_mul_f64 v[12:13], v[4:5], v[12:13]
	v_add_f64 v[167:168], v[169:170], 0
	v_add_f64 v[169:170], v[171:172], 0
	s_waitcnt vmcnt(9) lgkmcnt(0)
	v_mul_f64 v[171:172], v[163:164], v[16:17]
	v_mul_f64 v[16:17], v[165:166], v[16:17]
	v_fma_f64 v[173:174], v[4:5], v[10:11], v[173:174]
	v_fma_f64 v[175:176], v[2:3], v[10:11], -v[12:13]
	ds_load_b128 v[2:5], v1 offset:992
	scratch_load_b128 v[10:13], off, off offset:544
	v_add_f64 v[167:168], v[167:168], v[42:43]
	v_add_f64 v[169:170], v[169:170], v[44:45]
	ds_load_b128 v[42:45], v1 offset:1008
	v_fma_f64 v[165:166], v[165:166], v[14:15], v[171:172]
	v_fma_f64 v[163:164], v[163:164], v[14:15], -v[16:17]
	scratch_load_b128 v[14:17], off, off offset:560
	s_waitcnt vmcnt(10) lgkmcnt(1)
	v_mul_f64 v[177:178], v[2:3], v[20:21]
	v_mul_f64 v[20:21], v[4:5], v[20:21]
	s_waitcnt vmcnt(9) lgkmcnt(0)
	v_mul_f64 v[171:172], v[42:43], v[24:25]
	v_mul_f64 v[24:25], v[44:45], v[24:25]
	v_add_f64 v[167:168], v[167:168], v[175:176]
	v_add_f64 v[169:170], v[169:170], v[173:174]
	v_fma_f64 v[173:174], v[4:5], v[18:19], v[177:178]
	v_fma_f64 v[175:176], v[2:3], v[18:19], -v[20:21]
	ds_load_b128 v[2:5], v1 offset:1024
	ds_load_b128 v[18:21], v1 offset:1040
	v_fma_f64 v[44:45], v[44:45], v[22:23], v[171:172]
	v_fma_f64 v[22:23], v[42:43], v[22:23], -v[24:25]
	v_add_f64 v[163:164], v[167:168], v[163:164]
	v_add_f64 v[165:166], v[169:170], v[165:166]
	s_waitcnt vmcnt(8) lgkmcnt(1)
	v_mul_f64 v[167:168], v[2:3], v[28:29]
	v_mul_f64 v[28:29], v[4:5], v[28:29]
	s_delay_alu instid0(VALU_DEP_4) | instskip(NEXT) | instid1(VALU_DEP_4)
	v_add_f64 v[24:25], v[163:164], v[175:176]
	v_add_f64 v[42:43], v[165:166], v[173:174]
	s_waitcnt vmcnt(7) lgkmcnt(0)
	v_mul_f64 v[163:164], v[18:19], v[32:33]
	v_mul_f64 v[32:33], v[20:21], v[32:33]
	v_fma_f64 v[165:166], v[4:5], v[26:27], v[167:168]
	v_fma_f64 v[26:27], v[2:3], v[26:27], -v[28:29]
	v_add_f64 v[28:29], v[24:25], v[22:23]
	v_add_f64 v[42:43], v[42:43], v[44:45]
	ds_load_b128 v[2:5], v1 offset:1056
	ds_load_b128 v[22:25], v1 offset:1072
	v_fma_f64 v[20:21], v[20:21], v[30:31], v[163:164]
	v_fma_f64 v[18:19], v[18:19], v[30:31], -v[32:33]
	s_waitcnt vmcnt(6) lgkmcnt(1)
	v_mul_f64 v[44:45], v[2:3], v[36:37]
	v_mul_f64 v[36:37], v[4:5], v[36:37]
	s_waitcnt vmcnt(4) lgkmcnt(0)
	v_mul_f64 v[30:31], v[22:23], v[161:162]
	v_mul_f64 v[32:33], v[24:25], v[161:162]
	v_add_f64 v[26:27], v[28:29], v[26:27]
	v_add_f64 v[28:29], v[42:43], v[165:166]
	v_fma_f64 v[42:43], v[4:5], v[34:35], v[44:45]
	v_fma_f64 v[34:35], v[2:3], v[34:35], -v[36:37]
	v_fma_f64 v[24:25], v[24:25], v[159:160], v[30:31]
	v_fma_f64 v[22:23], v[22:23], v[159:160], -v[32:33]
	v_add_f64 v[26:27], v[26:27], v[18:19]
	v_add_f64 v[28:29], v[28:29], v[20:21]
	ds_load_b128 v[2:5], v1 offset:1088
	ds_load_b128 v[18:21], v1 offset:1104
	s_waitcnt vmcnt(3) lgkmcnt(1)
	v_mul_f64 v[36:37], v[2:3], v[40:41]
	v_mul_f64 v[40:41], v[4:5], v[40:41]
	s_waitcnt vmcnt(2) lgkmcnt(0)
	v_mul_f64 v[30:31], v[18:19], v[8:9]
	v_mul_f64 v[8:9], v[20:21], v[8:9]
	v_add_f64 v[26:27], v[26:27], v[34:35]
	v_add_f64 v[28:29], v[28:29], v[42:43]
	v_fma_f64 v[32:33], v[4:5], v[38:39], v[36:37]
	v_fma_f64 v[34:35], v[2:3], v[38:39], -v[40:41]
	v_fma_f64 v[20:21], v[20:21], v[6:7], v[30:31]
	v_fma_f64 v[6:7], v[18:19], v[6:7], -v[8:9]
	v_add_f64 v[26:27], v[26:27], v[22:23]
	v_add_f64 v[28:29], v[28:29], v[24:25]
	ds_load_b128 v[2:5], v1 offset:1120
	ds_load_b128 v[22:25], v1 offset:1136
	s_waitcnt vmcnt(1) lgkmcnt(1)
	v_mul_f64 v[36:37], v[2:3], v[12:13]
	v_mul_f64 v[12:13], v[4:5], v[12:13]
	v_add_f64 v[8:9], v[26:27], v[34:35]
	v_add_f64 v[18:19], v[28:29], v[32:33]
	s_waitcnt vmcnt(0) lgkmcnt(0)
	v_mul_f64 v[26:27], v[22:23], v[16:17]
	v_mul_f64 v[16:17], v[24:25], v[16:17]
	v_fma_f64 v[4:5], v[4:5], v[10:11], v[36:37]
	v_fma_f64 v[1:2], v[2:3], v[10:11], -v[12:13]
	v_add_f64 v[6:7], v[8:9], v[6:7]
	v_add_f64 v[8:9], v[18:19], v[20:21]
	v_fma_f64 v[10:11], v[24:25], v[14:15], v[26:27]
	v_fma_f64 v[12:13], v[22:23], v[14:15], -v[16:17]
	s_delay_alu instid0(VALU_DEP_4) | instskip(NEXT) | instid1(VALU_DEP_4)
	v_add_f64 v[1:2], v[6:7], v[1:2]
	v_add_f64 v[3:4], v[8:9], v[4:5]
	s_delay_alu instid0(VALU_DEP_2) | instskip(NEXT) | instid1(VALU_DEP_2)
	v_add_f64 v[1:2], v[1:2], v[12:13]
	v_add_f64 v[3:4], v[3:4], v[10:11]
	s_delay_alu instid0(VALU_DEP_2) | instskip(NEXT) | instid1(VALU_DEP_2)
	v_add_f64 v[1:2], v[155:156], -v[1:2]
	v_add_f64 v[3:4], v[157:158], -v[3:4]
	scratch_store_b128 off, v[1:4], off offset:336
	v_cmpx_lt_u32_e32 20, v118
	s_cbranch_execz .LBB99_189
; %bb.188:
	scratch_load_b128 v[1:4], v153, off
	v_mov_b32_e32 v5, 0
	s_delay_alu instid0(VALU_DEP_1)
	v_mov_b32_e32 v6, v5
	v_mov_b32_e32 v7, v5
	v_mov_b32_e32 v8, v5
	scratch_store_b128 off, v[5:8], off offset:320
	s_waitcnt vmcnt(0)
	ds_store_b128 v154, v[1:4]
.LBB99_189:
	s_or_b32 exec_lo, exec_lo, s2
	s_waitcnt lgkmcnt(0)
	s_waitcnt_vscnt null, 0x0
	s_barrier
	buffer_gl0_inv
	s_clause 0x7
	scratch_load_b128 v[2:5], off, off offset:336
	scratch_load_b128 v[6:9], off, off offset:352
	;; [unrolled: 1-line block ×8, first 2 shown]
	v_mov_b32_e32 v1, 0
	s_mov_b32 s2, exec_lo
	ds_load_b128 v[34:37], v1 offset:912
	s_clause 0x1
	scratch_load_b128 v[38:41], off, off offset:464
	scratch_load_b128 v[42:45], off, off offset:320
	ds_load_b128 v[155:158], v1 offset:928
	scratch_load_b128 v[159:162], off, off offset:480
	s_waitcnt vmcnt(10) lgkmcnt(1)
	v_mul_f64 v[163:164], v[36:37], v[4:5]
	v_mul_f64 v[4:5], v[34:35], v[4:5]
	s_delay_alu instid0(VALU_DEP_2) | instskip(NEXT) | instid1(VALU_DEP_2)
	v_fma_f64 v[169:170], v[34:35], v[2:3], -v[163:164]
	v_fma_f64 v[171:172], v[36:37], v[2:3], v[4:5]
	scratch_load_b128 v[34:37], off, off offset:496
	ds_load_b128 v[2:5], v1 offset:944
	s_waitcnt vmcnt(10) lgkmcnt(1)
	v_mul_f64 v[167:168], v[155:156], v[8:9]
	v_mul_f64 v[8:9], v[157:158], v[8:9]
	ds_load_b128 v[163:166], v1 offset:960
	s_waitcnt vmcnt(9) lgkmcnt(1)
	v_mul_f64 v[173:174], v[2:3], v[12:13]
	v_mul_f64 v[12:13], v[4:5], v[12:13]
	v_fma_f64 v[157:158], v[157:158], v[6:7], v[167:168]
	v_fma_f64 v[155:156], v[155:156], v[6:7], -v[8:9]
	v_add_f64 v[167:168], v[169:170], 0
	v_add_f64 v[169:170], v[171:172], 0
	scratch_load_b128 v[6:9], off, off offset:512
	v_fma_f64 v[173:174], v[4:5], v[10:11], v[173:174]
	v_fma_f64 v[175:176], v[2:3], v[10:11], -v[12:13]
	scratch_load_b128 v[10:13], off, off offset:528
	ds_load_b128 v[2:5], v1 offset:976
	s_waitcnt vmcnt(10) lgkmcnt(1)
	v_mul_f64 v[171:172], v[163:164], v[16:17]
	v_mul_f64 v[16:17], v[165:166], v[16:17]
	v_add_f64 v[167:168], v[167:168], v[155:156]
	v_add_f64 v[169:170], v[169:170], v[157:158]
	s_waitcnt vmcnt(9) lgkmcnt(0)
	v_mul_f64 v[177:178], v[2:3], v[20:21]
	v_mul_f64 v[20:21], v[4:5], v[20:21]
	ds_load_b128 v[155:158], v1 offset:992
	v_fma_f64 v[165:166], v[165:166], v[14:15], v[171:172]
	v_fma_f64 v[163:164], v[163:164], v[14:15], -v[16:17]
	scratch_load_b128 v[14:17], off, off offset:544
	v_add_f64 v[167:168], v[167:168], v[175:176]
	v_add_f64 v[169:170], v[169:170], v[173:174]
	v_fma_f64 v[173:174], v[4:5], v[18:19], v[177:178]
	v_fma_f64 v[175:176], v[2:3], v[18:19], -v[20:21]
	scratch_load_b128 v[18:21], off, off offset:560
	ds_load_b128 v[2:5], v1 offset:1008
	s_waitcnt vmcnt(10) lgkmcnt(1)
	v_mul_f64 v[171:172], v[155:156], v[24:25]
	v_mul_f64 v[24:25], v[157:158], v[24:25]
	s_waitcnt vmcnt(9) lgkmcnt(0)
	v_mul_f64 v[177:178], v[2:3], v[28:29]
	v_mul_f64 v[28:29], v[4:5], v[28:29]
	v_add_f64 v[167:168], v[167:168], v[163:164]
	v_add_f64 v[169:170], v[169:170], v[165:166]
	ds_load_b128 v[163:166], v1 offset:1024
	v_fma_f64 v[157:158], v[157:158], v[22:23], v[171:172]
	v_fma_f64 v[22:23], v[155:156], v[22:23], -v[24:25]
	v_add_f64 v[24:25], v[167:168], v[175:176]
	v_add_f64 v[155:156], v[169:170], v[173:174]
	s_waitcnt vmcnt(8) lgkmcnt(0)
	v_mul_f64 v[167:168], v[163:164], v[32:33]
	v_mul_f64 v[32:33], v[165:166], v[32:33]
	v_fma_f64 v[169:170], v[4:5], v[26:27], v[177:178]
	v_fma_f64 v[26:27], v[2:3], v[26:27], -v[28:29]
	v_add_f64 v[28:29], v[24:25], v[22:23]
	v_add_f64 v[155:156], v[155:156], v[157:158]
	ds_load_b128 v[2:5], v1 offset:1040
	ds_load_b128 v[22:25], v1 offset:1056
	v_fma_f64 v[165:166], v[165:166], v[30:31], v[167:168]
	v_fma_f64 v[30:31], v[163:164], v[30:31], -v[32:33]
	s_waitcnt vmcnt(7) lgkmcnt(1)
	v_mul_f64 v[157:158], v[2:3], v[40:41]
	v_mul_f64 v[40:41], v[4:5], v[40:41]
	s_waitcnt vmcnt(5) lgkmcnt(0)
	v_mul_f64 v[32:33], v[22:23], v[161:162]
	v_add_f64 v[26:27], v[28:29], v[26:27]
	v_add_f64 v[28:29], v[155:156], v[169:170]
	v_mul_f64 v[155:156], v[24:25], v[161:162]
	v_fma_f64 v[157:158], v[4:5], v[38:39], v[157:158]
	v_fma_f64 v[38:39], v[2:3], v[38:39], -v[40:41]
	v_fma_f64 v[24:25], v[24:25], v[159:160], v[32:33]
	v_add_f64 v[30:31], v[26:27], v[30:31]
	v_add_f64 v[40:41], v[28:29], v[165:166]
	ds_load_b128 v[2:5], v1 offset:1072
	ds_load_b128 v[26:29], v1 offset:1088
	v_fma_f64 v[22:23], v[22:23], v[159:160], -v[155:156]
	s_waitcnt vmcnt(4) lgkmcnt(1)
	v_mul_f64 v[161:162], v[2:3], v[36:37]
	v_mul_f64 v[36:37], v[4:5], v[36:37]
	v_add_f64 v[30:31], v[30:31], v[38:39]
	v_add_f64 v[32:33], v[40:41], v[157:158]
	s_waitcnt vmcnt(3) lgkmcnt(0)
	v_mul_f64 v[38:39], v[26:27], v[8:9]
	v_mul_f64 v[8:9], v[28:29], v[8:9]
	v_fma_f64 v[40:41], v[4:5], v[34:35], v[161:162]
	v_fma_f64 v[34:35], v[2:3], v[34:35], -v[36:37]
	v_add_f64 v[30:31], v[30:31], v[22:23]
	v_add_f64 v[32:33], v[32:33], v[24:25]
	ds_load_b128 v[2:5], v1 offset:1104
	ds_load_b128 v[22:25], v1 offset:1120
	v_fma_f64 v[28:29], v[28:29], v[6:7], v[38:39]
	v_fma_f64 v[6:7], v[26:27], v[6:7], -v[8:9]
	s_waitcnt vmcnt(2) lgkmcnt(1)
	v_mul_f64 v[36:37], v[2:3], v[12:13]
	v_mul_f64 v[12:13], v[4:5], v[12:13]
	v_add_f64 v[8:9], v[30:31], v[34:35]
	v_add_f64 v[26:27], v[32:33], v[40:41]
	s_waitcnt vmcnt(1) lgkmcnt(0)
	v_mul_f64 v[30:31], v[22:23], v[16:17]
	v_mul_f64 v[16:17], v[24:25], v[16:17]
	v_fma_f64 v[32:33], v[4:5], v[10:11], v[36:37]
	v_fma_f64 v[10:11], v[2:3], v[10:11], -v[12:13]
	ds_load_b128 v[2:5], v1 offset:1136
	v_add_f64 v[6:7], v[8:9], v[6:7]
	v_add_f64 v[8:9], v[26:27], v[28:29]
	v_fma_f64 v[24:25], v[24:25], v[14:15], v[30:31]
	v_fma_f64 v[14:15], v[22:23], v[14:15], -v[16:17]
	s_waitcnt vmcnt(0) lgkmcnt(0)
	v_mul_f64 v[12:13], v[2:3], v[20:21]
	v_mul_f64 v[20:21], v[4:5], v[20:21]
	v_add_f64 v[6:7], v[6:7], v[10:11]
	v_add_f64 v[8:9], v[8:9], v[32:33]
	s_delay_alu instid0(VALU_DEP_4) | instskip(NEXT) | instid1(VALU_DEP_4)
	v_fma_f64 v[4:5], v[4:5], v[18:19], v[12:13]
	v_fma_f64 v[2:3], v[2:3], v[18:19], -v[20:21]
	s_delay_alu instid0(VALU_DEP_4) | instskip(NEXT) | instid1(VALU_DEP_4)
	v_add_f64 v[6:7], v[6:7], v[14:15]
	v_add_f64 v[8:9], v[8:9], v[24:25]
	s_delay_alu instid0(VALU_DEP_2) | instskip(NEXT) | instid1(VALU_DEP_2)
	v_add_f64 v[2:3], v[6:7], v[2:3]
	v_add_f64 v[4:5], v[8:9], v[4:5]
	s_delay_alu instid0(VALU_DEP_2) | instskip(NEXT) | instid1(VALU_DEP_2)
	v_add_f64 v[2:3], v[42:43], -v[2:3]
	v_add_f64 v[4:5], v[44:45], -v[4:5]
	scratch_store_b128 off, v[2:5], off offset:320
	v_cmpx_lt_u32_e32 19, v118
	s_cbranch_execz .LBB99_191
; %bb.190:
	scratch_load_b128 v[5:8], v126, off
	v_mov_b32_e32 v2, v1
	v_mov_b32_e32 v3, v1
	;; [unrolled: 1-line block ×3, first 2 shown]
	scratch_store_b128 off, v[1:4], off offset:304
	s_waitcnt vmcnt(0)
	ds_store_b128 v154, v[5:8]
.LBB99_191:
	s_or_b32 exec_lo, exec_lo, s2
	s_waitcnt lgkmcnt(0)
	s_waitcnt_vscnt null, 0x0
	s_barrier
	buffer_gl0_inv
	s_clause 0x8
	scratch_load_b128 v[2:5], off, off offset:320
	scratch_load_b128 v[6:9], off, off offset:336
	;; [unrolled: 1-line block ×9, first 2 shown]
	ds_load_b128 v[38:41], v1 offset:896
	ds_load_b128 v[42:45], v1 offset:912
	s_clause 0x1
	scratch_load_b128 v[155:158], off, off offset:304
	scratch_load_b128 v[159:162], off, off offset:464
	s_mov_b32 s2, exec_lo
	s_waitcnt vmcnt(10) lgkmcnt(1)
	v_mul_f64 v[163:164], v[40:41], v[4:5]
	v_mul_f64 v[4:5], v[38:39], v[4:5]
	s_waitcnt vmcnt(9) lgkmcnt(0)
	v_mul_f64 v[167:168], v[42:43], v[8:9]
	v_mul_f64 v[8:9], v[44:45], v[8:9]
	s_delay_alu instid0(VALU_DEP_4) | instskip(NEXT) | instid1(VALU_DEP_4)
	v_fma_f64 v[169:170], v[38:39], v[2:3], -v[163:164]
	v_fma_f64 v[171:172], v[40:41], v[2:3], v[4:5]
	ds_load_b128 v[2:5], v1 offset:928
	ds_load_b128 v[163:166], v1 offset:944
	scratch_load_b128 v[38:41], off, off offset:480
	v_fma_f64 v[44:45], v[44:45], v[6:7], v[167:168]
	v_fma_f64 v[42:43], v[42:43], v[6:7], -v[8:9]
	scratch_load_b128 v[6:9], off, off offset:496
	s_waitcnt vmcnt(10) lgkmcnt(1)
	v_mul_f64 v[173:174], v[2:3], v[12:13]
	v_mul_f64 v[12:13], v[4:5], v[12:13]
	v_add_f64 v[167:168], v[169:170], 0
	v_add_f64 v[169:170], v[171:172], 0
	s_waitcnt vmcnt(9) lgkmcnt(0)
	v_mul_f64 v[171:172], v[163:164], v[16:17]
	v_mul_f64 v[16:17], v[165:166], v[16:17]
	v_fma_f64 v[173:174], v[4:5], v[10:11], v[173:174]
	v_fma_f64 v[175:176], v[2:3], v[10:11], -v[12:13]
	ds_load_b128 v[2:5], v1 offset:960
	scratch_load_b128 v[10:13], off, off offset:512
	v_add_f64 v[167:168], v[167:168], v[42:43]
	v_add_f64 v[169:170], v[169:170], v[44:45]
	ds_load_b128 v[42:45], v1 offset:976
	v_fma_f64 v[165:166], v[165:166], v[14:15], v[171:172]
	v_fma_f64 v[163:164], v[163:164], v[14:15], -v[16:17]
	scratch_load_b128 v[14:17], off, off offset:528
	s_waitcnt vmcnt(10) lgkmcnt(1)
	v_mul_f64 v[177:178], v[2:3], v[20:21]
	v_mul_f64 v[20:21], v[4:5], v[20:21]
	s_waitcnt vmcnt(9) lgkmcnt(0)
	v_mul_f64 v[171:172], v[42:43], v[24:25]
	v_mul_f64 v[24:25], v[44:45], v[24:25]
	v_add_f64 v[167:168], v[167:168], v[175:176]
	v_add_f64 v[169:170], v[169:170], v[173:174]
	v_fma_f64 v[173:174], v[4:5], v[18:19], v[177:178]
	v_fma_f64 v[175:176], v[2:3], v[18:19], -v[20:21]
	ds_load_b128 v[2:5], v1 offset:992
	scratch_load_b128 v[18:21], off, off offset:544
	v_fma_f64 v[44:45], v[44:45], v[22:23], v[171:172]
	v_fma_f64 v[42:43], v[42:43], v[22:23], -v[24:25]
	scratch_load_b128 v[22:25], off, off offset:560
	v_add_f64 v[167:168], v[167:168], v[163:164]
	v_add_f64 v[169:170], v[169:170], v[165:166]
	ds_load_b128 v[163:166], v1 offset:1008
	s_waitcnt vmcnt(10) lgkmcnt(1)
	v_mul_f64 v[177:178], v[2:3], v[28:29]
	v_mul_f64 v[28:29], v[4:5], v[28:29]
	s_waitcnt vmcnt(9) lgkmcnt(0)
	v_mul_f64 v[171:172], v[163:164], v[32:33]
	v_mul_f64 v[32:33], v[165:166], v[32:33]
	v_add_f64 v[167:168], v[167:168], v[175:176]
	v_add_f64 v[169:170], v[169:170], v[173:174]
	v_fma_f64 v[173:174], v[4:5], v[26:27], v[177:178]
	v_fma_f64 v[175:176], v[2:3], v[26:27], -v[28:29]
	ds_load_b128 v[2:5], v1 offset:1024
	ds_load_b128 v[26:29], v1 offset:1040
	v_fma_f64 v[165:166], v[165:166], v[30:31], v[171:172]
	v_fma_f64 v[30:31], v[163:164], v[30:31], -v[32:33]
	v_add_f64 v[42:43], v[167:168], v[42:43]
	v_add_f64 v[44:45], v[169:170], v[44:45]
	s_waitcnt vmcnt(8) lgkmcnt(1)
	v_mul_f64 v[167:168], v[2:3], v[36:37]
	v_mul_f64 v[36:37], v[4:5], v[36:37]
	s_delay_alu instid0(VALU_DEP_4) | instskip(NEXT) | instid1(VALU_DEP_4)
	v_add_f64 v[32:33], v[42:43], v[175:176]
	v_add_f64 v[42:43], v[44:45], v[173:174]
	s_waitcnt vmcnt(6) lgkmcnt(0)
	v_mul_f64 v[44:45], v[26:27], v[161:162]
	v_mul_f64 v[161:162], v[28:29], v[161:162]
	v_fma_f64 v[163:164], v[4:5], v[34:35], v[167:168]
	v_fma_f64 v[34:35], v[2:3], v[34:35], -v[36:37]
	v_add_f64 v[36:37], v[32:33], v[30:31]
	v_add_f64 v[42:43], v[42:43], v[165:166]
	ds_load_b128 v[2:5], v1 offset:1056
	ds_load_b128 v[30:33], v1 offset:1072
	v_fma_f64 v[28:29], v[28:29], v[159:160], v[44:45]
	v_fma_f64 v[26:27], v[26:27], v[159:160], -v[161:162]
	s_waitcnt vmcnt(5) lgkmcnt(1)
	v_mul_f64 v[165:166], v[2:3], v[40:41]
	v_mul_f64 v[40:41], v[4:5], v[40:41]
	v_add_f64 v[34:35], v[36:37], v[34:35]
	v_add_f64 v[36:37], v[42:43], v[163:164]
	s_waitcnt vmcnt(4) lgkmcnt(0)
	v_mul_f64 v[42:43], v[30:31], v[8:9]
	v_mul_f64 v[8:9], v[32:33], v[8:9]
	v_fma_f64 v[44:45], v[4:5], v[38:39], v[165:166]
	v_fma_f64 v[38:39], v[2:3], v[38:39], -v[40:41]
	v_add_f64 v[34:35], v[34:35], v[26:27]
	v_add_f64 v[36:37], v[36:37], v[28:29]
	ds_load_b128 v[2:5], v1 offset:1088
	ds_load_b128 v[26:29], v1 offset:1104
	v_fma_f64 v[32:33], v[32:33], v[6:7], v[42:43]
	v_fma_f64 v[6:7], v[30:31], v[6:7], -v[8:9]
	s_waitcnt vmcnt(3) lgkmcnt(1)
	v_mul_f64 v[40:41], v[2:3], v[12:13]
	v_mul_f64 v[12:13], v[4:5], v[12:13]
	;; [unrolled: 16-line block ×3, first 2 shown]
	s_waitcnt vmcnt(0) lgkmcnt(0)
	v_mul_f64 v[16:17], v[6:7], v[24:25]
	v_mul_f64 v[24:25], v[8:9], v[24:25]
	v_add_f64 v[10:11], v[12:13], v[10:11]
	v_add_f64 v[12:13], v[30:31], v[36:37]
	v_fma_f64 v[4:5], v[4:5], v[18:19], v[32:33]
	v_fma_f64 v[1:2], v[2:3], v[18:19], -v[20:21]
	v_fma_f64 v[8:9], v[8:9], v[22:23], v[16:17]
	v_fma_f64 v[6:7], v[6:7], v[22:23], -v[24:25]
	v_add_f64 v[10:11], v[10:11], v[14:15]
	v_add_f64 v[12:13], v[12:13], v[28:29]
	s_delay_alu instid0(VALU_DEP_2) | instskip(NEXT) | instid1(VALU_DEP_2)
	v_add_f64 v[1:2], v[10:11], v[1:2]
	v_add_f64 v[3:4], v[12:13], v[4:5]
	s_delay_alu instid0(VALU_DEP_2) | instskip(NEXT) | instid1(VALU_DEP_2)
	;; [unrolled: 3-line block ×3, first 2 shown]
	v_add_f64 v[1:2], v[155:156], -v[1:2]
	v_add_f64 v[3:4], v[157:158], -v[3:4]
	scratch_store_b128 off, v[1:4], off offset:304
	v_cmpx_lt_u32_e32 18, v118
	s_cbranch_execz .LBB99_193
; %bb.192:
	scratch_load_b128 v[1:4], v125, off
	v_mov_b32_e32 v5, 0
	s_delay_alu instid0(VALU_DEP_1)
	v_mov_b32_e32 v6, v5
	v_mov_b32_e32 v7, v5
	;; [unrolled: 1-line block ×3, first 2 shown]
	scratch_store_b128 off, v[5:8], off offset:288
	s_waitcnt vmcnt(0)
	ds_store_b128 v154, v[1:4]
.LBB99_193:
	s_or_b32 exec_lo, exec_lo, s2
	s_waitcnt lgkmcnt(0)
	s_waitcnt_vscnt null, 0x0
	s_barrier
	buffer_gl0_inv
	s_clause 0x7
	scratch_load_b128 v[2:5], off, off offset:304
	scratch_load_b128 v[6:9], off, off offset:320
	;; [unrolled: 1-line block ×8, first 2 shown]
	v_mov_b32_e32 v1, 0
	s_mov_b32 s2, exec_lo
	ds_load_b128 v[34:37], v1 offset:880
	s_clause 0x1
	scratch_load_b128 v[38:41], off, off offset:432
	scratch_load_b128 v[42:45], off, off offset:288
	ds_load_b128 v[155:158], v1 offset:896
	scratch_load_b128 v[159:162], off, off offset:448
	s_waitcnt vmcnt(10) lgkmcnt(1)
	v_mul_f64 v[163:164], v[36:37], v[4:5]
	v_mul_f64 v[4:5], v[34:35], v[4:5]
	s_delay_alu instid0(VALU_DEP_2) | instskip(NEXT) | instid1(VALU_DEP_2)
	v_fma_f64 v[169:170], v[34:35], v[2:3], -v[163:164]
	v_fma_f64 v[171:172], v[36:37], v[2:3], v[4:5]
	scratch_load_b128 v[34:37], off, off offset:464
	ds_load_b128 v[2:5], v1 offset:912
	s_waitcnt vmcnt(10) lgkmcnt(1)
	v_mul_f64 v[167:168], v[155:156], v[8:9]
	v_mul_f64 v[8:9], v[157:158], v[8:9]
	ds_load_b128 v[163:166], v1 offset:928
	s_waitcnt vmcnt(9) lgkmcnt(1)
	v_mul_f64 v[173:174], v[2:3], v[12:13]
	v_mul_f64 v[12:13], v[4:5], v[12:13]
	v_fma_f64 v[157:158], v[157:158], v[6:7], v[167:168]
	v_fma_f64 v[155:156], v[155:156], v[6:7], -v[8:9]
	v_add_f64 v[167:168], v[169:170], 0
	v_add_f64 v[169:170], v[171:172], 0
	scratch_load_b128 v[6:9], off, off offset:480
	v_fma_f64 v[173:174], v[4:5], v[10:11], v[173:174]
	v_fma_f64 v[175:176], v[2:3], v[10:11], -v[12:13]
	scratch_load_b128 v[10:13], off, off offset:496
	ds_load_b128 v[2:5], v1 offset:944
	s_waitcnt vmcnt(10) lgkmcnt(1)
	v_mul_f64 v[171:172], v[163:164], v[16:17]
	v_mul_f64 v[16:17], v[165:166], v[16:17]
	v_add_f64 v[167:168], v[167:168], v[155:156]
	v_add_f64 v[169:170], v[169:170], v[157:158]
	s_waitcnt vmcnt(9) lgkmcnt(0)
	v_mul_f64 v[177:178], v[2:3], v[20:21]
	v_mul_f64 v[20:21], v[4:5], v[20:21]
	ds_load_b128 v[155:158], v1 offset:960
	v_fma_f64 v[165:166], v[165:166], v[14:15], v[171:172]
	v_fma_f64 v[163:164], v[163:164], v[14:15], -v[16:17]
	scratch_load_b128 v[14:17], off, off offset:512
	v_add_f64 v[167:168], v[167:168], v[175:176]
	v_add_f64 v[169:170], v[169:170], v[173:174]
	v_fma_f64 v[173:174], v[4:5], v[18:19], v[177:178]
	v_fma_f64 v[175:176], v[2:3], v[18:19], -v[20:21]
	scratch_load_b128 v[18:21], off, off offset:528
	ds_load_b128 v[2:5], v1 offset:976
	s_waitcnt vmcnt(10) lgkmcnt(1)
	v_mul_f64 v[171:172], v[155:156], v[24:25]
	v_mul_f64 v[24:25], v[157:158], v[24:25]
	s_waitcnt vmcnt(9) lgkmcnt(0)
	v_mul_f64 v[177:178], v[2:3], v[28:29]
	v_mul_f64 v[28:29], v[4:5], v[28:29]
	v_add_f64 v[167:168], v[167:168], v[163:164]
	v_add_f64 v[169:170], v[169:170], v[165:166]
	ds_load_b128 v[163:166], v1 offset:992
	v_fma_f64 v[157:158], v[157:158], v[22:23], v[171:172]
	v_fma_f64 v[155:156], v[155:156], v[22:23], -v[24:25]
	scratch_load_b128 v[22:25], off, off offset:544
	v_add_f64 v[167:168], v[167:168], v[175:176]
	v_add_f64 v[169:170], v[169:170], v[173:174]
	v_fma_f64 v[173:174], v[4:5], v[26:27], v[177:178]
	v_fma_f64 v[175:176], v[2:3], v[26:27], -v[28:29]
	scratch_load_b128 v[26:29], off, off offset:560
	ds_load_b128 v[2:5], v1 offset:1008
	s_waitcnt vmcnt(10) lgkmcnt(1)
	v_mul_f64 v[171:172], v[163:164], v[32:33]
	v_mul_f64 v[32:33], v[165:166], v[32:33]
	s_waitcnt vmcnt(9) lgkmcnt(0)
	v_mul_f64 v[177:178], v[2:3], v[40:41]
	v_mul_f64 v[40:41], v[4:5], v[40:41]
	v_add_f64 v[167:168], v[167:168], v[155:156]
	v_add_f64 v[169:170], v[169:170], v[157:158]
	ds_load_b128 v[155:158], v1 offset:1024
	v_fma_f64 v[165:166], v[165:166], v[30:31], v[171:172]
	v_fma_f64 v[30:31], v[163:164], v[30:31], -v[32:33]
	v_add_f64 v[32:33], v[167:168], v[175:176]
	v_add_f64 v[163:164], v[169:170], v[173:174]
	s_waitcnt vmcnt(7) lgkmcnt(0)
	v_mul_f64 v[167:168], v[155:156], v[161:162]
	v_mul_f64 v[161:162], v[157:158], v[161:162]
	v_fma_f64 v[169:170], v[4:5], v[38:39], v[177:178]
	v_fma_f64 v[38:39], v[2:3], v[38:39], -v[40:41]
	v_add_f64 v[40:41], v[32:33], v[30:31]
	v_add_f64 v[163:164], v[163:164], v[165:166]
	ds_load_b128 v[2:5], v1 offset:1040
	ds_load_b128 v[30:33], v1 offset:1056
	v_fma_f64 v[157:158], v[157:158], v[159:160], v[167:168]
	v_fma_f64 v[155:156], v[155:156], v[159:160], -v[161:162]
	s_waitcnt vmcnt(6) lgkmcnt(1)
	v_mul_f64 v[165:166], v[2:3], v[36:37]
	v_mul_f64 v[36:37], v[4:5], v[36:37]
	v_add_f64 v[38:39], v[40:41], v[38:39]
	v_add_f64 v[40:41], v[163:164], v[169:170]
	s_waitcnt vmcnt(5) lgkmcnt(0)
	v_mul_f64 v[159:160], v[30:31], v[8:9]
	v_mul_f64 v[8:9], v[32:33], v[8:9]
	v_fma_f64 v[161:162], v[4:5], v[34:35], v[165:166]
	v_fma_f64 v[163:164], v[2:3], v[34:35], -v[36:37]
	ds_load_b128 v[2:5], v1 offset:1072
	ds_load_b128 v[34:37], v1 offset:1088
	v_add_f64 v[38:39], v[38:39], v[155:156]
	v_add_f64 v[40:41], v[40:41], v[157:158]
	s_waitcnt vmcnt(4) lgkmcnt(1)
	v_mul_f64 v[155:156], v[2:3], v[12:13]
	v_mul_f64 v[12:13], v[4:5], v[12:13]
	v_fma_f64 v[32:33], v[32:33], v[6:7], v[159:160]
	v_fma_f64 v[6:7], v[30:31], v[6:7], -v[8:9]
	v_add_f64 v[8:9], v[38:39], v[163:164]
	v_add_f64 v[30:31], v[40:41], v[161:162]
	s_waitcnt vmcnt(3) lgkmcnt(0)
	v_mul_f64 v[38:39], v[34:35], v[16:17]
	v_mul_f64 v[16:17], v[36:37], v[16:17]
	v_fma_f64 v[40:41], v[4:5], v[10:11], v[155:156]
	v_fma_f64 v[10:11], v[2:3], v[10:11], -v[12:13]
	v_add_f64 v[12:13], v[8:9], v[6:7]
	v_add_f64 v[30:31], v[30:31], v[32:33]
	ds_load_b128 v[2:5], v1 offset:1104
	ds_load_b128 v[6:9], v1 offset:1120
	v_fma_f64 v[36:37], v[36:37], v[14:15], v[38:39]
	v_fma_f64 v[14:15], v[34:35], v[14:15], -v[16:17]
	s_waitcnt vmcnt(2) lgkmcnt(1)
	v_mul_f64 v[32:33], v[2:3], v[20:21]
	v_mul_f64 v[20:21], v[4:5], v[20:21]
	s_waitcnt vmcnt(1) lgkmcnt(0)
	v_mul_f64 v[16:17], v[6:7], v[24:25]
	v_mul_f64 v[24:25], v[8:9], v[24:25]
	v_add_f64 v[10:11], v[12:13], v[10:11]
	v_add_f64 v[12:13], v[30:31], v[40:41]
	v_fma_f64 v[30:31], v[4:5], v[18:19], v[32:33]
	v_fma_f64 v[18:19], v[2:3], v[18:19], -v[20:21]
	ds_load_b128 v[2:5], v1 offset:1136
	v_fma_f64 v[8:9], v[8:9], v[22:23], v[16:17]
	v_fma_f64 v[6:7], v[6:7], v[22:23], -v[24:25]
	v_add_f64 v[10:11], v[10:11], v[14:15]
	v_add_f64 v[12:13], v[12:13], v[36:37]
	s_waitcnt vmcnt(0) lgkmcnt(0)
	v_mul_f64 v[14:15], v[2:3], v[28:29]
	v_mul_f64 v[20:21], v[4:5], v[28:29]
	s_delay_alu instid0(VALU_DEP_4) | instskip(NEXT) | instid1(VALU_DEP_4)
	v_add_f64 v[10:11], v[10:11], v[18:19]
	v_add_f64 v[12:13], v[12:13], v[30:31]
	s_delay_alu instid0(VALU_DEP_4) | instskip(NEXT) | instid1(VALU_DEP_4)
	v_fma_f64 v[4:5], v[4:5], v[26:27], v[14:15]
	v_fma_f64 v[2:3], v[2:3], v[26:27], -v[20:21]
	s_delay_alu instid0(VALU_DEP_4) | instskip(NEXT) | instid1(VALU_DEP_4)
	v_add_f64 v[6:7], v[10:11], v[6:7]
	v_add_f64 v[8:9], v[12:13], v[8:9]
	s_delay_alu instid0(VALU_DEP_2) | instskip(NEXT) | instid1(VALU_DEP_2)
	v_add_f64 v[2:3], v[6:7], v[2:3]
	v_add_f64 v[4:5], v[8:9], v[4:5]
	s_delay_alu instid0(VALU_DEP_2) | instskip(NEXT) | instid1(VALU_DEP_2)
	v_add_f64 v[2:3], v[42:43], -v[2:3]
	v_add_f64 v[4:5], v[44:45], -v[4:5]
	scratch_store_b128 off, v[2:5], off offset:288
	v_cmpx_lt_u32_e32 17, v118
	s_cbranch_execz .LBB99_195
; %bb.194:
	scratch_load_b128 v[5:8], v127, off
	v_mov_b32_e32 v2, v1
	v_mov_b32_e32 v3, v1
	;; [unrolled: 1-line block ×3, first 2 shown]
	scratch_store_b128 off, v[1:4], off offset:272
	s_waitcnt vmcnt(0)
	ds_store_b128 v154, v[5:8]
.LBB99_195:
	s_or_b32 exec_lo, exec_lo, s2
	s_waitcnt lgkmcnt(0)
	s_waitcnt_vscnt null, 0x0
	s_barrier
	buffer_gl0_inv
	s_clause 0x8
	scratch_load_b128 v[2:5], off, off offset:288
	scratch_load_b128 v[6:9], off, off offset:304
	;; [unrolled: 1-line block ×9, first 2 shown]
	ds_load_b128 v[38:41], v1 offset:864
	ds_load_b128 v[42:45], v1 offset:880
	s_clause 0x1
	scratch_load_b128 v[155:158], off, off offset:272
	scratch_load_b128 v[159:162], off, off offset:432
	s_mov_b32 s2, exec_lo
	s_waitcnt vmcnt(10) lgkmcnt(1)
	v_mul_f64 v[163:164], v[40:41], v[4:5]
	v_mul_f64 v[4:5], v[38:39], v[4:5]
	s_waitcnt vmcnt(9) lgkmcnt(0)
	v_mul_f64 v[167:168], v[42:43], v[8:9]
	v_mul_f64 v[8:9], v[44:45], v[8:9]
	s_delay_alu instid0(VALU_DEP_4) | instskip(NEXT) | instid1(VALU_DEP_4)
	v_fma_f64 v[169:170], v[38:39], v[2:3], -v[163:164]
	v_fma_f64 v[171:172], v[40:41], v[2:3], v[4:5]
	ds_load_b128 v[2:5], v1 offset:896
	ds_load_b128 v[163:166], v1 offset:912
	scratch_load_b128 v[38:41], off, off offset:448
	v_fma_f64 v[44:45], v[44:45], v[6:7], v[167:168]
	v_fma_f64 v[42:43], v[42:43], v[6:7], -v[8:9]
	scratch_load_b128 v[6:9], off, off offset:464
	s_waitcnt vmcnt(10) lgkmcnt(1)
	v_mul_f64 v[173:174], v[2:3], v[12:13]
	v_mul_f64 v[12:13], v[4:5], v[12:13]
	v_add_f64 v[167:168], v[169:170], 0
	v_add_f64 v[169:170], v[171:172], 0
	s_waitcnt vmcnt(9) lgkmcnt(0)
	v_mul_f64 v[171:172], v[163:164], v[16:17]
	v_mul_f64 v[16:17], v[165:166], v[16:17]
	v_fma_f64 v[173:174], v[4:5], v[10:11], v[173:174]
	v_fma_f64 v[175:176], v[2:3], v[10:11], -v[12:13]
	ds_load_b128 v[2:5], v1 offset:928
	scratch_load_b128 v[10:13], off, off offset:480
	v_add_f64 v[167:168], v[167:168], v[42:43]
	v_add_f64 v[169:170], v[169:170], v[44:45]
	ds_load_b128 v[42:45], v1 offset:944
	v_fma_f64 v[165:166], v[165:166], v[14:15], v[171:172]
	v_fma_f64 v[163:164], v[163:164], v[14:15], -v[16:17]
	scratch_load_b128 v[14:17], off, off offset:496
	s_waitcnt vmcnt(10) lgkmcnt(1)
	v_mul_f64 v[177:178], v[2:3], v[20:21]
	v_mul_f64 v[20:21], v[4:5], v[20:21]
	s_waitcnt vmcnt(9) lgkmcnt(0)
	v_mul_f64 v[171:172], v[42:43], v[24:25]
	v_mul_f64 v[24:25], v[44:45], v[24:25]
	v_add_f64 v[167:168], v[167:168], v[175:176]
	v_add_f64 v[169:170], v[169:170], v[173:174]
	v_fma_f64 v[173:174], v[4:5], v[18:19], v[177:178]
	v_fma_f64 v[175:176], v[2:3], v[18:19], -v[20:21]
	ds_load_b128 v[2:5], v1 offset:960
	scratch_load_b128 v[18:21], off, off offset:512
	v_fma_f64 v[44:45], v[44:45], v[22:23], v[171:172]
	v_fma_f64 v[42:43], v[42:43], v[22:23], -v[24:25]
	scratch_load_b128 v[22:25], off, off offset:528
	v_add_f64 v[167:168], v[167:168], v[163:164]
	v_add_f64 v[169:170], v[169:170], v[165:166]
	ds_load_b128 v[163:166], v1 offset:976
	s_waitcnt vmcnt(10) lgkmcnt(1)
	v_mul_f64 v[177:178], v[2:3], v[28:29]
	v_mul_f64 v[28:29], v[4:5], v[28:29]
	s_waitcnt vmcnt(9) lgkmcnt(0)
	v_mul_f64 v[171:172], v[163:164], v[32:33]
	v_mul_f64 v[32:33], v[165:166], v[32:33]
	v_add_f64 v[167:168], v[167:168], v[175:176]
	v_add_f64 v[169:170], v[169:170], v[173:174]
	v_fma_f64 v[173:174], v[4:5], v[26:27], v[177:178]
	v_fma_f64 v[175:176], v[2:3], v[26:27], -v[28:29]
	ds_load_b128 v[2:5], v1 offset:992
	scratch_load_b128 v[26:29], off, off offset:544
	v_fma_f64 v[165:166], v[165:166], v[30:31], v[171:172]
	v_fma_f64 v[163:164], v[163:164], v[30:31], -v[32:33]
	scratch_load_b128 v[30:33], off, off offset:560
	v_add_f64 v[167:168], v[167:168], v[42:43]
	v_add_f64 v[169:170], v[169:170], v[44:45]
	ds_load_b128 v[42:45], v1 offset:1008
	s_waitcnt vmcnt(10) lgkmcnt(1)
	v_mul_f64 v[177:178], v[2:3], v[36:37]
	v_mul_f64 v[36:37], v[4:5], v[36:37]
	s_waitcnt vmcnt(8) lgkmcnt(0)
	v_mul_f64 v[171:172], v[42:43], v[161:162]
	v_mul_f64 v[161:162], v[44:45], v[161:162]
	v_add_f64 v[167:168], v[167:168], v[175:176]
	v_add_f64 v[169:170], v[169:170], v[173:174]
	v_fma_f64 v[173:174], v[4:5], v[34:35], v[177:178]
	v_fma_f64 v[175:176], v[2:3], v[34:35], -v[36:37]
	ds_load_b128 v[2:5], v1 offset:1024
	ds_load_b128 v[34:37], v1 offset:1040
	v_fma_f64 v[44:45], v[44:45], v[159:160], v[171:172]
	v_fma_f64 v[42:43], v[42:43], v[159:160], -v[161:162]
	v_add_f64 v[163:164], v[167:168], v[163:164]
	v_add_f64 v[165:166], v[169:170], v[165:166]
	s_waitcnt vmcnt(7) lgkmcnt(1)
	v_mul_f64 v[167:168], v[2:3], v[40:41]
	v_mul_f64 v[40:41], v[4:5], v[40:41]
	s_delay_alu instid0(VALU_DEP_4) | instskip(NEXT) | instid1(VALU_DEP_4)
	v_add_f64 v[159:160], v[163:164], v[175:176]
	v_add_f64 v[161:162], v[165:166], v[173:174]
	s_waitcnt vmcnt(6) lgkmcnt(0)
	v_mul_f64 v[163:164], v[34:35], v[8:9]
	v_mul_f64 v[8:9], v[36:37], v[8:9]
	v_fma_f64 v[165:166], v[4:5], v[38:39], v[167:168]
	v_fma_f64 v[167:168], v[2:3], v[38:39], -v[40:41]
	ds_load_b128 v[2:5], v1 offset:1056
	ds_load_b128 v[38:41], v1 offset:1072
	v_add_f64 v[42:43], v[159:160], v[42:43]
	v_add_f64 v[44:45], v[161:162], v[44:45]
	v_fma_f64 v[36:37], v[36:37], v[6:7], v[163:164]
	s_waitcnt vmcnt(5) lgkmcnt(1)
	v_mul_f64 v[159:160], v[2:3], v[12:13]
	v_mul_f64 v[12:13], v[4:5], v[12:13]
	v_fma_f64 v[6:7], v[34:35], v[6:7], -v[8:9]
	v_add_f64 v[8:9], v[42:43], v[167:168]
	v_add_f64 v[34:35], v[44:45], v[165:166]
	s_waitcnt vmcnt(4) lgkmcnt(0)
	v_mul_f64 v[42:43], v[38:39], v[16:17]
	v_mul_f64 v[16:17], v[40:41], v[16:17]
	v_fma_f64 v[44:45], v[4:5], v[10:11], v[159:160]
	v_fma_f64 v[10:11], v[2:3], v[10:11], -v[12:13]
	v_add_f64 v[12:13], v[8:9], v[6:7]
	v_add_f64 v[34:35], v[34:35], v[36:37]
	ds_load_b128 v[2:5], v1 offset:1088
	ds_load_b128 v[6:9], v1 offset:1104
	v_fma_f64 v[40:41], v[40:41], v[14:15], v[42:43]
	v_fma_f64 v[14:15], v[38:39], v[14:15], -v[16:17]
	s_waitcnt vmcnt(3) lgkmcnt(1)
	v_mul_f64 v[36:37], v[2:3], v[20:21]
	v_mul_f64 v[20:21], v[4:5], v[20:21]
	s_waitcnt vmcnt(2) lgkmcnt(0)
	v_mul_f64 v[16:17], v[6:7], v[24:25]
	v_mul_f64 v[24:25], v[8:9], v[24:25]
	v_add_f64 v[10:11], v[12:13], v[10:11]
	v_add_f64 v[12:13], v[34:35], v[44:45]
	v_fma_f64 v[34:35], v[4:5], v[18:19], v[36:37]
	v_fma_f64 v[18:19], v[2:3], v[18:19], -v[20:21]
	v_fma_f64 v[8:9], v[8:9], v[22:23], v[16:17]
	v_fma_f64 v[6:7], v[6:7], v[22:23], -v[24:25]
	v_add_f64 v[14:15], v[10:11], v[14:15]
	v_add_f64 v[20:21], v[12:13], v[40:41]
	ds_load_b128 v[2:5], v1 offset:1120
	ds_load_b128 v[10:13], v1 offset:1136
	s_waitcnt vmcnt(1) lgkmcnt(1)
	v_mul_f64 v[36:37], v[2:3], v[28:29]
	v_mul_f64 v[28:29], v[4:5], v[28:29]
	v_add_f64 v[14:15], v[14:15], v[18:19]
	v_add_f64 v[16:17], v[20:21], v[34:35]
	s_waitcnt vmcnt(0) lgkmcnt(0)
	v_mul_f64 v[18:19], v[10:11], v[32:33]
	v_mul_f64 v[20:21], v[12:13], v[32:33]
	v_fma_f64 v[4:5], v[4:5], v[26:27], v[36:37]
	v_fma_f64 v[1:2], v[2:3], v[26:27], -v[28:29]
	v_add_f64 v[6:7], v[14:15], v[6:7]
	v_add_f64 v[8:9], v[16:17], v[8:9]
	v_fma_f64 v[12:13], v[12:13], v[30:31], v[18:19]
	v_fma_f64 v[10:11], v[10:11], v[30:31], -v[20:21]
	s_delay_alu instid0(VALU_DEP_4) | instskip(NEXT) | instid1(VALU_DEP_4)
	v_add_f64 v[1:2], v[6:7], v[1:2]
	v_add_f64 v[3:4], v[8:9], v[4:5]
	s_delay_alu instid0(VALU_DEP_2) | instskip(NEXT) | instid1(VALU_DEP_2)
	v_add_f64 v[1:2], v[1:2], v[10:11]
	v_add_f64 v[3:4], v[3:4], v[12:13]
	s_delay_alu instid0(VALU_DEP_2) | instskip(NEXT) | instid1(VALU_DEP_2)
	v_add_f64 v[1:2], v[155:156], -v[1:2]
	v_add_f64 v[3:4], v[157:158], -v[3:4]
	scratch_store_b128 off, v[1:4], off offset:272
	v_cmpx_lt_u32_e32 16, v118
	s_cbranch_execz .LBB99_197
; %bb.196:
	scratch_load_b128 v[1:4], v129, off
	v_mov_b32_e32 v5, 0
	s_delay_alu instid0(VALU_DEP_1)
	v_mov_b32_e32 v6, v5
	v_mov_b32_e32 v7, v5
	;; [unrolled: 1-line block ×3, first 2 shown]
	scratch_store_b128 off, v[5:8], off offset:256
	s_waitcnt vmcnt(0)
	ds_store_b128 v154, v[1:4]
.LBB99_197:
	s_or_b32 exec_lo, exec_lo, s2
	s_waitcnt lgkmcnt(0)
	s_waitcnt_vscnt null, 0x0
	s_barrier
	buffer_gl0_inv
	s_clause 0x7
	scratch_load_b128 v[2:5], off, off offset:272
	scratch_load_b128 v[6:9], off, off offset:288
	;; [unrolled: 1-line block ×8, first 2 shown]
	v_mov_b32_e32 v1, 0
	s_mov_b32 s2, exec_lo
	ds_load_b128 v[34:37], v1 offset:848
	s_clause 0x1
	scratch_load_b128 v[38:41], off, off offset:400
	scratch_load_b128 v[42:45], off, off offset:256
	ds_load_b128 v[155:158], v1 offset:864
	scratch_load_b128 v[159:162], off, off offset:416
	s_waitcnt vmcnt(10) lgkmcnt(1)
	v_mul_f64 v[163:164], v[36:37], v[4:5]
	v_mul_f64 v[4:5], v[34:35], v[4:5]
	s_delay_alu instid0(VALU_DEP_2) | instskip(NEXT) | instid1(VALU_DEP_2)
	v_fma_f64 v[169:170], v[34:35], v[2:3], -v[163:164]
	v_fma_f64 v[171:172], v[36:37], v[2:3], v[4:5]
	scratch_load_b128 v[34:37], off, off offset:432
	ds_load_b128 v[2:5], v1 offset:880
	s_waitcnt vmcnt(10) lgkmcnt(1)
	v_mul_f64 v[167:168], v[155:156], v[8:9]
	v_mul_f64 v[8:9], v[157:158], v[8:9]
	ds_load_b128 v[163:166], v1 offset:896
	s_waitcnt vmcnt(9) lgkmcnt(1)
	v_mul_f64 v[173:174], v[2:3], v[12:13]
	v_mul_f64 v[12:13], v[4:5], v[12:13]
	v_fma_f64 v[157:158], v[157:158], v[6:7], v[167:168]
	v_fma_f64 v[155:156], v[155:156], v[6:7], -v[8:9]
	v_add_f64 v[167:168], v[169:170], 0
	v_add_f64 v[169:170], v[171:172], 0
	scratch_load_b128 v[6:9], off, off offset:448
	v_fma_f64 v[173:174], v[4:5], v[10:11], v[173:174]
	v_fma_f64 v[175:176], v[2:3], v[10:11], -v[12:13]
	scratch_load_b128 v[10:13], off, off offset:464
	ds_load_b128 v[2:5], v1 offset:912
	s_waitcnt vmcnt(10) lgkmcnt(1)
	v_mul_f64 v[171:172], v[163:164], v[16:17]
	v_mul_f64 v[16:17], v[165:166], v[16:17]
	v_add_f64 v[167:168], v[167:168], v[155:156]
	v_add_f64 v[169:170], v[169:170], v[157:158]
	s_waitcnt vmcnt(9) lgkmcnt(0)
	v_mul_f64 v[177:178], v[2:3], v[20:21]
	v_mul_f64 v[20:21], v[4:5], v[20:21]
	ds_load_b128 v[155:158], v1 offset:928
	v_fma_f64 v[165:166], v[165:166], v[14:15], v[171:172]
	v_fma_f64 v[163:164], v[163:164], v[14:15], -v[16:17]
	scratch_load_b128 v[14:17], off, off offset:480
	v_add_f64 v[167:168], v[167:168], v[175:176]
	v_add_f64 v[169:170], v[169:170], v[173:174]
	v_fma_f64 v[173:174], v[4:5], v[18:19], v[177:178]
	v_fma_f64 v[175:176], v[2:3], v[18:19], -v[20:21]
	scratch_load_b128 v[18:21], off, off offset:496
	ds_load_b128 v[2:5], v1 offset:944
	s_waitcnt vmcnt(10) lgkmcnt(1)
	v_mul_f64 v[171:172], v[155:156], v[24:25]
	v_mul_f64 v[24:25], v[157:158], v[24:25]
	s_waitcnt vmcnt(9) lgkmcnt(0)
	v_mul_f64 v[177:178], v[2:3], v[28:29]
	v_mul_f64 v[28:29], v[4:5], v[28:29]
	v_add_f64 v[167:168], v[167:168], v[163:164]
	v_add_f64 v[169:170], v[169:170], v[165:166]
	ds_load_b128 v[163:166], v1 offset:960
	v_fma_f64 v[157:158], v[157:158], v[22:23], v[171:172]
	v_fma_f64 v[155:156], v[155:156], v[22:23], -v[24:25]
	scratch_load_b128 v[22:25], off, off offset:512
	v_add_f64 v[167:168], v[167:168], v[175:176]
	v_add_f64 v[169:170], v[169:170], v[173:174]
	v_fma_f64 v[173:174], v[4:5], v[26:27], v[177:178]
	v_fma_f64 v[175:176], v[2:3], v[26:27], -v[28:29]
	scratch_load_b128 v[26:29], off, off offset:528
	ds_load_b128 v[2:5], v1 offset:976
	s_waitcnt vmcnt(10) lgkmcnt(1)
	v_mul_f64 v[171:172], v[163:164], v[32:33]
	v_mul_f64 v[32:33], v[165:166], v[32:33]
	s_waitcnt vmcnt(9) lgkmcnt(0)
	v_mul_f64 v[177:178], v[2:3], v[40:41]
	v_mul_f64 v[40:41], v[4:5], v[40:41]
	v_add_f64 v[167:168], v[167:168], v[155:156]
	v_add_f64 v[169:170], v[169:170], v[157:158]
	ds_load_b128 v[155:158], v1 offset:992
	v_fma_f64 v[165:166], v[165:166], v[30:31], v[171:172]
	v_fma_f64 v[163:164], v[163:164], v[30:31], -v[32:33]
	scratch_load_b128 v[30:33], off, off offset:544
	v_add_f64 v[167:168], v[167:168], v[175:176]
	v_add_f64 v[169:170], v[169:170], v[173:174]
	v_fma_f64 v[175:176], v[4:5], v[38:39], v[177:178]
	v_fma_f64 v[177:178], v[2:3], v[38:39], -v[40:41]
	scratch_load_b128 v[38:41], off, off offset:560
	ds_load_b128 v[2:5], v1 offset:1008
	s_waitcnt vmcnt(9) lgkmcnt(1)
	v_mul_f64 v[171:172], v[155:156], v[161:162]
	v_mul_f64 v[173:174], v[157:158], v[161:162]
	v_add_f64 v[167:168], v[167:168], v[163:164]
	v_add_f64 v[165:166], v[169:170], v[165:166]
	ds_load_b128 v[161:164], v1 offset:1024
	v_fma_f64 v[157:158], v[157:158], v[159:160], v[171:172]
	v_fma_f64 v[155:156], v[155:156], v[159:160], -v[173:174]
	s_waitcnt vmcnt(8) lgkmcnt(1)
	v_mul_f64 v[169:170], v[2:3], v[36:37]
	v_mul_f64 v[36:37], v[4:5], v[36:37]
	v_add_f64 v[159:160], v[167:168], v[177:178]
	v_add_f64 v[165:166], v[165:166], v[175:176]
	s_delay_alu instid0(VALU_DEP_4) | instskip(NEXT) | instid1(VALU_DEP_4)
	v_fma_f64 v[169:170], v[4:5], v[34:35], v[169:170]
	v_fma_f64 v[171:172], v[2:3], v[34:35], -v[36:37]
	ds_load_b128 v[2:5], v1 offset:1040
	ds_load_b128 v[34:37], v1 offset:1056
	s_waitcnt vmcnt(7) lgkmcnt(2)
	v_mul_f64 v[167:168], v[161:162], v[8:9]
	v_mul_f64 v[8:9], v[163:164], v[8:9]
	v_add_f64 v[155:156], v[159:160], v[155:156]
	v_add_f64 v[157:158], v[165:166], v[157:158]
	s_waitcnt vmcnt(6) lgkmcnt(1)
	v_mul_f64 v[159:160], v[2:3], v[12:13]
	v_mul_f64 v[12:13], v[4:5], v[12:13]
	v_fma_f64 v[163:164], v[163:164], v[6:7], v[167:168]
	v_fma_f64 v[6:7], v[161:162], v[6:7], -v[8:9]
	v_add_f64 v[8:9], v[155:156], v[171:172]
	v_add_f64 v[155:156], v[157:158], v[169:170]
	s_waitcnt vmcnt(5) lgkmcnt(0)
	v_mul_f64 v[157:158], v[34:35], v[16:17]
	v_mul_f64 v[16:17], v[36:37], v[16:17]
	v_fma_f64 v[159:160], v[4:5], v[10:11], v[159:160]
	v_fma_f64 v[10:11], v[2:3], v[10:11], -v[12:13]
	v_add_f64 v[12:13], v[8:9], v[6:7]
	v_add_f64 v[155:156], v[155:156], v[163:164]
	ds_load_b128 v[2:5], v1 offset:1072
	ds_load_b128 v[6:9], v1 offset:1088
	v_fma_f64 v[36:37], v[36:37], v[14:15], v[157:158]
	v_fma_f64 v[14:15], v[34:35], v[14:15], -v[16:17]
	s_waitcnt vmcnt(4) lgkmcnt(1)
	v_mul_f64 v[161:162], v[2:3], v[20:21]
	v_mul_f64 v[20:21], v[4:5], v[20:21]
	s_waitcnt vmcnt(3) lgkmcnt(0)
	v_mul_f64 v[16:17], v[6:7], v[24:25]
	v_mul_f64 v[24:25], v[8:9], v[24:25]
	v_add_f64 v[10:11], v[12:13], v[10:11]
	v_add_f64 v[12:13], v[155:156], v[159:160]
	v_fma_f64 v[34:35], v[4:5], v[18:19], v[161:162]
	v_fma_f64 v[18:19], v[2:3], v[18:19], -v[20:21]
	v_fma_f64 v[8:9], v[8:9], v[22:23], v[16:17]
	v_fma_f64 v[6:7], v[6:7], v[22:23], -v[24:25]
	v_add_f64 v[14:15], v[10:11], v[14:15]
	v_add_f64 v[20:21], v[12:13], v[36:37]
	ds_load_b128 v[2:5], v1 offset:1104
	ds_load_b128 v[10:13], v1 offset:1120
	s_waitcnt vmcnt(2) lgkmcnt(1)
	v_mul_f64 v[36:37], v[2:3], v[28:29]
	v_mul_f64 v[28:29], v[4:5], v[28:29]
	v_add_f64 v[14:15], v[14:15], v[18:19]
	v_add_f64 v[16:17], v[20:21], v[34:35]
	s_waitcnt vmcnt(1) lgkmcnt(0)
	v_mul_f64 v[18:19], v[10:11], v[32:33]
	v_mul_f64 v[20:21], v[12:13], v[32:33]
	v_fma_f64 v[22:23], v[4:5], v[26:27], v[36:37]
	v_fma_f64 v[24:25], v[2:3], v[26:27], -v[28:29]
	ds_load_b128 v[2:5], v1 offset:1136
	v_add_f64 v[6:7], v[14:15], v[6:7]
	v_add_f64 v[8:9], v[16:17], v[8:9]
	v_fma_f64 v[12:13], v[12:13], v[30:31], v[18:19]
	v_fma_f64 v[10:11], v[10:11], v[30:31], -v[20:21]
	s_waitcnt vmcnt(0) lgkmcnt(0)
	v_mul_f64 v[14:15], v[2:3], v[40:41]
	v_mul_f64 v[16:17], v[4:5], v[40:41]
	v_add_f64 v[6:7], v[6:7], v[24:25]
	v_add_f64 v[8:9], v[8:9], v[22:23]
	s_delay_alu instid0(VALU_DEP_4) | instskip(NEXT) | instid1(VALU_DEP_4)
	v_fma_f64 v[4:5], v[4:5], v[38:39], v[14:15]
	v_fma_f64 v[2:3], v[2:3], v[38:39], -v[16:17]
	s_delay_alu instid0(VALU_DEP_4) | instskip(NEXT) | instid1(VALU_DEP_4)
	v_add_f64 v[6:7], v[6:7], v[10:11]
	v_add_f64 v[8:9], v[8:9], v[12:13]
	s_delay_alu instid0(VALU_DEP_2) | instskip(NEXT) | instid1(VALU_DEP_2)
	v_add_f64 v[2:3], v[6:7], v[2:3]
	v_add_f64 v[4:5], v[8:9], v[4:5]
	s_delay_alu instid0(VALU_DEP_2) | instskip(NEXT) | instid1(VALU_DEP_2)
	v_add_f64 v[2:3], v[42:43], -v[2:3]
	v_add_f64 v[4:5], v[44:45], -v[4:5]
	scratch_store_b128 off, v[2:5], off offset:256
	v_cmpx_lt_u32_e32 15, v118
	s_cbranch_execz .LBB99_199
; %bb.198:
	scratch_load_b128 v[5:8], v132, off
	v_mov_b32_e32 v2, v1
	v_mov_b32_e32 v3, v1
	;; [unrolled: 1-line block ×3, first 2 shown]
	scratch_store_b128 off, v[1:4], off offset:240
	s_waitcnt vmcnt(0)
	ds_store_b128 v154, v[5:8]
.LBB99_199:
	s_or_b32 exec_lo, exec_lo, s2
	s_waitcnt lgkmcnt(0)
	s_waitcnt_vscnt null, 0x0
	s_barrier
	buffer_gl0_inv
	s_clause 0x8
	scratch_load_b128 v[2:5], off, off offset:256
	scratch_load_b128 v[6:9], off, off offset:272
	;; [unrolled: 1-line block ×9, first 2 shown]
	ds_load_b128 v[38:41], v1 offset:832
	ds_load_b128 v[42:45], v1 offset:848
	s_clause 0x1
	scratch_load_b128 v[155:158], off, off offset:240
	scratch_load_b128 v[159:162], off, off offset:400
	s_mov_b32 s2, exec_lo
	s_waitcnt vmcnt(10) lgkmcnt(1)
	v_mul_f64 v[163:164], v[40:41], v[4:5]
	v_mul_f64 v[4:5], v[38:39], v[4:5]
	s_waitcnt vmcnt(9) lgkmcnt(0)
	v_mul_f64 v[167:168], v[42:43], v[8:9]
	v_mul_f64 v[8:9], v[44:45], v[8:9]
	s_delay_alu instid0(VALU_DEP_4) | instskip(NEXT) | instid1(VALU_DEP_4)
	v_fma_f64 v[169:170], v[38:39], v[2:3], -v[163:164]
	v_fma_f64 v[171:172], v[40:41], v[2:3], v[4:5]
	ds_load_b128 v[2:5], v1 offset:864
	ds_load_b128 v[163:166], v1 offset:880
	scratch_load_b128 v[38:41], off, off offset:416
	v_fma_f64 v[44:45], v[44:45], v[6:7], v[167:168]
	v_fma_f64 v[42:43], v[42:43], v[6:7], -v[8:9]
	scratch_load_b128 v[6:9], off, off offset:432
	s_waitcnt vmcnt(10) lgkmcnt(1)
	v_mul_f64 v[173:174], v[2:3], v[12:13]
	v_mul_f64 v[12:13], v[4:5], v[12:13]
	v_add_f64 v[167:168], v[169:170], 0
	v_add_f64 v[169:170], v[171:172], 0
	s_waitcnt vmcnt(9) lgkmcnt(0)
	v_mul_f64 v[171:172], v[163:164], v[16:17]
	v_mul_f64 v[16:17], v[165:166], v[16:17]
	v_fma_f64 v[173:174], v[4:5], v[10:11], v[173:174]
	v_fma_f64 v[175:176], v[2:3], v[10:11], -v[12:13]
	ds_load_b128 v[2:5], v1 offset:896
	scratch_load_b128 v[10:13], off, off offset:448
	v_add_f64 v[167:168], v[167:168], v[42:43]
	v_add_f64 v[169:170], v[169:170], v[44:45]
	ds_load_b128 v[42:45], v1 offset:912
	v_fma_f64 v[165:166], v[165:166], v[14:15], v[171:172]
	v_fma_f64 v[163:164], v[163:164], v[14:15], -v[16:17]
	scratch_load_b128 v[14:17], off, off offset:464
	s_waitcnt vmcnt(10) lgkmcnt(1)
	v_mul_f64 v[177:178], v[2:3], v[20:21]
	v_mul_f64 v[20:21], v[4:5], v[20:21]
	s_waitcnt vmcnt(9) lgkmcnt(0)
	v_mul_f64 v[171:172], v[42:43], v[24:25]
	v_mul_f64 v[24:25], v[44:45], v[24:25]
	v_add_f64 v[167:168], v[167:168], v[175:176]
	v_add_f64 v[169:170], v[169:170], v[173:174]
	v_fma_f64 v[173:174], v[4:5], v[18:19], v[177:178]
	v_fma_f64 v[175:176], v[2:3], v[18:19], -v[20:21]
	ds_load_b128 v[2:5], v1 offset:928
	scratch_load_b128 v[18:21], off, off offset:480
	v_fma_f64 v[44:45], v[44:45], v[22:23], v[171:172]
	v_fma_f64 v[42:43], v[42:43], v[22:23], -v[24:25]
	scratch_load_b128 v[22:25], off, off offset:496
	v_add_f64 v[167:168], v[167:168], v[163:164]
	v_add_f64 v[169:170], v[169:170], v[165:166]
	ds_load_b128 v[163:166], v1 offset:944
	s_waitcnt vmcnt(10) lgkmcnt(1)
	v_mul_f64 v[177:178], v[2:3], v[28:29]
	v_mul_f64 v[28:29], v[4:5], v[28:29]
	s_waitcnt vmcnt(9) lgkmcnt(0)
	v_mul_f64 v[171:172], v[163:164], v[32:33]
	v_mul_f64 v[32:33], v[165:166], v[32:33]
	v_add_f64 v[167:168], v[167:168], v[175:176]
	v_add_f64 v[169:170], v[169:170], v[173:174]
	v_fma_f64 v[173:174], v[4:5], v[26:27], v[177:178]
	v_fma_f64 v[175:176], v[2:3], v[26:27], -v[28:29]
	ds_load_b128 v[2:5], v1 offset:960
	scratch_load_b128 v[26:29], off, off offset:512
	v_fma_f64 v[165:166], v[165:166], v[30:31], v[171:172]
	v_fma_f64 v[163:164], v[163:164], v[30:31], -v[32:33]
	scratch_load_b128 v[30:33], off, off offset:528
	v_add_f64 v[167:168], v[167:168], v[42:43]
	v_add_f64 v[169:170], v[169:170], v[44:45]
	ds_load_b128 v[42:45], v1 offset:976
	s_waitcnt vmcnt(10) lgkmcnt(1)
	v_mul_f64 v[177:178], v[2:3], v[36:37]
	v_mul_f64 v[36:37], v[4:5], v[36:37]
	s_waitcnt vmcnt(8) lgkmcnt(0)
	v_mul_f64 v[171:172], v[42:43], v[161:162]
	v_add_f64 v[167:168], v[167:168], v[175:176]
	v_add_f64 v[169:170], v[169:170], v[173:174]
	v_mul_f64 v[173:174], v[44:45], v[161:162]
	v_fma_f64 v[175:176], v[4:5], v[34:35], v[177:178]
	v_fma_f64 v[177:178], v[2:3], v[34:35], -v[36:37]
	ds_load_b128 v[2:5], v1 offset:992
	scratch_load_b128 v[34:37], off, off offset:544
	v_fma_f64 v[44:45], v[44:45], v[159:160], v[171:172]
	v_add_f64 v[167:168], v[167:168], v[163:164]
	v_add_f64 v[165:166], v[169:170], v[165:166]
	ds_load_b128 v[161:164], v1 offset:1008
	v_fma_f64 v[159:160], v[42:43], v[159:160], -v[173:174]
	s_waitcnt vmcnt(8) lgkmcnt(1)
	v_mul_f64 v[169:170], v[2:3], v[40:41]
	v_mul_f64 v[179:180], v[4:5], v[40:41]
	scratch_load_b128 v[40:43], off, off offset:560
	s_waitcnt vmcnt(8) lgkmcnt(0)
	v_mul_f64 v[171:172], v[161:162], v[8:9]
	v_mul_f64 v[8:9], v[163:164], v[8:9]
	v_add_f64 v[167:168], v[167:168], v[177:178]
	v_add_f64 v[165:166], v[165:166], v[175:176]
	v_fma_f64 v[169:170], v[4:5], v[38:39], v[169:170]
	v_fma_f64 v[38:39], v[2:3], v[38:39], -v[179:180]
	v_fma_f64 v[163:164], v[163:164], v[6:7], v[171:172]
	v_fma_f64 v[6:7], v[161:162], v[6:7], -v[8:9]
	v_add_f64 v[159:160], v[167:168], v[159:160]
	v_add_f64 v[44:45], v[165:166], v[44:45]
	ds_load_b128 v[2:5], v1 offset:1024
	ds_load_b128 v[165:168], v1 offset:1040
	s_waitcnt vmcnt(7) lgkmcnt(1)
	v_mul_f64 v[173:174], v[2:3], v[12:13]
	v_mul_f64 v[12:13], v[4:5], v[12:13]
	v_add_f64 v[8:9], v[159:160], v[38:39]
	v_add_f64 v[38:39], v[44:45], v[169:170]
	s_waitcnt vmcnt(6) lgkmcnt(0)
	v_mul_f64 v[44:45], v[165:166], v[16:17]
	v_mul_f64 v[16:17], v[167:168], v[16:17]
	v_fma_f64 v[159:160], v[4:5], v[10:11], v[173:174]
	v_fma_f64 v[10:11], v[2:3], v[10:11], -v[12:13]
	v_add_f64 v[12:13], v[8:9], v[6:7]
	v_add_f64 v[38:39], v[38:39], v[163:164]
	ds_load_b128 v[2:5], v1 offset:1056
	ds_load_b128 v[6:9], v1 offset:1072
	v_fma_f64 v[44:45], v[167:168], v[14:15], v[44:45]
	v_fma_f64 v[14:15], v[165:166], v[14:15], -v[16:17]
	s_waitcnt vmcnt(5) lgkmcnt(1)
	v_mul_f64 v[161:162], v[2:3], v[20:21]
	v_mul_f64 v[20:21], v[4:5], v[20:21]
	s_waitcnt vmcnt(4) lgkmcnt(0)
	v_mul_f64 v[16:17], v[6:7], v[24:25]
	v_mul_f64 v[24:25], v[8:9], v[24:25]
	v_add_f64 v[10:11], v[12:13], v[10:11]
	v_add_f64 v[12:13], v[38:39], v[159:160]
	v_fma_f64 v[38:39], v[4:5], v[18:19], v[161:162]
	v_fma_f64 v[18:19], v[2:3], v[18:19], -v[20:21]
	v_fma_f64 v[8:9], v[8:9], v[22:23], v[16:17]
	v_fma_f64 v[6:7], v[6:7], v[22:23], -v[24:25]
	v_add_f64 v[14:15], v[10:11], v[14:15]
	v_add_f64 v[20:21], v[12:13], v[44:45]
	ds_load_b128 v[2:5], v1 offset:1088
	ds_load_b128 v[10:13], v1 offset:1104
	s_waitcnt vmcnt(3) lgkmcnt(1)
	v_mul_f64 v[44:45], v[2:3], v[28:29]
	v_mul_f64 v[28:29], v[4:5], v[28:29]
	v_add_f64 v[14:15], v[14:15], v[18:19]
	v_add_f64 v[16:17], v[20:21], v[38:39]
	s_waitcnt vmcnt(2) lgkmcnt(0)
	v_mul_f64 v[18:19], v[10:11], v[32:33]
	v_mul_f64 v[20:21], v[12:13], v[32:33]
	v_fma_f64 v[22:23], v[4:5], v[26:27], v[44:45]
	v_fma_f64 v[24:25], v[2:3], v[26:27], -v[28:29]
	v_add_f64 v[14:15], v[14:15], v[6:7]
	v_add_f64 v[16:17], v[16:17], v[8:9]
	ds_load_b128 v[2:5], v1 offset:1120
	ds_load_b128 v[6:9], v1 offset:1136
	v_fma_f64 v[12:13], v[12:13], v[30:31], v[18:19]
	v_fma_f64 v[10:11], v[10:11], v[30:31], -v[20:21]
	s_waitcnt vmcnt(1) lgkmcnt(1)
	v_mul_f64 v[26:27], v[2:3], v[36:37]
	v_mul_f64 v[28:29], v[4:5], v[36:37]
	s_waitcnt vmcnt(0) lgkmcnt(0)
	v_mul_f64 v[18:19], v[6:7], v[42:43]
	v_add_f64 v[14:15], v[14:15], v[24:25]
	v_add_f64 v[16:17], v[16:17], v[22:23]
	v_mul_f64 v[20:21], v[8:9], v[42:43]
	v_fma_f64 v[4:5], v[4:5], v[34:35], v[26:27]
	v_fma_f64 v[1:2], v[2:3], v[34:35], -v[28:29]
	v_fma_f64 v[8:9], v[8:9], v[40:41], v[18:19]
	v_add_f64 v[10:11], v[14:15], v[10:11]
	v_add_f64 v[12:13], v[16:17], v[12:13]
	v_fma_f64 v[6:7], v[6:7], v[40:41], -v[20:21]
	s_delay_alu instid0(VALU_DEP_3) | instskip(NEXT) | instid1(VALU_DEP_3)
	v_add_f64 v[1:2], v[10:11], v[1:2]
	v_add_f64 v[3:4], v[12:13], v[4:5]
	s_delay_alu instid0(VALU_DEP_2) | instskip(NEXT) | instid1(VALU_DEP_2)
	v_add_f64 v[1:2], v[1:2], v[6:7]
	v_add_f64 v[3:4], v[3:4], v[8:9]
	s_delay_alu instid0(VALU_DEP_2) | instskip(NEXT) | instid1(VALU_DEP_2)
	v_add_f64 v[1:2], v[155:156], -v[1:2]
	v_add_f64 v[3:4], v[157:158], -v[3:4]
	scratch_store_b128 off, v[1:4], off offset:240
	v_cmpx_lt_u32_e32 14, v118
	s_cbranch_execz .LBB99_201
; %bb.200:
	scratch_load_b128 v[1:4], v130, off
	v_mov_b32_e32 v5, 0
	s_delay_alu instid0(VALU_DEP_1)
	v_mov_b32_e32 v6, v5
	v_mov_b32_e32 v7, v5
	;; [unrolled: 1-line block ×3, first 2 shown]
	scratch_store_b128 off, v[5:8], off offset:224
	s_waitcnt vmcnt(0)
	ds_store_b128 v154, v[1:4]
.LBB99_201:
	s_or_b32 exec_lo, exec_lo, s2
	s_waitcnt lgkmcnt(0)
	s_waitcnt_vscnt null, 0x0
	s_barrier
	buffer_gl0_inv
	s_clause 0x7
	scratch_load_b128 v[2:5], off, off offset:240
	scratch_load_b128 v[6:9], off, off offset:256
	;; [unrolled: 1-line block ×8, first 2 shown]
	v_mov_b32_e32 v1, 0
	s_mov_b32 s2, exec_lo
	ds_load_b128 v[34:37], v1 offset:816
	s_clause 0x1
	scratch_load_b128 v[38:41], off, off offset:368
	scratch_load_b128 v[42:45], off, off offset:224
	ds_load_b128 v[155:158], v1 offset:832
	scratch_load_b128 v[159:162], off, off offset:384
	s_waitcnt vmcnt(10) lgkmcnt(1)
	v_mul_f64 v[163:164], v[36:37], v[4:5]
	v_mul_f64 v[4:5], v[34:35], v[4:5]
	s_delay_alu instid0(VALU_DEP_2) | instskip(NEXT) | instid1(VALU_DEP_2)
	v_fma_f64 v[169:170], v[34:35], v[2:3], -v[163:164]
	v_fma_f64 v[171:172], v[36:37], v[2:3], v[4:5]
	scratch_load_b128 v[34:37], off, off offset:400
	ds_load_b128 v[2:5], v1 offset:848
	s_waitcnt vmcnt(10) lgkmcnt(1)
	v_mul_f64 v[167:168], v[155:156], v[8:9]
	v_mul_f64 v[8:9], v[157:158], v[8:9]
	ds_load_b128 v[163:166], v1 offset:864
	s_waitcnt vmcnt(9) lgkmcnt(1)
	v_mul_f64 v[173:174], v[2:3], v[12:13]
	v_mul_f64 v[12:13], v[4:5], v[12:13]
	v_fma_f64 v[157:158], v[157:158], v[6:7], v[167:168]
	v_fma_f64 v[155:156], v[155:156], v[6:7], -v[8:9]
	v_add_f64 v[167:168], v[169:170], 0
	v_add_f64 v[169:170], v[171:172], 0
	scratch_load_b128 v[6:9], off, off offset:416
	v_fma_f64 v[173:174], v[4:5], v[10:11], v[173:174]
	v_fma_f64 v[175:176], v[2:3], v[10:11], -v[12:13]
	scratch_load_b128 v[10:13], off, off offset:432
	ds_load_b128 v[2:5], v1 offset:880
	s_waitcnt vmcnt(10) lgkmcnt(1)
	v_mul_f64 v[171:172], v[163:164], v[16:17]
	v_mul_f64 v[16:17], v[165:166], v[16:17]
	v_add_f64 v[167:168], v[167:168], v[155:156]
	v_add_f64 v[169:170], v[169:170], v[157:158]
	s_waitcnt vmcnt(9) lgkmcnt(0)
	v_mul_f64 v[177:178], v[2:3], v[20:21]
	v_mul_f64 v[20:21], v[4:5], v[20:21]
	ds_load_b128 v[155:158], v1 offset:896
	v_fma_f64 v[165:166], v[165:166], v[14:15], v[171:172]
	v_fma_f64 v[163:164], v[163:164], v[14:15], -v[16:17]
	scratch_load_b128 v[14:17], off, off offset:448
	v_add_f64 v[167:168], v[167:168], v[175:176]
	v_add_f64 v[169:170], v[169:170], v[173:174]
	v_fma_f64 v[173:174], v[4:5], v[18:19], v[177:178]
	v_fma_f64 v[175:176], v[2:3], v[18:19], -v[20:21]
	scratch_load_b128 v[18:21], off, off offset:464
	ds_load_b128 v[2:5], v1 offset:912
	s_waitcnt vmcnt(10) lgkmcnt(1)
	v_mul_f64 v[171:172], v[155:156], v[24:25]
	v_mul_f64 v[24:25], v[157:158], v[24:25]
	s_waitcnt vmcnt(9) lgkmcnt(0)
	v_mul_f64 v[177:178], v[2:3], v[28:29]
	v_mul_f64 v[28:29], v[4:5], v[28:29]
	v_add_f64 v[167:168], v[167:168], v[163:164]
	v_add_f64 v[169:170], v[169:170], v[165:166]
	ds_load_b128 v[163:166], v1 offset:928
	v_fma_f64 v[157:158], v[157:158], v[22:23], v[171:172]
	v_fma_f64 v[155:156], v[155:156], v[22:23], -v[24:25]
	scratch_load_b128 v[22:25], off, off offset:480
	v_add_f64 v[167:168], v[167:168], v[175:176]
	v_add_f64 v[169:170], v[169:170], v[173:174]
	v_fma_f64 v[173:174], v[4:5], v[26:27], v[177:178]
	v_fma_f64 v[175:176], v[2:3], v[26:27], -v[28:29]
	scratch_load_b128 v[26:29], off, off offset:496
	ds_load_b128 v[2:5], v1 offset:944
	s_waitcnt vmcnt(10) lgkmcnt(1)
	v_mul_f64 v[171:172], v[163:164], v[32:33]
	v_mul_f64 v[32:33], v[165:166], v[32:33]
	s_waitcnt vmcnt(9) lgkmcnt(0)
	v_mul_f64 v[177:178], v[2:3], v[40:41]
	v_mul_f64 v[40:41], v[4:5], v[40:41]
	v_add_f64 v[167:168], v[167:168], v[155:156]
	v_add_f64 v[169:170], v[169:170], v[157:158]
	ds_load_b128 v[155:158], v1 offset:960
	v_fma_f64 v[165:166], v[165:166], v[30:31], v[171:172]
	v_fma_f64 v[163:164], v[163:164], v[30:31], -v[32:33]
	scratch_load_b128 v[30:33], off, off offset:512
	v_add_f64 v[167:168], v[167:168], v[175:176]
	v_add_f64 v[169:170], v[169:170], v[173:174]
	v_fma_f64 v[175:176], v[4:5], v[38:39], v[177:178]
	v_fma_f64 v[177:178], v[2:3], v[38:39], -v[40:41]
	scratch_load_b128 v[38:41], off, off offset:528
	ds_load_b128 v[2:5], v1 offset:976
	s_waitcnt vmcnt(9) lgkmcnt(1)
	v_mul_f64 v[171:172], v[155:156], v[161:162]
	v_mul_f64 v[173:174], v[157:158], v[161:162]
	v_add_f64 v[167:168], v[167:168], v[163:164]
	v_add_f64 v[165:166], v[169:170], v[165:166]
	ds_load_b128 v[161:164], v1 offset:992
	v_fma_f64 v[171:172], v[157:158], v[159:160], v[171:172]
	v_fma_f64 v[159:160], v[155:156], v[159:160], -v[173:174]
	scratch_load_b128 v[155:158], off, off offset:544
	s_waitcnt vmcnt(9) lgkmcnt(1)
	v_mul_f64 v[169:170], v[2:3], v[36:37]
	v_mul_f64 v[36:37], v[4:5], v[36:37]
	v_add_f64 v[167:168], v[167:168], v[177:178]
	v_add_f64 v[165:166], v[165:166], v[175:176]
	s_delay_alu instid0(VALU_DEP_4) | instskip(NEXT) | instid1(VALU_DEP_4)
	v_fma_f64 v[169:170], v[4:5], v[34:35], v[169:170]
	v_fma_f64 v[175:176], v[2:3], v[34:35], -v[36:37]
	scratch_load_b128 v[34:37], off, off offset:560
	ds_load_b128 v[2:5], v1 offset:1008
	s_waitcnt vmcnt(9) lgkmcnt(1)
	v_mul_f64 v[173:174], v[161:162], v[8:9]
	v_mul_f64 v[8:9], v[163:164], v[8:9]
	s_waitcnt vmcnt(8) lgkmcnt(0)
	v_mul_f64 v[177:178], v[2:3], v[12:13]
	v_mul_f64 v[12:13], v[4:5], v[12:13]
	v_add_f64 v[159:160], v[167:168], v[159:160]
	v_add_f64 v[171:172], v[165:166], v[171:172]
	ds_load_b128 v[165:168], v1 offset:1024
	v_fma_f64 v[163:164], v[163:164], v[6:7], v[173:174]
	v_fma_f64 v[6:7], v[161:162], v[6:7], -v[8:9]
	v_add_f64 v[8:9], v[159:160], v[175:176]
	v_add_f64 v[159:160], v[171:172], v[169:170]
	s_waitcnt vmcnt(7) lgkmcnt(0)
	v_mul_f64 v[161:162], v[165:166], v[16:17]
	v_mul_f64 v[16:17], v[167:168], v[16:17]
	v_fma_f64 v[169:170], v[4:5], v[10:11], v[177:178]
	v_fma_f64 v[10:11], v[2:3], v[10:11], -v[12:13]
	v_add_f64 v[12:13], v[8:9], v[6:7]
	v_add_f64 v[159:160], v[159:160], v[163:164]
	ds_load_b128 v[2:5], v1 offset:1040
	ds_load_b128 v[6:9], v1 offset:1056
	v_fma_f64 v[161:162], v[167:168], v[14:15], v[161:162]
	v_fma_f64 v[14:15], v[165:166], v[14:15], -v[16:17]
	s_waitcnt vmcnt(6) lgkmcnt(1)
	v_mul_f64 v[163:164], v[2:3], v[20:21]
	v_mul_f64 v[20:21], v[4:5], v[20:21]
	s_waitcnt vmcnt(5) lgkmcnt(0)
	v_mul_f64 v[16:17], v[6:7], v[24:25]
	v_mul_f64 v[24:25], v[8:9], v[24:25]
	v_add_f64 v[10:11], v[12:13], v[10:11]
	v_add_f64 v[12:13], v[159:160], v[169:170]
	v_fma_f64 v[159:160], v[4:5], v[18:19], v[163:164]
	v_fma_f64 v[18:19], v[2:3], v[18:19], -v[20:21]
	v_fma_f64 v[8:9], v[8:9], v[22:23], v[16:17]
	v_fma_f64 v[6:7], v[6:7], v[22:23], -v[24:25]
	v_add_f64 v[14:15], v[10:11], v[14:15]
	v_add_f64 v[20:21], v[12:13], v[161:162]
	ds_load_b128 v[2:5], v1 offset:1072
	ds_load_b128 v[10:13], v1 offset:1088
	s_waitcnt vmcnt(4) lgkmcnt(1)
	v_mul_f64 v[161:162], v[2:3], v[28:29]
	v_mul_f64 v[28:29], v[4:5], v[28:29]
	v_add_f64 v[14:15], v[14:15], v[18:19]
	v_add_f64 v[16:17], v[20:21], v[159:160]
	s_waitcnt vmcnt(3) lgkmcnt(0)
	v_mul_f64 v[18:19], v[10:11], v[32:33]
	v_mul_f64 v[20:21], v[12:13], v[32:33]
	v_fma_f64 v[22:23], v[4:5], v[26:27], v[161:162]
	v_fma_f64 v[24:25], v[2:3], v[26:27], -v[28:29]
	v_add_f64 v[14:15], v[14:15], v[6:7]
	v_add_f64 v[16:17], v[16:17], v[8:9]
	ds_load_b128 v[2:5], v1 offset:1104
	ds_load_b128 v[6:9], v1 offset:1120
	v_fma_f64 v[12:13], v[12:13], v[30:31], v[18:19]
	v_fma_f64 v[10:11], v[10:11], v[30:31], -v[20:21]
	s_waitcnt vmcnt(2) lgkmcnt(1)
	v_mul_f64 v[26:27], v[2:3], v[40:41]
	v_mul_f64 v[28:29], v[4:5], v[40:41]
	s_waitcnt vmcnt(1) lgkmcnt(0)
	v_mul_f64 v[18:19], v[6:7], v[157:158]
	v_mul_f64 v[20:21], v[8:9], v[157:158]
	v_add_f64 v[14:15], v[14:15], v[24:25]
	v_add_f64 v[16:17], v[16:17], v[22:23]
	v_fma_f64 v[22:23], v[4:5], v[38:39], v[26:27]
	v_fma_f64 v[24:25], v[2:3], v[38:39], -v[28:29]
	ds_load_b128 v[2:5], v1 offset:1136
	v_fma_f64 v[8:9], v[8:9], v[155:156], v[18:19]
	v_fma_f64 v[6:7], v[6:7], v[155:156], -v[20:21]
	v_add_f64 v[10:11], v[14:15], v[10:11]
	v_add_f64 v[12:13], v[16:17], v[12:13]
	s_waitcnt vmcnt(0) lgkmcnt(0)
	v_mul_f64 v[14:15], v[2:3], v[36:37]
	v_mul_f64 v[16:17], v[4:5], v[36:37]
	s_delay_alu instid0(VALU_DEP_4) | instskip(NEXT) | instid1(VALU_DEP_4)
	v_add_f64 v[10:11], v[10:11], v[24:25]
	v_add_f64 v[12:13], v[12:13], v[22:23]
	s_delay_alu instid0(VALU_DEP_4) | instskip(NEXT) | instid1(VALU_DEP_4)
	v_fma_f64 v[4:5], v[4:5], v[34:35], v[14:15]
	v_fma_f64 v[2:3], v[2:3], v[34:35], -v[16:17]
	s_delay_alu instid0(VALU_DEP_4) | instskip(NEXT) | instid1(VALU_DEP_4)
	v_add_f64 v[6:7], v[10:11], v[6:7]
	v_add_f64 v[8:9], v[12:13], v[8:9]
	s_delay_alu instid0(VALU_DEP_2) | instskip(NEXT) | instid1(VALU_DEP_2)
	v_add_f64 v[2:3], v[6:7], v[2:3]
	v_add_f64 v[4:5], v[8:9], v[4:5]
	s_delay_alu instid0(VALU_DEP_2) | instskip(NEXT) | instid1(VALU_DEP_2)
	v_add_f64 v[2:3], v[42:43], -v[2:3]
	v_add_f64 v[4:5], v[44:45], -v[4:5]
	scratch_store_b128 off, v[2:5], off offset:224
	v_cmpx_lt_u32_e32 13, v118
	s_cbranch_execz .LBB99_203
; %bb.202:
	scratch_load_b128 v[5:8], v133, off
	v_mov_b32_e32 v2, v1
	v_mov_b32_e32 v3, v1
	;; [unrolled: 1-line block ×3, first 2 shown]
	scratch_store_b128 off, v[1:4], off offset:208
	s_waitcnt vmcnt(0)
	ds_store_b128 v154, v[5:8]
.LBB99_203:
	s_or_b32 exec_lo, exec_lo, s2
	s_waitcnt lgkmcnt(0)
	s_waitcnt_vscnt null, 0x0
	s_barrier
	buffer_gl0_inv
	s_clause 0x8
	scratch_load_b128 v[2:5], off, off offset:224
	scratch_load_b128 v[6:9], off, off offset:240
	;; [unrolled: 1-line block ×9, first 2 shown]
	ds_load_b128 v[38:41], v1 offset:800
	ds_load_b128 v[42:45], v1 offset:816
	s_clause 0x1
	scratch_load_b128 v[155:158], off, off offset:208
	scratch_load_b128 v[159:162], off, off offset:368
	s_mov_b32 s2, exec_lo
	s_waitcnt vmcnt(10) lgkmcnt(1)
	v_mul_f64 v[163:164], v[40:41], v[4:5]
	v_mul_f64 v[4:5], v[38:39], v[4:5]
	s_waitcnt vmcnt(9) lgkmcnt(0)
	v_mul_f64 v[167:168], v[42:43], v[8:9]
	v_mul_f64 v[8:9], v[44:45], v[8:9]
	s_delay_alu instid0(VALU_DEP_4) | instskip(NEXT) | instid1(VALU_DEP_4)
	v_fma_f64 v[169:170], v[38:39], v[2:3], -v[163:164]
	v_fma_f64 v[171:172], v[40:41], v[2:3], v[4:5]
	ds_load_b128 v[2:5], v1 offset:832
	ds_load_b128 v[163:166], v1 offset:848
	scratch_load_b128 v[38:41], off, off offset:384
	v_fma_f64 v[44:45], v[44:45], v[6:7], v[167:168]
	v_fma_f64 v[42:43], v[42:43], v[6:7], -v[8:9]
	scratch_load_b128 v[6:9], off, off offset:400
	s_waitcnt vmcnt(10) lgkmcnt(1)
	v_mul_f64 v[173:174], v[2:3], v[12:13]
	v_mul_f64 v[12:13], v[4:5], v[12:13]
	v_add_f64 v[167:168], v[169:170], 0
	v_add_f64 v[169:170], v[171:172], 0
	s_waitcnt vmcnt(9) lgkmcnt(0)
	v_mul_f64 v[171:172], v[163:164], v[16:17]
	v_mul_f64 v[16:17], v[165:166], v[16:17]
	v_fma_f64 v[173:174], v[4:5], v[10:11], v[173:174]
	v_fma_f64 v[175:176], v[2:3], v[10:11], -v[12:13]
	ds_load_b128 v[2:5], v1 offset:864
	scratch_load_b128 v[10:13], off, off offset:416
	v_add_f64 v[167:168], v[167:168], v[42:43]
	v_add_f64 v[169:170], v[169:170], v[44:45]
	ds_load_b128 v[42:45], v1 offset:880
	v_fma_f64 v[165:166], v[165:166], v[14:15], v[171:172]
	v_fma_f64 v[163:164], v[163:164], v[14:15], -v[16:17]
	scratch_load_b128 v[14:17], off, off offset:432
	s_waitcnt vmcnt(10) lgkmcnt(1)
	v_mul_f64 v[177:178], v[2:3], v[20:21]
	v_mul_f64 v[20:21], v[4:5], v[20:21]
	s_waitcnt vmcnt(9) lgkmcnt(0)
	v_mul_f64 v[171:172], v[42:43], v[24:25]
	v_mul_f64 v[24:25], v[44:45], v[24:25]
	v_add_f64 v[167:168], v[167:168], v[175:176]
	v_add_f64 v[169:170], v[169:170], v[173:174]
	v_fma_f64 v[173:174], v[4:5], v[18:19], v[177:178]
	v_fma_f64 v[175:176], v[2:3], v[18:19], -v[20:21]
	ds_load_b128 v[2:5], v1 offset:896
	scratch_load_b128 v[18:21], off, off offset:448
	v_fma_f64 v[44:45], v[44:45], v[22:23], v[171:172]
	v_fma_f64 v[42:43], v[42:43], v[22:23], -v[24:25]
	scratch_load_b128 v[22:25], off, off offset:464
	v_add_f64 v[167:168], v[167:168], v[163:164]
	v_add_f64 v[169:170], v[169:170], v[165:166]
	ds_load_b128 v[163:166], v1 offset:912
	s_waitcnt vmcnt(10) lgkmcnt(1)
	v_mul_f64 v[177:178], v[2:3], v[28:29]
	v_mul_f64 v[28:29], v[4:5], v[28:29]
	s_waitcnt vmcnt(9) lgkmcnt(0)
	v_mul_f64 v[171:172], v[163:164], v[32:33]
	v_mul_f64 v[32:33], v[165:166], v[32:33]
	v_add_f64 v[167:168], v[167:168], v[175:176]
	v_add_f64 v[169:170], v[169:170], v[173:174]
	v_fma_f64 v[173:174], v[4:5], v[26:27], v[177:178]
	v_fma_f64 v[175:176], v[2:3], v[26:27], -v[28:29]
	ds_load_b128 v[2:5], v1 offset:928
	scratch_load_b128 v[26:29], off, off offset:480
	v_fma_f64 v[165:166], v[165:166], v[30:31], v[171:172]
	v_fma_f64 v[163:164], v[163:164], v[30:31], -v[32:33]
	scratch_load_b128 v[30:33], off, off offset:496
	v_add_f64 v[167:168], v[167:168], v[42:43]
	v_add_f64 v[169:170], v[169:170], v[44:45]
	ds_load_b128 v[42:45], v1 offset:944
	s_waitcnt vmcnt(10) lgkmcnt(1)
	v_mul_f64 v[177:178], v[2:3], v[36:37]
	v_mul_f64 v[36:37], v[4:5], v[36:37]
	s_waitcnt vmcnt(8) lgkmcnt(0)
	v_mul_f64 v[171:172], v[42:43], v[161:162]
	v_add_f64 v[167:168], v[167:168], v[175:176]
	v_add_f64 v[169:170], v[169:170], v[173:174]
	v_mul_f64 v[173:174], v[44:45], v[161:162]
	v_fma_f64 v[175:176], v[4:5], v[34:35], v[177:178]
	v_fma_f64 v[177:178], v[2:3], v[34:35], -v[36:37]
	ds_load_b128 v[2:5], v1 offset:960
	scratch_load_b128 v[34:37], off, off offset:512
	v_fma_f64 v[44:45], v[44:45], v[159:160], v[171:172]
	v_add_f64 v[167:168], v[167:168], v[163:164]
	v_add_f64 v[165:166], v[169:170], v[165:166]
	ds_load_b128 v[161:164], v1 offset:976
	v_fma_f64 v[159:160], v[42:43], v[159:160], -v[173:174]
	s_waitcnt vmcnt(8) lgkmcnt(1)
	v_mul_f64 v[169:170], v[2:3], v[40:41]
	v_mul_f64 v[179:180], v[4:5], v[40:41]
	scratch_load_b128 v[40:43], off, off offset:528
	s_waitcnt vmcnt(8) lgkmcnt(0)
	v_mul_f64 v[173:174], v[161:162], v[8:9]
	v_mul_f64 v[8:9], v[163:164], v[8:9]
	v_add_f64 v[167:168], v[167:168], v[177:178]
	v_add_f64 v[165:166], v[165:166], v[175:176]
	v_fma_f64 v[175:176], v[4:5], v[38:39], v[169:170]
	v_fma_f64 v[38:39], v[2:3], v[38:39], -v[179:180]
	ds_load_b128 v[2:5], v1 offset:992
	ds_load_b128 v[169:172], v1 offset:1008
	v_fma_f64 v[163:164], v[163:164], v[6:7], v[173:174]
	v_fma_f64 v[161:162], v[161:162], v[6:7], -v[8:9]
	scratch_load_b128 v[6:9], off, off offset:560
	v_add_f64 v[159:160], v[167:168], v[159:160]
	v_add_f64 v[44:45], v[165:166], v[44:45]
	scratch_load_b128 v[165:168], off, off offset:544
	s_waitcnt vmcnt(9) lgkmcnt(1)
	v_mul_f64 v[177:178], v[2:3], v[12:13]
	v_mul_f64 v[12:13], v[4:5], v[12:13]
	v_add_f64 v[38:39], v[159:160], v[38:39]
	v_add_f64 v[44:45], v[44:45], v[175:176]
	s_waitcnt vmcnt(8) lgkmcnt(0)
	v_mul_f64 v[159:160], v[169:170], v[16:17]
	v_mul_f64 v[16:17], v[171:172], v[16:17]
	v_fma_f64 v[173:174], v[4:5], v[10:11], v[177:178]
	v_fma_f64 v[175:176], v[2:3], v[10:11], -v[12:13]
	ds_load_b128 v[2:5], v1 offset:1024
	ds_load_b128 v[10:13], v1 offset:1040
	v_add_f64 v[38:39], v[38:39], v[161:162]
	v_add_f64 v[44:45], v[44:45], v[163:164]
	s_waitcnt vmcnt(7) lgkmcnt(1)
	v_mul_f64 v[161:162], v[2:3], v[20:21]
	v_mul_f64 v[20:21], v[4:5], v[20:21]
	v_fma_f64 v[159:160], v[171:172], v[14:15], v[159:160]
	v_fma_f64 v[14:15], v[169:170], v[14:15], -v[16:17]
	v_add_f64 v[16:17], v[38:39], v[175:176]
	v_add_f64 v[38:39], v[44:45], v[173:174]
	s_waitcnt vmcnt(6) lgkmcnt(0)
	v_mul_f64 v[44:45], v[10:11], v[24:25]
	v_mul_f64 v[24:25], v[12:13], v[24:25]
	v_fma_f64 v[161:162], v[4:5], v[18:19], v[161:162]
	v_fma_f64 v[18:19], v[2:3], v[18:19], -v[20:21]
	v_add_f64 v[20:21], v[16:17], v[14:15]
	v_add_f64 v[38:39], v[38:39], v[159:160]
	ds_load_b128 v[2:5], v1 offset:1056
	ds_load_b128 v[14:17], v1 offset:1072
	v_fma_f64 v[12:13], v[12:13], v[22:23], v[44:45]
	v_fma_f64 v[10:11], v[10:11], v[22:23], -v[24:25]
	s_waitcnt vmcnt(5) lgkmcnt(1)
	v_mul_f64 v[159:160], v[2:3], v[28:29]
	v_mul_f64 v[28:29], v[4:5], v[28:29]
	s_waitcnt vmcnt(4) lgkmcnt(0)
	v_mul_f64 v[22:23], v[14:15], v[32:33]
	v_mul_f64 v[24:25], v[16:17], v[32:33]
	v_add_f64 v[18:19], v[20:21], v[18:19]
	v_add_f64 v[20:21], v[38:39], v[161:162]
	v_fma_f64 v[32:33], v[4:5], v[26:27], v[159:160]
	v_fma_f64 v[26:27], v[2:3], v[26:27], -v[28:29]
	v_fma_f64 v[16:17], v[16:17], v[30:31], v[22:23]
	v_fma_f64 v[14:15], v[14:15], v[30:31], -v[24:25]
	v_add_f64 v[18:19], v[18:19], v[10:11]
	v_add_f64 v[20:21], v[20:21], v[12:13]
	ds_load_b128 v[2:5], v1 offset:1088
	ds_load_b128 v[10:13], v1 offset:1104
	s_waitcnt vmcnt(3) lgkmcnt(1)
	v_mul_f64 v[28:29], v[2:3], v[36:37]
	v_mul_f64 v[36:37], v[4:5], v[36:37]
	s_waitcnt vmcnt(2) lgkmcnt(0)
	v_mul_f64 v[22:23], v[10:11], v[42:43]
	v_add_f64 v[18:19], v[18:19], v[26:27]
	v_add_f64 v[20:21], v[20:21], v[32:33]
	v_mul_f64 v[24:25], v[12:13], v[42:43]
	v_fma_f64 v[26:27], v[4:5], v[34:35], v[28:29]
	v_fma_f64 v[28:29], v[2:3], v[34:35], -v[36:37]
	v_fma_f64 v[12:13], v[12:13], v[40:41], v[22:23]
	v_add_f64 v[18:19], v[18:19], v[14:15]
	v_add_f64 v[20:21], v[20:21], v[16:17]
	ds_load_b128 v[2:5], v1 offset:1120
	ds_load_b128 v[14:17], v1 offset:1136
	v_fma_f64 v[10:11], v[10:11], v[40:41], -v[24:25]
	s_waitcnt vmcnt(0) lgkmcnt(1)
	v_mul_f64 v[30:31], v[2:3], v[167:168]
	v_mul_f64 v[32:33], v[4:5], v[167:168]
	s_waitcnt lgkmcnt(0)
	v_mul_f64 v[22:23], v[14:15], v[8:9]
	v_mul_f64 v[8:9], v[16:17], v[8:9]
	v_add_f64 v[18:19], v[18:19], v[28:29]
	v_add_f64 v[20:21], v[20:21], v[26:27]
	v_fma_f64 v[4:5], v[4:5], v[165:166], v[30:31]
	v_fma_f64 v[1:2], v[2:3], v[165:166], -v[32:33]
	v_fma_f64 v[16:17], v[16:17], v[6:7], v[22:23]
	v_fma_f64 v[6:7], v[14:15], v[6:7], -v[8:9]
	v_add_f64 v[10:11], v[18:19], v[10:11]
	v_add_f64 v[12:13], v[20:21], v[12:13]
	s_delay_alu instid0(VALU_DEP_2) | instskip(NEXT) | instid1(VALU_DEP_2)
	v_add_f64 v[1:2], v[10:11], v[1:2]
	v_add_f64 v[3:4], v[12:13], v[4:5]
	s_delay_alu instid0(VALU_DEP_2) | instskip(NEXT) | instid1(VALU_DEP_2)
	;; [unrolled: 3-line block ×3, first 2 shown]
	v_add_f64 v[1:2], v[155:156], -v[1:2]
	v_add_f64 v[3:4], v[157:158], -v[3:4]
	scratch_store_b128 off, v[1:4], off offset:208
	v_cmpx_lt_u32_e32 12, v118
	s_cbranch_execz .LBB99_205
; %bb.204:
	scratch_load_b128 v[1:4], v134, off
	v_mov_b32_e32 v5, 0
	s_delay_alu instid0(VALU_DEP_1)
	v_mov_b32_e32 v6, v5
	v_mov_b32_e32 v7, v5
	;; [unrolled: 1-line block ×3, first 2 shown]
	scratch_store_b128 off, v[5:8], off offset:192
	s_waitcnt vmcnt(0)
	ds_store_b128 v154, v[1:4]
.LBB99_205:
	s_or_b32 exec_lo, exec_lo, s2
	s_waitcnt lgkmcnt(0)
	s_waitcnt_vscnt null, 0x0
	s_barrier
	buffer_gl0_inv
	s_clause 0x7
	scratch_load_b128 v[2:5], off, off offset:208
	scratch_load_b128 v[6:9], off, off offset:224
	;; [unrolled: 1-line block ×8, first 2 shown]
	v_mov_b32_e32 v1, 0
	s_mov_b32 s2, exec_lo
	ds_load_b128 v[34:37], v1 offset:784
	s_clause 0x1
	scratch_load_b128 v[38:41], off, off offset:336
	scratch_load_b128 v[42:45], off, off offset:192
	ds_load_b128 v[155:158], v1 offset:800
	scratch_load_b128 v[159:162], off, off offset:352
	s_waitcnt vmcnt(10) lgkmcnt(1)
	v_mul_f64 v[163:164], v[36:37], v[4:5]
	v_mul_f64 v[4:5], v[34:35], v[4:5]
	s_delay_alu instid0(VALU_DEP_2) | instskip(NEXT) | instid1(VALU_DEP_2)
	v_fma_f64 v[169:170], v[34:35], v[2:3], -v[163:164]
	v_fma_f64 v[171:172], v[36:37], v[2:3], v[4:5]
	scratch_load_b128 v[34:37], off, off offset:368
	ds_load_b128 v[2:5], v1 offset:816
	s_waitcnt vmcnt(10) lgkmcnt(1)
	v_mul_f64 v[167:168], v[155:156], v[8:9]
	v_mul_f64 v[8:9], v[157:158], v[8:9]
	ds_load_b128 v[163:166], v1 offset:832
	s_waitcnt vmcnt(9) lgkmcnt(1)
	v_mul_f64 v[173:174], v[2:3], v[12:13]
	v_mul_f64 v[12:13], v[4:5], v[12:13]
	v_fma_f64 v[157:158], v[157:158], v[6:7], v[167:168]
	v_fma_f64 v[155:156], v[155:156], v[6:7], -v[8:9]
	v_add_f64 v[167:168], v[169:170], 0
	v_add_f64 v[169:170], v[171:172], 0
	scratch_load_b128 v[6:9], off, off offset:384
	v_fma_f64 v[173:174], v[4:5], v[10:11], v[173:174]
	v_fma_f64 v[175:176], v[2:3], v[10:11], -v[12:13]
	scratch_load_b128 v[10:13], off, off offset:400
	ds_load_b128 v[2:5], v1 offset:848
	s_waitcnt vmcnt(10) lgkmcnt(1)
	v_mul_f64 v[171:172], v[163:164], v[16:17]
	v_mul_f64 v[16:17], v[165:166], v[16:17]
	v_add_f64 v[167:168], v[167:168], v[155:156]
	v_add_f64 v[169:170], v[169:170], v[157:158]
	s_waitcnt vmcnt(9) lgkmcnt(0)
	v_mul_f64 v[177:178], v[2:3], v[20:21]
	v_mul_f64 v[20:21], v[4:5], v[20:21]
	ds_load_b128 v[155:158], v1 offset:864
	v_fma_f64 v[165:166], v[165:166], v[14:15], v[171:172]
	v_fma_f64 v[163:164], v[163:164], v[14:15], -v[16:17]
	scratch_load_b128 v[14:17], off, off offset:416
	v_add_f64 v[167:168], v[167:168], v[175:176]
	v_add_f64 v[169:170], v[169:170], v[173:174]
	v_fma_f64 v[173:174], v[4:5], v[18:19], v[177:178]
	v_fma_f64 v[175:176], v[2:3], v[18:19], -v[20:21]
	scratch_load_b128 v[18:21], off, off offset:432
	ds_load_b128 v[2:5], v1 offset:880
	s_waitcnt vmcnt(10) lgkmcnt(1)
	v_mul_f64 v[171:172], v[155:156], v[24:25]
	v_mul_f64 v[24:25], v[157:158], v[24:25]
	s_waitcnt vmcnt(9) lgkmcnt(0)
	v_mul_f64 v[177:178], v[2:3], v[28:29]
	v_mul_f64 v[28:29], v[4:5], v[28:29]
	v_add_f64 v[167:168], v[167:168], v[163:164]
	v_add_f64 v[169:170], v[169:170], v[165:166]
	ds_load_b128 v[163:166], v1 offset:896
	v_fma_f64 v[157:158], v[157:158], v[22:23], v[171:172]
	v_fma_f64 v[155:156], v[155:156], v[22:23], -v[24:25]
	scratch_load_b128 v[22:25], off, off offset:448
	v_add_f64 v[167:168], v[167:168], v[175:176]
	v_add_f64 v[169:170], v[169:170], v[173:174]
	v_fma_f64 v[173:174], v[4:5], v[26:27], v[177:178]
	v_fma_f64 v[175:176], v[2:3], v[26:27], -v[28:29]
	scratch_load_b128 v[26:29], off, off offset:464
	ds_load_b128 v[2:5], v1 offset:912
	s_waitcnt vmcnt(10) lgkmcnt(1)
	v_mul_f64 v[171:172], v[163:164], v[32:33]
	v_mul_f64 v[32:33], v[165:166], v[32:33]
	s_waitcnt vmcnt(9) lgkmcnt(0)
	v_mul_f64 v[177:178], v[2:3], v[40:41]
	v_mul_f64 v[40:41], v[4:5], v[40:41]
	v_add_f64 v[167:168], v[167:168], v[155:156]
	v_add_f64 v[169:170], v[169:170], v[157:158]
	ds_load_b128 v[155:158], v1 offset:928
	v_fma_f64 v[165:166], v[165:166], v[30:31], v[171:172]
	v_fma_f64 v[163:164], v[163:164], v[30:31], -v[32:33]
	scratch_load_b128 v[30:33], off, off offset:480
	v_add_f64 v[167:168], v[167:168], v[175:176]
	v_add_f64 v[169:170], v[169:170], v[173:174]
	v_fma_f64 v[175:176], v[4:5], v[38:39], v[177:178]
	v_fma_f64 v[177:178], v[2:3], v[38:39], -v[40:41]
	scratch_load_b128 v[38:41], off, off offset:496
	ds_load_b128 v[2:5], v1 offset:944
	s_waitcnt vmcnt(9) lgkmcnt(1)
	v_mul_f64 v[171:172], v[155:156], v[161:162]
	v_mul_f64 v[173:174], v[157:158], v[161:162]
	v_add_f64 v[167:168], v[167:168], v[163:164]
	v_add_f64 v[165:166], v[169:170], v[165:166]
	ds_load_b128 v[161:164], v1 offset:960
	v_fma_f64 v[171:172], v[157:158], v[159:160], v[171:172]
	v_fma_f64 v[159:160], v[155:156], v[159:160], -v[173:174]
	scratch_load_b128 v[155:158], off, off offset:512
	s_waitcnt vmcnt(9) lgkmcnt(1)
	v_mul_f64 v[169:170], v[2:3], v[36:37]
	v_mul_f64 v[36:37], v[4:5], v[36:37]
	v_add_f64 v[167:168], v[167:168], v[177:178]
	v_add_f64 v[165:166], v[165:166], v[175:176]
	s_delay_alu instid0(VALU_DEP_4) | instskip(NEXT) | instid1(VALU_DEP_4)
	v_fma_f64 v[169:170], v[4:5], v[34:35], v[169:170]
	v_fma_f64 v[175:176], v[2:3], v[34:35], -v[36:37]
	scratch_load_b128 v[34:37], off, off offset:528
	ds_load_b128 v[2:5], v1 offset:976
	s_waitcnt vmcnt(9) lgkmcnt(1)
	v_mul_f64 v[173:174], v[161:162], v[8:9]
	v_mul_f64 v[8:9], v[163:164], v[8:9]
	s_waitcnt vmcnt(8) lgkmcnt(0)
	v_mul_f64 v[177:178], v[2:3], v[12:13]
	v_mul_f64 v[12:13], v[4:5], v[12:13]
	v_add_f64 v[159:160], v[167:168], v[159:160]
	v_add_f64 v[171:172], v[165:166], v[171:172]
	ds_load_b128 v[165:168], v1 offset:992
	v_fma_f64 v[163:164], v[163:164], v[6:7], v[173:174]
	v_fma_f64 v[161:162], v[161:162], v[6:7], -v[8:9]
	scratch_load_b128 v[6:9], off, off offset:544
	v_fma_f64 v[173:174], v[4:5], v[10:11], v[177:178]
	v_add_f64 v[159:160], v[159:160], v[175:176]
	v_add_f64 v[169:170], v[171:172], v[169:170]
	v_fma_f64 v[175:176], v[2:3], v[10:11], -v[12:13]
	scratch_load_b128 v[10:13], off, off offset:560
	ds_load_b128 v[2:5], v1 offset:1008
	s_waitcnt vmcnt(9) lgkmcnt(1)
	v_mul_f64 v[171:172], v[165:166], v[16:17]
	v_mul_f64 v[16:17], v[167:168], v[16:17]
	v_add_f64 v[177:178], v[159:160], v[161:162]
	v_add_f64 v[163:164], v[169:170], v[163:164]
	s_waitcnt vmcnt(8) lgkmcnt(0)
	v_mul_f64 v[169:170], v[2:3], v[20:21]
	v_mul_f64 v[20:21], v[4:5], v[20:21]
	ds_load_b128 v[159:162], v1 offset:1024
	v_fma_f64 v[167:168], v[167:168], v[14:15], v[171:172]
	v_fma_f64 v[14:15], v[165:166], v[14:15], -v[16:17]
	s_waitcnt vmcnt(7) lgkmcnt(0)
	v_mul_f64 v[165:166], v[159:160], v[24:25]
	v_mul_f64 v[24:25], v[161:162], v[24:25]
	v_add_f64 v[16:17], v[177:178], v[175:176]
	v_add_f64 v[163:164], v[163:164], v[173:174]
	v_fma_f64 v[169:170], v[4:5], v[18:19], v[169:170]
	v_fma_f64 v[18:19], v[2:3], v[18:19], -v[20:21]
	v_fma_f64 v[161:162], v[161:162], v[22:23], v[165:166]
	v_fma_f64 v[22:23], v[159:160], v[22:23], -v[24:25]
	v_add_f64 v[20:21], v[16:17], v[14:15]
	v_add_f64 v[163:164], v[163:164], v[167:168]
	ds_load_b128 v[2:5], v1 offset:1040
	ds_load_b128 v[14:17], v1 offset:1056
	s_waitcnt vmcnt(6) lgkmcnt(1)
	v_mul_f64 v[167:168], v[2:3], v[28:29]
	v_mul_f64 v[28:29], v[4:5], v[28:29]
	s_waitcnt vmcnt(5) lgkmcnt(0)
	v_mul_f64 v[24:25], v[14:15], v[32:33]
	v_mul_f64 v[32:33], v[16:17], v[32:33]
	v_add_f64 v[18:19], v[20:21], v[18:19]
	v_add_f64 v[20:21], v[163:164], v[169:170]
	v_fma_f64 v[159:160], v[4:5], v[26:27], v[167:168]
	v_fma_f64 v[26:27], v[2:3], v[26:27], -v[28:29]
	v_fma_f64 v[16:17], v[16:17], v[30:31], v[24:25]
	v_fma_f64 v[14:15], v[14:15], v[30:31], -v[32:33]
	v_add_f64 v[22:23], v[18:19], v[22:23]
	v_add_f64 v[28:29], v[20:21], v[161:162]
	ds_load_b128 v[2:5], v1 offset:1072
	ds_load_b128 v[18:21], v1 offset:1088
	s_waitcnt vmcnt(4) lgkmcnt(1)
	v_mul_f64 v[161:162], v[2:3], v[40:41]
	v_mul_f64 v[40:41], v[4:5], v[40:41]
	v_add_f64 v[22:23], v[22:23], v[26:27]
	v_add_f64 v[24:25], v[28:29], v[159:160]
	s_waitcnt vmcnt(3) lgkmcnt(0)
	v_mul_f64 v[26:27], v[18:19], v[157:158]
	v_mul_f64 v[28:29], v[20:21], v[157:158]
	v_fma_f64 v[30:31], v[4:5], v[38:39], v[161:162]
	v_fma_f64 v[32:33], v[2:3], v[38:39], -v[40:41]
	v_add_f64 v[22:23], v[22:23], v[14:15]
	v_add_f64 v[24:25], v[24:25], v[16:17]
	ds_load_b128 v[2:5], v1 offset:1104
	ds_load_b128 v[14:17], v1 offset:1120
	v_fma_f64 v[20:21], v[20:21], v[155:156], v[26:27]
	v_fma_f64 v[18:19], v[18:19], v[155:156], -v[28:29]
	s_waitcnt vmcnt(2) lgkmcnt(1)
	v_mul_f64 v[38:39], v[2:3], v[36:37]
	v_mul_f64 v[36:37], v[4:5], v[36:37]
	s_waitcnt vmcnt(1) lgkmcnt(0)
	v_mul_f64 v[26:27], v[14:15], v[8:9]
	v_mul_f64 v[8:9], v[16:17], v[8:9]
	v_add_f64 v[22:23], v[22:23], v[32:33]
	v_add_f64 v[24:25], v[24:25], v[30:31]
	v_fma_f64 v[28:29], v[4:5], v[34:35], v[38:39]
	v_fma_f64 v[30:31], v[2:3], v[34:35], -v[36:37]
	ds_load_b128 v[2:5], v1 offset:1136
	v_fma_f64 v[16:17], v[16:17], v[6:7], v[26:27]
	v_fma_f64 v[6:7], v[14:15], v[6:7], -v[8:9]
	v_add_f64 v[18:19], v[22:23], v[18:19]
	v_add_f64 v[20:21], v[24:25], v[20:21]
	s_waitcnt vmcnt(0) lgkmcnt(0)
	v_mul_f64 v[22:23], v[2:3], v[12:13]
	v_mul_f64 v[12:13], v[4:5], v[12:13]
	s_delay_alu instid0(VALU_DEP_4) | instskip(NEXT) | instid1(VALU_DEP_4)
	v_add_f64 v[8:9], v[18:19], v[30:31]
	v_add_f64 v[14:15], v[20:21], v[28:29]
	s_delay_alu instid0(VALU_DEP_4) | instskip(NEXT) | instid1(VALU_DEP_4)
	v_fma_f64 v[4:5], v[4:5], v[10:11], v[22:23]
	v_fma_f64 v[2:3], v[2:3], v[10:11], -v[12:13]
	s_delay_alu instid0(VALU_DEP_4) | instskip(NEXT) | instid1(VALU_DEP_4)
	v_add_f64 v[6:7], v[8:9], v[6:7]
	v_add_f64 v[8:9], v[14:15], v[16:17]
	s_delay_alu instid0(VALU_DEP_2) | instskip(NEXT) | instid1(VALU_DEP_2)
	v_add_f64 v[2:3], v[6:7], v[2:3]
	v_add_f64 v[4:5], v[8:9], v[4:5]
	s_delay_alu instid0(VALU_DEP_2) | instskip(NEXT) | instid1(VALU_DEP_2)
	v_add_f64 v[2:3], v[42:43], -v[2:3]
	v_add_f64 v[4:5], v[44:45], -v[4:5]
	scratch_store_b128 off, v[2:5], off offset:192
	v_cmpx_lt_u32_e32 11, v118
	s_cbranch_execz .LBB99_207
; %bb.206:
	scratch_load_b128 v[5:8], v137, off
	v_mov_b32_e32 v2, v1
	v_mov_b32_e32 v3, v1
	;; [unrolled: 1-line block ×3, first 2 shown]
	scratch_store_b128 off, v[1:4], off offset:176
	s_waitcnt vmcnt(0)
	ds_store_b128 v154, v[5:8]
.LBB99_207:
	s_or_b32 exec_lo, exec_lo, s2
	s_waitcnt lgkmcnt(0)
	s_waitcnt_vscnt null, 0x0
	s_barrier
	buffer_gl0_inv
	s_clause 0x8
	scratch_load_b128 v[2:5], off, off offset:192
	scratch_load_b128 v[6:9], off, off offset:208
	;; [unrolled: 1-line block ×9, first 2 shown]
	ds_load_b128 v[38:41], v1 offset:768
	ds_load_b128 v[42:45], v1 offset:784
	s_clause 0x1
	scratch_load_b128 v[155:158], off, off offset:176
	scratch_load_b128 v[159:162], off, off offset:336
	s_mov_b32 s2, exec_lo
	s_waitcnt vmcnt(10) lgkmcnt(1)
	v_mul_f64 v[163:164], v[40:41], v[4:5]
	v_mul_f64 v[4:5], v[38:39], v[4:5]
	s_waitcnt vmcnt(9) lgkmcnt(0)
	v_mul_f64 v[167:168], v[42:43], v[8:9]
	v_mul_f64 v[8:9], v[44:45], v[8:9]
	s_delay_alu instid0(VALU_DEP_4) | instskip(NEXT) | instid1(VALU_DEP_4)
	v_fma_f64 v[169:170], v[38:39], v[2:3], -v[163:164]
	v_fma_f64 v[171:172], v[40:41], v[2:3], v[4:5]
	ds_load_b128 v[2:5], v1 offset:800
	ds_load_b128 v[163:166], v1 offset:816
	scratch_load_b128 v[38:41], off, off offset:352
	v_fma_f64 v[44:45], v[44:45], v[6:7], v[167:168]
	v_fma_f64 v[42:43], v[42:43], v[6:7], -v[8:9]
	scratch_load_b128 v[6:9], off, off offset:368
	s_waitcnt vmcnt(10) lgkmcnt(1)
	v_mul_f64 v[173:174], v[2:3], v[12:13]
	v_mul_f64 v[12:13], v[4:5], v[12:13]
	v_add_f64 v[167:168], v[169:170], 0
	v_add_f64 v[169:170], v[171:172], 0
	s_waitcnt vmcnt(9) lgkmcnt(0)
	v_mul_f64 v[171:172], v[163:164], v[16:17]
	v_mul_f64 v[16:17], v[165:166], v[16:17]
	v_fma_f64 v[173:174], v[4:5], v[10:11], v[173:174]
	v_fma_f64 v[175:176], v[2:3], v[10:11], -v[12:13]
	ds_load_b128 v[2:5], v1 offset:832
	scratch_load_b128 v[10:13], off, off offset:384
	v_add_f64 v[167:168], v[167:168], v[42:43]
	v_add_f64 v[169:170], v[169:170], v[44:45]
	ds_load_b128 v[42:45], v1 offset:848
	v_fma_f64 v[165:166], v[165:166], v[14:15], v[171:172]
	v_fma_f64 v[163:164], v[163:164], v[14:15], -v[16:17]
	scratch_load_b128 v[14:17], off, off offset:400
	s_waitcnt vmcnt(10) lgkmcnt(1)
	v_mul_f64 v[177:178], v[2:3], v[20:21]
	v_mul_f64 v[20:21], v[4:5], v[20:21]
	s_waitcnt vmcnt(9) lgkmcnt(0)
	v_mul_f64 v[171:172], v[42:43], v[24:25]
	v_mul_f64 v[24:25], v[44:45], v[24:25]
	v_add_f64 v[167:168], v[167:168], v[175:176]
	v_add_f64 v[169:170], v[169:170], v[173:174]
	v_fma_f64 v[173:174], v[4:5], v[18:19], v[177:178]
	v_fma_f64 v[175:176], v[2:3], v[18:19], -v[20:21]
	ds_load_b128 v[2:5], v1 offset:864
	scratch_load_b128 v[18:21], off, off offset:416
	v_fma_f64 v[44:45], v[44:45], v[22:23], v[171:172]
	v_fma_f64 v[42:43], v[42:43], v[22:23], -v[24:25]
	scratch_load_b128 v[22:25], off, off offset:432
	v_add_f64 v[167:168], v[167:168], v[163:164]
	v_add_f64 v[169:170], v[169:170], v[165:166]
	ds_load_b128 v[163:166], v1 offset:880
	s_waitcnt vmcnt(10) lgkmcnt(1)
	v_mul_f64 v[177:178], v[2:3], v[28:29]
	v_mul_f64 v[28:29], v[4:5], v[28:29]
	s_waitcnt vmcnt(9) lgkmcnt(0)
	v_mul_f64 v[171:172], v[163:164], v[32:33]
	v_mul_f64 v[32:33], v[165:166], v[32:33]
	v_add_f64 v[167:168], v[167:168], v[175:176]
	v_add_f64 v[169:170], v[169:170], v[173:174]
	v_fma_f64 v[173:174], v[4:5], v[26:27], v[177:178]
	v_fma_f64 v[175:176], v[2:3], v[26:27], -v[28:29]
	ds_load_b128 v[2:5], v1 offset:896
	scratch_load_b128 v[26:29], off, off offset:448
	v_fma_f64 v[165:166], v[165:166], v[30:31], v[171:172]
	v_fma_f64 v[163:164], v[163:164], v[30:31], -v[32:33]
	scratch_load_b128 v[30:33], off, off offset:464
	v_add_f64 v[167:168], v[167:168], v[42:43]
	v_add_f64 v[169:170], v[169:170], v[44:45]
	ds_load_b128 v[42:45], v1 offset:912
	s_waitcnt vmcnt(10) lgkmcnt(1)
	v_mul_f64 v[177:178], v[2:3], v[36:37]
	v_mul_f64 v[36:37], v[4:5], v[36:37]
	s_waitcnt vmcnt(8) lgkmcnt(0)
	v_mul_f64 v[171:172], v[42:43], v[161:162]
	v_add_f64 v[167:168], v[167:168], v[175:176]
	v_add_f64 v[169:170], v[169:170], v[173:174]
	v_mul_f64 v[173:174], v[44:45], v[161:162]
	v_fma_f64 v[175:176], v[4:5], v[34:35], v[177:178]
	v_fma_f64 v[177:178], v[2:3], v[34:35], -v[36:37]
	ds_load_b128 v[2:5], v1 offset:928
	scratch_load_b128 v[34:37], off, off offset:480
	v_fma_f64 v[44:45], v[44:45], v[159:160], v[171:172]
	v_add_f64 v[167:168], v[167:168], v[163:164]
	v_add_f64 v[165:166], v[169:170], v[165:166]
	ds_load_b128 v[161:164], v1 offset:944
	v_fma_f64 v[159:160], v[42:43], v[159:160], -v[173:174]
	s_waitcnt vmcnt(8) lgkmcnt(1)
	v_mul_f64 v[169:170], v[2:3], v[40:41]
	v_mul_f64 v[179:180], v[4:5], v[40:41]
	scratch_load_b128 v[40:43], off, off offset:496
	s_waitcnt vmcnt(8) lgkmcnt(0)
	v_mul_f64 v[173:174], v[161:162], v[8:9]
	v_mul_f64 v[8:9], v[163:164], v[8:9]
	v_add_f64 v[167:168], v[167:168], v[177:178]
	v_add_f64 v[165:166], v[165:166], v[175:176]
	v_fma_f64 v[175:176], v[4:5], v[38:39], v[169:170]
	v_fma_f64 v[38:39], v[2:3], v[38:39], -v[179:180]
	ds_load_b128 v[2:5], v1 offset:960
	ds_load_b128 v[169:172], v1 offset:976
	v_fma_f64 v[163:164], v[163:164], v[6:7], v[173:174]
	v_fma_f64 v[161:162], v[161:162], v[6:7], -v[8:9]
	scratch_load_b128 v[6:9], off, off offset:528
	v_add_f64 v[159:160], v[167:168], v[159:160]
	v_add_f64 v[44:45], v[165:166], v[44:45]
	scratch_load_b128 v[165:168], off, off offset:512
	s_waitcnt vmcnt(9) lgkmcnt(1)
	v_mul_f64 v[177:178], v[2:3], v[12:13]
	v_mul_f64 v[12:13], v[4:5], v[12:13]
	s_waitcnt vmcnt(8) lgkmcnt(0)
	v_mul_f64 v[173:174], v[169:170], v[16:17]
	v_mul_f64 v[16:17], v[171:172], v[16:17]
	v_add_f64 v[38:39], v[159:160], v[38:39]
	v_add_f64 v[44:45], v[44:45], v[175:176]
	v_fma_f64 v[175:176], v[4:5], v[10:11], v[177:178]
	v_fma_f64 v[177:178], v[2:3], v[10:11], -v[12:13]
	ds_load_b128 v[2:5], v1 offset:992
	scratch_load_b128 v[10:13], off, off offset:544
	v_fma_f64 v[171:172], v[171:172], v[14:15], v[173:174]
	v_fma_f64 v[169:170], v[169:170], v[14:15], -v[16:17]
	scratch_load_b128 v[14:17], off, off offset:560
	v_add_f64 v[38:39], v[38:39], v[161:162]
	v_add_f64 v[44:45], v[44:45], v[163:164]
	ds_load_b128 v[159:162], v1 offset:1008
	s_waitcnt vmcnt(9) lgkmcnt(1)
	v_mul_f64 v[163:164], v[2:3], v[20:21]
	v_mul_f64 v[20:21], v[4:5], v[20:21]
	s_waitcnt vmcnt(8) lgkmcnt(0)
	v_mul_f64 v[173:174], v[159:160], v[24:25]
	v_mul_f64 v[24:25], v[161:162], v[24:25]
	v_add_f64 v[38:39], v[38:39], v[177:178]
	v_add_f64 v[44:45], v[44:45], v[175:176]
	v_fma_f64 v[163:164], v[4:5], v[18:19], v[163:164]
	v_fma_f64 v[175:176], v[2:3], v[18:19], -v[20:21]
	ds_load_b128 v[2:5], v1 offset:1024
	ds_load_b128 v[18:21], v1 offset:1040
	v_fma_f64 v[161:162], v[161:162], v[22:23], v[173:174]
	v_fma_f64 v[22:23], v[159:160], v[22:23], -v[24:25]
	v_add_f64 v[38:39], v[38:39], v[169:170]
	v_add_f64 v[44:45], v[44:45], v[171:172]
	s_waitcnt vmcnt(7) lgkmcnt(1)
	v_mul_f64 v[169:170], v[2:3], v[28:29]
	v_mul_f64 v[28:29], v[4:5], v[28:29]
	s_delay_alu instid0(VALU_DEP_4) | instskip(NEXT) | instid1(VALU_DEP_4)
	v_add_f64 v[24:25], v[38:39], v[175:176]
	v_add_f64 v[38:39], v[44:45], v[163:164]
	s_waitcnt vmcnt(6) lgkmcnt(0)
	v_mul_f64 v[44:45], v[18:19], v[32:33]
	v_mul_f64 v[32:33], v[20:21], v[32:33]
	v_fma_f64 v[159:160], v[4:5], v[26:27], v[169:170]
	v_fma_f64 v[26:27], v[2:3], v[26:27], -v[28:29]
	v_add_f64 v[28:29], v[24:25], v[22:23]
	v_add_f64 v[38:39], v[38:39], v[161:162]
	ds_load_b128 v[2:5], v1 offset:1056
	ds_load_b128 v[22:25], v1 offset:1072
	v_fma_f64 v[20:21], v[20:21], v[30:31], v[44:45]
	v_fma_f64 v[18:19], v[18:19], v[30:31], -v[32:33]
	s_waitcnt vmcnt(5) lgkmcnt(1)
	v_mul_f64 v[161:162], v[2:3], v[36:37]
	v_mul_f64 v[36:37], v[4:5], v[36:37]
	s_waitcnt vmcnt(4) lgkmcnt(0)
	v_mul_f64 v[30:31], v[22:23], v[42:43]
	v_add_f64 v[26:27], v[28:29], v[26:27]
	v_add_f64 v[28:29], v[38:39], v[159:160]
	v_mul_f64 v[32:33], v[24:25], v[42:43]
	v_fma_f64 v[38:39], v[4:5], v[34:35], v[161:162]
	v_fma_f64 v[34:35], v[2:3], v[34:35], -v[36:37]
	v_fma_f64 v[24:25], v[24:25], v[40:41], v[30:31]
	v_add_f64 v[26:27], v[26:27], v[18:19]
	v_add_f64 v[28:29], v[28:29], v[20:21]
	ds_load_b128 v[2:5], v1 offset:1088
	ds_load_b128 v[18:21], v1 offset:1104
	v_fma_f64 v[22:23], v[22:23], v[40:41], -v[32:33]
	s_waitcnt vmcnt(2) lgkmcnt(1)
	v_mul_f64 v[36:37], v[2:3], v[167:168]
	v_mul_f64 v[42:43], v[4:5], v[167:168]
	s_waitcnt lgkmcnt(0)
	v_mul_f64 v[30:31], v[18:19], v[8:9]
	v_mul_f64 v[8:9], v[20:21], v[8:9]
	v_add_f64 v[26:27], v[26:27], v[34:35]
	v_add_f64 v[28:29], v[28:29], v[38:39]
	v_fma_f64 v[32:33], v[4:5], v[165:166], v[36:37]
	v_fma_f64 v[34:35], v[2:3], v[165:166], -v[42:43]
	v_fma_f64 v[20:21], v[20:21], v[6:7], v[30:31]
	v_fma_f64 v[6:7], v[18:19], v[6:7], -v[8:9]
	v_add_f64 v[26:27], v[26:27], v[22:23]
	v_add_f64 v[28:29], v[28:29], v[24:25]
	ds_load_b128 v[2:5], v1 offset:1120
	ds_load_b128 v[22:25], v1 offset:1136
	s_waitcnt vmcnt(1) lgkmcnt(1)
	v_mul_f64 v[36:37], v[2:3], v[12:13]
	v_mul_f64 v[12:13], v[4:5], v[12:13]
	v_add_f64 v[8:9], v[26:27], v[34:35]
	v_add_f64 v[18:19], v[28:29], v[32:33]
	s_waitcnt vmcnt(0) lgkmcnt(0)
	v_mul_f64 v[26:27], v[22:23], v[16:17]
	v_mul_f64 v[16:17], v[24:25], v[16:17]
	v_fma_f64 v[4:5], v[4:5], v[10:11], v[36:37]
	v_fma_f64 v[1:2], v[2:3], v[10:11], -v[12:13]
	v_add_f64 v[6:7], v[8:9], v[6:7]
	v_add_f64 v[8:9], v[18:19], v[20:21]
	v_fma_f64 v[10:11], v[24:25], v[14:15], v[26:27]
	v_fma_f64 v[12:13], v[22:23], v[14:15], -v[16:17]
	s_delay_alu instid0(VALU_DEP_4) | instskip(NEXT) | instid1(VALU_DEP_4)
	v_add_f64 v[1:2], v[6:7], v[1:2]
	v_add_f64 v[3:4], v[8:9], v[4:5]
	s_delay_alu instid0(VALU_DEP_2) | instskip(NEXT) | instid1(VALU_DEP_2)
	v_add_f64 v[1:2], v[1:2], v[12:13]
	v_add_f64 v[3:4], v[3:4], v[10:11]
	s_delay_alu instid0(VALU_DEP_2) | instskip(NEXT) | instid1(VALU_DEP_2)
	v_add_f64 v[1:2], v[155:156], -v[1:2]
	v_add_f64 v[3:4], v[157:158], -v[3:4]
	scratch_store_b128 off, v[1:4], off offset:176
	v_cmpx_lt_u32_e32 10, v118
	s_cbranch_execz .LBB99_209
; %bb.208:
	scratch_load_b128 v[1:4], v135, off
	v_mov_b32_e32 v5, 0
	s_delay_alu instid0(VALU_DEP_1)
	v_mov_b32_e32 v6, v5
	v_mov_b32_e32 v7, v5
	;; [unrolled: 1-line block ×3, first 2 shown]
	scratch_store_b128 off, v[5:8], off offset:160
	s_waitcnt vmcnt(0)
	ds_store_b128 v154, v[1:4]
.LBB99_209:
	s_or_b32 exec_lo, exec_lo, s2
	s_waitcnt lgkmcnt(0)
	s_waitcnt_vscnt null, 0x0
	s_barrier
	buffer_gl0_inv
	s_clause 0x7
	scratch_load_b128 v[2:5], off, off offset:176
	scratch_load_b128 v[6:9], off, off offset:192
	;; [unrolled: 1-line block ×8, first 2 shown]
	v_mov_b32_e32 v1, 0
	s_mov_b32 s2, exec_lo
	ds_load_b128 v[34:37], v1 offset:752
	s_clause 0x1
	scratch_load_b128 v[38:41], off, off offset:304
	scratch_load_b128 v[42:45], off, off offset:160
	ds_load_b128 v[155:158], v1 offset:768
	scratch_load_b128 v[159:162], off, off offset:320
	s_waitcnt vmcnt(10) lgkmcnt(1)
	v_mul_f64 v[163:164], v[36:37], v[4:5]
	v_mul_f64 v[4:5], v[34:35], v[4:5]
	s_delay_alu instid0(VALU_DEP_2) | instskip(NEXT) | instid1(VALU_DEP_2)
	v_fma_f64 v[169:170], v[34:35], v[2:3], -v[163:164]
	v_fma_f64 v[171:172], v[36:37], v[2:3], v[4:5]
	scratch_load_b128 v[34:37], off, off offset:336
	ds_load_b128 v[2:5], v1 offset:784
	s_waitcnt vmcnt(10) lgkmcnt(1)
	v_mul_f64 v[167:168], v[155:156], v[8:9]
	v_mul_f64 v[8:9], v[157:158], v[8:9]
	ds_load_b128 v[163:166], v1 offset:800
	s_waitcnt vmcnt(9) lgkmcnt(1)
	v_mul_f64 v[173:174], v[2:3], v[12:13]
	v_mul_f64 v[12:13], v[4:5], v[12:13]
	v_fma_f64 v[157:158], v[157:158], v[6:7], v[167:168]
	v_fma_f64 v[155:156], v[155:156], v[6:7], -v[8:9]
	v_add_f64 v[167:168], v[169:170], 0
	v_add_f64 v[169:170], v[171:172], 0
	scratch_load_b128 v[6:9], off, off offset:352
	v_fma_f64 v[173:174], v[4:5], v[10:11], v[173:174]
	v_fma_f64 v[175:176], v[2:3], v[10:11], -v[12:13]
	scratch_load_b128 v[10:13], off, off offset:368
	ds_load_b128 v[2:5], v1 offset:816
	s_waitcnt vmcnt(10) lgkmcnt(1)
	v_mul_f64 v[171:172], v[163:164], v[16:17]
	v_mul_f64 v[16:17], v[165:166], v[16:17]
	v_add_f64 v[167:168], v[167:168], v[155:156]
	v_add_f64 v[169:170], v[169:170], v[157:158]
	s_waitcnt vmcnt(9) lgkmcnt(0)
	v_mul_f64 v[177:178], v[2:3], v[20:21]
	v_mul_f64 v[20:21], v[4:5], v[20:21]
	ds_load_b128 v[155:158], v1 offset:832
	v_fma_f64 v[165:166], v[165:166], v[14:15], v[171:172]
	v_fma_f64 v[163:164], v[163:164], v[14:15], -v[16:17]
	scratch_load_b128 v[14:17], off, off offset:384
	v_add_f64 v[167:168], v[167:168], v[175:176]
	v_add_f64 v[169:170], v[169:170], v[173:174]
	v_fma_f64 v[173:174], v[4:5], v[18:19], v[177:178]
	v_fma_f64 v[175:176], v[2:3], v[18:19], -v[20:21]
	scratch_load_b128 v[18:21], off, off offset:400
	ds_load_b128 v[2:5], v1 offset:848
	s_waitcnt vmcnt(10) lgkmcnt(1)
	v_mul_f64 v[171:172], v[155:156], v[24:25]
	v_mul_f64 v[24:25], v[157:158], v[24:25]
	s_waitcnt vmcnt(9) lgkmcnt(0)
	v_mul_f64 v[177:178], v[2:3], v[28:29]
	v_mul_f64 v[28:29], v[4:5], v[28:29]
	v_add_f64 v[167:168], v[167:168], v[163:164]
	v_add_f64 v[169:170], v[169:170], v[165:166]
	ds_load_b128 v[163:166], v1 offset:864
	v_fma_f64 v[157:158], v[157:158], v[22:23], v[171:172]
	v_fma_f64 v[155:156], v[155:156], v[22:23], -v[24:25]
	scratch_load_b128 v[22:25], off, off offset:416
	v_add_f64 v[167:168], v[167:168], v[175:176]
	v_add_f64 v[169:170], v[169:170], v[173:174]
	v_fma_f64 v[173:174], v[4:5], v[26:27], v[177:178]
	v_fma_f64 v[175:176], v[2:3], v[26:27], -v[28:29]
	scratch_load_b128 v[26:29], off, off offset:432
	ds_load_b128 v[2:5], v1 offset:880
	s_waitcnt vmcnt(10) lgkmcnt(1)
	v_mul_f64 v[171:172], v[163:164], v[32:33]
	v_mul_f64 v[32:33], v[165:166], v[32:33]
	s_waitcnt vmcnt(9) lgkmcnt(0)
	v_mul_f64 v[177:178], v[2:3], v[40:41]
	v_mul_f64 v[40:41], v[4:5], v[40:41]
	v_add_f64 v[167:168], v[167:168], v[155:156]
	v_add_f64 v[169:170], v[169:170], v[157:158]
	ds_load_b128 v[155:158], v1 offset:896
	v_fma_f64 v[165:166], v[165:166], v[30:31], v[171:172]
	v_fma_f64 v[163:164], v[163:164], v[30:31], -v[32:33]
	scratch_load_b128 v[30:33], off, off offset:448
	v_add_f64 v[167:168], v[167:168], v[175:176]
	v_add_f64 v[169:170], v[169:170], v[173:174]
	v_fma_f64 v[175:176], v[4:5], v[38:39], v[177:178]
	v_fma_f64 v[177:178], v[2:3], v[38:39], -v[40:41]
	scratch_load_b128 v[38:41], off, off offset:464
	ds_load_b128 v[2:5], v1 offset:912
	s_waitcnt vmcnt(9) lgkmcnt(1)
	v_mul_f64 v[171:172], v[155:156], v[161:162]
	v_mul_f64 v[173:174], v[157:158], v[161:162]
	v_add_f64 v[167:168], v[167:168], v[163:164]
	v_add_f64 v[165:166], v[169:170], v[165:166]
	ds_load_b128 v[161:164], v1 offset:928
	v_fma_f64 v[171:172], v[157:158], v[159:160], v[171:172]
	v_fma_f64 v[159:160], v[155:156], v[159:160], -v[173:174]
	scratch_load_b128 v[155:158], off, off offset:480
	s_waitcnt vmcnt(9) lgkmcnt(1)
	v_mul_f64 v[169:170], v[2:3], v[36:37]
	v_mul_f64 v[36:37], v[4:5], v[36:37]
	v_add_f64 v[167:168], v[167:168], v[177:178]
	v_add_f64 v[165:166], v[165:166], v[175:176]
	s_delay_alu instid0(VALU_DEP_4) | instskip(NEXT) | instid1(VALU_DEP_4)
	v_fma_f64 v[169:170], v[4:5], v[34:35], v[169:170]
	v_fma_f64 v[175:176], v[2:3], v[34:35], -v[36:37]
	scratch_load_b128 v[34:37], off, off offset:496
	ds_load_b128 v[2:5], v1 offset:944
	s_waitcnt vmcnt(9) lgkmcnt(1)
	v_mul_f64 v[173:174], v[161:162], v[8:9]
	v_mul_f64 v[8:9], v[163:164], v[8:9]
	s_waitcnt vmcnt(8) lgkmcnt(0)
	v_mul_f64 v[177:178], v[2:3], v[12:13]
	v_mul_f64 v[12:13], v[4:5], v[12:13]
	v_add_f64 v[159:160], v[167:168], v[159:160]
	v_add_f64 v[171:172], v[165:166], v[171:172]
	ds_load_b128 v[165:168], v1 offset:960
	v_fma_f64 v[163:164], v[163:164], v[6:7], v[173:174]
	v_fma_f64 v[161:162], v[161:162], v[6:7], -v[8:9]
	scratch_load_b128 v[6:9], off, off offset:512
	v_fma_f64 v[173:174], v[4:5], v[10:11], v[177:178]
	v_add_f64 v[159:160], v[159:160], v[175:176]
	v_add_f64 v[169:170], v[171:172], v[169:170]
	v_fma_f64 v[175:176], v[2:3], v[10:11], -v[12:13]
	scratch_load_b128 v[10:13], off, off offset:528
	ds_load_b128 v[2:5], v1 offset:976
	s_waitcnt vmcnt(9) lgkmcnt(1)
	v_mul_f64 v[171:172], v[165:166], v[16:17]
	v_mul_f64 v[16:17], v[167:168], v[16:17]
	v_add_f64 v[177:178], v[159:160], v[161:162]
	v_add_f64 v[163:164], v[169:170], v[163:164]
	s_waitcnt vmcnt(8) lgkmcnt(0)
	v_mul_f64 v[169:170], v[2:3], v[20:21]
	v_mul_f64 v[20:21], v[4:5], v[20:21]
	ds_load_b128 v[159:162], v1 offset:992
	v_fma_f64 v[167:168], v[167:168], v[14:15], v[171:172]
	v_fma_f64 v[165:166], v[165:166], v[14:15], -v[16:17]
	scratch_load_b128 v[14:17], off, off offset:544
	v_add_f64 v[171:172], v[177:178], v[175:176]
	v_add_f64 v[163:164], v[163:164], v[173:174]
	v_fma_f64 v[169:170], v[4:5], v[18:19], v[169:170]
	v_fma_f64 v[175:176], v[2:3], v[18:19], -v[20:21]
	scratch_load_b128 v[18:21], off, off offset:560
	ds_load_b128 v[2:5], v1 offset:1008
	s_waitcnt vmcnt(9) lgkmcnt(1)
	v_mul_f64 v[173:174], v[159:160], v[24:25]
	v_mul_f64 v[24:25], v[161:162], v[24:25]
	s_waitcnt vmcnt(8) lgkmcnt(0)
	v_mul_f64 v[177:178], v[2:3], v[28:29]
	v_mul_f64 v[28:29], v[4:5], v[28:29]
	v_add_f64 v[171:172], v[171:172], v[165:166]
	v_add_f64 v[167:168], v[163:164], v[167:168]
	ds_load_b128 v[163:166], v1 offset:1024
	v_fma_f64 v[161:162], v[161:162], v[22:23], v[173:174]
	v_fma_f64 v[22:23], v[159:160], v[22:23], -v[24:25]
	v_add_f64 v[24:25], v[171:172], v[175:176]
	v_add_f64 v[159:160], v[167:168], v[169:170]
	s_waitcnt vmcnt(7) lgkmcnt(0)
	v_mul_f64 v[167:168], v[163:164], v[32:33]
	v_mul_f64 v[32:33], v[165:166], v[32:33]
	v_fma_f64 v[169:170], v[4:5], v[26:27], v[177:178]
	v_fma_f64 v[26:27], v[2:3], v[26:27], -v[28:29]
	v_add_f64 v[28:29], v[24:25], v[22:23]
	v_add_f64 v[159:160], v[159:160], v[161:162]
	ds_load_b128 v[2:5], v1 offset:1040
	ds_load_b128 v[22:25], v1 offset:1056
	v_fma_f64 v[165:166], v[165:166], v[30:31], v[167:168]
	v_fma_f64 v[30:31], v[163:164], v[30:31], -v[32:33]
	s_waitcnt vmcnt(6) lgkmcnt(1)
	v_mul_f64 v[161:162], v[2:3], v[40:41]
	v_mul_f64 v[40:41], v[4:5], v[40:41]
	s_waitcnt vmcnt(5) lgkmcnt(0)
	v_mul_f64 v[32:33], v[22:23], v[157:158]
	v_mul_f64 v[157:158], v[24:25], v[157:158]
	v_add_f64 v[26:27], v[28:29], v[26:27]
	v_add_f64 v[28:29], v[159:160], v[169:170]
	v_fma_f64 v[159:160], v[4:5], v[38:39], v[161:162]
	v_fma_f64 v[38:39], v[2:3], v[38:39], -v[40:41]
	v_fma_f64 v[24:25], v[24:25], v[155:156], v[32:33]
	v_fma_f64 v[22:23], v[22:23], v[155:156], -v[157:158]
	v_add_f64 v[30:31], v[26:27], v[30:31]
	v_add_f64 v[40:41], v[28:29], v[165:166]
	ds_load_b128 v[2:5], v1 offset:1072
	ds_load_b128 v[26:29], v1 offset:1088
	s_waitcnt vmcnt(4) lgkmcnt(1)
	v_mul_f64 v[161:162], v[2:3], v[36:37]
	v_mul_f64 v[36:37], v[4:5], v[36:37]
	v_add_f64 v[30:31], v[30:31], v[38:39]
	v_add_f64 v[32:33], v[40:41], v[159:160]
	s_waitcnt vmcnt(3) lgkmcnt(0)
	v_mul_f64 v[38:39], v[26:27], v[8:9]
	v_mul_f64 v[8:9], v[28:29], v[8:9]
	v_fma_f64 v[40:41], v[4:5], v[34:35], v[161:162]
	v_fma_f64 v[34:35], v[2:3], v[34:35], -v[36:37]
	v_add_f64 v[30:31], v[30:31], v[22:23]
	v_add_f64 v[32:33], v[32:33], v[24:25]
	ds_load_b128 v[2:5], v1 offset:1104
	ds_load_b128 v[22:25], v1 offset:1120
	v_fma_f64 v[28:29], v[28:29], v[6:7], v[38:39]
	v_fma_f64 v[6:7], v[26:27], v[6:7], -v[8:9]
	s_waitcnt vmcnt(2) lgkmcnt(1)
	v_mul_f64 v[36:37], v[2:3], v[12:13]
	v_mul_f64 v[12:13], v[4:5], v[12:13]
	v_add_f64 v[8:9], v[30:31], v[34:35]
	v_add_f64 v[26:27], v[32:33], v[40:41]
	s_waitcnt vmcnt(1) lgkmcnt(0)
	v_mul_f64 v[30:31], v[22:23], v[16:17]
	v_mul_f64 v[16:17], v[24:25], v[16:17]
	v_fma_f64 v[32:33], v[4:5], v[10:11], v[36:37]
	v_fma_f64 v[10:11], v[2:3], v[10:11], -v[12:13]
	ds_load_b128 v[2:5], v1 offset:1136
	v_add_f64 v[6:7], v[8:9], v[6:7]
	v_add_f64 v[8:9], v[26:27], v[28:29]
	v_fma_f64 v[24:25], v[24:25], v[14:15], v[30:31]
	v_fma_f64 v[14:15], v[22:23], v[14:15], -v[16:17]
	s_waitcnt vmcnt(0) lgkmcnt(0)
	v_mul_f64 v[12:13], v[2:3], v[20:21]
	v_mul_f64 v[20:21], v[4:5], v[20:21]
	v_add_f64 v[6:7], v[6:7], v[10:11]
	v_add_f64 v[8:9], v[8:9], v[32:33]
	s_delay_alu instid0(VALU_DEP_4) | instskip(NEXT) | instid1(VALU_DEP_4)
	v_fma_f64 v[4:5], v[4:5], v[18:19], v[12:13]
	v_fma_f64 v[2:3], v[2:3], v[18:19], -v[20:21]
	s_delay_alu instid0(VALU_DEP_4) | instskip(NEXT) | instid1(VALU_DEP_4)
	v_add_f64 v[6:7], v[6:7], v[14:15]
	v_add_f64 v[8:9], v[8:9], v[24:25]
	s_delay_alu instid0(VALU_DEP_2) | instskip(NEXT) | instid1(VALU_DEP_2)
	v_add_f64 v[2:3], v[6:7], v[2:3]
	v_add_f64 v[4:5], v[8:9], v[4:5]
	s_delay_alu instid0(VALU_DEP_2) | instskip(NEXT) | instid1(VALU_DEP_2)
	v_add_f64 v[2:3], v[42:43], -v[2:3]
	v_add_f64 v[4:5], v[44:45], -v[4:5]
	scratch_store_b128 off, v[2:5], off offset:160
	v_cmpx_lt_u32_e32 9, v118
	s_cbranch_execz .LBB99_211
; %bb.210:
	scratch_load_b128 v[5:8], v138, off
	v_mov_b32_e32 v2, v1
	v_mov_b32_e32 v3, v1
	v_mov_b32_e32 v4, v1
	scratch_store_b128 off, v[1:4], off offset:144
	s_waitcnt vmcnt(0)
	ds_store_b128 v154, v[5:8]
.LBB99_211:
	s_or_b32 exec_lo, exec_lo, s2
	s_waitcnt lgkmcnt(0)
	s_waitcnt_vscnt null, 0x0
	s_barrier
	buffer_gl0_inv
	s_clause 0x8
	scratch_load_b128 v[2:5], off, off offset:160
	scratch_load_b128 v[6:9], off, off offset:176
	;; [unrolled: 1-line block ×9, first 2 shown]
	ds_load_b128 v[38:41], v1 offset:736
	ds_load_b128 v[42:45], v1 offset:752
	s_clause 0x1
	scratch_load_b128 v[155:158], off, off offset:144
	scratch_load_b128 v[159:162], off, off offset:304
	s_mov_b32 s2, exec_lo
	s_waitcnt vmcnt(10) lgkmcnt(1)
	v_mul_f64 v[163:164], v[40:41], v[4:5]
	v_mul_f64 v[4:5], v[38:39], v[4:5]
	s_waitcnt vmcnt(9) lgkmcnt(0)
	v_mul_f64 v[167:168], v[42:43], v[8:9]
	v_mul_f64 v[8:9], v[44:45], v[8:9]
	s_delay_alu instid0(VALU_DEP_4) | instskip(NEXT) | instid1(VALU_DEP_4)
	v_fma_f64 v[169:170], v[38:39], v[2:3], -v[163:164]
	v_fma_f64 v[171:172], v[40:41], v[2:3], v[4:5]
	ds_load_b128 v[2:5], v1 offset:768
	ds_load_b128 v[163:166], v1 offset:784
	scratch_load_b128 v[38:41], off, off offset:320
	v_fma_f64 v[44:45], v[44:45], v[6:7], v[167:168]
	v_fma_f64 v[42:43], v[42:43], v[6:7], -v[8:9]
	scratch_load_b128 v[6:9], off, off offset:336
	s_waitcnt vmcnt(10) lgkmcnt(1)
	v_mul_f64 v[173:174], v[2:3], v[12:13]
	v_mul_f64 v[12:13], v[4:5], v[12:13]
	v_add_f64 v[167:168], v[169:170], 0
	v_add_f64 v[169:170], v[171:172], 0
	s_waitcnt vmcnt(9) lgkmcnt(0)
	v_mul_f64 v[171:172], v[163:164], v[16:17]
	v_mul_f64 v[16:17], v[165:166], v[16:17]
	v_fma_f64 v[173:174], v[4:5], v[10:11], v[173:174]
	v_fma_f64 v[175:176], v[2:3], v[10:11], -v[12:13]
	ds_load_b128 v[2:5], v1 offset:800
	scratch_load_b128 v[10:13], off, off offset:352
	v_add_f64 v[167:168], v[167:168], v[42:43]
	v_add_f64 v[169:170], v[169:170], v[44:45]
	ds_load_b128 v[42:45], v1 offset:816
	v_fma_f64 v[165:166], v[165:166], v[14:15], v[171:172]
	v_fma_f64 v[163:164], v[163:164], v[14:15], -v[16:17]
	scratch_load_b128 v[14:17], off, off offset:368
	s_waitcnt vmcnt(10) lgkmcnt(1)
	v_mul_f64 v[177:178], v[2:3], v[20:21]
	v_mul_f64 v[20:21], v[4:5], v[20:21]
	s_waitcnt vmcnt(9) lgkmcnt(0)
	v_mul_f64 v[171:172], v[42:43], v[24:25]
	v_mul_f64 v[24:25], v[44:45], v[24:25]
	v_add_f64 v[167:168], v[167:168], v[175:176]
	v_add_f64 v[169:170], v[169:170], v[173:174]
	v_fma_f64 v[173:174], v[4:5], v[18:19], v[177:178]
	v_fma_f64 v[175:176], v[2:3], v[18:19], -v[20:21]
	ds_load_b128 v[2:5], v1 offset:832
	scratch_load_b128 v[18:21], off, off offset:384
	v_fma_f64 v[44:45], v[44:45], v[22:23], v[171:172]
	v_fma_f64 v[42:43], v[42:43], v[22:23], -v[24:25]
	scratch_load_b128 v[22:25], off, off offset:400
	v_add_f64 v[167:168], v[167:168], v[163:164]
	v_add_f64 v[169:170], v[169:170], v[165:166]
	ds_load_b128 v[163:166], v1 offset:848
	s_waitcnt vmcnt(10) lgkmcnt(1)
	v_mul_f64 v[177:178], v[2:3], v[28:29]
	v_mul_f64 v[28:29], v[4:5], v[28:29]
	s_waitcnt vmcnt(9) lgkmcnt(0)
	v_mul_f64 v[171:172], v[163:164], v[32:33]
	v_mul_f64 v[32:33], v[165:166], v[32:33]
	v_add_f64 v[167:168], v[167:168], v[175:176]
	v_add_f64 v[169:170], v[169:170], v[173:174]
	v_fma_f64 v[173:174], v[4:5], v[26:27], v[177:178]
	v_fma_f64 v[175:176], v[2:3], v[26:27], -v[28:29]
	ds_load_b128 v[2:5], v1 offset:864
	scratch_load_b128 v[26:29], off, off offset:416
	v_fma_f64 v[165:166], v[165:166], v[30:31], v[171:172]
	v_fma_f64 v[163:164], v[163:164], v[30:31], -v[32:33]
	scratch_load_b128 v[30:33], off, off offset:432
	v_add_f64 v[167:168], v[167:168], v[42:43]
	v_add_f64 v[169:170], v[169:170], v[44:45]
	ds_load_b128 v[42:45], v1 offset:880
	s_waitcnt vmcnt(10) lgkmcnt(1)
	v_mul_f64 v[177:178], v[2:3], v[36:37]
	v_mul_f64 v[36:37], v[4:5], v[36:37]
	s_waitcnt vmcnt(8) lgkmcnt(0)
	v_mul_f64 v[171:172], v[42:43], v[161:162]
	v_add_f64 v[167:168], v[167:168], v[175:176]
	v_add_f64 v[169:170], v[169:170], v[173:174]
	v_mul_f64 v[173:174], v[44:45], v[161:162]
	v_fma_f64 v[175:176], v[4:5], v[34:35], v[177:178]
	v_fma_f64 v[177:178], v[2:3], v[34:35], -v[36:37]
	ds_load_b128 v[2:5], v1 offset:896
	scratch_load_b128 v[34:37], off, off offset:448
	v_fma_f64 v[44:45], v[44:45], v[159:160], v[171:172]
	v_add_f64 v[167:168], v[167:168], v[163:164]
	v_add_f64 v[165:166], v[169:170], v[165:166]
	ds_load_b128 v[161:164], v1 offset:912
	v_fma_f64 v[159:160], v[42:43], v[159:160], -v[173:174]
	s_waitcnt vmcnt(8) lgkmcnt(1)
	v_mul_f64 v[169:170], v[2:3], v[40:41]
	v_mul_f64 v[179:180], v[4:5], v[40:41]
	scratch_load_b128 v[40:43], off, off offset:464
	s_waitcnt vmcnt(8) lgkmcnt(0)
	v_mul_f64 v[173:174], v[161:162], v[8:9]
	v_mul_f64 v[8:9], v[163:164], v[8:9]
	v_add_f64 v[167:168], v[167:168], v[177:178]
	v_add_f64 v[165:166], v[165:166], v[175:176]
	v_fma_f64 v[175:176], v[4:5], v[38:39], v[169:170]
	v_fma_f64 v[38:39], v[2:3], v[38:39], -v[179:180]
	ds_load_b128 v[2:5], v1 offset:928
	ds_load_b128 v[169:172], v1 offset:944
	v_fma_f64 v[163:164], v[163:164], v[6:7], v[173:174]
	v_fma_f64 v[161:162], v[161:162], v[6:7], -v[8:9]
	scratch_load_b128 v[6:9], off, off offset:496
	v_add_f64 v[159:160], v[167:168], v[159:160]
	v_add_f64 v[44:45], v[165:166], v[44:45]
	scratch_load_b128 v[165:168], off, off offset:480
	s_waitcnt vmcnt(9) lgkmcnt(1)
	v_mul_f64 v[177:178], v[2:3], v[12:13]
	v_mul_f64 v[12:13], v[4:5], v[12:13]
	s_waitcnt vmcnt(8) lgkmcnt(0)
	v_mul_f64 v[173:174], v[169:170], v[16:17]
	v_mul_f64 v[16:17], v[171:172], v[16:17]
	v_add_f64 v[38:39], v[159:160], v[38:39]
	v_add_f64 v[44:45], v[44:45], v[175:176]
	v_fma_f64 v[175:176], v[4:5], v[10:11], v[177:178]
	v_fma_f64 v[177:178], v[2:3], v[10:11], -v[12:13]
	ds_load_b128 v[2:5], v1 offset:960
	scratch_load_b128 v[10:13], off, off offset:512
	v_fma_f64 v[171:172], v[171:172], v[14:15], v[173:174]
	v_fma_f64 v[169:170], v[169:170], v[14:15], -v[16:17]
	scratch_load_b128 v[14:17], off, off offset:528
	v_add_f64 v[38:39], v[38:39], v[161:162]
	v_add_f64 v[44:45], v[44:45], v[163:164]
	ds_load_b128 v[159:162], v1 offset:976
	s_waitcnt vmcnt(9) lgkmcnt(1)
	v_mul_f64 v[163:164], v[2:3], v[20:21]
	v_mul_f64 v[20:21], v[4:5], v[20:21]
	s_waitcnt vmcnt(8) lgkmcnt(0)
	v_mul_f64 v[173:174], v[159:160], v[24:25]
	v_mul_f64 v[24:25], v[161:162], v[24:25]
	v_add_f64 v[38:39], v[38:39], v[177:178]
	v_add_f64 v[44:45], v[44:45], v[175:176]
	v_fma_f64 v[163:164], v[4:5], v[18:19], v[163:164]
	v_fma_f64 v[175:176], v[2:3], v[18:19], -v[20:21]
	ds_load_b128 v[2:5], v1 offset:992
	scratch_load_b128 v[18:21], off, off offset:544
	v_fma_f64 v[161:162], v[161:162], v[22:23], v[173:174]
	v_fma_f64 v[159:160], v[159:160], v[22:23], -v[24:25]
	scratch_load_b128 v[22:25], off, off offset:560
	v_add_f64 v[38:39], v[38:39], v[169:170]
	v_add_f64 v[44:45], v[44:45], v[171:172]
	ds_load_b128 v[169:172], v1 offset:1008
	s_waitcnt vmcnt(9) lgkmcnt(1)
	v_mul_f64 v[177:178], v[2:3], v[28:29]
	v_mul_f64 v[28:29], v[4:5], v[28:29]
	v_add_f64 v[38:39], v[38:39], v[175:176]
	v_add_f64 v[44:45], v[44:45], v[163:164]
	s_waitcnt vmcnt(8) lgkmcnt(0)
	v_mul_f64 v[163:164], v[169:170], v[32:33]
	v_mul_f64 v[32:33], v[171:172], v[32:33]
	v_fma_f64 v[173:174], v[4:5], v[26:27], v[177:178]
	v_fma_f64 v[175:176], v[2:3], v[26:27], -v[28:29]
	ds_load_b128 v[2:5], v1 offset:1024
	ds_load_b128 v[26:29], v1 offset:1040
	v_add_f64 v[38:39], v[38:39], v[159:160]
	v_add_f64 v[44:45], v[44:45], v[161:162]
	s_waitcnt vmcnt(7) lgkmcnt(1)
	v_mul_f64 v[159:160], v[2:3], v[36:37]
	v_mul_f64 v[36:37], v[4:5], v[36:37]
	v_fma_f64 v[161:162], v[171:172], v[30:31], v[163:164]
	v_fma_f64 v[30:31], v[169:170], v[30:31], -v[32:33]
	v_add_f64 v[32:33], v[38:39], v[175:176]
	v_add_f64 v[38:39], v[44:45], v[173:174]
	s_waitcnt vmcnt(6) lgkmcnt(0)
	v_mul_f64 v[44:45], v[26:27], v[42:43]
	v_mul_f64 v[42:43], v[28:29], v[42:43]
	v_fma_f64 v[159:160], v[4:5], v[34:35], v[159:160]
	v_fma_f64 v[34:35], v[2:3], v[34:35], -v[36:37]
	v_add_f64 v[36:37], v[32:33], v[30:31]
	v_add_f64 v[38:39], v[38:39], v[161:162]
	ds_load_b128 v[2:5], v1 offset:1056
	ds_load_b128 v[30:33], v1 offset:1072
	v_fma_f64 v[28:29], v[28:29], v[40:41], v[44:45]
	v_fma_f64 v[26:27], v[26:27], v[40:41], -v[42:43]
	s_waitcnt vmcnt(4) lgkmcnt(1)
	v_mul_f64 v[161:162], v[2:3], v[167:168]
	v_mul_f64 v[163:164], v[4:5], v[167:168]
	v_add_f64 v[34:35], v[36:37], v[34:35]
	v_add_f64 v[36:37], v[38:39], v[159:160]
	s_waitcnt lgkmcnt(0)
	v_mul_f64 v[38:39], v[30:31], v[8:9]
	v_mul_f64 v[8:9], v[32:33], v[8:9]
	v_fma_f64 v[40:41], v[4:5], v[165:166], v[161:162]
	v_fma_f64 v[42:43], v[2:3], v[165:166], -v[163:164]
	v_add_f64 v[34:35], v[34:35], v[26:27]
	v_add_f64 v[36:37], v[36:37], v[28:29]
	ds_load_b128 v[2:5], v1 offset:1088
	ds_load_b128 v[26:29], v1 offset:1104
	v_fma_f64 v[32:33], v[32:33], v[6:7], v[38:39]
	v_fma_f64 v[6:7], v[30:31], v[6:7], -v[8:9]
	s_waitcnt vmcnt(3) lgkmcnt(1)
	v_mul_f64 v[44:45], v[2:3], v[12:13]
	v_mul_f64 v[12:13], v[4:5], v[12:13]
	v_add_f64 v[8:9], v[34:35], v[42:43]
	v_add_f64 v[30:31], v[36:37], v[40:41]
	s_waitcnt vmcnt(2) lgkmcnt(0)
	v_mul_f64 v[34:35], v[26:27], v[16:17]
	v_mul_f64 v[16:17], v[28:29], v[16:17]
	v_fma_f64 v[36:37], v[4:5], v[10:11], v[44:45]
	v_fma_f64 v[10:11], v[2:3], v[10:11], -v[12:13]
	v_add_f64 v[12:13], v[8:9], v[6:7]
	v_add_f64 v[30:31], v[30:31], v[32:33]
	ds_load_b128 v[2:5], v1 offset:1120
	ds_load_b128 v[6:9], v1 offset:1136
	v_fma_f64 v[28:29], v[28:29], v[14:15], v[34:35]
	v_fma_f64 v[14:15], v[26:27], v[14:15], -v[16:17]
	s_waitcnt vmcnt(1) lgkmcnt(1)
	v_mul_f64 v[32:33], v[2:3], v[20:21]
	v_mul_f64 v[20:21], v[4:5], v[20:21]
	s_waitcnt vmcnt(0) lgkmcnt(0)
	v_mul_f64 v[16:17], v[6:7], v[24:25]
	v_mul_f64 v[24:25], v[8:9], v[24:25]
	v_add_f64 v[10:11], v[12:13], v[10:11]
	v_add_f64 v[12:13], v[30:31], v[36:37]
	v_fma_f64 v[4:5], v[4:5], v[18:19], v[32:33]
	v_fma_f64 v[1:2], v[2:3], v[18:19], -v[20:21]
	v_fma_f64 v[8:9], v[8:9], v[22:23], v[16:17]
	v_fma_f64 v[6:7], v[6:7], v[22:23], -v[24:25]
	v_add_f64 v[10:11], v[10:11], v[14:15]
	v_add_f64 v[12:13], v[12:13], v[28:29]
	s_delay_alu instid0(VALU_DEP_2) | instskip(NEXT) | instid1(VALU_DEP_2)
	v_add_f64 v[1:2], v[10:11], v[1:2]
	v_add_f64 v[3:4], v[12:13], v[4:5]
	s_delay_alu instid0(VALU_DEP_2) | instskip(NEXT) | instid1(VALU_DEP_2)
	;; [unrolled: 3-line block ×3, first 2 shown]
	v_add_f64 v[1:2], v[155:156], -v[1:2]
	v_add_f64 v[3:4], v[157:158], -v[3:4]
	scratch_store_b128 off, v[1:4], off offset:144
	v_cmpx_lt_u32_e32 8, v118
	s_cbranch_execz .LBB99_213
; %bb.212:
	scratch_load_b128 v[1:4], v140, off
	v_mov_b32_e32 v5, 0
	s_delay_alu instid0(VALU_DEP_1)
	v_mov_b32_e32 v6, v5
	v_mov_b32_e32 v7, v5
	;; [unrolled: 1-line block ×3, first 2 shown]
	scratch_store_b128 off, v[5:8], off offset:128
	s_waitcnt vmcnt(0)
	ds_store_b128 v154, v[1:4]
.LBB99_213:
	s_or_b32 exec_lo, exec_lo, s2
	s_waitcnt lgkmcnt(0)
	s_waitcnt_vscnt null, 0x0
	s_barrier
	buffer_gl0_inv
	s_clause 0x7
	scratch_load_b128 v[2:5], off, off offset:144
	scratch_load_b128 v[6:9], off, off offset:160
	;; [unrolled: 1-line block ×8, first 2 shown]
	v_mov_b32_e32 v1, 0
	s_mov_b32 s2, exec_lo
	ds_load_b128 v[38:41], v1 offset:720
	s_clause 0x1
	scratch_load_b128 v[34:37], off, off offset:272
	scratch_load_b128 v[42:45], off, off offset:128
	ds_load_b128 v[155:158], v1 offset:736
	scratch_load_b128 v[159:162], off, off offset:288
	s_waitcnt vmcnt(10) lgkmcnt(1)
	v_mul_f64 v[163:164], v[40:41], v[4:5]
	v_mul_f64 v[4:5], v[38:39], v[4:5]
	s_delay_alu instid0(VALU_DEP_2) | instskip(NEXT) | instid1(VALU_DEP_2)
	v_fma_f64 v[169:170], v[38:39], v[2:3], -v[163:164]
	v_fma_f64 v[171:172], v[40:41], v[2:3], v[4:5]
	scratch_load_b128 v[38:41], off, off offset:304
	ds_load_b128 v[2:5], v1 offset:752
	s_waitcnt vmcnt(10) lgkmcnt(1)
	v_mul_f64 v[167:168], v[155:156], v[8:9]
	v_mul_f64 v[8:9], v[157:158], v[8:9]
	ds_load_b128 v[163:166], v1 offset:768
	s_waitcnt vmcnt(9) lgkmcnt(1)
	v_mul_f64 v[173:174], v[2:3], v[12:13]
	v_mul_f64 v[12:13], v[4:5], v[12:13]
	v_fma_f64 v[157:158], v[157:158], v[6:7], v[167:168]
	v_fma_f64 v[155:156], v[155:156], v[6:7], -v[8:9]
	v_add_f64 v[167:168], v[169:170], 0
	v_add_f64 v[169:170], v[171:172], 0
	scratch_load_b128 v[6:9], off, off offset:320
	v_fma_f64 v[173:174], v[4:5], v[10:11], v[173:174]
	v_fma_f64 v[175:176], v[2:3], v[10:11], -v[12:13]
	scratch_load_b128 v[10:13], off, off offset:336
	ds_load_b128 v[2:5], v1 offset:784
	s_waitcnt vmcnt(10) lgkmcnt(1)
	v_mul_f64 v[171:172], v[163:164], v[16:17]
	v_mul_f64 v[16:17], v[165:166], v[16:17]
	v_add_f64 v[167:168], v[167:168], v[155:156]
	v_add_f64 v[169:170], v[169:170], v[157:158]
	s_waitcnt vmcnt(9) lgkmcnt(0)
	v_mul_f64 v[177:178], v[2:3], v[20:21]
	v_mul_f64 v[20:21], v[4:5], v[20:21]
	ds_load_b128 v[155:158], v1 offset:800
	v_fma_f64 v[165:166], v[165:166], v[14:15], v[171:172]
	v_fma_f64 v[163:164], v[163:164], v[14:15], -v[16:17]
	scratch_load_b128 v[14:17], off, off offset:352
	v_add_f64 v[167:168], v[167:168], v[175:176]
	v_add_f64 v[169:170], v[169:170], v[173:174]
	v_fma_f64 v[173:174], v[4:5], v[18:19], v[177:178]
	v_fma_f64 v[175:176], v[2:3], v[18:19], -v[20:21]
	scratch_load_b128 v[18:21], off, off offset:368
	ds_load_b128 v[2:5], v1 offset:816
	s_waitcnt vmcnt(10) lgkmcnt(1)
	v_mul_f64 v[171:172], v[155:156], v[24:25]
	v_mul_f64 v[24:25], v[157:158], v[24:25]
	s_waitcnt vmcnt(9) lgkmcnt(0)
	v_mul_f64 v[177:178], v[2:3], v[28:29]
	v_mul_f64 v[28:29], v[4:5], v[28:29]
	v_add_f64 v[167:168], v[167:168], v[163:164]
	v_add_f64 v[169:170], v[169:170], v[165:166]
	ds_load_b128 v[163:166], v1 offset:832
	v_fma_f64 v[157:158], v[157:158], v[22:23], v[171:172]
	v_fma_f64 v[155:156], v[155:156], v[22:23], -v[24:25]
	scratch_load_b128 v[22:25], off, off offset:384
	v_add_f64 v[167:168], v[167:168], v[175:176]
	v_add_f64 v[169:170], v[169:170], v[173:174]
	v_fma_f64 v[173:174], v[4:5], v[26:27], v[177:178]
	v_fma_f64 v[175:176], v[2:3], v[26:27], -v[28:29]
	scratch_load_b128 v[26:29], off, off offset:400
	ds_load_b128 v[2:5], v1 offset:848
	s_waitcnt vmcnt(10) lgkmcnt(1)
	v_mul_f64 v[171:172], v[163:164], v[32:33]
	v_mul_f64 v[32:33], v[165:166], v[32:33]
	s_waitcnt vmcnt(9) lgkmcnt(0)
	v_mul_f64 v[177:178], v[2:3], v[36:37]
	v_mul_f64 v[36:37], v[4:5], v[36:37]
	v_add_f64 v[167:168], v[167:168], v[155:156]
	v_add_f64 v[169:170], v[169:170], v[157:158]
	ds_load_b128 v[155:158], v1 offset:864
	v_fma_f64 v[165:166], v[165:166], v[30:31], v[171:172]
	v_fma_f64 v[163:164], v[163:164], v[30:31], -v[32:33]
	scratch_load_b128 v[30:33], off, off offset:416
	v_add_f64 v[167:168], v[167:168], v[175:176]
	v_add_f64 v[169:170], v[169:170], v[173:174]
	v_fma_f64 v[175:176], v[4:5], v[34:35], v[177:178]
	v_fma_f64 v[177:178], v[2:3], v[34:35], -v[36:37]
	scratch_load_b128 v[34:37], off, off offset:432
	ds_load_b128 v[2:5], v1 offset:880
	s_waitcnt vmcnt(9) lgkmcnt(1)
	v_mul_f64 v[171:172], v[155:156], v[161:162]
	v_mul_f64 v[173:174], v[157:158], v[161:162]
	v_add_f64 v[167:168], v[167:168], v[163:164]
	v_add_f64 v[165:166], v[169:170], v[165:166]
	ds_load_b128 v[161:164], v1 offset:896
	v_fma_f64 v[171:172], v[157:158], v[159:160], v[171:172]
	v_fma_f64 v[159:160], v[155:156], v[159:160], -v[173:174]
	scratch_load_b128 v[155:158], off, off offset:448
	s_waitcnt vmcnt(9) lgkmcnt(1)
	v_mul_f64 v[169:170], v[2:3], v[40:41]
	v_mul_f64 v[40:41], v[4:5], v[40:41]
	v_add_f64 v[167:168], v[167:168], v[177:178]
	v_add_f64 v[165:166], v[165:166], v[175:176]
	s_delay_alu instid0(VALU_DEP_4) | instskip(NEXT) | instid1(VALU_DEP_4)
	v_fma_f64 v[169:170], v[4:5], v[38:39], v[169:170]
	v_fma_f64 v[175:176], v[2:3], v[38:39], -v[40:41]
	scratch_load_b128 v[38:41], off, off offset:464
	ds_load_b128 v[2:5], v1 offset:912
	s_waitcnt vmcnt(9) lgkmcnt(1)
	v_mul_f64 v[173:174], v[161:162], v[8:9]
	v_mul_f64 v[8:9], v[163:164], v[8:9]
	s_waitcnt vmcnt(8) lgkmcnt(0)
	v_mul_f64 v[177:178], v[2:3], v[12:13]
	v_mul_f64 v[12:13], v[4:5], v[12:13]
	v_add_f64 v[159:160], v[167:168], v[159:160]
	v_add_f64 v[171:172], v[165:166], v[171:172]
	ds_load_b128 v[165:168], v1 offset:928
	v_fma_f64 v[163:164], v[163:164], v[6:7], v[173:174]
	v_fma_f64 v[161:162], v[161:162], v[6:7], -v[8:9]
	scratch_load_b128 v[6:9], off, off offset:480
	v_fma_f64 v[173:174], v[4:5], v[10:11], v[177:178]
	v_add_f64 v[159:160], v[159:160], v[175:176]
	v_add_f64 v[169:170], v[171:172], v[169:170]
	v_fma_f64 v[175:176], v[2:3], v[10:11], -v[12:13]
	scratch_load_b128 v[10:13], off, off offset:496
	ds_load_b128 v[2:5], v1 offset:944
	s_waitcnt vmcnt(9) lgkmcnt(1)
	v_mul_f64 v[171:172], v[165:166], v[16:17]
	v_mul_f64 v[16:17], v[167:168], v[16:17]
	v_add_f64 v[177:178], v[159:160], v[161:162]
	v_add_f64 v[163:164], v[169:170], v[163:164]
	s_waitcnt vmcnt(8) lgkmcnt(0)
	v_mul_f64 v[169:170], v[2:3], v[20:21]
	v_mul_f64 v[20:21], v[4:5], v[20:21]
	ds_load_b128 v[159:162], v1 offset:960
	v_fma_f64 v[167:168], v[167:168], v[14:15], v[171:172]
	v_fma_f64 v[165:166], v[165:166], v[14:15], -v[16:17]
	scratch_load_b128 v[14:17], off, off offset:512
	v_add_f64 v[171:172], v[177:178], v[175:176]
	v_add_f64 v[163:164], v[163:164], v[173:174]
	v_fma_f64 v[169:170], v[4:5], v[18:19], v[169:170]
	v_fma_f64 v[175:176], v[2:3], v[18:19], -v[20:21]
	scratch_load_b128 v[18:21], off, off offset:528
	ds_load_b128 v[2:5], v1 offset:976
	s_waitcnt vmcnt(9) lgkmcnt(1)
	v_mul_f64 v[173:174], v[159:160], v[24:25]
	v_mul_f64 v[24:25], v[161:162], v[24:25]
	s_waitcnt vmcnt(8) lgkmcnt(0)
	v_mul_f64 v[177:178], v[2:3], v[28:29]
	v_mul_f64 v[28:29], v[4:5], v[28:29]
	v_add_f64 v[171:172], v[171:172], v[165:166]
	v_add_f64 v[167:168], v[163:164], v[167:168]
	ds_load_b128 v[163:166], v1 offset:992
	v_fma_f64 v[161:162], v[161:162], v[22:23], v[173:174]
	v_fma_f64 v[159:160], v[159:160], v[22:23], -v[24:25]
	scratch_load_b128 v[22:25], off, off offset:544
	v_fma_f64 v[173:174], v[4:5], v[26:27], v[177:178]
	v_add_f64 v[171:172], v[171:172], v[175:176]
	v_add_f64 v[167:168], v[167:168], v[169:170]
	v_fma_f64 v[175:176], v[2:3], v[26:27], -v[28:29]
	scratch_load_b128 v[26:29], off, off offset:560
	ds_load_b128 v[2:5], v1 offset:1008
	s_waitcnt vmcnt(9) lgkmcnt(1)
	v_mul_f64 v[169:170], v[163:164], v[32:33]
	v_mul_f64 v[32:33], v[165:166], v[32:33]
	s_waitcnt vmcnt(8) lgkmcnt(0)
	v_mul_f64 v[177:178], v[2:3], v[36:37]
	v_mul_f64 v[36:37], v[4:5], v[36:37]
	v_add_f64 v[171:172], v[171:172], v[159:160]
	v_add_f64 v[167:168], v[167:168], v[161:162]
	ds_load_b128 v[159:162], v1 offset:1024
	v_fma_f64 v[165:166], v[165:166], v[30:31], v[169:170]
	v_fma_f64 v[30:31], v[163:164], v[30:31], -v[32:33]
	v_fma_f64 v[169:170], v[4:5], v[34:35], v[177:178]
	v_fma_f64 v[34:35], v[2:3], v[34:35], -v[36:37]
	v_add_f64 v[32:33], v[171:172], v[175:176]
	v_add_f64 v[163:164], v[167:168], v[173:174]
	s_waitcnt vmcnt(7) lgkmcnt(0)
	v_mul_f64 v[167:168], v[159:160], v[157:158]
	v_mul_f64 v[157:158], v[161:162], v[157:158]
	s_delay_alu instid0(VALU_DEP_4) | instskip(NEXT) | instid1(VALU_DEP_4)
	v_add_f64 v[36:37], v[32:33], v[30:31]
	v_add_f64 v[163:164], v[163:164], v[165:166]
	ds_load_b128 v[2:5], v1 offset:1040
	ds_load_b128 v[30:33], v1 offset:1056
	v_fma_f64 v[161:162], v[161:162], v[155:156], v[167:168]
	v_fma_f64 v[155:156], v[159:160], v[155:156], -v[157:158]
	s_waitcnt vmcnt(6) lgkmcnt(1)
	v_mul_f64 v[165:166], v[2:3], v[40:41]
	v_mul_f64 v[40:41], v[4:5], v[40:41]
	s_waitcnt vmcnt(5) lgkmcnt(0)
	v_mul_f64 v[157:158], v[30:31], v[8:9]
	v_mul_f64 v[8:9], v[32:33], v[8:9]
	v_add_f64 v[34:35], v[36:37], v[34:35]
	v_add_f64 v[36:37], v[163:164], v[169:170]
	v_fma_f64 v[159:160], v[4:5], v[38:39], v[165:166]
	v_fma_f64 v[38:39], v[2:3], v[38:39], -v[40:41]
	v_fma_f64 v[32:33], v[32:33], v[6:7], v[157:158]
	v_fma_f64 v[6:7], v[30:31], v[6:7], -v[8:9]
	v_add_f64 v[40:41], v[34:35], v[155:156]
	v_add_f64 v[155:156], v[36:37], v[161:162]
	ds_load_b128 v[2:5], v1 offset:1072
	ds_load_b128 v[34:37], v1 offset:1088
	s_waitcnt vmcnt(4) lgkmcnt(1)
	v_mul_f64 v[161:162], v[2:3], v[12:13]
	v_mul_f64 v[12:13], v[4:5], v[12:13]
	v_add_f64 v[8:9], v[40:41], v[38:39]
	v_add_f64 v[30:31], v[155:156], v[159:160]
	s_waitcnt vmcnt(3) lgkmcnt(0)
	v_mul_f64 v[38:39], v[34:35], v[16:17]
	v_mul_f64 v[16:17], v[36:37], v[16:17]
	v_fma_f64 v[40:41], v[4:5], v[10:11], v[161:162]
	v_fma_f64 v[10:11], v[2:3], v[10:11], -v[12:13]
	v_add_f64 v[12:13], v[8:9], v[6:7]
	v_add_f64 v[30:31], v[30:31], v[32:33]
	ds_load_b128 v[2:5], v1 offset:1104
	ds_load_b128 v[6:9], v1 offset:1120
	v_fma_f64 v[36:37], v[36:37], v[14:15], v[38:39]
	v_fma_f64 v[14:15], v[34:35], v[14:15], -v[16:17]
	s_waitcnt vmcnt(2) lgkmcnt(1)
	v_mul_f64 v[32:33], v[2:3], v[20:21]
	v_mul_f64 v[20:21], v[4:5], v[20:21]
	s_waitcnt vmcnt(1) lgkmcnt(0)
	v_mul_f64 v[16:17], v[6:7], v[24:25]
	v_mul_f64 v[24:25], v[8:9], v[24:25]
	v_add_f64 v[10:11], v[12:13], v[10:11]
	v_add_f64 v[12:13], v[30:31], v[40:41]
	v_fma_f64 v[30:31], v[4:5], v[18:19], v[32:33]
	v_fma_f64 v[18:19], v[2:3], v[18:19], -v[20:21]
	ds_load_b128 v[2:5], v1 offset:1136
	v_fma_f64 v[8:9], v[8:9], v[22:23], v[16:17]
	v_fma_f64 v[6:7], v[6:7], v[22:23], -v[24:25]
	v_add_f64 v[10:11], v[10:11], v[14:15]
	v_add_f64 v[12:13], v[12:13], v[36:37]
	s_waitcnt vmcnt(0) lgkmcnt(0)
	v_mul_f64 v[14:15], v[2:3], v[28:29]
	v_mul_f64 v[20:21], v[4:5], v[28:29]
	s_delay_alu instid0(VALU_DEP_4) | instskip(NEXT) | instid1(VALU_DEP_4)
	v_add_f64 v[10:11], v[10:11], v[18:19]
	v_add_f64 v[12:13], v[12:13], v[30:31]
	s_delay_alu instid0(VALU_DEP_4) | instskip(NEXT) | instid1(VALU_DEP_4)
	v_fma_f64 v[4:5], v[4:5], v[26:27], v[14:15]
	v_fma_f64 v[2:3], v[2:3], v[26:27], -v[20:21]
	s_delay_alu instid0(VALU_DEP_4) | instskip(NEXT) | instid1(VALU_DEP_4)
	v_add_f64 v[6:7], v[10:11], v[6:7]
	v_add_f64 v[8:9], v[12:13], v[8:9]
	s_delay_alu instid0(VALU_DEP_2) | instskip(NEXT) | instid1(VALU_DEP_2)
	v_add_f64 v[2:3], v[6:7], v[2:3]
	v_add_f64 v[4:5], v[8:9], v[4:5]
	s_delay_alu instid0(VALU_DEP_2) | instskip(NEXT) | instid1(VALU_DEP_2)
	v_add_f64 v[2:3], v[42:43], -v[2:3]
	v_add_f64 v[4:5], v[44:45], -v[4:5]
	scratch_store_b128 off, v[2:5], off offset:128
	v_cmpx_lt_u32_e32 7, v118
	s_cbranch_execz .LBB99_215
; %bb.214:
	scratch_load_b128 v[5:8], v142, off
	v_mov_b32_e32 v2, v1
	v_mov_b32_e32 v3, v1
	;; [unrolled: 1-line block ×3, first 2 shown]
	scratch_store_b128 off, v[1:4], off offset:112
	s_waitcnt vmcnt(0)
	ds_store_b128 v154, v[5:8]
.LBB99_215:
	s_or_b32 exec_lo, exec_lo, s2
	s_waitcnt lgkmcnt(0)
	s_waitcnt_vscnt null, 0x0
	s_barrier
	buffer_gl0_inv
	s_clause 0x8
	scratch_load_b128 v[2:5], off, off offset:128
	scratch_load_b128 v[6:9], off, off offset:144
	;; [unrolled: 1-line block ×9, first 2 shown]
	ds_load_b128 v[42:45], v1 offset:704
	ds_load_b128 v[38:41], v1 offset:720
	s_clause 0x1
	scratch_load_b128 v[155:158], off, off offset:112
	scratch_load_b128 v[159:162], off, off offset:272
	s_mov_b32 s2, exec_lo
	s_waitcnt vmcnt(10) lgkmcnt(1)
	v_mul_f64 v[163:164], v[44:45], v[4:5]
	v_mul_f64 v[4:5], v[42:43], v[4:5]
	s_waitcnt vmcnt(9) lgkmcnt(0)
	v_mul_f64 v[167:168], v[38:39], v[8:9]
	v_mul_f64 v[8:9], v[40:41], v[8:9]
	s_delay_alu instid0(VALU_DEP_4) | instskip(NEXT) | instid1(VALU_DEP_4)
	v_fma_f64 v[169:170], v[42:43], v[2:3], -v[163:164]
	v_fma_f64 v[171:172], v[44:45], v[2:3], v[4:5]
	ds_load_b128 v[2:5], v1 offset:736
	ds_load_b128 v[163:166], v1 offset:752
	scratch_load_b128 v[42:45], off, off offset:288
	v_fma_f64 v[40:41], v[40:41], v[6:7], v[167:168]
	v_fma_f64 v[38:39], v[38:39], v[6:7], -v[8:9]
	scratch_load_b128 v[6:9], off, off offset:304
	s_waitcnt vmcnt(10) lgkmcnt(1)
	v_mul_f64 v[173:174], v[2:3], v[12:13]
	v_mul_f64 v[12:13], v[4:5], v[12:13]
	v_add_f64 v[167:168], v[169:170], 0
	v_add_f64 v[169:170], v[171:172], 0
	s_waitcnt vmcnt(9) lgkmcnt(0)
	v_mul_f64 v[171:172], v[163:164], v[16:17]
	v_mul_f64 v[16:17], v[165:166], v[16:17]
	v_fma_f64 v[173:174], v[4:5], v[10:11], v[173:174]
	v_fma_f64 v[175:176], v[2:3], v[10:11], -v[12:13]
	ds_load_b128 v[2:5], v1 offset:768
	scratch_load_b128 v[10:13], off, off offset:320
	v_add_f64 v[167:168], v[167:168], v[38:39]
	v_add_f64 v[169:170], v[169:170], v[40:41]
	ds_load_b128 v[38:41], v1 offset:784
	v_fma_f64 v[165:166], v[165:166], v[14:15], v[171:172]
	v_fma_f64 v[163:164], v[163:164], v[14:15], -v[16:17]
	scratch_load_b128 v[14:17], off, off offset:336
	s_waitcnt vmcnt(10) lgkmcnt(1)
	v_mul_f64 v[177:178], v[2:3], v[20:21]
	v_mul_f64 v[20:21], v[4:5], v[20:21]
	s_waitcnt vmcnt(9) lgkmcnt(0)
	v_mul_f64 v[171:172], v[38:39], v[24:25]
	v_mul_f64 v[24:25], v[40:41], v[24:25]
	v_add_f64 v[167:168], v[167:168], v[175:176]
	v_add_f64 v[169:170], v[169:170], v[173:174]
	v_fma_f64 v[173:174], v[4:5], v[18:19], v[177:178]
	v_fma_f64 v[175:176], v[2:3], v[18:19], -v[20:21]
	ds_load_b128 v[2:5], v1 offset:800
	scratch_load_b128 v[18:21], off, off offset:352
	v_fma_f64 v[40:41], v[40:41], v[22:23], v[171:172]
	v_fma_f64 v[38:39], v[38:39], v[22:23], -v[24:25]
	scratch_load_b128 v[22:25], off, off offset:368
	v_add_f64 v[167:168], v[167:168], v[163:164]
	v_add_f64 v[169:170], v[169:170], v[165:166]
	ds_load_b128 v[163:166], v1 offset:816
	s_waitcnt vmcnt(10) lgkmcnt(1)
	v_mul_f64 v[177:178], v[2:3], v[28:29]
	v_mul_f64 v[28:29], v[4:5], v[28:29]
	s_waitcnt vmcnt(9) lgkmcnt(0)
	v_mul_f64 v[171:172], v[163:164], v[32:33]
	v_mul_f64 v[32:33], v[165:166], v[32:33]
	v_add_f64 v[167:168], v[167:168], v[175:176]
	v_add_f64 v[169:170], v[169:170], v[173:174]
	v_fma_f64 v[173:174], v[4:5], v[26:27], v[177:178]
	v_fma_f64 v[175:176], v[2:3], v[26:27], -v[28:29]
	ds_load_b128 v[2:5], v1 offset:832
	scratch_load_b128 v[26:29], off, off offset:384
	v_fma_f64 v[165:166], v[165:166], v[30:31], v[171:172]
	v_fma_f64 v[163:164], v[163:164], v[30:31], -v[32:33]
	scratch_load_b128 v[30:33], off, off offset:400
	v_add_f64 v[167:168], v[167:168], v[38:39]
	v_add_f64 v[169:170], v[169:170], v[40:41]
	ds_load_b128 v[38:41], v1 offset:848
	s_waitcnt vmcnt(10) lgkmcnt(1)
	v_mul_f64 v[177:178], v[2:3], v[36:37]
	v_mul_f64 v[36:37], v[4:5], v[36:37]
	s_waitcnt vmcnt(8) lgkmcnt(0)
	v_mul_f64 v[171:172], v[38:39], v[161:162]
	v_add_f64 v[167:168], v[167:168], v[175:176]
	v_add_f64 v[169:170], v[169:170], v[173:174]
	v_mul_f64 v[173:174], v[40:41], v[161:162]
	v_fma_f64 v[175:176], v[4:5], v[34:35], v[177:178]
	v_fma_f64 v[177:178], v[2:3], v[34:35], -v[36:37]
	ds_load_b128 v[2:5], v1 offset:864
	scratch_load_b128 v[34:37], off, off offset:416
	v_fma_f64 v[171:172], v[40:41], v[159:160], v[171:172]
	v_add_f64 v[167:168], v[167:168], v[163:164]
	v_add_f64 v[165:166], v[169:170], v[165:166]
	ds_load_b128 v[161:164], v1 offset:880
	v_fma_f64 v[159:160], v[38:39], v[159:160], -v[173:174]
	scratch_load_b128 v[38:41], off, off offset:432
	s_waitcnt vmcnt(9) lgkmcnt(1)
	v_mul_f64 v[169:170], v[2:3], v[44:45]
	v_mul_f64 v[44:45], v[4:5], v[44:45]
	s_waitcnt vmcnt(8) lgkmcnt(0)
	v_mul_f64 v[173:174], v[161:162], v[8:9]
	v_mul_f64 v[8:9], v[163:164], v[8:9]
	v_add_f64 v[167:168], v[167:168], v[177:178]
	v_add_f64 v[165:166], v[165:166], v[175:176]
	v_fma_f64 v[169:170], v[4:5], v[42:43], v[169:170]
	v_fma_f64 v[175:176], v[2:3], v[42:43], -v[44:45]
	ds_load_b128 v[2:5], v1 offset:896
	scratch_load_b128 v[42:45], off, off offset:448
	v_fma_f64 v[163:164], v[163:164], v[6:7], v[173:174]
	v_fma_f64 v[161:162], v[161:162], v[6:7], -v[8:9]
	scratch_load_b128 v[6:9], off, off offset:464
	v_add_f64 v[159:160], v[167:168], v[159:160]
	v_add_f64 v[171:172], v[165:166], v[171:172]
	ds_load_b128 v[165:168], v1 offset:912
	s_waitcnt vmcnt(9) lgkmcnt(1)
	v_mul_f64 v[177:178], v[2:3], v[12:13]
	v_mul_f64 v[12:13], v[4:5], v[12:13]
	v_add_f64 v[159:160], v[159:160], v[175:176]
	v_add_f64 v[169:170], v[171:172], v[169:170]
	s_waitcnt vmcnt(8) lgkmcnt(0)
	v_mul_f64 v[171:172], v[165:166], v[16:17]
	v_mul_f64 v[16:17], v[167:168], v[16:17]
	v_fma_f64 v[173:174], v[4:5], v[10:11], v[177:178]
	v_fma_f64 v[175:176], v[2:3], v[10:11], -v[12:13]
	ds_load_b128 v[2:5], v1 offset:928
	scratch_load_b128 v[10:13], off, off offset:480
	v_add_f64 v[177:178], v[159:160], v[161:162]
	v_add_f64 v[163:164], v[169:170], v[163:164]
	ds_load_b128 v[159:162], v1 offset:944
	s_waitcnt vmcnt(8) lgkmcnt(1)
	v_mul_f64 v[169:170], v[2:3], v[20:21]
	v_mul_f64 v[20:21], v[4:5], v[20:21]
	v_fma_f64 v[167:168], v[167:168], v[14:15], v[171:172]
	v_fma_f64 v[165:166], v[165:166], v[14:15], -v[16:17]
	scratch_load_b128 v[14:17], off, off offset:496
	v_add_f64 v[171:172], v[177:178], v[175:176]
	v_add_f64 v[163:164], v[163:164], v[173:174]
	s_waitcnt vmcnt(8) lgkmcnt(0)
	v_mul_f64 v[173:174], v[159:160], v[24:25]
	v_mul_f64 v[24:25], v[161:162], v[24:25]
	v_fma_f64 v[169:170], v[4:5], v[18:19], v[169:170]
	v_fma_f64 v[175:176], v[2:3], v[18:19], -v[20:21]
	ds_load_b128 v[2:5], v1 offset:960
	scratch_load_b128 v[18:21], off, off offset:512
	v_add_f64 v[171:172], v[171:172], v[165:166]
	v_add_f64 v[167:168], v[163:164], v[167:168]
	ds_load_b128 v[163:166], v1 offset:976
	s_waitcnt vmcnt(8) lgkmcnt(1)
	v_mul_f64 v[177:178], v[2:3], v[28:29]
	v_mul_f64 v[28:29], v[4:5], v[28:29]
	v_fma_f64 v[161:162], v[161:162], v[22:23], v[173:174]
	v_fma_f64 v[159:160], v[159:160], v[22:23], -v[24:25]
	scratch_load_b128 v[22:25], off, off offset:528
	;; [unrolled: 18-line block ×3, first 2 shown]
	v_add_f64 v[169:170], v[171:172], v[175:176]
	v_add_f64 v[167:168], v[167:168], v[173:174]
	s_waitcnt vmcnt(8) lgkmcnt(0)
	v_mul_f64 v[171:172], v[159:160], v[40:41]
	v_mul_f64 v[40:41], v[161:162], v[40:41]
	v_fma_f64 v[173:174], v[4:5], v[34:35], v[177:178]
	v_fma_f64 v[175:176], v[2:3], v[34:35], -v[36:37]
	ds_load_b128 v[2:5], v1 offset:1024
	ds_load_b128 v[34:37], v1 offset:1040
	v_add_f64 v[163:164], v[169:170], v[163:164]
	v_add_f64 v[165:166], v[167:168], v[165:166]
	s_waitcnt vmcnt(7) lgkmcnt(1)
	v_mul_f64 v[167:168], v[2:3], v[44:45]
	v_mul_f64 v[44:45], v[4:5], v[44:45]
	v_fma_f64 v[161:162], v[161:162], v[38:39], v[171:172]
	v_fma_f64 v[38:39], v[159:160], v[38:39], -v[40:41]
	v_add_f64 v[40:41], v[163:164], v[175:176]
	v_add_f64 v[159:160], v[165:166], v[173:174]
	s_waitcnt vmcnt(6) lgkmcnt(0)
	v_mul_f64 v[163:164], v[34:35], v[8:9]
	v_mul_f64 v[8:9], v[36:37], v[8:9]
	v_fma_f64 v[165:166], v[4:5], v[42:43], v[167:168]
	v_fma_f64 v[42:43], v[2:3], v[42:43], -v[44:45]
	v_add_f64 v[44:45], v[40:41], v[38:39]
	v_add_f64 v[159:160], v[159:160], v[161:162]
	ds_load_b128 v[2:5], v1 offset:1056
	ds_load_b128 v[38:41], v1 offset:1072
	v_fma_f64 v[36:37], v[36:37], v[6:7], v[163:164]
	v_fma_f64 v[6:7], v[34:35], v[6:7], -v[8:9]
	s_waitcnt vmcnt(5) lgkmcnt(1)
	v_mul_f64 v[161:162], v[2:3], v[12:13]
	v_mul_f64 v[12:13], v[4:5], v[12:13]
	v_add_f64 v[8:9], v[44:45], v[42:43]
	v_add_f64 v[34:35], v[159:160], v[165:166]
	s_waitcnt vmcnt(4) lgkmcnt(0)
	v_mul_f64 v[42:43], v[38:39], v[16:17]
	v_mul_f64 v[16:17], v[40:41], v[16:17]
	v_fma_f64 v[44:45], v[4:5], v[10:11], v[161:162]
	v_fma_f64 v[10:11], v[2:3], v[10:11], -v[12:13]
	v_add_f64 v[12:13], v[8:9], v[6:7]
	v_add_f64 v[34:35], v[34:35], v[36:37]
	ds_load_b128 v[2:5], v1 offset:1088
	ds_load_b128 v[6:9], v1 offset:1104
	v_fma_f64 v[40:41], v[40:41], v[14:15], v[42:43]
	v_fma_f64 v[14:15], v[38:39], v[14:15], -v[16:17]
	s_waitcnt vmcnt(3) lgkmcnt(1)
	v_mul_f64 v[36:37], v[2:3], v[20:21]
	v_mul_f64 v[20:21], v[4:5], v[20:21]
	s_waitcnt vmcnt(2) lgkmcnt(0)
	v_mul_f64 v[16:17], v[6:7], v[24:25]
	v_mul_f64 v[24:25], v[8:9], v[24:25]
	v_add_f64 v[10:11], v[12:13], v[10:11]
	v_add_f64 v[12:13], v[34:35], v[44:45]
	v_fma_f64 v[34:35], v[4:5], v[18:19], v[36:37]
	v_fma_f64 v[18:19], v[2:3], v[18:19], -v[20:21]
	v_fma_f64 v[8:9], v[8:9], v[22:23], v[16:17]
	v_fma_f64 v[6:7], v[6:7], v[22:23], -v[24:25]
	v_add_f64 v[14:15], v[10:11], v[14:15]
	v_add_f64 v[20:21], v[12:13], v[40:41]
	ds_load_b128 v[2:5], v1 offset:1120
	ds_load_b128 v[10:13], v1 offset:1136
	s_waitcnt vmcnt(1) lgkmcnt(1)
	v_mul_f64 v[36:37], v[2:3], v[28:29]
	v_mul_f64 v[28:29], v[4:5], v[28:29]
	v_add_f64 v[14:15], v[14:15], v[18:19]
	v_add_f64 v[16:17], v[20:21], v[34:35]
	s_waitcnt vmcnt(0) lgkmcnt(0)
	v_mul_f64 v[18:19], v[10:11], v[32:33]
	v_mul_f64 v[20:21], v[12:13], v[32:33]
	v_fma_f64 v[4:5], v[4:5], v[26:27], v[36:37]
	v_fma_f64 v[1:2], v[2:3], v[26:27], -v[28:29]
	v_add_f64 v[6:7], v[14:15], v[6:7]
	v_add_f64 v[8:9], v[16:17], v[8:9]
	v_fma_f64 v[12:13], v[12:13], v[30:31], v[18:19]
	v_fma_f64 v[10:11], v[10:11], v[30:31], -v[20:21]
	s_delay_alu instid0(VALU_DEP_4) | instskip(NEXT) | instid1(VALU_DEP_4)
	v_add_f64 v[1:2], v[6:7], v[1:2]
	v_add_f64 v[3:4], v[8:9], v[4:5]
	s_delay_alu instid0(VALU_DEP_2) | instskip(NEXT) | instid1(VALU_DEP_2)
	v_add_f64 v[1:2], v[1:2], v[10:11]
	v_add_f64 v[3:4], v[3:4], v[12:13]
	s_delay_alu instid0(VALU_DEP_2) | instskip(NEXT) | instid1(VALU_DEP_2)
	v_add_f64 v[1:2], v[155:156], -v[1:2]
	v_add_f64 v[3:4], v[157:158], -v[3:4]
	scratch_store_b128 off, v[1:4], off offset:112
	v_cmpx_lt_u32_e32 6, v118
	s_cbranch_execz .LBB99_217
; %bb.216:
	scratch_load_b128 v[1:4], v141, off
	v_mov_b32_e32 v5, 0
	s_delay_alu instid0(VALU_DEP_1)
	v_mov_b32_e32 v6, v5
	v_mov_b32_e32 v7, v5
	;; [unrolled: 1-line block ×3, first 2 shown]
	scratch_store_b128 off, v[5:8], off offset:96
	s_waitcnt vmcnt(0)
	ds_store_b128 v154, v[1:4]
.LBB99_217:
	s_or_b32 exec_lo, exec_lo, s2
	s_waitcnt lgkmcnt(0)
	s_waitcnt_vscnt null, 0x0
	s_barrier
	buffer_gl0_inv
	s_clause 0x7
	scratch_load_b128 v[2:5], off, off offset:112
	scratch_load_b128 v[6:9], off, off offset:128
	;; [unrolled: 1-line block ×8, first 2 shown]
	v_mov_b32_e32 v1, 0
	s_mov_b32 s2, exec_lo
	ds_load_b128 v[38:41], v1 offset:688
	s_clause 0x1
	scratch_load_b128 v[34:37], off, off offset:240
	scratch_load_b128 v[42:45], off, off offset:96
	ds_load_b128 v[155:158], v1 offset:704
	scratch_load_b128 v[159:162], off, off offset:256
	s_waitcnt vmcnt(10) lgkmcnt(1)
	v_mul_f64 v[163:164], v[40:41], v[4:5]
	v_mul_f64 v[4:5], v[38:39], v[4:5]
	s_delay_alu instid0(VALU_DEP_2) | instskip(NEXT) | instid1(VALU_DEP_2)
	v_fma_f64 v[169:170], v[38:39], v[2:3], -v[163:164]
	v_fma_f64 v[171:172], v[40:41], v[2:3], v[4:5]
	scratch_load_b128 v[38:41], off, off offset:272
	ds_load_b128 v[2:5], v1 offset:720
	s_waitcnt vmcnt(10) lgkmcnt(1)
	v_mul_f64 v[167:168], v[155:156], v[8:9]
	v_mul_f64 v[8:9], v[157:158], v[8:9]
	ds_load_b128 v[163:166], v1 offset:736
	s_waitcnt vmcnt(9) lgkmcnt(1)
	v_mul_f64 v[173:174], v[2:3], v[12:13]
	v_mul_f64 v[12:13], v[4:5], v[12:13]
	v_fma_f64 v[157:158], v[157:158], v[6:7], v[167:168]
	v_fma_f64 v[155:156], v[155:156], v[6:7], -v[8:9]
	v_add_f64 v[167:168], v[169:170], 0
	v_add_f64 v[169:170], v[171:172], 0
	scratch_load_b128 v[6:9], off, off offset:288
	v_fma_f64 v[173:174], v[4:5], v[10:11], v[173:174]
	v_fma_f64 v[175:176], v[2:3], v[10:11], -v[12:13]
	scratch_load_b128 v[10:13], off, off offset:304
	ds_load_b128 v[2:5], v1 offset:752
	s_waitcnt vmcnt(10) lgkmcnt(1)
	v_mul_f64 v[171:172], v[163:164], v[16:17]
	v_mul_f64 v[16:17], v[165:166], v[16:17]
	v_add_f64 v[167:168], v[167:168], v[155:156]
	v_add_f64 v[169:170], v[169:170], v[157:158]
	s_waitcnt vmcnt(9) lgkmcnt(0)
	v_mul_f64 v[177:178], v[2:3], v[20:21]
	v_mul_f64 v[20:21], v[4:5], v[20:21]
	ds_load_b128 v[155:158], v1 offset:768
	v_fma_f64 v[165:166], v[165:166], v[14:15], v[171:172]
	v_fma_f64 v[163:164], v[163:164], v[14:15], -v[16:17]
	scratch_load_b128 v[14:17], off, off offset:320
	v_add_f64 v[167:168], v[167:168], v[175:176]
	v_add_f64 v[169:170], v[169:170], v[173:174]
	v_fma_f64 v[173:174], v[4:5], v[18:19], v[177:178]
	v_fma_f64 v[175:176], v[2:3], v[18:19], -v[20:21]
	scratch_load_b128 v[18:21], off, off offset:336
	ds_load_b128 v[2:5], v1 offset:784
	s_waitcnt vmcnt(10) lgkmcnt(1)
	v_mul_f64 v[171:172], v[155:156], v[24:25]
	v_mul_f64 v[24:25], v[157:158], v[24:25]
	s_waitcnt vmcnt(9) lgkmcnt(0)
	v_mul_f64 v[177:178], v[2:3], v[28:29]
	v_mul_f64 v[28:29], v[4:5], v[28:29]
	v_add_f64 v[167:168], v[167:168], v[163:164]
	v_add_f64 v[169:170], v[169:170], v[165:166]
	ds_load_b128 v[163:166], v1 offset:800
	v_fma_f64 v[157:158], v[157:158], v[22:23], v[171:172]
	v_fma_f64 v[155:156], v[155:156], v[22:23], -v[24:25]
	scratch_load_b128 v[22:25], off, off offset:352
	v_add_f64 v[167:168], v[167:168], v[175:176]
	v_add_f64 v[169:170], v[169:170], v[173:174]
	v_fma_f64 v[173:174], v[4:5], v[26:27], v[177:178]
	v_fma_f64 v[175:176], v[2:3], v[26:27], -v[28:29]
	scratch_load_b128 v[26:29], off, off offset:368
	ds_load_b128 v[2:5], v1 offset:816
	s_waitcnt vmcnt(10) lgkmcnt(1)
	v_mul_f64 v[171:172], v[163:164], v[32:33]
	v_mul_f64 v[32:33], v[165:166], v[32:33]
	s_waitcnt vmcnt(9) lgkmcnt(0)
	v_mul_f64 v[177:178], v[2:3], v[36:37]
	v_mul_f64 v[36:37], v[4:5], v[36:37]
	v_add_f64 v[167:168], v[167:168], v[155:156]
	v_add_f64 v[169:170], v[169:170], v[157:158]
	ds_load_b128 v[155:158], v1 offset:832
	v_fma_f64 v[165:166], v[165:166], v[30:31], v[171:172]
	v_fma_f64 v[163:164], v[163:164], v[30:31], -v[32:33]
	scratch_load_b128 v[30:33], off, off offset:384
	v_add_f64 v[167:168], v[167:168], v[175:176]
	v_add_f64 v[169:170], v[169:170], v[173:174]
	v_fma_f64 v[175:176], v[4:5], v[34:35], v[177:178]
	v_fma_f64 v[177:178], v[2:3], v[34:35], -v[36:37]
	scratch_load_b128 v[34:37], off, off offset:400
	ds_load_b128 v[2:5], v1 offset:848
	s_waitcnt vmcnt(9) lgkmcnt(1)
	v_mul_f64 v[171:172], v[155:156], v[161:162]
	v_mul_f64 v[173:174], v[157:158], v[161:162]
	v_add_f64 v[167:168], v[167:168], v[163:164]
	v_add_f64 v[165:166], v[169:170], v[165:166]
	ds_load_b128 v[161:164], v1 offset:864
	v_fma_f64 v[171:172], v[157:158], v[159:160], v[171:172]
	v_fma_f64 v[159:160], v[155:156], v[159:160], -v[173:174]
	scratch_load_b128 v[155:158], off, off offset:416
	s_waitcnt vmcnt(9) lgkmcnt(1)
	v_mul_f64 v[169:170], v[2:3], v[40:41]
	v_mul_f64 v[40:41], v[4:5], v[40:41]
	v_add_f64 v[167:168], v[167:168], v[177:178]
	v_add_f64 v[165:166], v[165:166], v[175:176]
	s_delay_alu instid0(VALU_DEP_4) | instskip(NEXT) | instid1(VALU_DEP_4)
	v_fma_f64 v[169:170], v[4:5], v[38:39], v[169:170]
	v_fma_f64 v[175:176], v[2:3], v[38:39], -v[40:41]
	scratch_load_b128 v[38:41], off, off offset:432
	ds_load_b128 v[2:5], v1 offset:880
	s_waitcnt vmcnt(9) lgkmcnt(1)
	v_mul_f64 v[173:174], v[161:162], v[8:9]
	v_mul_f64 v[8:9], v[163:164], v[8:9]
	s_waitcnt vmcnt(8) lgkmcnt(0)
	v_mul_f64 v[177:178], v[2:3], v[12:13]
	v_mul_f64 v[12:13], v[4:5], v[12:13]
	v_add_f64 v[159:160], v[167:168], v[159:160]
	v_add_f64 v[171:172], v[165:166], v[171:172]
	ds_load_b128 v[165:168], v1 offset:896
	v_fma_f64 v[163:164], v[163:164], v[6:7], v[173:174]
	v_fma_f64 v[161:162], v[161:162], v[6:7], -v[8:9]
	scratch_load_b128 v[6:9], off, off offset:448
	v_fma_f64 v[173:174], v[4:5], v[10:11], v[177:178]
	v_add_f64 v[159:160], v[159:160], v[175:176]
	v_add_f64 v[169:170], v[171:172], v[169:170]
	v_fma_f64 v[175:176], v[2:3], v[10:11], -v[12:13]
	scratch_load_b128 v[10:13], off, off offset:464
	ds_load_b128 v[2:5], v1 offset:912
	s_waitcnt vmcnt(9) lgkmcnt(1)
	v_mul_f64 v[171:172], v[165:166], v[16:17]
	v_mul_f64 v[16:17], v[167:168], v[16:17]
	v_add_f64 v[177:178], v[159:160], v[161:162]
	v_add_f64 v[163:164], v[169:170], v[163:164]
	s_waitcnt vmcnt(8) lgkmcnt(0)
	v_mul_f64 v[169:170], v[2:3], v[20:21]
	v_mul_f64 v[20:21], v[4:5], v[20:21]
	ds_load_b128 v[159:162], v1 offset:928
	v_fma_f64 v[167:168], v[167:168], v[14:15], v[171:172]
	v_fma_f64 v[165:166], v[165:166], v[14:15], -v[16:17]
	scratch_load_b128 v[14:17], off, off offset:480
	v_add_f64 v[171:172], v[177:178], v[175:176]
	v_add_f64 v[163:164], v[163:164], v[173:174]
	v_fma_f64 v[169:170], v[4:5], v[18:19], v[169:170]
	v_fma_f64 v[175:176], v[2:3], v[18:19], -v[20:21]
	scratch_load_b128 v[18:21], off, off offset:496
	ds_load_b128 v[2:5], v1 offset:944
	s_waitcnt vmcnt(9) lgkmcnt(1)
	v_mul_f64 v[173:174], v[159:160], v[24:25]
	v_mul_f64 v[24:25], v[161:162], v[24:25]
	s_waitcnt vmcnt(8) lgkmcnt(0)
	v_mul_f64 v[177:178], v[2:3], v[28:29]
	v_mul_f64 v[28:29], v[4:5], v[28:29]
	v_add_f64 v[171:172], v[171:172], v[165:166]
	v_add_f64 v[167:168], v[163:164], v[167:168]
	ds_load_b128 v[163:166], v1 offset:960
	v_fma_f64 v[161:162], v[161:162], v[22:23], v[173:174]
	v_fma_f64 v[159:160], v[159:160], v[22:23], -v[24:25]
	scratch_load_b128 v[22:25], off, off offset:512
	v_fma_f64 v[173:174], v[4:5], v[26:27], v[177:178]
	v_add_f64 v[171:172], v[171:172], v[175:176]
	v_add_f64 v[167:168], v[167:168], v[169:170]
	v_fma_f64 v[175:176], v[2:3], v[26:27], -v[28:29]
	scratch_load_b128 v[26:29], off, off offset:528
	ds_load_b128 v[2:5], v1 offset:976
	s_waitcnt vmcnt(9) lgkmcnt(1)
	v_mul_f64 v[169:170], v[163:164], v[32:33]
	v_mul_f64 v[32:33], v[165:166], v[32:33]
	s_waitcnt vmcnt(8) lgkmcnt(0)
	v_mul_f64 v[177:178], v[2:3], v[36:37]
	v_mul_f64 v[36:37], v[4:5], v[36:37]
	v_add_f64 v[171:172], v[171:172], v[159:160]
	v_add_f64 v[167:168], v[167:168], v[161:162]
	ds_load_b128 v[159:162], v1 offset:992
	v_fma_f64 v[165:166], v[165:166], v[30:31], v[169:170]
	v_fma_f64 v[163:164], v[163:164], v[30:31], -v[32:33]
	scratch_load_b128 v[30:33], off, off offset:544
	v_add_f64 v[169:170], v[171:172], v[175:176]
	v_add_f64 v[167:168], v[167:168], v[173:174]
	v_fma_f64 v[173:174], v[4:5], v[34:35], v[177:178]
	v_fma_f64 v[175:176], v[2:3], v[34:35], -v[36:37]
	scratch_load_b128 v[34:37], off, off offset:560
	ds_load_b128 v[2:5], v1 offset:1008
	s_waitcnt vmcnt(9) lgkmcnt(1)
	v_mul_f64 v[171:172], v[159:160], v[157:158]
	v_mul_f64 v[157:158], v[161:162], v[157:158]
	s_waitcnt vmcnt(8) lgkmcnt(0)
	v_mul_f64 v[177:178], v[2:3], v[40:41]
	v_mul_f64 v[40:41], v[4:5], v[40:41]
	v_add_f64 v[169:170], v[169:170], v[163:164]
	v_add_f64 v[167:168], v[167:168], v[165:166]
	ds_load_b128 v[163:166], v1 offset:1024
	v_fma_f64 v[161:162], v[161:162], v[155:156], v[171:172]
	v_fma_f64 v[155:156], v[159:160], v[155:156], -v[157:158]
	v_fma_f64 v[171:172], v[2:3], v[38:39], -v[40:41]
	v_add_f64 v[157:158], v[169:170], v[175:176]
	v_add_f64 v[159:160], v[167:168], v[173:174]
	s_waitcnt vmcnt(7) lgkmcnt(0)
	v_mul_f64 v[167:168], v[163:164], v[8:9]
	v_mul_f64 v[8:9], v[165:166], v[8:9]
	v_fma_f64 v[169:170], v[4:5], v[38:39], v[177:178]
	ds_load_b128 v[2:5], v1 offset:1040
	ds_load_b128 v[38:41], v1 offset:1056
	v_add_f64 v[155:156], v[157:158], v[155:156]
	v_add_f64 v[157:158], v[159:160], v[161:162]
	s_waitcnt vmcnt(6) lgkmcnt(1)
	v_mul_f64 v[159:160], v[2:3], v[12:13]
	v_mul_f64 v[12:13], v[4:5], v[12:13]
	v_fma_f64 v[161:162], v[165:166], v[6:7], v[167:168]
	v_fma_f64 v[6:7], v[163:164], v[6:7], -v[8:9]
	v_add_f64 v[8:9], v[155:156], v[171:172]
	v_add_f64 v[155:156], v[157:158], v[169:170]
	s_waitcnt vmcnt(5) lgkmcnt(0)
	v_mul_f64 v[157:158], v[38:39], v[16:17]
	v_mul_f64 v[16:17], v[40:41], v[16:17]
	v_fma_f64 v[159:160], v[4:5], v[10:11], v[159:160]
	v_fma_f64 v[10:11], v[2:3], v[10:11], -v[12:13]
	v_add_f64 v[12:13], v[8:9], v[6:7]
	v_add_f64 v[155:156], v[155:156], v[161:162]
	ds_load_b128 v[2:5], v1 offset:1072
	ds_load_b128 v[6:9], v1 offset:1088
	v_fma_f64 v[40:41], v[40:41], v[14:15], v[157:158]
	v_fma_f64 v[14:15], v[38:39], v[14:15], -v[16:17]
	s_waitcnt vmcnt(4) lgkmcnt(1)
	v_mul_f64 v[161:162], v[2:3], v[20:21]
	v_mul_f64 v[20:21], v[4:5], v[20:21]
	s_waitcnt vmcnt(3) lgkmcnt(0)
	v_mul_f64 v[16:17], v[6:7], v[24:25]
	v_mul_f64 v[24:25], v[8:9], v[24:25]
	v_add_f64 v[10:11], v[12:13], v[10:11]
	v_add_f64 v[12:13], v[155:156], v[159:160]
	v_fma_f64 v[38:39], v[4:5], v[18:19], v[161:162]
	v_fma_f64 v[18:19], v[2:3], v[18:19], -v[20:21]
	v_fma_f64 v[8:9], v[8:9], v[22:23], v[16:17]
	v_fma_f64 v[6:7], v[6:7], v[22:23], -v[24:25]
	v_add_f64 v[14:15], v[10:11], v[14:15]
	v_add_f64 v[20:21], v[12:13], v[40:41]
	ds_load_b128 v[2:5], v1 offset:1104
	ds_load_b128 v[10:13], v1 offset:1120
	s_waitcnt vmcnt(2) lgkmcnt(1)
	v_mul_f64 v[40:41], v[2:3], v[28:29]
	v_mul_f64 v[28:29], v[4:5], v[28:29]
	v_add_f64 v[14:15], v[14:15], v[18:19]
	v_add_f64 v[16:17], v[20:21], v[38:39]
	s_waitcnt vmcnt(1) lgkmcnt(0)
	v_mul_f64 v[18:19], v[10:11], v[32:33]
	v_mul_f64 v[20:21], v[12:13], v[32:33]
	v_fma_f64 v[22:23], v[4:5], v[26:27], v[40:41]
	v_fma_f64 v[24:25], v[2:3], v[26:27], -v[28:29]
	ds_load_b128 v[2:5], v1 offset:1136
	v_add_f64 v[6:7], v[14:15], v[6:7]
	v_add_f64 v[8:9], v[16:17], v[8:9]
	v_fma_f64 v[12:13], v[12:13], v[30:31], v[18:19]
	v_fma_f64 v[10:11], v[10:11], v[30:31], -v[20:21]
	s_waitcnt vmcnt(0) lgkmcnt(0)
	v_mul_f64 v[14:15], v[2:3], v[36:37]
	v_mul_f64 v[16:17], v[4:5], v[36:37]
	v_add_f64 v[6:7], v[6:7], v[24:25]
	v_add_f64 v[8:9], v[8:9], v[22:23]
	s_delay_alu instid0(VALU_DEP_4) | instskip(NEXT) | instid1(VALU_DEP_4)
	v_fma_f64 v[4:5], v[4:5], v[34:35], v[14:15]
	v_fma_f64 v[2:3], v[2:3], v[34:35], -v[16:17]
	s_delay_alu instid0(VALU_DEP_4) | instskip(NEXT) | instid1(VALU_DEP_4)
	v_add_f64 v[6:7], v[6:7], v[10:11]
	v_add_f64 v[8:9], v[8:9], v[12:13]
	s_delay_alu instid0(VALU_DEP_2) | instskip(NEXT) | instid1(VALU_DEP_2)
	v_add_f64 v[2:3], v[6:7], v[2:3]
	v_add_f64 v[4:5], v[8:9], v[4:5]
	s_delay_alu instid0(VALU_DEP_2) | instskip(NEXT) | instid1(VALU_DEP_2)
	v_add_f64 v[2:3], v[42:43], -v[2:3]
	v_add_f64 v[4:5], v[44:45], -v[4:5]
	scratch_store_b128 off, v[2:5], off offset:96
	v_cmpx_lt_u32_e32 5, v118
	s_cbranch_execz .LBB99_219
; %bb.218:
	scratch_load_b128 v[5:8], v143, off
	v_mov_b32_e32 v2, v1
	v_mov_b32_e32 v3, v1
	;; [unrolled: 1-line block ×3, first 2 shown]
	scratch_store_b128 off, v[1:4], off offset:80
	s_waitcnt vmcnt(0)
	ds_store_b128 v154, v[5:8]
.LBB99_219:
	s_or_b32 exec_lo, exec_lo, s2
	s_waitcnt lgkmcnt(0)
	s_waitcnt_vscnt null, 0x0
	s_barrier
	buffer_gl0_inv
	s_clause 0x8
	scratch_load_b128 v[2:5], off, off offset:96
	scratch_load_b128 v[6:9], off, off offset:112
	;; [unrolled: 1-line block ×9, first 2 shown]
	ds_load_b128 v[42:45], v1 offset:672
	ds_load_b128 v[38:41], v1 offset:688
	s_clause 0x1
	scratch_load_b128 v[155:158], off, off offset:80
	scratch_load_b128 v[159:162], off, off offset:240
	s_mov_b32 s2, exec_lo
	s_waitcnt vmcnt(10) lgkmcnt(1)
	v_mul_f64 v[163:164], v[44:45], v[4:5]
	v_mul_f64 v[4:5], v[42:43], v[4:5]
	s_waitcnt vmcnt(9) lgkmcnt(0)
	v_mul_f64 v[167:168], v[38:39], v[8:9]
	v_mul_f64 v[8:9], v[40:41], v[8:9]
	s_delay_alu instid0(VALU_DEP_4) | instskip(NEXT) | instid1(VALU_DEP_4)
	v_fma_f64 v[169:170], v[42:43], v[2:3], -v[163:164]
	v_fma_f64 v[171:172], v[44:45], v[2:3], v[4:5]
	ds_load_b128 v[2:5], v1 offset:704
	ds_load_b128 v[163:166], v1 offset:720
	scratch_load_b128 v[42:45], off, off offset:256
	v_fma_f64 v[40:41], v[40:41], v[6:7], v[167:168]
	v_fma_f64 v[38:39], v[38:39], v[6:7], -v[8:9]
	scratch_load_b128 v[6:9], off, off offset:272
	s_waitcnt vmcnt(10) lgkmcnt(1)
	v_mul_f64 v[173:174], v[2:3], v[12:13]
	v_mul_f64 v[12:13], v[4:5], v[12:13]
	v_add_f64 v[167:168], v[169:170], 0
	v_add_f64 v[169:170], v[171:172], 0
	s_waitcnt vmcnt(9) lgkmcnt(0)
	v_mul_f64 v[171:172], v[163:164], v[16:17]
	v_mul_f64 v[16:17], v[165:166], v[16:17]
	v_fma_f64 v[173:174], v[4:5], v[10:11], v[173:174]
	v_fma_f64 v[175:176], v[2:3], v[10:11], -v[12:13]
	ds_load_b128 v[2:5], v1 offset:736
	scratch_load_b128 v[10:13], off, off offset:288
	v_add_f64 v[167:168], v[167:168], v[38:39]
	v_add_f64 v[169:170], v[169:170], v[40:41]
	ds_load_b128 v[38:41], v1 offset:752
	v_fma_f64 v[165:166], v[165:166], v[14:15], v[171:172]
	v_fma_f64 v[163:164], v[163:164], v[14:15], -v[16:17]
	scratch_load_b128 v[14:17], off, off offset:304
	s_waitcnt vmcnt(10) lgkmcnt(1)
	v_mul_f64 v[177:178], v[2:3], v[20:21]
	v_mul_f64 v[20:21], v[4:5], v[20:21]
	s_waitcnt vmcnt(9) lgkmcnt(0)
	v_mul_f64 v[171:172], v[38:39], v[24:25]
	v_mul_f64 v[24:25], v[40:41], v[24:25]
	v_add_f64 v[167:168], v[167:168], v[175:176]
	v_add_f64 v[169:170], v[169:170], v[173:174]
	v_fma_f64 v[173:174], v[4:5], v[18:19], v[177:178]
	v_fma_f64 v[175:176], v[2:3], v[18:19], -v[20:21]
	ds_load_b128 v[2:5], v1 offset:768
	scratch_load_b128 v[18:21], off, off offset:320
	v_fma_f64 v[40:41], v[40:41], v[22:23], v[171:172]
	v_fma_f64 v[38:39], v[38:39], v[22:23], -v[24:25]
	scratch_load_b128 v[22:25], off, off offset:336
	v_add_f64 v[167:168], v[167:168], v[163:164]
	v_add_f64 v[169:170], v[169:170], v[165:166]
	ds_load_b128 v[163:166], v1 offset:784
	s_waitcnt vmcnt(10) lgkmcnt(1)
	v_mul_f64 v[177:178], v[2:3], v[28:29]
	v_mul_f64 v[28:29], v[4:5], v[28:29]
	s_waitcnt vmcnt(9) lgkmcnt(0)
	v_mul_f64 v[171:172], v[163:164], v[32:33]
	v_mul_f64 v[32:33], v[165:166], v[32:33]
	v_add_f64 v[167:168], v[167:168], v[175:176]
	v_add_f64 v[169:170], v[169:170], v[173:174]
	v_fma_f64 v[173:174], v[4:5], v[26:27], v[177:178]
	v_fma_f64 v[175:176], v[2:3], v[26:27], -v[28:29]
	ds_load_b128 v[2:5], v1 offset:800
	scratch_load_b128 v[26:29], off, off offset:352
	v_fma_f64 v[165:166], v[165:166], v[30:31], v[171:172]
	v_fma_f64 v[163:164], v[163:164], v[30:31], -v[32:33]
	scratch_load_b128 v[30:33], off, off offset:368
	v_add_f64 v[167:168], v[167:168], v[38:39]
	v_add_f64 v[169:170], v[169:170], v[40:41]
	ds_load_b128 v[38:41], v1 offset:816
	s_waitcnt vmcnt(10) lgkmcnt(1)
	v_mul_f64 v[177:178], v[2:3], v[36:37]
	v_mul_f64 v[36:37], v[4:5], v[36:37]
	s_waitcnt vmcnt(8) lgkmcnt(0)
	v_mul_f64 v[171:172], v[38:39], v[161:162]
	v_add_f64 v[167:168], v[167:168], v[175:176]
	v_add_f64 v[169:170], v[169:170], v[173:174]
	v_mul_f64 v[173:174], v[40:41], v[161:162]
	v_fma_f64 v[175:176], v[4:5], v[34:35], v[177:178]
	v_fma_f64 v[177:178], v[2:3], v[34:35], -v[36:37]
	ds_load_b128 v[2:5], v1 offset:832
	scratch_load_b128 v[34:37], off, off offset:384
	v_fma_f64 v[171:172], v[40:41], v[159:160], v[171:172]
	v_add_f64 v[167:168], v[167:168], v[163:164]
	v_add_f64 v[165:166], v[169:170], v[165:166]
	ds_load_b128 v[161:164], v1 offset:848
	v_fma_f64 v[159:160], v[38:39], v[159:160], -v[173:174]
	scratch_load_b128 v[38:41], off, off offset:400
	s_waitcnt vmcnt(9) lgkmcnt(1)
	v_mul_f64 v[169:170], v[2:3], v[44:45]
	v_mul_f64 v[44:45], v[4:5], v[44:45]
	s_waitcnt vmcnt(8) lgkmcnt(0)
	v_mul_f64 v[173:174], v[161:162], v[8:9]
	v_mul_f64 v[8:9], v[163:164], v[8:9]
	v_add_f64 v[167:168], v[167:168], v[177:178]
	v_add_f64 v[165:166], v[165:166], v[175:176]
	v_fma_f64 v[169:170], v[4:5], v[42:43], v[169:170]
	v_fma_f64 v[175:176], v[2:3], v[42:43], -v[44:45]
	ds_load_b128 v[2:5], v1 offset:864
	scratch_load_b128 v[42:45], off, off offset:416
	v_fma_f64 v[163:164], v[163:164], v[6:7], v[173:174]
	v_fma_f64 v[161:162], v[161:162], v[6:7], -v[8:9]
	scratch_load_b128 v[6:9], off, off offset:432
	v_add_f64 v[159:160], v[167:168], v[159:160]
	v_add_f64 v[171:172], v[165:166], v[171:172]
	ds_load_b128 v[165:168], v1 offset:880
	s_waitcnt vmcnt(9) lgkmcnt(1)
	v_mul_f64 v[177:178], v[2:3], v[12:13]
	v_mul_f64 v[12:13], v[4:5], v[12:13]
	v_add_f64 v[159:160], v[159:160], v[175:176]
	v_add_f64 v[169:170], v[171:172], v[169:170]
	s_waitcnt vmcnt(8) lgkmcnt(0)
	v_mul_f64 v[171:172], v[165:166], v[16:17]
	v_mul_f64 v[16:17], v[167:168], v[16:17]
	v_fma_f64 v[173:174], v[4:5], v[10:11], v[177:178]
	v_fma_f64 v[175:176], v[2:3], v[10:11], -v[12:13]
	ds_load_b128 v[2:5], v1 offset:896
	scratch_load_b128 v[10:13], off, off offset:448
	v_add_f64 v[177:178], v[159:160], v[161:162]
	v_add_f64 v[163:164], v[169:170], v[163:164]
	ds_load_b128 v[159:162], v1 offset:912
	s_waitcnt vmcnt(8) lgkmcnt(1)
	v_mul_f64 v[169:170], v[2:3], v[20:21]
	v_mul_f64 v[20:21], v[4:5], v[20:21]
	v_fma_f64 v[167:168], v[167:168], v[14:15], v[171:172]
	v_fma_f64 v[165:166], v[165:166], v[14:15], -v[16:17]
	scratch_load_b128 v[14:17], off, off offset:464
	v_add_f64 v[171:172], v[177:178], v[175:176]
	v_add_f64 v[163:164], v[163:164], v[173:174]
	s_waitcnt vmcnt(8) lgkmcnt(0)
	v_mul_f64 v[173:174], v[159:160], v[24:25]
	v_mul_f64 v[24:25], v[161:162], v[24:25]
	v_fma_f64 v[169:170], v[4:5], v[18:19], v[169:170]
	v_fma_f64 v[175:176], v[2:3], v[18:19], -v[20:21]
	ds_load_b128 v[2:5], v1 offset:928
	scratch_load_b128 v[18:21], off, off offset:480
	v_add_f64 v[171:172], v[171:172], v[165:166]
	v_add_f64 v[167:168], v[163:164], v[167:168]
	ds_load_b128 v[163:166], v1 offset:944
	s_waitcnt vmcnt(8) lgkmcnt(1)
	v_mul_f64 v[177:178], v[2:3], v[28:29]
	v_mul_f64 v[28:29], v[4:5], v[28:29]
	v_fma_f64 v[161:162], v[161:162], v[22:23], v[173:174]
	v_fma_f64 v[159:160], v[159:160], v[22:23], -v[24:25]
	scratch_load_b128 v[22:25], off, off offset:496
	v_add_f64 v[171:172], v[171:172], v[175:176]
	v_add_f64 v[167:168], v[167:168], v[169:170]
	s_waitcnt vmcnt(8) lgkmcnt(0)
	v_mul_f64 v[169:170], v[163:164], v[32:33]
	v_mul_f64 v[32:33], v[165:166], v[32:33]
	v_fma_f64 v[173:174], v[4:5], v[26:27], v[177:178]
	v_fma_f64 v[175:176], v[2:3], v[26:27], -v[28:29]
	ds_load_b128 v[2:5], v1 offset:960
	scratch_load_b128 v[26:29], off, off offset:512
	v_add_f64 v[171:172], v[171:172], v[159:160]
	v_add_f64 v[167:168], v[167:168], v[161:162]
	ds_load_b128 v[159:162], v1 offset:976
	s_waitcnt vmcnt(8) lgkmcnt(1)
	v_mul_f64 v[177:178], v[2:3], v[36:37]
	v_mul_f64 v[36:37], v[4:5], v[36:37]
	v_fma_f64 v[165:166], v[165:166], v[30:31], v[169:170]
	v_fma_f64 v[163:164], v[163:164], v[30:31], -v[32:33]
	scratch_load_b128 v[30:33], off, off offset:528
	v_add_f64 v[169:170], v[171:172], v[175:176]
	v_add_f64 v[167:168], v[167:168], v[173:174]
	s_waitcnt vmcnt(8) lgkmcnt(0)
	v_mul_f64 v[171:172], v[159:160], v[40:41]
	v_mul_f64 v[40:41], v[161:162], v[40:41]
	v_fma_f64 v[173:174], v[4:5], v[34:35], v[177:178]
	v_fma_f64 v[175:176], v[2:3], v[34:35], -v[36:37]
	ds_load_b128 v[2:5], v1 offset:992
	scratch_load_b128 v[34:37], off, off offset:544
	v_add_f64 v[169:170], v[169:170], v[163:164]
	v_add_f64 v[167:168], v[167:168], v[165:166]
	ds_load_b128 v[163:166], v1 offset:1008
	s_waitcnt vmcnt(8) lgkmcnt(1)
	v_mul_f64 v[177:178], v[2:3], v[44:45]
	v_mul_f64 v[44:45], v[4:5], v[44:45]
	v_fma_f64 v[161:162], v[161:162], v[38:39], v[171:172]
	v_fma_f64 v[159:160], v[159:160], v[38:39], -v[40:41]
	scratch_load_b128 v[38:41], off, off offset:560
	s_waitcnt vmcnt(8) lgkmcnt(0)
	v_mul_f64 v[171:172], v[163:164], v[8:9]
	v_mul_f64 v[8:9], v[165:166], v[8:9]
	v_add_f64 v[169:170], v[169:170], v[175:176]
	v_add_f64 v[167:168], v[167:168], v[173:174]
	v_fma_f64 v[173:174], v[4:5], v[42:43], v[177:178]
	v_fma_f64 v[175:176], v[2:3], v[42:43], -v[44:45]
	ds_load_b128 v[2:5], v1 offset:1024
	ds_load_b128 v[42:45], v1 offset:1040
	v_fma_f64 v[165:166], v[165:166], v[6:7], v[171:172]
	v_fma_f64 v[6:7], v[163:164], v[6:7], -v[8:9]
	v_add_f64 v[159:160], v[169:170], v[159:160]
	v_add_f64 v[161:162], v[167:168], v[161:162]
	s_waitcnt vmcnt(7) lgkmcnt(1)
	v_mul_f64 v[167:168], v[2:3], v[12:13]
	v_mul_f64 v[12:13], v[4:5], v[12:13]
	s_delay_alu instid0(VALU_DEP_4) | instskip(NEXT) | instid1(VALU_DEP_4)
	v_add_f64 v[8:9], v[159:160], v[175:176]
	v_add_f64 v[159:160], v[161:162], v[173:174]
	s_waitcnt vmcnt(6) lgkmcnt(0)
	v_mul_f64 v[161:162], v[42:43], v[16:17]
	v_mul_f64 v[16:17], v[44:45], v[16:17]
	v_fma_f64 v[163:164], v[4:5], v[10:11], v[167:168]
	v_fma_f64 v[10:11], v[2:3], v[10:11], -v[12:13]
	v_add_f64 v[12:13], v[8:9], v[6:7]
	v_add_f64 v[159:160], v[159:160], v[165:166]
	ds_load_b128 v[2:5], v1 offset:1056
	ds_load_b128 v[6:9], v1 offset:1072
	v_fma_f64 v[44:45], v[44:45], v[14:15], v[161:162]
	v_fma_f64 v[14:15], v[42:43], v[14:15], -v[16:17]
	s_waitcnt vmcnt(5) lgkmcnt(1)
	v_mul_f64 v[165:166], v[2:3], v[20:21]
	v_mul_f64 v[20:21], v[4:5], v[20:21]
	s_waitcnt vmcnt(4) lgkmcnt(0)
	v_mul_f64 v[16:17], v[6:7], v[24:25]
	v_mul_f64 v[24:25], v[8:9], v[24:25]
	v_add_f64 v[10:11], v[12:13], v[10:11]
	v_add_f64 v[12:13], v[159:160], v[163:164]
	v_fma_f64 v[42:43], v[4:5], v[18:19], v[165:166]
	v_fma_f64 v[18:19], v[2:3], v[18:19], -v[20:21]
	v_fma_f64 v[8:9], v[8:9], v[22:23], v[16:17]
	v_fma_f64 v[6:7], v[6:7], v[22:23], -v[24:25]
	v_add_f64 v[14:15], v[10:11], v[14:15]
	v_add_f64 v[20:21], v[12:13], v[44:45]
	ds_load_b128 v[2:5], v1 offset:1088
	ds_load_b128 v[10:13], v1 offset:1104
	s_waitcnt vmcnt(3) lgkmcnt(1)
	v_mul_f64 v[44:45], v[2:3], v[28:29]
	v_mul_f64 v[28:29], v[4:5], v[28:29]
	v_add_f64 v[14:15], v[14:15], v[18:19]
	v_add_f64 v[16:17], v[20:21], v[42:43]
	s_waitcnt vmcnt(2) lgkmcnt(0)
	v_mul_f64 v[18:19], v[10:11], v[32:33]
	v_mul_f64 v[20:21], v[12:13], v[32:33]
	v_fma_f64 v[22:23], v[4:5], v[26:27], v[44:45]
	v_fma_f64 v[24:25], v[2:3], v[26:27], -v[28:29]
	v_add_f64 v[14:15], v[14:15], v[6:7]
	v_add_f64 v[16:17], v[16:17], v[8:9]
	ds_load_b128 v[2:5], v1 offset:1120
	ds_load_b128 v[6:9], v1 offset:1136
	v_fma_f64 v[12:13], v[12:13], v[30:31], v[18:19]
	v_fma_f64 v[10:11], v[10:11], v[30:31], -v[20:21]
	s_waitcnt vmcnt(1) lgkmcnt(1)
	v_mul_f64 v[26:27], v[2:3], v[36:37]
	v_mul_f64 v[28:29], v[4:5], v[36:37]
	s_waitcnt vmcnt(0) lgkmcnt(0)
	v_mul_f64 v[18:19], v[6:7], v[40:41]
	v_mul_f64 v[20:21], v[8:9], v[40:41]
	v_add_f64 v[14:15], v[14:15], v[24:25]
	v_add_f64 v[16:17], v[16:17], v[22:23]
	v_fma_f64 v[4:5], v[4:5], v[34:35], v[26:27]
	v_fma_f64 v[1:2], v[2:3], v[34:35], -v[28:29]
	v_fma_f64 v[8:9], v[8:9], v[38:39], v[18:19]
	v_fma_f64 v[6:7], v[6:7], v[38:39], -v[20:21]
	v_add_f64 v[10:11], v[14:15], v[10:11]
	v_add_f64 v[12:13], v[16:17], v[12:13]
	s_delay_alu instid0(VALU_DEP_2) | instskip(NEXT) | instid1(VALU_DEP_2)
	v_add_f64 v[1:2], v[10:11], v[1:2]
	v_add_f64 v[3:4], v[12:13], v[4:5]
	s_delay_alu instid0(VALU_DEP_2) | instskip(NEXT) | instid1(VALU_DEP_2)
	;; [unrolled: 3-line block ×3, first 2 shown]
	v_add_f64 v[1:2], v[155:156], -v[1:2]
	v_add_f64 v[3:4], v[157:158], -v[3:4]
	scratch_store_b128 off, v[1:4], off offset:80
	v_cmpx_lt_u32_e32 4, v118
	s_cbranch_execz .LBB99_221
; %bb.220:
	scratch_load_b128 v[1:4], v119, off
	v_mov_b32_e32 v5, 0
	s_delay_alu instid0(VALU_DEP_1)
	v_mov_b32_e32 v6, v5
	v_mov_b32_e32 v7, v5
	;; [unrolled: 1-line block ×3, first 2 shown]
	scratch_store_b128 off, v[5:8], off offset:64
	s_waitcnt vmcnt(0)
	ds_store_b128 v154, v[1:4]
.LBB99_221:
	s_or_b32 exec_lo, exec_lo, s2
	s_waitcnt lgkmcnt(0)
	s_waitcnt_vscnt null, 0x0
	s_barrier
	buffer_gl0_inv
	s_clause 0x7
	scratch_load_b128 v[2:5], off, off offset:80
	scratch_load_b128 v[6:9], off, off offset:96
	scratch_load_b128 v[10:13], off, off offset:112
	scratch_load_b128 v[14:17], off, off offset:128
	scratch_load_b128 v[18:21], off, off offset:144
	scratch_load_b128 v[22:25], off, off offset:160
	scratch_load_b128 v[26:29], off, off offset:176
	scratch_load_b128 v[30:33], off, off offset:192
	v_mov_b32_e32 v1, 0
	s_mov_b32 s2, exec_lo
	ds_load_b128 v[38:41], v1 offset:656
	s_clause 0x1
	scratch_load_b128 v[34:37], off, off offset:208
	scratch_load_b128 v[42:45], off, off offset:64
	ds_load_b128 v[155:158], v1 offset:672
	scratch_load_b128 v[159:162], off, off offset:224
	s_waitcnt vmcnt(10) lgkmcnt(1)
	v_mul_f64 v[163:164], v[40:41], v[4:5]
	v_mul_f64 v[4:5], v[38:39], v[4:5]
	s_delay_alu instid0(VALU_DEP_2) | instskip(NEXT) | instid1(VALU_DEP_2)
	v_fma_f64 v[169:170], v[38:39], v[2:3], -v[163:164]
	v_fma_f64 v[171:172], v[40:41], v[2:3], v[4:5]
	scratch_load_b128 v[38:41], off, off offset:240
	ds_load_b128 v[2:5], v1 offset:688
	s_waitcnt vmcnt(10) lgkmcnt(1)
	v_mul_f64 v[167:168], v[155:156], v[8:9]
	v_mul_f64 v[8:9], v[157:158], v[8:9]
	ds_load_b128 v[163:166], v1 offset:704
	s_waitcnt vmcnt(9) lgkmcnt(1)
	v_mul_f64 v[173:174], v[2:3], v[12:13]
	v_mul_f64 v[12:13], v[4:5], v[12:13]
	v_fma_f64 v[157:158], v[157:158], v[6:7], v[167:168]
	v_fma_f64 v[155:156], v[155:156], v[6:7], -v[8:9]
	v_add_f64 v[167:168], v[169:170], 0
	v_add_f64 v[169:170], v[171:172], 0
	scratch_load_b128 v[6:9], off, off offset:256
	v_fma_f64 v[173:174], v[4:5], v[10:11], v[173:174]
	v_fma_f64 v[175:176], v[2:3], v[10:11], -v[12:13]
	scratch_load_b128 v[10:13], off, off offset:272
	ds_load_b128 v[2:5], v1 offset:720
	s_waitcnt vmcnt(10) lgkmcnt(1)
	v_mul_f64 v[171:172], v[163:164], v[16:17]
	v_mul_f64 v[16:17], v[165:166], v[16:17]
	v_add_f64 v[167:168], v[167:168], v[155:156]
	v_add_f64 v[169:170], v[169:170], v[157:158]
	s_waitcnt vmcnt(9) lgkmcnt(0)
	v_mul_f64 v[177:178], v[2:3], v[20:21]
	v_mul_f64 v[20:21], v[4:5], v[20:21]
	ds_load_b128 v[155:158], v1 offset:736
	v_fma_f64 v[165:166], v[165:166], v[14:15], v[171:172]
	v_fma_f64 v[163:164], v[163:164], v[14:15], -v[16:17]
	scratch_load_b128 v[14:17], off, off offset:288
	v_add_f64 v[167:168], v[167:168], v[175:176]
	v_add_f64 v[169:170], v[169:170], v[173:174]
	v_fma_f64 v[173:174], v[4:5], v[18:19], v[177:178]
	v_fma_f64 v[175:176], v[2:3], v[18:19], -v[20:21]
	scratch_load_b128 v[18:21], off, off offset:304
	ds_load_b128 v[2:5], v1 offset:752
	s_waitcnt vmcnt(10) lgkmcnt(1)
	v_mul_f64 v[171:172], v[155:156], v[24:25]
	v_mul_f64 v[24:25], v[157:158], v[24:25]
	s_waitcnt vmcnt(9) lgkmcnt(0)
	v_mul_f64 v[177:178], v[2:3], v[28:29]
	v_mul_f64 v[28:29], v[4:5], v[28:29]
	v_add_f64 v[167:168], v[167:168], v[163:164]
	v_add_f64 v[169:170], v[169:170], v[165:166]
	ds_load_b128 v[163:166], v1 offset:768
	v_fma_f64 v[157:158], v[157:158], v[22:23], v[171:172]
	v_fma_f64 v[155:156], v[155:156], v[22:23], -v[24:25]
	scratch_load_b128 v[22:25], off, off offset:320
	v_add_f64 v[167:168], v[167:168], v[175:176]
	v_add_f64 v[169:170], v[169:170], v[173:174]
	v_fma_f64 v[173:174], v[4:5], v[26:27], v[177:178]
	v_fma_f64 v[175:176], v[2:3], v[26:27], -v[28:29]
	scratch_load_b128 v[26:29], off, off offset:336
	ds_load_b128 v[2:5], v1 offset:784
	s_waitcnt vmcnt(10) lgkmcnt(1)
	v_mul_f64 v[171:172], v[163:164], v[32:33]
	v_mul_f64 v[32:33], v[165:166], v[32:33]
	s_waitcnt vmcnt(9) lgkmcnt(0)
	v_mul_f64 v[177:178], v[2:3], v[36:37]
	v_mul_f64 v[36:37], v[4:5], v[36:37]
	v_add_f64 v[167:168], v[167:168], v[155:156]
	v_add_f64 v[169:170], v[169:170], v[157:158]
	ds_load_b128 v[155:158], v1 offset:800
	v_fma_f64 v[165:166], v[165:166], v[30:31], v[171:172]
	v_fma_f64 v[163:164], v[163:164], v[30:31], -v[32:33]
	scratch_load_b128 v[30:33], off, off offset:352
	v_add_f64 v[167:168], v[167:168], v[175:176]
	v_add_f64 v[169:170], v[169:170], v[173:174]
	v_fma_f64 v[175:176], v[4:5], v[34:35], v[177:178]
	v_fma_f64 v[177:178], v[2:3], v[34:35], -v[36:37]
	scratch_load_b128 v[34:37], off, off offset:368
	ds_load_b128 v[2:5], v1 offset:816
	s_waitcnt vmcnt(9) lgkmcnt(1)
	v_mul_f64 v[171:172], v[155:156], v[161:162]
	v_mul_f64 v[173:174], v[157:158], v[161:162]
	v_add_f64 v[167:168], v[167:168], v[163:164]
	v_add_f64 v[165:166], v[169:170], v[165:166]
	ds_load_b128 v[161:164], v1 offset:832
	v_fma_f64 v[171:172], v[157:158], v[159:160], v[171:172]
	v_fma_f64 v[159:160], v[155:156], v[159:160], -v[173:174]
	scratch_load_b128 v[155:158], off, off offset:384
	s_waitcnt vmcnt(9) lgkmcnt(1)
	v_mul_f64 v[169:170], v[2:3], v[40:41]
	v_mul_f64 v[40:41], v[4:5], v[40:41]
	v_add_f64 v[167:168], v[167:168], v[177:178]
	v_add_f64 v[165:166], v[165:166], v[175:176]
	s_delay_alu instid0(VALU_DEP_4) | instskip(NEXT) | instid1(VALU_DEP_4)
	v_fma_f64 v[169:170], v[4:5], v[38:39], v[169:170]
	v_fma_f64 v[175:176], v[2:3], v[38:39], -v[40:41]
	scratch_load_b128 v[38:41], off, off offset:400
	ds_load_b128 v[2:5], v1 offset:848
	s_waitcnt vmcnt(9) lgkmcnt(1)
	v_mul_f64 v[173:174], v[161:162], v[8:9]
	v_mul_f64 v[8:9], v[163:164], v[8:9]
	s_waitcnt vmcnt(8) lgkmcnt(0)
	v_mul_f64 v[177:178], v[2:3], v[12:13]
	v_mul_f64 v[12:13], v[4:5], v[12:13]
	v_add_f64 v[159:160], v[167:168], v[159:160]
	v_add_f64 v[171:172], v[165:166], v[171:172]
	ds_load_b128 v[165:168], v1 offset:864
	v_fma_f64 v[163:164], v[163:164], v[6:7], v[173:174]
	v_fma_f64 v[161:162], v[161:162], v[6:7], -v[8:9]
	scratch_load_b128 v[6:9], off, off offset:416
	v_fma_f64 v[173:174], v[4:5], v[10:11], v[177:178]
	v_add_f64 v[159:160], v[159:160], v[175:176]
	v_add_f64 v[169:170], v[171:172], v[169:170]
	v_fma_f64 v[175:176], v[2:3], v[10:11], -v[12:13]
	scratch_load_b128 v[10:13], off, off offset:432
	ds_load_b128 v[2:5], v1 offset:880
	s_waitcnt vmcnt(9) lgkmcnt(1)
	v_mul_f64 v[171:172], v[165:166], v[16:17]
	v_mul_f64 v[16:17], v[167:168], v[16:17]
	v_add_f64 v[177:178], v[159:160], v[161:162]
	v_add_f64 v[163:164], v[169:170], v[163:164]
	s_waitcnt vmcnt(8) lgkmcnt(0)
	v_mul_f64 v[169:170], v[2:3], v[20:21]
	v_mul_f64 v[20:21], v[4:5], v[20:21]
	ds_load_b128 v[159:162], v1 offset:896
	v_fma_f64 v[167:168], v[167:168], v[14:15], v[171:172]
	v_fma_f64 v[165:166], v[165:166], v[14:15], -v[16:17]
	scratch_load_b128 v[14:17], off, off offset:448
	v_add_f64 v[171:172], v[177:178], v[175:176]
	v_add_f64 v[163:164], v[163:164], v[173:174]
	v_fma_f64 v[169:170], v[4:5], v[18:19], v[169:170]
	v_fma_f64 v[175:176], v[2:3], v[18:19], -v[20:21]
	scratch_load_b128 v[18:21], off, off offset:464
	ds_load_b128 v[2:5], v1 offset:912
	s_waitcnt vmcnt(9) lgkmcnt(1)
	v_mul_f64 v[173:174], v[159:160], v[24:25]
	v_mul_f64 v[24:25], v[161:162], v[24:25]
	s_waitcnt vmcnt(8) lgkmcnt(0)
	v_mul_f64 v[177:178], v[2:3], v[28:29]
	v_mul_f64 v[28:29], v[4:5], v[28:29]
	v_add_f64 v[171:172], v[171:172], v[165:166]
	v_add_f64 v[167:168], v[163:164], v[167:168]
	ds_load_b128 v[163:166], v1 offset:928
	v_fma_f64 v[161:162], v[161:162], v[22:23], v[173:174]
	v_fma_f64 v[159:160], v[159:160], v[22:23], -v[24:25]
	scratch_load_b128 v[22:25], off, off offset:480
	v_fma_f64 v[173:174], v[4:5], v[26:27], v[177:178]
	v_add_f64 v[171:172], v[171:172], v[175:176]
	v_add_f64 v[167:168], v[167:168], v[169:170]
	v_fma_f64 v[175:176], v[2:3], v[26:27], -v[28:29]
	scratch_load_b128 v[26:29], off, off offset:496
	ds_load_b128 v[2:5], v1 offset:944
	s_waitcnt vmcnt(9) lgkmcnt(1)
	v_mul_f64 v[169:170], v[163:164], v[32:33]
	v_mul_f64 v[32:33], v[165:166], v[32:33]
	s_waitcnt vmcnt(8) lgkmcnt(0)
	v_mul_f64 v[177:178], v[2:3], v[36:37]
	v_mul_f64 v[36:37], v[4:5], v[36:37]
	v_add_f64 v[171:172], v[171:172], v[159:160]
	v_add_f64 v[167:168], v[167:168], v[161:162]
	ds_load_b128 v[159:162], v1 offset:960
	v_fma_f64 v[165:166], v[165:166], v[30:31], v[169:170]
	v_fma_f64 v[163:164], v[163:164], v[30:31], -v[32:33]
	scratch_load_b128 v[30:33], off, off offset:512
	v_add_f64 v[169:170], v[171:172], v[175:176]
	v_add_f64 v[167:168], v[167:168], v[173:174]
	v_fma_f64 v[173:174], v[4:5], v[34:35], v[177:178]
	v_fma_f64 v[175:176], v[2:3], v[34:35], -v[36:37]
	scratch_load_b128 v[34:37], off, off offset:528
	ds_load_b128 v[2:5], v1 offset:976
	s_waitcnt vmcnt(9) lgkmcnt(1)
	v_mul_f64 v[171:172], v[159:160], v[157:158]
	v_mul_f64 v[157:158], v[161:162], v[157:158]
	s_waitcnt vmcnt(8) lgkmcnt(0)
	v_mul_f64 v[177:178], v[2:3], v[40:41]
	v_mul_f64 v[40:41], v[4:5], v[40:41]
	v_add_f64 v[169:170], v[169:170], v[163:164]
	v_add_f64 v[167:168], v[167:168], v[165:166]
	ds_load_b128 v[163:166], v1 offset:992
	v_fma_f64 v[161:162], v[161:162], v[155:156], v[171:172]
	v_fma_f64 v[159:160], v[159:160], v[155:156], -v[157:158]
	scratch_load_b128 v[155:158], off, off offset:544
	v_add_f64 v[169:170], v[169:170], v[175:176]
	v_add_f64 v[167:168], v[167:168], v[173:174]
	v_fma_f64 v[173:174], v[4:5], v[38:39], v[177:178]
	v_fma_f64 v[175:176], v[2:3], v[38:39], -v[40:41]
	scratch_load_b128 v[38:41], off, off offset:560
	ds_load_b128 v[2:5], v1 offset:1008
	s_waitcnt vmcnt(9) lgkmcnt(1)
	v_mul_f64 v[171:172], v[163:164], v[8:9]
	v_mul_f64 v[8:9], v[165:166], v[8:9]
	s_waitcnt vmcnt(8) lgkmcnt(0)
	v_mul_f64 v[177:178], v[2:3], v[12:13]
	v_mul_f64 v[12:13], v[4:5], v[12:13]
	v_add_f64 v[169:170], v[169:170], v[159:160]
	v_add_f64 v[167:168], v[167:168], v[161:162]
	ds_load_b128 v[159:162], v1 offset:1024
	v_fma_f64 v[165:166], v[165:166], v[6:7], v[171:172]
	v_fma_f64 v[6:7], v[163:164], v[6:7], -v[8:9]
	v_add_f64 v[8:9], v[169:170], v[175:176]
	v_add_f64 v[163:164], v[167:168], v[173:174]
	s_waitcnt vmcnt(7) lgkmcnt(0)
	v_mul_f64 v[167:168], v[159:160], v[16:17]
	v_mul_f64 v[16:17], v[161:162], v[16:17]
	v_fma_f64 v[169:170], v[4:5], v[10:11], v[177:178]
	v_fma_f64 v[10:11], v[2:3], v[10:11], -v[12:13]
	v_add_f64 v[12:13], v[8:9], v[6:7]
	v_add_f64 v[163:164], v[163:164], v[165:166]
	ds_load_b128 v[2:5], v1 offset:1040
	ds_load_b128 v[6:9], v1 offset:1056
	v_fma_f64 v[161:162], v[161:162], v[14:15], v[167:168]
	v_fma_f64 v[14:15], v[159:160], v[14:15], -v[16:17]
	s_waitcnt vmcnt(6) lgkmcnt(1)
	v_mul_f64 v[165:166], v[2:3], v[20:21]
	v_mul_f64 v[20:21], v[4:5], v[20:21]
	s_waitcnt vmcnt(5) lgkmcnt(0)
	v_mul_f64 v[16:17], v[6:7], v[24:25]
	v_mul_f64 v[24:25], v[8:9], v[24:25]
	v_add_f64 v[10:11], v[12:13], v[10:11]
	v_add_f64 v[12:13], v[163:164], v[169:170]
	v_fma_f64 v[159:160], v[4:5], v[18:19], v[165:166]
	v_fma_f64 v[18:19], v[2:3], v[18:19], -v[20:21]
	v_fma_f64 v[8:9], v[8:9], v[22:23], v[16:17]
	v_fma_f64 v[6:7], v[6:7], v[22:23], -v[24:25]
	v_add_f64 v[14:15], v[10:11], v[14:15]
	v_add_f64 v[20:21], v[12:13], v[161:162]
	ds_load_b128 v[2:5], v1 offset:1072
	ds_load_b128 v[10:13], v1 offset:1088
	s_waitcnt vmcnt(4) lgkmcnt(1)
	v_mul_f64 v[161:162], v[2:3], v[28:29]
	v_mul_f64 v[28:29], v[4:5], v[28:29]
	v_add_f64 v[14:15], v[14:15], v[18:19]
	v_add_f64 v[16:17], v[20:21], v[159:160]
	s_waitcnt vmcnt(3) lgkmcnt(0)
	v_mul_f64 v[18:19], v[10:11], v[32:33]
	v_mul_f64 v[20:21], v[12:13], v[32:33]
	v_fma_f64 v[22:23], v[4:5], v[26:27], v[161:162]
	v_fma_f64 v[24:25], v[2:3], v[26:27], -v[28:29]
	v_add_f64 v[14:15], v[14:15], v[6:7]
	v_add_f64 v[16:17], v[16:17], v[8:9]
	ds_load_b128 v[2:5], v1 offset:1104
	ds_load_b128 v[6:9], v1 offset:1120
	v_fma_f64 v[12:13], v[12:13], v[30:31], v[18:19]
	v_fma_f64 v[10:11], v[10:11], v[30:31], -v[20:21]
	s_waitcnt vmcnt(2) lgkmcnt(1)
	v_mul_f64 v[26:27], v[2:3], v[36:37]
	v_mul_f64 v[28:29], v[4:5], v[36:37]
	s_waitcnt vmcnt(1) lgkmcnt(0)
	v_mul_f64 v[18:19], v[6:7], v[157:158]
	v_mul_f64 v[20:21], v[8:9], v[157:158]
	v_add_f64 v[14:15], v[14:15], v[24:25]
	v_add_f64 v[16:17], v[16:17], v[22:23]
	v_fma_f64 v[22:23], v[4:5], v[34:35], v[26:27]
	v_fma_f64 v[24:25], v[2:3], v[34:35], -v[28:29]
	ds_load_b128 v[2:5], v1 offset:1136
	v_fma_f64 v[8:9], v[8:9], v[155:156], v[18:19]
	v_fma_f64 v[6:7], v[6:7], v[155:156], -v[20:21]
	v_add_f64 v[10:11], v[14:15], v[10:11]
	v_add_f64 v[12:13], v[16:17], v[12:13]
	s_waitcnt vmcnt(0) lgkmcnt(0)
	v_mul_f64 v[14:15], v[2:3], v[40:41]
	v_mul_f64 v[16:17], v[4:5], v[40:41]
	s_delay_alu instid0(VALU_DEP_4) | instskip(NEXT) | instid1(VALU_DEP_4)
	v_add_f64 v[10:11], v[10:11], v[24:25]
	v_add_f64 v[12:13], v[12:13], v[22:23]
	s_delay_alu instid0(VALU_DEP_4) | instskip(NEXT) | instid1(VALU_DEP_4)
	v_fma_f64 v[4:5], v[4:5], v[38:39], v[14:15]
	v_fma_f64 v[2:3], v[2:3], v[38:39], -v[16:17]
	s_delay_alu instid0(VALU_DEP_4) | instskip(NEXT) | instid1(VALU_DEP_4)
	v_add_f64 v[6:7], v[10:11], v[6:7]
	v_add_f64 v[8:9], v[12:13], v[8:9]
	s_delay_alu instid0(VALU_DEP_2) | instskip(NEXT) | instid1(VALU_DEP_2)
	v_add_f64 v[2:3], v[6:7], v[2:3]
	v_add_f64 v[4:5], v[8:9], v[4:5]
	s_delay_alu instid0(VALU_DEP_2) | instskip(NEXT) | instid1(VALU_DEP_2)
	v_add_f64 v[2:3], v[42:43], -v[2:3]
	v_add_f64 v[4:5], v[44:45], -v[4:5]
	scratch_store_b128 off, v[2:5], off offset:64
	v_cmpx_lt_u32_e32 3, v118
	s_cbranch_execz .LBB99_223
; %bb.222:
	scratch_load_b128 v[5:8], v121, off
	v_mov_b32_e32 v2, v1
	v_mov_b32_e32 v3, v1
	;; [unrolled: 1-line block ×3, first 2 shown]
	scratch_store_b128 off, v[1:4], off offset:48
	s_waitcnt vmcnt(0)
	ds_store_b128 v154, v[5:8]
.LBB99_223:
	s_or_b32 exec_lo, exec_lo, s2
	s_waitcnt lgkmcnt(0)
	s_waitcnt_vscnt null, 0x0
	s_barrier
	buffer_gl0_inv
	s_clause 0x8
	scratch_load_b128 v[2:5], off, off offset:64
	scratch_load_b128 v[6:9], off, off offset:80
	;; [unrolled: 1-line block ×9, first 2 shown]
	ds_load_b128 v[42:45], v1 offset:640
	ds_load_b128 v[38:41], v1 offset:656
	s_clause 0x1
	scratch_load_b128 v[155:158], off, off offset:48
	scratch_load_b128 v[159:162], off, off offset:208
	s_mov_b32 s2, exec_lo
	s_waitcnt vmcnt(10) lgkmcnt(1)
	v_mul_f64 v[163:164], v[44:45], v[4:5]
	v_mul_f64 v[4:5], v[42:43], v[4:5]
	s_waitcnt vmcnt(9) lgkmcnt(0)
	v_mul_f64 v[167:168], v[38:39], v[8:9]
	v_mul_f64 v[8:9], v[40:41], v[8:9]
	s_delay_alu instid0(VALU_DEP_4) | instskip(NEXT) | instid1(VALU_DEP_4)
	v_fma_f64 v[169:170], v[42:43], v[2:3], -v[163:164]
	v_fma_f64 v[171:172], v[44:45], v[2:3], v[4:5]
	ds_load_b128 v[2:5], v1 offset:672
	ds_load_b128 v[163:166], v1 offset:688
	scratch_load_b128 v[42:45], off, off offset:224
	v_fma_f64 v[40:41], v[40:41], v[6:7], v[167:168]
	v_fma_f64 v[38:39], v[38:39], v[6:7], -v[8:9]
	scratch_load_b128 v[6:9], off, off offset:240
	s_waitcnt vmcnt(10) lgkmcnt(1)
	v_mul_f64 v[173:174], v[2:3], v[12:13]
	v_mul_f64 v[12:13], v[4:5], v[12:13]
	v_add_f64 v[167:168], v[169:170], 0
	v_add_f64 v[169:170], v[171:172], 0
	s_waitcnt vmcnt(9) lgkmcnt(0)
	v_mul_f64 v[171:172], v[163:164], v[16:17]
	v_mul_f64 v[16:17], v[165:166], v[16:17]
	v_fma_f64 v[173:174], v[4:5], v[10:11], v[173:174]
	v_fma_f64 v[175:176], v[2:3], v[10:11], -v[12:13]
	ds_load_b128 v[2:5], v1 offset:704
	scratch_load_b128 v[10:13], off, off offset:256
	v_add_f64 v[167:168], v[167:168], v[38:39]
	v_add_f64 v[169:170], v[169:170], v[40:41]
	ds_load_b128 v[38:41], v1 offset:720
	v_fma_f64 v[165:166], v[165:166], v[14:15], v[171:172]
	v_fma_f64 v[163:164], v[163:164], v[14:15], -v[16:17]
	scratch_load_b128 v[14:17], off, off offset:272
	s_waitcnt vmcnt(10) lgkmcnt(1)
	v_mul_f64 v[177:178], v[2:3], v[20:21]
	v_mul_f64 v[20:21], v[4:5], v[20:21]
	s_waitcnt vmcnt(9) lgkmcnt(0)
	v_mul_f64 v[171:172], v[38:39], v[24:25]
	v_mul_f64 v[24:25], v[40:41], v[24:25]
	v_add_f64 v[167:168], v[167:168], v[175:176]
	v_add_f64 v[169:170], v[169:170], v[173:174]
	v_fma_f64 v[173:174], v[4:5], v[18:19], v[177:178]
	v_fma_f64 v[175:176], v[2:3], v[18:19], -v[20:21]
	ds_load_b128 v[2:5], v1 offset:736
	scratch_load_b128 v[18:21], off, off offset:288
	v_fma_f64 v[40:41], v[40:41], v[22:23], v[171:172]
	v_fma_f64 v[38:39], v[38:39], v[22:23], -v[24:25]
	scratch_load_b128 v[22:25], off, off offset:304
	v_add_f64 v[167:168], v[167:168], v[163:164]
	v_add_f64 v[169:170], v[169:170], v[165:166]
	ds_load_b128 v[163:166], v1 offset:752
	s_waitcnt vmcnt(10) lgkmcnt(1)
	v_mul_f64 v[177:178], v[2:3], v[28:29]
	v_mul_f64 v[28:29], v[4:5], v[28:29]
	s_waitcnt vmcnt(9) lgkmcnt(0)
	v_mul_f64 v[171:172], v[163:164], v[32:33]
	v_mul_f64 v[32:33], v[165:166], v[32:33]
	v_add_f64 v[167:168], v[167:168], v[175:176]
	v_add_f64 v[169:170], v[169:170], v[173:174]
	v_fma_f64 v[173:174], v[4:5], v[26:27], v[177:178]
	v_fma_f64 v[175:176], v[2:3], v[26:27], -v[28:29]
	ds_load_b128 v[2:5], v1 offset:768
	scratch_load_b128 v[26:29], off, off offset:320
	v_fma_f64 v[165:166], v[165:166], v[30:31], v[171:172]
	v_fma_f64 v[163:164], v[163:164], v[30:31], -v[32:33]
	scratch_load_b128 v[30:33], off, off offset:336
	v_add_f64 v[167:168], v[167:168], v[38:39]
	v_add_f64 v[169:170], v[169:170], v[40:41]
	ds_load_b128 v[38:41], v1 offset:784
	s_waitcnt vmcnt(10) lgkmcnt(1)
	v_mul_f64 v[177:178], v[2:3], v[36:37]
	v_mul_f64 v[36:37], v[4:5], v[36:37]
	s_waitcnt vmcnt(8) lgkmcnt(0)
	v_mul_f64 v[171:172], v[38:39], v[161:162]
	v_add_f64 v[167:168], v[167:168], v[175:176]
	v_add_f64 v[169:170], v[169:170], v[173:174]
	v_mul_f64 v[173:174], v[40:41], v[161:162]
	v_fma_f64 v[175:176], v[4:5], v[34:35], v[177:178]
	v_fma_f64 v[177:178], v[2:3], v[34:35], -v[36:37]
	ds_load_b128 v[2:5], v1 offset:800
	scratch_load_b128 v[34:37], off, off offset:352
	v_fma_f64 v[171:172], v[40:41], v[159:160], v[171:172]
	v_add_f64 v[167:168], v[167:168], v[163:164]
	v_add_f64 v[165:166], v[169:170], v[165:166]
	ds_load_b128 v[161:164], v1 offset:816
	v_fma_f64 v[159:160], v[38:39], v[159:160], -v[173:174]
	scratch_load_b128 v[38:41], off, off offset:368
	s_waitcnt vmcnt(9) lgkmcnt(1)
	v_mul_f64 v[169:170], v[2:3], v[44:45]
	v_mul_f64 v[44:45], v[4:5], v[44:45]
	s_waitcnt vmcnt(8) lgkmcnt(0)
	v_mul_f64 v[173:174], v[161:162], v[8:9]
	v_mul_f64 v[8:9], v[163:164], v[8:9]
	v_add_f64 v[167:168], v[167:168], v[177:178]
	v_add_f64 v[165:166], v[165:166], v[175:176]
	v_fma_f64 v[169:170], v[4:5], v[42:43], v[169:170]
	v_fma_f64 v[175:176], v[2:3], v[42:43], -v[44:45]
	ds_load_b128 v[2:5], v1 offset:832
	scratch_load_b128 v[42:45], off, off offset:384
	v_fma_f64 v[163:164], v[163:164], v[6:7], v[173:174]
	v_fma_f64 v[161:162], v[161:162], v[6:7], -v[8:9]
	scratch_load_b128 v[6:9], off, off offset:400
	v_add_f64 v[159:160], v[167:168], v[159:160]
	v_add_f64 v[171:172], v[165:166], v[171:172]
	ds_load_b128 v[165:168], v1 offset:848
	s_waitcnt vmcnt(9) lgkmcnt(1)
	v_mul_f64 v[177:178], v[2:3], v[12:13]
	v_mul_f64 v[12:13], v[4:5], v[12:13]
	v_add_f64 v[159:160], v[159:160], v[175:176]
	v_add_f64 v[169:170], v[171:172], v[169:170]
	s_waitcnt vmcnt(8) lgkmcnt(0)
	v_mul_f64 v[171:172], v[165:166], v[16:17]
	v_mul_f64 v[16:17], v[167:168], v[16:17]
	v_fma_f64 v[173:174], v[4:5], v[10:11], v[177:178]
	v_fma_f64 v[175:176], v[2:3], v[10:11], -v[12:13]
	ds_load_b128 v[2:5], v1 offset:864
	scratch_load_b128 v[10:13], off, off offset:416
	v_add_f64 v[177:178], v[159:160], v[161:162]
	v_add_f64 v[163:164], v[169:170], v[163:164]
	ds_load_b128 v[159:162], v1 offset:880
	s_waitcnt vmcnt(8) lgkmcnt(1)
	v_mul_f64 v[169:170], v[2:3], v[20:21]
	v_mul_f64 v[20:21], v[4:5], v[20:21]
	v_fma_f64 v[167:168], v[167:168], v[14:15], v[171:172]
	v_fma_f64 v[165:166], v[165:166], v[14:15], -v[16:17]
	scratch_load_b128 v[14:17], off, off offset:432
	v_add_f64 v[171:172], v[177:178], v[175:176]
	v_add_f64 v[163:164], v[163:164], v[173:174]
	s_waitcnt vmcnt(8) lgkmcnt(0)
	v_mul_f64 v[173:174], v[159:160], v[24:25]
	v_mul_f64 v[24:25], v[161:162], v[24:25]
	v_fma_f64 v[169:170], v[4:5], v[18:19], v[169:170]
	v_fma_f64 v[175:176], v[2:3], v[18:19], -v[20:21]
	ds_load_b128 v[2:5], v1 offset:896
	scratch_load_b128 v[18:21], off, off offset:448
	v_add_f64 v[171:172], v[171:172], v[165:166]
	v_add_f64 v[167:168], v[163:164], v[167:168]
	ds_load_b128 v[163:166], v1 offset:912
	s_waitcnt vmcnt(8) lgkmcnt(1)
	v_mul_f64 v[177:178], v[2:3], v[28:29]
	v_mul_f64 v[28:29], v[4:5], v[28:29]
	v_fma_f64 v[161:162], v[161:162], v[22:23], v[173:174]
	v_fma_f64 v[159:160], v[159:160], v[22:23], -v[24:25]
	scratch_load_b128 v[22:25], off, off offset:464
	;; [unrolled: 18-line block ×4, first 2 shown]
	s_waitcnt vmcnt(8) lgkmcnt(0)
	v_mul_f64 v[171:172], v[163:164], v[8:9]
	v_mul_f64 v[8:9], v[165:166], v[8:9]
	v_add_f64 v[169:170], v[169:170], v[175:176]
	v_add_f64 v[167:168], v[167:168], v[173:174]
	v_fma_f64 v[173:174], v[4:5], v[42:43], v[177:178]
	v_fma_f64 v[175:176], v[2:3], v[42:43], -v[44:45]
	ds_load_b128 v[2:5], v1 offset:992
	scratch_load_b128 v[42:45], off, off offset:544
	v_fma_f64 v[165:166], v[165:166], v[6:7], v[171:172]
	v_fma_f64 v[163:164], v[163:164], v[6:7], -v[8:9]
	scratch_load_b128 v[6:9], off, off offset:560
	v_add_f64 v[169:170], v[169:170], v[159:160]
	v_add_f64 v[167:168], v[167:168], v[161:162]
	ds_load_b128 v[159:162], v1 offset:1008
	s_waitcnt vmcnt(9) lgkmcnt(1)
	v_mul_f64 v[177:178], v[2:3], v[12:13]
	v_mul_f64 v[12:13], v[4:5], v[12:13]
	s_waitcnt vmcnt(8) lgkmcnt(0)
	v_mul_f64 v[171:172], v[159:160], v[16:17]
	v_mul_f64 v[16:17], v[161:162], v[16:17]
	v_add_f64 v[169:170], v[169:170], v[175:176]
	v_add_f64 v[167:168], v[167:168], v[173:174]
	v_fma_f64 v[173:174], v[4:5], v[10:11], v[177:178]
	v_fma_f64 v[175:176], v[2:3], v[10:11], -v[12:13]
	ds_load_b128 v[2:5], v1 offset:1024
	ds_load_b128 v[10:13], v1 offset:1040
	v_fma_f64 v[161:162], v[161:162], v[14:15], v[171:172]
	v_fma_f64 v[14:15], v[159:160], v[14:15], -v[16:17]
	v_add_f64 v[163:164], v[169:170], v[163:164]
	v_add_f64 v[165:166], v[167:168], v[165:166]
	s_waitcnt vmcnt(7) lgkmcnt(1)
	v_mul_f64 v[167:168], v[2:3], v[20:21]
	v_mul_f64 v[20:21], v[4:5], v[20:21]
	s_delay_alu instid0(VALU_DEP_4) | instskip(NEXT) | instid1(VALU_DEP_4)
	v_add_f64 v[16:17], v[163:164], v[175:176]
	v_add_f64 v[159:160], v[165:166], v[173:174]
	s_waitcnt vmcnt(6) lgkmcnt(0)
	v_mul_f64 v[163:164], v[10:11], v[24:25]
	v_mul_f64 v[24:25], v[12:13], v[24:25]
	v_fma_f64 v[165:166], v[4:5], v[18:19], v[167:168]
	v_fma_f64 v[18:19], v[2:3], v[18:19], -v[20:21]
	v_add_f64 v[20:21], v[16:17], v[14:15]
	v_add_f64 v[159:160], v[159:160], v[161:162]
	ds_load_b128 v[2:5], v1 offset:1056
	ds_load_b128 v[14:17], v1 offset:1072
	v_fma_f64 v[12:13], v[12:13], v[22:23], v[163:164]
	v_fma_f64 v[10:11], v[10:11], v[22:23], -v[24:25]
	s_waitcnt vmcnt(5) lgkmcnt(1)
	v_mul_f64 v[161:162], v[2:3], v[28:29]
	v_mul_f64 v[28:29], v[4:5], v[28:29]
	s_waitcnt vmcnt(4) lgkmcnt(0)
	v_mul_f64 v[22:23], v[14:15], v[32:33]
	v_mul_f64 v[24:25], v[16:17], v[32:33]
	v_add_f64 v[18:19], v[20:21], v[18:19]
	v_add_f64 v[20:21], v[159:160], v[165:166]
	v_fma_f64 v[32:33], v[4:5], v[26:27], v[161:162]
	v_fma_f64 v[26:27], v[2:3], v[26:27], -v[28:29]
	v_fma_f64 v[16:17], v[16:17], v[30:31], v[22:23]
	v_fma_f64 v[14:15], v[14:15], v[30:31], -v[24:25]
	v_add_f64 v[18:19], v[18:19], v[10:11]
	v_add_f64 v[20:21], v[20:21], v[12:13]
	ds_load_b128 v[2:5], v1 offset:1088
	ds_load_b128 v[10:13], v1 offset:1104
	s_waitcnt vmcnt(3) lgkmcnt(1)
	v_mul_f64 v[28:29], v[2:3], v[36:37]
	v_mul_f64 v[36:37], v[4:5], v[36:37]
	s_waitcnt vmcnt(2) lgkmcnt(0)
	v_mul_f64 v[22:23], v[10:11], v[40:41]
	v_mul_f64 v[24:25], v[12:13], v[40:41]
	v_add_f64 v[18:19], v[18:19], v[26:27]
	v_add_f64 v[20:21], v[20:21], v[32:33]
	v_fma_f64 v[26:27], v[4:5], v[34:35], v[28:29]
	v_fma_f64 v[28:29], v[2:3], v[34:35], -v[36:37]
	v_fma_f64 v[12:13], v[12:13], v[38:39], v[22:23]
	v_fma_f64 v[10:11], v[10:11], v[38:39], -v[24:25]
	v_add_f64 v[18:19], v[18:19], v[14:15]
	v_add_f64 v[20:21], v[20:21], v[16:17]
	ds_load_b128 v[2:5], v1 offset:1120
	ds_load_b128 v[14:17], v1 offset:1136
	s_waitcnt vmcnt(1) lgkmcnt(1)
	v_mul_f64 v[30:31], v[2:3], v[44:45]
	v_mul_f64 v[32:33], v[4:5], v[44:45]
	s_waitcnt vmcnt(0) lgkmcnt(0)
	v_mul_f64 v[22:23], v[14:15], v[8:9]
	v_mul_f64 v[8:9], v[16:17], v[8:9]
	v_add_f64 v[18:19], v[18:19], v[28:29]
	v_add_f64 v[20:21], v[20:21], v[26:27]
	v_fma_f64 v[4:5], v[4:5], v[42:43], v[30:31]
	v_fma_f64 v[1:2], v[2:3], v[42:43], -v[32:33]
	v_fma_f64 v[16:17], v[16:17], v[6:7], v[22:23]
	v_fma_f64 v[6:7], v[14:15], v[6:7], -v[8:9]
	v_add_f64 v[10:11], v[18:19], v[10:11]
	v_add_f64 v[12:13], v[20:21], v[12:13]
	s_delay_alu instid0(VALU_DEP_2) | instskip(NEXT) | instid1(VALU_DEP_2)
	v_add_f64 v[1:2], v[10:11], v[1:2]
	v_add_f64 v[3:4], v[12:13], v[4:5]
	s_delay_alu instid0(VALU_DEP_2) | instskip(NEXT) | instid1(VALU_DEP_2)
	;; [unrolled: 3-line block ×3, first 2 shown]
	v_add_f64 v[1:2], v[155:156], -v[1:2]
	v_add_f64 v[3:4], v[157:158], -v[3:4]
	scratch_store_b128 off, v[1:4], off offset:48
	v_cmpx_lt_u32_e32 2, v118
	s_cbranch_execz .LBB99_225
; %bb.224:
	scratch_load_b128 v[1:4], v120, off
	v_mov_b32_e32 v5, 0
	s_delay_alu instid0(VALU_DEP_1)
	v_mov_b32_e32 v6, v5
	v_mov_b32_e32 v7, v5
	;; [unrolled: 1-line block ×3, first 2 shown]
	scratch_store_b128 off, v[5:8], off offset:32
	s_waitcnt vmcnt(0)
	ds_store_b128 v154, v[1:4]
.LBB99_225:
	s_or_b32 exec_lo, exec_lo, s2
	s_waitcnt lgkmcnt(0)
	s_waitcnt_vscnt null, 0x0
	s_barrier
	buffer_gl0_inv
	s_clause 0x7
	scratch_load_b128 v[2:5], off, off offset:48
	scratch_load_b128 v[6:9], off, off offset:64
	;; [unrolled: 1-line block ×8, first 2 shown]
	v_mov_b32_e32 v1, 0
	s_mov_b32 s2, exec_lo
	ds_load_b128 v[38:41], v1 offset:624
	s_clause 0x1
	scratch_load_b128 v[34:37], off, off offset:176
	scratch_load_b128 v[42:45], off, off offset:32
	ds_load_b128 v[155:158], v1 offset:640
	scratch_load_b128 v[159:162], off, off offset:192
	s_waitcnt vmcnt(10) lgkmcnt(1)
	v_mul_f64 v[163:164], v[40:41], v[4:5]
	v_mul_f64 v[4:5], v[38:39], v[4:5]
	s_delay_alu instid0(VALU_DEP_2) | instskip(NEXT) | instid1(VALU_DEP_2)
	v_fma_f64 v[169:170], v[38:39], v[2:3], -v[163:164]
	v_fma_f64 v[171:172], v[40:41], v[2:3], v[4:5]
	scratch_load_b128 v[38:41], off, off offset:208
	ds_load_b128 v[2:5], v1 offset:656
	s_waitcnt vmcnt(10) lgkmcnt(1)
	v_mul_f64 v[167:168], v[155:156], v[8:9]
	v_mul_f64 v[8:9], v[157:158], v[8:9]
	ds_load_b128 v[163:166], v1 offset:672
	s_waitcnt vmcnt(9) lgkmcnt(1)
	v_mul_f64 v[173:174], v[2:3], v[12:13]
	v_mul_f64 v[12:13], v[4:5], v[12:13]
	v_fma_f64 v[157:158], v[157:158], v[6:7], v[167:168]
	v_fma_f64 v[155:156], v[155:156], v[6:7], -v[8:9]
	v_add_f64 v[167:168], v[169:170], 0
	v_add_f64 v[169:170], v[171:172], 0
	scratch_load_b128 v[6:9], off, off offset:224
	v_fma_f64 v[173:174], v[4:5], v[10:11], v[173:174]
	v_fma_f64 v[175:176], v[2:3], v[10:11], -v[12:13]
	scratch_load_b128 v[10:13], off, off offset:240
	ds_load_b128 v[2:5], v1 offset:688
	s_waitcnt vmcnt(10) lgkmcnt(1)
	v_mul_f64 v[171:172], v[163:164], v[16:17]
	v_mul_f64 v[16:17], v[165:166], v[16:17]
	v_add_f64 v[167:168], v[167:168], v[155:156]
	v_add_f64 v[169:170], v[169:170], v[157:158]
	s_waitcnt vmcnt(9) lgkmcnt(0)
	v_mul_f64 v[177:178], v[2:3], v[20:21]
	v_mul_f64 v[20:21], v[4:5], v[20:21]
	ds_load_b128 v[155:158], v1 offset:704
	v_fma_f64 v[165:166], v[165:166], v[14:15], v[171:172]
	v_fma_f64 v[163:164], v[163:164], v[14:15], -v[16:17]
	scratch_load_b128 v[14:17], off, off offset:256
	v_add_f64 v[167:168], v[167:168], v[175:176]
	v_add_f64 v[169:170], v[169:170], v[173:174]
	v_fma_f64 v[173:174], v[4:5], v[18:19], v[177:178]
	v_fma_f64 v[175:176], v[2:3], v[18:19], -v[20:21]
	scratch_load_b128 v[18:21], off, off offset:272
	ds_load_b128 v[2:5], v1 offset:720
	s_waitcnt vmcnt(10) lgkmcnt(1)
	v_mul_f64 v[171:172], v[155:156], v[24:25]
	v_mul_f64 v[24:25], v[157:158], v[24:25]
	s_waitcnt vmcnt(9) lgkmcnt(0)
	v_mul_f64 v[177:178], v[2:3], v[28:29]
	v_mul_f64 v[28:29], v[4:5], v[28:29]
	v_add_f64 v[167:168], v[167:168], v[163:164]
	v_add_f64 v[169:170], v[169:170], v[165:166]
	ds_load_b128 v[163:166], v1 offset:736
	v_fma_f64 v[157:158], v[157:158], v[22:23], v[171:172]
	v_fma_f64 v[155:156], v[155:156], v[22:23], -v[24:25]
	scratch_load_b128 v[22:25], off, off offset:288
	v_add_f64 v[167:168], v[167:168], v[175:176]
	v_add_f64 v[169:170], v[169:170], v[173:174]
	v_fma_f64 v[173:174], v[4:5], v[26:27], v[177:178]
	v_fma_f64 v[175:176], v[2:3], v[26:27], -v[28:29]
	scratch_load_b128 v[26:29], off, off offset:304
	ds_load_b128 v[2:5], v1 offset:752
	s_waitcnt vmcnt(10) lgkmcnt(1)
	v_mul_f64 v[171:172], v[163:164], v[32:33]
	v_mul_f64 v[32:33], v[165:166], v[32:33]
	s_waitcnt vmcnt(9) lgkmcnt(0)
	v_mul_f64 v[177:178], v[2:3], v[36:37]
	v_mul_f64 v[36:37], v[4:5], v[36:37]
	v_add_f64 v[167:168], v[167:168], v[155:156]
	v_add_f64 v[169:170], v[169:170], v[157:158]
	ds_load_b128 v[155:158], v1 offset:768
	v_fma_f64 v[165:166], v[165:166], v[30:31], v[171:172]
	v_fma_f64 v[163:164], v[163:164], v[30:31], -v[32:33]
	scratch_load_b128 v[30:33], off, off offset:320
	v_add_f64 v[167:168], v[167:168], v[175:176]
	v_add_f64 v[169:170], v[169:170], v[173:174]
	v_fma_f64 v[175:176], v[4:5], v[34:35], v[177:178]
	v_fma_f64 v[177:178], v[2:3], v[34:35], -v[36:37]
	scratch_load_b128 v[34:37], off, off offset:336
	ds_load_b128 v[2:5], v1 offset:784
	s_waitcnt vmcnt(9) lgkmcnt(1)
	v_mul_f64 v[171:172], v[155:156], v[161:162]
	v_mul_f64 v[173:174], v[157:158], v[161:162]
	v_add_f64 v[167:168], v[167:168], v[163:164]
	v_add_f64 v[165:166], v[169:170], v[165:166]
	ds_load_b128 v[161:164], v1 offset:800
	v_fma_f64 v[171:172], v[157:158], v[159:160], v[171:172]
	v_fma_f64 v[159:160], v[155:156], v[159:160], -v[173:174]
	scratch_load_b128 v[155:158], off, off offset:352
	s_waitcnt vmcnt(9) lgkmcnt(1)
	v_mul_f64 v[169:170], v[2:3], v[40:41]
	v_mul_f64 v[40:41], v[4:5], v[40:41]
	v_add_f64 v[167:168], v[167:168], v[177:178]
	v_add_f64 v[165:166], v[165:166], v[175:176]
	s_delay_alu instid0(VALU_DEP_4) | instskip(NEXT) | instid1(VALU_DEP_4)
	v_fma_f64 v[169:170], v[4:5], v[38:39], v[169:170]
	v_fma_f64 v[175:176], v[2:3], v[38:39], -v[40:41]
	scratch_load_b128 v[38:41], off, off offset:368
	ds_load_b128 v[2:5], v1 offset:816
	s_waitcnt vmcnt(9) lgkmcnt(1)
	v_mul_f64 v[173:174], v[161:162], v[8:9]
	v_mul_f64 v[8:9], v[163:164], v[8:9]
	s_waitcnt vmcnt(8) lgkmcnt(0)
	v_mul_f64 v[177:178], v[2:3], v[12:13]
	v_mul_f64 v[12:13], v[4:5], v[12:13]
	v_add_f64 v[159:160], v[167:168], v[159:160]
	v_add_f64 v[171:172], v[165:166], v[171:172]
	ds_load_b128 v[165:168], v1 offset:832
	v_fma_f64 v[163:164], v[163:164], v[6:7], v[173:174]
	v_fma_f64 v[161:162], v[161:162], v[6:7], -v[8:9]
	scratch_load_b128 v[6:9], off, off offset:384
	v_fma_f64 v[173:174], v[4:5], v[10:11], v[177:178]
	v_add_f64 v[159:160], v[159:160], v[175:176]
	v_add_f64 v[169:170], v[171:172], v[169:170]
	v_fma_f64 v[175:176], v[2:3], v[10:11], -v[12:13]
	scratch_load_b128 v[10:13], off, off offset:400
	ds_load_b128 v[2:5], v1 offset:848
	s_waitcnt vmcnt(9) lgkmcnt(1)
	v_mul_f64 v[171:172], v[165:166], v[16:17]
	v_mul_f64 v[16:17], v[167:168], v[16:17]
	v_add_f64 v[177:178], v[159:160], v[161:162]
	v_add_f64 v[163:164], v[169:170], v[163:164]
	s_waitcnt vmcnt(8) lgkmcnt(0)
	v_mul_f64 v[169:170], v[2:3], v[20:21]
	v_mul_f64 v[20:21], v[4:5], v[20:21]
	ds_load_b128 v[159:162], v1 offset:864
	v_fma_f64 v[167:168], v[167:168], v[14:15], v[171:172]
	v_fma_f64 v[165:166], v[165:166], v[14:15], -v[16:17]
	scratch_load_b128 v[14:17], off, off offset:416
	v_add_f64 v[171:172], v[177:178], v[175:176]
	v_add_f64 v[163:164], v[163:164], v[173:174]
	v_fma_f64 v[169:170], v[4:5], v[18:19], v[169:170]
	v_fma_f64 v[175:176], v[2:3], v[18:19], -v[20:21]
	scratch_load_b128 v[18:21], off, off offset:432
	ds_load_b128 v[2:5], v1 offset:880
	s_waitcnt vmcnt(9) lgkmcnt(1)
	v_mul_f64 v[173:174], v[159:160], v[24:25]
	v_mul_f64 v[24:25], v[161:162], v[24:25]
	s_waitcnt vmcnt(8) lgkmcnt(0)
	v_mul_f64 v[177:178], v[2:3], v[28:29]
	v_mul_f64 v[28:29], v[4:5], v[28:29]
	v_add_f64 v[171:172], v[171:172], v[165:166]
	v_add_f64 v[167:168], v[163:164], v[167:168]
	ds_load_b128 v[163:166], v1 offset:896
	v_fma_f64 v[161:162], v[161:162], v[22:23], v[173:174]
	v_fma_f64 v[159:160], v[159:160], v[22:23], -v[24:25]
	scratch_load_b128 v[22:25], off, off offset:448
	v_fma_f64 v[173:174], v[4:5], v[26:27], v[177:178]
	v_add_f64 v[171:172], v[171:172], v[175:176]
	v_add_f64 v[167:168], v[167:168], v[169:170]
	v_fma_f64 v[175:176], v[2:3], v[26:27], -v[28:29]
	scratch_load_b128 v[26:29], off, off offset:464
	ds_load_b128 v[2:5], v1 offset:912
	s_waitcnt vmcnt(9) lgkmcnt(1)
	v_mul_f64 v[169:170], v[163:164], v[32:33]
	v_mul_f64 v[32:33], v[165:166], v[32:33]
	s_waitcnt vmcnt(8) lgkmcnt(0)
	v_mul_f64 v[177:178], v[2:3], v[36:37]
	v_mul_f64 v[36:37], v[4:5], v[36:37]
	v_add_f64 v[171:172], v[171:172], v[159:160]
	v_add_f64 v[167:168], v[167:168], v[161:162]
	ds_load_b128 v[159:162], v1 offset:928
	v_fma_f64 v[165:166], v[165:166], v[30:31], v[169:170]
	v_fma_f64 v[163:164], v[163:164], v[30:31], -v[32:33]
	scratch_load_b128 v[30:33], off, off offset:480
	v_add_f64 v[169:170], v[171:172], v[175:176]
	v_add_f64 v[167:168], v[167:168], v[173:174]
	v_fma_f64 v[173:174], v[4:5], v[34:35], v[177:178]
	v_fma_f64 v[175:176], v[2:3], v[34:35], -v[36:37]
	scratch_load_b128 v[34:37], off, off offset:496
	ds_load_b128 v[2:5], v1 offset:944
	s_waitcnt vmcnt(9) lgkmcnt(1)
	v_mul_f64 v[171:172], v[159:160], v[157:158]
	v_mul_f64 v[157:158], v[161:162], v[157:158]
	s_waitcnt vmcnt(8) lgkmcnt(0)
	v_mul_f64 v[177:178], v[2:3], v[40:41]
	v_mul_f64 v[40:41], v[4:5], v[40:41]
	v_add_f64 v[169:170], v[169:170], v[163:164]
	v_add_f64 v[167:168], v[167:168], v[165:166]
	ds_load_b128 v[163:166], v1 offset:960
	v_fma_f64 v[161:162], v[161:162], v[155:156], v[171:172]
	v_fma_f64 v[159:160], v[159:160], v[155:156], -v[157:158]
	scratch_load_b128 v[155:158], off, off offset:512
	v_add_f64 v[169:170], v[169:170], v[175:176]
	v_add_f64 v[167:168], v[167:168], v[173:174]
	v_fma_f64 v[173:174], v[4:5], v[38:39], v[177:178]
	v_fma_f64 v[175:176], v[2:3], v[38:39], -v[40:41]
	scratch_load_b128 v[38:41], off, off offset:528
	ds_load_b128 v[2:5], v1 offset:976
	s_waitcnt vmcnt(9) lgkmcnt(1)
	v_mul_f64 v[171:172], v[163:164], v[8:9]
	v_mul_f64 v[8:9], v[165:166], v[8:9]
	s_waitcnt vmcnt(8) lgkmcnt(0)
	v_mul_f64 v[177:178], v[2:3], v[12:13]
	v_mul_f64 v[12:13], v[4:5], v[12:13]
	v_add_f64 v[169:170], v[169:170], v[159:160]
	v_add_f64 v[167:168], v[167:168], v[161:162]
	ds_load_b128 v[159:162], v1 offset:992
	v_fma_f64 v[165:166], v[165:166], v[6:7], v[171:172]
	v_fma_f64 v[163:164], v[163:164], v[6:7], -v[8:9]
	scratch_load_b128 v[6:9], off, off offset:544
	v_add_f64 v[169:170], v[169:170], v[175:176]
	v_add_f64 v[167:168], v[167:168], v[173:174]
	v_fma_f64 v[173:174], v[4:5], v[10:11], v[177:178]
	v_fma_f64 v[175:176], v[2:3], v[10:11], -v[12:13]
	scratch_load_b128 v[10:13], off, off offset:560
	ds_load_b128 v[2:5], v1 offset:1008
	s_waitcnt vmcnt(9) lgkmcnt(1)
	v_mul_f64 v[171:172], v[159:160], v[16:17]
	v_mul_f64 v[16:17], v[161:162], v[16:17]
	s_waitcnt vmcnt(8) lgkmcnt(0)
	v_mul_f64 v[177:178], v[2:3], v[20:21]
	v_mul_f64 v[20:21], v[4:5], v[20:21]
	v_add_f64 v[169:170], v[169:170], v[163:164]
	v_add_f64 v[167:168], v[167:168], v[165:166]
	ds_load_b128 v[163:166], v1 offset:1024
	v_fma_f64 v[161:162], v[161:162], v[14:15], v[171:172]
	v_fma_f64 v[14:15], v[159:160], v[14:15], -v[16:17]
	v_add_f64 v[16:17], v[169:170], v[175:176]
	v_add_f64 v[159:160], v[167:168], v[173:174]
	s_waitcnt vmcnt(7) lgkmcnt(0)
	v_mul_f64 v[167:168], v[163:164], v[24:25]
	v_mul_f64 v[24:25], v[165:166], v[24:25]
	v_fma_f64 v[169:170], v[4:5], v[18:19], v[177:178]
	v_fma_f64 v[18:19], v[2:3], v[18:19], -v[20:21]
	v_add_f64 v[20:21], v[16:17], v[14:15]
	v_add_f64 v[159:160], v[159:160], v[161:162]
	ds_load_b128 v[2:5], v1 offset:1040
	ds_load_b128 v[14:17], v1 offset:1056
	v_fma_f64 v[165:166], v[165:166], v[22:23], v[167:168]
	v_fma_f64 v[22:23], v[163:164], v[22:23], -v[24:25]
	s_waitcnt vmcnt(6) lgkmcnt(1)
	v_mul_f64 v[161:162], v[2:3], v[28:29]
	v_mul_f64 v[28:29], v[4:5], v[28:29]
	s_waitcnt vmcnt(5) lgkmcnt(0)
	v_mul_f64 v[24:25], v[14:15], v[32:33]
	v_mul_f64 v[32:33], v[16:17], v[32:33]
	v_add_f64 v[18:19], v[20:21], v[18:19]
	v_add_f64 v[20:21], v[159:160], v[169:170]
	v_fma_f64 v[159:160], v[4:5], v[26:27], v[161:162]
	v_fma_f64 v[26:27], v[2:3], v[26:27], -v[28:29]
	v_fma_f64 v[16:17], v[16:17], v[30:31], v[24:25]
	v_fma_f64 v[14:15], v[14:15], v[30:31], -v[32:33]
	v_add_f64 v[22:23], v[18:19], v[22:23]
	v_add_f64 v[28:29], v[20:21], v[165:166]
	ds_load_b128 v[2:5], v1 offset:1072
	ds_load_b128 v[18:21], v1 offset:1088
	s_waitcnt vmcnt(4) lgkmcnt(1)
	v_mul_f64 v[161:162], v[2:3], v[36:37]
	v_mul_f64 v[36:37], v[4:5], v[36:37]
	v_add_f64 v[22:23], v[22:23], v[26:27]
	v_add_f64 v[24:25], v[28:29], v[159:160]
	s_waitcnt vmcnt(3) lgkmcnt(0)
	v_mul_f64 v[26:27], v[18:19], v[157:158]
	v_mul_f64 v[28:29], v[20:21], v[157:158]
	v_fma_f64 v[30:31], v[4:5], v[34:35], v[161:162]
	v_fma_f64 v[32:33], v[2:3], v[34:35], -v[36:37]
	v_add_f64 v[22:23], v[22:23], v[14:15]
	v_add_f64 v[24:25], v[24:25], v[16:17]
	ds_load_b128 v[2:5], v1 offset:1104
	ds_load_b128 v[14:17], v1 offset:1120
	v_fma_f64 v[20:21], v[20:21], v[155:156], v[26:27]
	v_fma_f64 v[18:19], v[18:19], v[155:156], -v[28:29]
	s_waitcnt vmcnt(2) lgkmcnt(1)
	v_mul_f64 v[34:35], v[2:3], v[40:41]
	v_mul_f64 v[36:37], v[4:5], v[40:41]
	s_waitcnt vmcnt(1) lgkmcnt(0)
	v_mul_f64 v[26:27], v[14:15], v[8:9]
	v_mul_f64 v[8:9], v[16:17], v[8:9]
	v_add_f64 v[22:23], v[22:23], v[32:33]
	v_add_f64 v[24:25], v[24:25], v[30:31]
	v_fma_f64 v[28:29], v[4:5], v[38:39], v[34:35]
	v_fma_f64 v[30:31], v[2:3], v[38:39], -v[36:37]
	ds_load_b128 v[2:5], v1 offset:1136
	v_fma_f64 v[16:17], v[16:17], v[6:7], v[26:27]
	v_fma_f64 v[6:7], v[14:15], v[6:7], -v[8:9]
	v_add_f64 v[18:19], v[22:23], v[18:19]
	v_add_f64 v[20:21], v[24:25], v[20:21]
	s_waitcnt vmcnt(0) lgkmcnt(0)
	v_mul_f64 v[22:23], v[2:3], v[12:13]
	v_mul_f64 v[12:13], v[4:5], v[12:13]
	s_delay_alu instid0(VALU_DEP_4) | instskip(NEXT) | instid1(VALU_DEP_4)
	v_add_f64 v[8:9], v[18:19], v[30:31]
	v_add_f64 v[14:15], v[20:21], v[28:29]
	s_delay_alu instid0(VALU_DEP_4) | instskip(NEXT) | instid1(VALU_DEP_4)
	v_fma_f64 v[4:5], v[4:5], v[10:11], v[22:23]
	v_fma_f64 v[2:3], v[2:3], v[10:11], -v[12:13]
	s_delay_alu instid0(VALU_DEP_4) | instskip(NEXT) | instid1(VALU_DEP_4)
	v_add_f64 v[6:7], v[8:9], v[6:7]
	v_add_f64 v[8:9], v[14:15], v[16:17]
	s_delay_alu instid0(VALU_DEP_2) | instskip(NEXT) | instid1(VALU_DEP_2)
	v_add_f64 v[2:3], v[6:7], v[2:3]
	v_add_f64 v[4:5], v[8:9], v[4:5]
	s_delay_alu instid0(VALU_DEP_2) | instskip(NEXT) | instid1(VALU_DEP_2)
	v_add_f64 v[2:3], v[42:43], -v[2:3]
	v_add_f64 v[4:5], v[44:45], -v[4:5]
	scratch_store_b128 off, v[2:5], off offset:32
	v_cmpx_lt_u32_e32 1, v118
	s_cbranch_execz .LBB99_227
; %bb.226:
	scratch_load_b128 v[5:8], v122, off
	v_mov_b32_e32 v2, v1
	v_mov_b32_e32 v3, v1
	;; [unrolled: 1-line block ×3, first 2 shown]
	scratch_store_b128 off, v[1:4], off offset:16
	s_waitcnt vmcnt(0)
	ds_store_b128 v154, v[5:8]
.LBB99_227:
	s_or_b32 exec_lo, exec_lo, s2
	s_waitcnt lgkmcnt(0)
	s_waitcnt_vscnt null, 0x0
	s_barrier
	buffer_gl0_inv
	s_clause 0x8
	scratch_load_b128 v[2:5], off, off offset:32
	scratch_load_b128 v[6:9], off, off offset:48
	;; [unrolled: 1-line block ×9, first 2 shown]
	ds_load_b128 v[42:45], v1 offset:608
	ds_load_b128 v[38:41], v1 offset:624
	s_clause 0x1
	scratch_load_b128 v[155:158], off, off offset:16
	scratch_load_b128 v[159:162], off, off offset:176
	s_mov_b32 s2, exec_lo
	s_waitcnt vmcnt(10) lgkmcnt(1)
	v_mul_f64 v[163:164], v[44:45], v[4:5]
	v_mul_f64 v[4:5], v[42:43], v[4:5]
	s_waitcnt vmcnt(9) lgkmcnt(0)
	v_mul_f64 v[167:168], v[38:39], v[8:9]
	v_mul_f64 v[8:9], v[40:41], v[8:9]
	s_delay_alu instid0(VALU_DEP_4) | instskip(NEXT) | instid1(VALU_DEP_4)
	v_fma_f64 v[169:170], v[42:43], v[2:3], -v[163:164]
	v_fma_f64 v[171:172], v[44:45], v[2:3], v[4:5]
	ds_load_b128 v[2:5], v1 offset:640
	ds_load_b128 v[163:166], v1 offset:656
	scratch_load_b128 v[42:45], off, off offset:192
	v_fma_f64 v[40:41], v[40:41], v[6:7], v[167:168]
	v_fma_f64 v[38:39], v[38:39], v[6:7], -v[8:9]
	scratch_load_b128 v[6:9], off, off offset:208
	s_waitcnt vmcnt(10) lgkmcnt(1)
	v_mul_f64 v[173:174], v[2:3], v[12:13]
	v_mul_f64 v[12:13], v[4:5], v[12:13]
	v_add_f64 v[167:168], v[169:170], 0
	v_add_f64 v[169:170], v[171:172], 0
	s_waitcnt vmcnt(9) lgkmcnt(0)
	v_mul_f64 v[171:172], v[163:164], v[16:17]
	v_mul_f64 v[16:17], v[165:166], v[16:17]
	v_fma_f64 v[173:174], v[4:5], v[10:11], v[173:174]
	v_fma_f64 v[175:176], v[2:3], v[10:11], -v[12:13]
	ds_load_b128 v[2:5], v1 offset:672
	scratch_load_b128 v[10:13], off, off offset:224
	v_add_f64 v[167:168], v[167:168], v[38:39]
	v_add_f64 v[169:170], v[169:170], v[40:41]
	ds_load_b128 v[38:41], v1 offset:688
	v_fma_f64 v[165:166], v[165:166], v[14:15], v[171:172]
	v_fma_f64 v[163:164], v[163:164], v[14:15], -v[16:17]
	scratch_load_b128 v[14:17], off, off offset:240
	s_waitcnt vmcnt(10) lgkmcnt(1)
	v_mul_f64 v[177:178], v[2:3], v[20:21]
	v_mul_f64 v[20:21], v[4:5], v[20:21]
	s_waitcnt vmcnt(9) lgkmcnt(0)
	v_mul_f64 v[171:172], v[38:39], v[24:25]
	v_mul_f64 v[24:25], v[40:41], v[24:25]
	v_add_f64 v[167:168], v[167:168], v[175:176]
	v_add_f64 v[169:170], v[169:170], v[173:174]
	v_fma_f64 v[173:174], v[4:5], v[18:19], v[177:178]
	v_fma_f64 v[175:176], v[2:3], v[18:19], -v[20:21]
	ds_load_b128 v[2:5], v1 offset:704
	scratch_load_b128 v[18:21], off, off offset:256
	v_fma_f64 v[40:41], v[40:41], v[22:23], v[171:172]
	v_fma_f64 v[38:39], v[38:39], v[22:23], -v[24:25]
	scratch_load_b128 v[22:25], off, off offset:272
	v_add_f64 v[167:168], v[167:168], v[163:164]
	v_add_f64 v[169:170], v[169:170], v[165:166]
	ds_load_b128 v[163:166], v1 offset:720
	s_waitcnt vmcnt(10) lgkmcnt(1)
	v_mul_f64 v[177:178], v[2:3], v[28:29]
	v_mul_f64 v[28:29], v[4:5], v[28:29]
	s_waitcnt vmcnt(9) lgkmcnt(0)
	v_mul_f64 v[171:172], v[163:164], v[32:33]
	v_mul_f64 v[32:33], v[165:166], v[32:33]
	v_add_f64 v[167:168], v[167:168], v[175:176]
	v_add_f64 v[169:170], v[169:170], v[173:174]
	v_fma_f64 v[173:174], v[4:5], v[26:27], v[177:178]
	v_fma_f64 v[175:176], v[2:3], v[26:27], -v[28:29]
	ds_load_b128 v[2:5], v1 offset:736
	scratch_load_b128 v[26:29], off, off offset:288
	v_fma_f64 v[165:166], v[165:166], v[30:31], v[171:172]
	v_fma_f64 v[163:164], v[163:164], v[30:31], -v[32:33]
	scratch_load_b128 v[30:33], off, off offset:304
	v_add_f64 v[167:168], v[167:168], v[38:39]
	v_add_f64 v[169:170], v[169:170], v[40:41]
	ds_load_b128 v[38:41], v1 offset:752
	s_waitcnt vmcnt(10) lgkmcnt(1)
	v_mul_f64 v[177:178], v[2:3], v[36:37]
	v_mul_f64 v[36:37], v[4:5], v[36:37]
	s_waitcnt vmcnt(8) lgkmcnt(0)
	v_mul_f64 v[171:172], v[38:39], v[161:162]
	v_add_f64 v[167:168], v[167:168], v[175:176]
	v_add_f64 v[169:170], v[169:170], v[173:174]
	v_mul_f64 v[173:174], v[40:41], v[161:162]
	v_fma_f64 v[175:176], v[4:5], v[34:35], v[177:178]
	v_fma_f64 v[177:178], v[2:3], v[34:35], -v[36:37]
	ds_load_b128 v[2:5], v1 offset:768
	scratch_load_b128 v[34:37], off, off offset:320
	v_fma_f64 v[171:172], v[40:41], v[159:160], v[171:172]
	v_add_f64 v[167:168], v[167:168], v[163:164]
	v_add_f64 v[165:166], v[169:170], v[165:166]
	ds_load_b128 v[161:164], v1 offset:784
	v_fma_f64 v[159:160], v[38:39], v[159:160], -v[173:174]
	scratch_load_b128 v[38:41], off, off offset:336
	s_waitcnt vmcnt(9) lgkmcnt(1)
	v_mul_f64 v[169:170], v[2:3], v[44:45]
	v_mul_f64 v[44:45], v[4:5], v[44:45]
	s_waitcnt vmcnt(8) lgkmcnt(0)
	v_mul_f64 v[173:174], v[161:162], v[8:9]
	v_mul_f64 v[8:9], v[163:164], v[8:9]
	v_add_f64 v[167:168], v[167:168], v[177:178]
	v_add_f64 v[165:166], v[165:166], v[175:176]
	v_fma_f64 v[169:170], v[4:5], v[42:43], v[169:170]
	v_fma_f64 v[175:176], v[2:3], v[42:43], -v[44:45]
	ds_load_b128 v[2:5], v1 offset:800
	scratch_load_b128 v[42:45], off, off offset:352
	v_fma_f64 v[163:164], v[163:164], v[6:7], v[173:174]
	v_fma_f64 v[161:162], v[161:162], v[6:7], -v[8:9]
	scratch_load_b128 v[6:9], off, off offset:368
	v_add_f64 v[159:160], v[167:168], v[159:160]
	v_add_f64 v[171:172], v[165:166], v[171:172]
	ds_load_b128 v[165:168], v1 offset:816
	s_waitcnt vmcnt(9) lgkmcnt(1)
	v_mul_f64 v[177:178], v[2:3], v[12:13]
	v_mul_f64 v[12:13], v[4:5], v[12:13]
	v_add_f64 v[159:160], v[159:160], v[175:176]
	v_add_f64 v[169:170], v[171:172], v[169:170]
	s_waitcnt vmcnt(8) lgkmcnt(0)
	v_mul_f64 v[171:172], v[165:166], v[16:17]
	v_mul_f64 v[16:17], v[167:168], v[16:17]
	v_fma_f64 v[173:174], v[4:5], v[10:11], v[177:178]
	v_fma_f64 v[175:176], v[2:3], v[10:11], -v[12:13]
	ds_load_b128 v[2:5], v1 offset:832
	scratch_load_b128 v[10:13], off, off offset:384
	v_add_f64 v[177:178], v[159:160], v[161:162]
	v_add_f64 v[163:164], v[169:170], v[163:164]
	ds_load_b128 v[159:162], v1 offset:848
	s_waitcnt vmcnt(8) lgkmcnt(1)
	v_mul_f64 v[169:170], v[2:3], v[20:21]
	v_mul_f64 v[20:21], v[4:5], v[20:21]
	v_fma_f64 v[167:168], v[167:168], v[14:15], v[171:172]
	v_fma_f64 v[165:166], v[165:166], v[14:15], -v[16:17]
	scratch_load_b128 v[14:17], off, off offset:400
	v_add_f64 v[171:172], v[177:178], v[175:176]
	v_add_f64 v[163:164], v[163:164], v[173:174]
	s_waitcnt vmcnt(8) lgkmcnt(0)
	v_mul_f64 v[173:174], v[159:160], v[24:25]
	v_mul_f64 v[24:25], v[161:162], v[24:25]
	v_fma_f64 v[169:170], v[4:5], v[18:19], v[169:170]
	v_fma_f64 v[175:176], v[2:3], v[18:19], -v[20:21]
	ds_load_b128 v[2:5], v1 offset:864
	scratch_load_b128 v[18:21], off, off offset:416
	v_add_f64 v[171:172], v[171:172], v[165:166]
	v_add_f64 v[167:168], v[163:164], v[167:168]
	ds_load_b128 v[163:166], v1 offset:880
	s_waitcnt vmcnt(8) lgkmcnt(1)
	v_mul_f64 v[177:178], v[2:3], v[28:29]
	v_mul_f64 v[28:29], v[4:5], v[28:29]
	v_fma_f64 v[161:162], v[161:162], v[22:23], v[173:174]
	v_fma_f64 v[159:160], v[159:160], v[22:23], -v[24:25]
	scratch_load_b128 v[22:25], off, off offset:432
	;; [unrolled: 18-line block ×4, first 2 shown]
	s_waitcnt vmcnt(8) lgkmcnt(0)
	v_mul_f64 v[171:172], v[163:164], v[8:9]
	v_mul_f64 v[8:9], v[165:166], v[8:9]
	v_add_f64 v[169:170], v[169:170], v[175:176]
	v_add_f64 v[167:168], v[167:168], v[173:174]
	v_fma_f64 v[173:174], v[4:5], v[42:43], v[177:178]
	v_fma_f64 v[175:176], v[2:3], v[42:43], -v[44:45]
	ds_load_b128 v[2:5], v1 offset:960
	scratch_load_b128 v[42:45], off, off offset:512
	v_fma_f64 v[165:166], v[165:166], v[6:7], v[171:172]
	v_fma_f64 v[163:164], v[163:164], v[6:7], -v[8:9]
	scratch_load_b128 v[6:9], off, off offset:528
	v_add_f64 v[169:170], v[169:170], v[159:160]
	v_add_f64 v[167:168], v[167:168], v[161:162]
	ds_load_b128 v[159:162], v1 offset:976
	s_waitcnt vmcnt(9) lgkmcnt(1)
	v_mul_f64 v[177:178], v[2:3], v[12:13]
	v_mul_f64 v[12:13], v[4:5], v[12:13]
	s_waitcnt vmcnt(8) lgkmcnt(0)
	v_mul_f64 v[171:172], v[159:160], v[16:17]
	v_mul_f64 v[16:17], v[161:162], v[16:17]
	v_add_f64 v[169:170], v[169:170], v[175:176]
	v_add_f64 v[167:168], v[167:168], v[173:174]
	v_fma_f64 v[173:174], v[4:5], v[10:11], v[177:178]
	v_fma_f64 v[175:176], v[2:3], v[10:11], -v[12:13]
	ds_load_b128 v[2:5], v1 offset:992
	scratch_load_b128 v[10:13], off, off offset:544
	v_fma_f64 v[161:162], v[161:162], v[14:15], v[171:172]
	v_fma_f64 v[159:160], v[159:160], v[14:15], -v[16:17]
	scratch_load_b128 v[14:17], off, off offset:560
	v_add_f64 v[169:170], v[169:170], v[163:164]
	v_add_f64 v[167:168], v[167:168], v[165:166]
	ds_load_b128 v[163:166], v1 offset:1008
	s_waitcnt vmcnt(9) lgkmcnt(1)
	v_mul_f64 v[177:178], v[2:3], v[20:21]
	v_mul_f64 v[20:21], v[4:5], v[20:21]
	s_waitcnt vmcnt(8) lgkmcnt(0)
	v_mul_f64 v[171:172], v[163:164], v[24:25]
	v_mul_f64 v[24:25], v[165:166], v[24:25]
	v_add_f64 v[169:170], v[169:170], v[175:176]
	v_add_f64 v[167:168], v[167:168], v[173:174]
	v_fma_f64 v[173:174], v[4:5], v[18:19], v[177:178]
	v_fma_f64 v[175:176], v[2:3], v[18:19], -v[20:21]
	ds_load_b128 v[2:5], v1 offset:1024
	ds_load_b128 v[18:21], v1 offset:1040
	v_fma_f64 v[165:166], v[165:166], v[22:23], v[171:172]
	v_fma_f64 v[22:23], v[163:164], v[22:23], -v[24:25]
	v_add_f64 v[159:160], v[169:170], v[159:160]
	v_add_f64 v[161:162], v[167:168], v[161:162]
	s_waitcnt vmcnt(7) lgkmcnt(1)
	v_mul_f64 v[167:168], v[2:3], v[28:29]
	v_mul_f64 v[28:29], v[4:5], v[28:29]
	s_delay_alu instid0(VALU_DEP_4) | instskip(NEXT) | instid1(VALU_DEP_4)
	v_add_f64 v[24:25], v[159:160], v[175:176]
	v_add_f64 v[159:160], v[161:162], v[173:174]
	s_waitcnt vmcnt(6) lgkmcnt(0)
	v_mul_f64 v[161:162], v[18:19], v[32:33]
	v_mul_f64 v[32:33], v[20:21], v[32:33]
	v_fma_f64 v[163:164], v[4:5], v[26:27], v[167:168]
	v_fma_f64 v[26:27], v[2:3], v[26:27], -v[28:29]
	v_add_f64 v[28:29], v[24:25], v[22:23]
	v_add_f64 v[159:160], v[159:160], v[165:166]
	ds_load_b128 v[2:5], v1 offset:1056
	ds_load_b128 v[22:25], v1 offset:1072
	v_fma_f64 v[20:21], v[20:21], v[30:31], v[161:162]
	v_fma_f64 v[18:19], v[18:19], v[30:31], -v[32:33]
	s_waitcnt vmcnt(5) lgkmcnt(1)
	v_mul_f64 v[165:166], v[2:3], v[36:37]
	v_mul_f64 v[36:37], v[4:5], v[36:37]
	s_waitcnt vmcnt(4) lgkmcnt(0)
	v_mul_f64 v[30:31], v[22:23], v[40:41]
	v_mul_f64 v[32:33], v[24:25], v[40:41]
	v_add_f64 v[26:27], v[28:29], v[26:27]
	v_add_f64 v[28:29], v[159:160], v[163:164]
	v_fma_f64 v[40:41], v[4:5], v[34:35], v[165:166]
	v_fma_f64 v[34:35], v[2:3], v[34:35], -v[36:37]
	v_fma_f64 v[24:25], v[24:25], v[38:39], v[30:31]
	v_fma_f64 v[22:23], v[22:23], v[38:39], -v[32:33]
	v_add_f64 v[26:27], v[26:27], v[18:19]
	v_add_f64 v[28:29], v[28:29], v[20:21]
	ds_load_b128 v[2:5], v1 offset:1088
	ds_load_b128 v[18:21], v1 offset:1104
	s_waitcnt vmcnt(3) lgkmcnt(1)
	v_mul_f64 v[36:37], v[2:3], v[44:45]
	v_mul_f64 v[44:45], v[4:5], v[44:45]
	s_waitcnt vmcnt(2) lgkmcnt(0)
	v_mul_f64 v[30:31], v[18:19], v[8:9]
	v_mul_f64 v[8:9], v[20:21], v[8:9]
	v_add_f64 v[26:27], v[26:27], v[34:35]
	v_add_f64 v[28:29], v[28:29], v[40:41]
	v_fma_f64 v[32:33], v[4:5], v[42:43], v[36:37]
	v_fma_f64 v[34:35], v[2:3], v[42:43], -v[44:45]
	v_fma_f64 v[20:21], v[20:21], v[6:7], v[30:31]
	v_fma_f64 v[6:7], v[18:19], v[6:7], -v[8:9]
	v_add_f64 v[26:27], v[26:27], v[22:23]
	v_add_f64 v[28:29], v[28:29], v[24:25]
	ds_load_b128 v[2:5], v1 offset:1120
	ds_load_b128 v[22:25], v1 offset:1136
	s_waitcnt vmcnt(1) lgkmcnt(1)
	v_mul_f64 v[36:37], v[2:3], v[12:13]
	v_mul_f64 v[12:13], v[4:5], v[12:13]
	v_add_f64 v[8:9], v[26:27], v[34:35]
	v_add_f64 v[18:19], v[28:29], v[32:33]
	s_waitcnt vmcnt(0) lgkmcnt(0)
	v_mul_f64 v[26:27], v[22:23], v[16:17]
	v_mul_f64 v[16:17], v[24:25], v[16:17]
	v_fma_f64 v[4:5], v[4:5], v[10:11], v[36:37]
	v_fma_f64 v[1:2], v[2:3], v[10:11], -v[12:13]
	v_add_f64 v[6:7], v[8:9], v[6:7]
	v_add_f64 v[8:9], v[18:19], v[20:21]
	v_fma_f64 v[10:11], v[24:25], v[14:15], v[26:27]
	v_fma_f64 v[12:13], v[22:23], v[14:15], -v[16:17]
	s_delay_alu instid0(VALU_DEP_4) | instskip(NEXT) | instid1(VALU_DEP_4)
	v_add_f64 v[1:2], v[6:7], v[1:2]
	v_add_f64 v[3:4], v[8:9], v[4:5]
	s_delay_alu instid0(VALU_DEP_2) | instskip(NEXT) | instid1(VALU_DEP_2)
	v_add_f64 v[1:2], v[1:2], v[12:13]
	v_add_f64 v[3:4], v[3:4], v[10:11]
	s_delay_alu instid0(VALU_DEP_2) | instskip(NEXT) | instid1(VALU_DEP_2)
	v_add_f64 v[1:2], v[155:156], -v[1:2]
	v_add_f64 v[3:4], v[157:158], -v[3:4]
	scratch_store_b128 off, v[1:4], off offset:16
	v_cmpx_ne_u32_e32 0, v118
	s_cbranch_execz .LBB99_229
; %bb.228:
	scratch_load_b128 v[1:4], off, off
	v_mov_b32_e32 v5, 0
	s_delay_alu instid0(VALU_DEP_1)
	v_mov_b32_e32 v6, v5
	v_mov_b32_e32 v7, v5
	;; [unrolled: 1-line block ×3, first 2 shown]
	scratch_store_b128 off, v[5:8], off
	s_waitcnt vmcnt(0)
	ds_store_b128 v154, v[1:4]
.LBB99_229:
	s_or_b32 exec_lo, exec_lo, s2
	s_waitcnt lgkmcnt(0)
	s_waitcnt_vscnt null, 0x0
	s_barrier
	buffer_gl0_inv
	s_clause 0x7
	scratch_load_b128 v[1:4], off, off offset:16
	scratch_load_b128 v[5:8], off, off offset:32
	;; [unrolled: 1-line block ×8, first 2 shown]
	v_mov_b32_e32 v41, 0
	s_and_b32 vcc_lo, exec_lo, s16
	ds_load_b128 v[37:40], v41 offset:592
	s_clause 0x1
	scratch_load_b128 v[33:36], off, off offset:144
	scratch_load_b128 v[42:45], off, off
	ds_load_b128 v[154:157], v41 offset:608
	scratch_load_b128 v[158:161], off, off offset:160
	s_waitcnt vmcnt(10) lgkmcnt(1)
	v_mul_f64 v[162:163], v[39:40], v[3:4]
	v_mul_f64 v[3:4], v[37:38], v[3:4]
	s_delay_alu instid0(VALU_DEP_2) | instskip(NEXT) | instid1(VALU_DEP_2)
	v_fma_f64 v[168:169], v[37:38], v[1:2], -v[162:163]
	v_fma_f64 v[170:171], v[39:40], v[1:2], v[3:4]
	scratch_load_b128 v[37:40], off, off offset:176
	ds_load_b128 v[1:4], v41 offset:624
	s_waitcnt vmcnt(10) lgkmcnt(1)
	v_mul_f64 v[166:167], v[154:155], v[7:8]
	v_mul_f64 v[7:8], v[156:157], v[7:8]
	ds_load_b128 v[162:165], v41 offset:640
	s_waitcnt vmcnt(9) lgkmcnt(1)
	v_mul_f64 v[172:173], v[1:2], v[11:12]
	v_mul_f64 v[11:12], v[3:4], v[11:12]
	v_fma_f64 v[156:157], v[156:157], v[5:6], v[166:167]
	v_fma_f64 v[154:155], v[154:155], v[5:6], -v[7:8]
	v_add_f64 v[166:167], v[168:169], 0
	v_add_f64 v[168:169], v[170:171], 0
	scratch_load_b128 v[5:8], off, off offset:192
	v_fma_f64 v[172:173], v[3:4], v[9:10], v[172:173]
	v_fma_f64 v[174:175], v[1:2], v[9:10], -v[11:12]
	scratch_load_b128 v[9:12], off, off offset:208
	ds_load_b128 v[1:4], v41 offset:656
	s_waitcnt vmcnt(10) lgkmcnt(1)
	v_mul_f64 v[170:171], v[162:163], v[15:16]
	v_mul_f64 v[15:16], v[164:165], v[15:16]
	v_add_f64 v[166:167], v[166:167], v[154:155]
	v_add_f64 v[168:169], v[168:169], v[156:157]
	s_waitcnt vmcnt(9) lgkmcnt(0)
	v_mul_f64 v[176:177], v[1:2], v[19:20]
	v_mul_f64 v[19:20], v[3:4], v[19:20]
	ds_load_b128 v[154:157], v41 offset:672
	v_fma_f64 v[164:165], v[164:165], v[13:14], v[170:171]
	v_fma_f64 v[162:163], v[162:163], v[13:14], -v[15:16]
	scratch_load_b128 v[13:16], off, off offset:224
	v_add_f64 v[166:167], v[166:167], v[174:175]
	v_add_f64 v[168:169], v[168:169], v[172:173]
	v_fma_f64 v[172:173], v[3:4], v[17:18], v[176:177]
	v_fma_f64 v[174:175], v[1:2], v[17:18], -v[19:20]
	scratch_load_b128 v[17:20], off, off offset:240
	ds_load_b128 v[1:4], v41 offset:688
	s_waitcnt vmcnt(10) lgkmcnt(1)
	v_mul_f64 v[170:171], v[154:155], v[23:24]
	v_mul_f64 v[23:24], v[156:157], v[23:24]
	s_waitcnt vmcnt(9) lgkmcnt(0)
	v_mul_f64 v[176:177], v[1:2], v[27:28]
	v_mul_f64 v[27:28], v[3:4], v[27:28]
	v_add_f64 v[166:167], v[166:167], v[162:163]
	v_add_f64 v[168:169], v[168:169], v[164:165]
	ds_load_b128 v[162:165], v41 offset:704
	v_fma_f64 v[156:157], v[156:157], v[21:22], v[170:171]
	v_fma_f64 v[154:155], v[154:155], v[21:22], -v[23:24]
	scratch_load_b128 v[21:24], off, off offset:256
	v_add_f64 v[166:167], v[166:167], v[174:175]
	v_add_f64 v[168:169], v[168:169], v[172:173]
	v_fma_f64 v[172:173], v[3:4], v[25:26], v[176:177]
	v_fma_f64 v[174:175], v[1:2], v[25:26], -v[27:28]
	scratch_load_b128 v[25:28], off, off offset:272
	ds_load_b128 v[1:4], v41 offset:720
	s_waitcnt vmcnt(10) lgkmcnt(1)
	v_mul_f64 v[170:171], v[162:163], v[31:32]
	v_mul_f64 v[31:32], v[164:165], v[31:32]
	s_waitcnt vmcnt(9) lgkmcnt(0)
	v_mul_f64 v[176:177], v[1:2], v[35:36]
	v_mul_f64 v[35:36], v[3:4], v[35:36]
	v_add_f64 v[166:167], v[166:167], v[154:155]
	v_add_f64 v[168:169], v[168:169], v[156:157]
	ds_load_b128 v[154:157], v41 offset:736
	v_fma_f64 v[164:165], v[164:165], v[29:30], v[170:171]
	v_fma_f64 v[162:163], v[162:163], v[29:30], -v[31:32]
	scratch_load_b128 v[29:32], off, off offset:288
	v_add_f64 v[166:167], v[166:167], v[174:175]
	v_add_f64 v[168:169], v[168:169], v[172:173]
	v_fma_f64 v[174:175], v[3:4], v[33:34], v[176:177]
	v_fma_f64 v[176:177], v[1:2], v[33:34], -v[35:36]
	scratch_load_b128 v[33:36], off, off offset:304
	ds_load_b128 v[1:4], v41 offset:752
	s_waitcnt vmcnt(9) lgkmcnt(1)
	v_mul_f64 v[170:171], v[154:155], v[160:161]
	v_mul_f64 v[172:173], v[156:157], v[160:161]
	v_add_f64 v[166:167], v[166:167], v[162:163]
	v_add_f64 v[164:165], v[168:169], v[164:165]
	ds_load_b128 v[160:163], v41 offset:768
	v_fma_f64 v[170:171], v[156:157], v[158:159], v[170:171]
	v_fma_f64 v[158:159], v[154:155], v[158:159], -v[172:173]
	scratch_load_b128 v[154:157], off, off offset:320
	s_waitcnt vmcnt(9) lgkmcnt(1)
	v_mul_f64 v[168:169], v[1:2], v[39:40]
	v_mul_f64 v[39:40], v[3:4], v[39:40]
	v_add_f64 v[166:167], v[166:167], v[176:177]
	v_add_f64 v[164:165], v[164:165], v[174:175]
	s_delay_alu instid0(VALU_DEP_4) | instskip(NEXT) | instid1(VALU_DEP_4)
	v_fma_f64 v[168:169], v[3:4], v[37:38], v[168:169]
	v_fma_f64 v[174:175], v[1:2], v[37:38], -v[39:40]
	scratch_load_b128 v[37:40], off, off offset:336
	ds_load_b128 v[1:4], v41 offset:784
	s_waitcnt vmcnt(9) lgkmcnt(1)
	v_mul_f64 v[172:173], v[160:161], v[7:8]
	v_mul_f64 v[7:8], v[162:163], v[7:8]
	s_waitcnt vmcnt(8) lgkmcnt(0)
	v_mul_f64 v[176:177], v[1:2], v[11:12]
	v_mul_f64 v[11:12], v[3:4], v[11:12]
	v_add_f64 v[158:159], v[166:167], v[158:159]
	v_add_f64 v[170:171], v[164:165], v[170:171]
	ds_load_b128 v[164:167], v41 offset:800
	v_fma_f64 v[162:163], v[162:163], v[5:6], v[172:173]
	v_fma_f64 v[160:161], v[160:161], v[5:6], -v[7:8]
	scratch_load_b128 v[5:8], off, off offset:352
	v_fma_f64 v[172:173], v[3:4], v[9:10], v[176:177]
	v_add_f64 v[158:159], v[158:159], v[174:175]
	v_add_f64 v[168:169], v[170:171], v[168:169]
	v_fma_f64 v[174:175], v[1:2], v[9:10], -v[11:12]
	scratch_load_b128 v[9:12], off, off offset:368
	ds_load_b128 v[1:4], v41 offset:816
	s_waitcnt vmcnt(9) lgkmcnt(1)
	v_mul_f64 v[170:171], v[164:165], v[15:16]
	v_mul_f64 v[15:16], v[166:167], v[15:16]
	v_add_f64 v[176:177], v[158:159], v[160:161]
	v_add_f64 v[162:163], v[168:169], v[162:163]
	s_waitcnt vmcnt(8) lgkmcnt(0)
	v_mul_f64 v[168:169], v[1:2], v[19:20]
	v_mul_f64 v[19:20], v[3:4], v[19:20]
	ds_load_b128 v[158:161], v41 offset:832
	v_fma_f64 v[166:167], v[166:167], v[13:14], v[170:171]
	v_fma_f64 v[164:165], v[164:165], v[13:14], -v[15:16]
	scratch_load_b128 v[13:16], off, off offset:384
	v_add_f64 v[170:171], v[176:177], v[174:175]
	v_add_f64 v[162:163], v[162:163], v[172:173]
	v_fma_f64 v[168:169], v[3:4], v[17:18], v[168:169]
	v_fma_f64 v[174:175], v[1:2], v[17:18], -v[19:20]
	scratch_load_b128 v[17:20], off, off offset:400
	ds_load_b128 v[1:4], v41 offset:848
	s_waitcnt vmcnt(9) lgkmcnt(1)
	v_mul_f64 v[172:173], v[158:159], v[23:24]
	v_mul_f64 v[23:24], v[160:161], v[23:24]
	s_waitcnt vmcnt(8) lgkmcnt(0)
	v_mul_f64 v[176:177], v[1:2], v[27:28]
	v_mul_f64 v[27:28], v[3:4], v[27:28]
	v_add_f64 v[170:171], v[170:171], v[164:165]
	v_add_f64 v[166:167], v[162:163], v[166:167]
	ds_load_b128 v[162:165], v41 offset:864
	v_fma_f64 v[160:161], v[160:161], v[21:22], v[172:173]
	v_fma_f64 v[158:159], v[158:159], v[21:22], -v[23:24]
	scratch_load_b128 v[21:24], off, off offset:416
	v_fma_f64 v[172:173], v[3:4], v[25:26], v[176:177]
	v_add_f64 v[170:171], v[170:171], v[174:175]
	v_add_f64 v[166:167], v[166:167], v[168:169]
	v_fma_f64 v[174:175], v[1:2], v[25:26], -v[27:28]
	scratch_load_b128 v[25:28], off, off offset:432
	ds_load_b128 v[1:4], v41 offset:880
	s_waitcnt vmcnt(9) lgkmcnt(1)
	v_mul_f64 v[168:169], v[162:163], v[31:32]
	v_mul_f64 v[31:32], v[164:165], v[31:32]
	s_waitcnt vmcnt(8) lgkmcnt(0)
	v_mul_f64 v[176:177], v[1:2], v[35:36]
	v_mul_f64 v[35:36], v[3:4], v[35:36]
	v_add_f64 v[170:171], v[170:171], v[158:159]
	v_add_f64 v[166:167], v[166:167], v[160:161]
	ds_load_b128 v[158:161], v41 offset:896
	v_fma_f64 v[164:165], v[164:165], v[29:30], v[168:169]
	v_fma_f64 v[162:163], v[162:163], v[29:30], -v[31:32]
	scratch_load_b128 v[29:32], off, off offset:448
	v_add_f64 v[168:169], v[170:171], v[174:175]
	v_add_f64 v[166:167], v[166:167], v[172:173]
	v_fma_f64 v[172:173], v[3:4], v[33:34], v[176:177]
	v_fma_f64 v[174:175], v[1:2], v[33:34], -v[35:36]
	scratch_load_b128 v[33:36], off, off offset:464
	ds_load_b128 v[1:4], v41 offset:912
	s_waitcnt vmcnt(9) lgkmcnt(1)
	v_mul_f64 v[170:171], v[158:159], v[156:157]
	v_mul_f64 v[156:157], v[160:161], v[156:157]
	s_waitcnt vmcnt(8) lgkmcnt(0)
	v_mul_f64 v[176:177], v[1:2], v[39:40]
	v_mul_f64 v[39:40], v[3:4], v[39:40]
	v_add_f64 v[168:169], v[168:169], v[162:163]
	v_add_f64 v[166:167], v[166:167], v[164:165]
	ds_load_b128 v[162:165], v41 offset:928
	v_fma_f64 v[160:161], v[160:161], v[154:155], v[170:171]
	v_fma_f64 v[158:159], v[158:159], v[154:155], -v[156:157]
	scratch_load_b128 v[154:157], off, off offset:480
	v_add_f64 v[168:169], v[168:169], v[174:175]
	v_add_f64 v[166:167], v[166:167], v[172:173]
	v_fma_f64 v[172:173], v[3:4], v[37:38], v[176:177]
	;; [unrolled: 18-line block ×4, first 2 shown]
	v_fma_f64 v[174:175], v[1:2], v[17:18], -v[19:20]
	scratch_load_b128 v[17:20], off, off offset:560
	ds_load_b128 v[1:4], v41 offset:1008
	s_waitcnt vmcnt(9) lgkmcnt(1)
	v_mul_f64 v[170:171], v[162:163], v[23:24]
	v_mul_f64 v[23:24], v[164:165], v[23:24]
	s_waitcnt vmcnt(8) lgkmcnt(0)
	v_mul_f64 v[176:177], v[1:2], v[27:28]
	v_mul_f64 v[27:28], v[3:4], v[27:28]
	v_add_f64 v[168:169], v[168:169], v[158:159]
	v_add_f64 v[166:167], v[166:167], v[160:161]
	ds_load_b128 v[158:161], v41 offset:1024
	v_fma_f64 v[164:165], v[164:165], v[21:22], v[170:171]
	v_fma_f64 v[21:22], v[162:163], v[21:22], -v[23:24]
	v_add_f64 v[23:24], v[168:169], v[174:175]
	v_add_f64 v[162:163], v[166:167], v[172:173]
	s_waitcnt vmcnt(7) lgkmcnt(0)
	v_mul_f64 v[166:167], v[158:159], v[31:32]
	v_mul_f64 v[31:32], v[160:161], v[31:32]
	v_fma_f64 v[168:169], v[3:4], v[25:26], v[176:177]
	v_fma_f64 v[25:26], v[1:2], v[25:26], -v[27:28]
	v_add_f64 v[27:28], v[23:24], v[21:22]
	v_add_f64 v[162:163], v[162:163], v[164:165]
	ds_load_b128 v[1:4], v41 offset:1040
	ds_load_b128 v[21:24], v41 offset:1056
	v_fma_f64 v[160:161], v[160:161], v[29:30], v[166:167]
	v_fma_f64 v[29:30], v[158:159], v[29:30], -v[31:32]
	s_waitcnt vmcnt(6) lgkmcnt(1)
	v_mul_f64 v[164:165], v[1:2], v[35:36]
	v_mul_f64 v[35:36], v[3:4], v[35:36]
	s_waitcnt vmcnt(5) lgkmcnt(0)
	v_mul_f64 v[31:32], v[21:22], v[156:157]
	v_mul_f64 v[156:157], v[23:24], v[156:157]
	v_add_f64 v[25:26], v[27:28], v[25:26]
	v_add_f64 v[27:28], v[162:163], v[168:169]
	v_fma_f64 v[158:159], v[3:4], v[33:34], v[164:165]
	v_fma_f64 v[33:34], v[1:2], v[33:34], -v[35:36]
	v_fma_f64 v[23:24], v[23:24], v[154:155], v[31:32]
	v_fma_f64 v[21:22], v[21:22], v[154:155], -v[156:157]
	v_add_f64 v[29:30], v[25:26], v[29:30]
	v_add_f64 v[35:36], v[27:28], v[160:161]
	ds_load_b128 v[1:4], v41 offset:1072
	ds_load_b128 v[25:28], v41 offset:1088
	s_waitcnt vmcnt(4) lgkmcnt(1)
	v_mul_f64 v[160:161], v[1:2], v[39:40]
	v_mul_f64 v[39:40], v[3:4], v[39:40]
	v_add_f64 v[29:30], v[29:30], v[33:34]
	v_add_f64 v[31:32], v[35:36], v[158:159]
	s_waitcnt vmcnt(3) lgkmcnt(0)
	v_mul_f64 v[33:34], v[25:26], v[7:8]
	v_mul_f64 v[7:8], v[27:28], v[7:8]
	v_fma_f64 v[35:36], v[3:4], v[37:38], v[160:161]
	v_fma_f64 v[37:38], v[1:2], v[37:38], -v[39:40]
	v_add_f64 v[29:30], v[29:30], v[21:22]
	v_add_f64 v[31:32], v[31:32], v[23:24]
	ds_load_b128 v[1:4], v41 offset:1104
	ds_load_b128 v[21:24], v41 offset:1120
	v_fma_f64 v[27:28], v[27:28], v[5:6], v[33:34]
	v_fma_f64 v[5:6], v[25:26], v[5:6], -v[7:8]
	s_waitcnt vmcnt(2) lgkmcnt(1)
	v_mul_f64 v[39:40], v[1:2], v[11:12]
	v_mul_f64 v[11:12], v[3:4], v[11:12]
	v_add_f64 v[7:8], v[29:30], v[37:38]
	v_add_f64 v[25:26], v[31:32], v[35:36]
	s_waitcnt vmcnt(1) lgkmcnt(0)
	v_mul_f64 v[29:30], v[21:22], v[15:16]
	v_mul_f64 v[15:16], v[23:24], v[15:16]
	v_fma_f64 v[31:32], v[3:4], v[9:10], v[39:40]
	v_fma_f64 v[9:10], v[1:2], v[9:10], -v[11:12]
	ds_load_b128 v[1:4], v41 offset:1136
	v_add_f64 v[5:6], v[7:8], v[5:6]
	v_add_f64 v[7:8], v[25:26], v[27:28]
	v_fma_f64 v[23:24], v[23:24], v[13:14], v[29:30]
	v_fma_f64 v[13:14], v[21:22], v[13:14], -v[15:16]
	s_waitcnt vmcnt(0) lgkmcnt(0)
	v_mul_f64 v[11:12], v[1:2], v[19:20]
	v_mul_f64 v[19:20], v[3:4], v[19:20]
	v_add_f64 v[5:6], v[5:6], v[9:10]
	v_add_f64 v[7:8], v[7:8], v[31:32]
	s_delay_alu instid0(VALU_DEP_4) | instskip(NEXT) | instid1(VALU_DEP_4)
	v_fma_f64 v[3:4], v[3:4], v[17:18], v[11:12]
	v_fma_f64 v[1:2], v[1:2], v[17:18], -v[19:20]
	s_delay_alu instid0(VALU_DEP_4) | instskip(NEXT) | instid1(VALU_DEP_4)
	v_add_f64 v[5:6], v[5:6], v[13:14]
	v_add_f64 v[7:8], v[7:8], v[23:24]
	s_delay_alu instid0(VALU_DEP_2) | instskip(NEXT) | instid1(VALU_DEP_2)
	v_add_f64 v[1:2], v[5:6], v[1:2]
	v_add_f64 v[3:4], v[7:8], v[3:4]
	s_delay_alu instid0(VALU_DEP_2) | instskip(NEXT) | instid1(VALU_DEP_2)
	v_add_f64 v[1:2], v[42:43], -v[1:2]
	v_add_f64 v[3:4], v[44:45], -v[3:4]
	scratch_store_b128 off, v[1:4], off
	s_cbranch_vccz .LBB99_301
; %bb.230:
	v_dual_mov_b32 v1, s8 :: v_dual_mov_b32 v2, s9
	s_load_b64 s[0:1], s[0:1], 0x4
	flat_load_b32 v1, v[1:2] offset:136
	v_bfe_u32 v2, v0, 10, 10
	v_bfe_u32 v0, v0, 20, 10
	s_waitcnt lgkmcnt(0)
	s_lshr_b32 s0, s0, 16
	s_delay_alu instid0(VALU_DEP_2) | instskip(SKIP_1) | instid1(SALU_CYCLE_1)
	v_mul_u32_u24_e32 v2, s1, v2
	s_mul_i32 s0, s0, s1
	v_mul_u32_u24_e32 v3, s0, v118
	s_mov_b32 s0, exec_lo
	s_delay_alu instid0(VALU_DEP_1) | instskip(NEXT) | instid1(VALU_DEP_1)
	v_add3_u32 v0, v3, v2, v0
	v_lshl_add_u32 v0, v0, 4, 0x488
	s_waitcnt vmcnt(0)
	v_cmpx_ne_u32_e32 35, v1
	s_cbranch_execz .LBB99_232
; %bb.231:
	v_lshl_add_u32 v9, v1, 4, 0
	s_clause 0x1
	scratch_load_b128 v[1:4], v124, off
	scratch_load_b128 v[5:8], v9, off offset:-16
	s_waitcnt vmcnt(1)
	ds_store_2addr_b64 v0, v[1:2], v[3:4] offset1:1
	s_waitcnt vmcnt(0)
	s_clause 0x1
	scratch_store_b128 v124, v[5:8], off
	scratch_store_b128 v9, v[1:4], off offset:-16
.LBB99_232:
	s_or_b32 exec_lo, exec_lo, s0
	v_dual_mov_b32 v1, s8 :: v_dual_mov_b32 v2, s9
	s_mov_b32 s0, exec_lo
	flat_load_b32 v1, v[1:2] offset:132
	s_waitcnt vmcnt(0) lgkmcnt(0)
	v_cmpx_ne_u32_e32 34, v1
	s_cbranch_execz .LBB99_234
; %bb.233:
	v_lshl_add_u32 v9, v1, 4, 0
	s_clause 0x1
	scratch_load_b128 v[1:4], v128, off
	scratch_load_b128 v[5:8], v9, off offset:-16
	s_waitcnt vmcnt(1)
	ds_store_2addr_b64 v0, v[1:2], v[3:4] offset1:1
	s_waitcnt vmcnt(0)
	s_clause 0x1
	scratch_store_b128 v128, v[5:8], off
	scratch_store_b128 v9, v[1:4], off offset:-16
.LBB99_234:
	s_or_b32 exec_lo, exec_lo, s0
	v_dual_mov_b32 v1, s8 :: v_dual_mov_b32 v2, s9
	s_mov_b32 s0, exec_lo
	flat_load_b32 v1, v[1:2] offset:128
	s_waitcnt vmcnt(0) lgkmcnt(0)
	;; [unrolled: 19-line block ×33, first 2 shown]
	v_cmpx_ne_u32_e32 2, v1
	s_cbranch_execz .LBB99_298
; %bb.297:
	v_lshl_add_u32 v9, v1, 4, 0
	s_clause 0x1
	scratch_load_b128 v[1:4], v122, off
	scratch_load_b128 v[5:8], v9, off offset:-16
	s_waitcnt vmcnt(1)
	ds_store_2addr_b64 v0, v[1:2], v[3:4] offset1:1
	s_waitcnt vmcnt(0)
	s_clause 0x1
	scratch_store_b128 v122, v[5:8], off
	scratch_store_b128 v9, v[1:4], off offset:-16
.LBB99_298:
	s_or_b32 exec_lo, exec_lo, s0
	v_dual_mov_b32 v1, s8 :: v_dual_mov_b32 v2, s9
	s_mov_b32 s0, exec_lo
	flat_load_b32 v1, v[1:2]
	s_waitcnt vmcnt(0) lgkmcnt(0)
	v_cmpx_ne_u32_e32 1, v1
	s_cbranch_execz .LBB99_300
; %bb.299:
	v_lshl_add_u32 v9, v1, 4, 0
	scratch_load_b128 v[1:4], off, off
	scratch_load_b128 v[5:8], v9, off offset:-16
	s_waitcnt vmcnt(1)
	ds_store_2addr_b64 v0, v[1:2], v[3:4] offset1:1
	s_waitcnt vmcnt(0)
	scratch_store_b128 off, v[5:8], off
	scratch_store_b128 v9, v[1:4], off offset:-16
.LBB99_300:
	s_or_b32 exec_lo, exec_lo, s0
.LBB99_301:
	scratch_load_b128 v[0:3], off, off
	s_clause 0x18
	scratch_load_b128 v[4:7], v122, off
	scratch_load_b128 v[8:11], v120, off
	;; [unrolled: 1-line block ×25, first 2 shown]
	s_waitcnt vmcnt(25)
	global_store_b128 v[48:49], v[0:3], off
	s_clause 0x1
	scratch_load_b128 v[0:3], v147, off
	scratch_load_b128 v[146:149], v146, off
	s_waitcnt vmcnt(26)
	global_store_b128 v[46:47], v[4:7], off
	s_clause 0x1
	scratch_load_b128 v[4:7], v145, off
	scratch_load_b128 v[44:47], v144, off
	;; [unrolled: 5-line block ×5, first 2 shown]
	s_waitcnt vmcnt(30)
	global_store_b128 v[56:57], v[20:23], off
	s_waitcnt vmcnt(29)
	global_store_b128 v[58:59], v[24:27], off
	;; [unrolled: 2-line block ×31, first 2 shown]
	s_endpgm
	.section	.rodata,"a",@progbits
	.p2align	6, 0x0
	.amdhsa_kernel _ZN9rocsolver6v33100L18getri_kernel_smallILi36E19rocblas_complex_numIdEPKPS3_EEvT1_iilPiilS8_bb
		.amdhsa_group_segment_fixed_size 2184
		.amdhsa_private_segment_fixed_size 592
		.amdhsa_kernarg_size 60
		.amdhsa_user_sgpr_count 15
		.amdhsa_user_sgpr_dispatch_ptr 1
		.amdhsa_user_sgpr_queue_ptr 0
		.amdhsa_user_sgpr_kernarg_segment_ptr 1
		.amdhsa_user_sgpr_dispatch_id 0
		.amdhsa_user_sgpr_private_segment_size 0
		.amdhsa_wavefront_size32 1
		.amdhsa_uses_dynamic_stack 0
		.amdhsa_enable_private_segment 1
		.amdhsa_system_sgpr_workgroup_id_x 1
		.amdhsa_system_sgpr_workgroup_id_y 0
		.amdhsa_system_sgpr_workgroup_id_z 0
		.amdhsa_system_sgpr_workgroup_info 0
		.amdhsa_system_vgpr_workitem_id 2
		.amdhsa_next_free_vgpr 208
		.amdhsa_next_free_sgpr 43
		.amdhsa_reserve_vcc 1
		.amdhsa_float_round_mode_32 0
		.amdhsa_float_round_mode_16_64 0
		.amdhsa_float_denorm_mode_32 3
		.amdhsa_float_denorm_mode_16_64 3
		.amdhsa_dx10_clamp 1
		.amdhsa_ieee_mode 1
		.amdhsa_fp16_overflow 0
		.amdhsa_workgroup_processor_mode 1
		.amdhsa_memory_ordered 1
		.amdhsa_forward_progress 0
		.amdhsa_shared_vgpr_count 0
		.amdhsa_exception_fp_ieee_invalid_op 0
		.amdhsa_exception_fp_denorm_src 0
		.amdhsa_exception_fp_ieee_div_zero 0
		.amdhsa_exception_fp_ieee_overflow 0
		.amdhsa_exception_fp_ieee_underflow 0
		.amdhsa_exception_fp_ieee_inexact 0
		.amdhsa_exception_int_div_zero 0
	.end_amdhsa_kernel
	.section	.text._ZN9rocsolver6v33100L18getri_kernel_smallILi36E19rocblas_complex_numIdEPKPS3_EEvT1_iilPiilS8_bb,"axG",@progbits,_ZN9rocsolver6v33100L18getri_kernel_smallILi36E19rocblas_complex_numIdEPKPS3_EEvT1_iilPiilS8_bb,comdat
.Lfunc_end99:
	.size	_ZN9rocsolver6v33100L18getri_kernel_smallILi36E19rocblas_complex_numIdEPKPS3_EEvT1_iilPiilS8_bb, .Lfunc_end99-_ZN9rocsolver6v33100L18getri_kernel_smallILi36E19rocblas_complex_numIdEPKPS3_EEvT1_iilPiilS8_bb
                                        ; -- End function
	.section	.AMDGPU.csdata,"",@progbits
; Kernel info:
; codeLenInByte = 65336
; NumSgprs: 45
; NumVgprs: 208
; ScratchSize: 592
; MemoryBound: 0
; FloatMode: 240
; IeeeMode: 1
; LDSByteSize: 2184 bytes/workgroup (compile time only)
; SGPRBlocks: 5
; VGPRBlocks: 25
; NumSGPRsForWavesPerEU: 45
; NumVGPRsForWavesPerEU: 208
; Occupancy: 7
; WaveLimiterHint : 1
; COMPUTE_PGM_RSRC2:SCRATCH_EN: 1
; COMPUTE_PGM_RSRC2:USER_SGPR: 15
; COMPUTE_PGM_RSRC2:TRAP_HANDLER: 0
; COMPUTE_PGM_RSRC2:TGID_X_EN: 1
; COMPUTE_PGM_RSRC2:TGID_Y_EN: 0
; COMPUTE_PGM_RSRC2:TGID_Z_EN: 0
; COMPUTE_PGM_RSRC2:TIDIG_COMP_CNT: 2
	.section	.text._ZN9rocsolver6v33100L18getri_kernel_smallILi37E19rocblas_complex_numIdEPKPS3_EEvT1_iilPiilS8_bb,"axG",@progbits,_ZN9rocsolver6v33100L18getri_kernel_smallILi37E19rocblas_complex_numIdEPKPS3_EEvT1_iilPiilS8_bb,comdat
	.globl	_ZN9rocsolver6v33100L18getri_kernel_smallILi37E19rocblas_complex_numIdEPKPS3_EEvT1_iilPiilS8_bb ; -- Begin function _ZN9rocsolver6v33100L18getri_kernel_smallILi37E19rocblas_complex_numIdEPKPS3_EEvT1_iilPiilS8_bb
	.p2align	8
	.type	_ZN9rocsolver6v33100L18getri_kernel_smallILi37E19rocblas_complex_numIdEPKPS3_EEvT1_iilPiilS8_bb,@function
_ZN9rocsolver6v33100L18getri_kernel_smallILi37E19rocblas_complex_numIdEPKPS3_EEvT1_iilPiilS8_bb: ; @_ZN9rocsolver6v33100L18getri_kernel_smallILi37E19rocblas_complex_numIdEPKPS3_EEvT1_iilPiilS8_bb
; %bb.0:
	v_and_b32_e32 v120, 0x3ff, v0
	s_mov_b32 s4, exec_lo
	s_delay_alu instid0(VALU_DEP_1)
	v_cmpx_gt_u32_e32 37, v120
	s_cbranch_execz .LBB100_162
; %bb.1:
	s_mov_b32 s10, s15
	s_clause 0x2
	s_load_b32 s15, s[2:3], 0x38
	s_load_b64 s[8:9], s[2:3], 0x0
	s_load_b128 s[4:7], s[2:3], 0x28
	s_waitcnt lgkmcnt(0)
	s_bitcmp1_b32 s15, 8
	s_cselect_b32 s14, -1, 0
	s_ashr_i32 s11, s10, 31
	s_delay_alu instid0(SALU_CYCLE_1) | instskip(NEXT) | instid1(SALU_CYCLE_1)
	s_lshl_b64 s[12:13], s[10:11], 3
	s_add_u32 s8, s8, s12
	s_addc_u32 s9, s9, s13
	s_load_b64 s[12:13], s[8:9], 0x0
	s_bfe_u32 s8, s15, 0x10008
	s_delay_alu instid0(SALU_CYCLE_1)
	s_cmp_eq_u32 s8, 0
                                        ; implicit-def: $sgpr8_sgpr9
	s_cbranch_scc1 .LBB100_3
; %bb.2:
	s_clause 0x1
	s_load_b32 s8, s[2:3], 0x20
	s_load_b64 s[16:17], s[2:3], 0x18
	s_mul_i32 s5, s10, s5
	s_mul_hi_u32 s9, s10, s4
	s_mul_i32 s18, s11, s4
	s_add_i32 s5, s9, s5
	s_mul_i32 s4, s10, s4
	s_add_i32 s5, s5, s18
	s_delay_alu instid0(SALU_CYCLE_1)
	s_lshl_b64 s[4:5], s[4:5], 2
	s_waitcnt lgkmcnt(0)
	s_ashr_i32 s9, s8, 31
	s_add_u32 s16, s16, s4
	s_addc_u32 s17, s17, s5
	s_lshl_b64 s[4:5], s[8:9], 2
	s_delay_alu instid0(SALU_CYCLE_1)
	s_add_u32 s8, s16, s4
	s_addc_u32 s9, s17, s5
.LBB100_3:
	s_load_b64 s[2:3], s[2:3], 0x8
	v_lshlrev_b32_e32 v13, 4, v120
	s_movk_i32 s18, 0xc0
	s_movk_i32 s19, 0xd0
	;; [unrolled: 1-line block ×18, first 2 shown]
	s_waitcnt lgkmcnt(0)
	v_add3_u32 v5, s3, s3, v120
	s_ashr_i32 s5, s2, 31
	s_mov_b32 s4, s2
	s_mov_b32 s16, s3
	s_lshl_b64 s[4:5], s[4:5], 4
	v_add_nc_u32_e32 v7, s3, v5
	v_ashrrev_i32_e32 v6, 31, v5
	s_add_u32 s4, s12, s4
	s_addc_u32 s5, s13, s5
	v_add_co_u32 v46, s2, s4, v13
	v_add_nc_u32_e32 v9, s3, v7
	v_ashrrev_i32_e32 v8, 31, v7
	s_ashr_i32 s17, s3, 31
	v_add_co_ci_u32_e64 v47, null, s5, 0, s2
	v_lshlrev_b64 v[5:6], 4, v[5:6]
	s_lshl_b64 s[12:13], s[16:17], 4
	v_add_nc_u32_e32 v16, s3, v9
	v_add_co_u32 v48, vcc_lo, v46, s12
	v_lshlrev_b64 v[14:15], 4, v[7:8]
	v_add_co_ci_u32_e32 v49, vcc_lo, s13, v47, vcc_lo
	v_add_co_u32 v50, vcc_lo, s4, v5
	v_ashrrev_i32_e32 v17, 31, v16
	v_add_nc_u32_e32 v20, s3, v16
	v_ashrrev_i32_e32 v10, 31, v9
	v_add_co_ci_u32_e32 v51, vcc_lo, s5, v6, vcc_lo
	v_add_co_u32 v52, vcc_lo, s4, v14
	v_add_co_ci_u32_e32 v53, vcc_lo, s5, v15, vcc_lo
	v_lshlrev_b64 v[14:15], 4, v[16:17]
	v_add_nc_u32_e32 v16, s3, v20
	v_lshlrev_b64 v[18:19], 4, v[9:10]
	v_ashrrev_i32_e32 v21, 31, v20
	s_clause 0x2
	global_load_b128 v[1:4], v13, s[4:5]
	global_load_b128 v[5:8], v[48:49], off
	global_load_b128 v[9:12], v[50:51], off
	v_add_nc_u32_e32 v38, s3, v16
	v_ashrrev_i32_e32 v17, 31, v16
	v_add_co_u32 v54, vcc_lo, s4, v18
	v_lshlrev_b64 v[26:27], 4, v[20:21]
	v_add_co_ci_u32_e32 v55, vcc_lo, s5, v19, vcc_lo
	v_add_co_u32 v56, vcc_lo, s4, v14
	v_ashrrev_i32_e32 v39, 31, v38
	v_add_co_ci_u32_e32 v57, vcc_lo, s5, v15, vcc_lo
	v_lshlrev_b64 v[28:29], 4, v[16:17]
	v_add_co_u32 v58, vcc_lo, s4, v26
	v_add_co_ci_u32_e32 v59, vcc_lo, s5, v27, vcc_lo
	v_lshlrev_b64 v[26:27], 4, v[38:39]
	s_delay_alu instid0(VALU_DEP_4)
	v_add_co_u32 v60, vcc_lo, s4, v28
	v_add_co_ci_u32_e32 v61, vcc_lo, s5, v29, vcc_lo
	s_clause 0x2
	global_load_b128 v[14:17], v[52:53], off
	global_load_b128 v[18:21], v[54:55], off
	;; [unrolled: 1-line block ×3, first 2 shown]
	v_add_co_u32 v62, vcc_lo, s4, v26
	v_add_co_ci_u32_e32 v63, vcc_lo, s5, v27, vcc_lo
	s_clause 0x2
	global_load_b128 v[26:29], v[58:59], off
	global_load_b128 v[30:33], v[60:61], off
	;; [unrolled: 1-line block ×3, first 2 shown]
	v_add_nc_u32_e32 v38, s3, v38
	s_movk_i32 s2, 0x50
	s_movk_i32 s12, 0x80
	;; [unrolled: 1-line block ×4, first 2 shown]
	v_add_nc_u32_e32 v40, s3, v38
	v_ashrrev_i32_e32 v39, 31, v38
	s_movk_i32 s17, 0xb0
	s_movk_i32 s37, 0x1e0
	;; [unrolled: 1-line block ×3, first 2 shown]
	v_add_nc_u32_e32 v42, s3, v40
	v_ashrrev_i32_e32 v41, 31, v40
	v_lshlrev_b64 v[38:39], 4, v[38:39]
	s_movk_i32 s39, 0x200
	s_movk_i32 s40, 0x210
	v_add_nc_u32_e32 v44, s3, v42
	v_ashrrev_i32_e32 v43, 31, v42
	v_lshlrev_b64 v[40:41], 4, v[40:41]
	v_add_co_u32 v64, vcc_lo, s4, v38
	s_delay_alu instid0(VALU_DEP_4) | instskip(SKIP_3) | instid1(VALU_DEP_4)
	v_add_nc_u32_e32 v70, s3, v44
	v_ashrrev_i32_e32 v45, 31, v44
	v_add_co_ci_u32_e32 v65, vcc_lo, s5, v39, vcc_lo
	v_lshlrev_b64 v[38:39], 4, v[42:43]
	v_add_nc_u32_e32 v74, s3, v70
	v_ashrrev_i32_e32 v71, 31, v70
	v_add_co_u32 v66, vcc_lo, s4, v40
	v_lshlrev_b64 v[72:73], 4, v[44:45]
	s_delay_alu instid0(VALU_DEP_4)
	v_add_nc_u32_e32 v78, s3, v74
	v_add_co_ci_u32_e32 v67, vcc_lo, s5, v41, vcc_lo
	v_add_co_u32 v68, vcc_lo, s4, v38
	v_lshlrev_b64 v[76:77], 4, v[70:71]
	v_add_co_ci_u32_e32 v69, vcc_lo, s5, v39, vcc_lo
	v_add_co_u32 v70, vcc_lo, s4, v72
	v_ashrrev_i32_e32 v79, 31, v78
	v_add_nc_u32_e32 v80, s3, v78
	v_add_co_ci_u32_e32 v71, vcc_lo, s5, v73, vcc_lo
	v_ashrrev_i32_e32 v75, 31, v74
	v_add_co_u32 v72, vcc_lo, s4, v76
	v_add_co_ci_u32_e32 v73, vcc_lo, s5, v77, vcc_lo
	v_lshlrev_b64 v[76:77], 4, v[78:79]
	v_add_nc_u32_e32 v78, s3, v80
	v_lshlrev_b64 v[74:75], 4, v[74:75]
	v_ashrrev_i32_e32 v81, 31, v80
	s_clause 0x3
	global_load_b128 v[38:41], v[64:65], off
	global_load_b128 v[42:45], v[66:67], off
	global_load_b128 v[125:128], v[68:69], off
	global_load_b128 v[129:132], v[70:71], off
	v_add_nc_u32_e32 v82, s3, v78
	v_ashrrev_i32_e32 v79, 31, v78
	v_add_co_u32 v74, vcc_lo, s4, v74
	v_lshlrev_b64 v[80:81], 4, v[80:81]
	s_delay_alu instid0(VALU_DEP_4)
	v_add_nc_u32_e32 v86, s3, v82
	v_add_co_ci_u32_e32 v75, vcc_lo, s5, v75, vcc_lo
	v_add_co_u32 v76, vcc_lo, s4, v76
	v_lshlrev_b64 v[84:85], 4, v[78:79]
	v_add_co_ci_u32_e32 v77, vcc_lo, s5, v77, vcc_lo
	v_add_co_u32 v78, vcc_lo, s4, v80
	v_ashrrev_i32_e32 v87, 31, v86
	v_add_nc_u32_e32 v88, s3, v86
	v_add_co_ci_u32_e32 v79, vcc_lo, s5, v81, vcc_lo
	v_ashrrev_i32_e32 v83, 31, v82
	v_add_co_u32 v80, vcc_lo, s4, v84
	v_add_co_ci_u32_e32 v81, vcc_lo, s5, v85, vcc_lo
	v_lshlrev_b64 v[84:85], 4, v[86:87]
	v_add_nc_u32_e32 v86, s3, v88
	v_lshlrev_b64 v[82:83], 4, v[82:83]
	v_ashrrev_i32_e32 v89, 31, v88
	s_clause 0x3
	global_load_b128 v[153:156], v[72:73], off
	global_load_b128 v[157:160], v[74:75], off
	global_load_b128 v[161:164], v[76:77], off
	global_load_b128 v[165:168], v[78:79], off
	;; [unrolled: 26-line block ×4, first 2 shown]
	v_add_nc_u32_e32 v106, s3, v102
	v_ashrrev_i32_e32 v103, 31, v102
	v_add_co_u32 v98, vcc_lo, s4, v98
	v_lshlrev_b64 v[104:105], 4, v[104:105]
	s_delay_alu instid0(VALU_DEP_4)
	v_add_nc_u32_e32 v110, s3, v106
	v_add_co_ci_u32_e32 v99, vcc_lo, s5, v99, vcc_lo
	v_add_co_u32 v100, vcc_lo, s4, v100
	v_lshlrev_b64 v[108:109], 4, v[102:103]
	v_add_co_ci_u32_e32 v101, vcc_lo, s5, v101, vcc_lo
	v_add_co_u32 v102, vcc_lo, s4, v104
	v_ashrrev_i32_e32 v111, 31, v110
	v_add_nc_u32_e32 v112, s3, v110
	v_add_co_ci_u32_e32 v103, vcc_lo, s5, v105, vcc_lo
	v_add_co_u32 v104, vcc_lo, s4, v108
	v_ashrrev_i32_e32 v107, 31, v106
	v_add_co_ci_u32_e32 v105, vcc_lo, s5, v109, vcc_lo
	v_lshlrev_b64 v[108:109], 4, v[110:111]
	v_add_nc_u32_e32 v110, s3, v112
	s_delay_alu instid0(VALU_DEP_4)
	v_lshlrev_b64 v[106:107], 4, v[106:107]
	v_ashrrev_i32_e32 v113, 31, v112
	s_clause 0x1
	global_load_b128 v[201:204], v[96:97], off
	global_load_b128 v[205:208], v[98:99], off
	s_movk_i32 s41, 0x220
	v_add_nc_u32_e32 v114, s3, v110
	v_ashrrev_i32_e32 v111, 31, v110
	v_add_co_u32 v106, vcc_lo, s4, v106
	v_lshlrev_b64 v[112:113], 4, v[112:113]
	s_delay_alu instid0(VALU_DEP_4)
	v_add_nc_u32_e32 v118, s3, v114
	v_add_co_ci_u32_e32 v107, vcc_lo, s5, v107, vcc_lo
	v_add_co_u32 v108, vcc_lo, s4, v108
	v_lshlrev_b64 v[116:117], 4, v[110:111]
	v_ashrrev_i32_e32 v115, 31, v114
	v_add_nc_u32_e32 v121, s3, v118
	v_add_co_ci_u32_e32 v109, vcc_lo, s5, v109, vcc_lo
	v_add_co_u32 v110, vcc_lo, s4, v112
	v_ashrrev_i32_e32 v119, 31, v118
	v_add_co_ci_u32_e32 v111, vcc_lo, s5, v113, vcc_lo
	v_lshlrev_b64 v[114:115], 4, v[114:115]
	v_add_co_u32 v112, vcc_lo, s4, v116
	v_ashrrev_i32_e32 v122, 31, v121
	v_add_co_ci_u32_e32 v113, vcc_lo, s5, v117, vcc_lo
	v_lshlrev_b64 v[116:117], 4, v[118:119]
	v_add_co_u32 v114, vcc_lo, s4, v114
	s_delay_alu instid0(VALU_DEP_4) | instskip(SKIP_1) | instid1(VALU_DEP_4)
	v_lshlrev_b64 v[118:119], 4, v[121:122]
	v_add_co_ci_u32_e32 v115, vcc_lo, s5, v115, vcc_lo
	v_add_co_u32 v116, vcc_lo, s4, v116
	v_add_co_ci_u32_e32 v117, vcc_lo, s5, v117, vcc_lo
	s_delay_alu instid0(VALU_DEP_4)
	v_add_co_u32 v118, vcc_lo, s4, v118
	v_add_co_ci_u32_e32 v119, vcc_lo, s5, v119, vcc_lo
	s_movk_i32 s4, 0x60
	s_movk_i32 s5, 0x70
	;; [unrolled: 1-line block ×4, first 2 shown]
	v_add_nc_u32_e64 v124, 0, 16
	v_add_nc_u32_e64 v123, 0, 32
	v_add_nc_u32_e64 v122, 0, 48
	v_add_nc_u32_e64 v121, 0, 64
	v_add_nc_u32_e64 v152, s2, 0
	v_add_nc_u32_e64 v151, s4, 0
	v_add_nc_u32_e64 v149, s5, 0
	v_add_nc_u32_e64 v146, s12, 0
	v_add_nc_u32_e64 v148, s13, 0
	v_add_nc_u32_e64 v145, s16, 0
	v_add_nc_u32_e64 v144, s17, 0
	v_add_nc_u32_e64 v141, s18, 0
	v_add_nc_u32_e64 v143, s19, 0
	v_add_nc_u32_e64 v140, s20, 0
	v_add_nc_u32_e64 v138, s21, 0
	v_add_nc_u32_e64 v136, s22, 0
	v_add_nc_u32_e64 v137, s23, 0
	v_add_nc_u32_e64 v135, s24, 0
	v_add_nc_u32_e64 v133, s25, 0
	v_add_nc_u32_e64 v150, s36, 0
	v_add_nc_u32_e64 v147, s37, 0
	v_add_nc_u32_e64 v142, s38, 0
	v_add_nc_u32_e64 v139, s39, 0
	v_add_nc_u32_e64 v134, s40, 0
	s_mov_b32 s3, -1
	s_bitcmp0_b32 s15, 0
	s_waitcnt vmcnt(26)
	scratch_store_b128 off, v[1:4], off
	s_clause 0x1
	global_load_b128 v[1:4], v[100:101], off
	global_load_b128 v[209:212], v[102:103], off
	s_waitcnt vmcnt(27)
	scratch_store_b128 off, v[5:8], off offset:16
	s_waitcnt vmcnt(26)
	scratch_store_b128 off, v[9:12], off offset:32
	s_clause 0x1
	global_load_b128 v[5:8], v[104:105], off
	global_load_b128 v[9:12], v[106:107], off
	s_waitcnt vmcnt(27)
	scratch_store_b128 off, v[14:17], off offset:48
	s_waitcnt vmcnt(26)
	scratch_store_b128 off, v[18:21], off offset:64
	s_clause 0x1
	global_load_b128 v[14:17], v[108:109], off
	global_load_b128 v[18:21], v[110:111], off
	s_waitcnt vmcnt(27)
	scratch_store_b128 off, v[22:25], off offset:80
	global_load_b128 v[22:25], v[112:113], off
	s_waitcnt vmcnt(27)
	scratch_store_b128 off, v[26:29], off offset:96
	global_load_b128 v[26:29], v[114:115], off
	s_waitcnt vmcnt(27)
	scratch_store_b128 off, v[30:33], off offset:112
	s_waitcnt vmcnt(26)
	scratch_store_b128 off, v[34:37], off offset:128
	s_clause 0x1
	global_load_b128 v[30:33], v[116:117], off
	global_load_b128 v[34:37], v[118:119], off
	s_waitcnt vmcnt(27)
	scratch_store_b128 off, v[38:41], off offset:144
	s_waitcnt vmcnt(26)
	scratch_store_b128 off, v[42:45], off offset:160
	;; [unrolled: 2-line block ×4, first 2 shown]
	v_add_nc_u32_e64 v131, s26, 0
	v_add_nc_u32_e64 v130, s27, 0
	;; [unrolled: 1-line block ×8, first 2 shown]
	s_waitcnt vmcnt(23)
	scratch_store_b128 off, v[153:156], off offset:208
	s_waitcnt vmcnt(22)
	scratch_store_b128 off, v[157:160], off offset:224
	v_add_nc_u32_e64 v156, s31, 0
	v_add_nc_u32_e64 v155, s33, 0
	;; [unrolled: 1-line block ×4, first 2 shown]
	s_waitcnt vmcnt(21)
	scratch_store_b128 off, v[161:164], off offset:240
	s_waitcnt vmcnt(20)
	scratch_store_b128 off, v[165:168], off offset:256
	;; [unrolled: 2-line block ×22, first 2 shown]
	s_cbranch_scc1 .LBB100_160
; %bb.4:
	v_cmp_eq_u32_e64 s2, 0, v120
	s_delay_alu instid0(VALU_DEP_1)
	s_and_saveexec_b32 s3, s2
	s_cbranch_execz .LBB100_6
; %bb.5:
	v_mov_b32_e32 v1, 0
	ds_store_b32 v1, v1 offset:1184
.LBB100_6:
	s_or_b32 exec_lo, exec_lo, s3
	s_waitcnt lgkmcnt(0)
	s_waitcnt_vscnt null, 0x0
	s_barrier
	buffer_gl0_inv
	scratch_load_b128 v[1:4], v13, off
	s_waitcnt vmcnt(0)
	v_cmp_eq_f64_e32 vcc_lo, 0, v[1:2]
	v_cmp_eq_f64_e64 s3, 0, v[3:4]
	s_delay_alu instid0(VALU_DEP_1) | instskip(NEXT) | instid1(SALU_CYCLE_1)
	s_and_b32 s3, vcc_lo, s3
	s_and_saveexec_b32 s4, s3
	s_cbranch_execz .LBB100_10
; %bb.7:
	v_mov_b32_e32 v1, 0
	s_mov_b32 s5, 0
	ds_load_b32 v2, v1 offset:1184
	s_waitcnt lgkmcnt(0)
	v_readfirstlane_b32 s3, v2
	v_add_nc_u32_e32 v2, 1, v120
	s_delay_alu instid0(VALU_DEP_2) | instskip(NEXT) | instid1(VALU_DEP_1)
	s_cmp_eq_u32 s3, 0
	v_cmp_gt_i32_e32 vcc_lo, s3, v2
	s_cselect_b32 s12, -1, 0
	s_delay_alu instid0(SALU_CYCLE_1) | instskip(NEXT) | instid1(SALU_CYCLE_1)
	s_or_b32 s12, s12, vcc_lo
	s_and_b32 exec_lo, exec_lo, s12
	s_cbranch_execz .LBB100_10
; %bb.8:
	v_mov_b32_e32 v3, s3
.LBB100_9:                              ; =>This Inner Loop Header: Depth=1
	ds_cmpstore_rtn_b32 v3, v1, v2, v3 offset:1184
	s_waitcnt lgkmcnt(0)
	v_cmp_ne_u32_e32 vcc_lo, 0, v3
	v_cmp_le_i32_e64 s3, v3, v2
	s_delay_alu instid0(VALU_DEP_1) | instskip(NEXT) | instid1(SALU_CYCLE_1)
	s_and_b32 s3, vcc_lo, s3
	s_and_b32 s3, exec_lo, s3
	s_delay_alu instid0(SALU_CYCLE_1) | instskip(NEXT) | instid1(SALU_CYCLE_1)
	s_or_b32 s5, s3, s5
	s_and_not1_b32 exec_lo, exec_lo, s5
	s_cbranch_execnz .LBB100_9
.LBB100_10:
	s_or_b32 exec_lo, exec_lo, s4
	v_mov_b32_e32 v1, 0
	s_barrier
	buffer_gl0_inv
	ds_load_b32 v2, v1 offset:1184
	s_and_saveexec_b32 s3, s2
	s_cbranch_execz .LBB100_12
; %bb.11:
	s_lshl_b64 s[4:5], s[10:11], 2
	s_delay_alu instid0(SALU_CYCLE_1)
	s_add_u32 s4, s6, s4
	s_addc_u32 s5, s7, s5
	s_waitcnt lgkmcnt(0)
	global_store_b32 v1, v2, s[4:5]
.LBB100_12:
	s_or_b32 exec_lo, exec_lo, s3
	s_waitcnt lgkmcnt(0)
	v_cmp_ne_u32_e32 vcc_lo, 0, v2
	s_mov_b32 s3, 0
	s_cbranch_vccnz .LBB100_160
; %bb.13:
	v_add_nc_u32_e32 v14, 0, v13
                                        ; implicit-def: $vgpr9_vgpr10
	scratch_load_b128 v[1:4], v14, off
	s_waitcnt vmcnt(0)
	v_mov_b32_e32 v5, v1
	v_cmp_gt_f64_e32 vcc_lo, 0, v[1:2]
	v_xor_b32_e32 v6, 0x80000000, v2
	v_xor_b32_e32 v7, 0x80000000, v4
	s_delay_alu instid0(VALU_DEP_2) | instskip(SKIP_1) | instid1(VALU_DEP_3)
	v_cndmask_b32_e32 v6, v2, v6, vcc_lo
	v_cmp_gt_f64_e32 vcc_lo, 0, v[3:4]
	v_dual_cndmask_b32 v8, v4, v7 :: v_dual_mov_b32 v7, v3
	s_delay_alu instid0(VALU_DEP_1) | instskip(SKIP_1) | instid1(SALU_CYCLE_1)
	v_cmp_ngt_f64_e32 vcc_lo, v[5:6], v[7:8]
                                        ; implicit-def: $vgpr5_vgpr6
	s_and_saveexec_b32 s3, vcc_lo
	s_xor_b32 s3, exec_lo, s3
	s_cbranch_execz .LBB100_15
; %bb.14:
	v_div_scale_f64 v[5:6], null, v[3:4], v[3:4], v[1:2]
	v_div_scale_f64 v[11:12], vcc_lo, v[1:2], v[3:4], v[1:2]
	s_delay_alu instid0(VALU_DEP_2) | instskip(SKIP_2) | instid1(VALU_DEP_1)
	v_rcp_f64_e32 v[7:8], v[5:6]
	s_waitcnt_depctr 0xfff
	v_fma_f64 v[9:10], -v[5:6], v[7:8], 1.0
	v_fma_f64 v[7:8], v[7:8], v[9:10], v[7:8]
	s_delay_alu instid0(VALU_DEP_1) | instskip(NEXT) | instid1(VALU_DEP_1)
	v_fma_f64 v[9:10], -v[5:6], v[7:8], 1.0
	v_fma_f64 v[7:8], v[7:8], v[9:10], v[7:8]
	s_delay_alu instid0(VALU_DEP_1) | instskip(NEXT) | instid1(VALU_DEP_1)
	v_mul_f64 v[9:10], v[11:12], v[7:8]
	v_fma_f64 v[5:6], -v[5:6], v[9:10], v[11:12]
	s_delay_alu instid0(VALU_DEP_1) | instskip(NEXT) | instid1(VALU_DEP_1)
	v_div_fmas_f64 v[5:6], v[5:6], v[7:8], v[9:10]
	v_div_fixup_f64 v[5:6], v[5:6], v[3:4], v[1:2]
	s_delay_alu instid0(VALU_DEP_1) | instskip(NEXT) | instid1(VALU_DEP_1)
	v_fma_f64 v[1:2], v[1:2], v[5:6], v[3:4]
	v_div_scale_f64 v[3:4], null, v[1:2], v[1:2], 1.0
	v_div_scale_f64 v[11:12], vcc_lo, 1.0, v[1:2], 1.0
	s_delay_alu instid0(VALU_DEP_2) | instskip(SKIP_2) | instid1(VALU_DEP_1)
	v_rcp_f64_e32 v[7:8], v[3:4]
	s_waitcnt_depctr 0xfff
	v_fma_f64 v[9:10], -v[3:4], v[7:8], 1.0
	v_fma_f64 v[7:8], v[7:8], v[9:10], v[7:8]
	s_delay_alu instid0(VALU_DEP_1) | instskip(NEXT) | instid1(VALU_DEP_1)
	v_fma_f64 v[9:10], -v[3:4], v[7:8], 1.0
	v_fma_f64 v[7:8], v[7:8], v[9:10], v[7:8]
	s_delay_alu instid0(VALU_DEP_1) | instskip(NEXT) | instid1(VALU_DEP_1)
	v_mul_f64 v[9:10], v[11:12], v[7:8]
	v_fma_f64 v[3:4], -v[3:4], v[9:10], v[11:12]
	s_delay_alu instid0(VALU_DEP_1) | instskip(NEXT) | instid1(VALU_DEP_1)
	v_div_fmas_f64 v[3:4], v[3:4], v[7:8], v[9:10]
	v_div_fixup_f64 v[7:8], v[3:4], v[1:2], 1.0
                                        ; implicit-def: $vgpr1_vgpr2
	s_delay_alu instid0(VALU_DEP_1) | instskip(SKIP_1) | instid1(VALU_DEP_2)
	v_mul_f64 v[5:6], v[5:6], v[7:8]
	v_xor_b32_e32 v8, 0x80000000, v8
	v_xor_b32_e32 v10, 0x80000000, v6
	s_delay_alu instid0(VALU_DEP_3)
	v_mov_b32_e32 v9, v5
.LBB100_15:
	s_and_not1_saveexec_b32 s3, s3
	s_cbranch_execz .LBB100_17
; %bb.16:
	v_div_scale_f64 v[5:6], null, v[1:2], v[1:2], v[3:4]
	v_div_scale_f64 v[11:12], vcc_lo, v[3:4], v[1:2], v[3:4]
	s_delay_alu instid0(VALU_DEP_2) | instskip(SKIP_2) | instid1(VALU_DEP_1)
	v_rcp_f64_e32 v[7:8], v[5:6]
	s_waitcnt_depctr 0xfff
	v_fma_f64 v[9:10], -v[5:6], v[7:8], 1.0
	v_fma_f64 v[7:8], v[7:8], v[9:10], v[7:8]
	s_delay_alu instid0(VALU_DEP_1) | instskip(NEXT) | instid1(VALU_DEP_1)
	v_fma_f64 v[9:10], -v[5:6], v[7:8], 1.0
	v_fma_f64 v[7:8], v[7:8], v[9:10], v[7:8]
	s_delay_alu instid0(VALU_DEP_1) | instskip(NEXT) | instid1(VALU_DEP_1)
	v_mul_f64 v[9:10], v[11:12], v[7:8]
	v_fma_f64 v[5:6], -v[5:6], v[9:10], v[11:12]
	s_delay_alu instid0(VALU_DEP_1) | instskip(NEXT) | instid1(VALU_DEP_1)
	v_div_fmas_f64 v[5:6], v[5:6], v[7:8], v[9:10]
	v_div_fixup_f64 v[7:8], v[5:6], v[1:2], v[3:4]
	s_delay_alu instid0(VALU_DEP_1) | instskip(NEXT) | instid1(VALU_DEP_1)
	v_fma_f64 v[1:2], v[3:4], v[7:8], v[1:2]
	v_div_scale_f64 v[3:4], null, v[1:2], v[1:2], 1.0
	s_delay_alu instid0(VALU_DEP_1) | instskip(SKIP_2) | instid1(VALU_DEP_1)
	v_rcp_f64_e32 v[5:6], v[3:4]
	s_waitcnt_depctr 0xfff
	v_fma_f64 v[9:10], -v[3:4], v[5:6], 1.0
	v_fma_f64 v[5:6], v[5:6], v[9:10], v[5:6]
	s_delay_alu instid0(VALU_DEP_1) | instskip(NEXT) | instid1(VALU_DEP_1)
	v_fma_f64 v[9:10], -v[3:4], v[5:6], 1.0
	v_fma_f64 v[5:6], v[5:6], v[9:10], v[5:6]
	v_div_scale_f64 v[9:10], vcc_lo, 1.0, v[1:2], 1.0
	s_delay_alu instid0(VALU_DEP_1) | instskip(NEXT) | instid1(VALU_DEP_1)
	v_mul_f64 v[11:12], v[9:10], v[5:6]
	v_fma_f64 v[3:4], -v[3:4], v[11:12], v[9:10]
	s_delay_alu instid0(VALU_DEP_1) | instskip(NEXT) | instid1(VALU_DEP_1)
	v_div_fmas_f64 v[3:4], v[3:4], v[5:6], v[11:12]
	v_div_fixup_f64 v[5:6], v[3:4], v[1:2], 1.0
	s_delay_alu instid0(VALU_DEP_1)
	v_mul_f64 v[7:8], v[7:8], -v[5:6]
	v_xor_b32_e32 v10, 0x80000000, v6
	v_mov_b32_e32 v9, v5
.LBB100_17:
	s_or_b32 exec_lo, exec_lo, s3
	scratch_store_b128 v14, v[5:8], off
	scratch_load_b128 v[1:4], v124, off
	v_xor_b32_e32 v12, 0x80000000, v8
	v_mov_b32_e32 v11, v7
	v_add_nc_u32_e32 v5, 0x250, v13
	ds_store_b128 v13, v[9:12]
	s_waitcnt vmcnt(0)
	ds_store_b128 v13, v[1:4] offset:592
	s_waitcnt lgkmcnt(0)
	s_waitcnt_vscnt null, 0x0
	s_barrier
	buffer_gl0_inv
	s_and_saveexec_b32 s3, s2
	s_cbranch_execz .LBB100_19
; %bb.18:
	scratch_load_b128 v[1:4], v14, off
	ds_load_b128 v[6:9], v5
	v_mov_b32_e32 v10, 0
	ds_load_b128 v[15:18], v10 offset:16
	s_waitcnt vmcnt(0) lgkmcnt(1)
	v_mul_f64 v[10:11], v[6:7], v[3:4]
	v_mul_f64 v[3:4], v[8:9], v[3:4]
	s_delay_alu instid0(VALU_DEP_2) | instskip(NEXT) | instid1(VALU_DEP_2)
	v_fma_f64 v[8:9], v[8:9], v[1:2], v[10:11]
	v_fma_f64 v[1:2], v[6:7], v[1:2], -v[3:4]
	s_delay_alu instid0(VALU_DEP_2) | instskip(NEXT) | instid1(VALU_DEP_2)
	v_add_f64 v[3:4], v[8:9], 0
	v_add_f64 v[1:2], v[1:2], 0
	s_waitcnt lgkmcnt(0)
	s_delay_alu instid0(VALU_DEP_2) | instskip(NEXT) | instid1(VALU_DEP_2)
	v_mul_f64 v[6:7], v[3:4], v[17:18]
	v_mul_f64 v[8:9], v[1:2], v[17:18]
	s_delay_alu instid0(VALU_DEP_2) | instskip(NEXT) | instid1(VALU_DEP_2)
	v_fma_f64 v[1:2], v[1:2], v[15:16], -v[6:7]
	v_fma_f64 v[3:4], v[3:4], v[15:16], v[8:9]
	scratch_store_b128 off, v[1:4], off offset:16
.LBB100_19:
	s_or_b32 exec_lo, exec_lo, s3
	s_waitcnt_vscnt null, 0x0
	s_barrier
	buffer_gl0_inv
	scratch_load_b128 v[1:4], v123, off
	s_mov_b32 s3, exec_lo
	s_waitcnt vmcnt(0)
	ds_store_b128 v5, v[1:4]
	s_waitcnt lgkmcnt(0)
	s_barrier
	buffer_gl0_inv
	v_cmpx_gt_u32_e32 2, v120
	s_cbranch_execz .LBB100_23
; %bb.20:
	scratch_load_b128 v[1:4], v14, off
	ds_load_b128 v[6:9], v5
	s_waitcnt vmcnt(0) lgkmcnt(0)
	v_mul_f64 v[10:11], v[8:9], v[3:4]
	v_mul_f64 v[3:4], v[6:7], v[3:4]
	s_delay_alu instid0(VALU_DEP_2) | instskip(NEXT) | instid1(VALU_DEP_2)
	v_fma_f64 v[6:7], v[6:7], v[1:2], -v[10:11]
	v_fma_f64 v[3:4], v[8:9], v[1:2], v[3:4]
	s_delay_alu instid0(VALU_DEP_2) | instskip(NEXT) | instid1(VALU_DEP_2)
	v_add_f64 v[1:2], v[6:7], 0
	v_add_f64 v[3:4], v[3:4], 0
	s_and_saveexec_b32 s4, s2
	s_cbranch_execz .LBB100_22
; %bb.21:
	scratch_load_b128 v[6:9], off, off offset:16
	v_mov_b32_e32 v10, 0
	ds_load_b128 v[15:18], v10 offset:608
	s_waitcnt vmcnt(0) lgkmcnt(0)
	v_mul_f64 v[10:11], v[15:16], v[8:9]
	v_mul_f64 v[8:9], v[17:18], v[8:9]
	s_delay_alu instid0(VALU_DEP_2) | instskip(NEXT) | instid1(VALU_DEP_2)
	v_fma_f64 v[10:11], v[17:18], v[6:7], v[10:11]
	v_fma_f64 v[6:7], v[15:16], v[6:7], -v[8:9]
	s_delay_alu instid0(VALU_DEP_2) | instskip(NEXT) | instid1(VALU_DEP_2)
	v_add_f64 v[3:4], v[3:4], v[10:11]
	v_add_f64 v[1:2], v[1:2], v[6:7]
.LBB100_22:
	s_or_b32 exec_lo, exec_lo, s4
	v_mov_b32_e32 v6, 0
	ds_load_b128 v[6:9], v6 offset:32
	s_waitcnt lgkmcnt(0)
	v_mul_f64 v[10:11], v[3:4], v[8:9]
	v_mul_f64 v[8:9], v[1:2], v[8:9]
	s_delay_alu instid0(VALU_DEP_2) | instskip(NEXT) | instid1(VALU_DEP_2)
	v_fma_f64 v[1:2], v[1:2], v[6:7], -v[10:11]
	v_fma_f64 v[3:4], v[3:4], v[6:7], v[8:9]
	scratch_store_b128 off, v[1:4], off offset:32
.LBB100_23:
	s_or_b32 exec_lo, exec_lo, s3
	s_waitcnt_vscnt null, 0x0
	s_barrier
	buffer_gl0_inv
	scratch_load_b128 v[1:4], v122, off
	v_add_nc_u32_e32 v6, -1, v120
	s_mov_b32 s2, exec_lo
	s_waitcnt vmcnt(0)
	ds_store_b128 v5, v[1:4]
	s_waitcnt lgkmcnt(0)
	s_barrier
	buffer_gl0_inv
	v_cmpx_gt_u32_e32 3, v120
	s_cbranch_execz .LBB100_27
; %bb.24:
	v_dual_mov_b32 v1, 0 :: v_dual_add_nc_u32 v8, 0x250, v13
	v_dual_mov_b32 v2, 0 :: v_dual_add_nc_u32 v7, -1, v120
	v_or_b32_e32 v9, 8, v14
	s_mov_b32 s3, 0
	s_delay_alu instid0(VALU_DEP_2)
	v_dual_mov_b32 v4, v2 :: v_dual_mov_b32 v3, v1
	.p2align	6
.LBB100_25:                             ; =>This Inner Loop Header: Depth=1
	scratch_load_b128 v[15:18], v9, off offset:-8
	ds_load_b128 v[19:22], v8
	v_add_nc_u32_e32 v7, 1, v7
	v_add_nc_u32_e32 v8, 16, v8
	v_add_nc_u32_e32 v9, 16, v9
	s_delay_alu instid0(VALU_DEP_3) | instskip(SKIP_4) | instid1(VALU_DEP_2)
	v_cmp_lt_u32_e32 vcc_lo, 1, v7
	s_or_b32 s3, vcc_lo, s3
	s_waitcnt vmcnt(0) lgkmcnt(0)
	v_mul_f64 v[10:11], v[21:22], v[17:18]
	v_mul_f64 v[17:18], v[19:20], v[17:18]
	v_fma_f64 v[10:11], v[19:20], v[15:16], -v[10:11]
	s_delay_alu instid0(VALU_DEP_2) | instskip(NEXT) | instid1(VALU_DEP_2)
	v_fma_f64 v[15:16], v[21:22], v[15:16], v[17:18]
	v_add_f64 v[3:4], v[3:4], v[10:11]
	s_delay_alu instid0(VALU_DEP_2)
	v_add_f64 v[1:2], v[1:2], v[15:16]
	s_and_not1_b32 exec_lo, exec_lo, s3
	s_cbranch_execnz .LBB100_25
; %bb.26:
	s_or_b32 exec_lo, exec_lo, s3
	v_mov_b32_e32 v7, 0
	ds_load_b128 v[7:10], v7 offset:48
	s_waitcnt lgkmcnt(0)
	v_mul_f64 v[11:12], v[1:2], v[9:10]
	v_mul_f64 v[15:16], v[3:4], v[9:10]
	s_delay_alu instid0(VALU_DEP_2) | instskip(NEXT) | instid1(VALU_DEP_2)
	v_fma_f64 v[9:10], v[3:4], v[7:8], -v[11:12]
	v_fma_f64 v[11:12], v[1:2], v[7:8], v[15:16]
	scratch_store_b128 off, v[9:12], off offset:48
.LBB100_27:
	s_or_b32 exec_lo, exec_lo, s2
	s_waitcnt_vscnt null, 0x0
	s_barrier
	buffer_gl0_inv
	scratch_load_b128 v[1:4], v121, off
	s_mov_b32 s2, exec_lo
	s_waitcnt vmcnt(0)
	ds_store_b128 v5, v[1:4]
	s_waitcnt lgkmcnt(0)
	s_barrier
	buffer_gl0_inv
	v_cmpx_gt_u32_e32 4, v120
	s_cbranch_execz .LBB100_31
; %bb.28:
	v_dual_mov_b32 v1, 0 :: v_dual_add_nc_u32 v8, 0x250, v13
	v_dual_mov_b32 v2, 0 :: v_dual_add_nc_u32 v7, -1, v120
	v_or_b32_e32 v9, 8, v14
	s_mov_b32 s3, 0
	s_delay_alu instid0(VALU_DEP_2)
	v_dual_mov_b32 v4, v2 :: v_dual_mov_b32 v3, v1
	.p2align	6
.LBB100_29:                             ; =>This Inner Loop Header: Depth=1
	scratch_load_b128 v[15:18], v9, off offset:-8
	ds_load_b128 v[19:22], v8
	v_add_nc_u32_e32 v7, 1, v7
	v_add_nc_u32_e32 v8, 16, v8
	;; [unrolled: 1-line block ×3, first 2 shown]
	s_delay_alu instid0(VALU_DEP_3) | instskip(SKIP_4) | instid1(VALU_DEP_2)
	v_cmp_lt_u32_e32 vcc_lo, 2, v7
	s_or_b32 s3, vcc_lo, s3
	s_waitcnt vmcnt(0) lgkmcnt(0)
	v_mul_f64 v[10:11], v[21:22], v[17:18]
	v_mul_f64 v[17:18], v[19:20], v[17:18]
	v_fma_f64 v[10:11], v[19:20], v[15:16], -v[10:11]
	s_delay_alu instid0(VALU_DEP_2) | instskip(NEXT) | instid1(VALU_DEP_2)
	v_fma_f64 v[15:16], v[21:22], v[15:16], v[17:18]
	v_add_f64 v[3:4], v[3:4], v[10:11]
	s_delay_alu instid0(VALU_DEP_2)
	v_add_f64 v[1:2], v[1:2], v[15:16]
	s_and_not1_b32 exec_lo, exec_lo, s3
	s_cbranch_execnz .LBB100_29
; %bb.30:
	s_or_b32 exec_lo, exec_lo, s3
	v_mov_b32_e32 v7, 0
	ds_load_b128 v[7:10], v7 offset:64
	s_waitcnt lgkmcnt(0)
	v_mul_f64 v[11:12], v[1:2], v[9:10]
	v_mul_f64 v[15:16], v[3:4], v[9:10]
	s_delay_alu instid0(VALU_DEP_2) | instskip(NEXT) | instid1(VALU_DEP_2)
	v_fma_f64 v[9:10], v[3:4], v[7:8], -v[11:12]
	v_fma_f64 v[11:12], v[1:2], v[7:8], v[15:16]
	scratch_store_b128 off, v[9:12], off offset:64
.LBB100_31:
	s_or_b32 exec_lo, exec_lo, s2
	s_waitcnt_vscnt null, 0x0
	s_barrier
	buffer_gl0_inv
	scratch_load_b128 v[1:4], v152, off
	s_mov_b32 s2, exec_lo
	s_waitcnt vmcnt(0)
	ds_store_b128 v5, v[1:4]
	s_waitcnt lgkmcnt(0)
	s_barrier
	buffer_gl0_inv
	v_cmpx_gt_u32_e32 5, v120
	s_cbranch_execz .LBB100_35
; %bb.32:
	v_dual_mov_b32 v1, 0 :: v_dual_add_nc_u32 v8, 0x250, v13
	v_dual_mov_b32 v2, 0 :: v_dual_add_nc_u32 v7, -1, v120
	v_or_b32_e32 v9, 8, v14
	s_mov_b32 s3, 0
	s_delay_alu instid0(VALU_DEP_2)
	v_dual_mov_b32 v4, v2 :: v_dual_mov_b32 v3, v1
	.p2align	6
.LBB100_33:                             ; =>This Inner Loop Header: Depth=1
	scratch_load_b128 v[15:18], v9, off offset:-8
	ds_load_b128 v[19:22], v8
	v_add_nc_u32_e32 v7, 1, v7
	v_add_nc_u32_e32 v8, 16, v8
	;; [unrolled: 1-line block ×3, first 2 shown]
	s_delay_alu instid0(VALU_DEP_3) | instskip(SKIP_4) | instid1(VALU_DEP_2)
	v_cmp_lt_u32_e32 vcc_lo, 3, v7
	s_or_b32 s3, vcc_lo, s3
	s_waitcnt vmcnt(0) lgkmcnt(0)
	v_mul_f64 v[10:11], v[21:22], v[17:18]
	v_mul_f64 v[17:18], v[19:20], v[17:18]
	v_fma_f64 v[10:11], v[19:20], v[15:16], -v[10:11]
	s_delay_alu instid0(VALU_DEP_2) | instskip(NEXT) | instid1(VALU_DEP_2)
	v_fma_f64 v[15:16], v[21:22], v[15:16], v[17:18]
	v_add_f64 v[3:4], v[3:4], v[10:11]
	s_delay_alu instid0(VALU_DEP_2)
	v_add_f64 v[1:2], v[1:2], v[15:16]
	s_and_not1_b32 exec_lo, exec_lo, s3
	s_cbranch_execnz .LBB100_33
; %bb.34:
	s_or_b32 exec_lo, exec_lo, s3
	v_mov_b32_e32 v7, 0
	ds_load_b128 v[7:10], v7 offset:80
	s_waitcnt lgkmcnt(0)
	v_mul_f64 v[11:12], v[1:2], v[9:10]
	v_mul_f64 v[15:16], v[3:4], v[9:10]
	s_delay_alu instid0(VALU_DEP_2) | instskip(NEXT) | instid1(VALU_DEP_2)
	v_fma_f64 v[9:10], v[3:4], v[7:8], -v[11:12]
	v_fma_f64 v[11:12], v[1:2], v[7:8], v[15:16]
	scratch_store_b128 off, v[9:12], off offset:80
.LBB100_35:
	s_or_b32 exec_lo, exec_lo, s2
	s_waitcnt_vscnt null, 0x0
	s_barrier
	buffer_gl0_inv
	scratch_load_b128 v[1:4], v151, off
	s_mov_b32 s2, exec_lo
	s_waitcnt vmcnt(0)
	ds_store_b128 v5, v[1:4]
	s_waitcnt lgkmcnt(0)
	s_barrier
	buffer_gl0_inv
	v_cmpx_gt_u32_e32 6, v120
	s_cbranch_execz .LBB100_39
; %bb.36:
	v_dual_mov_b32 v1, 0 :: v_dual_add_nc_u32 v8, 0x250, v13
	v_dual_mov_b32 v2, 0 :: v_dual_add_nc_u32 v7, -1, v120
	v_or_b32_e32 v9, 8, v14
	s_mov_b32 s3, 0
	s_delay_alu instid0(VALU_DEP_2)
	v_dual_mov_b32 v4, v2 :: v_dual_mov_b32 v3, v1
	.p2align	6
.LBB100_37:                             ; =>This Inner Loop Header: Depth=1
	scratch_load_b128 v[15:18], v9, off offset:-8
	ds_load_b128 v[19:22], v8
	v_add_nc_u32_e32 v7, 1, v7
	v_add_nc_u32_e32 v8, 16, v8
	;; [unrolled: 1-line block ×3, first 2 shown]
	s_delay_alu instid0(VALU_DEP_3) | instskip(SKIP_4) | instid1(VALU_DEP_2)
	v_cmp_lt_u32_e32 vcc_lo, 4, v7
	s_or_b32 s3, vcc_lo, s3
	s_waitcnt vmcnt(0) lgkmcnt(0)
	v_mul_f64 v[10:11], v[21:22], v[17:18]
	v_mul_f64 v[17:18], v[19:20], v[17:18]
	v_fma_f64 v[10:11], v[19:20], v[15:16], -v[10:11]
	s_delay_alu instid0(VALU_DEP_2) | instskip(NEXT) | instid1(VALU_DEP_2)
	v_fma_f64 v[15:16], v[21:22], v[15:16], v[17:18]
	v_add_f64 v[3:4], v[3:4], v[10:11]
	s_delay_alu instid0(VALU_DEP_2)
	v_add_f64 v[1:2], v[1:2], v[15:16]
	s_and_not1_b32 exec_lo, exec_lo, s3
	s_cbranch_execnz .LBB100_37
; %bb.38:
	s_or_b32 exec_lo, exec_lo, s3
	v_mov_b32_e32 v7, 0
	ds_load_b128 v[7:10], v7 offset:96
	s_waitcnt lgkmcnt(0)
	v_mul_f64 v[11:12], v[1:2], v[9:10]
	v_mul_f64 v[15:16], v[3:4], v[9:10]
	s_delay_alu instid0(VALU_DEP_2) | instskip(NEXT) | instid1(VALU_DEP_2)
	v_fma_f64 v[9:10], v[3:4], v[7:8], -v[11:12]
	v_fma_f64 v[11:12], v[1:2], v[7:8], v[15:16]
	scratch_store_b128 off, v[9:12], off offset:96
.LBB100_39:
	s_or_b32 exec_lo, exec_lo, s2
	s_waitcnt_vscnt null, 0x0
	s_barrier
	buffer_gl0_inv
	scratch_load_b128 v[1:4], v149, off
	s_mov_b32 s2, exec_lo
	s_waitcnt vmcnt(0)
	ds_store_b128 v5, v[1:4]
	s_waitcnt lgkmcnt(0)
	s_barrier
	buffer_gl0_inv
	v_cmpx_gt_u32_e32 7, v120
	s_cbranch_execz .LBB100_43
; %bb.40:
	v_dual_mov_b32 v1, 0 :: v_dual_add_nc_u32 v8, 0x250, v13
	v_dual_mov_b32 v2, 0 :: v_dual_add_nc_u32 v7, -1, v120
	v_or_b32_e32 v9, 8, v14
	s_mov_b32 s3, 0
	s_delay_alu instid0(VALU_DEP_2)
	v_dual_mov_b32 v4, v2 :: v_dual_mov_b32 v3, v1
	.p2align	6
.LBB100_41:                             ; =>This Inner Loop Header: Depth=1
	scratch_load_b128 v[15:18], v9, off offset:-8
	ds_load_b128 v[19:22], v8
	v_add_nc_u32_e32 v7, 1, v7
	v_add_nc_u32_e32 v8, 16, v8
	;; [unrolled: 1-line block ×3, first 2 shown]
	s_delay_alu instid0(VALU_DEP_3) | instskip(SKIP_4) | instid1(VALU_DEP_2)
	v_cmp_lt_u32_e32 vcc_lo, 5, v7
	s_or_b32 s3, vcc_lo, s3
	s_waitcnt vmcnt(0) lgkmcnt(0)
	v_mul_f64 v[10:11], v[21:22], v[17:18]
	v_mul_f64 v[17:18], v[19:20], v[17:18]
	v_fma_f64 v[10:11], v[19:20], v[15:16], -v[10:11]
	s_delay_alu instid0(VALU_DEP_2) | instskip(NEXT) | instid1(VALU_DEP_2)
	v_fma_f64 v[15:16], v[21:22], v[15:16], v[17:18]
	v_add_f64 v[3:4], v[3:4], v[10:11]
	s_delay_alu instid0(VALU_DEP_2)
	v_add_f64 v[1:2], v[1:2], v[15:16]
	s_and_not1_b32 exec_lo, exec_lo, s3
	s_cbranch_execnz .LBB100_41
; %bb.42:
	s_or_b32 exec_lo, exec_lo, s3
	v_mov_b32_e32 v7, 0
	ds_load_b128 v[7:10], v7 offset:112
	s_waitcnt lgkmcnt(0)
	v_mul_f64 v[11:12], v[1:2], v[9:10]
	v_mul_f64 v[15:16], v[3:4], v[9:10]
	s_delay_alu instid0(VALU_DEP_2) | instskip(NEXT) | instid1(VALU_DEP_2)
	v_fma_f64 v[9:10], v[3:4], v[7:8], -v[11:12]
	v_fma_f64 v[11:12], v[1:2], v[7:8], v[15:16]
	scratch_store_b128 off, v[9:12], off offset:112
.LBB100_43:
	s_or_b32 exec_lo, exec_lo, s2
	s_waitcnt_vscnt null, 0x0
	s_barrier
	buffer_gl0_inv
	scratch_load_b128 v[1:4], v146, off
	s_mov_b32 s2, exec_lo
	s_waitcnt vmcnt(0)
	ds_store_b128 v5, v[1:4]
	s_waitcnt lgkmcnt(0)
	s_barrier
	buffer_gl0_inv
	v_cmpx_gt_u32_e32 8, v120
	s_cbranch_execz .LBB100_47
; %bb.44:
	v_dual_mov_b32 v1, 0 :: v_dual_add_nc_u32 v8, 0x250, v13
	v_dual_mov_b32 v2, 0 :: v_dual_add_nc_u32 v7, -1, v120
	v_or_b32_e32 v9, 8, v14
	s_mov_b32 s3, 0
	s_delay_alu instid0(VALU_DEP_2)
	v_dual_mov_b32 v4, v2 :: v_dual_mov_b32 v3, v1
	.p2align	6
.LBB100_45:                             ; =>This Inner Loop Header: Depth=1
	scratch_load_b128 v[15:18], v9, off offset:-8
	ds_load_b128 v[19:22], v8
	v_add_nc_u32_e32 v7, 1, v7
	v_add_nc_u32_e32 v8, 16, v8
	;; [unrolled: 1-line block ×3, first 2 shown]
	s_delay_alu instid0(VALU_DEP_3) | instskip(SKIP_4) | instid1(VALU_DEP_2)
	v_cmp_lt_u32_e32 vcc_lo, 6, v7
	s_or_b32 s3, vcc_lo, s3
	s_waitcnt vmcnt(0) lgkmcnt(0)
	v_mul_f64 v[10:11], v[21:22], v[17:18]
	v_mul_f64 v[17:18], v[19:20], v[17:18]
	v_fma_f64 v[10:11], v[19:20], v[15:16], -v[10:11]
	s_delay_alu instid0(VALU_DEP_2) | instskip(NEXT) | instid1(VALU_DEP_2)
	v_fma_f64 v[15:16], v[21:22], v[15:16], v[17:18]
	v_add_f64 v[3:4], v[3:4], v[10:11]
	s_delay_alu instid0(VALU_DEP_2)
	v_add_f64 v[1:2], v[1:2], v[15:16]
	s_and_not1_b32 exec_lo, exec_lo, s3
	s_cbranch_execnz .LBB100_45
; %bb.46:
	s_or_b32 exec_lo, exec_lo, s3
	v_mov_b32_e32 v7, 0
	ds_load_b128 v[7:10], v7 offset:128
	s_waitcnt lgkmcnt(0)
	v_mul_f64 v[11:12], v[1:2], v[9:10]
	v_mul_f64 v[15:16], v[3:4], v[9:10]
	s_delay_alu instid0(VALU_DEP_2) | instskip(NEXT) | instid1(VALU_DEP_2)
	v_fma_f64 v[9:10], v[3:4], v[7:8], -v[11:12]
	v_fma_f64 v[11:12], v[1:2], v[7:8], v[15:16]
	scratch_store_b128 off, v[9:12], off offset:128
.LBB100_47:
	s_or_b32 exec_lo, exec_lo, s2
	s_waitcnt_vscnt null, 0x0
	s_barrier
	buffer_gl0_inv
	scratch_load_b128 v[1:4], v148, off
	s_mov_b32 s2, exec_lo
	s_waitcnt vmcnt(0)
	ds_store_b128 v5, v[1:4]
	s_waitcnt lgkmcnt(0)
	s_barrier
	buffer_gl0_inv
	v_cmpx_gt_u32_e32 9, v120
	s_cbranch_execz .LBB100_51
; %bb.48:
	v_dual_mov_b32 v1, 0 :: v_dual_add_nc_u32 v8, 0x250, v13
	v_dual_mov_b32 v2, 0 :: v_dual_add_nc_u32 v7, -1, v120
	v_or_b32_e32 v9, 8, v14
	s_mov_b32 s3, 0
	s_delay_alu instid0(VALU_DEP_2)
	v_dual_mov_b32 v4, v2 :: v_dual_mov_b32 v3, v1
	.p2align	6
.LBB100_49:                             ; =>This Inner Loop Header: Depth=1
	scratch_load_b128 v[15:18], v9, off offset:-8
	ds_load_b128 v[19:22], v8
	v_add_nc_u32_e32 v7, 1, v7
	v_add_nc_u32_e32 v8, 16, v8
	;; [unrolled: 1-line block ×3, first 2 shown]
	s_delay_alu instid0(VALU_DEP_3) | instskip(SKIP_4) | instid1(VALU_DEP_2)
	v_cmp_lt_u32_e32 vcc_lo, 7, v7
	s_or_b32 s3, vcc_lo, s3
	s_waitcnt vmcnt(0) lgkmcnt(0)
	v_mul_f64 v[10:11], v[21:22], v[17:18]
	v_mul_f64 v[17:18], v[19:20], v[17:18]
	v_fma_f64 v[10:11], v[19:20], v[15:16], -v[10:11]
	s_delay_alu instid0(VALU_DEP_2) | instskip(NEXT) | instid1(VALU_DEP_2)
	v_fma_f64 v[15:16], v[21:22], v[15:16], v[17:18]
	v_add_f64 v[3:4], v[3:4], v[10:11]
	s_delay_alu instid0(VALU_DEP_2)
	v_add_f64 v[1:2], v[1:2], v[15:16]
	s_and_not1_b32 exec_lo, exec_lo, s3
	s_cbranch_execnz .LBB100_49
; %bb.50:
	s_or_b32 exec_lo, exec_lo, s3
	v_mov_b32_e32 v7, 0
	ds_load_b128 v[7:10], v7 offset:144
	s_waitcnt lgkmcnt(0)
	v_mul_f64 v[11:12], v[1:2], v[9:10]
	v_mul_f64 v[15:16], v[3:4], v[9:10]
	s_delay_alu instid0(VALU_DEP_2) | instskip(NEXT) | instid1(VALU_DEP_2)
	v_fma_f64 v[9:10], v[3:4], v[7:8], -v[11:12]
	v_fma_f64 v[11:12], v[1:2], v[7:8], v[15:16]
	scratch_store_b128 off, v[9:12], off offset:144
.LBB100_51:
	s_or_b32 exec_lo, exec_lo, s2
	s_waitcnt_vscnt null, 0x0
	s_barrier
	buffer_gl0_inv
	scratch_load_b128 v[1:4], v145, off
	s_mov_b32 s2, exec_lo
	s_waitcnt vmcnt(0)
	ds_store_b128 v5, v[1:4]
	s_waitcnt lgkmcnt(0)
	s_barrier
	buffer_gl0_inv
	v_cmpx_gt_u32_e32 10, v120
	s_cbranch_execz .LBB100_55
; %bb.52:
	v_dual_mov_b32 v1, 0 :: v_dual_add_nc_u32 v8, 0x250, v13
	v_dual_mov_b32 v2, 0 :: v_dual_add_nc_u32 v7, -1, v120
	v_or_b32_e32 v9, 8, v14
	s_mov_b32 s3, 0
	s_delay_alu instid0(VALU_DEP_2)
	v_dual_mov_b32 v4, v2 :: v_dual_mov_b32 v3, v1
	.p2align	6
.LBB100_53:                             ; =>This Inner Loop Header: Depth=1
	scratch_load_b128 v[15:18], v9, off offset:-8
	ds_load_b128 v[19:22], v8
	v_add_nc_u32_e32 v7, 1, v7
	v_add_nc_u32_e32 v8, 16, v8
	;; [unrolled: 1-line block ×3, first 2 shown]
	s_delay_alu instid0(VALU_DEP_3) | instskip(SKIP_4) | instid1(VALU_DEP_2)
	v_cmp_lt_u32_e32 vcc_lo, 8, v7
	s_or_b32 s3, vcc_lo, s3
	s_waitcnt vmcnt(0) lgkmcnt(0)
	v_mul_f64 v[10:11], v[21:22], v[17:18]
	v_mul_f64 v[17:18], v[19:20], v[17:18]
	v_fma_f64 v[10:11], v[19:20], v[15:16], -v[10:11]
	s_delay_alu instid0(VALU_DEP_2) | instskip(NEXT) | instid1(VALU_DEP_2)
	v_fma_f64 v[15:16], v[21:22], v[15:16], v[17:18]
	v_add_f64 v[3:4], v[3:4], v[10:11]
	s_delay_alu instid0(VALU_DEP_2)
	v_add_f64 v[1:2], v[1:2], v[15:16]
	s_and_not1_b32 exec_lo, exec_lo, s3
	s_cbranch_execnz .LBB100_53
; %bb.54:
	s_or_b32 exec_lo, exec_lo, s3
	v_mov_b32_e32 v7, 0
	ds_load_b128 v[7:10], v7 offset:160
	s_waitcnt lgkmcnt(0)
	v_mul_f64 v[11:12], v[1:2], v[9:10]
	v_mul_f64 v[15:16], v[3:4], v[9:10]
	s_delay_alu instid0(VALU_DEP_2) | instskip(NEXT) | instid1(VALU_DEP_2)
	v_fma_f64 v[9:10], v[3:4], v[7:8], -v[11:12]
	v_fma_f64 v[11:12], v[1:2], v[7:8], v[15:16]
	scratch_store_b128 off, v[9:12], off offset:160
.LBB100_55:
	s_or_b32 exec_lo, exec_lo, s2
	s_waitcnt_vscnt null, 0x0
	s_barrier
	buffer_gl0_inv
	scratch_load_b128 v[1:4], v144, off
	s_mov_b32 s2, exec_lo
	s_waitcnt vmcnt(0)
	ds_store_b128 v5, v[1:4]
	s_waitcnt lgkmcnt(0)
	s_barrier
	buffer_gl0_inv
	v_cmpx_gt_u32_e32 11, v120
	s_cbranch_execz .LBB100_59
; %bb.56:
	v_dual_mov_b32 v1, 0 :: v_dual_add_nc_u32 v8, 0x250, v13
	v_dual_mov_b32 v2, 0 :: v_dual_add_nc_u32 v7, -1, v120
	v_or_b32_e32 v9, 8, v14
	s_mov_b32 s3, 0
	s_delay_alu instid0(VALU_DEP_2)
	v_dual_mov_b32 v4, v2 :: v_dual_mov_b32 v3, v1
	.p2align	6
.LBB100_57:                             ; =>This Inner Loop Header: Depth=1
	scratch_load_b128 v[15:18], v9, off offset:-8
	ds_load_b128 v[19:22], v8
	v_add_nc_u32_e32 v7, 1, v7
	v_add_nc_u32_e32 v8, 16, v8
	;; [unrolled: 1-line block ×3, first 2 shown]
	s_delay_alu instid0(VALU_DEP_3) | instskip(SKIP_4) | instid1(VALU_DEP_2)
	v_cmp_lt_u32_e32 vcc_lo, 9, v7
	s_or_b32 s3, vcc_lo, s3
	s_waitcnt vmcnt(0) lgkmcnt(0)
	v_mul_f64 v[10:11], v[21:22], v[17:18]
	v_mul_f64 v[17:18], v[19:20], v[17:18]
	v_fma_f64 v[10:11], v[19:20], v[15:16], -v[10:11]
	s_delay_alu instid0(VALU_DEP_2) | instskip(NEXT) | instid1(VALU_DEP_2)
	v_fma_f64 v[15:16], v[21:22], v[15:16], v[17:18]
	v_add_f64 v[3:4], v[3:4], v[10:11]
	s_delay_alu instid0(VALU_DEP_2)
	v_add_f64 v[1:2], v[1:2], v[15:16]
	s_and_not1_b32 exec_lo, exec_lo, s3
	s_cbranch_execnz .LBB100_57
; %bb.58:
	s_or_b32 exec_lo, exec_lo, s3
	v_mov_b32_e32 v7, 0
	ds_load_b128 v[7:10], v7 offset:176
	s_waitcnt lgkmcnt(0)
	v_mul_f64 v[11:12], v[1:2], v[9:10]
	v_mul_f64 v[15:16], v[3:4], v[9:10]
	s_delay_alu instid0(VALU_DEP_2) | instskip(NEXT) | instid1(VALU_DEP_2)
	v_fma_f64 v[9:10], v[3:4], v[7:8], -v[11:12]
	v_fma_f64 v[11:12], v[1:2], v[7:8], v[15:16]
	scratch_store_b128 off, v[9:12], off offset:176
.LBB100_59:
	s_or_b32 exec_lo, exec_lo, s2
	s_waitcnt_vscnt null, 0x0
	s_barrier
	buffer_gl0_inv
	scratch_load_b128 v[1:4], v141, off
	s_mov_b32 s2, exec_lo
	s_waitcnt vmcnt(0)
	ds_store_b128 v5, v[1:4]
	s_waitcnt lgkmcnt(0)
	s_barrier
	buffer_gl0_inv
	v_cmpx_gt_u32_e32 12, v120
	s_cbranch_execz .LBB100_63
; %bb.60:
	v_dual_mov_b32 v1, 0 :: v_dual_add_nc_u32 v8, 0x250, v13
	v_dual_mov_b32 v2, 0 :: v_dual_add_nc_u32 v7, -1, v120
	v_or_b32_e32 v9, 8, v14
	s_mov_b32 s3, 0
	s_delay_alu instid0(VALU_DEP_2)
	v_dual_mov_b32 v4, v2 :: v_dual_mov_b32 v3, v1
	.p2align	6
.LBB100_61:                             ; =>This Inner Loop Header: Depth=1
	scratch_load_b128 v[15:18], v9, off offset:-8
	ds_load_b128 v[19:22], v8
	v_add_nc_u32_e32 v7, 1, v7
	v_add_nc_u32_e32 v8, 16, v8
	;; [unrolled: 1-line block ×3, first 2 shown]
	s_delay_alu instid0(VALU_DEP_3) | instskip(SKIP_4) | instid1(VALU_DEP_2)
	v_cmp_lt_u32_e32 vcc_lo, 10, v7
	s_or_b32 s3, vcc_lo, s3
	s_waitcnt vmcnt(0) lgkmcnt(0)
	v_mul_f64 v[10:11], v[21:22], v[17:18]
	v_mul_f64 v[17:18], v[19:20], v[17:18]
	v_fma_f64 v[10:11], v[19:20], v[15:16], -v[10:11]
	s_delay_alu instid0(VALU_DEP_2) | instskip(NEXT) | instid1(VALU_DEP_2)
	v_fma_f64 v[15:16], v[21:22], v[15:16], v[17:18]
	v_add_f64 v[3:4], v[3:4], v[10:11]
	s_delay_alu instid0(VALU_DEP_2)
	v_add_f64 v[1:2], v[1:2], v[15:16]
	s_and_not1_b32 exec_lo, exec_lo, s3
	s_cbranch_execnz .LBB100_61
; %bb.62:
	s_or_b32 exec_lo, exec_lo, s3
	v_mov_b32_e32 v7, 0
	ds_load_b128 v[7:10], v7 offset:192
	s_waitcnt lgkmcnt(0)
	v_mul_f64 v[11:12], v[1:2], v[9:10]
	v_mul_f64 v[15:16], v[3:4], v[9:10]
	s_delay_alu instid0(VALU_DEP_2) | instskip(NEXT) | instid1(VALU_DEP_2)
	v_fma_f64 v[9:10], v[3:4], v[7:8], -v[11:12]
	v_fma_f64 v[11:12], v[1:2], v[7:8], v[15:16]
	scratch_store_b128 off, v[9:12], off offset:192
.LBB100_63:
	s_or_b32 exec_lo, exec_lo, s2
	s_waitcnt_vscnt null, 0x0
	s_barrier
	buffer_gl0_inv
	scratch_load_b128 v[1:4], v143, off
	s_mov_b32 s2, exec_lo
	s_waitcnt vmcnt(0)
	ds_store_b128 v5, v[1:4]
	s_waitcnt lgkmcnt(0)
	s_barrier
	buffer_gl0_inv
	v_cmpx_gt_u32_e32 13, v120
	s_cbranch_execz .LBB100_67
; %bb.64:
	v_dual_mov_b32 v1, 0 :: v_dual_add_nc_u32 v8, 0x250, v13
	v_dual_mov_b32 v2, 0 :: v_dual_add_nc_u32 v7, -1, v120
	v_or_b32_e32 v9, 8, v14
	s_mov_b32 s3, 0
	s_delay_alu instid0(VALU_DEP_2)
	v_dual_mov_b32 v4, v2 :: v_dual_mov_b32 v3, v1
	.p2align	6
.LBB100_65:                             ; =>This Inner Loop Header: Depth=1
	scratch_load_b128 v[15:18], v9, off offset:-8
	ds_load_b128 v[19:22], v8
	v_add_nc_u32_e32 v7, 1, v7
	v_add_nc_u32_e32 v8, 16, v8
	;; [unrolled: 1-line block ×3, first 2 shown]
	s_delay_alu instid0(VALU_DEP_3) | instskip(SKIP_4) | instid1(VALU_DEP_2)
	v_cmp_lt_u32_e32 vcc_lo, 11, v7
	s_or_b32 s3, vcc_lo, s3
	s_waitcnt vmcnt(0) lgkmcnt(0)
	v_mul_f64 v[10:11], v[21:22], v[17:18]
	v_mul_f64 v[17:18], v[19:20], v[17:18]
	v_fma_f64 v[10:11], v[19:20], v[15:16], -v[10:11]
	s_delay_alu instid0(VALU_DEP_2) | instskip(NEXT) | instid1(VALU_DEP_2)
	v_fma_f64 v[15:16], v[21:22], v[15:16], v[17:18]
	v_add_f64 v[3:4], v[3:4], v[10:11]
	s_delay_alu instid0(VALU_DEP_2)
	v_add_f64 v[1:2], v[1:2], v[15:16]
	s_and_not1_b32 exec_lo, exec_lo, s3
	s_cbranch_execnz .LBB100_65
; %bb.66:
	s_or_b32 exec_lo, exec_lo, s3
	v_mov_b32_e32 v7, 0
	ds_load_b128 v[7:10], v7 offset:208
	s_waitcnt lgkmcnt(0)
	v_mul_f64 v[11:12], v[1:2], v[9:10]
	v_mul_f64 v[15:16], v[3:4], v[9:10]
	s_delay_alu instid0(VALU_DEP_2) | instskip(NEXT) | instid1(VALU_DEP_2)
	v_fma_f64 v[9:10], v[3:4], v[7:8], -v[11:12]
	v_fma_f64 v[11:12], v[1:2], v[7:8], v[15:16]
	scratch_store_b128 off, v[9:12], off offset:208
.LBB100_67:
	s_or_b32 exec_lo, exec_lo, s2
	s_waitcnt_vscnt null, 0x0
	s_barrier
	buffer_gl0_inv
	scratch_load_b128 v[1:4], v140, off
	s_mov_b32 s2, exec_lo
	s_waitcnt vmcnt(0)
	ds_store_b128 v5, v[1:4]
	s_waitcnt lgkmcnt(0)
	s_barrier
	buffer_gl0_inv
	v_cmpx_gt_u32_e32 14, v120
	s_cbranch_execz .LBB100_71
; %bb.68:
	v_dual_mov_b32 v1, 0 :: v_dual_add_nc_u32 v8, 0x250, v13
	v_dual_mov_b32 v2, 0 :: v_dual_add_nc_u32 v7, -1, v120
	v_or_b32_e32 v9, 8, v14
	s_mov_b32 s3, 0
	s_delay_alu instid0(VALU_DEP_2)
	v_dual_mov_b32 v4, v2 :: v_dual_mov_b32 v3, v1
	.p2align	6
.LBB100_69:                             ; =>This Inner Loop Header: Depth=1
	scratch_load_b128 v[15:18], v9, off offset:-8
	ds_load_b128 v[19:22], v8
	v_add_nc_u32_e32 v7, 1, v7
	v_add_nc_u32_e32 v8, 16, v8
	;; [unrolled: 1-line block ×3, first 2 shown]
	s_delay_alu instid0(VALU_DEP_3) | instskip(SKIP_4) | instid1(VALU_DEP_2)
	v_cmp_lt_u32_e32 vcc_lo, 12, v7
	s_or_b32 s3, vcc_lo, s3
	s_waitcnt vmcnt(0) lgkmcnt(0)
	v_mul_f64 v[10:11], v[21:22], v[17:18]
	v_mul_f64 v[17:18], v[19:20], v[17:18]
	v_fma_f64 v[10:11], v[19:20], v[15:16], -v[10:11]
	s_delay_alu instid0(VALU_DEP_2) | instskip(NEXT) | instid1(VALU_DEP_2)
	v_fma_f64 v[15:16], v[21:22], v[15:16], v[17:18]
	v_add_f64 v[3:4], v[3:4], v[10:11]
	s_delay_alu instid0(VALU_DEP_2)
	v_add_f64 v[1:2], v[1:2], v[15:16]
	s_and_not1_b32 exec_lo, exec_lo, s3
	s_cbranch_execnz .LBB100_69
; %bb.70:
	s_or_b32 exec_lo, exec_lo, s3
	v_mov_b32_e32 v7, 0
	ds_load_b128 v[7:10], v7 offset:224
	s_waitcnt lgkmcnt(0)
	v_mul_f64 v[11:12], v[1:2], v[9:10]
	v_mul_f64 v[15:16], v[3:4], v[9:10]
	s_delay_alu instid0(VALU_DEP_2) | instskip(NEXT) | instid1(VALU_DEP_2)
	v_fma_f64 v[9:10], v[3:4], v[7:8], -v[11:12]
	v_fma_f64 v[11:12], v[1:2], v[7:8], v[15:16]
	scratch_store_b128 off, v[9:12], off offset:224
.LBB100_71:
	s_or_b32 exec_lo, exec_lo, s2
	s_waitcnt_vscnt null, 0x0
	s_barrier
	buffer_gl0_inv
	scratch_load_b128 v[1:4], v138, off
	s_mov_b32 s2, exec_lo
	s_waitcnt vmcnt(0)
	ds_store_b128 v5, v[1:4]
	s_waitcnt lgkmcnt(0)
	s_barrier
	buffer_gl0_inv
	v_cmpx_gt_u32_e32 15, v120
	s_cbranch_execz .LBB100_75
; %bb.72:
	v_dual_mov_b32 v1, 0 :: v_dual_add_nc_u32 v8, 0x250, v13
	v_dual_mov_b32 v2, 0 :: v_dual_add_nc_u32 v7, -1, v120
	v_or_b32_e32 v9, 8, v14
	s_mov_b32 s3, 0
	s_delay_alu instid0(VALU_DEP_2)
	v_dual_mov_b32 v4, v2 :: v_dual_mov_b32 v3, v1
	.p2align	6
.LBB100_73:                             ; =>This Inner Loop Header: Depth=1
	scratch_load_b128 v[15:18], v9, off offset:-8
	ds_load_b128 v[19:22], v8
	v_add_nc_u32_e32 v7, 1, v7
	v_add_nc_u32_e32 v8, 16, v8
	;; [unrolled: 1-line block ×3, first 2 shown]
	s_delay_alu instid0(VALU_DEP_3) | instskip(SKIP_4) | instid1(VALU_DEP_2)
	v_cmp_lt_u32_e32 vcc_lo, 13, v7
	s_or_b32 s3, vcc_lo, s3
	s_waitcnt vmcnt(0) lgkmcnt(0)
	v_mul_f64 v[10:11], v[21:22], v[17:18]
	v_mul_f64 v[17:18], v[19:20], v[17:18]
	v_fma_f64 v[10:11], v[19:20], v[15:16], -v[10:11]
	s_delay_alu instid0(VALU_DEP_2) | instskip(NEXT) | instid1(VALU_DEP_2)
	v_fma_f64 v[15:16], v[21:22], v[15:16], v[17:18]
	v_add_f64 v[3:4], v[3:4], v[10:11]
	s_delay_alu instid0(VALU_DEP_2)
	v_add_f64 v[1:2], v[1:2], v[15:16]
	s_and_not1_b32 exec_lo, exec_lo, s3
	s_cbranch_execnz .LBB100_73
; %bb.74:
	s_or_b32 exec_lo, exec_lo, s3
	v_mov_b32_e32 v7, 0
	ds_load_b128 v[7:10], v7 offset:240
	s_waitcnt lgkmcnt(0)
	v_mul_f64 v[11:12], v[1:2], v[9:10]
	v_mul_f64 v[15:16], v[3:4], v[9:10]
	s_delay_alu instid0(VALU_DEP_2) | instskip(NEXT) | instid1(VALU_DEP_2)
	v_fma_f64 v[9:10], v[3:4], v[7:8], -v[11:12]
	v_fma_f64 v[11:12], v[1:2], v[7:8], v[15:16]
	scratch_store_b128 off, v[9:12], off offset:240
.LBB100_75:
	s_or_b32 exec_lo, exec_lo, s2
	s_waitcnt_vscnt null, 0x0
	s_barrier
	buffer_gl0_inv
	scratch_load_b128 v[1:4], v136, off
	s_mov_b32 s2, exec_lo
	s_waitcnt vmcnt(0)
	ds_store_b128 v5, v[1:4]
	s_waitcnt lgkmcnt(0)
	s_barrier
	buffer_gl0_inv
	v_cmpx_gt_u32_e32 16, v120
	s_cbranch_execz .LBB100_79
; %bb.76:
	v_dual_mov_b32 v1, 0 :: v_dual_add_nc_u32 v8, 0x250, v13
	v_dual_mov_b32 v2, 0 :: v_dual_add_nc_u32 v7, -1, v120
	v_or_b32_e32 v9, 8, v14
	s_mov_b32 s3, 0
	s_delay_alu instid0(VALU_DEP_2)
	v_dual_mov_b32 v4, v2 :: v_dual_mov_b32 v3, v1
	.p2align	6
.LBB100_77:                             ; =>This Inner Loop Header: Depth=1
	scratch_load_b128 v[15:18], v9, off offset:-8
	ds_load_b128 v[19:22], v8
	v_add_nc_u32_e32 v7, 1, v7
	v_add_nc_u32_e32 v8, 16, v8
	v_add_nc_u32_e32 v9, 16, v9
	s_delay_alu instid0(VALU_DEP_3) | instskip(SKIP_4) | instid1(VALU_DEP_2)
	v_cmp_lt_u32_e32 vcc_lo, 14, v7
	s_or_b32 s3, vcc_lo, s3
	s_waitcnt vmcnt(0) lgkmcnt(0)
	v_mul_f64 v[10:11], v[21:22], v[17:18]
	v_mul_f64 v[17:18], v[19:20], v[17:18]
	v_fma_f64 v[10:11], v[19:20], v[15:16], -v[10:11]
	s_delay_alu instid0(VALU_DEP_2) | instskip(NEXT) | instid1(VALU_DEP_2)
	v_fma_f64 v[15:16], v[21:22], v[15:16], v[17:18]
	v_add_f64 v[3:4], v[3:4], v[10:11]
	s_delay_alu instid0(VALU_DEP_2)
	v_add_f64 v[1:2], v[1:2], v[15:16]
	s_and_not1_b32 exec_lo, exec_lo, s3
	s_cbranch_execnz .LBB100_77
; %bb.78:
	s_or_b32 exec_lo, exec_lo, s3
	v_mov_b32_e32 v7, 0
	ds_load_b128 v[7:10], v7 offset:256
	s_waitcnt lgkmcnt(0)
	v_mul_f64 v[11:12], v[1:2], v[9:10]
	v_mul_f64 v[15:16], v[3:4], v[9:10]
	s_delay_alu instid0(VALU_DEP_2) | instskip(NEXT) | instid1(VALU_DEP_2)
	v_fma_f64 v[9:10], v[3:4], v[7:8], -v[11:12]
	v_fma_f64 v[11:12], v[1:2], v[7:8], v[15:16]
	scratch_store_b128 off, v[9:12], off offset:256
.LBB100_79:
	s_or_b32 exec_lo, exec_lo, s2
	s_waitcnt_vscnt null, 0x0
	s_barrier
	buffer_gl0_inv
	scratch_load_b128 v[1:4], v137, off
	s_mov_b32 s2, exec_lo
	s_waitcnt vmcnt(0)
	ds_store_b128 v5, v[1:4]
	s_waitcnt lgkmcnt(0)
	s_barrier
	buffer_gl0_inv
	v_cmpx_gt_u32_e32 17, v120
	s_cbranch_execz .LBB100_83
; %bb.80:
	v_dual_mov_b32 v1, 0 :: v_dual_add_nc_u32 v8, 0x250, v13
	v_dual_mov_b32 v2, 0 :: v_dual_add_nc_u32 v7, -1, v120
	v_or_b32_e32 v9, 8, v14
	s_mov_b32 s3, 0
	s_delay_alu instid0(VALU_DEP_2)
	v_dual_mov_b32 v4, v2 :: v_dual_mov_b32 v3, v1
	.p2align	6
.LBB100_81:                             ; =>This Inner Loop Header: Depth=1
	scratch_load_b128 v[15:18], v9, off offset:-8
	ds_load_b128 v[19:22], v8
	v_add_nc_u32_e32 v7, 1, v7
	v_add_nc_u32_e32 v8, 16, v8
	;; [unrolled: 1-line block ×3, first 2 shown]
	s_delay_alu instid0(VALU_DEP_3) | instskip(SKIP_4) | instid1(VALU_DEP_2)
	v_cmp_lt_u32_e32 vcc_lo, 15, v7
	s_or_b32 s3, vcc_lo, s3
	s_waitcnt vmcnt(0) lgkmcnt(0)
	v_mul_f64 v[10:11], v[21:22], v[17:18]
	v_mul_f64 v[17:18], v[19:20], v[17:18]
	v_fma_f64 v[10:11], v[19:20], v[15:16], -v[10:11]
	s_delay_alu instid0(VALU_DEP_2) | instskip(NEXT) | instid1(VALU_DEP_2)
	v_fma_f64 v[15:16], v[21:22], v[15:16], v[17:18]
	v_add_f64 v[3:4], v[3:4], v[10:11]
	s_delay_alu instid0(VALU_DEP_2)
	v_add_f64 v[1:2], v[1:2], v[15:16]
	s_and_not1_b32 exec_lo, exec_lo, s3
	s_cbranch_execnz .LBB100_81
; %bb.82:
	s_or_b32 exec_lo, exec_lo, s3
	v_mov_b32_e32 v7, 0
	ds_load_b128 v[7:10], v7 offset:272
	s_waitcnt lgkmcnt(0)
	v_mul_f64 v[11:12], v[1:2], v[9:10]
	v_mul_f64 v[15:16], v[3:4], v[9:10]
	s_delay_alu instid0(VALU_DEP_2) | instskip(NEXT) | instid1(VALU_DEP_2)
	v_fma_f64 v[9:10], v[3:4], v[7:8], -v[11:12]
	v_fma_f64 v[11:12], v[1:2], v[7:8], v[15:16]
	scratch_store_b128 off, v[9:12], off offset:272
.LBB100_83:
	s_or_b32 exec_lo, exec_lo, s2
	s_waitcnt_vscnt null, 0x0
	s_barrier
	buffer_gl0_inv
	scratch_load_b128 v[1:4], v135, off
	s_mov_b32 s2, exec_lo
	s_waitcnt vmcnt(0)
	ds_store_b128 v5, v[1:4]
	s_waitcnt lgkmcnt(0)
	s_barrier
	buffer_gl0_inv
	v_cmpx_gt_u32_e32 18, v120
	s_cbranch_execz .LBB100_87
; %bb.84:
	v_dual_mov_b32 v1, 0 :: v_dual_add_nc_u32 v8, 0x250, v13
	v_dual_mov_b32 v2, 0 :: v_dual_add_nc_u32 v7, -1, v120
	v_or_b32_e32 v9, 8, v14
	s_mov_b32 s3, 0
	s_delay_alu instid0(VALU_DEP_2)
	v_dual_mov_b32 v4, v2 :: v_dual_mov_b32 v3, v1
	.p2align	6
.LBB100_85:                             ; =>This Inner Loop Header: Depth=1
	scratch_load_b128 v[15:18], v9, off offset:-8
	ds_load_b128 v[19:22], v8
	v_add_nc_u32_e32 v7, 1, v7
	v_add_nc_u32_e32 v8, 16, v8
	;; [unrolled: 1-line block ×3, first 2 shown]
	s_delay_alu instid0(VALU_DEP_3) | instskip(SKIP_4) | instid1(VALU_DEP_2)
	v_cmp_lt_u32_e32 vcc_lo, 16, v7
	s_or_b32 s3, vcc_lo, s3
	s_waitcnt vmcnt(0) lgkmcnt(0)
	v_mul_f64 v[10:11], v[21:22], v[17:18]
	v_mul_f64 v[17:18], v[19:20], v[17:18]
	v_fma_f64 v[10:11], v[19:20], v[15:16], -v[10:11]
	s_delay_alu instid0(VALU_DEP_2) | instskip(NEXT) | instid1(VALU_DEP_2)
	v_fma_f64 v[15:16], v[21:22], v[15:16], v[17:18]
	v_add_f64 v[3:4], v[3:4], v[10:11]
	s_delay_alu instid0(VALU_DEP_2)
	v_add_f64 v[1:2], v[1:2], v[15:16]
	s_and_not1_b32 exec_lo, exec_lo, s3
	s_cbranch_execnz .LBB100_85
; %bb.86:
	s_or_b32 exec_lo, exec_lo, s3
	v_mov_b32_e32 v7, 0
	ds_load_b128 v[7:10], v7 offset:288
	s_waitcnt lgkmcnt(0)
	v_mul_f64 v[11:12], v[1:2], v[9:10]
	v_mul_f64 v[15:16], v[3:4], v[9:10]
	s_delay_alu instid0(VALU_DEP_2) | instskip(NEXT) | instid1(VALU_DEP_2)
	v_fma_f64 v[9:10], v[3:4], v[7:8], -v[11:12]
	v_fma_f64 v[11:12], v[1:2], v[7:8], v[15:16]
	scratch_store_b128 off, v[9:12], off offset:288
.LBB100_87:
	s_or_b32 exec_lo, exec_lo, s2
	s_waitcnt_vscnt null, 0x0
	s_barrier
	buffer_gl0_inv
	scratch_load_b128 v[1:4], v133, off
	s_mov_b32 s2, exec_lo
	s_waitcnt vmcnt(0)
	ds_store_b128 v5, v[1:4]
	s_waitcnt lgkmcnt(0)
	s_barrier
	buffer_gl0_inv
	v_cmpx_gt_u32_e32 19, v120
	s_cbranch_execz .LBB100_91
; %bb.88:
	v_dual_mov_b32 v1, 0 :: v_dual_add_nc_u32 v8, 0x250, v13
	v_dual_mov_b32 v2, 0 :: v_dual_add_nc_u32 v7, -1, v120
	v_or_b32_e32 v9, 8, v14
	s_mov_b32 s3, 0
	s_delay_alu instid0(VALU_DEP_2)
	v_dual_mov_b32 v4, v2 :: v_dual_mov_b32 v3, v1
	.p2align	6
.LBB100_89:                             ; =>This Inner Loop Header: Depth=1
	scratch_load_b128 v[15:18], v9, off offset:-8
	ds_load_b128 v[19:22], v8
	v_add_nc_u32_e32 v7, 1, v7
	v_add_nc_u32_e32 v8, 16, v8
	;; [unrolled: 1-line block ×3, first 2 shown]
	s_delay_alu instid0(VALU_DEP_3) | instskip(SKIP_4) | instid1(VALU_DEP_2)
	v_cmp_lt_u32_e32 vcc_lo, 17, v7
	s_or_b32 s3, vcc_lo, s3
	s_waitcnt vmcnt(0) lgkmcnt(0)
	v_mul_f64 v[10:11], v[21:22], v[17:18]
	v_mul_f64 v[17:18], v[19:20], v[17:18]
	v_fma_f64 v[10:11], v[19:20], v[15:16], -v[10:11]
	s_delay_alu instid0(VALU_DEP_2) | instskip(NEXT) | instid1(VALU_DEP_2)
	v_fma_f64 v[15:16], v[21:22], v[15:16], v[17:18]
	v_add_f64 v[3:4], v[3:4], v[10:11]
	s_delay_alu instid0(VALU_DEP_2)
	v_add_f64 v[1:2], v[1:2], v[15:16]
	s_and_not1_b32 exec_lo, exec_lo, s3
	s_cbranch_execnz .LBB100_89
; %bb.90:
	s_or_b32 exec_lo, exec_lo, s3
	v_mov_b32_e32 v7, 0
	ds_load_b128 v[7:10], v7 offset:304
	s_waitcnt lgkmcnt(0)
	v_mul_f64 v[11:12], v[1:2], v[9:10]
	v_mul_f64 v[15:16], v[3:4], v[9:10]
	s_delay_alu instid0(VALU_DEP_2) | instskip(NEXT) | instid1(VALU_DEP_2)
	v_fma_f64 v[9:10], v[3:4], v[7:8], -v[11:12]
	v_fma_f64 v[11:12], v[1:2], v[7:8], v[15:16]
	scratch_store_b128 off, v[9:12], off offset:304
.LBB100_91:
	s_or_b32 exec_lo, exec_lo, s2
	s_waitcnt_vscnt null, 0x0
	s_barrier
	buffer_gl0_inv
	scratch_load_b128 v[1:4], v131, off
	s_mov_b32 s2, exec_lo
	s_waitcnt vmcnt(0)
	ds_store_b128 v5, v[1:4]
	s_waitcnt lgkmcnt(0)
	s_barrier
	buffer_gl0_inv
	v_cmpx_gt_u32_e32 20, v120
	s_cbranch_execz .LBB100_95
; %bb.92:
	v_dual_mov_b32 v1, 0 :: v_dual_add_nc_u32 v8, 0x250, v13
	v_dual_mov_b32 v2, 0 :: v_dual_add_nc_u32 v7, -1, v120
	v_or_b32_e32 v9, 8, v14
	s_mov_b32 s3, 0
	s_delay_alu instid0(VALU_DEP_2)
	v_dual_mov_b32 v4, v2 :: v_dual_mov_b32 v3, v1
	.p2align	6
.LBB100_93:                             ; =>This Inner Loop Header: Depth=1
	scratch_load_b128 v[15:18], v9, off offset:-8
	ds_load_b128 v[19:22], v8
	v_add_nc_u32_e32 v7, 1, v7
	v_add_nc_u32_e32 v8, 16, v8
	;; [unrolled: 1-line block ×3, first 2 shown]
	s_delay_alu instid0(VALU_DEP_3) | instskip(SKIP_4) | instid1(VALU_DEP_2)
	v_cmp_lt_u32_e32 vcc_lo, 18, v7
	s_or_b32 s3, vcc_lo, s3
	s_waitcnt vmcnt(0) lgkmcnt(0)
	v_mul_f64 v[10:11], v[21:22], v[17:18]
	v_mul_f64 v[17:18], v[19:20], v[17:18]
	v_fma_f64 v[10:11], v[19:20], v[15:16], -v[10:11]
	s_delay_alu instid0(VALU_DEP_2) | instskip(NEXT) | instid1(VALU_DEP_2)
	v_fma_f64 v[15:16], v[21:22], v[15:16], v[17:18]
	v_add_f64 v[3:4], v[3:4], v[10:11]
	s_delay_alu instid0(VALU_DEP_2)
	v_add_f64 v[1:2], v[1:2], v[15:16]
	s_and_not1_b32 exec_lo, exec_lo, s3
	s_cbranch_execnz .LBB100_93
; %bb.94:
	s_or_b32 exec_lo, exec_lo, s3
	v_mov_b32_e32 v7, 0
	ds_load_b128 v[7:10], v7 offset:320
	s_waitcnt lgkmcnt(0)
	v_mul_f64 v[11:12], v[1:2], v[9:10]
	v_mul_f64 v[15:16], v[3:4], v[9:10]
	s_delay_alu instid0(VALU_DEP_2) | instskip(NEXT) | instid1(VALU_DEP_2)
	v_fma_f64 v[9:10], v[3:4], v[7:8], -v[11:12]
	v_fma_f64 v[11:12], v[1:2], v[7:8], v[15:16]
	scratch_store_b128 off, v[9:12], off offset:320
.LBB100_95:
	s_or_b32 exec_lo, exec_lo, s2
	s_waitcnt_vscnt null, 0x0
	s_barrier
	buffer_gl0_inv
	scratch_load_b128 v[1:4], v130, off
	s_mov_b32 s2, exec_lo
	s_waitcnt vmcnt(0)
	ds_store_b128 v5, v[1:4]
	s_waitcnt lgkmcnt(0)
	s_barrier
	buffer_gl0_inv
	v_cmpx_gt_u32_e32 21, v120
	s_cbranch_execz .LBB100_99
; %bb.96:
	v_dual_mov_b32 v1, 0 :: v_dual_add_nc_u32 v8, 0x250, v13
	v_dual_mov_b32 v2, 0 :: v_dual_add_nc_u32 v7, -1, v120
	v_or_b32_e32 v9, 8, v14
	s_mov_b32 s3, 0
	s_delay_alu instid0(VALU_DEP_2)
	v_dual_mov_b32 v4, v2 :: v_dual_mov_b32 v3, v1
	.p2align	6
.LBB100_97:                             ; =>This Inner Loop Header: Depth=1
	scratch_load_b128 v[15:18], v9, off offset:-8
	ds_load_b128 v[19:22], v8
	v_add_nc_u32_e32 v7, 1, v7
	v_add_nc_u32_e32 v8, 16, v8
	v_add_nc_u32_e32 v9, 16, v9
	s_delay_alu instid0(VALU_DEP_3) | instskip(SKIP_4) | instid1(VALU_DEP_2)
	v_cmp_lt_u32_e32 vcc_lo, 19, v7
	s_or_b32 s3, vcc_lo, s3
	s_waitcnt vmcnt(0) lgkmcnt(0)
	v_mul_f64 v[10:11], v[21:22], v[17:18]
	v_mul_f64 v[17:18], v[19:20], v[17:18]
	v_fma_f64 v[10:11], v[19:20], v[15:16], -v[10:11]
	s_delay_alu instid0(VALU_DEP_2) | instskip(NEXT) | instid1(VALU_DEP_2)
	v_fma_f64 v[15:16], v[21:22], v[15:16], v[17:18]
	v_add_f64 v[3:4], v[3:4], v[10:11]
	s_delay_alu instid0(VALU_DEP_2)
	v_add_f64 v[1:2], v[1:2], v[15:16]
	s_and_not1_b32 exec_lo, exec_lo, s3
	s_cbranch_execnz .LBB100_97
; %bb.98:
	s_or_b32 exec_lo, exec_lo, s3
	v_mov_b32_e32 v7, 0
	ds_load_b128 v[7:10], v7 offset:336
	s_waitcnt lgkmcnt(0)
	v_mul_f64 v[11:12], v[1:2], v[9:10]
	v_mul_f64 v[15:16], v[3:4], v[9:10]
	s_delay_alu instid0(VALU_DEP_2) | instskip(NEXT) | instid1(VALU_DEP_2)
	v_fma_f64 v[9:10], v[3:4], v[7:8], -v[11:12]
	v_fma_f64 v[11:12], v[1:2], v[7:8], v[15:16]
	scratch_store_b128 off, v[9:12], off offset:336
.LBB100_99:
	s_or_b32 exec_lo, exec_lo, s2
	s_waitcnt_vscnt null, 0x0
	s_barrier
	buffer_gl0_inv
	scratch_load_b128 v[1:4], v129, off
	s_mov_b32 s2, exec_lo
	s_waitcnt vmcnt(0)
	ds_store_b128 v5, v[1:4]
	s_waitcnt lgkmcnt(0)
	s_barrier
	buffer_gl0_inv
	v_cmpx_gt_u32_e32 22, v120
	s_cbranch_execz .LBB100_103
; %bb.100:
	v_dual_mov_b32 v1, 0 :: v_dual_add_nc_u32 v8, 0x250, v13
	v_dual_mov_b32 v2, 0 :: v_dual_add_nc_u32 v7, -1, v120
	v_or_b32_e32 v9, 8, v14
	s_mov_b32 s3, 0
	s_delay_alu instid0(VALU_DEP_2)
	v_dual_mov_b32 v4, v2 :: v_dual_mov_b32 v3, v1
	.p2align	6
.LBB100_101:                            ; =>This Inner Loop Header: Depth=1
	scratch_load_b128 v[15:18], v9, off offset:-8
	ds_load_b128 v[19:22], v8
	v_add_nc_u32_e32 v7, 1, v7
	v_add_nc_u32_e32 v8, 16, v8
	;; [unrolled: 1-line block ×3, first 2 shown]
	s_delay_alu instid0(VALU_DEP_3) | instskip(SKIP_4) | instid1(VALU_DEP_2)
	v_cmp_lt_u32_e32 vcc_lo, 20, v7
	s_or_b32 s3, vcc_lo, s3
	s_waitcnt vmcnt(0) lgkmcnt(0)
	v_mul_f64 v[10:11], v[21:22], v[17:18]
	v_mul_f64 v[17:18], v[19:20], v[17:18]
	v_fma_f64 v[10:11], v[19:20], v[15:16], -v[10:11]
	s_delay_alu instid0(VALU_DEP_2) | instskip(NEXT) | instid1(VALU_DEP_2)
	v_fma_f64 v[15:16], v[21:22], v[15:16], v[17:18]
	v_add_f64 v[3:4], v[3:4], v[10:11]
	s_delay_alu instid0(VALU_DEP_2)
	v_add_f64 v[1:2], v[1:2], v[15:16]
	s_and_not1_b32 exec_lo, exec_lo, s3
	s_cbranch_execnz .LBB100_101
; %bb.102:
	s_or_b32 exec_lo, exec_lo, s3
	v_mov_b32_e32 v7, 0
	ds_load_b128 v[7:10], v7 offset:352
	s_waitcnt lgkmcnt(0)
	v_mul_f64 v[11:12], v[1:2], v[9:10]
	v_mul_f64 v[15:16], v[3:4], v[9:10]
	s_delay_alu instid0(VALU_DEP_2) | instskip(NEXT) | instid1(VALU_DEP_2)
	v_fma_f64 v[9:10], v[3:4], v[7:8], -v[11:12]
	v_fma_f64 v[11:12], v[1:2], v[7:8], v[15:16]
	scratch_store_b128 off, v[9:12], off offset:352
.LBB100_103:
	s_or_b32 exec_lo, exec_lo, s2
	s_waitcnt_vscnt null, 0x0
	s_barrier
	buffer_gl0_inv
	scratch_load_b128 v[1:4], v127, off
	s_mov_b32 s2, exec_lo
	s_waitcnt vmcnt(0)
	ds_store_b128 v5, v[1:4]
	s_waitcnt lgkmcnt(0)
	s_barrier
	buffer_gl0_inv
	v_cmpx_gt_u32_e32 23, v120
	s_cbranch_execz .LBB100_107
; %bb.104:
	v_dual_mov_b32 v1, 0 :: v_dual_add_nc_u32 v8, 0x250, v13
	v_dual_mov_b32 v2, 0 :: v_dual_add_nc_u32 v7, -1, v120
	v_or_b32_e32 v9, 8, v14
	s_mov_b32 s3, 0
	s_delay_alu instid0(VALU_DEP_2)
	v_dual_mov_b32 v4, v2 :: v_dual_mov_b32 v3, v1
	.p2align	6
.LBB100_105:                            ; =>This Inner Loop Header: Depth=1
	scratch_load_b128 v[15:18], v9, off offset:-8
	ds_load_b128 v[19:22], v8
	v_add_nc_u32_e32 v7, 1, v7
	v_add_nc_u32_e32 v8, 16, v8
	;; [unrolled: 1-line block ×3, first 2 shown]
	s_delay_alu instid0(VALU_DEP_3) | instskip(SKIP_4) | instid1(VALU_DEP_2)
	v_cmp_lt_u32_e32 vcc_lo, 21, v7
	s_or_b32 s3, vcc_lo, s3
	s_waitcnt vmcnt(0) lgkmcnt(0)
	v_mul_f64 v[10:11], v[21:22], v[17:18]
	v_mul_f64 v[17:18], v[19:20], v[17:18]
	v_fma_f64 v[10:11], v[19:20], v[15:16], -v[10:11]
	s_delay_alu instid0(VALU_DEP_2) | instskip(NEXT) | instid1(VALU_DEP_2)
	v_fma_f64 v[15:16], v[21:22], v[15:16], v[17:18]
	v_add_f64 v[3:4], v[3:4], v[10:11]
	s_delay_alu instid0(VALU_DEP_2)
	v_add_f64 v[1:2], v[1:2], v[15:16]
	s_and_not1_b32 exec_lo, exec_lo, s3
	s_cbranch_execnz .LBB100_105
; %bb.106:
	s_or_b32 exec_lo, exec_lo, s3
	v_mov_b32_e32 v7, 0
	ds_load_b128 v[7:10], v7 offset:368
	s_waitcnt lgkmcnt(0)
	v_mul_f64 v[11:12], v[1:2], v[9:10]
	v_mul_f64 v[15:16], v[3:4], v[9:10]
	s_delay_alu instid0(VALU_DEP_2) | instskip(NEXT) | instid1(VALU_DEP_2)
	v_fma_f64 v[9:10], v[3:4], v[7:8], -v[11:12]
	v_fma_f64 v[11:12], v[1:2], v[7:8], v[15:16]
	scratch_store_b128 off, v[9:12], off offset:368
.LBB100_107:
	s_or_b32 exec_lo, exec_lo, s2
	s_waitcnt_vscnt null, 0x0
	s_barrier
	buffer_gl0_inv
	scratch_load_b128 v[1:4], v125, off
	s_mov_b32 s2, exec_lo
	s_waitcnt vmcnt(0)
	ds_store_b128 v5, v[1:4]
	s_waitcnt lgkmcnt(0)
	s_barrier
	buffer_gl0_inv
	v_cmpx_gt_u32_e32 24, v120
	s_cbranch_execz .LBB100_111
; %bb.108:
	v_dual_mov_b32 v1, 0 :: v_dual_add_nc_u32 v8, 0x250, v13
	v_dual_mov_b32 v2, 0 :: v_dual_add_nc_u32 v7, -1, v120
	v_or_b32_e32 v9, 8, v14
	s_mov_b32 s3, 0
	s_delay_alu instid0(VALU_DEP_2)
	v_dual_mov_b32 v4, v2 :: v_dual_mov_b32 v3, v1
	.p2align	6
.LBB100_109:                            ; =>This Inner Loop Header: Depth=1
	scratch_load_b128 v[15:18], v9, off offset:-8
	ds_load_b128 v[19:22], v8
	v_add_nc_u32_e32 v7, 1, v7
	v_add_nc_u32_e32 v8, 16, v8
	;; [unrolled: 1-line block ×3, first 2 shown]
	s_delay_alu instid0(VALU_DEP_3) | instskip(SKIP_4) | instid1(VALU_DEP_2)
	v_cmp_lt_u32_e32 vcc_lo, 22, v7
	s_or_b32 s3, vcc_lo, s3
	s_waitcnt vmcnt(0) lgkmcnt(0)
	v_mul_f64 v[10:11], v[21:22], v[17:18]
	v_mul_f64 v[17:18], v[19:20], v[17:18]
	v_fma_f64 v[10:11], v[19:20], v[15:16], -v[10:11]
	s_delay_alu instid0(VALU_DEP_2) | instskip(NEXT) | instid1(VALU_DEP_2)
	v_fma_f64 v[15:16], v[21:22], v[15:16], v[17:18]
	v_add_f64 v[3:4], v[3:4], v[10:11]
	s_delay_alu instid0(VALU_DEP_2)
	v_add_f64 v[1:2], v[1:2], v[15:16]
	s_and_not1_b32 exec_lo, exec_lo, s3
	s_cbranch_execnz .LBB100_109
; %bb.110:
	s_or_b32 exec_lo, exec_lo, s3
	v_mov_b32_e32 v7, 0
	ds_load_b128 v[7:10], v7 offset:384
	s_waitcnt lgkmcnt(0)
	v_mul_f64 v[11:12], v[1:2], v[9:10]
	v_mul_f64 v[15:16], v[3:4], v[9:10]
	s_delay_alu instid0(VALU_DEP_2) | instskip(NEXT) | instid1(VALU_DEP_2)
	v_fma_f64 v[9:10], v[3:4], v[7:8], -v[11:12]
	v_fma_f64 v[11:12], v[1:2], v[7:8], v[15:16]
	scratch_store_b128 off, v[9:12], off offset:384
.LBB100_111:
	s_or_b32 exec_lo, exec_lo, s2
	s_waitcnt_vscnt null, 0x0
	s_barrier
	buffer_gl0_inv
	scratch_load_b128 v[1:4], v156, off
	s_mov_b32 s2, exec_lo
	s_waitcnt vmcnt(0)
	ds_store_b128 v5, v[1:4]
	s_waitcnt lgkmcnt(0)
	s_barrier
	buffer_gl0_inv
	v_cmpx_gt_u32_e32 25, v120
	s_cbranch_execz .LBB100_115
; %bb.112:
	v_dual_mov_b32 v1, 0 :: v_dual_add_nc_u32 v8, 0x250, v13
	v_dual_mov_b32 v2, 0 :: v_dual_add_nc_u32 v7, -1, v120
	v_or_b32_e32 v9, 8, v14
	s_mov_b32 s3, 0
	s_delay_alu instid0(VALU_DEP_2)
	v_dual_mov_b32 v4, v2 :: v_dual_mov_b32 v3, v1
	.p2align	6
.LBB100_113:                            ; =>This Inner Loop Header: Depth=1
	scratch_load_b128 v[15:18], v9, off offset:-8
	ds_load_b128 v[19:22], v8
	v_add_nc_u32_e32 v7, 1, v7
	v_add_nc_u32_e32 v8, 16, v8
	v_add_nc_u32_e32 v9, 16, v9
	s_delay_alu instid0(VALU_DEP_3) | instskip(SKIP_4) | instid1(VALU_DEP_2)
	v_cmp_lt_u32_e32 vcc_lo, 23, v7
	s_or_b32 s3, vcc_lo, s3
	s_waitcnt vmcnt(0) lgkmcnt(0)
	v_mul_f64 v[10:11], v[21:22], v[17:18]
	v_mul_f64 v[17:18], v[19:20], v[17:18]
	v_fma_f64 v[10:11], v[19:20], v[15:16], -v[10:11]
	s_delay_alu instid0(VALU_DEP_2) | instskip(NEXT) | instid1(VALU_DEP_2)
	v_fma_f64 v[15:16], v[21:22], v[15:16], v[17:18]
	v_add_f64 v[3:4], v[3:4], v[10:11]
	s_delay_alu instid0(VALU_DEP_2)
	v_add_f64 v[1:2], v[1:2], v[15:16]
	s_and_not1_b32 exec_lo, exec_lo, s3
	s_cbranch_execnz .LBB100_113
; %bb.114:
	s_or_b32 exec_lo, exec_lo, s3
	v_mov_b32_e32 v7, 0
	ds_load_b128 v[7:10], v7 offset:400
	s_waitcnt lgkmcnt(0)
	v_mul_f64 v[11:12], v[1:2], v[9:10]
	v_mul_f64 v[15:16], v[3:4], v[9:10]
	s_delay_alu instid0(VALU_DEP_2) | instskip(NEXT) | instid1(VALU_DEP_2)
	v_fma_f64 v[9:10], v[3:4], v[7:8], -v[11:12]
	v_fma_f64 v[11:12], v[1:2], v[7:8], v[15:16]
	scratch_store_b128 off, v[9:12], off offset:400
.LBB100_115:
	s_or_b32 exec_lo, exec_lo, s2
	s_waitcnt_vscnt null, 0x0
	s_barrier
	buffer_gl0_inv
	scratch_load_b128 v[1:4], v155, off
	s_mov_b32 s2, exec_lo
	s_waitcnt vmcnt(0)
	ds_store_b128 v5, v[1:4]
	s_waitcnt lgkmcnt(0)
	s_barrier
	buffer_gl0_inv
	v_cmpx_gt_u32_e32 26, v120
	s_cbranch_execz .LBB100_119
; %bb.116:
	v_dual_mov_b32 v1, 0 :: v_dual_add_nc_u32 v8, 0x250, v13
	v_dual_mov_b32 v2, 0 :: v_dual_add_nc_u32 v7, -1, v120
	v_or_b32_e32 v9, 8, v14
	s_mov_b32 s3, 0
	s_delay_alu instid0(VALU_DEP_2)
	v_dual_mov_b32 v4, v2 :: v_dual_mov_b32 v3, v1
	.p2align	6
.LBB100_117:                            ; =>This Inner Loop Header: Depth=1
	scratch_load_b128 v[15:18], v9, off offset:-8
	ds_load_b128 v[19:22], v8
	v_add_nc_u32_e32 v7, 1, v7
	v_add_nc_u32_e32 v8, 16, v8
	v_add_nc_u32_e32 v9, 16, v9
	s_delay_alu instid0(VALU_DEP_3) | instskip(SKIP_4) | instid1(VALU_DEP_2)
	v_cmp_lt_u32_e32 vcc_lo, 24, v7
	s_or_b32 s3, vcc_lo, s3
	s_waitcnt vmcnt(0) lgkmcnt(0)
	v_mul_f64 v[10:11], v[21:22], v[17:18]
	v_mul_f64 v[17:18], v[19:20], v[17:18]
	v_fma_f64 v[10:11], v[19:20], v[15:16], -v[10:11]
	s_delay_alu instid0(VALU_DEP_2) | instskip(NEXT) | instid1(VALU_DEP_2)
	v_fma_f64 v[15:16], v[21:22], v[15:16], v[17:18]
	v_add_f64 v[3:4], v[3:4], v[10:11]
	s_delay_alu instid0(VALU_DEP_2)
	v_add_f64 v[1:2], v[1:2], v[15:16]
	s_and_not1_b32 exec_lo, exec_lo, s3
	s_cbranch_execnz .LBB100_117
; %bb.118:
	s_or_b32 exec_lo, exec_lo, s3
	v_mov_b32_e32 v7, 0
	ds_load_b128 v[7:10], v7 offset:416
	s_waitcnt lgkmcnt(0)
	v_mul_f64 v[11:12], v[1:2], v[9:10]
	v_mul_f64 v[15:16], v[3:4], v[9:10]
	s_delay_alu instid0(VALU_DEP_2) | instskip(NEXT) | instid1(VALU_DEP_2)
	v_fma_f64 v[9:10], v[3:4], v[7:8], -v[11:12]
	v_fma_f64 v[11:12], v[1:2], v[7:8], v[15:16]
	scratch_store_b128 off, v[9:12], off offset:416
.LBB100_119:
	s_or_b32 exec_lo, exec_lo, s2
	s_waitcnt_vscnt null, 0x0
	s_barrier
	buffer_gl0_inv
	scratch_load_b128 v[1:4], v154, off
	s_mov_b32 s2, exec_lo
	s_waitcnt vmcnt(0)
	ds_store_b128 v5, v[1:4]
	s_waitcnt lgkmcnt(0)
	s_barrier
	buffer_gl0_inv
	v_cmpx_gt_u32_e32 27, v120
	s_cbranch_execz .LBB100_123
; %bb.120:
	v_dual_mov_b32 v1, 0 :: v_dual_add_nc_u32 v8, 0x250, v13
	v_dual_mov_b32 v2, 0 :: v_dual_add_nc_u32 v7, -1, v120
	v_or_b32_e32 v9, 8, v14
	s_mov_b32 s3, 0
	s_delay_alu instid0(VALU_DEP_2)
	v_dual_mov_b32 v4, v2 :: v_dual_mov_b32 v3, v1
	.p2align	6
.LBB100_121:                            ; =>This Inner Loop Header: Depth=1
	scratch_load_b128 v[15:18], v9, off offset:-8
	ds_load_b128 v[19:22], v8
	v_add_nc_u32_e32 v7, 1, v7
	v_add_nc_u32_e32 v8, 16, v8
	;; [unrolled: 1-line block ×3, first 2 shown]
	s_delay_alu instid0(VALU_DEP_3) | instskip(SKIP_4) | instid1(VALU_DEP_2)
	v_cmp_lt_u32_e32 vcc_lo, 25, v7
	s_or_b32 s3, vcc_lo, s3
	s_waitcnt vmcnt(0) lgkmcnt(0)
	v_mul_f64 v[10:11], v[21:22], v[17:18]
	v_mul_f64 v[17:18], v[19:20], v[17:18]
	v_fma_f64 v[10:11], v[19:20], v[15:16], -v[10:11]
	s_delay_alu instid0(VALU_DEP_2) | instskip(NEXT) | instid1(VALU_DEP_2)
	v_fma_f64 v[15:16], v[21:22], v[15:16], v[17:18]
	v_add_f64 v[3:4], v[3:4], v[10:11]
	s_delay_alu instid0(VALU_DEP_2)
	v_add_f64 v[1:2], v[1:2], v[15:16]
	s_and_not1_b32 exec_lo, exec_lo, s3
	s_cbranch_execnz .LBB100_121
; %bb.122:
	s_or_b32 exec_lo, exec_lo, s3
	v_mov_b32_e32 v7, 0
	ds_load_b128 v[7:10], v7 offset:432
	s_waitcnt lgkmcnt(0)
	v_mul_f64 v[11:12], v[1:2], v[9:10]
	v_mul_f64 v[15:16], v[3:4], v[9:10]
	s_delay_alu instid0(VALU_DEP_2) | instskip(NEXT) | instid1(VALU_DEP_2)
	v_fma_f64 v[9:10], v[3:4], v[7:8], -v[11:12]
	v_fma_f64 v[11:12], v[1:2], v[7:8], v[15:16]
	scratch_store_b128 off, v[9:12], off offset:432
.LBB100_123:
	s_or_b32 exec_lo, exec_lo, s2
	s_waitcnt_vscnt null, 0x0
	s_barrier
	buffer_gl0_inv
	scratch_load_b128 v[1:4], v153, off
	s_mov_b32 s2, exec_lo
	s_waitcnt vmcnt(0)
	ds_store_b128 v5, v[1:4]
	s_waitcnt lgkmcnt(0)
	s_barrier
	buffer_gl0_inv
	v_cmpx_gt_u32_e32 28, v120
	s_cbranch_execz .LBB100_127
; %bb.124:
	v_dual_mov_b32 v1, 0 :: v_dual_add_nc_u32 v8, 0x250, v13
	v_dual_mov_b32 v2, 0 :: v_dual_add_nc_u32 v7, -1, v120
	v_or_b32_e32 v9, 8, v14
	s_mov_b32 s3, 0
	s_delay_alu instid0(VALU_DEP_2)
	v_dual_mov_b32 v4, v2 :: v_dual_mov_b32 v3, v1
	.p2align	6
.LBB100_125:                            ; =>This Inner Loop Header: Depth=1
	scratch_load_b128 v[15:18], v9, off offset:-8
	ds_load_b128 v[19:22], v8
	v_add_nc_u32_e32 v7, 1, v7
	v_add_nc_u32_e32 v8, 16, v8
	;; [unrolled: 1-line block ×3, first 2 shown]
	s_delay_alu instid0(VALU_DEP_3) | instskip(SKIP_4) | instid1(VALU_DEP_2)
	v_cmp_lt_u32_e32 vcc_lo, 26, v7
	s_or_b32 s3, vcc_lo, s3
	s_waitcnt vmcnt(0) lgkmcnt(0)
	v_mul_f64 v[10:11], v[21:22], v[17:18]
	v_mul_f64 v[17:18], v[19:20], v[17:18]
	v_fma_f64 v[10:11], v[19:20], v[15:16], -v[10:11]
	s_delay_alu instid0(VALU_DEP_2) | instskip(NEXT) | instid1(VALU_DEP_2)
	v_fma_f64 v[15:16], v[21:22], v[15:16], v[17:18]
	v_add_f64 v[3:4], v[3:4], v[10:11]
	s_delay_alu instid0(VALU_DEP_2)
	v_add_f64 v[1:2], v[1:2], v[15:16]
	s_and_not1_b32 exec_lo, exec_lo, s3
	s_cbranch_execnz .LBB100_125
; %bb.126:
	s_or_b32 exec_lo, exec_lo, s3
	v_mov_b32_e32 v7, 0
	ds_load_b128 v[7:10], v7 offset:448
	s_waitcnt lgkmcnt(0)
	v_mul_f64 v[11:12], v[1:2], v[9:10]
	v_mul_f64 v[15:16], v[3:4], v[9:10]
	s_delay_alu instid0(VALU_DEP_2) | instskip(NEXT) | instid1(VALU_DEP_2)
	v_fma_f64 v[9:10], v[3:4], v[7:8], -v[11:12]
	v_fma_f64 v[11:12], v[1:2], v[7:8], v[15:16]
	scratch_store_b128 off, v[9:12], off offset:448
.LBB100_127:
	s_or_b32 exec_lo, exec_lo, s2
	s_waitcnt_vscnt null, 0x0
	s_barrier
	buffer_gl0_inv
	scratch_load_b128 v[1:4], v150, off
	s_mov_b32 s2, exec_lo
	s_waitcnt vmcnt(0)
	ds_store_b128 v5, v[1:4]
	s_waitcnt lgkmcnt(0)
	s_barrier
	buffer_gl0_inv
	v_cmpx_gt_u32_e32 29, v120
	s_cbranch_execz .LBB100_131
; %bb.128:
	v_dual_mov_b32 v1, 0 :: v_dual_add_nc_u32 v8, 0x250, v13
	v_dual_mov_b32 v2, 0 :: v_dual_add_nc_u32 v7, -1, v120
	v_or_b32_e32 v9, 8, v14
	s_mov_b32 s3, 0
	s_delay_alu instid0(VALU_DEP_2)
	v_dual_mov_b32 v4, v2 :: v_dual_mov_b32 v3, v1
	.p2align	6
.LBB100_129:                            ; =>This Inner Loop Header: Depth=1
	scratch_load_b128 v[15:18], v9, off offset:-8
	ds_load_b128 v[19:22], v8
	v_add_nc_u32_e32 v7, 1, v7
	v_add_nc_u32_e32 v8, 16, v8
	;; [unrolled: 1-line block ×3, first 2 shown]
	s_delay_alu instid0(VALU_DEP_3) | instskip(SKIP_4) | instid1(VALU_DEP_2)
	v_cmp_lt_u32_e32 vcc_lo, 27, v7
	s_or_b32 s3, vcc_lo, s3
	s_waitcnt vmcnt(0) lgkmcnt(0)
	v_mul_f64 v[10:11], v[21:22], v[17:18]
	v_mul_f64 v[17:18], v[19:20], v[17:18]
	v_fma_f64 v[10:11], v[19:20], v[15:16], -v[10:11]
	s_delay_alu instid0(VALU_DEP_2) | instskip(NEXT) | instid1(VALU_DEP_2)
	v_fma_f64 v[15:16], v[21:22], v[15:16], v[17:18]
	v_add_f64 v[3:4], v[3:4], v[10:11]
	s_delay_alu instid0(VALU_DEP_2)
	v_add_f64 v[1:2], v[1:2], v[15:16]
	s_and_not1_b32 exec_lo, exec_lo, s3
	s_cbranch_execnz .LBB100_129
; %bb.130:
	s_or_b32 exec_lo, exec_lo, s3
	v_mov_b32_e32 v7, 0
	ds_load_b128 v[7:10], v7 offset:464
	s_waitcnt lgkmcnt(0)
	v_mul_f64 v[11:12], v[1:2], v[9:10]
	v_mul_f64 v[15:16], v[3:4], v[9:10]
	s_delay_alu instid0(VALU_DEP_2) | instskip(NEXT) | instid1(VALU_DEP_2)
	v_fma_f64 v[9:10], v[3:4], v[7:8], -v[11:12]
	v_fma_f64 v[11:12], v[1:2], v[7:8], v[15:16]
	scratch_store_b128 off, v[9:12], off offset:464
.LBB100_131:
	s_or_b32 exec_lo, exec_lo, s2
	s_waitcnt_vscnt null, 0x0
	s_barrier
	buffer_gl0_inv
	scratch_load_b128 v[1:4], v147, off
	s_mov_b32 s2, exec_lo
	s_waitcnt vmcnt(0)
	ds_store_b128 v5, v[1:4]
	s_waitcnt lgkmcnt(0)
	s_barrier
	buffer_gl0_inv
	v_cmpx_gt_u32_e32 30, v120
	s_cbranch_execz .LBB100_135
; %bb.132:
	v_dual_mov_b32 v1, 0 :: v_dual_add_nc_u32 v8, 0x250, v13
	v_dual_mov_b32 v2, 0 :: v_dual_add_nc_u32 v7, -1, v120
	v_or_b32_e32 v9, 8, v14
	s_mov_b32 s3, 0
	s_delay_alu instid0(VALU_DEP_2)
	v_dual_mov_b32 v4, v2 :: v_dual_mov_b32 v3, v1
	.p2align	6
.LBB100_133:                            ; =>This Inner Loop Header: Depth=1
	scratch_load_b128 v[15:18], v9, off offset:-8
	ds_load_b128 v[19:22], v8
	v_add_nc_u32_e32 v7, 1, v7
	v_add_nc_u32_e32 v8, 16, v8
	;; [unrolled: 1-line block ×3, first 2 shown]
	s_delay_alu instid0(VALU_DEP_3) | instskip(SKIP_4) | instid1(VALU_DEP_2)
	v_cmp_lt_u32_e32 vcc_lo, 28, v7
	s_or_b32 s3, vcc_lo, s3
	s_waitcnt vmcnt(0) lgkmcnt(0)
	v_mul_f64 v[10:11], v[21:22], v[17:18]
	v_mul_f64 v[17:18], v[19:20], v[17:18]
	v_fma_f64 v[10:11], v[19:20], v[15:16], -v[10:11]
	s_delay_alu instid0(VALU_DEP_2) | instskip(NEXT) | instid1(VALU_DEP_2)
	v_fma_f64 v[15:16], v[21:22], v[15:16], v[17:18]
	v_add_f64 v[3:4], v[3:4], v[10:11]
	s_delay_alu instid0(VALU_DEP_2)
	v_add_f64 v[1:2], v[1:2], v[15:16]
	s_and_not1_b32 exec_lo, exec_lo, s3
	s_cbranch_execnz .LBB100_133
; %bb.134:
	s_or_b32 exec_lo, exec_lo, s3
	v_mov_b32_e32 v7, 0
	ds_load_b128 v[7:10], v7 offset:480
	s_waitcnt lgkmcnt(0)
	v_mul_f64 v[11:12], v[1:2], v[9:10]
	v_mul_f64 v[15:16], v[3:4], v[9:10]
	s_delay_alu instid0(VALU_DEP_2) | instskip(NEXT) | instid1(VALU_DEP_2)
	v_fma_f64 v[9:10], v[3:4], v[7:8], -v[11:12]
	v_fma_f64 v[11:12], v[1:2], v[7:8], v[15:16]
	scratch_store_b128 off, v[9:12], off offset:480
.LBB100_135:
	s_or_b32 exec_lo, exec_lo, s2
	s_waitcnt_vscnt null, 0x0
	s_barrier
	buffer_gl0_inv
	scratch_load_b128 v[1:4], v142, off
	s_mov_b32 s2, exec_lo
	s_waitcnt vmcnt(0)
	ds_store_b128 v5, v[1:4]
	s_waitcnt lgkmcnt(0)
	s_barrier
	buffer_gl0_inv
	v_cmpx_gt_u32_e32 31, v120
	s_cbranch_execz .LBB100_139
; %bb.136:
	v_dual_mov_b32 v1, 0 :: v_dual_add_nc_u32 v8, 0x250, v13
	v_dual_mov_b32 v2, 0 :: v_dual_add_nc_u32 v7, -1, v120
	v_or_b32_e32 v9, 8, v14
	s_mov_b32 s3, 0
	s_delay_alu instid0(VALU_DEP_2)
	v_dual_mov_b32 v4, v2 :: v_dual_mov_b32 v3, v1
	.p2align	6
.LBB100_137:                            ; =>This Inner Loop Header: Depth=1
	scratch_load_b128 v[15:18], v9, off offset:-8
	ds_load_b128 v[19:22], v8
	v_add_nc_u32_e32 v7, 1, v7
	v_add_nc_u32_e32 v8, 16, v8
	;; [unrolled: 1-line block ×3, first 2 shown]
	s_delay_alu instid0(VALU_DEP_3) | instskip(SKIP_4) | instid1(VALU_DEP_2)
	v_cmp_lt_u32_e32 vcc_lo, 29, v7
	s_or_b32 s3, vcc_lo, s3
	s_waitcnt vmcnt(0) lgkmcnt(0)
	v_mul_f64 v[10:11], v[21:22], v[17:18]
	v_mul_f64 v[17:18], v[19:20], v[17:18]
	v_fma_f64 v[10:11], v[19:20], v[15:16], -v[10:11]
	s_delay_alu instid0(VALU_DEP_2) | instskip(NEXT) | instid1(VALU_DEP_2)
	v_fma_f64 v[15:16], v[21:22], v[15:16], v[17:18]
	v_add_f64 v[3:4], v[3:4], v[10:11]
	s_delay_alu instid0(VALU_DEP_2)
	v_add_f64 v[1:2], v[1:2], v[15:16]
	s_and_not1_b32 exec_lo, exec_lo, s3
	s_cbranch_execnz .LBB100_137
; %bb.138:
	s_or_b32 exec_lo, exec_lo, s3
	v_mov_b32_e32 v7, 0
	ds_load_b128 v[7:10], v7 offset:496
	s_waitcnt lgkmcnt(0)
	v_mul_f64 v[11:12], v[1:2], v[9:10]
	v_mul_f64 v[15:16], v[3:4], v[9:10]
	s_delay_alu instid0(VALU_DEP_2) | instskip(NEXT) | instid1(VALU_DEP_2)
	v_fma_f64 v[9:10], v[3:4], v[7:8], -v[11:12]
	v_fma_f64 v[11:12], v[1:2], v[7:8], v[15:16]
	scratch_store_b128 off, v[9:12], off offset:496
.LBB100_139:
	s_or_b32 exec_lo, exec_lo, s2
	s_waitcnt_vscnt null, 0x0
	s_barrier
	buffer_gl0_inv
	scratch_load_b128 v[1:4], v139, off
	s_mov_b32 s2, exec_lo
	s_waitcnt vmcnt(0)
	ds_store_b128 v5, v[1:4]
	s_waitcnt lgkmcnt(0)
	s_barrier
	buffer_gl0_inv
	v_cmpx_gt_u32_e32 32, v120
	s_cbranch_execz .LBB100_143
; %bb.140:
	v_dual_mov_b32 v1, 0 :: v_dual_add_nc_u32 v8, 0x250, v13
	v_dual_mov_b32 v2, 0 :: v_dual_add_nc_u32 v7, -1, v120
	v_or_b32_e32 v9, 8, v14
	s_mov_b32 s3, 0
	s_delay_alu instid0(VALU_DEP_2)
	v_dual_mov_b32 v4, v2 :: v_dual_mov_b32 v3, v1
	.p2align	6
.LBB100_141:                            ; =>This Inner Loop Header: Depth=1
	scratch_load_b128 v[15:18], v9, off offset:-8
	ds_load_b128 v[19:22], v8
	v_add_nc_u32_e32 v7, 1, v7
	v_add_nc_u32_e32 v8, 16, v8
	v_add_nc_u32_e32 v9, 16, v9
	s_delay_alu instid0(VALU_DEP_3) | instskip(SKIP_4) | instid1(VALU_DEP_2)
	v_cmp_lt_u32_e32 vcc_lo, 30, v7
	s_or_b32 s3, vcc_lo, s3
	s_waitcnt vmcnt(0) lgkmcnt(0)
	v_mul_f64 v[10:11], v[21:22], v[17:18]
	v_mul_f64 v[17:18], v[19:20], v[17:18]
	v_fma_f64 v[10:11], v[19:20], v[15:16], -v[10:11]
	s_delay_alu instid0(VALU_DEP_2) | instskip(NEXT) | instid1(VALU_DEP_2)
	v_fma_f64 v[15:16], v[21:22], v[15:16], v[17:18]
	v_add_f64 v[3:4], v[3:4], v[10:11]
	s_delay_alu instid0(VALU_DEP_2)
	v_add_f64 v[1:2], v[1:2], v[15:16]
	s_and_not1_b32 exec_lo, exec_lo, s3
	s_cbranch_execnz .LBB100_141
; %bb.142:
	s_or_b32 exec_lo, exec_lo, s3
	v_mov_b32_e32 v7, 0
	ds_load_b128 v[7:10], v7 offset:512
	s_waitcnt lgkmcnt(0)
	v_mul_f64 v[11:12], v[1:2], v[9:10]
	v_mul_f64 v[15:16], v[3:4], v[9:10]
	s_delay_alu instid0(VALU_DEP_2) | instskip(NEXT) | instid1(VALU_DEP_2)
	v_fma_f64 v[9:10], v[3:4], v[7:8], -v[11:12]
	v_fma_f64 v[11:12], v[1:2], v[7:8], v[15:16]
	scratch_store_b128 off, v[9:12], off offset:512
.LBB100_143:
	s_or_b32 exec_lo, exec_lo, s2
	s_waitcnt_vscnt null, 0x0
	s_barrier
	buffer_gl0_inv
	scratch_load_b128 v[1:4], v134, off
	s_mov_b32 s2, exec_lo
	s_waitcnt vmcnt(0)
	ds_store_b128 v5, v[1:4]
	s_waitcnt lgkmcnt(0)
	s_barrier
	buffer_gl0_inv
	v_cmpx_gt_u32_e32 33, v120
	s_cbranch_execz .LBB100_147
; %bb.144:
	v_dual_mov_b32 v1, 0 :: v_dual_add_nc_u32 v8, 0x250, v13
	v_dual_mov_b32 v2, 0 :: v_dual_add_nc_u32 v7, -1, v120
	v_or_b32_e32 v9, 8, v14
	s_mov_b32 s3, 0
	s_delay_alu instid0(VALU_DEP_2)
	v_dual_mov_b32 v4, v2 :: v_dual_mov_b32 v3, v1
	.p2align	6
.LBB100_145:                            ; =>This Inner Loop Header: Depth=1
	scratch_load_b128 v[15:18], v9, off offset:-8
	ds_load_b128 v[19:22], v8
	v_add_nc_u32_e32 v7, 1, v7
	v_add_nc_u32_e32 v8, 16, v8
	;; [unrolled: 1-line block ×3, first 2 shown]
	s_delay_alu instid0(VALU_DEP_3) | instskip(SKIP_4) | instid1(VALU_DEP_2)
	v_cmp_lt_u32_e32 vcc_lo, 31, v7
	s_or_b32 s3, vcc_lo, s3
	s_waitcnt vmcnt(0) lgkmcnt(0)
	v_mul_f64 v[10:11], v[21:22], v[17:18]
	v_mul_f64 v[17:18], v[19:20], v[17:18]
	v_fma_f64 v[10:11], v[19:20], v[15:16], -v[10:11]
	s_delay_alu instid0(VALU_DEP_2) | instskip(NEXT) | instid1(VALU_DEP_2)
	v_fma_f64 v[15:16], v[21:22], v[15:16], v[17:18]
	v_add_f64 v[3:4], v[3:4], v[10:11]
	s_delay_alu instid0(VALU_DEP_2)
	v_add_f64 v[1:2], v[1:2], v[15:16]
	s_and_not1_b32 exec_lo, exec_lo, s3
	s_cbranch_execnz .LBB100_145
; %bb.146:
	s_or_b32 exec_lo, exec_lo, s3
	v_mov_b32_e32 v7, 0
	ds_load_b128 v[7:10], v7 offset:528
	s_waitcnt lgkmcnt(0)
	v_mul_f64 v[11:12], v[1:2], v[9:10]
	v_mul_f64 v[15:16], v[3:4], v[9:10]
	s_delay_alu instid0(VALU_DEP_2) | instskip(NEXT) | instid1(VALU_DEP_2)
	v_fma_f64 v[9:10], v[3:4], v[7:8], -v[11:12]
	v_fma_f64 v[11:12], v[1:2], v[7:8], v[15:16]
	scratch_store_b128 off, v[9:12], off offset:528
.LBB100_147:
	s_or_b32 exec_lo, exec_lo, s2
	s_waitcnt_vscnt null, 0x0
	s_barrier
	buffer_gl0_inv
	scratch_load_b128 v[1:4], v132, off
	s_mov_b32 s2, exec_lo
	s_waitcnt vmcnt(0)
	ds_store_b128 v5, v[1:4]
	s_waitcnt lgkmcnt(0)
	s_barrier
	buffer_gl0_inv
	v_cmpx_gt_u32_e32 34, v120
	s_cbranch_execz .LBB100_151
; %bb.148:
	v_dual_mov_b32 v1, 0 :: v_dual_add_nc_u32 v8, 0x250, v13
	v_dual_mov_b32 v2, 0 :: v_dual_add_nc_u32 v7, -1, v120
	v_or_b32_e32 v9, 8, v14
	s_mov_b32 s3, 0
	s_delay_alu instid0(VALU_DEP_2)
	v_dual_mov_b32 v4, v2 :: v_dual_mov_b32 v3, v1
	.p2align	6
.LBB100_149:                            ; =>This Inner Loop Header: Depth=1
	scratch_load_b128 v[15:18], v9, off offset:-8
	ds_load_b128 v[19:22], v8
	v_add_nc_u32_e32 v7, 1, v7
	v_add_nc_u32_e32 v8, 16, v8
	;; [unrolled: 1-line block ×3, first 2 shown]
	s_delay_alu instid0(VALU_DEP_3) | instskip(SKIP_4) | instid1(VALU_DEP_2)
	v_cmp_lt_u32_e32 vcc_lo, 32, v7
	s_or_b32 s3, vcc_lo, s3
	s_waitcnt vmcnt(0) lgkmcnt(0)
	v_mul_f64 v[10:11], v[21:22], v[17:18]
	v_mul_f64 v[17:18], v[19:20], v[17:18]
	v_fma_f64 v[10:11], v[19:20], v[15:16], -v[10:11]
	s_delay_alu instid0(VALU_DEP_2) | instskip(NEXT) | instid1(VALU_DEP_2)
	v_fma_f64 v[15:16], v[21:22], v[15:16], v[17:18]
	v_add_f64 v[3:4], v[3:4], v[10:11]
	s_delay_alu instid0(VALU_DEP_2)
	v_add_f64 v[1:2], v[1:2], v[15:16]
	s_and_not1_b32 exec_lo, exec_lo, s3
	s_cbranch_execnz .LBB100_149
; %bb.150:
	s_or_b32 exec_lo, exec_lo, s3
	v_mov_b32_e32 v7, 0
	ds_load_b128 v[7:10], v7 offset:544
	s_waitcnt lgkmcnt(0)
	v_mul_f64 v[11:12], v[1:2], v[9:10]
	v_mul_f64 v[15:16], v[3:4], v[9:10]
	s_delay_alu instid0(VALU_DEP_2) | instskip(NEXT) | instid1(VALU_DEP_2)
	v_fma_f64 v[9:10], v[3:4], v[7:8], -v[11:12]
	v_fma_f64 v[11:12], v[1:2], v[7:8], v[15:16]
	scratch_store_b128 off, v[9:12], off offset:544
.LBB100_151:
	s_or_b32 exec_lo, exec_lo, s2
	s_waitcnt_vscnt null, 0x0
	s_barrier
	buffer_gl0_inv
	scratch_load_b128 v[1:4], v128, off
	s_mov_b32 s2, exec_lo
	s_waitcnt vmcnt(0)
	ds_store_b128 v5, v[1:4]
	s_waitcnt lgkmcnt(0)
	s_barrier
	buffer_gl0_inv
	v_cmpx_gt_u32_e32 35, v120
	s_cbranch_execz .LBB100_155
; %bb.152:
	v_dual_mov_b32 v1, 0 :: v_dual_add_nc_u32 v8, 0x250, v13
	v_dual_mov_b32 v2, 0 :: v_dual_add_nc_u32 v7, -1, v120
	v_or_b32_e32 v9, 8, v14
	s_mov_b32 s3, 0
	s_delay_alu instid0(VALU_DEP_2)
	v_dual_mov_b32 v4, v2 :: v_dual_mov_b32 v3, v1
	.p2align	6
.LBB100_153:                            ; =>This Inner Loop Header: Depth=1
	scratch_load_b128 v[10:13], v9, off offset:-8
	ds_load_b128 v[15:18], v8
	v_add_nc_u32_e32 v7, 1, v7
	v_add_nc_u32_e32 v8, 16, v8
	;; [unrolled: 1-line block ×3, first 2 shown]
	s_delay_alu instid0(VALU_DEP_3) | instskip(SKIP_4) | instid1(VALU_DEP_2)
	v_cmp_lt_u32_e32 vcc_lo, 33, v7
	s_or_b32 s3, vcc_lo, s3
	s_waitcnt vmcnt(0) lgkmcnt(0)
	v_mul_f64 v[19:20], v[17:18], v[12:13]
	v_mul_f64 v[12:13], v[15:16], v[12:13]
	v_fma_f64 v[15:16], v[15:16], v[10:11], -v[19:20]
	s_delay_alu instid0(VALU_DEP_2) | instskip(NEXT) | instid1(VALU_DEP_2)
	v_fma_f64 v[10:11], v[17:18], v[10:11], v[12:13]
	v_add_f64 v[3:4], v[3:4], v[15:16]
	s_delay_alu instid0(VALU_DEP_2)
	v_add_f64 v[1:2], v[1:2], v[10:11]
	s_and_not1_b32 exec_lo, exec_lo, s3
	s_cbranch_execnz .LBB100_153
; %bb.154:
	s_or_b32 exec_lo, exec_lo, s3
	v_mov_b32_e32 v7, 0
	ds_load_b128 v[7:10], v7 offset:560
	s_waitcnt lgkmcnt(0)
	v_mul_f64 v[11:12], v[1:2], v[9:10]
	v_mul_f64 v[15:16], v[3:4], v[9:10]
	s_delay_alu instid0(VALU_DEP_2) | instskip(NEXT) | instid1(VALU_DEP_2)
	v_fma_f64 v[9:10], v[3:4], v[7:8], -v[11:12]
	v_fma_f64 v[11:12], v[1:2], v[7:8], v[15:16]
	scratch_store_b128 off, v[9:12], off offset:560
.LBB100_155:
	s_or_b32 exec_lo, exec_lo, s2
	s_waitcnt_vscnt null, 0x0
	s_barrier
	buffer_gl0_inv
	scratch_load_b128 v[1:4], v126, off
	s_mov_b32 s2, exec_lo
	s_waitcnt vmcnt(0)
	ds_store_b128 v5, v[1:4]
	s_waitcnt lgkmcnt(0)
	s_barrier
	buffer_gl0_inv
	v_cmpx_ne_u32_e32 36, v120
	s_cbranch_execz .LBB100_159
; %bb.156:
	v_mov_b32_e32 v1, 0
	v_mov_b32_e32 v2, 0
	v_or_b32_e32 v7, 8, v14
	s_mov_b32 s3, 0
	s_delay_alu instid0(VALU_DEP_2)
	v_dual_mov_b32 v4, v2 :: v_dual_mov_b32 v3, v1
	.p2align	6
.LBB100_157:                            ; =>This Inner Loop Header: Depth=1
	scratch_load_b128 v[8:11], v7, off offset:-8
	ds_load_b128 v[12:15], v5
	v_add_nc_u32_e32 v6, 1, v6
	v_add_nc_u32_e32 v5, 16, v5
	;; [unrolled: 1-line block ×3, first 2 shown]
	s_delay_alu instid0(VALU_DEP_3) | instskip(SKIP_4) | instid1(VALU_DEP_2)
	v_cmp_lt_u32_e32 vcc_lo, 34, v6
	s_or_b32 s3, vcc_lo, s3
	s_waitcnt vmcnt(0) lgkmcnt(0)
	v_mul_f64 v[16:17], v[14:15], v[10:11]
	v_mul_f64 v[10:11], v[12:13], v[10:11]
	v_fma_f64 v[12:13], v[12:13], v[8:9], -v[16:17]
	s_delay_alu instid0(VALU_DEP_2) | instskip(NEXT) | instid1(VALU_DEP_2)
	v_fma_f64 v[8:9], v[14:15], v[8:9], v[10:11]
	v_add_f64 v[3:4], v[3:4], v[12:13]
	s_delay_alu instid0(VALU_DEP_2)
	v_add_f64 v[1:2], v[1:2], v[8:9]
	s_and_not1_b32 exec_lo, exec_lo, s3
	s_cbranch_execnz .LBB100_157
; %bb.158:
	s_or_b32 exec_lo, exec_lo, s3
	v_mov_b32_e32 v5, 0
	ds_load_b128 v[5:8], v5 offset:576
	s_waitcnt lgkmcnt(0)
	v_mul_f64 v[9:10], v[1:2], v[7:8]
	v_mul_f64 v[7:8], v[3:4], v[7:8]
	s_delay_alu instid0(VALU_DEP_2) | instskip(NEXT) | instid1(VALU_DEP_2)
	v_fma_f64 v[3:4], v[3:4], v[5:6], -v[9:10]
	v_fma_f64 v[5:6], v[1:2], v[5:6], v[7:8]
	scratch_store_b128 off, v[3:6], off offset:576
.LBB100_159:
	s_or_b32 exec_lo, exec_lo, s2
	s_mov_b32 s3, -1
	s_waitcnt_vscnt null, 0x0
	s_barrier
	buffer_gl0_inv
.LBB100_160:
	s_and_b32 vcc_lo, exec_lo, s3
	s_cbranch_vccz .LBB100_162
; %bb.161:
	s_lshl_b64 s[2:3], s[10:11], 2
	v_mov_b32_e32 v1, 0
	s_add_u32 s2, s6, s2
	s_addc_u32 s3, s7, s3
	global_load_b32 v1, v1, s[2:3]
	s_waitcnt vmcnt(0)
	v_cmp_ne_u32_e32 vcc_lo, 0, v1
	s_cbranch_vccz .LBB100_163
.LBB100_162:
	s_endpgm
.LBB100_163:
	v_lshl_add_u32 v157, v120, 4, 0x250
	s_mov_b32 s2, exec_lo
	v_cmpx_eq_u32_e32 36, v120
	s_cbranch_execz .LBB100_165
; %bb.164:
	scratch_load_b128 v[1:4], v128, off
	v_mov_b32_e32 v5, 0
	s_delay_alu instid0(VALU_DEP_1)
	v_mov_b32_e32 v6, v5
	v_mov_b32_e32 v7, v5
	;; [unrolled: 1-line block ×3, first 2 shown]
	scratch_store_b128 off, v[5:8], off offset:560
	s_waitcnt vmcnt(0)
	ds_store_b128 v157, v[1:4]
.LBB100_165:
	s_or_b32 exec_lo, exec_lo, s2
	s_waitcnt lgkmcnt(0)
	s_waitcnt_vscnt null, 0x0
	s_barrier
	buffer_gl0_inv
	s_clause 0x1
	scratch_load_b128 v[2:5], off, off offset:576
	scratch_load_b128 v[6:9], off, off offset:560
	v_mov_b32_e32 v1, 0
	s_mov_b32 s2, exec_lo
	ds_load_b128 v[10:13], v1 offset:1168
	s_waitcnt vmcnt(1) lgkmcnt(0)
	v_mul_f64 v[14:15], v[12:13], v[4:5]
	v_mul_f64 v[4:5], v[10:11], v[4:5]
	s_delay_alu instid0(VALU_DEP_2) | instskip(NEXT) | instid1(VALU_DEP_2)
	v_fma_f64 v[10:11], v[10:11], v[2:3], -v[14:15]
	v_fma_f64 v[2:3], v[12:13], v[2:3], v[4:5]
	s_delay_alu instid0(VALU_DEP_2) | instskip(NEXT) | instid1(VALU_DEP_2)
	v_add_f64 v[4:5], v[10:11], 0
	v_add_f64 v[10:11], v[2:3], 0
	s_waitcnt vmcnt(0)
	s_delay_alu instid0(VALU_DEP_2) | instskip(NEXT) | instid1(VALU_DEP_2)
	v_add_f64 v[2:3], v[6:7], -v[4:5]
	v_add_f64 v[4:5], v[8:9], -v[10:11]
	scratch_store_b128 off, v[2:5], off offset:560
	v_cmpx_lt_u32_e32 34, v120
	s_cbranch_execz .LBB100_167
; %bb.166:
	scratch_load_b128 v[5:8], v132, off
	v_mov_b32_e32 v2, v1
	v_mov_b32_e32 v3, v1
	;; [unrolled: 1-line block ×3, first 2 shown]
	scratch_store_b128 off, v[1:4], off offset:544
	s_waitcnt vmcnt(0)
	ds_store_b128 v157, v[5:8]
.LBB100_167:
	s_or_b32 exec_lo, exec_lo, s2
	s_waitcnt lgkmcnt(0)
	s_waitcnt_vscnt null, 0x0
	s_barrier
	buffer_gl0_inv
	s_clause 0x2
	scratch_load_b128 v[2:5], off, off offset:560
	scratch_load_b128 v[6:9], off, off offset:576
	;; [unrolled: 1-line block ×3, first 2 shown]
	ds_load_b128 v[14:17], v1 offset:1152
	ds_load_b128 v[18:21], v1 offset:1168
	s_mov_b32 s2, exec_lo
	s_waitcnt vmcnt(2) lgkmcnt(1)
	v_mul_f64 v[22:23], v[16:17], v[4:5]
	v_mul_f64 v[4:5], v[14:15], v[4:5]
	s_waitcnt vmcnt(1) lgkmcnt(0)
	v_mul_f64 v[24:25], v[18:19], v[8:9]
	v_mul_f64 v[8:9], v[20:21], v[8:9]
	s_delay_alu instid0(VALU_DEP_4) | instskip(NEXT) | instid1(VALU_DEP_4)
	v_fma_f64 v[14:15], v[14:15], v[2:3], -v[22:23]
	v_fma_f64 v[1:2], v[16:17], v[2:3], v[4:5]
	s_delay_alu instid0(VALU_DEP_4) | instskip(NEXT) | instid1(VALU_DEP_4)
	v_fma_f64 v[3:4], v[20:21], v[6:7], v[24:25]
	v_fma_f64 v[5:6], v[18:19], v[6:7], -v[8:9]
	s_delay_alu instid0(VALU_DEP_4) | instskip(NEXT) | instid1(VALU_DEP_4)
	v_add_f64 v[7:8], v[14:15], 0
	v_add_f64 v[1:2], v[1:2], 0
	s_delay_alu instid0(VALU_DEP_2) | instskip(NEXT) | instid1(VALU_DEP_2)
	v_add_f64 v[5:6], v[7:8], v[5:6]
	v_add_f64 v[3:4], v[1:2], v[3:4]
	s_waitcnt vmcnt(0)
	s_delay_alu instid0(VALU_DEP_2) | instskip(NEXT) | instid1(VALU_DEP_2)
	v_add_f64 v[1:2], v[10:11], -v[5:6]
	v_add_f64 v[3:4], v[12:13], -v[3:4]
	scratch_store_b128 off, v[1:4], off offset:544
	v_cmpx_lt_u32_e32 33, v120
	s_cbranch_execz .LBB100_169
; %bb.168:
	scratch_load_b128 v[1:4], v134, off
	v_mov_b32_e32 v5, 0
	s_delay_alu instid0(VALU_DEP_1)
	v_mov_b32_e32 v6, v5
	v_mov_b32_e32 v7, v5
	;; [unrolled: 1-line block ×3, first 2 shown]
	scratch_store_b128 off, v[5:8], off offset:528
	s_waitcnt vmcnt(0)
	ds_store_b128 v157, v[1:4]
.LBB100_169:
	s_or_b32 exec_lo, exec_lo, s2
	s_waitcnt lgkmcnt(0)
	s_waitcnt_vscnt null, 0x0
	s_barrier
	buffer_gl0_inv
	s_clause 0x3
	scratch_load_b128 v[2:5], off, off offset:544
	scratch_load_b128 v[6:9], off, off offset:560
	;; [unrolled: 1-line block ×4, first 2 shown]
	v_mov_b32_e32 v1, 0
	ds_load_b128 v[18:21], v1 offset:1136
	ds_load_b128 v[22:25], v1 offset:1152
	s_mov_b32 s2, exec_lo
	s_waitcnt vmcnt(3) lgkmcnt(1)
	v_mul_f64 v[26:27], v[20:21], v[4:5]
	v_mul_f64 v[4:5], v[18:19], v[4:5]
	s_waitcnt vmcnt(2) lgkmcnt(0)
	v_mul_f64 v[28:29], v[22:23], v[8:9]
	v_mul_f64 v[8:9], v[24:25], v[8:9]
	s_delay_alu instid0(VALU_DEP_4) | instskip(NEXT) | instid1(VALU_DEP_4)
	v_fma_f64 v[18:19], v[18:19], v[2:3], -v[26:27]
	v_fma_f64 v[20:21], v[20:21], v[2:3], v[4:5]
	ds_load_b128 v[2:5], v1 offset:1168
	v_fma_f64 v[24:25], v[24:25], v[6:7], v[28:29]
	v_fma_f64 v[6:7], v[22:23], v[6:7], -v[8:9]
	s_waitcnt vmcnt(1) lgkmcnt(0)
	v_mul_f64 v[26:27], v[2:3], v[12:13]
	v_mul_f64 v[12:13], v[4:5], v[12:13]
	v_add_f64 v[8:9], v[18:19], 0
	v_add_f64 v[18:19], v[20:21], 0
	s_delay_alu instid0(VALU_DEP_4) | instskip(NEXT) | instid1(VALU_DEP_4)
	v_fma_f64 v[4:5], v[4:5], v[10:11], v[26:27]
	v_fma_f64 v[2:3], v[2:3], v[10:11], -v[12:13]
	s_delay_alu instid0(VALU_DEP_4) | instskip(NEXT) | instid1(VALU_DEP_4)
	v_add_f64 v[6:7], v[8:9], v[6:7]
	v_add_f64 v[8:9], v[18:19], v[24:25]
	s_delay_alu instid0(VALU_DEP_2) | instskip(NEXT) | instid1(VALU_DEP_2)
	v_add_f64 v[2:3], v[6:7], v[2:3]
	v_add_f64 v[4:5], v[8:9], v[4:5]
	s_waitcnt vmcnt(0)
	s_delay_alu instid0(VALU_DEP_2) | instskip(NEXT) | instid1(VALU_DEP_2)
	v_add_f64 v[2:3], v[14:15], -v[2:3]
	v_add_f64 v[4:5], v[16:17], -v[4:5]
	scratch_store_b128 off, v[2:5], off offset:528
	v_cmpx_lt_u32_e32 32, v120
	s_cbranch_execz .LBB100_171
; %bb.170:
	scratch_load_b128 v[5:8], v139, off
	v_mov_b32_e32 v2, v1
	v_mov_b32_e32 v3, v1
	v_mov_b32_e32 v4, v1
	scratch_store_b128 off, v[1:4], off offset:512
	s_waitcnt vmcnt(0)
	ds_store_b128 v157, v[5:8]
.LBB100_171:
	s_or_b32 exec_lo, exec_lo, s2
	s_waitcnt lgkmcnt(0)
	s_waitcnt_vscnt null, 0x0
	s_barrier
	buffer_gl0_inv
	s_clause 0x4
	scratch_load_b128 v[2:5], off, off offset:528
	scratch_load_b128 v[6:9], off, off offset:544
	scratch_load_b128 v[10:13], off, off offset:560
	scratch_load_b128 v[14:17], off, off offset:576
	scratch_load_b128 v[18:21], off, off offset:512
	ds_load_b128 v[22:25], v1 offset:1120
	ds_load_b128 v[26:29], v1 offset:1136
	s_mov_b32 s2, exec_lo
	s_waitcnt vmcnt(4) lgkmcnt(1)
	v_mul_f64 v[30:31], v[24:25], v[4:5]
	v_mul_f64 v[4:5], v[22:23], v[4:5]
	s_waitcnt vmcnt(3) lgkmcnt(0)
	v_mul_f64 v[32:33], v[26:27], v[8:9]
	v_mul_f64 v[8:9], v[28:29], v[8:9]
	s_delay_alu instid0(VALU_DEP_4) | instskip(NEXT) | instid1(VALU_DEP_4)
	v_fma_f64 v[30:31], v[22:23], v[2:3], -v[30:31]
	v_fma_f64 v[34:35], v[24:25], v[2:3], v[4:5]
	ds_load_b128 v[2:5], v1 offset:1152
	ds_load_b128 v[22:25], v1 offset:1168
	v_fma_f64 v[28:29], v[28:29], v[6:7], v[32:33]
	v_fma_f64 v[6:7], v[26:27], v[6:7], -v[8:9]
	s_waitcnt vmcnt(2) lgkmcnt(1)
	v_mul_f64 v[36:37], v[2:3], v[12:13]
	v_mul_f64 v[12:13], v[4:5], v[12:13]
	v_add_f64 v[8:9], v[30:31], 0
	v_add_f64 v[26:27], v[34:35], 0
	s_waitcnt vmcnt(1) lgkmcnt(0)
	v_mul_f64 v[30:31], v[22:23], v[16:17]
	v_mul_f64 v[16:17], v[24:25], v[16:17]
	v_fma_f64 v[4:5], v[4:5], v[10:11], v[36:37]
	v_fma_f64 v[1:2], v[2:3], v[10:11], -v[12:13]
	v_add_f64 v[6:7], v[8:9], v[6:7]
	v_add_f64 v[8:9], v[26:27], v[28:29]
	v_fma_f64 v[10:11], v[24:25], v[14:15], v[30:31]
	v_fma_f64 v[12:13], v[22:23], v[14:15], -v[16:17]
	s_delay_alu instid0(VALU_DEP_4) | instskip(NEXT) | instid1(VALU_DEP_4)
	v_add_f64 v[1:2], v[6:7], v[1:2]
	v_add_f64 v[3:4], v[8:9], v[4:5]
	s_delay_alu instid0(VALU_DEP_2) | instskip(NEXT) | instid1(VALU_DEP_2)
	v_add_f64 v[1:2], v[1:2], v[12:13]
	v_add_f64 v[3:4], v[3:4], v[10:11]
	s_waitcnt vmcnt(0)
	s_delay_alu instid0(VALU_DEP_2) | instskip(NEXT) | instid1(VALU_DEP_2)
	v_add_f64 v[1:2], v[18:19], -v[1:2]
	v_add_f64 v[3:4], v[20:21], -v[3:4]
	scratch_store_b128 off, v[1:4], off offset:512
	v_cmpx_lt_u32_e32 31, v120
	s_cbranch_execz .LBB100_173
; %bb.172:
	scratch_load_b128 v[1:4], v142, off
	v_mov_b32_e32 v5, 0
	s_delay_alu instid0(VALU_DEP_1)
	v_mov_b32_e32 v6, v5
	v_mov_b32_e32 v7, v5
	;; [unrolled: 1-line block ×3, first 2 shown]
	scratch_store_b128 off, v[5:8], off offset:496
	s_waitcnt vmcnt(0)
	ds_store_b128 v157, v[1:4]
.LBB100_173:
	s_or_b32 exec_lo, exec_lo, s2
	s_waitcnt lgkmcnt(0)
	s_waitcnt_vscnt null, 0x0
	s_barrier
	buffer_gl0_inv
	s_clause 0x5
	scratch_load_b128 v[2:5], off, off offset:512
	scratch_load_b128 v[6:9], off, off offset:528
	;; [unrolled: 1-line block ×6, first 2 shown]
	v_mov_b32_e32 v1, 0
	ds_load_b128 v[26:29], v1 offset:1104
	ds_load_b128 v[30:33], v1 offset:1120
	s_mov_b32 s2, exec_lo
	s_waitcnt vmcnt(5) lgkmcnt(1)
	v_mul_f64 v[34:35], v[28:29], v[4:5]
	v_mul_f64 v[4:5], v[26:27], v[4:5]
	s_waitcnt vmcnt(4) lgkmcnt(0)
	v_mul_f64 v[36:37], v[30:31], v[8:9]
	v_mul_f64 v[8:9], v[32:33], v[8:9]
	s_delay_alu instid0(VALU_DEP_4) | instskip(NEXT) | instid1(VALU_DEP_4)
	v_fma_f64 v[34:35], v[26:27], v[2:3], -v[34:35]
	v_fma_f64 v[38:39], v[28:29], v[2:3], v[4:5]
	ds_load_b128 v[2:5], v1 offset:1136
	ds_load_b128 v[26:29], v1 offset:1152
	v_fma_f64 v[32:33], v[32:33], v[6:7], v[36:37]
	v_fma_f64 v[6:7], v[30:31], v[6:7], -v[8:9]
	s_waitcnt vmcnt(3) lgkmcnt(1)
	v_mul_f64 v[40:41], v[2:3], v[12:13]
	v_mul_f64 v[12:13], v[4:5], v[12:13]
	v_add_f64 v[8:9], v[34:35], 0
	v_add_f64 v[30:31], v[38:39], 0
	s_waitcnt vmcnt(2) lgkmcnt(0)
	v_mul_f64 v[34:35], v[26:27], v[16:17]
	v_mul_f64 v[16:17], v[28:29], v[16:17]
	v_fma_f64 v[36:37], v[4:5], v[10:11], v[40:41]
	v_fma_f64 v[10:11], v[2:3], v[10:11], -v[12:13]
	ds_load_b128 v[2:5], v1 offset:1168
	v_add_f64 v[6:7], v[8:9], v[6:7]
	v_add_f64 v[8:9], v[30:31], v[32:33]
	v_fma_f64 v[28:29], v[28:29], v[14:15], v[34:35]
	v_fma_f64 v[14:15], v[26:27], v[14:15], -v[16:17]
	s_waitcnt vmcnt(1) lgkmcnt(0)
	v_mul_f64 v[12:13], v[2:3], v[20:21]
	v_mul_f64 v[20:21], v[4:5], v[20:21]
	v_add_f64 v[6:7], v[6:7], v[10:11]
	v_add_f64 v[8:9], v[8:9], v[36:37]
	s_delay_alu instid0(VALU_DEP_4) | instskip(NEXT) | instid1(VALU_DEP_4)
	v_fma_f64 v[4:5], v[4:5], v[18:19], v[12:13]
	v_fma_f64 v[2:3], v[2:3], v[18:19], -v[20:21]
	s_delay_alu instid0(VALU_DEP_4) | instskip(NEXT) | instid1(VALU_DEP_4)
	v_add_f64 v[6:7], v[6:7], v[14:15]
	v_add_f64 v[8:9], v[8:9], v[28:29]
	s_delay_alu instid0(VALU_DEP_2) | instskip(NEXT) | instid1(VALU_DEP_2)
	v_add_f64 v[2:3], v[6:7], v[2:3]
	v_add_f64 v[4:5], v[8:9], v[4:5]
	s_waitcnt vmcnt(0)
	s_delay_alu instid0(VALU_DEP_2) | instskip(NEXT) | instid1(VALU_DEP_2)
	v_add_f64 v[2:3], v[22:23], -v[2:3]
	v_add_f64 v[4:5], v[24:25], -v[4:5]
	scratch_store_b128 off, v[2:5], off offset:496
	v_cmpx_lt_u32_e32 30, v120
	s_cbranch_execz .LBB100_175
; %bb.174:
	scratch_load_b128 v[5:8], v147, off
	v_mov_b32_e32 v2, v1
	v_mov_b32_e32 v3, v1
	;; [unrolled: 1-line block ×3, first 2 shown]
	scratch_store_b128 off, v[1:4], off offset:480
	s_waitcnt vmcnt(0)
	ds_store_b128 v157, v[5:8]
.LBB100_175:
	s_or_b32 exec_lo, exec_lo, s2
	s_waitcnt lgkmcnt(0)
	s_waitcnt_vscnt null, 0x0
	s_barrier
	buffer_gl0_inv
	s_clause 0x5
	scratch_load_b128 v[2:5], off, off offset:496
	scratch_load_b128 v[6:9], off, off offset:512
	scratch_load_b128 v[10:13], off, off offset:528
	scratch_load_b128 v[14:17], off, off offset:544
	scratch_load_b128 v[18:21], off, off offset:560
	scratch_load_b128 v[22:25], off, off offset:576
	ds_load_b128 v[26:29], v1 offset:1088
	ds_load_b128 v[34:37], v1 offset:1104
	scratch_load_b128 v[30:33], off, off offset:480
	s_mov_b32 s2, exec_lo
	s_waitcnt vmcnt(6) lgkmcnt(1)
	v_mul_f64 v[38:39], v[28:29], v[4:5]
	v_mul_f64 v[4:5], v[26:27], v[4:5]
	s_waitcnt vmcnt(5) lgkmcnt(0)
	v_mul_f64 v[40:41], v[34:35], v[8:9]
	v_mul_f64 v[8:9], v[36:37], v[8:9]
	s_delay_alu instid0(VALU_DEP_4) | instskip(NEXT) | instid1(VALU_DEP_4)
	v_fma_f64 v[38:39], v[26:27], v[2:3], -v[38:39]
	v_fma_f64 v[42:43], v[28:29], v[2:3], v[4:5]
	ds_load_b128 v[2:5], v1 offset:1120
	ds_load_b128 v[26:29], v1 offset:1136
	v_fma_f64 v[36:37], v[36:37], v[6:7], v[40:41]
	v_fma_f64 v[6:7], v[34:35], v[6:7], -v[8:9]
	s_waitcnt vmcnt(4) lgkmcnt(1)
	v_mul_f64 v[44:45], v[2:3], v[12:13]
	v_mul_f64 v[12:13], v[4:5], v[12:13]
	v_add_f64 v[8:9], v[38:39], 0
	v_add_f64 v[34:35], v[42:43], 0
	s_waitcnt vmcnt(3) lgkmcnt(0)
	v_mul_f64 v[38:39], v[26:27], v[16:17]
	v_mul_f64 v[16:17], v[28:29], v[16:17]
	v_fma_f64 v[40:41], v[4:5], v[10:11], v[44:45]
	v_fma_f64 v[10:11], v[2:3], v[10:11], -v[12:13]
	v_add_f64 v[12:13], v[8:9], v[6:7]
	v_add_f64 v[34:35], v[34:35], v[36:37]
	ds_load_b128 v[2:5], v1 offset:1152
	ds_load_b128 v[6:9], v1 offset:1168
	v_fma_f64 v[28:29], v[28:29], v[14:15], v[38:39]
	v_fma_f64 v[14:15], v[26:27], v[14:15], -v[16:17]
	s_waitcnt vmcnt(2) lgkmcnt(1)
	v_mul_f64 v[36:37], v[2:3], v[20:21]
	v_mul_f64 v[20:21], v[4:5], v[20:21]
	s_waitcnt vmcnt(1) lgkmcnt(0)
	v_mul_f64 v[16:17], v[6:7], v[24:25]
	v_mul_f64 v[24:25], v[8:9], v[24:25]
	v_add_f64 v[10:11], v[12:13], v[10:11]
	v_add_f64 v[12:13], v[34:35], v[40:41]
	v_fma_f64 v[4:5], v[4:5], v[18:19], v[36:37]
	v_fma_f64 v[1:2], v[2:3], v[18:19], -v[20:21]
	v_fma_f64 v[8:9], v[8:9], v[22:23], v[16:17]
	v_fma_f64 v[6:7], v[6:7], v[22:23], -v[24:25]
	v_add_f64 v[10:11], v[10:11], v[14:15]
	v_add_f64 v[12:13], v[12:13], v[28:29]
	s_delay_alu instid0(VALU_DEP_2) | instskip(NEXT) | instid1(VALU_DEP_2)
	v_add_f64 v[1:2], v[10:11], v[1:2]
	v_add_f64 v[3:4], v[12:13], v[4:5]
	s_delay_alu instid0(VALU_DEP_2) | instskip(NEXT) | instid1(VALU_DEP_2)
	v_add_f64 v[1:2], v[1:2], v[6:7]
	v_add_f64 v[3:4], v[3:4], v[8:9]
	s_waitcnt vmcnt(0)
	s_delay_alu instid0(VALU_DEP_2) | instskip(NEXT) | instid1(VALU_DEP_2)
	v_add_f64 v[1:2], v[30:31], -v[1:2]
	v_add_f64 v[3:4], v[32:33], -v[3:4]
	scratch_store_b128 off, v[1:4], off offset:480
	v_cmpx_lt_u32_e32 29, v120
	s_cbranch_execz .LBB100_177
; %bb.176:
	scratch_load_b128 v[1:4], v150, off
	v_mov_b32_e32 v5, 0
	s_delay_alu instid0(VALU_DEP_1)
	v_mov_b32_e32 v6, v5
	v_mov_b32_e32 v7, v5
	;; [unrolled: 1-line block ×3, first 2 shown]
	scratch_store_b128 off, v[5:8], off offset:464
	s_waitcnt vmcnt(0)
	ds_store_b128 v157, v[1:4]
.LBB100_177:
	s_or_b32 exec_lo, exec_lo, s2
	s_waitcnt lgkmcnt(0)
	s_waitcnt_vscnt null, 0x0
	s_barrier
	buffer_gl0_inv
	s_clause 0x6
	scratch_load_b128 v[2:5], off, off offset:480
	scratch_load_b128 v[6:9], off, off offset:496
	;; [unrolled: 1-line block ×7, first 2 shown]
	v_mov_b32_e32 v1, 0
	scratch_load_b128 v[34:37], off, off offset:464
	s_mov_b32 s2, exec_lo
	ds_load_b128 v[30:33], v1 offset:1072
	ds_load_b128 v[38:41], v1 offset:1088
	s_waitcnt vmcnt(7) lgkmcnt(1)
	v_mul_f64 v[42:43], v[32:33], v[4:5]
	v_mul_f64 v[4:5], v[30:31], v[4:5]
	s_waitcnt vmcnt(6) lgkmcnt(0)
	v_mul_f64 v[44:45], v[38:39], v[8:9]
	v_mul_f64 v[8:9], v[40:41], v[8:9]
	s_delay_alu instid0(VALU_DEP_4) | instskip(NEXT) | instid1(VALU_DEP_4)
	v_fma_f64 v[42:43], v[30:31], v[2:3], -v[42:43]
	v_fma_f64 v[158:159], v[32:33], v[2:3], v[4:5]
	ds_load_b128 v[2:5], v1 offset:1104
	ds_load_b128 v[30:33], v1 offset:1120
	v_fma_f64 v[40:41], v[40:41], v[6:7], v[44:45]
	v_fma_f64 v[6:7], v[38:39], v[6:7], -v[8:9]
	s_waitcnt vmcnt(5) lgkmcnt(1)
	v_mul_f64 v[160:161], v[2:3], v[12:13]
	v_mul_f64 v[12:13], v[4:5], v[12:13]
	v_add_f64 v[8:9], v[42:43], 0
	v_add_f64 v[38:39], v[158:159], 0
	s_waitcnt vmcnt(4) lgkmcnt(0)
	v_mul_f64 v[42:43], v[30:31], v[16:17]
	v_mul_f64 v[16:17], v[32:33], v[16:17]
	v_fma_f64 v[44:45], v[4:5], v[10:11], v[160:161]
	v_fma_f64 v[10:11], v[2:3], v[10:11], -v[12:13]
	v_add_f64 v[12:13], v[8:9], v[6:7]
	v_add_f64 v[38:39], v[38:39], v[40:41]
	ds_load_b128 v[2:5], v1 offset:1136
	ds_load_b128 v[6:9], v1 offset:1152
	v_fma_f64 v[32:33], v[32:33], v[14:15], v[42:43]
	v_fma_f64 v[14:15], v[30:31], v[14:15], -v[16:17]
	s_waitcnt vmcnt(3) lgkmcnt(1)
	v_mul_f64 v[40:41], v[2:3], v[20:21]
	v_mul_f64 v[20:21], v[4:5], v[20:21]
	s_waitcnt vmcnt(2) lgkmcnt(0)
	v_mul_f64 v[16:17], v[6:7], v[24:25]
	v_mul_f64 v[24:25], v[8:9], v[24:25]
	v_add_f64 v[10:11], v[12:13], v[10:11]
	v_add_f64 v[12:13], v[38:39], v[44:45]
	v_fma_f64 v[30:31], v[4:5], v[18:19], v[40:41]
	v_fma_f64 v[18:19], v[2:3], v[18:19], -v[20:21]
	ds_load_b128 v[2:5], v1 offset:1168
	v_fma_f64 v[8:9], v[8:9], v[22:23], v[16:17]
	v_fma_f64 v[6:7], v[6:7], v[22:23], -v[24:25]
	v_add_f64 v[10:11], v[10:11], v[14:15]
	v_add_f64 v[12:13], v[12:13], v[32:33]
	s_waitcnt vmcnt(1) lgkmcnt(0)
	v_mul_f64 v[14:15], v[2:3], v[28:29]
	v_mul_f64 v[20:21], v[4:5], v[28:29]
	s_delay_alu instid0(VALU_DEP_4) | instskip(NEXT) | instid1(VALU_DEP_4)
	v_add_f64 v[10:11], v[10:11], v[18:19]
	v_add_f64 v[12:13], v[12:13], v[30:31]
	s_delay_alu instid0(VALU_DEP_4) | instskip(NEXT) | instid1(VALU_DEP_4)
	v_fma_f64 v[4:5], v[4:5], v[26:27], v[14:15]
	v_fma_f64 v[2:3], v[2:3], v[26:27], -v[20:21]
	s_delay_alu instid0(VALU_DEP_4) | instskip(NEXT) | instid1(VALU_DEP_4)
	v_add_f64 v[6:7], v[10:11], v[6:7]
	v_add_f64 v[8:9], v[12:13], v[8:9]
	s_delay_alu instid0(VALU_DEP_2) | instskip(NEXT) | instid1(VALU_DEP_2)
	v_add_f64 v[2:3], v[6:7], v[2:3]
	v_add_f64 v[4:5], v[8:9], v[4:5]
	s_waitcnt vmcnt(0)
	s_delay_alu instid0(VALU_DEP_2) | instskip(NEXT) | instid1(VALU_DEP_2)
	v_add_f64 v[2:3], v[34:35], -v[2:3]
	v_add_f64 v[4:5], v[36:37], -v[4:5]
	scratch_store_b128 off, v[2:5], off offset:464
	v_cmpx_lt_u32_e32 28, v120
	s_cbranch_execz .LBB100_179
; %bb.178:
	scratch_load_b128 v[5:8], v153, off
	v_mov_b32_e32 v2, v1
	v_mov_b32_e32 v3, v1
	v_mov_b32_e32 v4, v1
	scratch_store_b128 off, v[1:4], off offset:448
	s_waitcnt vmcnt(0)
	ds_store_b128 v157, v[5:8]
.LBB100_179:
	s_or_b32 exec_lo, exec_lo, s2
	s_waitcnt lgkmcnt(0)
	s_waitcnt_vscnt null, 0x0
	s_barrier
	buffer_gl0_inv
	s_clause 0x7
	scratch_load_b128 v[2:5], off, off offset:464
	scratch_load_b128 v[6:9], off, off offset:480
	;; [unrolled: 1-line block ×8, first 2 shown]
	ds_load_b128 v[34:37], v1 offset:1056
	ds_load_b128 v[38:41], v1 offset:1072
	scratch_load_b128 v[42:45], off, off offset:448
	s_mov_b32 s2, exec_lo
	s_waitcnt vmcnt(8) lgkmcnt(1)
	v_mul_f64 v[158:159], v[36:37], v[4:5]
	v_mul_f64 v[4:5], v[34:35], v[4:5]
	s_waitcnt vmcnt(7) lgkmcnt(0)
	v_mul_f64 v[160:161], v[38:39], v[8:9]
	v_mul_f64 v[8:9], v[40:41], v[8:9]
	s_delay_alu instid0(VALU_DEP_4) | instskip(NEXT) | instid1(VALU_DEP_4)
	v_fma_f64 v[158:159], v[34:35], v[2:3], -v[158:159]
	v_fma_f64 v[162:163], v[36:37], v[2:3], v[4:5]
	ds_load_b128 v[2:5], v1 offset:1088
	ds_load_b128 v[34:37], v1 offset:1104
	v_fma_f64 v[40:41], v[40:41], v[6:7], v[160:161]
	v_fma_f64 v[6:7], v[38:39], v[6:7], -v[8:9]
	s_waitcnt vmcnt(6) lgkmcnt(1)
	v_mul_f64 v[164:165], v[2:3], v[12:13]
	v_mul_f64 v[12:13], v[4:5], v[12:13]
	v_add_f64 v[8:9], v[158:159], 0
	v_add_f64 v[38:39], v[162:163], 0
	s_waitcnt vmcnt(5) lgkmcnt(0)
	v_mul_f64 v[158:159], v[34:35], v[16:17]
	v_mul_f64 v[16:17], v[36:37], v[16:17]
	v_fma_f64 v[160:161], v[4:5], v[10:11], v[164:165]
	v_fma_f64 v[10:11], v[2:3], v[10:11], -v[12:13]
	v_add_f64 v[12:13], v[8:9], v[6:7]
	v_add_f64 v[38:39], v[38:39], v[40:41]
	ds_load_b128 v[2:5], v1 offset:1120
	ds_load_b128 v[6:9], v1 offset:1136
	v_fma_f64 v[36:37], v[36:37], v[14:15], v[158:159]
	v_fma_f64 v[14:15], v[34:35], v[14:15], -v[16:17]
	s_waitcnt vmcnt(4) lgkmcnt(1)
	v_mul_f64 v[40:41], v[2:3], v[20:21]
	v_mul_f64 v[20:21], v[4:5], v[20:21]
	s_waitcnt vmcnt(3) lgkmcnt(0)
	v_mul_f64 v[16:17], v[6:7], v[24:25]
	v_mul_f64 v[24:25], v[8:9], v[24:25]
	v_add_f64 v[10:11], v[12:13], v[10:11]
	v_add_f64 v[12:13], v[38:39], v[160:161]
	v_fma_f64 v[34:35], v[4:5], v[18:19], v[40:41]
	v_fma_f64 v[18:19], v[2:3], v[18:19], -v[20:21]
	v_fma_f64 v[8:9], v[8:9], v[22:23], v[16:17]
	v_fma_f64 v[6:7], v[6:7], v[22:23], -v[24:25]
	v_add_f64 v[14:15], v[10:11], v[14:15]
	v_add_f64 v[20:21], v[12:13], v[36:37]
	ds_load_b128 v[2:5], v1 offset:1152
	ds_load_b128 v[10:13], v1 offset:1168
	s_waitcnt vmcnt(2) lgkmcnt(1)
	v_mul_f64 v[36:37], v[2:3], v[28:29]
	v_mul_f64 v[28:29], v[4:5], v[28:29]
	v_add_f64 v[14:15], v[14:15], v[18:19]
	v_add_f64 v[16:17], v[20:21], v[34:35]
	s_waitcnt vmcnt(1) lgkmcnt(0)
	v_mul_f64 v[18:19], v[10:11], v[32:33]
	v_mul_f64 v[20:21], v[12:13], v[32:33]
	v_fma_f64 v[4:5], v[4:5], v[26:27], v[36:37]
	v_fma_f64 v[1:2], v[2:3], v[26:27], -v[28:29]
	v_add_f64 v[6:7], v[14:15], v[6:7]
	v_add_f64 v[8:9], v[16:17], v[8:9]
	v_fma_f64 v[12:13], v[12:13], v[30:31], v[18:19]
	v_fma_f64 v[10:11], v[10:11], v[30:31], -v[20:21]
	s_delay_alu instid0(VALU_DEP_4) | instskip(NEXT) | instid1(VALU_DEP_4)
	v_add_f64 v[1:2], v[6:7], v[1:2]
	v_add_f64 v[3:4], v[8:9], v[4:5]
	s_delay_alu instid0(VALU_DEP_2) | instskip(NEXT) | instid1(VALU_DEP_2)
	v_add_f64 v[1:2], v[1:2], v[10:11]
	v_add_f64 v[3:4], v[3:4], v[12:13]
	s_waitcnt vmcnt(0)
	s_delay_alu instid0(VALU_DEP_2) | instskip(NEXT) | instid1(VALU_DEP_2)
	v_add_f64 v[1:2], v[42:43], -v[1:2]
	v_add_f64 v[3:4], v[44:45], -v[3:4]
	scratch_store_b128 off, v[1:4], off offset:448
	v_cmpx_lt_u32_e32 27, v120
	s_cbranch_execz .LBB100_181
; %bb.180:
	scratch_load_b128 v[1:4], v154, off
	v_mov_b32_e32 v5, 0
	s_delay_alu instid0(VALU_DEP_1)
	v_mov_b32_e32 v6, v5
	v_mov_b32_e32 v7, v5
	;; [unrolled: 1-line block ×3, first 2 shown]
	scratch_store_b128 off, v[5:8], off offset:432
	s_waitcnt vmcnt(0)
	ds_store_b128 v157, v[1:4]
.LBB100_181:
	s_or_b32 exec_lo, exec_lo, s2
	s_waitcnt lgkmcnt(0)
	s_waitcnt_vscnt null, 0x0
	s_barrier
	buffer_gl0_inv
	s_clause 0x7
	scratch_load_b128 v[2:5], off, off offset:448
	scratch_load_b128 v[6:9], off, off offset:464
	;; [unrolled: 1-line block ×8, first 2 shown]
	v_mov_b32_e32 v1, 0
	scratch_load_b128 v[38:41], off, off offset:576
	s_mov_b32 s2, exec_lo
	ds_load_b128 v[34:37], v1 offset:1040
	ds_load_b128 v[42:45], v1 offset:1056
	s_waitcnt vmcnt(8) lgkmcnt(1)
	v_mul_f64 v[158:159], v[36:37], v[4:5]
	v_mul_f64 v[4:5], v[34:35], v[4:5]
	s_waitcnt vmcnt(7) lgkmcnt(0)
	v_mul_f64 v[160:161], v[42:43], v[8:9]
	v_mul_f64 v[8:9], v[44:45], v[8:9]
	s_delay_alu instid0(VALU_DEP_4) | instskip(NEXT) | instid1(VALU_DEP_4)
	v_fma_f64 v[34:35], v[34:35], v[2:3], -v[158:159]
	v_fma_f64 v[36:37], v[36:37], v[2:3], v[4:5]
	ds_load_b128 v[2:5], v1 offset:1072
	v_fma_f64 v[44:45], v[44:45], v[6:7], v[160:161]
	v_fma_f64 v[42:43], v[42:43], v[6:7], -v[8:9]
	ds_load_b128 v[6:9], v1 offset:1088
	s_waitcnt vmcnt(6) lgkmcnt(1)
	v_mul_f64 v[158:159], v[2:3], v[12:13]
	v_mul_f64 v[12:13], v[4:5], v[12:13]
	s_waitcnt vmcnt(5) lgkmcnt(0)
	v_mul_f64 v[164:165], v[6:7], v[16:17]
	v_mul_f64 v[16:17], v[8:9], v[16:17]
	v_add_f64 v[160:161], v[34:35], 0
	v_add_f64 v[162:163], v[36:37], 0
	scratch_load_b128 v[34:37], off, off offset:432
	v_fma_f64 v[158:159], v[4:5], v[10:11], v[158:159]
	v_fma_f64 v[10:11], v[2:3], v[10:11], -v[12:13]
	ds_load_b128 v[2:5], v1 offset:1104
	v_add_f64 v[12:13], v[160:161], v[42:43]
	v_add_f64 v[42:43], v[162:163], v[44:45]
	v_fma_f64 v[160:161], v[8:9], v[14:15], v[164:165]
	v_fma_f64 v[14:15], v[6:7], v[14:15], -v[16:17]
	ds_load_b128 v[6:9], v1 offset:1120
	s_waitcnt vmcnt(5) lgkmcnt(1)
	v_mul_f64 v[44:45], v[2:3], v[20:21]
	v_mul_f64 v[20:21], v[4:5], v[20:21]
	s_waitcnt vmcnt(4) lgkmcnt(0)
	v_mul_f64 v[16:17], v[6:7], v[24:25]
	v_mul_f64 v[24:25], v[8:9], v[24:25]
	v_add_f64 v[10:11], v[12:13], v[10:11]
	v_add_f64 v[12:13], v[42:43], v[158:159]
	v_fma_f64 v[42:43], v[4:5], v[18:19], v[44:45]
	v_fma_f64 v[18:19], v[2:3], v[18:19], -v[20:21]
	ds_load_b128 v[2:5], v1 offset:1136
	v_fma_f64 v[16:17], v[8:9], v[22:23], v[16:17]
	v_fma_f64 v[22:23], v[6:7], v[22:23], -v[24:25]
	ds_load_b128 v[6:9], v1 offset:1152
	s_waitcnt vmcnt(3) lgkmcnt(1)
	v_mul_f64 v[20:21], v[4:5], v[28:29]
	v_add_f64 v[10:11], v[10:11], v[14:15]
	v_add_f64 v[12:13], v[12:13], v[160:161]
	v_mul_f64 v[14:15], v[2:3], v[28:29]
	s_waitcnt vmcnt(2) lgkmcnt(0)
	v_mul_f64 v[24:25], v[8:9], v[32:33]
	v_fma_f64 v[20:21], v[2:3], v[26:27], -v[20:21]
	v_add_f64 v[10:11], v[10:11], v[18:19]
	v_add_f64 v[12:13], v[12:13], v[42:43]
	v_mul_f64 v[18:19], v[6:7], v[32:33]
	v_fma_f64 v[14:15], v[4:5], v[26:27], v[14:15]
	ds_load_b128 v[2:5], v1 offset:1168
	v_fma_f64 v[6:7], v[6:7], v[30:31], -v[24:25]
	v_add_f64 v[10:11], v[10:11], v[22:23]
	v_add_f64 v[12:13], v[12:13], v[16:17]
	s_waitcnt vmcnt(1) lgkmcnt(0)
	v_mul_f64 v[16:17], v[2:3], v[40:41]
	v_mul_f64 v[22:23], v[4:5], v[40:41]
	v_fma_f64 v[8:9], v[8:9], v[30:31], v[18:19]
	v_add_f64 v[10:11], v[10:11], v[20:21]
	v_add_f64 v[12:13], v[12:13], v[14:15]
	v_fma_f64 v[4:5], v[4:5], v[38:39], v[16:17]
	v_fma_f64 v[2:3], v[2:3], v[38:39], -v[22:23]
	s_delay_alu instid0(VALU_DEP_4) | instskip(NEXT) | instid1(VALU_DEP_4)
	v_add_f64 v[6:7], v[10:11], v[6:7]
	v_add_f64 v[8:9], v[12:13], v[8:9]
	s_delay_alu instid0(VALU_DEP_2) | instskip(NEXT) | instid1(VALU_DEP_2)
	v_add_f64 v[2:3], v[6:7], v[2:3]
	v_add_f64 v[4:5], v[8:9], v[4:5]
	s_waitcnt vmcnt(0)
	s_delay_alu instid0(VALU_DEP_2) | instskip(NEXT) | instid1(VALU_DEP_2)
	v_add_f64 v[2:3], v[34:35], -v[2:3]
	v_add_f64 v[4:5], v[36:37], -v[4:5]
	scratch_store_b128 off, v[2:5], off offset:432
	v_cmpx_lt_u32_e32 26, v120
	s_cbranch_execz .LBB100_183
; %bb.182:
	scratch_load_b128 v[5:8], v155, off
	v_mov_b32_e32 v2, v1
	v_mov_b32_e32 v3, v1
	;; [unrolled: 1-line block ×3, first 2 shown]
	scratch_store_b128 off, v[1:4], off offset:416
	s_waitcnt vmcnt(0)
	ds_store_b128 v157, v[5:8]
.LBB100_183:
	s_or_b32 exec_lo, exec_lo, s2
	s_waitcnt lgkmcnt(0)
	s_waitcnt_vscnt null, 0x0
	s_barrier
	buffer_gl0_inv
	s_clause 0x7
	scratch_load_b128 v[2:5], off, off offset:432
	scratch_load_b128 v[6:9], off, off offset:448
	;; [unrolled: 1-line block ×8, first 2 shown]
	ds_load_b128 v[34:37], v1 offset:1024
	ds_load_b128 v[42:45], v1 offset:1040
	s_clause 0x1
	scratch_load_b128 v[38:41], off, off offset:560
	scratch_load_b128 v[158:161], off, off offset:576
	s_mov_b32 s2, exec_lo
	s_waitcnt vmcnt(9) lgkmcnt(1)
	v_mul_f64 v[162:163], v[36:37], v[4:5]
	v_mul_f64 v[4:5], v[34:35], v[4:5]
	s_waitcnt vmcnt(8) lgkmcnt(0)
	v_mul_f64 v[164:165], v[42:43], v[8:9]
	v_mul_f64 v[8:9], v[44:45], v[8:9]
	s_delay_alu instid0(VALU_DEP_4) | instskip(NEXT) | instid1(VALU_DEP_4)
	v_fma_f64 v[34:35], v[34:35], v[2:3], -v[162:163]
	v_fma_f64 v[36:37], v[36:37], v[2:3], v[4:5]
	ds_load_b128 v[2:5], v1 offset:1056
	v_fma_f64 v[44:45], v[44:45], v[6:7], v[164:165]
	v_fma_f64 v[42:43], v[42:43], v[6:7], -v[8:9]
	ds_load_b128 v[6:9], v1 offset:1072
	s_waitcnt vmcnt(7) lgkmcnt(1)
	v_mul_f64 v[162:163], v[2:3], v[12:13]
	v_mul_f64 v[12:13], v[4:5], v[12:13]
	s_waitcnt vmcnt(6) lgkmcnt(0)
	v_mul_f64 v[164:165], v[6:7], v[16:17]
	v_mul_f64 v[16:17], v[8:9], v[16:17]
	v_add_f64 v[34:35], v[34:35], 0
	v_add_f64 v[36:37], v[36:37], 0
	v_fma_f64 v[162:163], v[4:5], v[10:11], v[162:163]
	v_fma_f64 v[166:167], v[2:3], v[10:11], -v[12:13]
	ds_load_b128 v[2:5], v1 offset:1088
	scratch_load_b128 v[10:13], off, off offset:416
	v_add_f64 v[34:35], v[34:35], v[42:43]
	v_add_f64 v[36:37], v[36:37], v[44:45]
	v_fma_f64 v[44:45], v[8:9], v[14:15], v[164:165]
	v_fma_f64 v[14:15], v[6:7], v[14:15], -v[16:17]
	ds_load_b128 v[6:9], v1 offset:1104
	s_waitcnt vmcnt(6) lgkmcnt(1)
	v_mul_f64 v[42:43], v[2:3], v[20:21]
	v_mul_f64 v[20:21], v[4:5], v[20:21]
	v_add_f64 v[16:17], v[34:35], v[166:167]
	v_add_f64 v[34:35], v[36:37], v[162:163]
	s_waitcnt vmcnt(5) lgkmcnt(0)
	v_mul_f64 v[36:37], v[6:7], v[24:25]
	v_mul_f64 v[24:25], v[8:9], v[24:25]
	v_fma_f64 v[42:43], v[4:5], v[18:19], v[42:43]
	v_fma_f64 v[18:19], v[2:3], v[18:19], -v[20:21]
	ds_load_b128 v[2:5], v1 offset:1120
	v_add_f64 v[14:15], v[16:17], v[14:15]
	v_add_f64 v[16:17], v[34:35], v[44:45]
	v_fma_f64 v[34:35], v[8:9], v[22:23], v[36:37]
	v_fma_f64 v[22:23], v[6:7], v[22:23], -v[24:25]
	ds_load_b128 v[6:9], v1 offset:1136
	s_waitcnt vmcnt(4) lgkmcnt(1)
	v_mul_f64 v[20:21], v[2:3], v[28:29]
	v_mul_f64 v[28:29], v[4:5], v[28:29]
	s_waitcnt vmcnt(3) lgkmcnt(0)
	v_mul_f64 v[24:25], v[8:9], v[32:33]
	v_add_f64 v[14:15], v[14:15], v[18:19]
	v_add_f64 v[16:17], v[16:17], v[42:43]
	v_mul_f64 v[18:19], v[6:7], v[32:33]
	v_fma_f64 v[20:21], v[4:5], v[26:27], v[20:21]
	v_fma_f64 v[26:27], v[2:3], v[26:27], -v[28:29]
	ds_load_b128 v[2:5], v1 offset:1152
	v_fma_f64 v[24:25], v[6:7], v[30:31], -v[24:25]
	v_add_f64 v[14:15], v[14:15], v[22:23]
	v_add_f64 v[16:17], v[16:17], v[34:35]
	v_fma_f64 v[18:19], v[8:9], v[30:31], v[18:19]
	ds_load_b128 v[6:9], v1 offset:1168
	s_waitcnt vmcnt(2) lgkmcnt(1)
	v_mul_f64 v[22:23], v[2:3], v[40:41]
	v_mul_f64 v[28:29], v[4:5], v[40:41]
	v_add_f64 v[14:15], v[14:15], v[26:27]
	v_add_f64 v[16:17], v[16:17], v[20:21]
	s_waitcnt vmcnt(1) lgkmcnt(0)
	v_mul_f64 v[20:21], v[6:7], v[160:161]
	v_mul_f64 v[26:27], v[8:9], v[160:161]
	v_fma_f64 v[4:5], v[4:5], v[38:39], v[22:23]
	v_fma_f64 v[1:2], v[2:3], v[38:39], -v[28:29]
	v_add_f64 v[14:15], v[14:15], v[24:25]
	v_add_f64 v[16:17], v[16:17], v[18:19]
	v_fma_f64 v[8:9], v[8:9], v[158:159], v[20:21]
	v_fma_f64 v[6:7], v[6:7], v[158:159], -v[26:27]
	s_delay_alu instid0(VALU_DEP_4) | instskip(NEXT) | instid1(VALU_DEP_4)
	v_add_f64 v[1:2], v[14:15], v[1:2]
	v_add_f64 v[3:4], v[16:17], v[4:5]
	s_delay_alu instid0(VALU_DEP_2) | instskip(NEXT) | instid1(VALU_DEP_2)
	v_add_f64 v[1:2], v[1:2], v[6:7]
	v_add_f64 v[3:4], v[3:4], v[8:9]
	s_waitcnt vmcnt(0)
	s_delay_alu instid0(VALU_DEP_2) | instskip(NEXT) | instid1(VALU_DEP_2)
	v_add_f64 v[1:2], v[10:11], -v[1:2]
	v_add_f64 v[3:4], v[12:13], -v[3:4]
	scratch_store_b128 off, v[1:4], off offset:416
	v_cmpx_lt_u32_e32 25, v120
	s_cbranch_execz .LBB100_185
; %bb.184:
	scratch_load_b128 v[1:4], v156, off
	v_mov_b32_e32 v5, 0
	s_delay_alu instid0(VALU_DEP_1)
	v_mov_b32_e32 v6, v5
	v_mov_b32_e32 v7, v5
	;; [unrolled: 1-line block ×3, first 2 shown]
	scratch_store_b128 off, v[5:8], off offset:400
	s_waitcnt vmcnt(0)
	ds_store_b128 v157, v[1:4]
.LBB100_185:
	s_or_b32 exec_lo, exec_lo, s2
	s_waitcnt lgkmcnt(0)
	s_waitcnt_vscnt null, 0x0
	s_barrier
	buffer_gl0_inv
	s_clause 0x7
	scratch_load_b128 v[2:5], off, off offset:416
	scratch_load_b128 v[6:9], off, off offset:432
	;; [unrolled: 1-line block ×8, first 2 shown]
	v_mov_b32_e32 v1, 0
	s_clause 0x1
	scratch_load_b128 v[38:41], off, off offset:544
	scratch_load_b128 v[158:161], off, off offset:560
	s_mov_b32 s2, exec_lo
	ds_load_b128 v[34:37], v1 offset:1008
	ds_load_b128 v[42:45], v1 offset:1024
	s_waitcnt vmcnt(9) lgkmcnt(1)
	v_mul_f64 v[162:163], v[36:37], v[4:5]
	v_mul_f64 v[4:5], v[34:35], v[4:5]
	s_waitcnt vmcnt(8) lgkmcnt(0)
	v_mul_f64 v[164:165], v[42:43], v[8:9]
	v_mul_f64 v[8:9], v[44:45], v[8:9]
	s_delay_alu instid0(VALU_DEP_4) | instskip(NEXT) | instid1(VALU_DEP_4)
	v_fma_f64 v[162:163], v[34:35], v[2:3], -v[162:163]
	v_fma_f64 v[166:167], v[36:37], v[2:3], v[4:5]
	ds_load_b128 v[2:5], v1 offset:1040
	scratch_load_b128 v[34:37], off, off offset:576
	v_fma_f64 v[44:45], v[44:45], v[6:7], v[164:165]
	v_fma_f64 v[42:43], v[42:43], v[6:7], -v[8:9]
	ds_load_b128 v[6:9], v1 offset:1056
	s_waitcnt vmcnt(8) lgkmcnt(1)
	v_mul_f64 v[168:169], v[2:3], v[12:13]
	v_mul_f64 v[12:13], v[4:5], v[12:13]
	v_add_f64 v[162:163], v[162:163], 0
	v_add_f64 v[164:165], v[166:167], 0
	s_waitcnt vmcnt(7) lgkmcnt(0)
	v_mul_f64 v[166:167], v[6:7], v[16:17]
	v_mul_f64 v[16:17], v[8:9], v[16:17]
	v_fma_f64 v[168:169], v[4:5], v[10:11], v[168:169]
	v_fma_f64 v[10:11], v[2:3], v[10:11], -v[12:13]
	ds_load_b128 v[2:5], v1 offset:1072
	v_add_f64 v[12:13], v[162:163], v[42:43]
	v_add_f64 v[42:43], v[164:165], v[44:45]
	v_fma_f64 v[162:163], v[8:9], v[14:15], v[166:167]
	v_fma_f64 v[14:15], v[6:7], v[14:15], -v[16:17]
	ds_load_b128 v[6:9], v1 offset:1088
	s_waitcnt vmcnt(6) lgkmcnt(1)
	v_mul_f64 v[44:45], v[2:3], v[20:21]
	v_mul_f64 v[20:21], v[4:5], v[20:21]
	s_waitcnt vmcnt(5) lgkmcnt(0)
	v_mul_f64 v[164:165], v[6:7], v[24:25]
	v_mul_f64 v[24:25], v[8:9], v[24:25]
	v_add_f64 v[16:17], v[12:13], v[10:11]
	v_add_f64 v[42:43], v[42:43], v[168:169]
	scratch_load_b128 v[10:13], off, off offset:400
	v_fma_f64 v[44:45], v[4:5], v[18:19], v[44:45]
	v_fma_f64 v[18:19], v[2:3], v[18:19], -v[20:21]
	ds_load_b128 v[2:5], v1 offset:1104
	v_add_f64 v[14:15], v[16:17], v[14:15]
	v_add_f64 v[16:17], v[42:43], v[162:163]
	v_fma_f64 v[42:43], v[8:9], v[22:23], v[164:165]
	v_fma_f64 v[22:23], v[6:7], v[22:23], -v[24:25]
	ds_load_b128 v[6:9], v1 offset:1120
	s_waitcnt vmcnt(5) lgkmcnt(1)
	v_mul_f64 v[20:21], v[2:3], v[28:29]
	v_mul_f64 v[28:29], v[4:5], v[28:29]
	s_waitcnt vmcnt(4) lgkmcnt(0)
	v_mul_f64 v[24:25], v[8:9], v[32:33]
	v_add_f64 v[14:15], v[14:15], v[18:19]
	v_add_f64 v[16:17], v[16:17], v[44:45]
	v_mul_f64 v[18:19], v[6:7], v[32:33]
	v_fma_f64 v[20:21], v[4:5], v[26:27], v[20:21]
	v_fma_f64 v[26:27], v[2:3], v[26:27], -v[28:29]
	ds_load_b128 v[2:5], v1 offset:1136
	v_fma_f64 v[24:25], v[6:7], v[30:31], -v[24:25]
	v_add_f64 v[14:15], v[14:15], v[22:23]
	v_add_f64 v[16:17], v[16:17], v[42:43]
	v_fma_f64 v[18:19], v[8:9], v[30:31], v[18:19]
	ds_load_b128 v[6:9], v1 offset:1152
	s_waitcnt vmcnt(3) lgkmcnt(1)
	v_mul_f64 v[22:23], v[2:3], v[40:41]
	v_mul_f64 v[28:29], v[4:5], v[40:41]
	v_add_f64 v[14:15], v[14:15], v[26:27]
	v_add_f64 v[16:17], v[16:17], v[20:21]
	s_waitcnt vmcnt(2) lgkmcnt(0)
	v_mul_f64 v[20:21], v[6:7], v[160:161]
	v_mul_f64 v[26:27], v[8:9], v[160:161]
	v_fma_f64 v[22:23], v[4:5], v[38:39], v[22:23]
	v_fma_f64 v[28:29], v[2:3], v[38:39], -v[28:29]
	ds_load_b128 v[2:5], v1 offset:1168
	v_add_f64 v[14:15], v[14:15], v[24:25]
	v_add_f64 v[16:17], v[16:17], v[18:19]
	v_fma_f64 v[8:9], v[8:9], v[158:159], v[20:21]
	v_fma_f64 v[6:7], v[6:7], v[158:159], -v[26:27]
	s_waitcnt vmcnt(1) lgkmcnt(0)
	v_mul_f64 v[18:19], v[2:3], v[36:37]
	v_mul_f64 v[24:25], v[4:5], v[36:37]
	v_add_f64 v[14:15], v[14:15], v[28:29]
	v_add_f64 v[16:17], v[16:17], v[22:23]
	s_delay_alu instid0(VALU_DEP_4) | instskip(NEXT) | instid1(VALU_DEP_4)
	v_fma_f64 v[4:5], v[4:5], v[34:35], v[18:19]
	v_fma_f64 v[2:3], v[2:3], v[34:35], -v[24:25]
	s_delay_alu instid0(VALU_DEP_4) | instskip(NEXT) | instid1(VALU_DEP_4)
	v_add_f64 v[6:7], v[14:15], v[6:7]
	v_add_f64 v[8:9], v[16:17], v[8:9]
	s_delay_alu instid0(VALU_DEP_2) | instskip(NEXT) | instid1(VALU_DEP_2)
	v_add_f64 v[2:3], v[6:7], v[2:3]
	v_add_f64 v[4:5], v[8:9], v[4:5]
	s_waitcnt vmcnt(0)
	s_delay_alu instid0(VALU_DEP_2) | instskip(NEXT) | instid1(VALU_DEP_2)
	v_add_f64 v[2:3], v[10:11], -v[2:3]
	v_add_f64 v[4:5], v[12:13], -v[4:5]
	scratch_store_b128 off, v[2:5], off offset:400
	v_cmpx_lt_u32_e32 24, v120
	s_cbranch_execz .LBB100_187
; %bb.186:
	scratch_load_b128 v[5:8], v125, off
	v_mov_b32_e32 v2, v1
	v_mov_b32_e32 v3, v1
	v_mov_b32_e32 v4, v1
	scratch_store_b128 off, v[1:4], off offset:384
	s_waitcnt vmcnt(0)
	ds_store_b128 v157, v[5:8]
.LBB100_187:
	s_or_b32 exec_lo, exec_lo, s2
	s_waitcnt lgkmcnt(0)
	s_waitcnt_vscnt null, 0x0
	s_barrier
	buffer_gl0_inv
	s_clause 0x8
	scratch_load_b128 v[2:5], off, off offset:400
	scratch_load_b128 v[6:9], off, off offset:416
	scratch_load_b128 v[10:13], off, off offset:432
	scratch_load_b128 v[14:17], off, off offset:448
	scratch_load_b128 v[18:21], off, off offset:464
	scratch_load_b128 v[22:25], off, off offset:480
	scratch_load_b128 v[26:29], off, off offset:496
	scratch_load_b128 v[30:33], off, off offset:512
	scratch_load_b128 v[34:37], off, off offset:528
	ds_load_b128 v[38:41], v1 offset:992
	ds_load_b128 v[42:45], v1 offset:1008
	s_clause 0x1
	scratch_load_b128 v[158:161], off, off offset:384
	scratch_load_b128 v[162:165], off, off offset:544
	s_mov_b32 s2, exec_lo
	s_waitcnt vmcnt(10) lgkmcnt(1)
	v_mul_f64 v[166:167], v[40:41], v[4:5]
	v_mul_f64 v[4:5], v[38:39], v[4:5]
	s_waitcnt vmcnt(9) lgkmcnt(0)
	v_mul_f64 v[170:171], v[42:43], v[8:9]
	v_mul_f64 v[8:9], v[44:45], v[8:9]
	s_delay_alu instid0(VALU_DEP_4) | instskip(NEXT) | instid1(VALU_DEP_4)
	v_fma_f64 v[172:173], v[38:39], v[2:3], -v[166:167]
	v_fma_f64 v[174:175], v[40:41], v[2:3], v[4:5]
	ds_load_b128 v[2:5], v1 offset:1024
	ds_load_b128 v[166:169], v1 offset:1040
	scratch_load_b128 v[38:41], off, off offset:560
	v_fma_f64 v[44:45], v[44:45], v[6:7], v[170:171]
	v_fma_f64 v[42:43], v[42:43], v[6:7], -v[8:9]
	scratch_load_b128 v[6:9], off, off offset:576
	s_waitcnt vmcnt(10) lgkmcnt(1)
	v_mul_f64 v[176:177], v[2:3], v[12:13]
	v_mul_f64 v[12:13], v[4:5], v[12:13]
	v_add_f64 v[170:171], v[172:173], 0
	v_add_f64 v[172:173], v[174:175], 0
	s_waitcnt vmcnt(9) lgkmcnt(0)
	v_mul_f64 v[174:175], v[166:167], v[16:17]
	v_mul_f64 v[16:17], v[168:169], v[16:17]
	v_fma_f64 v[176:177], v[4:5], v[10:11], v[176:177]
	v_fma_f64 v[178:179], v[2:3], v[10:11], -v[12:13]
	ds_load_b128 v[2:5], v1 offset:1056
	ds_load_b128 v[10:13], v1 offset:1072
	v_add_f64 v[42:43], v[170:171], v[42:43]
	v_add_f64 v[44:45], v[172:173], v[44:45]
	v_fma_f64 v[168:169], v[168:169], v[14:15], v[174:175]
	v_fma_f64 v[14:15], v[166:167], v[14:15], -v[16:17]
	s_waitcnt vmcnt(8) lgkmcnt(1)
	v_mul_f64 v[170:171], v[2:3], v[20:21]
	v_mul_f64 v[20:21], v[4:5], v[20:21]
	v_add_f64 v[16:17], v[42:43], v[178:179]
	v_add_f64 v[42:43], v[44:45], v[176:177]
	s_waitcnt vmcnt(7) lgkmcnt(0)
	v_mul_f64 v[44:45], v[10:11], v[24:25]
	v_mul_f64 v[24:25], v[12:13], v[24:25]
	v_fma_f64 v[166:167], v[4:5], v[18:19], v[170:171]
	v_fma_f64 v[18:19], v[2:3], v[18:19], -v[20:21]
	v_add_f64 v[20:21], v[16:17], v[14:15]
	v_add_f64 v[42:43], v[42:43], v[168:169]
	ds_load_b128 v[2:5], v1 offset:1088
	ds_load_b128 v[14:17], v1 offset:1104
	v_fma_f64 v[12:13], v[12:13], v[22:23], v[44:45]
	v_fma_f64 v[10:11], v[10:11], v[22:23], -v[24:25]
	s_waitcnt vmcnt(6) lgkmcnt(1)
	v_mul_f64 v[168:169], v[2:3], v[28:29]
	v_mul_f64 v[28:29], v[4:5], v[28:29]
	s_waitcnt vmcnt(5) lgkmcnt(0)
	v_mul_f64 v[22:23], v[14:15], v[32:33]
	v_mul_f64 v[24:25], v[16:17], v[32:33]
	v_add_f64 v[18:19], v[20:21], v[18:19]
	v_add_f64 v[20:21], v[42:43], v[166:167]
	v_fma_f64 v[32:33], v[4:5], v[26:27], v[168:169]
	v_fma_f64 v[26:27], v[2:3], v[26:27], -v[28:29]
	v_fma_f64 v[16:17], v[16:17], v[30:31], v[22:23]
	v_fma_f64 v[14:15], v[14:15], v[30:31], -v[24:25]
	v_add_f64 v[18:19], v[18:19], v[10:11]
	v_add_f64 v[20:21], v[20:21], v[12:13]
	ds_load_b128 v[2:5], v1 offset:1120
	ds_load_b128 v[10:13], v1 offset:1136
	s_waitcnt vmcnt(4) lgkmcnt(1)
	v_mul_f64 v[28:29], v[2:3], v[36:37]
	v_mul_f64 v[36:37], v[4:5], v[36:37]
	s_waitcnt vmcnt(2) lgkmcnt(0)
	v_mul_f64 v[22:23], v[10:11], v[164:165]
	v_mul_f64 v[24:25], v[12:13], v[164:165]
	v_add_f64 v[18:19], v[18:19], v[26:27]
	v_add_f64 v[20:21], v[20:21], v[32:33]
	v_fma_f64 v[26:27], v[4:5], v[34:35], v[28:29]
	v_fma_f64 v[28:29], v[2:3], v[34:35], -v[36:37]
	v_fma_f64 v[12:13], v[12:13], v[162:163], v[22:23]
	v_fma_f64 v[10:11], v[10:11], v[162:163], -v[24:25]
	v_add_f64 v[18:19], v[18:19], v[14:15]
	v_add_f64 v[20:21], v[20:21], v[16:17]
	ds_load_b128 v[2:5], v1 offset:1152
	ds_load_b128 v[14:17], v1 offset:1168
	s_waitcnt vmcnt(1) lgkmcnt(1)
	v_mul_f64 v[30:31], v[2:3], v[40:41]
	v_mul_f64 v[32:33], v[4:5], v[40:41]
	s_waitcnt vmcnt(0) lgkmcnt(0)
	v_mul_f64 v[22:23], v[14:15], v[8:9]
	v_mul_f64 v[8:9], v[16:17], v[8:9]
	v_add_f64 v[18:19], v[18:19], v[28:29]
	v_add_f64 v[20:21], v[20:21], v[26:27]
	v_fma_f64 v[4:5], v[4:5], v[38:39], v[30:31]
	v_fma_f64 v[1:2], v[2:3], v[38:39], -v[32:33]
	v_fma_f64 v[16:17], v[16:17], v[6:7], v[22:23]
	v_fma_f64 v[6:7], v[14:15], v[6:7], -v[8:9]
	v_add_f64 v[10:11], v[18:19], v[10:11]
	v_add_f64 v[12:13], v[20:21], v[12:13]
	s_delay_alu instid0(VALU_DEP_2) | instskip(NEXT) | instid1(VALU_DEP_2)
	v_add_f64 v[1:2], v[10:11], v[1:2]
	v_add_f64 v[3:4], v[12:13], v[4:5]
	s_delay_alu instid0(VALU_DEP_2) | instskip(NEXT) | instid1(VALU_DEP_2)
	;; [unrolled: 3-line block ×3, first 2 shown]
	v_add_f64 v[1:2], v[158:159], -v[1:2]
	v_add_f64 v[3:4], v[160:161], -v[3:4]
	scratch_store_b128 off, v[1:4], off offset:384
	v_cmpx_lt_u32_e32 23, v120
	s_cbranch_execz .LBB100_189
; %bb.188:
	scratch_load_b128 v[1:4], v127, off
	v_mov_b32_e32 v5, 0
	s_delay_alu instid0(VALU_DEP_1)
	v_mov_b32_e32 v6, v5
	v_mov_b32_e32 v7, v5
	;; [unrolled: 1-line block ×3, first 2 shown]
	scratch_store_b128 off, v[5:8], off offset:368
	s_waitcnt vmcnt(0)
	ds_store_b128 v157, v[1:4]
.LBB100_189:
	s_or_b32 exec_lo, exec_lo, s2
	s_waitcnt lgkmcnt(0)
	s_waitcnt_vscnt null, 0x0
	s_barrier
	buffer_gl0_inv
	s_clause 0x7
	scratch_load_b128 v[2:5], off, off offset:384
	scratch_load_b128 v[6:9], off, off offset:400
	scratch_load_b128 v[10:13], off, off offset:416
	scratch_load_b128 v[14:17], off, off offset:432
	scratch_load_b128 v[18:21], off, off offset:448
	scratch_load_b128 v[22:25], off, off offset:464
	scratch_load_b128 v[26:29], off, off offset:480
	scratch_load_b128 v[30:33], off, off offset:496
	v_mov_b32_e32 v1, 0
	s_mov_b32 s2, exec_lo
	ds_load_b128 v[34:37], v1 offset:976
	s_clause 0x1
	scratch_load_b128 v[38:41], off, off offset:512
	scratch_load_b128 v[42:45], off, off offset:368
	ds_load_b128 v[158:161], v1 offset:992
	scratch_load_b128 v[162:165], off, off offset:528
	s_waitcnt vmcnt(10) lgkmcnt(1)
	v_mul_f64 v[166:167], v[36:37], v[4:5]
	v_mul_f64 v[4:5], v[34:35], v[4:5]
	s_delay_alu instid0(VALU_DEP_2) | instskip(NEXT) | instid1(VALU_DEP_2)
	v_fma_f64 v[172:173], v[34:35], v[2:3], -v[166:167]
	v_fma_f64 v[174:175], v[36:37], v[2:3], v[4:5]
	scratch_load_b128 v[34:37], off, off offset:544
	ds_load_b128 v[2:5], v1 offset:1008
	s_waitcnt vmcnt(10) lgkmcnt(1)
	v_mul_f64 v[170:171], v[158:159], v[8:9]
	v_mul_f64 v[8:9], v[160:161], v[8:9]
	ds_load_b128 v[166:169], v1 offset:1024
	s_waitcnt vmcnt(9) lgkmcnt(1)
	v_mul_f64 v[176:177], v[2:3], v[12:13]
	v_mul_f64 v[12:13], v[4:5], v[12:13]
	v_fma_f64 v[160:161], v[160:161], v[6:7], v[170:171]
	v_fma_f64 v[158:159], v[158:159], v[6:7], -v[8:9]
	v_add_f64 v[170:171], v[172:173], 0
	v_add_f64 v[172:173], v[174:175], 0
	scratch_load_b128 v[6:9], off, off offset:560
	v_fma_f64 v[176:177], v[4:5], v[10:11], v[176:177]
	v_fma_f64 v[178:179], v[2:3], v[10:11], -v[12:13]
	scratch_load_b128 v[10:13], off, off offset:576
	ds_load_b128 v[2:5], v1 offset:1040
	s_waitcnt vmcnt(10) lgkmcnt(1)
	v_mul_f64 v[174:175], v[166:167], v[16:17]
	v_mul_f64 v[16:17], v[168:169], v[16:17]
	v_add_f64 v[170:171], v[170:171], v[158:159]
	v_add_f64 v[172:173], v[172:173], v[160:161]
	s_waitcnt vmcnt(9) lgkmcnt(0)
	v_mul_f64 v[180:181], v[2:3], v[20:21]
	v_mul_f64 v[20:21], v[4:5], v[20:21]
	ds_load_b128 v[158:161], v1 offset:1056
	v_fma_f64 v[168:169], v[168:169], v[14:15], v[174:175]
	v_fma_f64 v[14:15], v[166:167], v[14:15], -v[16:17]
	v_add_f64 v[16:17], v[170:171], v[178:179]
	v_add_f64 v[166:167], v[172:173], v[176:177]
	s_waitcnt vmcnt(8) lgkmcnt(0)
	v_mul_f64 v[170:171], v[158:159], v[24:25]
	v_mul_f64 v[24:25], v[160:161], v[24:25]
	v_fma_f64 v[172:173], v[4:5], v[18:19], v[180:181]
	v_fma_f64 v[18:19], v[2:3], v[18:19], -v[20:21]
	v_add_f64 v[20:21], v[16:17], v[14:15]
	v_add_f64 v[166:167], v[166:167], v[168:169]
	ds_load_b128 v[2:5], v1 offset:1072
	ds_load_b128 v[14:17], v1 offset:1088
	v_fma_f64 v[160:161], v[160:161], v[22:23], v[170:171]
	v_fma_f64 v[22:23], v[158:159], v[22:23], -v[24:25]
	s_waitcnt vmcnt(7) lgkmcnt(1)
	v_mul_f64 v[168:169], v[2:3], v[28:29]
	v_mul_f64 v[28:29], v[4:5], v[28:29]
	s_waitcnt vmcnt(6) lgkmcnt(0)
	v_mul_f64 v[24:25], v[14:15], v[32:33]
	v_mul_f64 v[32:33], v[16:17], v[32:33]
	v_add_f64 v[18:19], v[20:21], v[18:19]
	v_add_f64 v[20:21], v[166:167], v[172:173]
	v_fma_f64 v[158:159], v[4:5], v[26:27], v[168:169]
	v_fma_f64 v[26:27], v[2:3], v[26:27], -v[28:29]
	v_fma_f64 v[16:17], v[16:17], v[30:31], v[24:25]
	v_fma_f64 v[14:15], v[14:15], v[30:31], -v[32:33]
	v_add_f64 v[22:23], v[18:19], v[22:23]
	v_add_f64 v[28:29], v[20:21], v[160:161]
	ds_load_b128 v[2:5], v1 offset:1104
	ds_load_b128 v[18:21], v1 offset:1120
	s_waitcnt vmcnt(5) lgkmcnt(1)
	v_mul_f64 v[160:161], v[2:3], v[40:41]
	v_mul_f64 v[40:41], v[4:5], v[40:41]
	v_add_f64 v[22:23], v[22:23], v[26:27]
	v_add_f64 v[24:25], v[28:29], v[158:159]
	s_waitcnt vmcnt(3) lgkmcnt(0)
	v_mul_f64 v[26:27], v[18:19], v[164:165]
	v_mul_f64 v[28:29], v[20:21], v[164:165]
	v_fma_f64 v[30:31], v[4:5], v[38:39], v[160:161]
	v_fma_f64 v[32:33], v[2:3], v[38:39], -v[40:41]
	v_add_f64 v[22:23], v[22:23], v[14:15]
	v_add_f64 v[24:25], v[24:25], v[16:17]
	ds_load_b128 v[2:5], v1 offset:1136
	ds_load_b128 v[14:17], v1 offset:1152
	v_fma_f64 v[20:21], v[20:21], v[162:163], v[26:27]
	v_fma_f64 v[18:19], v[18:19], v[162:163], -v[28:29]
	s_waitcnt vmcnt(2) lgkmcnt(1)
	v_mul_f64 v[38:39], v[2:3], v[36:37]
	v_mul_f64 v[36:37], v[4:5], v[36:37]
	v_add_f64 v[22:23], v[22:23], v[32:33]
	v_add_f64 v[24:25], v[24:25], v[30:31]
	s_waitcnt vmcnt(1) lgkmcnt(0)
	v_mul_f64 v[26:27], v[14:15], v[8:9]
	v_mul_f64 v[8:9], v[16:17], v[8:9]
	v_fma_f64 v[28:29], v[4:5], v[34:35], v[38:39]
	v_fma_f64 v[30:31], v[2:3], v[34:35], -v[36:37]
	ds_load_b128 v[2:5], v1 offset:1168
	v_add_f64 v[18:19], v[22:23], v[18:19]
	v_add_f64 v[20:21], v[24:25], v[20:21]
	s_waitcnt vmcnt(0) lgkmcnt(0)
	v_mul_f64 v[22:23], v[2:3], v[12:13]
	v_mul_f64 v[12:13], v[4:5], v[12:13]
	v_fma_f64 v[16:17], v[16:17], v[6:7], v[26:27]
	v_fma_f64 v[6:7], v[14:15], v[6:7], -v[8:9]
	v_add_f64 v[8:9], v[18:19], v[30:31]
	v_add_f64 v[14:15], v[20:21], v[28:29]
	v_fma_f64 v[4:5], v[4:5], v[10:11], v[22:23]
	v_fma_f64 v[2:3], v[2:3], v[10:11], -v[12:13]
	s_delay_alu instid0(VALU_DEP_4) | instskip(NEXT) | instid1(VALU_DEP_4)
	v_add_f64 v[6:7], v[8:9], v[6:7]
	v_add_f64 v[8:9], v[14:15], v[16:17]
	s_delay_alu instid0(VALU_DEP_2) | instskip(NEXT) | instid1(VALU_DEP_2)
	v_add_f64 v[2:3], v[6:7], v[2:3]
	v_add_f64 v[4:5], v[8:9], v[4:5]
	s_delay_alu instid0(VALU_DEP_2) | instskip(NEXT) | instid1(VALU_DEP_2)
	v_add_f64 v[2:3], v[42:43], -v[2:3]
	v_add_f64 v[4:5], v[44:45], -v[4:5]
	scratch_store_b128 off, v[2:5], off offset:368
	v_cmpx_lt_u32_e32 22, v120
	s_cbranch_execz .LBB100_191
; %bb.190:
	scratch_load_b128 v[5:8], v129, off
	v_mov_b32_e32 v2, v1
	v_mov_b32_e32 v3, v1
	;; [unrolled: 1-line block ×3, first 2 shown]
	scratch_store_b128 off, v[1:4], off offset:352
	s_waitcnt vmcnt(0)
	ds_store_b128 v157, v[5:8]
.LBB100_191:
	s_or_b32 exec_lo, exec_lo, s2
	s_waitcnt lgkmcnt(0)
	s_waitcnt_vscnt null, 0x0
	s_barrier
	buffer_gl0_inv
	s_clause 0x8
	scratch_load_b128 v[2:5], off, off offset:368
	scratch_load_b128 v[6:9], off, off offset:384
	scratch_load_b128 v[10:13], off, off offset:400
	scratch_load_b128 v[14:17], off, off offset:416
	scratch_load_b128 v[18:21], off, off offset:432
	scratch_load_b128 v[22:25], off, off offset:448
	scratch_load_b128 v[26:29], off, off offset:464
	scratch_load_b128 v[30:33], off, off offset:480
	scratch_load_b128 v[34:37], off, off offset:496
	ds_load_b128 v[38:41], v1 offset:960
	ds_load_b128 v[42:45], v1 offset:976
	s_clause 0x1
	scratch_load_b128 v[158:161], off, off offset:352
	scratch_load_b128 v[162:165], off, off offset:512
	s_mov_b32 s2, exec_lo
	s_waitcnt vmcnt(10) lgkmcnt(1)
	v_mul_f64 v[166:167], v[40:41], v[4:5]
	v_mul_f64 v[4:5], v[38:39], v[4:5]
	s_waitcnt vmcnt(9) lgkmcnt(0)
	v_mul_f64 v[170:171], v[42:43], v[8:9]
	v_mul_f64 v[8:9], v[44:45], v[8:9]
	s_delay_alu instid0(VALU_DEP_4) | instskip(NEXT) | instid1(VALU_DEP_4)
	v_fma_f64 v[172:173], v[38:39], v[2:3], -v[166:167]
	v_fma_f64 v[174:175], v[40:41], v[2:3], v[4:5]
	ds_load_b128 v[2:5], v1 offset:992
	ds_load_b128 v[166:169], v1 offset:1008
	scratch_load_b128 v[38:41], off, off offset:528
	v_fma_f64 v[44:45], v[44:45], v[6:7], v[170:171]
	v_fma_f64 v[42:43], v[42:43], v[6:7], -v[8:9]
	scratch_load_b128 v[6:9], off, off offset:544
	s_waitcnt vmcnt(10) lgkmcnt(1)
	v_mul_f64 v[176:177], v[2:3], v[12:13]
	v_mul_f64 v[12:13], v[4:5], v[12:13]
	v_add_f64 v[170:171], v[172:173], 0
	v_add_f64 v[172:173], v[174:175], 0
	s_waitcnt vmcnt(9) lgkmcnt(0)
	v_mul_f64 v[174:175], v[166:167], v[16:17]
	v_mul_f64 v[16:17], v[168:169], v[16:17]
	v_fma_f64 v[176:177], v[4:5], v[10:11], v[176:177]
	v_fma_f64 v[178:179], v[2:3], v[10:11], -v[12:13]
	ds_load_b128 v[2:5], v1 offset:1024
	scratch_load_b128 v[10:13], off, off offset:560
	v_add_f64 v[170:171], v[170:171], v[42:43]
	v_add_f64 v[172:173], v[172:173], v[44:45]
	ds_load_b128 v[42:45], v1 offset:1040
	v_fma_f64 v[168:169], v[168:169], v[14:15], v[174:175]
	v_fma_f64 v[166:167], v[166:167], v[14:15], -v[16:17]
	scratch_load_b128 v[14:17], off, off offset:576
	s_waitcnt vmcnt(10) lgkmcnt(1)
	v_mul_f64 v[180:181], v[2:3], v[20:21]
	v_mul_f64 v[20:21], v[4:5], v[20:21]
	s_waitcnt vmcnt(9) lgkmcnt(0)
	v_mul_f64 v[174:175], v[42:43], v[24:25]
	v_mul_f64 v[24:25], v[44:45], v[24:25]
	v_add_f64 v[170:171], v[170:171], v[178:179]
	v_add_f64 v[172:173], v[172:173], v[176:177]
	v_fma_f64 v[176:177], v[4:5], v[18:19], v[180:181]
	v_fma_f64 v[178:179], v[2:3], v[18:19], -v[20:21]
	ds_load_b128 v[2:5], v1 offset:1056
	ds_load_b128 v[18:21], v1 offset:1072
	v_fma_f64 v[44:45], v[44:45], v[22:23], v[174:175]
	v_fma_f64 v[22:23], v[42:43], v[22:23], -v[24:25]
	v_add_f64 v[166:167], v[170:171], v[166:167]
	v_add_f64 v[168:169], v[172:173], v[168:169]
	s_waitcnt vmcnt(8) lgkmcnt(1)
	v_mul_f64 v[170:171], v[2:3], v[28:29]
	v_mul_f64 v[28:29], v[4:5], v[28:29]
	s_delay_alu instid0(VALU_DEP_4) | instskip(NEXT) | instid1(VALU_DEP_4)
	v_add_f64 v[24:25], v[166:167], v[178:179]
	v_add_f64 v[42:43], v[168:169], v[176:177]
	s_waitcnt vmcnt(7) lgkmcnt(0)
	v_mul_f64 v[166:167], v[18:19], v[32:33]
	v_mul_f64 v[32:33], v[20:21], v[32:33]
	v_fma_f64 v[168:169], v[4:5], v[26:27], v[170:171]
	v_fma_f64 v[26:27], v[2:3], v[26:27], -v[28:29]
	v_add_f64 v[28:29], v[24:25], v[22:23]
	v_add_f64 v[42:43], v[42:43], v[44:45]
	ds_load_b128 v[2:5], v1 offset:1088
	ds_load_b128 v[22:25], v1 offset:1104
	v_fma_f64 v[20:21], v[20:21], v[30:31], v[166:167]
	v_fma_f64 v[18:19], v[18:19], v[30:31], -v[32:33]
	s_waitcnt vmcnt(6) lgkmcnt(1)
	v_mul_f64 v[44:45], v[2:3], v[36:37]
	v_mul_f64 v[36:37], v[4:5], v[36:37]
	s_waitcnt vmcnt(4) lgkmcnt(0)
	v_mul_f64 v[30:31], v[22:23], v[164:165]
	v_mul_f64 v[32:33], v[24:25], v[164:165]
	v_add_f64 v[26:27], v[28:29], v[26:27]
	v_add_f64 v[28:29], v[42:43], v[168:169]
	v_fma_f64 v[42:43], v[4:5], v[34:35], v[44:45]
	v_fma_f64 v[34:35], v[2:3], v[34:35], -v[36:37]
	v_fma_f64 v[24:25], v[24:25], v[162:163], v[30:31]
	v_fma_f64 v[22:23], v[22:23], v[162:163], -v[32:33]
	v_add_f64 v[26:27], v[26:27], v[18:19]
	v_add_f64 v[28:29], v[28:29], v[20:21]
	ds_load_b128 v[2:5], v1 offset:1120
	ds_load_b128 v[18:21], v1 offset:1136
	s_waitcnt vmcnt(3) lgkmcnt(1)
	v_mul_f64 v[36:37], v[2:3], v[40:41]
	v_mul_f64 v[40:41], v[4:5], v[40:41]
	s_waitcnt vmcnt(2) lgkmcnt(0)
	v_mul_f64 v[30:31], v[18:19], v[8:9]
	v_mul_f64 v[8:9], v[20:21], v[8:9]
	v_add_f64 v[26:27], v[26:27], v[34:35]
	v_add_f64 v[28:29], v[28:29], v[42:43]
	v_fma_f64 v[32:33], v[4:5], v[38:39], v[36:37]
	v_fma_f64 v[34:35], v[2:3], v[38:39], -v[40:41]
	v_fma_f64 v[20:21], v[20:21], v[6:7], v[30:31]
	v_fma_f64 v[6:7], v[18:19], v[6:7], -v[8:9]
	v_add_f64 v[26:27], v[26:27], v[22:23]
	v_add_f64 v[28:29], v[28:29], v[24:25]
	ds_load_b128 v[2:5], v1 offset:1152
	ds_load_b128 v[22:25], v1 offset:1168
	s_waitcnt vmcnt(1) lgkmcnt(1)
	v_mul_f64 v[36:37], v[2:3], v[12:13]
	v_mul_f64 v[12:13], v[4:5], v[12:13]
	v_add_f64 v[8:9], v[26:27], v[34:35]
	v_add_f64 v[18:19], v[28:29], v[32:33]
	s_waitcnt vmcnt(0) lgkmcnt(0)
	v_mul_f64 v[26:27], v[22:23], v[16:17]
	v_mul_f64 v[16:17], v[24:25], v[16:17]
	v_fma_f64 v[4:5], v[4:5], v[10:11], v[36:37]
	v_fma_f64 v[1:2], v[2:3], v[10:11], -v[12:13]
	v_add_f64 v[6:7], v[8:9], v[6:7]
	v_add_f64 v[8:9], v[18:19], v[20:21]
	v_fma_f64 v[10:11], v[24:25], v[14:15], v[26:27]
	v_fma_f64 v[12:13], v[22:23], v[14:15], -v[16:17]
	s_delay_alu instid0(VALU_DEP_4) | instskip(NEXT) | instid1(VALU_DEP_4)
	v_add_f64 v[1:2], v[6:7], v[1:2]
	v_add_f64 v[3:4], v[8:9], v[4:5]
	s_delay_alu instid0(VALU_DEP_2) | instskip(NEXT) | instid1(VALU_DEP_2)
	v_add_f64 v[1:2], v[1:2], v[12:13]
	v_add_f64 v[3:4], v[3:4], v[10:11]
	s_delay_alu instid0(VALU_DEP_2) | instskip(NEXT) | instid1(VALU_DEP_2)
	v_add_f64 v[1:2], v[158:159], -v[1:2]
	v_add_f64 v[3:4], v[160:161], -v[3:4]
	scratch_store_b128 off, v[1:4], off offset:352
	v_cmpx_lt_u32_e32 21, v120
	s_cbranch_execz .LBB100_193
; %bb.192:
	scratch_load_b128 v[1:4], v130, off
	v_mov_b32_e32 v5, 0
	s_delay_alu instid0(VALU_DEP_1)
	v_mov_b32_e32 v6, v5
	v_mov_b32_e32 v7, v5
	;; [unrolled: 1-line block ×3, first 2 shown]
	scratch_store_b128 off, v[5:8], off offset:336
	s_waitcnt vmcnt(0)
	ds_store_b128 v157, v[1:4]
.LBB100_193:
	s_or_b32 exec_lo, exec_lo, s2
	s_waitcnt lgkmcnt(0)
	s_waitcnt_vscnt null, 0x0
	s_barrier
	buffer_gl0_inv
	s_clause 0x7
	scratch_load_b128 v[2:5], off, off offset:352
	scratch_load_b128 v[6:9], off, off offset:368
	;; [unrolled: 1-line block ×8, first 2 shown]
	v_mov_b32_e32 v1, 0
	s_mov_b32 s2, exec_lo
	ds_load_b128 v[34:37], v1 offset:944
	s_clause 0x1
	scratch_load_b128 v[38:41], off, off offset:480
	scratch_load_b128 v[42:45], off, off offset:336
	ds_load_b128 v[158:161], v1 offset:960
	scratch_load_b128 v[162:165], off, off offset:496
	s_waitcnt vmcnt(10) lgkmcnt(1)
	v_mul_f64 v[166:167], v[36:37], v[4:5]
	v_mul_f64 v[4:5], v[34:35], v[4:5]
	s_delay_alu instid0(VALU_DEP_2) | instskip(NEXT) | instid1(VALU_DEP_2)
	v_fma_f64 v[172:173], v[34:35], v[2:3], -v[166:167]
	v_fma_f64 v[174:175], v[36:37], v[2:3], v[4:5]
	scratch_load_b128 v[34:37], off, off offset:512
	ds_load_b128 v[2:5], v1 offset:976
	s_waitcnt vmcnt(10) lgkmcnt(1)
	v_mul_f64 v[170:171], v[158:159], v[8:9]
	v_mul_f64 v[8:9], v[160:161], v[8:9]
	ds_load_b128 v[166:169], v1 offset:992
	s_waitcnt vmcnt(9) lgkmcnt(1)
	v_mul_f64 v[176:177], v[2:3], v[12:13]
	v_mul_f64 v[12:13], v[4:5], v[12:13]
	v_fma_f64 v[160:161], v[160:161], v[6:7], v[170:171]
	v_fma_f64 v[158:159], v[158:159], v[6:7], -v[8:9]
	v_add_f64 v[170:171], v[172:173], 0
	v_add_f64 v[172:173], v[174:175], 0
	scratch_load_b128 v[6:9], off, off offset:528
	v_fma_f64 v[176:177], v[4:5], v[10:11], v[176:177]
	v_fma_f64 v[178:179], v[2:3], v[10:11], -v[12:13]
	scratch_load_b128 v[10:13], off, off offset:544
	ds_load_b128 v[2:5], v1 offset:1008
	s_waitcnt vmcnt(10) lgkmcnt(1)
	v_mul_f64 v[174:175], v[166:167], v[16:17]
	v_mul_f64 v[16:17], v[168:169], v[16:17]
	v_add_f64 v[170:171], v[170:171], v[158:159]
	v_add_f64 v[172:173], v[172:173], v[160:161]
	s_waitcnt vmcnt(9) lgkmcnt(0)
	v_mul_f64 v[180:181], v[2:3], v[20:21]
	v_mul_f64 v[20:21], v[4:5], v[20:21]
	ds_load_b128 v[158:161], v1 offset:1024
	v_fma_f64 v[168:169], v[168:169], v[14:15], v[174:175]
	v_fma_f64 v[166:167], v[166:167], v[14:15], -v[16:17]
	scratch_load_b128 v[14:17], off, off offset:560
	v_add_f64 v[170:171], v[170:171], v[178:179]
	v_add_f64 v[172:173], v[172:173], v[176:177]
	v_fma_f64 v[176:177], v[4:5], v[18:19], v[180:181]
	v_fma_f64 v[178:179], v[2:3], v[18:19], -v[20:21]
	scratch_load_b128 v[18:21], off, off offset:576
	ds_load_b128 v[2:5], v1 offset:1040
	s_waitcnt vmcnt(10) lgkmcnt(1)
	v_mul_f64 v[174:175], v[158:159], v[24:25]
	v_mul_f64 v[24:25], v[160:161], v[24:25]
	s_waitcnt vmcnt(9) lgkmcnt(0)
	v_mul_f64 v[180:181], v[2:3], v[28:29]
	v_mul_f64 v[28:29], v[4:5], v[28:29]
	v_add_f64 v[170:171], v[170:171], v[166:167]
	v_add_f64 v[172:173], v[172:173], v[168:169]
	ds_load_b128 v[166:169], v1 offset:1056
	v_fma_f64 v[160:161], v[160:161], v[22:23], v[174:175]
	v_fma_f64 v[22:23], v[158:159], v[22:23], -v[24:25]
	v_add_f64 v[24:25], v[170:171], v[178:179]
	v_add_f64 v[158:159], v[172:173], v[176:177]
	s_waitcnt vmcnt(8) lgkmcnt(0)
	v_mul_f64 v[170:171], v[166:167], v[32:33]
	v_mul_f64 v[32:33], v[168:169], v[32:33]
	v_fma_f64 v[172:173], v[4:5], v[26:27], v[180:181]
	v_fma_f64 v[26:27], v[2:3], v[26:27], -v[28:29]
	v_add_f64 v[28:29], v[24:25], v[22:23]
	v_add_f64 v[158:159], v[158:159], v[160:161]
	ds_load_b128 v[2:5], v1 offset:1072
	ds_load_b128 v[22:25], v1 offset:1088
	v_fma_f64 v[168:169], v[168:169], v[30:31], v[170:171]
	v_fma_f64 v[30:31], v[166:167], v[30:31], -v[32:33]
	s_waitcnt vmcnt(7) lgkmcnt(1)
	v_mul_f64 v[160:161], v[2:3], v[40:41]
	v_mul_f64 v[40:41], v[4:5], v[40:41]
	s_waitcnt vmcnt(5) lgkmcnt(0)
	v_mul_f64 v[32:33], v[22:23], v[164:165]
	v_add_f64 v[26:27], v[28:29], v[26:27]
	v_add_f64 v[28:29], v[158:159], v[172:173]
	v_mul_f64 v[158:159], v[24:25], v[164:165]
	v_fma_f64 v[160:161], v[4:5], v[38:39], v[160:161]
	v_fma_f64 v[38:39], v[2:3], v[38:39], -v[40:41]
	v_fma_f64 v[24:25], v[24:25], v[162:163], v[32:33]
	v_add_f64 v[30:31], v[26:27], v[30:31]
	v_add_f64 v[40:41], v[28:29], v[168:169]
	ds_load_b128 v[2:5], v1 offset:1104
	ds_load_b128 v[26:29], v1 offset:1120
	v_fma_f64 v[22:23], v[22:23], v[162:163], -v[158:159]
	s_waitcnt vmcnt(4) lgkmcnt(1)
	v_mul_f64 v[164:165], v[2:3], v[36:37]
	v_mul_f64 v[36:37], v[4:5], v[36:37]
	v_add_f64 v[30:31], v[30:31], v[38:39]
	v_add_f64 v[32:33], v[40:41], v[160:161]
	s_waitcnt vmcnt(3) lgkmcnt(0)
	v_mul_f64 v[38:39], v[26:27], v[8:9]
	v_mul_f64 v[8:9], v[28:29], v[8:9]
	v_fma_f64 v[40:41], v[4:5], v[34:35], v[164:165]
	v_fma_f64 v[34:35], v[2:3], v[34:35], -v[36:37]
	v_add_f64 v[30:31], v[30:31], v[22:23]
	v_add_f64 v[32:33], v[32:33], v[24:25]
	ds_load_b128 v[2:5], v1 offset:1136
	ds_load_b128 v[22:25], v1 offset:1152
	v_fma_f64 v[28:29], v[28:29], v[6:7], v[38:39]
	v_fma_f64 v[6:7], v[26:27], v[6:7], -v[8:9]
	s_waitcnt vmcnt(2) lgkmcnt(1)
	v_mul_f64 v[36:37], v[2:3], v[12:13]
	v_mul_f64 v[12:13], v[4:5], v[12:13]
	v_add_f64 v[8:9], v[30:31], v[34:35]
	v_add_f64 v[26:27], v[32:33], v[40:41]
	s_waitcnt vmcnt(1) lgkmcnt(0)
	v_mul_f64 v[30:31], v[22:23], v[16:17]
	v_mul_f64 v[16:17], v[24:25], v[16:17]
	v_fma_f64 v[32:33], v[4:5], v[10:11], v[36:37]
	v_fma_f64 v[10:11], v[2:3], v[10:11], -v[12:13]
	ds_load_b128 v[2:5], v1 offset:1168
	v_add_f64 v[6:7], v[8:9], v[6:7]
	v_add_f64 v[8:9], v[26:27], v[28:29]
	v_fma_f64 v[24:25], v[24:25], v[14:15], v[30:31]
	v_fma_f64 v[14:15], v[22:23], v[14:15], -v[16:17]
	s_waitcnt vmcnt(0) lgkmcnt(0)
	v_mul_f64 v[12:13], v[2:3], v[20:21]
	v_mul_f64 v[20:21], v[4:5], v[20:21]
	v_add_f64 v[6:7], v[6:7], v[10:11]
	v_add_f64 v[8:9], v[8:9], v[32:33]
	s_delay_alu instid0(VALU_DEP_4) | instskip(NEXT) | instid1(VALU_DEP_4)
	v_fma_f64 v[4:5], v[4:5], v[18:19], v[12:13]
	v_fma_f64 v[2:3], v[2:3], v[18:19], -v[20:21]
	s_delay_alu instid0(VALU_DEP_4) | instskip(NEXT) | instid1(VALU_DEP_4)
	v_add_f64 v[6:7], v[6:7], v[14:15]
	v_add_f64 v[8:9], v[8:9], v[24:25]
	s_delay_alu instid0(VALU_DEP_2) | instskip(NEXT) | instid1(VALU_DEP_2)
	v_add_f64 v[2:3], v[6:7], v[2:3]
	v_add_f64 v[4:5], v[8:9], v[4:5]
	s_delay_alu instid0(VALU_DEP_2) | instskip(NEXT) | instid1(VALU_DEP_2)
	v_add_f64 v[2:3], v[42:43], -v[2:3]
	v_add_f64 v[4:5], v[44:45], -v[4:5]
	scratch_store_b128 off, v[2:5], off offset:336
	v_cmpx_lt_u32_e32 20, v120
	s_cbranch_execz .LBB100_195
; %bb.194:
	scratch_load_b128 v[5:8], v131, off
	v_mov_b32_e32 v2, v1
	v_mov_b32_e32 v3, v1
	;; [unrolled: 1-line block ×3, first 2 shown]
	scratch_store_b128 off, v[1:4], off offset:320
	s_waitcnt vmcnt(0)
	ds_store_b128 v157, v[5:8]
.LBB100_195:
	s_or_b32 exec_lo, exec_lo, s2
	s_waitcnt lgkmcnt(0)
	s_waitcnt_vscnt null, 0x0
	s_barrier
	buffer_gl0_inv
	s_clause 0x8
	scratch_load_b128 v[2:5], off, off offset:336
	scratch_load_b128 v[6:9], off, off offset:352
	;; [unrolled: 1-line block ×9, first 2 shown]
	ds_load_b128 v[38:41], v1 offset:928
	ds_load_b128 v[42:45], v1 offset:944
	s_clause 0x1
	scratch_load_b128 v[158:161], off, off offset:320
	scratch_load_b128 v[162:165], off, off offset:480
	s_mov_b32 s2, exec_lo
	s_waitcnt vmcnt(10) lgkmcnt(1)
	v_mul_f64 v[166:167], v[40:41], v[4:5]
	v_mul_f64 v[4:5], v[38:39], v[4:5]
	s_waitcnt vmcnt(9) lgkmcnt(0)
	v_mul_f64 v[170:171], v[42:43], v[8:9]
	v_mul_f64 v[8:9], v[44:45], v[8:9]
	s_delay_alu instid0(VALU_DEP_4) | instskip(NEXT) | instid1(VALU_DEP_4)
	v_fma_f64 v[172:173], v[38:39], v[2:3], -v[166:167]
	v_fma_f64 v[174:175], v[40:41], v[2:3], v[4:5]
	ds_load_b128 v[2:5], v1 offset:960
	ds_load_b128 v[166:169], v1 offset:976
	scratch_load_b128 v[38:41], off, off offset:496
	v_fma_f64 v[44:45], v[44:45], v[6:7], v[170:171]
	v_fma_f64 v[42:43], v[42:43], v[6:7], -v[8:9]
	scratch_load_b128 v[6:9], off, off offset:512
	s_waitcnt vmcnt(10) lgkmcnt(1)
	v_mul_f64 v[176:177], v[2:3], v[12:13]
	v_mul_f64 v[12:13], v[4:5], v[12:13]
	v_add_f64 v[170:171], v[172:173], 0
	v_add_f64 v[172:173], v[174:175], 0
	s_waitcnt vmcnt(9) lgkmcnt(0)
	v_mul_f64 v[174:175], v[166:167], v[16:17]
	v_mul_f64 v[16:17], v[168:169], v[16:17]
	v_fma_f64 v[176:177], v[4:5], v[10:11], v[176:177]
	v_fma_f64 v[178:179], v[2:3], v[10:11], -v[12:13]
	ds_load_b128 v[2:5], v1 offset:992
	scratch_load_b128 v[10:13], off, off offset:528
	v_add_f64 v[170:171], v[170:171], v[42:43]
	v_add_f64 v[172:173], v[172:173], v[44:45]
	ds_load_b128 v[42:45], v1 offset:1008
	v_fma_f64 v[168:169], v[168:169], v[14:15], v[174:175]
	v_fma_f64 v[166:167], v[166:167], v[14:15], -v[16:17]
	scratch_load_b128 v[14:17], off, off offset:544
	s_waitcnt vmcnt(10) lgkmcnt(1)
	v_mul_f64 v[180:181], v[2:3], v[20:21]
	v_mul_f64 v[20:21], v[4:5], v[20:21]
	s_waitcnt vmcnt(9) lgkmcnt(0)
	v_mul_f64 v[174:175], v[42:43], v[24:25]
	v_mul_f64 v[24:25], v[44:45], v[24:25]
	v_add_f64 v[170:171], v[170:171], v[178:179]
	v_add_f64 v[172:173], v[172:173], v[176:177]
	v_fma_f64 v[176:177], v[4:5], v[18:19], v[180:181]
	v_fma_f64 v[178:179], v[2:3], v[18:19], -v[20:21]
	ds_load_b128 v[2:5], v1 offset:1024
	scratch_load_b128 v[18:21], off, off offset:560
	v_fma_f64 v[44:45], v[44:45], v[22:23], v[174:175]
	v_fma_f64 v[42:43], v[42:43], v[22:23], -v[24:25]
	scratch_load_b128 v[22:25], off, off offset:576
	v_add_f64 v[170:171], v[170:171], v[166:167]
	v_add_f64 v[172:173], v[172:173], v[168:169]
	ds_load_b128 v[166:169], v1 offset:1040
	s_waitcnt vmcnt(10) lgkmcnt(1)
	v_mul_f64 v[180:181], v[2:3], v[28:29]
	v_mul_f64 v[28:29], v[4:5], v[28:29]
	s_waitcnt vmcnt(9) lgkmcnt(0)
	v_mul_f64 v[174:175], v[166:167], v[32:33]
	v_mul_f64 v[32:33], v[168:169], v[32:33]
	v_add_f64 v[170:171], v[170:171], v[178:179]
	v_add_f64 v[172:173], v[172:173], v[176:177]
	v_fma_f64 v[176:177], v[4:5], v[26:27], v[180:181]
	v_fma_f64 v[178:179], v[2:3], v[26:27], -v[28:29]
	ds_load_b128 v[2:5], v1 offset:1056
	ds_load_b128 v[26:29], v1 offset:1072
	v_fma_f64 v[168:169], v[168:169], v[30:31], v[174:175]
	v_fma_f64 v[30:31], v[166:167], v[30:31], -v[32:33]
	v_add_f64 v[42:43], v[170:171], v[42:43]
	v_add_f64 v[44:45], v[172:173], v[44:45]
	s_waitcnt vmcnt(8) lgkmcnt(1)
	v_mul_f64 v[170:171], v[2:3], v[36:37]
	v_mul_f64 v[36:37], v[4:5], v[36:37]
	s_delay_alu instid0(VALU_DEP_4) | instskip(NEXT) | instid1(VALU_DEP_4)
	v_add_f64 v[32:33], v[42:43], v[178:179]
	v_add_f64 v[42:43], v[44:45], v[176:177]
	s_waitcnt vmcnt(6) lgkmcnt(0)
	v_mul_f64 v[44:45], v[26:27], v[164:165]
	v_mul_f64 v[164:165], v[28:29], v[164:165]
	v_fma_f64 v[166:167], v[4:5], v[34:35], v[170:171]
	v_fma_f64 v[34:35], v[2:3], v[34:35], -v[36:37]
	v_add_f64 v[36:37], v[32:33], v[30:31]
	v_add_f64 v[42:43], v[42:43], v[168:169]
	ds_load_b128 v[2:5], v1 offset:1088
	ds_load_b128 v[30:33], v1 offset:1104
	v_fma_f64 v[28:29], v[28:29], v[162:163], v[44:45]
	v_fma_f64 v[26:27], v[26:27], v[162:163], -v[164:165]
	s_waitcnt vmcnt(5) lgkmcnt(1)
	v_mul_f64 v[168:169], v[2:3], v[40:41]
	v_mul_f64 v[40:41], v[4:5], v[40:41]
	v_add_f64 v[34:35], v[36:37], v[34:35]
	v_add_f64 v[36:37], v[42:43], v[166:167]
	s_waitcnt vmcnt(4) lgkmcnt(0)
	v_mul_f64 v[42:43], v[30:31], v[8:9]
	v_mul_f64 v[8:9], v[32:33], v[8:9]
	v_fma_f64 v[44:45], v[4:5], v[38:39], v[168:169]
	v_fma_f64 v[38:39], v[2:3], v[38:39], -v[40:41]
	v_add_f64 v[34:35], v[34:35], v[26:27]
	v_add_f64 v[36:37], v[36:37], v[28:29]
	ds_load_b128 v[2:5], v1 offset:1120
	ds_load_b128 v[26:29], v1 offset:1136
	v_fma_f64 v[32:33], v[32:33], v[6:7], v[42:43]
	v_fma_f64 v[6:7], v[30:31], v[6:7], -v[8:9]
	s_waitcnt vmcnt(3) lgkmcnt(1)
	v_mul_f64 v[40:41], v[2:3], v[12:13]
	v_mul_f64 v[12:13], v[4:5], v[12:13]
	;; [unrolled: 16-line block ×3, first 2 shown]
	s_waitcnt vmcnt(0) lgkmcnt(0)
	v_mul_f64 v[16:17], v[6:7], v[24:25]
	v_mul_f64 v[24:25], v[8:9], v[24:25]
	v_add_f64 v[10:11], v[12:13], v[10:11]
	v_add_f64 v[12:13], v[30:31], v[36:37]
	v_fma_f64 v[4:5], v[4:5], v[18:19], v[32:33]
	v_fma_f64 v[1:2], v[2:3], v[18:19], -v[20:21]
	v_fma_f64 v[8:9], v[8:9], v[22:23], v[16:17]
	v_fma_f64 v[6:7], v[6:7], v[22:23], -v[24:25]
	v_add_f64 v[10:11], v[10:11], v[14:15]
	v_add_f64 v[12:13], v[12:13], v[28:29]
	s_delay_alu instid0(VALU_DEP_2) | instskip(NEXT) | instid1(VALU_DEP_2)
	v_add_f64 v[1:2], v[10:11], v[1:2]
	v_add_f64 v[3:4], v[12:13], v[4:5]
	s_delay_alu instid0(VALU_DEP_2) | instskip(NEXT) | instid1(VALU_DEP_2)
	;; [unrolled: 3-line block ×3, first 2 shown]
	v_add_f64 v[1:2], v[158:159], -v[1:2]
	v_add_f64 v[3:4], v[160:161], -v[3:4]
	scratch_store_b128 off, v[1:4], off offset:320
	v_cmpx_lt_u32_e32 19, v120
	s_cbranch_execz .LBB100_197
; %bb.196:
	scratch_load_b128 v[1:4], v133, off
	v_mov_b32_e32 v5, 0
	s_delay_alu instid0(VALU_DEP_1)
	v_mov_b32_e32 v6, v5
	v_mov_b32_e32 v7, v5
	;; [unrolled: 1-line block ×3, first 2 shown]
	scratch_store_b128 off, v[5:8], off offset:304
	s_waitcnt vmcnt(0)
	ds_store_b128 v157, v[1:4]
.LBB100_197:
	s_or_b32 exec_lo, exec_lo, s2
	s_waitcnt lgkmcnt(0)
	s_waitcnt_vscnt null, 0x0
	s_barrier
	buffer_gl0_inv
	s_clause 0x7
	scratch_load_b128 v[2:5], off, off offset:320
	scratch_load_b128 v[6:9], off, off offset:336
	;; [unrolled: 1-line block ×8, first 2 shown]
	v_mov_b32_e32 v1, 0
	s_mov_b32 s2, exec_lo
	ds_load_b128 v[34:37], v1 offset:912
	s_clause 0x1
	scratch_load_b128 v[38:41], off, off offset:448
	scratch_load_b128 v[42:45], off, off offset:304
	ds_load_b128 v[158:161], v1 offset:928
	scratch_load_b128 v[162:165], off, off offset:464
	s_waitcnt vmcnt(10) lgkmcnt(1)
	v_mul_f64 v[166:167], v[36:37], v[4:5]
	v_mul_f64 v[4:5], v[34:35], v[4:5]
	s_delay_alu instid0(VALU_DEP_2) | instskip(NEXT) | instid1(VALU_DEP_2)
	v_fma_f64 v[172:173], v[34:35], v[2:3], -v[166:167]
	v_fma_f64 v[174:175], v[36:37], v[2:3], v[4:5]
	scratch_load_b128 v[34:37], off, off offset:480
	ds_load_b128 v[2:5], v1 offset:944
	s_waitcnt vmcnt(10) lgkmcnt(1)
	v_mul_f64 v[170:171], v[158:159], v[8:9]
	v_mul_f64 v[8:9], v[160:161], v[8:9]
	ds_load_b128 v[166:169], v1 offset:960
	s_waitcnt vmcnt(9) lgkmcnt(1)
	v_mul_f64 v[176:177], v[2:3], v[12:13]
	v_mul_f64 v[12:13], v[4:5], v[12:13]
	v_fma_f64 v[160:161], v[160:161], v[6:7], v[170:171]
	v_fma_f64 v[158:159], v[158:159], v[6:7], -v[8:9]
	v_add_f64 v[170:171], v[172:173], 0
	v_add_f64 v[172:173], v[174:175], 0
	scratch_load_b128 v[6:9], off, off offset:496
	v_fma_f64 v[176:177], v[4:5], v[10:11], v[176:177]
	v_fma_f64 v[178:179], v[2:3], v[10:11], -v[12:13]
	scratch_load_b128 v[10:13], off, off offset:512
	ds_load_b128 v[2:5], v1 offset:976
	s_waitcnt vmcnt(10) lgkmcnt(1)
	v_mul_f64 v[174:175], v[166:167], v[16:17]
	v_mul_f64 v[16:17], v[168:169], v[16:17]
	v_add_f64 v[170:171], v[170:171], v[158:159]
	v_add_f64 v[172:173], v[172:173], v[160:161]
	s_waitcnt vmcnt(9) lgkmcnt(0)
	v_mul_f64 v[180:181], v[2:3], v[20:21]
	v_mul_f64 v[20:21], v[4:5], v[20:21]
	ds_load_b128 v[158:161], v1 offset:992
	v_fma_f64 v[168:169], v[168:169], v[14:15], v[174:175]
	v_fma_f64 v[166:167], v[166:167], v[14:15], -v[16:17]
	scratch_load_b128 v[14:17], off, off offset:528
	v_add_f64 v[170:171], v[170:171], v[178:179]
	v_add_f64 v[172:173], v[172:173], v[176:177]
	v_fma_f64 v[176:177], v[4:5], v[18:19], v[180:181]
	v_fma_f64 v[178:179], v[2:3], v[18:19], -v[20:21]
	scratch_load_b128 v[18:21], off, off offset:544
	ds_load_b128 v[2:5], v1 offset:1008
	s_waitcnt vmcnt(10) lgkmcnt(1)
	v_mul_f64 v[174:175], v[158:159], v[24:25]
	v_mul_f64 v[24:25], v[160:161], v[24:25]
	s_waitcnt vmcnt(9) lgkmcnt(0)
	v_mul_f64 v[180:181], v[2:3], v[28:29]
	v_mul_f64 v[28:29], v[4:5], v[28:29]
	v_add_f64 v[170:171], v[170:171], v[166:167]
	v_add_f64 v[172:173], v[172:173], v[168:169]
	ds_load_b128 v[166:169], v1 offset:1024
	v_fma_f64 v[160:161], v[160:161], v[22:23], v[174:175]
	v_fma_f64 v[158:159], v[158:159], v[22:23], -v[24:25]
	scratch_load_b128 v[22:25], off, off offset:560
	v_add_f64 v[170:171], v[170:171], v[178:179]
	v_add_f64 v[172:173], v[172:173], v[176:177]
	v_fma_f64 v[176:177], v[4:5], v[26:27], v[180:181]
	v_fma_f64 v[178:179], v[2:3], v[26:27], -v[28:29]
	scratch_load_b128 v[26:29], off, off offset:576
	ds_load_b128 v[2:5], v1 offset:1040
	s_waitcnt vmcnt(10) lgkmcnt(1)
	v_mul_f64 v[174:175], v[166:167], v[32:33]
	v_mul_f64 v[32:33], v[168:169], v[32:33]
	s_waitcnt vmcnt(9) lgkmcnt(0)
	v_mul_f64 v[180:181], v[2:3], v[40:41]
	v_mul_f64 v[40:41], v[4:5], v[40:41]
	v_add_f64 v[170:171], v[170:171], v[158:159]
	v_add_f64 v[172:173], v[172:173], v[160:161]
	ds_load_b128 v[158:161], v1 offset:1056
	v_fma_f64 v[168:169], v[168:169], v[30:31], v[174:175]
	v_fma_f64 v[30:31], v[166:167], v[30:31], -v[32:33]
	v_add_f64 v[32:33], v[170:171], v[178:179]
	v_add_f64 v[166:167], v[172:173], v[176:177]
	s_waitcnt vmcnt(7) lgkmcnt(0)
	v_mul_f64 v[170:171], v[158:159], v[164:165]
	v_mul_f64 v[164:165], v[160:161], v[164:165]
	v_fma_f64 v[172:173], v[4:5], v[38:39], v[180:181]
	v_fma_f64 v[38:39], v[2:3], v[38:39], -v[40:41]
	v_add_f64 v[40:41], v[32:33], v[30:31]
	v_add_f64 v[166:167], v[166:167], v[168:169]
	ds_load_b128 v[2:5], v1 offset:1072
	ds_load_b128 v[30:33], v1 offset:1088
	v_fma_f64 v[160:161], v[160:161], v[162:163], v[170:171]
	v_fma_f64 v[158:159], v[158:159], v[162:163], -v[164:165]
	s_waitcnt vmcnt(6) lgkmcnt(1)
	v_mul_f64 v[168:169], v[2:3], v[36:37]
	v_mul_f64 v[36:37], v[4:5], v[36:37]
	v_add_f64 v[38:39], v[40:41], v[38:39]
	v_add_f64 v[40:41], v[166:167], v[172:173]
	s_waitcnt vmcnt(5) lgkmcnt(0)
	v_mul_f64 v[162:163], v[30:31], v[8:9]
	v_mul_f64 v[8:9], v[32:33], v[8:9]
	v_fma_f64 v[164:165], v[4:5], v[34:35], v[168:169]
	v_fma_f64 v[166:167], v[2:3], v[34:35], -v[36:37]
	ds_load_b128 v[2:5], v1 offset:1104
	ds_load_b128 v[34:37], v1 offset:1120
	v_add_f64 v[38:39], v[38:39], v[158:159]
	v_add_f64 v[40:41], v[40:41], v[160:161]
	s_waitcnt vmcnt(4) lgkmcnt(1)
	v_mul_f64 v[158:159], v[2:3], v[12:13]
	v_mul_f64 v[12:13], v[4:5], v[12:13]
	v_fma_f64 v[32:33], v[32:33], v[6:7], v[162:163]
	v_fma_f64 v[6:7], v[30:31], v[6:7], -v[8:9]
	v_add_f64 v[8:9], v[38:39], v[166:167]
	v_add_f64 v[30:31], v[40:41], v[164:165]
	s_waitcnt vmcnt(3) lgkmcnt(0)
	v_mul_f64 v[38:39], v[34:35], v[16:17]
	v_mul_f64 v[16:17], v[36:37], v[16:17]
	v_fma_f64 v[40:41], v[4:5], v[10:11], v[158:159]
	v_fma_f64 v[10:11], v[2:3], v[10:11], -v[12:13]
	v_add_f64 v[12:13], v[8:9], v[6:7]
	v_add_f64 v[30:31], v[30:31], v[32:33]
	ds_load_b128 v[2:5], v1 offset:1136
	ds_load_b128 v[6:9], v1 offset:1152
	v_fma_f64 v[36:37], v[36:37], v[14:15], v[38:39]
	v_fma_f64 v[14:15], v[34:35], v[14:15], -v[16:17]
	s_waitcnt vmcnt(2) lgkmcnt(1)
	v_mul_f64 v[32:33], v[2:3], v[20:21]
	v_mul_f64 v[20:21], v[4:5], v[20:21]
	s_waitcnt vmcnt(1) lgkmcnt(0)
	v_mul_f64 v[16:17], v[6:7], v[24:25]
	v_mul_f64 v[24:25], v[8:9], v[24:25]
	v_add_f64 v[10:11], v[12:13], v[10:11]
	v_add_f64 v[12:13], v[30:31], v[40:41]
	v_fma_f64 v[30:31], v[4:5], v[18:19], v[32:33]
	v_fma_f64 v[18:19], v[2:3], v[18:19], -v[20:21]
	ds_load_b128 v[2:5], v1 offset:1168
	v_fma_f64 v[8:9], v[8:9], v[22:23], v[16:17]
	v_fma_f64 v[6:7], v[6:7], v[22:23], -v[24:25]
	v_add_f64 v[10:11], v[10:11], v[14:15]
	v_add_f64 v[12:13], v[12:13], v[36:37]
	s_waitcnt vmcnt(0) lgkmcnt(0)
	v_mul_f64 v[14:15], v[2:3], v[28:29]
	v_mul_f64 v[20:21], v[4:5], v[28:29]
	s_delay_alu instid0(VALU_DEP_4) | instskip(NEXT) | instid1(VALU_DEP_4)
	v_add_f64 v[10:11], v[10:11], v[18:19]
	v_add_f64 v[12:13], v[12:13], v[30:31]
	s_delay_alu instid0(VALU_DEP_4) | instskip(NEXT) | instid1(VALU_DEP_4)
	v_fma_f64 v[4:5], v[4:5], v[26:27], v[14:15]
	v_fma_f64 v[2:3], v[2:3], v[26:27], -v[20:21]
	s_delay_alu instid0(VALU_DEP_4) | instskip(NEXT) | instid1(VALU_DEP_4)
	v_add_f64 v[6:7], v[10:11], v[6:7]
	v_add_f64 v[8:9], v[12:13], v[8:9]
	s_delay_alu instid0(VALU_DEP_2) | instskip(NEXT) | instid1(VALU_DEP_2)
	v_add_f64 v[2:3], v[6:7], v[2:3]
	v_add_f64 v[4:5], v[8:9], v[4:5]
	s_delay_alu instid0(VALU_DEP_2) | instskip(NEXT) | instid1(VALU_DEP_2)
	v_add_f64 v[2:3], v[42:43], -v[2:3]
	v_add_f64 v[4:5], v[44:45], -v[4:5]
	scratch_store_b128 off, v[2:5], off offset:304
	v_cmpx_lt_u32_e32 18, v120
	s_cbranch_execz .LBB100_199
; %bb.198:
	scratch_load_b128 v[5:8], v135, off
	v_mov_b32_e32 v2, v1
	v_mov_b32_e32 v3, v1
	;; [unrolled: 1-line block ×3, first 2 shown]
	scratch_store_b128 off, v[1:4], off offset:288
	s_waitcnt vmcnt(0)
	ds_store_b128 v157, v[5:8]
.LBB100_199:
	s_or_b32 exec_lo, exec_lo, s2
	s_waitcnt lgkmcnt(0)
	s_waitcnt_vscnt null, 0x0
	s_barrier
	buffer_gl0_inv
	s_clause 0x8
	scratch_load_b128 v[2:5], off, off offset:304
	scratch_load_b128 v[6:9], off, off offset:320
	;; [unrolled: 1-line block ×9, first 2 shown]
	ds_load_b128 v[38:41], v1 offset:896
	ds_load_b128 v[42:45], v1 offset:912
	s_clause 0x1
	scratch_load_b128 v[158:161], off, off offset:288
	scratch_load_b128 v[162:165], off, off offset:448
	s_mov_b32 s2, exec_lo
	s_waitcnt vmcnt(10) lgkmcnt(1)
	v_mul_f64 v[166:167], v[40:41], v[4:5]
	v_mul_f64 v[4:5], v[38:39], v[4:5]
	s_waitcnt vmcnt(9) lgkmcnt(0)
	v_mul_f64 v[170:171], v[42:43], v[8:9]
	v_mul_f64 v[8:9], v[44:45], v[8:9]
	s_delay_alu instid0(VALU_DEP_4) | instskip(NEXT) | instid1(VALU_DEP_4)
	v_fma_f64 v[172:173], v[38:39], v[2:3], -v[166:167]
	v_fma_f64 v[174:175], v[40:41], v[2:3], v[4:5]
	ds_load_b128 v[2:5], v1 offset:928
	ds_load_b128 v[166:169], v1 offset:944
	scratch_load_b128 v[38:41], off, off offset:464
	v_fma_f64 v[44:45], v[44:45], v[6:7], v[170:171]
	v_fma_f64 v[42:43], v[42:43], v[6:7], -v[8:9]
	scratch_load_b128 v[6:9], off, off offset:480
	s_waitcnt vmcnt(10) lgkmcnt(1)
	v_mul_f64 v[176:177], v[2:3], v[12:13]
	v_mul_f64 v[12:13], v[4:5], v[12:13]
	v_add_f64 v[170:171], v[172:173], 0
	v_add_f64 v[172:173], v[174:175], 0
	s_waitcnt vmcnt(9) lgkmcnt(0)
	v_mul_f64 v[174:175], v[166:167], v[16:17]
	v_mul_f64 v[16:17], v[168:169], v[16:17]
	v_fma_f64 v[176:177], v[4:5], v[10:11], v[176:177]
	v_fma_f64 v[178:179], v[2:3], v[10:11], -v[12:13]
	ds_load_b128 v[2:5], v1 offset:960
	scratch_load_b128 v[10:13], off, off offset:496
	v_add_f64 v[170:171], v[170:171], v[42:43]
	v_add_f64 v[172:173], v[172:173], v[44:45]
	ds_load_b128 v[42:45], v1 offset:976
	v_fma_f64 v[168:169], v[168:169], v[14:15], v[174:175]
	v_fma_f64 v[166:167], v[166:167], v[14:15], -v[16:17]
	scratch_load_b128 v[14:17], off, off offset:512
	s_waitcnt vmcnt(10) lgkmcnt(1)
	v_mul_f64 v[180:181], v[2:3], v[20:21]
	v_mul_f64 v[20:21], v[4:5], v[20:21]
	s_waitcnt vmcnt(9) lgkmcnt(0)
	v_mul_f64 v[174:175], v[42:43], v[24:25]
	v_mul_f64 v[24:25], v[44:45], v[24:25]
	v_add_f64 v[170:171], v[170:171], v[178:179]
	v_add_f64 v[172:173], v[172:173], v[176:177]
	v_fma_f64 v[176:177], v[4:5], v[18:19], v[180:181]
	v_fma_f64 v[178:179], v[2:3], v[18:19], -v[20:21]
	ds_load_b128 v[2:5], v1 offset:992
	scratch_load_b128 v[18:21], off, off offset:528
	v_fma_f64 v[44:45], v[44:45], v[22:23], v[174:175]
	v_fma_f64 v[42:43], v[42:43], v[22:23], -v[24:25]
	scratch_load_b128 v[22:25], off, off offset:544
	v_add_f64 v[170:171], v[170:171], v[166:167]
	v_add_f64 v[172:173], v[172:173], v[168:169]
	ds_load_b128 v[166:169], v1 offset:1008
	s_waitcnt vmcnt(10) lgkmcnt(1)
	v_mul_f64 v[180:181], v[2:3], v[28:29]
	v_mul_f64 v[28:29], v[4:5], v[28:29]
	s_waitcnt vmcnt(9) lgkmcnt(0)
	v_mul_f64 v[174:175], v[166:167], v[32:33]
	v_mul_f64 v[32:33], v[168:169], v[32:33]
	v_add_f64 v[170:171], v[170:171], v[178:179]
	v_add_f64 v[172:173], v[172:173], v[176:177]
	v_fma_f64 v[176:177], v[4:5], v[26:27], v[180:181]
	v_fma_f64 v[178:179], v[2:3], v[26:27], -v[28:29]
	ds_load_b128 v[2:5], v1 offset:1024
	scratch_load_b128 v[26:29], off, off offset:560
	v_fma_f64 v[168:169], v[168:169], v[30:31], v[174:175]
	v_fma_f64 v[166:167], v[166:167], v[30:31], -v[32:33]
	scratch_load_b128 v[30:33], off, off offset:576
	v_add_f64 v[170:171], v[170:171], v[42:43]
	v_add_f64 v[172:173], v[172:173], v[44:45]
	ds_load_b128 v[42:45], v1 offset:1040
	s_waitcnt vmcnt(10) lgkmcnt(1)
	v_mul_f64 v[180:181], v[2:3], v[36:37]
	v_mul_f64 v[36:37], v[4:5], v[36:37]
	s_waitcnt vmcnt(8) lgkmcnt(0)
	v_mul_f64 v[174:175], v[42:43], v[164:165]
	v_mul_f64 v[164:165], v[44:45], v[164:165]
	v_add_f64 v[170:171], v[170:171], v[178:179]
	v_add_f64 v[172:173], v[172:173], v[176:177]
	v_fma_f64 v[176:177], v[4:5], v[34:35], v[180:181]
	v_fma_f64 v[178:179], v[2:3], v[34:35], -v[36:37]
	ds_load_b128 v[2:5], v1 offset:1056
	ds_load_b128 v[34:37], v1 offset:1072
	v_fma_f64 v[44:45], v[44:45], v[162:163], v[174:175]
	v_fma_f64 v[42:43], v[42:43], v[162:163], -v[164:165]
	v_add_f64 v[166:167], v[170:171], v[166:167]
	v_add_f64 v[168:169], v[172:173], v[168:169]
	s_waitcnt vmcnt(7) lgkmcnt(1)
	v_mul_f64 v[170:171], v[2:3], v[40:41]
	v_mul_f64 v[40:41], v[4:5], v[40:41]
	s_delay_alu instid0(VALU_DEP_4) | instskip(NEXT) | instid1(VALU_DEP_4)
	v_add_f64 v[162:163], v[166:167], v[178:179]
	v_add_f64 v[164:165], v[168:169], v[176:177]
	s_waitcnt vmcnt(6) lgkmcnt(0)
	v_mul_f64 v[166:167], v[34:35], v[8:9]
	v_mul_f64 v[8:9], v[36:37], v[8:9]
	v_fma_f64 v[168:169], v[4:5], v[38:39], v[170:171]
	v_fma_f64 v[170:171], v[2:3], v[38:39], -v[40:41]
	ds_load_b128 v[2:5], v1 offset:1088
	ds_load_b128 v[38:41], v1 offset:1104
	v_add_f64 v[42:43], v[162:163], v[42:43]
	v_add_f64 v[44:45], v[164:165], v[44:45]
	v_fma_f64 v[36:37], v[36:37], v[6:7], v[166:167]
	s_waitcnt vmcnt(5) lgkmcnt(1)
	v_mul_f64 v[162:163], v[2:3], v[12:13]
	v_mul_f64 v[12:13], v[4:5], v[12:13]
	v_fma_f64 v[6:7], v[34:35], v[6:7], -v[8:9]
	v_add_f64 v[8:9], v[42:43], v[170:171]
	v_add_f64 v[34:35], v[44:45], v[168:169]
	s_waitcnt vmcnt(4) lgkmcnt(0)
	v_mul_f64 v[42:43], v[38:39], v[16:17]
	v_mul_f64 v[16:17], v[40:41], v[16:17]
	v_fma_f64 v[44:45], v[4:5], v[10:11], v[162:163]
	v_fma_f64 v[10:11], v[2:3], v[10:11], -v[12:13]
	v_add_f64 v[12:13], v[8:9], v[6:7]
	v_add_f64 v[34:35], v[34:35], v[36:37]
	ds_load_b128 v[2:5], v1 offset:1120
	ds_load_b128 v[6:9], v1 offset:1136
	v_fma_f64 v[40:41], v[40:41], v[14:15], v[42:43]
	v_fma_f64 v[14:15], v[38:39], v[14:15], -v[16:17]
	s_waitcnt vmcnt(3) lgkmcnt(1)
	v_mul_f64 v[36:37], v[2:3], v[20:21]
	v_mul_f64 v[20:21], v[4:5], v[20:21]
	s_waitcnt vmcnt(2) lgkmcnt(0)
	v_mul_f64 v[16:17], v[6:7], v[24:25]
	v_mul_f64 v[24:25], v[8:9], v[24:25]
	v_add_f64 v[10:11], v[12:13], v[10:11]
	v_add_f64 v[12:13], v[34:35], v[44:45]
	v_fma_f64 v[34:35], v[4:5], v[18:19], v[36:37]
	v_fma_f64 v[18:19], v[2:3], v[18:19], -v[20:21]
	v_fma_f64 v[8:9], v[8:9], v[22:23], v[16:17]
	v_fma_f64 v[6:7], v[6:7], v[22:23], -v[24:25]
	v_add_f64 v[14:15], v[10:11], v[14:15]
	v_add_f64 v[20:21], v[12:13], v[40:41]
	ds_load_b128 v[2:5], v1 offset:1152
	ds_load_b128 v[10:13], v1 offset:1168
	s_waitcnt vmcnt(1) lgkmcnt(1)
	v_mul_f64 v[36:37], v[2:3], v[28:29]
	v_mul_f64 v[28:29], v[4:5], v[28:29]
	v_add_f64 v[14:15], v[14:15], v[18:19]
	v_add_f64 v[16:17], v[20:21], v[34:35]
	s_waitcnt vmcnt(0) lgkmcnt(0)
	v_mul_f64 v[18:19], v[10:11], v[32:33]
	v_mul_f64 v[20:21], v[12:13], v[32:33]
	v_fma_f64 v[4:5], v[4:5], v[26:27], v[36:37]
	v_fma_f64 v[1:2], v[2:3], v[26:27], -v[28:29]
	v_add_f64 v[6:7], v[14:15], v[6:7]
	v_add_f64 v[8:9], v[16:17], v[8:9]
	v_fma_f64 v[12:13], v[12:13], v[30:31], v[18:19]
	v_fma_f64 v[10:11], v[10:11], v[30:31], -v[20:21]
	s_delay_alu instid0(VALU_DEP_4) | instskip(NEXT) | instid1(VALU_DEP_4)
	v_add_f64 v[1:2], v[6:7], v[1:2]
	v_add_f64 v[3:4], v[8:9], v[4:5]
	s_delay_alu instid0(VALU_DEP_2) | instskip(NEXT) | instid1(VALU_DEP_2)
	v_add_f64 v[1:2], v[1:2], v[10:11]
	v_add_f64 v[3:4], v[3:4], v[12:13]
	s_delay_alu instid0(VALU_DEP_2) | instskip(NEXT) | instid1(VALU_DEP_2)
	v_add_f64 v[1:2], v[158:159], -v[1:2]
	v_add_f64 v[3:4], v[160:161], -v[3:4]
	scratch_store_b128 off, v[1:4], off offset:288
	v_cmpx_lt_u32_e32 17, v120
	s_cbranch_execz .LBB100_201
; %bb.200:
	scratch_load_b128 v[1:4], v137, off
	v_mov_b32_e32 v5, 0
	s_delay_alu instid0(VALU_DEP_1)
	v_mov_b32_e32 v6, v5
	v_mov_b32_e32 v7, v5
	;; [unrolled: 1-line block ×3, first 2 shown]
	scratch_store_b128 off, v[5:8], off offset:272
	s_waitcnt vmcnt(0)
	ds_store_b128 v157, v[1:4]
.LBB100_201:
	s_or_b32 exec_lo, exec_lo, s2
	s_waitcnt lgkmcnt(0)
	s_waitcnt_vscnt null, 0x0
	s_barrier
	buffer_gl0_inv
	s_clause 0x7
	scratch_load_b128 v[2:5], off, off offset:288
	scratch_load_b128 v[6:9], off, off offset:304
	;; [unrolled: 1-line block ×8, first 2 shown]
	v_mov_b32_e32 v1, 0
	s_mov_b32 s2, exec_lo
	ds_load_b128 v[34:37], v1 offset:880
	s_clause 0x1
	scratch_load_b128 v[38:41], off, off offset:416
	scratch_load_b128 v[42:45], off, off offset:272
	ds_load_b128 v[158:161], v1 offset:896
	scratch_load_b128 v[162:165], off, off offset:432
	s_waitcnt vmcnt(10) lgkmcnt(1)
	v_mul_f64 v[166:167], v[36:37], v[4:5]
	v_mul_f64 v[4:5], v[34:35], v[4:5]
	s_delay_alu instid0(VALU_DEP_2) | instskip(NEXT) | instid1(VALU_DEP_2)
	v_fma_f64 v[172:173], v[34:35], v[2:3], -v[166:167]
	v_fma_f64 v[174:175], v[36:37], v[2:3], v[4:5]
	scratch_load_b128 v[34:37], off, off offset:448
	ds_load_b128 v[2:5], v1 offset:912
	s_waitcnt vmcnt(10) lgkmcnt(1)
	v_mul_f64 v[170:171], v[158:159], v[8:9]
	v_mul_f64 v[8:9], v[160:161], v[8:9]
	ds_load_b128 v[166:169], v1 offset:928
	s_waitcnt vmcnt(9) lgkmcnt(1)
	v_mul_f64 v[176:177], v[2:3], v[12:13]
	v_mul_f64 v[12:13], v[4:5], v[12:13]
	v_fma_f64 v[160:161], v[160:161], v[6:7], v[170:171]
	v_fma_f64 v[158:159], v[158:159], v[6:7], -v[8:9]
	v_add_f64 v[170:171], v[172:173], 0
	v_add_f64 v[172:173], v[174:175], 0
	scratch_load_b128 v[6:9], off, off offset:464
	v_fma_f64 v[176:177], v[4:5], v[10:11], v[176:177]
	v_fma_f64 v[178:179], v[2:3], v[10:11], -v[12:13]
	scratch_load_b128 v[10:13], off, off offset:480
	ds_load_b128 v[2:5], v1 offset:944
	s_waitcnt vmcnt(10) lgkmcnt(1)
	v_mul_f64 v[174:175], v[166:167], v[16:17]
	v_mul_f64 v[16:17], v[168:169], v[16:17]
	v_add_f64 v[170:171], v[170:171], v[158:159]
	v_add_f64 v[172:173], v[172:173], v[160:161]
	s_waitcnt vmcnt(9) lgkmcnt(0)
	v_mul_f64 v[180:181], v[2:3], v[20:21]
	v_mul_f64 v[20:21], v[4:5], v[20:21]
	ds_load_b128 v[158:161], v1 offset:960
	v_fma_f64 v[168:169], v[168:169], v[14:15], v[174:175]
	v_fma_f64 v[166:167], v[166:167], v[14:15], -v[16:17]
	scratch_load_b128 v[14:17], off, off offset:496
	v_add_f64 v[170:171], v[170:171], v[178:179]
	v_add_f64 v[172:173], v[172:173], v[176:177]
	v_fma_f64 v[176:177], v[4:5], v[18:19], v[180:181]
	v_fma_f64 v[178:179], v[2:3], v[18:19], -v[20:21]
	scratch_load_b128 v[18:21], off, off offset:512
	ds_load_b128 v[2:5], v1 offset:976
	s_waitcnt vmcnt(10) lgkmcnt(1)
	v_mul_f64 v[174:175], v[158:159], v[24:25]
	v_mul_f64 v[24:25], v[160:161], v[24:25]
	s_waitcnt vmcnt(9) lgkmcnt(0)
	v_mul_f64 v[180:181], v[2:3], v[28:29]
	v_mul_f64 v[28:29], v[4:5], v[28:29]
	v_add_f64 v[170:171], v[170:171], v[166:167]
	v_add_f64 v[172:173], v[172:173], v[168:169]
	ds_load_b128 v[166:169], v1 offset:992
	v_fma_f64 v[160:161], v[160:161], v[22:23], v[174:175]
	v_fma_f64 v[158:159], v[158:159], v[22:23], -v[24:25]
	scratch_load_b128 v[22:25], off, off offset:528
	v_add_f64 v[170:171], v[170:171], v[178:179]
	v_add_f64 v[172:173], v[172:173], v[176:177]
	v_fma_f64 v[176:177], v[4:5], v[26:27], v[180:181]
	v_fma_f64 v[178:179], v[2:3], v[26:27], -v[28:29]
	scratch_load_b128 v[26:29], off, off offset:544
	ds_load_b128 v[2:5], v1 offset:1008
	s_waitcnt vmcnt(10) lgkmcnt(1)
	v_mul_f64 v[174:175], v[166:167], v[32:33]
	v_mul_f64 v[32:33], v[168:169], v[32:33]
	s_waitcnt vmcnt(9) lgkmcnt(0)
	v_mul_f64 v[180:181], v[2:3], v[40:41]
	v_mul_f64 v[40:41], v[4:5], v[40:41]
	v_add_f64 v[170:171], v[170:171], v[158:159]
	v_add_f64 v[172:173], v[172:173], v[160:161]
	ds_load_b128 v[158:161], v1 offset:1024
	v_fma_f64 v[168:169], v[168:169], v[30:31], v[174:175]
	v_fma_f64 v[166:167], v[166:167], v[30:31], -v[32:33]
	scratch_load_b128 v[30:33], off, off offset:560
	v_add_f64 v[170:171], v[170:171], v[178:179]
	v_add_f64 v[172:173], v[172:173], v[176:177]
	v_fma_f64 v[178:179], v[4:5], v[38:39], v[180:181]
	v_fma_f64 v[180:181], v[2:3], v[38:39], -v[40:41]
	scratch_load_b128 v[38:41], off, off offset:576
	ds_load_b128 v[2:5], v1 offset:1040
	s_waitcnt vmcnt(9) lgkmcnt(1)
	v_mul_f64 v[174:175], v[158:159], v[164:165]
	v_mul_f64 v[176:177], v[160:161], v[164:165]
	v_add_f64 v[170:171], v[170:171], v[166:167]
	v_add_f64 v[168:169], v[172:173], v[168:169]
	ds_load_b128 v[164:167], v1 offset:1056
	v_fma_f64 v[160:161], v[160:161], v[162:163], v[174:175]
	v_fma_f64 v[158:159], v[158:159], v[162:163], -v[176:177]
	s_waitcnt vmcnt(8) lgkmcnt(1)
	v_mul_f64 v[172:173], v[2:3], v[36:37]
	v_mul_f64 v[36:37], v[4:5], v[36:37]
	v_add_f64 v[162:163], v[170:171], v[180:181]
	v_add_f64 v[168:169], v[168:169], v[178:179]
	s_delay_alu instid0(VALU_DEP_4) | instskip(NEXT) | instid1(VALU_DEP_4)
	v_fma_f64 v[172:173], v[4:5], v[34:35], v[172:173]
	v_fma_f64 v[174:175], v[2:3], v[34:35], -v[36:37]
	ds_load_b128 v[2:5], v1 offset:1072
	ds_load_b128 v[34:37], v1 offset:1088
	s_waitcnt vmcnt(7) lgkmcnt(2)
	v_mul_f64 v[170:171], v[164:165], v[8:9]
	v_mul_f64 v[8:9], v[166:167], v[8:9]
	v_add_f64 v[158:159], v[162:163], v[158:159]
	v_add_f64 v[160:161], v[168:169], v[160:161]
	s_waitcnt vmcnt(6) lgkmcnt(1)
	v_mul_f64 v[162:163], v[2:3], v[12:13]
	v_mul_f64 v[12:13], v[4:5], v[12:13]
	v_fma_f64 v[166:167], v[166:167], v[6:7], v[170:171]
	v_fma_f64 v[6:7], v[164:165], v[6:7], -v[8:9]
	v_add_f64 v[8:9], v[158:159], v[174:175]
	v_add_f64 v[158:159], v[160:161], v[172:173]
	s_waitcnt vmcnt(5) lgkmcnt(0)
	v_mul_f64 v[160:161], v[34:35], v[16:17]
	v_mul_f64 v[16:17], v[36:37], v[16:17]
	v_fma_f64 v[162:163], v[4:5], v[10:11], v[162:163]
	v_fma_f64 v[10:11], v[2:3], v[10:11], -v[12:13]
	v_add_f64 v[12:13], v[8:9], v[6:7]
	v_add_f64 v[158:159], v[158:159], v[166:167]
	ds_load_b128 v[2:5], v1 offset:1104
	ds_load_b128 v[6:9], v1 offset:1120
	v_fma_f64 v[36:37], v[36:37], v[14:15], v[160:161]
	v_fma_f64 v[14:15], v[34:35], v[14:15], -v[16:17]
	s_waitcnt vmcnt(4) lgkmcnt(1)
	v_mul_f64 v[164:165], v[2:3], v[20:21]
	v_mul_f64 v[20:21], v[4:5], v[20:21]
	s_waitcnt vmcnt(3) lgkmcnt(0)
	v_mul_f64 v[16:17], v[6:7], v[24:25]
	v_mul_f64 v[24:25], v[8:9], v[24:25]
	v_add_f64 v[10:11], v[12:13], v[10:11]
	v_add_f64 v[12:13], v[158:159], v[162:163]
	v_fma_f64 v[34:35], v[4:5], v[18:19], v[164:165]
	v_fma_f64 v[18:19], v[2:3], v[18:19], -v[20:21]
	v_fma_f64 v[8:9], v[8:9], v[22:23], v[16:17]
	v_fma_f64 v[6:7], v[6:7], v[22:23], -v[24:25]
	v_add_f64 v[14:15], v[10:11], v[14:15]
	v_add_f64 v[20:21], v[12:13], v[36:37]
	ds_load_b128 v[2:5], v1 offset:1136
	ds_load_b128 v[10:13], v1 offset:1152
	s_waitcnt vmcnt(2) lgkmcnt(1)
	v_mul_f64 v[36:37], v[2:3], v[28:29]
	v_mul_f64 v[28:29], v[4:5], v[28:29]
	v_add_f64 v[14:15], v[14:15], v[18:19]
	v_add_f64 v[16:17], v[20:21], v[34:35]
	s_waitcnt vmcnt(1) lgkmcnt(0)
	v_mul_f64 v[18:19], v[10:11], v[32:33]
	v_mul_f64 v[20:21], v[12:13], v[32:33]
	v_fma_f64 v[22:23], v[4:5], v[26:27], v[36:37]
	v_fma_f64 v[24:25], v[2:3], v[26:27], -v[28:29]
	ds_load_b128 v[2:5], v1 offset:1168
	v_add_f64 v[6:7], v[14:15], v[6:7]
	v_add_f64 v[8:9], v[16:17], v[8:9]
	v_fma_f64 v[12:13], v[12:13], v[30:31], v[18:19]
	v_fma_f64 v[10:11], v[10:11], v[30:31], -v[20:21]
	s_waitcnt vmcnt(0) lgkmcnt(0)
	v_mul_f64 v[14:15], v[2:3], v[40:41]
	v_mul_f64 v[16:17], v[4:5], v[40:41]
	v_add_f64 v[6:7], v[6:7], v[24:25]
	v_add_f64 v[8:9], v[8:9], v[22:23]
	s_delay_alu instid0(VALU_DEP_4) | instskip(NEXT) | instid1(VALU_DEP_4)
	v_fma_f64 v[4:5], v[4:5], v[38:39], v[14:15]
	v_fma_f64 v[2:3], v[2:3], v[38:39], -v[16:17]
	s_delay_alu instid0(VALU_DEP_4) | instskip(NEXT) | instid1(VALU_DEP_4)
	v_add_f64 v[6:7], v[6:7], v[10:11]
	v_add_f64 v[8:9], v[8:9], v[12:13]
	s_delay_alu instid0(VALU_DEP_2) | instskip(NEXT) | instid1(VALU_DEP_2)
	v_add_f64 v[2:3], v[6:7], v[2:3]
	v_add_f64 v[4:5], v[8:9], v[4:5]
	s_delay_alu instid0(VALU_DEP_2) | instskip(NEXT) | instid1(VALU_DEP_2)
	v_add_f64 v[2:3], v[42:43], -v[2:3]
	v_add_f64 v[4:5], v[44:45], -v[4:5]
	scratch_store_b128 off, v[2:5], off offset:272
	v_cmpx_lt_u32_e32 16, v120
	s_cbranch_execz .LBB100_203
; %bb.202:
	scratch_load_b128 v[5:8], v136, off
	v_mov_b32_e32 v2, v1
	v_mov_b32_e32 v3, v1
	;; [unrolled: 1-line block ×3, first 2 shown]
	scratch_store_b128 off, v[1:4], off offset:256
	s_waitcnt vmcnt(0)
	ds_store_b128 v157, v[5:8]
.LBB100_203:
	s_or_b32 exec_lo, exec_lo, s2
	s_waitcnt lgkmcnt(0)
	s_waitcnt_vscnt null, 0x0
	s_barrier
	buffer_gl0_inv
	s_clause 0x8
	scratch_load_b128 v[2:5], off, off offset:272
	scratch_load_b128 v[6:9], off, off offset:288
	;; [unrolled: 1-line block ×9, first 2 shown]
	ds_load_b128 v[38:41], v1 offset:864
	ds_load_b128 v[42:45], v1 offset:880
	s_clause 0x1
	scratch_load_b128 v[158:161], off, off offset:256
	scratch_load_b128 v[162:165], off, off offset:416
	s_mov_b32 s2, exec_lo
	s_waitcnt vmcnt(10) lgkmcnt(1)
	v_mul_f64 v[166:167], v[40:41], v[4:5]
	v_mul_f64 v[4:5], v[38:39], v[4:5]
	s_waitcnt vmcnt(9) lgkmcnt(0)
	v_mul_f64 v[170:171], v[42:43], v[8:9]
	v_mul_f64 v[8:9], v[44:45], v[8:9]
	s_delay_alu instid0(VALU_DEP_4) | instskip(NEXT) | instid1(VALU_DEP_4)
	v_fma_f64 v[172:173], v[38:39], v[2:3], -v[166:167]
	v_fma_f64 v[174:175], v[40:41], v[2:3], v[4:5]
	ds_load_b128 v[2:5], v1 offset:896
	ds_load_b128 v[166:169], v1 offset:912
	scratch_load_b128 v[38:41], off, off offset:432
	v_fma_f64 v[44:45], v[44:45], v[6:7], v[170:171]
	v_fma_f64 v[42:43], v[42:43], v[6:7], -v[8:9]
	scratch_load_b128 v[6:9], off, off offset:448
	s_waitcnt vmcnt(10) lgkmcnt(1)
	v_mul_f64 v[176:177], v[2:3], v[12:13]
	v_mul_f64 v[12:13], v[4:5], v[12:13]
	v_add_f64 v[170:171], v[172:173], 0
	v_add_f64 v[172:173], v[174:175], 0
	s_waitcnt vmcnt(9) lgkmcnt(0)
	v_mul_f64 v[174:175], v[166:167], v[16:17]
	v_mul_f64 v[16:17], v[168:169], v[16:17]
	v_fma_f64 v[176:177], v[4:5], v[10:11], v[176:177]
	v_fma_f64 v[178:179], v[2:3], v[10:11], -v[12:13]
	ds_load_b128 v[2:5], v1 offset:928
	scratch_load_b128 v[10:13], off, off offset:464
	v_add_f64 v[170:171], v[170:171], v[42:43]
	v_add_f64 v[172:173], v[172:173], v[44:45]
	ds_load_b128 v[42:45], v1 offset:944
	v_fma_f64 v[168:169], v[168:169], v[14:15], v[174:175]
	v_fma_f64 v[166:167], v[166:167], v[14:15], -v[16:17]
	scratch_load_b128 v[14:17], off, off offset:480
	s_waitcnt vmcnt(10) lgkmcnt(1)
	v_mul_f64 v[180:181], v[2:3], v[20:21]
	v_mul_f64 v[20:21], v[4:5], v[20:21]
	s_waitcnt vmcnt(9) lgkmcnt(0)
	v_mul_f64 v[174:175], v[42:43], v[24:25]
	v_mul_f64 v[24:25], v[44:45], v[24:25]
	v_add_f64 v[170:171], v[170:171], v[178:179]
	v_add_f64 v[172:173], v[172:173], v[176:177]
	v_fma_f64 v[176:177], v[4:5], v[18:19], v[180:181]
	v_fma_f64 v[178:179], v[2:3], v[18:19], -v[20:21]
	ds_load_b128 v[2:5], v1 offset:960
	scratch_load_b128 v[18:21], off, off offset:496
	v_fma_f64 v[44:45], v[44:45], v[22:23], v[174:175]
	v_fma_f64 v[42:43], v[42:43], v[22:23], -v[24:25]
	scratch_load_b128 v[22:25], off, off offset:512
	v_add_f64 v[170:171], v[170:171], v[166:167]
	v_add_f64 v[172:173], v[172:173], v[168:169]
	ds_load_b128 v[166:169], v1 offset:976
	s_waitcnt vmcnt(10) lgkmcnt(1)
	v_mul_f64 v[180:181], v[2:3], v[28:29]
	v_mul_f64 v[28:29], v[4:5], v[28:29]
	s_waitcnt vmcnt(9) lgkmcnt(0)
	v_mul_f64 v[174:175], v[166:167], v[32:33]
	v_mul_f64 v[32:33], v[168:169], v[32:33]
	v_add_f64 v[170:171], v[170:171], v[178:179]
	v_add_f64 v[172:173], v[172:173], v[176:177]
	v_fma_f64 v[176:177], v[4:5], v[26:27], v[180:181]
	v_fma_f64 v[178:179], v[2:3], v[26:27], -v[28:29]
	ds_load_b128 v[2:5], v1 offset:992
	scratch_load_b128 v[26:29], off, off offset:528
	v_fma_f64 v[168:169], v[168:169], v[30:31], v[174:175]
	v_fma_f64 v[166:167], v[166:167], v[30:31], -v[32:33]
	scratch_load_b128 v[30:33], off, off offset:544
	v_add_f64 v[170:171], v[170:171], v[42:43]
	v_add_f64 v[172:173], v[172:173], v[44:45]
	ds_load_b128 v[42:45], v1 offset:1008
	s_waitcnt vmcnt(10) lgkmcnt(1)
	v_mul_f64 v[180:181], v[2:3], v[36:37]
	v_mul_f64 v[36:37], v[4:5], v[36:37]
	s_waitcnt vmcnt(8) lgkmcnt(0)
	v_mul_f64 v[174:175], v[42:43], v[164:165]
	v_add_f64 v[170:171], v[170:171], v[178:179]
	v_add_f64 v[172:173], v[172:173], v[176:177]
	v_mul_f64 v[176:177], v[44:45], v[164:165]
	v_fma_f64 v[178:179], v[4:5], v[34:35], v[180:181]
	v_fma_f64 v[180:181], v[2:3], v[34:35], -v[36:37]
	ds_load_b128 v[2:5], v1 offset:1024
	scratch_load_b128 v[34:37], off, off offset:560
	v_fma_f64 v[44:45], v[44:45], v[162:163], v[174:175]
	v_add_f64 v[170:171], v[170:171], v[166:167]
	v_add_f64 v[168:169], v[172:173], v[168:169]
	ds_load_b128 v[164:167], v1 offset:1040
	v_fma_f64 v[162:163], v[42:43], v[162:163], -v[176:177]
	s_waitcnt vmcnt(8) lgkmcnt(1)
	v_mul_f64 v[172:173], v[2:3], v[40:41]
	v_mul_f64 v[182:183], v[4:5], v[40:41]
	scratch_load_b128 v[40:43], off, off offset:576
	s_waitcnt vmcnt(8) lgkmcnt(0)
	v_mul_f64 v[174:175], v[164:165], v[8:9]
	v_mul_f64 v[8:9], v[166:167], v[8:9]
	v_add_f64 v[170:171], v[170:171], v[180:181]
	v_add_f64 v[168:169], v[168:169], v[178:179]
	v_fma_f64 v[172:173], v[4:5], v[38:39], v[172:173]
	v_fma_f64 v[38:39], v[2:3], v[38:39], -v[182:183]
	v_fma_f64 v[166:167], v[166:167], v[6:7], v[174:175]
	v_fma_f64 v[6:7], v[164:165], v[6:7], -v[8:9]
	v_add_f64 v[162:163], v[170:171], v[162:163]
	v_add_f64 v[44:45], v[168:169], v[44:45]
	ds_load_b128 v[2:5], v1 offset:1056
	ds_load_b128 v[168:171], v1 offset:1072
	s_waitcnt vmcnt(7) lgkmcnt(1)
	v_mul_f64 v[176:177], v[2:3], v[12:13]
	v_mul_f64 v[12:13], v[4:5], v[12:13]
	v_add_f64 v[8:9], v[162:163], v[38:39]
	v_add_f64 v[38:39], v[44:45], v[172:173]
	s_waitcnt vmcnt(6) lgkmcnt(0)
	v_mul_f64 v[44:45], v[168:169], v[16:17]
	v_mul_f64 v[16:17], v[170:171], v[16:17]
	v_fma_f64 v[162:163], v[4:5], v[10:11], v[176:177]
	v_fma_f64 v[10:11], v[2:3], v[10:11], -v[12:13]
	v_add_f64 v[12:13], v[8:9], v[6:7]
	v_add_f64 v[38:39], v[38:39], v[166:167]
	ds_load_b128 v[2:5], v1 offset:1088
	ds_load_b128 v[6:9], v1 offset:1104
	v_fma_f64 v[44:45], v[170:171], v[14:15], v[44:45]
	v_fma_f64 v[14:15], v[168:169], v[14:15], -v[16:17]
	s_waitcnt vmcnt(5) lgkmcnt(1)
	v_mul_f64 v[164:165], v[2:3], v[20:21]
	v_mul_f64 v[20:21], v[4:5], v[20:21]
	s_waitcnt vmcnt(4) lgkmcnt(0)
	v_mul_f64 v[16:17], v[6:7], v[24:25]
	v_mul_f64 v[24:25], v[8:9], v[24:25]
	v_add_f64 v[10:11], v[12:13], v[10:11]
	v_add_f64 v[12:13], v[38:39], v[162:163]
	v_fma_f64 v[38:39], v[4:5], v[18:19], v[164:165]
	v_fma_f64 v[18:19], v[2:3], v[18:19], -v[20:21]
	v_fma_f64 v[8:9], v[8:9], v[22:23], v[16:17]
	v_fma_f64 v[6:7], v[6:7], v[22:23], -v[24:25]
	v_add_f64 v[14:15], v[10:11], v[14:15]
	v_add_f64 v[20:21], v[12:13], v[44:45]
	ds_load_b128 v[2:5], v1 offset:1120
	ds_load_b128 v[10:13], v1 offset:1136
	s_waitcnt vmcnt(3) lgkmcnt(1)
	v_mul_f64 v[44:45], v[2:3], v[28:29]
	v_mul_f64 v[28:29], v[4:5], v[28:29]
	v_add_f64 v[14:15], v[14:15], v[18:19]
	v_add_f64 v[16:17], v[20:21], v[38:39]
	s_waitcnt vmcnt(2) lgkmcnt(0)
	v_mul_f64 v[18:19], v[10:11], v[32:33]
	v_mul_f64 v[20:21], v[12:13], v[32:33]
	v_fma_f64 v[22:23], v[4:5], v[26:27], v[44:45]
	v_fma_f64 v[24:25], v[2:3], v[26:27], -v[28:29]
	v_add_f64 v[14:15], v[14:15], v[6:7]
	v_add_f64 v[16:17], v[16:17], v[8:9]
	ds_load_b128 v[2:5], v1 offset:1152
	ds_load_b128 v[6:9], v1 offset:1168
	v_fma_f64 v[12:13], v[12:13], v[30:31], v[18:19]
	v_fma_f64 v[10:11], v[10:11], v[30:31], -v[20:21]
	s_waitcnt vmcnt(1) lgkmcnt(1)
	v_mul_f64 v[26:27], v[2:3], v[36:37]
	v_mul_f64 v[28:29], v[4:5], v[36:37]
	s_waitcnt vmcnt(0) lgkmcnt(0)
	v_mul_f64 v[18:19], v[6:7], v[42:43]
	v_add_f64 v[14:15], v[14:15], v[24:25]
	v_add_f64 v[16:17], v[16:17], v[22:23]
	v_mul_f64 v[20:21], v[8:9], v[42:43]
	v_fma_f64 v[4:5], v[4:5], v[34:35], v[26:27]
	v_fma_f64 v[1:2], v[2:3], v[34:35], -v[28:29]
	v_fma_f64 v[8:9], v[8:9], v[40:41], v[18:19]
	v_add_f64 v[10:11], v[14:15], v[10:11]
	v_add_f64 v[12:13], v[16:17], v[12:13]
	v_fma_f64 v[6:7], v[6:7], v[40:41], -v[20:21]
	s_delay_alu instid0(VALU_DEP_3) | instskip(NEXT) | instid1(VALU_DEP_3)
	v_add_f64 v[1:2], v[10:11], v[1:2]
	v_add_f64 v[3:4], v[12:13], v[4:5]
	s_delay_alu instid0(VALU_DEP_2) | instskip(NEXT) | instid1(VALU_DEP_2)
	v_add_f64 v[1:2], v[1:2], v[6:7]
	v_add_f64 v[3:4], v[3:4], v[8:9]
	s_delay_alu instid0(VALU_DEP_2) | instskip(NEXT) | instid1(VALU_DEP_2)
	v_add_f64 v[1:2], v[158:159], -v[1:2]
	v_add_f64 v[3:4], v[160:161], -v[3:4]
	scratch_store_b128 off, v[1:4], off offset:256
	v_cmpx_lt_u32_e32 15, v120
	s_cbranch_execz .LBB100_205
; %bb.204:
	scratch_load_b128 v[1:4], v138, off
	v_mov_b32_e32 v5, 0
	s_delay_alu instid0(VALU_DEP_1)
	v_mov_b32_e32 v6, v5
	v_mov_b32_e32 v7, v5
	;; [unrolled: 1-line block ×3, first 2 shown]
	scratch_store_b128 off, v[5:8], off offset:240
	s_waitcnt vmcnt(0)
	ds_store_b128 v157, v[1:4]
.LBB100_205:
	s_or_b32 exec_lo, exec_lo, s2
	s_waitcnt lgkmcnt(0)
	s_waitcnt_vscnt null, 0x0
	s_barrier
	buffer_gl0_inv
	s_clause 0x7
	scratch_load_b128 v[2:5], off, off offset:256
	scratch_load_b128 v[6:9], off, off offset:272
	;; [unrolled: 1-line block ×8, first 2 shown]
	v_mov_b32_e32 v1, 0
	s_mov_b32 s2, exec_lo
	ds_load_b128 v[34:37], v1 offset:848
	s_clause 0x1
	scratch_load_b128 v[38:41], off, off offset:384
	scratch_load_b128 v[42:45], off, off offset:240
	ds_load_b128 v[158:161], v1 offset:864
	scratch_load_b128 v[162:165], off, off offset:400
	s_waitcnt vmcnt(10) lgkmcnt(1)
	v_mul_f64 v[166:167], v[36:37], v[4:5]
	v_mul_f64 v[4:5], v[34:35], v[4:5]
	s_delay_alu instid0(VALU_DEP_2) | instskip(NEXT) | instid1(VALU_DEP_2)
	v_fma_f64 v[172:173], v[34:35], v[2:3], -v[166:167]
	v_fma_f64 v[174:175], v[36:37], v[2:3], v[4:5]
	scratch_load_b128 v[34:37], off, off offset:416
	ds_load_b128 v[2:5], v1 offset:880
	s_waitcnt vmcnt(10) lgkmcnt(1)
	v_mul_f64 v[170:171], v[158:159], v[8:9]
	v_mul_f64 v[8:9], v[160:161], v[8:9]
	ds_load_b128 v[166:169], v1 offset:896
	s_waitcnt vmcnt(9) lgkmcnt(1)
	v_mul_f64 v[176:177], v[2:3], v[12:13]
	v_mul_f64 v[12:13], v[4:5], v[12:13]
	v_fma_f64 v[160:161], v[160:161], v[6:7], v[170:171]
	v_fma_f64 v[158:159], v[158:159], v[6:7], -v[8:9]
	v_add_f64 v[170:171], v[172:173], 0
	v_add_f64 v[172:173], v[174:175], 0
	scratch_load_b128 v[6:9], off, off offset:432
	v_fma_f64 v[176:177], v[4:5], v[10:11], v[176:177]
	v_fma_f64 v[178:179], v[2:3], v[10:11], -v[12:13]
	scratch_load_b128 v[10:13], off, off offset:448
	ds_load_b128 v[2:5], v1 offset:912
	s_waitcnt vmcnt(10) lgkmcnt(1)
	v_mul_f64 v[174:175], v[166:167], v[16:17]
	v_mul_f64 v[16:17], v[168:169], v[16:17]
	v_add_f64 v[170:171], v[170:171], v[158:159]
	v_add_f64 v[172:173], v[172:173], v[160:161]
	s_waitcnt vmcnt(9) lgkmcnt(0)
	v_mul_f64 v[180:181], v[2:3], v[20:21]
	v_mul_f64 v[20:21], v[4:5], v[20:21]
	ds_load_b128 v[158:161], v1 offset:928
	v_fma_f64 v[168:169], v[168:169], v[14:15], v[174:175]
	v_fma_f64 v[166:167], v[166:167], v[14:15], -v[16:17]
	scratch_load_b128 v[14:17], off, off offset:464
	v_add_f64 v[170:171], v[170:171], v[178:179]
	v_add_f64 v[172:173], v[172:173], v[176:177]
	v_fma_f64 v[176:177], v[4:5], v[18:19], v[180:181]
	v_fma_f64 v[178:179], v[2:3], v[18:19], -v[20:21]
	scratch_load_b128 v[18:21], off, off offset:480
	ds_load_b128 v[2:5], v1 offset:944
	s_waitcnt vmcnt(10) lgkmcnt(1)
	v_mul_f64 v[174:175], v[158:159], v[24:25]
	v_mul_f64 v[24:25], v[160:161], v[24:25]
	s_waitcnt vmcnt(9) lgkmcnt(0)
	v_mul_f64 v[180:181], v[2:3], v[28:29]
	v_mul_f64 v[28:29], v[4:5], v[28:29]
	v_add_f64 v[170:171], v[170:171], v[166:167]
	v_add_f64 v[172:173], v[172:173], v[168:169]
	ds_load_b128 v[166:169], v1 offset:960
	v_fma_f64 v[160:161], v[160:161], v[22:23], v[174:175]
	v_fma_f64 v[158:159], v[158:159], v[22:23], -v[24:25]
	scratch_load_b128 v[22:25], off, off offset:496
	v_add_f64 v[170:171], v[170:171], v[178:179]
	v_add_f64 v[172:173], v[172:173], v[176:177]
	v_fma_f64 v[176:177], v[4:5], v[26:27], v[180:181]
	v_fma_f64 v[178:179], v[2:3], v[26:27], -v[28:29]
	scratch_load_b128 v[26:29], off, off offset:512
	ds_load_b128 v[2:5], v1 offset:976
	s_waitcnt vmcnt(10) lgkmcnt(1)
	v_mul_f64 v[174:175], v[166:167], v[32:33]
	v_mul_f64 v[32:33], v[168:169], v[32:33]
	s_waitcnt vmcnt(9) lgkmcnt(0)
	v_mul_f64 v[180:181], v[2:3], v[40:41]
	v_mul_f64 v[40:41], v[4:5], v[40:41]
	v_add_f64 v[170:171], v[170:171], v[158:159]
	v_add_f64 v[172:173], v[172:173], v[160:161]
	ds_load_b128 v[158:161], v1 offset:992
	v_fma_f64 v[168:169], v[168:169], v[30:31], v[174:175]
	v_fma_f64 v[166:167], v[166:167], v[30:31], -v[32:33]
	scratch_load_b128 v[30:33], off, off offset:528
	v_add_f64 v[170:171], v[170:171], v[178:179]
	v_add_f64 v[172:173], v[172:173], v[176:177]
	v_fma_f64 v[178:179], v[4:5], v[38:39], v[180:181]
	v_fma_f64 v[180:181], v[2:3], v[38:39], -v[40:41]
	scratch_load_b128 v[38:41], off, off offset:544
	ds_load_b128 v[2:5], v1 offset:1008
	s_waitcnt vmcnt(9) lgkmcnt(1)
	v_mul_f64 v[174:175], v[158:159], v[164:165]
	v_mul_f64 v[176:177], v[160:161], v[164:165]
	v_add_f64 v[170:171], v[170:171], v[166:167]
	v_add_f64 v[168:169], v[172:173], v[168:169]
	ds_load_b128 v[164:167], v1 offset:1024
	v_fma_f64 v[174:175], v[160:161], v[162:163], v[174:175]
	v_fma_f64 v[162:163], v[158:159], v[162:163], -v[176:177]
	scratch_load_b128 v[158:161], off, off offset:560
	s_waitcnt vmcnt(9) lgkmcnt(1)
	v_mul_f64 v[172:173], v[2:3], v[36:37]
	v_mul_f64 v[36:37], v[4:5], v[36:37]
	v_add_f64 v[170:171], v[170:171], v[180:181]
	v_add_f64 v[168:169], v[168:169], v[178:179]
	s_delay_alu instid0(VALU_DEP_4) | instskip(NEXT) | instid1(VALU_DEP_4)
	v_fma_f64 v[172:173], v[4:5], v[34:35], v[172:173]
	v_fma_f64 v[178:179], v[2:3], v[34:35], -v[36:37]
	scratch_load_b128 v[34:37], off, off offset:576
	ds_load_b128 v[2:5], v1 offset:1040
	s_waitcnt vmcnt(9) lgkmcnt(1)
	v_mul_f64 v[176:177], v[164:165], v[8:9]
	v_mul_f64 v[8:9], v[166:167], v[8:9]
	s_waitcnt vmcnt(8) lgkmcnt(0)
	v_mul_f64 v[180:181], v[2:3], v[12:13]
	v_mul_f64 v[12:13], v[4:5], v[12:13]
	v_add_f64 v[162:163], v[170:171], v[162:163]
	v_add_f64 v[174:175], v[168:169], v[174:175]
	ds_load_b128 v[168:171], v1 offset:1056
	v_fma_f64 v[166:167], v[166:167], v[6:7], v[176:177]
	v_fma_f64 v[6:7], v[164:165], v[6:7], -v[8:9]
	v_add_f64 v[8:9], v[162:163], v[178:179]
	v_add_f64 v[162:163], v[174:175], v[172:173]
	s_waitcnt vmcnt(7) lgkmcnt(0)
	v_mul_f64 v[164:165], v[168:169], v[16:17]
	v_mul_f64 v[16:17], v[170:171], v[16:17]
	v_fma_f64 v[172:173], v[4:5], v[10:11], v[180:181]
	v_fma_f64 v[10:11], v[2:3], v[10:11], -v[12:13]
	v_add_f64 v[12:13], v[8:9], v[6:7]
	v_add_f64 v[162:163], v[162:163], v[166:167]
	ds_load_b128 v[2:5], v1 offset:1072
	ds_load_b128 v[6:9], v1 offset:1088
	v_fma_f64 v[164:165], v[170:171], v[14:15], v[164:165]
	v_fma_f64 v[14:15], v[168:169], v[14:15], -v[16:17]
	s_waitcnt vmcnt(6) lgkmcnt(1)
	v_mul_f64 v[166:167], v[2:3], v[20:21]
	v_mul_f64 v[20:21], v[4:5], v[20:21]
	s_waitcnt vmcnt(5) lgkmcnt(0)
	v_mul_f64 v[16:17], v[6:7], v[24:25]
	v_mul_f64 v[24:25], v[8:9], v[24:25]
	v_add_f64 v[10:11], v[12:13], v[10:11]
	v_add_f64 v[12:13], v[162:163], v[172:173]
	v_fma_f64 v[162:163], v[4:5], v[18:19], v[166:167]
	v_fma_f64 v[18:19], v[2:3], v[18:19], -v[20:21]
	v_fma_f64 v[8:9], v[8:9], v[22:23], v[16:17]
	v_fma_f64 v[6:7], v[6:7], v[22:23], -v[24:25]
	v_add_f64 v[14:15], v[10:11], v[14:15]
	v_add_f64 v[20:21], v[12:13], v[164:165]
	ds_load_b128 v[2:5], v1 offset:1104
	ds_load_b128 v[10:13], v1 offset:1120
	s_waitcnt vmcnt(4) lgkmcnt(1)
	v_mul_f64 v[164:165], v[2:3], v[28:29]
	v_mul_f64 v[28:29], v[4:5], v[28:29]
	v_add_f64 v[14:15], v[14:15], v[18:19]
	v_add_f64 v[16:17], v[20:21], v[162:163]
	s_waitcnt vmcnt(3) lgkmcnt(0)
	v_mul_f64 v[18:19], v[10:11], v[32:33]
	v_mul_f64 v[20:21], v[12:13], v[32:33]
	v_fma_f64 v[22:23], v[4:5], v[26:27], v[164:165]
	v_fma_f64 v[24:25], v[2:3], v[26:27], -v[28:29]
	v_add_f64 v[14:15], v[14:15], v[6:7]
	v_add_f64 v[16:17], v[16:17], v[8:9]
	ds_load_b128 v[2:5], v1 offset:1136
	ds_load_b128 v[6:9], v1 offset:1152
	v_fma_f64 v[12:13], v[12:13], v[30:31], v[18:19]
	v_fma_f64 v[10:11], v[10:11], v[30:31], -v[20:21]
	s_waitcnt vmcnt(2) lgkmcnt(1)
	v_mul_f64 v[26:27], v[2:3], v[40:41]
	v_mul_f64 v[28:29], v[4:5], v[40:41]
	s_waitcnt vmcnt(1) lgkmcnt(0)
	v_mul_f64 v[18:19], v[6:7], v[160:161]
	v_mul_f64 v[20:21], v[8:9], v[160:161]
	v_add_f64 v[14:15], v[14:15], v[24:25]
	v_add_f64 v[16:17], v[16:17], v[22:23]
	v_fma_f64 v[22:23], v[4:5], v[38:39], v[26:27]
	v_fma_f64 v[24:25], v[2:3], v[38:39], -v[28:29]
	ds_load_b128 v[2:5], v1 offset:1168
	v_fma_f64 v[8:9], v[8:9], v[158:159], v[18:19]
	v_fma_f64 v[6:7], v[6:7], v[158:159], -v[20:21]
	v_add_f64 v[10:11], v[14:15], v[10:11]
	v_add_f64 v[12:13], v[16:17], v[12:13]
	s_waitcnt vmcnt(0) lgkmcnt(0)
	v_mul_f64 v[14:15], v[2:3], v[36:37]
	v_mul_f64 v[16:17], v[4:5], v[36:37]
	s_delay_alu instid0(VALU_DEP_4) | instskip(NEXT) | instid1(VALU_DEP_4)
	v_add_f64 v[10:11], v[10:11], v[24:25]
	v_add_f64 v[12:13], v[12:13], v[22:23]
	s_delay_alu instid0(VALU_DEP_4) | instskip(NEXT) | instid1(VALU_DEP_4)
	v_fma_f64 v[4:5], v[4:5], v[34:35], v[14:15]
	v_fma_f64 v[2:3], v[2:3], v[34:35], -v[16:17]
	s_delay_alu instid0(VALU_DEP_4) | instskip(NEXT) | instid1(VALU_DEP_4)
	v_add_f64 v[6:7], v[10:11], v[6:7]
	v_add_f64 v[8:9], v[12:13], v[8:9]
	s_delay_alu instid0(VALU_DEP_2) | instskip(NEXT) | instid1(VALU_DEP_2)
	v_add_f64 v[2:3], v[6:7], v[2:3]
	v_add_f64 v[4:5], v[8:9], v[4:5]
	s_delay_alu instid0(VALU_DEP_2) | instskip(NEXT) | instid1(VALU_DEP_2)
	v_add_f64 v[2:3], v[42:43], -v[2:3]
	v_add_f64 v[4:5], v[44:45], -v[4:5]
	scratch_store_b128 off, v[2:5], off offset:240
	v_cmpx_lt_u32_e32 14, v120
	s_cbranch_execz .LBB100_207
; %bb.206:
	scratch_load_b128 v[5:8], v140, off
	v_mov_b32_e32 v2, v1
	v_mov_b32_e32 v3, v1
	;; [unrolled: 1-line block ×3, first 2 shown]
	scratch_store_b128 off, v[1:4], off offset:224
	s_waitcnt vmcnt(0)
	ds_store_b128 v157, v[5:8]
.LBB100_207:
	s_or_b32 exec_lo, exec_lo, s2
	s_waitcnt lgkmcnt(0)
	s_waitcnt_vscnt null, 0x0
	s_barrier
	buffer_gl0_inv
	s_clause 0x8
	scratch_load_b128 v[2:5], off, off offset:240
	scratch_load_b128 v[6:9], off, off offset:256
	;; [unrolled: 1-line block ×9, first 2 shown]
	ds_load_b128 v[38:41], v1 offset:832
	ds_load_b128 v[42:45], v1 offset:848
	s_clause 0x1
	scratch_load_b128 v[158:161], off, off offset:224
	scratch_load_b128 v[162:165], off, off offset:384
	s_mov_b32 s2, exec_lo
	s_waitcnt vmcnt(10) lgkmcnt(1)
	v_mul_f64 v[166:167], v[40:41], v[4:5]
	v_mul_f64 v[4:5], v[38:39], v[4:5]
	s_waitcnt vmcnt(9) lgkmcnt(0)
	v_mul_f64 v[170:171], v[42:43], v[8:9]
	v_mul_f64 v[8:9], v[44:45], v[8:9]
	s_delay_alu instid0(VALU_DEP_4) | instskip(NEXT) | instid1(VALU_DEP_4)
	v_fma_f64 v[172:173], v[38:39], v[2:3], -v[166:167]
	v_fma_f64 v[174:175], v[40:41], v[2:3], v[4:5]
	ds_load_b128 v[2:5], v1 offset:864
	ds_load_b128 v[166:169], v1 offset:880
	scratch_load_b128 v[38:41], off, off offset:400
	v_fma_f64 v[44:45], v[44:45], v[6:7], v[170:171]
	v_fma_f64 v[42:43], v[42:43], v[6:7], -v[8:9]
	scratch_load_b128 v[6:9], off, off offset:416
	s_waitcnt vmcnt(10) lgkmcnt(1)
	v_mul_f64 v[176:177], v[2:3], v[12:13]
	v_mul_f64 v[12:13], v[4:5], v[12:13]
	v_add_f64 v[170:171], v[172:173], 0
	v_add_f64 v[172:173], v[174:175], 0
	s_waitcnt vmcnt(9) lgkmcnt(0)
	v_mul_f64 v[174:175], v[166:167], v[16:17]
	v_mul_f64 v[16:17], v[168:169], v[16:17]
	v_fma_f64 v[176:177], v[4:5], v[10:11], v[176:177]
	v_fma_f64 v[178:179], v[2:3], v[10:11], -v[12:13]
	ds_load_b128 v[2:5], v1 offset:896
	scratch_load_b128 v[10:13], off, off offset:432
	v_add_f64 v[170:171], v[170:171], v[42:43]
	v_add_f64 v[172:173], v[172:173], v[44:45]
	ds_load_b128 v[42:45], v1 offset:912
	v_fma_f64 v[168:169], v[168:169], v[14:15], v[174:175]
	v_fma_f64 v[166:167], v[166:167], v[14:15], -v[16:17]
	scratch_load_b128 v[14:17], off, off offset:448
	s_waitcnt vmcnt(10) lgkmcnt(1)
	v_mul_f64 v[180:181], v[2:3], v[20:21]
	v_mul_f64 v[20:21], v[4:5], v[20:21]
	s_waitcnt vmcnt(9) lgkmcnt(0)
	v_mul_f64 v[174:175], v[42:43], v[24:25]
	v_mul_f64 v[24:25], v[44:45], v[24:25]
	v_add_f64 v[170:171], v[170:171], v[178:179]
	v_add_f64 v[172:173], v[172:173], v[176:177]
	v_fma_f64 v[176:177], v[4:5], v[18:19], v[180:181]
	v_fma_f64 v[178:179], v[2:3], v[18:19], -v[20:21]
	ds_load_b128 v[2:5], v1 offset:928
	scratch_load_b128 v[18:21], off, off offset:464
	v_fma_f64 v[44:45], v[44:45], v[22:23], v[174:175]
	v_fma_f64 v[42:43], v[42:43], v[22:23], -v[24:25]
	scratch_load_b128 v[22:25], off, off offset:480
	v_add_f64 v[170:171], v[170:171], v[166:167]
	v_add_f64 v[172:173], v[172:173], v[168:169]
	ds_load_b128 v[166:169], v1 offset:944
	s_waitcnt vmcnt(10) lgkmcnt(1)
	v_mul_f64 v[180:181], v[2:3], v[28:29]
	v_mul_f64 v[28:29], v[4:5], v[28:29]
	s_waitcnt vmcnt(9) lgkmcnt(0)
	v_mul_f64 v[174:175], v[166:167], v[32:33]
	v_mul_f64 v[32:33], v[168:169], v[32:33]
	v_add_f64 v[170:171], v[170:171], v[178:179]
	v_add_f64 v[172:173], v[172:173], v[176:177]
	v_fma_f64 v[176:177], v[4:5], v[26:27], v[180:181]
	v_fma_f64 v[178:179], v[2:3], v[26:27], -v[28:29]
	ds_load_b128 v[2:5], v1 offset:960
	scratch_load_b128 v[26:29], off, off offset:496
	v_fma_f64 v[168:169], v[168:169], v[30:31], v[174:175]
	v_fma_f64 v[166:167], v[166:167], v[30:31], -v[32:33]
	scratch_load_b128 v[30:33], off, off offset:512
	v_add_f64 v[170:171], v[170:171], v[42:43]
	v_add_f64 v[172:173], v[172:173], v[44:45]
	ds_load_b128 v[42:45], v1 offset:976
	s_waitcnt vmcnt(10) lgkmcnt(1)
	v_mul_f64 v[180:181], v[2:3], v[36:37]
	v_mul_f64 v[36:37], v[4:5], v[36:37]
	s_waitcnt vmcnt(8) lgkmcnt(0)
	v_mul_f64 v[174:175], v[42:43], v[164:165]
	v_add_f64 v[170:171], v[170:171], v[178:179]
	v_add_f64 v[172:173], v[172:173], v[176:177]
	v_mul_f64 v[176:177], v[44:45], v[164:165]
	v_fma_f64 v[178:179], v[4:5], v[34:35], v[180:181]
	v_fma_f64 v[180:181], v[2:3], v[34:35], -v[36:37]
	ds_load_b128 v[2:5], v1 offset:992
	scratch_load_b128 v[34:37], off, off offset:528
	v_fma_f64 v[44:45], v[44:45], v[162:163], v[174:175]
	v_add_f64 v[170:171], v[170:171], v[166:167]
	v_add_f64 v[168:169], v[172:173], v[168:169]
	ds_load_b128 v[164:167], v1 offset:1008
	v_fma_f64 v[162:163], v[42:43], v[162:163], -v[176:177]
	s_waitcnt vmcnt(8) lgkmcnt(1)
	v_mul_f64 v[172:173], v[2:3], v[40:41]
	v_mul_f64 v[182:183], v[4:5], v[40:41]
	scratch_load_b128 v[40:43], off, off offset:544
	s_waitcnt vmcnt(8) lgkmcnt(0)
	v_mul_f64 v[176:177], v[164:165], v[8:9]
	v_mul_f64 v[8:9], v[166:167], v[8:9]
	v_add_f64 v[170:171], v[170:171], v[180:181]
	v_add_f64 v[168:169], v[168:169], v[178:179]
	v_fma_f64 v[178:179], v[4:5], v[38:39], v[172:173]
	v_fma_f64 v[38:39], v[2:3], v[38:39], -v[182:183]
	ds_load_b128 v[2:5], v1 offset:1024
	ds_load_b128 v[172:175], v1 offset:1040
	v_fma_f64 v[166:167], v[166:167], v[6:7], v[176:177]
	v_fma_f64 v[164:165], v[164:165], v[6:7], -v[8:9]
	scratch_load_b128 v[6:9], off, off offset:576
	v_add_f64 v[162:163], v[170:171], v[162:163]
	v_add_f64 v[44:45], v[168:169], v[44:45]
	scratch_load_b128 v[168:171], off, off offset:560
	s_waitcnt vmcnt(9) lgkmcnt(1)
	v_mul_f64 v[180:181], v[2:3], v[12:13]
	v_mul_f64 v[12:13], v[4:5], v[12:13]
	v_add_f64 v[38:39], v[162:163], v[38:39]
	v_add_f64 v[44:45], v[44:45], v[178:179]
	s_waitcnt vmcnt(8) lgkmcnt(0)
	v_mul_f64 v[162:163], v[172:173], v[16:17]
	v_mul_f64 v[16:17], v[174:175], v[16:17]
	v_fma_f64 v[176:177], v[4:5], v[10:11], v[180:181]
	v_fma_f64 v[178:179], v[2:3], v[10:11], -v[12:13]
	ds_load_b128 v[2:5], v1 offset:1056
	ds_load_b128 v[10:13], v1 offset:1072
	v_add_f64 v[38:39], v[38:39], v[164:165]
	v_add_f64 v[44:45], v[44:45], v[166:167]
	s_waitcnt vmcnt(7) lgkmcnt(1)
	v_mul_f64 v[164:165], v[2:3], v[20:21]
	v_mul_f64 v[20:21], v[4:5], v[20:21]
	v_fma_f64 v[162:163], v[174:175], v[14:15], v[162:163]
	v_fma_f64 v[14:15], v[172:173], v[14:15], -v[16:17]
	v_add_f64 v[16:17], v[38:39], v[178:179]
	v_add_f64 v[38:39], v[44:45], v[176:177]
	s_waitcnt vmcnt(6) lgkmcnt(0)
	v_mul_f64 v[44:45], v[10:11], v[24:25]
	v_mul_f64 v[24:25], v[12:13], v[24:25]
	v_fma_f64 v[164:165], v[4:5], v[18:19], v[164:165]
	v_fma_f64 v[18:19], v[2:3], v[18:19], -v[20:21]
	v_add_f64 v[20:21], v[16:17], v[14:15]
	v_add_f64 v[38:39], v[38:39], v[162:163]
	ds_load_b128 v[2:5], v1 offset:1088
	ds_load_b128 v[14:17], v1 offset:1104
	v_fma_f64 v[12:13], v[12:13], v[22:23], v[44:45]
	v_fma_f64 v[10:11], v[10:11], v[22:23], -v[24:25]
	s_waitcnt vmcnt(5) lgkmcnt(1)
	v_mul_f64 v[162:163], v[2:3], v[28:29]
	v_mul_f64 v[28:29], v[4:5], v[28:29]
	s_waitcnt vmcnt(4) lgkmcnt(0)
	v_mul_f64 v[22:23], v[14:15], v[32:33]
	v_mul_f64 v[24:25], v[16:17], v[32:33]
	v_add_f64 v[18:19], v[20:21], v[18:19]
	v_add_f64 v[20:21], v[38:39], v[164:165]
	v_fma_f64 v[32:33], v[4:5], v[26:27], v[162:163]
	v_fma_f64 v[26:27], v[2:3], v[26:27], -v[28:29]
	v_fma_f64 v[16:17], v[16:17], v[30:31], v[22:23]
	v_fma_f64 v[14:15], v[14:15], v[30:31], -v[24:25]
	v_add_f64 v[18:19], v[18:19], v[10:11]
	v_add_f64 v[20:21], v[20:21], v[12:13]
	ds_load_b128 v[2:5], v1 offset:1120
	ds_load_b128 v[10:13], v1 offset:1136
	s_waitcnt vmcnt(3) lgkmcnt(1)
	v_mul_f64 v[28:29], v[2:3], v[36:37]
	v_mul_f64 v[36:37], v[4:5], v[36:37]
	s_waitcnt vmcnt(2) lgkmcnt(0)
	v_mul_f64 v[22:23], v[10:11], v[42:43]
	v_add_f64 v[18:19], v[18:19], v[26:27]
	v_add_f64 v[20:21], v[20:21], v[32:33]
	v_mul_f64 v[24:25], v[12:13], v[42:43]
	v_fma_f64 v[26:27], v[4:5], v[34:35], v[28:29]
	v_fma_f64 v[28:29], v[2:3], v[34:35], -v[36:37]
	v_fma_f64 v[12:13], v[12:13], v[40:41], v[22:23]
	v_add_f64 v[18:19], v[18:19], v[14:15]
	v_add_f64 v[20:21], v[20:21], v[16:17]
	ds_load_b128 v[2:5], v1 offset:1152
	ds_load_b128 v[14:17], v1 offset:1168
	v_fma_f64 v[10:11], v[10:11], v[40:41], -v[24:25]
	s_waitcnt vmcnt(0) lgkmcnt(1)
	v_mul_f64 v[30:31], v[2:3], v[170:171]
	v_mul_f64 v[32:33], v[4:5], v[170:171]
	s_waitcnt lgkmcnt(0)
	v_mul_f64 v[22:23], v[14:15], v[8:9]
	v_mul_f64 v[8:9], v[16:17], v[8:9]
	v_add_f64 v[18:19], v[18:19], v[28:29]
	v_add_f64 v[20:21], v[20:21], v[26:27]
	v_fma_f64 v[4:5], v[4:5], v[168:169], v[30:31]
	v_fma_f64 v[1:2], v[2:3], v[168:169], -v[32:33]
	v_fma_f64 v[16:17], v[16:17], v[6:7], v[22:23]
	v_fma_f64 v[6:7], v[14:15], v[6:7], -v[8:9]
	v_add_f64 v[10:11], v[18:19], v[10:11]
	v_add_f64 v[12:13], v[20:21], v[12:13]
	s_delay_alu instid0(VALU_DEP_2) | instskip(NEXT) | instid1(VALU_DEP_2)
	v_add_f64 v[1:2], v[10:11], v[1:2]
	v_add_f64 v[3:4], v[12:13], v[4:5]
	s_delay_alu instid0(VALU_DEP_2) | instskip(NEXT) | instid1(VALU_DEP_2)
	;; [unrolled: 3-line block ×3, first 2 shown]
	v_add_f64 v[1:2], v[158:159], -v[1:2]
	v_add_f64 v[3:4], v[160:161], -v[3:4]
	scratch_store_b128 off, v[1:4], off offset:224
	v_cmpx_lt_u32_e32 13, v120
	s_cbranch_execz .LBB100_209
; %bb.208:
	scratch_load_b128 v[1:4], v143, off
	v_mov_b32_e32 v5, 0
	s_delay_alu instid0(VALU_DEP_1)
	v_mov_b32_e32 v6, v5
	v_mov_b32_e32 v7, v5
	;; [unrolled: 1-line block ×3, first 2 shown]
	scratch_store_b128 off, v[5:8], off offset:208
	s_waitcnt vmcnt(0)
	ds_store_b128 v157, v[1:4]
.LBB100_209:
	s_or_b32 exec_lo, exec_lo, s2
	s_waitcnt lgkmcnt(0)
	s_waitcnt_vscnt null, 0x0
	s_barrier
	buffer_gl0_inv
	s_clause 0x7
	scratch_load_b128 v[2:5], off, off offset:224
	scratch_load_b128 v[6:9], off, off offset:240
	;; [unrolled: 1-line block ×8, first 2 shown]
	v_mov_b32_e32 v1, 0
	s_mov_b32 s2, exec_lo
	ds_load_b128 v[34:37], v1 offset:816
	s_clause 0x1
	scratch_load_b128 v[38:41], off, off offset:352
	scratch_load_b128 v[42:45], off, off offset:208
	ds_load_b128 v[158:161], v1 offset:832
	scratch_load_b128 v[162:165], off, off offset:368
	s_waitcnt vmcnt(10) lgkmcnt(1)
	v_mul_f64 v[166:167], v[36:37], v[4:5]
	v_mul_f64 v[4:5], v[34:35], v[4:5]
	s_delay_alu instid0(VALU_DEP_2) | instskip(NEXT) | instid1(VALU_DEP_2)
	v_fma_f64 v[172:173], v[34:35], v[2:3], -v[166:167]
	v_fma_f64 v[174:175], v[36:37], v[2:3], v[4:5]
	scratch_load_b128 v[34:37], off, off offset:384
	ds_load_b128 v[2:5], v1 offset:848
	s_waitcnt vmcnt(10) lgkmcnt(1)
	v_mul_f64 v[170:171], v[158:159], v[8:9]
	v_mul_f64 v[8:9], v[160:161], v[8:9]
	ds_load_b128 v[166:169], v1 offset:864
	s_waitcnt vmcnt(9) lgkmcnt(1)
	v_mul_f64 v[176:177], v[2:3], v[12:13]
	v_mul_f64 v[12:13], v[4:5], v[12:13]
	v_fma_f64 v[160:161], v[160:161], v[6:7], v[170:171]
	v_fma_f64 v[158:159], v[158:159], v[6:7], -v[8:9]
	v_add_f64 v[170:171], v[172:173], 0
	v_add_f64 v[172:173], v[174:175], 0
	scratch_load_b128 v[6:9], off, off offset:400
	v_fma_f64 v[176:177], v[4:5], v[10:11], v[176:177]
	v_fma_f64 v[178:179], v[2:3], v[10:11], -v[12:13]
	scratch_load_b128 v[10:13], off, off offset:416
	ds_load_b128 v[2:5], v1 offset:880
	s_waitcnt vmcnt(10) lgkmcnt(1)
	v_mul_f64 v[174:175], v[166:167], v[16:17]
	v_mul_f64 v[16:17], v[168:169], v[16:17]
	v_add_f64 v[170:171], v[170:171], v[158:159]
	v_add_f64 v[172:173], v[172:173], v[160:161]
	s_waitcnt vmcnt(9) lgkmcnt(0)
	v_mul_f64 v[180:181], v[2:3], v[20:21]
	v_mul_f64 v[20:21], v[4:5], v[20:21]
	ds_load_b128 v[158:161], v1 offset:896
	v_fma_f64 v[168:169], v[168:169], v[14:15], v[174:175]
	v_fma_f64 v[166:167], v[166:167], v[14:15], -v[16:17]
	scratch_load_b128 v[14:17], off, off offset:432
	v_add_f64 v[170:171], v[170:171], v[178:179]
	v_add_f64 v[172:173], v[172:173], v[176:177]
	v_fma_f64 v[176:177], v[4:5], v[18:19], v[180:181]
	v_fma_f64 v[178:179], v[2:3], v[18:19], -v[20:21]
	scratch_load_b128 v[18:21], off, off offset:448
	ds_load_b128 v[2:5], v1 offset:912
	s_waitcnt vmcnt(10) lgkmcnt(1)
	v_mul_f64 v[174:175], v[158:159], v[24:25]
	v_mul_f64 v[24:25], v[160:161], v[24:25]
	s_waitcnt vmcnt(9) lgkmcnt(0)
	v_mul_f64 v[180:181], v[2:3], v[28:29]
	v_mul_f64 v[28:29], v[4:5], v[28:29]
	v_add_f64 v[170:171], v[170:171], v[166:167]
	v_add_f64 v[172:173], v[172:173], v[168:169]
	ds_load_b128 v[166:169], v1 offset:928
	v_fma_f64 v[160:161], v[160:161], v[22:23], v[174:175]
	v_fma_f64 v[158:159], v[158:159], v[22:23], -v[24:25]
	scratch_load_b128 v[22:25], off, off offset:464
	v_add_f64 v[170:171], v[170:171], v[178:179]
	v_add_f64 v[172:173], v[172:173], v[176:177]
	v_fma_f64 v[176:177], v[4:5], v[26:27], v[180:181]
	v_fma_f64 v[178:179], v[2:3], v[26:27], -v[28:29]
	scratch_load_b128 v[26:29], off, off offset:480
	ds_load_b128 v[2:5], v1 offset:944
	s_waitcnt vmcnt(10) lgkmcnt(1)
	v_mul_f64 v[174:175], v[166:167], v[32:33]
	v_mul_f64 v[32:33], v[168:169], v[32:33]
	s_waitcnt vmcnt(9) lgkmcnt(0)
	v_mul_f64 v[180:181], v[2:3], v[40:41]
	v_mul_f64 v[40:41], v[4:5], v[40:41]
	v_add_f64 v[170:171], v[170:171], v[158:159]
	v_add_f64 v[172:173], v[172:173], v[160:161]
	ds_load_b128 v[158:161], v1 offset:960
	v_fma_f64 v[168:169], v[168:169], v[30:31], v[174:175]
	v_fma_f64 v[166:167], v[166:167], v[30:31], -v[32:33]
	scratch_load_b128 v[30:33], off, off offset:496
	v_add_f64 v[170:171], v[170:171], v[178:179]
	v_add_f64 v[172:173], v[172:173], v[176:177]
	v_fma_f64 v[178:179], v[4:5], v[38:39], v[180:181]
	v_fma_f64 v[180:181], v[2:3], v[38:39], -v[40:41]
	scratch_load_b128 v[38:41], off, off offset:512
	ds_load_b128 v[2:5], v1 offset:976
	s_waitcnt vmcnt(9) lgkmcnt(1)
	v_mul_f64 v[174:175], v[158:159], v[164:165]
	v_mul_f64 v[176:177], v[160:161], v[164:165]
	v_add_f64 v[170:171], v[170:171], v[166:167]
	v_add_f64 v[168:169], v[172:173], v[168:169]
	ds_load_b128 v[164:167], v1 offset:992
	v_fma_f64 v[174:175], v[160:161], v[162:163], v[174:175]
	v_fma_f64 v[162:163], v[158:159], v[162:163], -v[176:177]
	scratch_load_b128 v[158:161], off, off offset:528
	s_waitcnt vmcnt(9) lgkmcnt(1)
	v_mul_f64 v[172:173], v[2:3], v[36:37]
	v_mul_f64 v[36:37], v[4:5], v[36:37]
	v_add_f64 v[170:171], v[170:171], v[180:181]
	v_add_f64 v[168:169], v[168:169], v[178:179]
	s_delay_alu instid0(VALU_DEP_4) | instskip(NEXT) | instid1(VALU_DEP_4)
	v_fma_f64 v[172:173], v[4:5], v[34:35], v[172:173]
	v_fma_f64 v[178:179], v[2:3], v[34:35], -v[36:37]
	scratch_load_b128 v[34:37], off, off offset:544
	ds_load_b128 v[2:5], v1 offset:1008
	s_waitcnt vmcnt(9) lgkmcnt(1)
	v_mul_f64 v[176:177], v[164:165], v[8:9]
	v_mul_f64 v[8:9], v[166:167], v[8:9]
	s_waitcnt vmcnt(8) lgkmcnt(0)
	v_mul_f64 v[180:181], v[2:3], v[12:13]
	v_mul_f64 v[12:13], v[4:5], v[12:13]
	v_add_f64 v[162:163], v[170:171], v[162:163]
	v_add_f64 v[174:175], v[168:169], v[174:175]
	ds_load_b128 v[168:171], v1 offset:1024
	v_fma_f64 v[166:167], v[166:167], v[6:7], v[176:177]
	v_fma_f64 v[164:165], v[164:165], v[6:7], -v[8:9]
	scratch_load_b128 v[6:9], off, off offset:560
	v_fma_f64 v[176:177], v[4:5], v[10:11], v[180:181]
	v_add_f64 v[162:163], v[162:163], v[178:179]
	v_add_f64 v[172:173], v[174:175], v[172:173]
	v_fma_f64 v[178:179], v[2:3], v[10:11], -v[12:13]
	scratch_load_b128 v[10:13], off, off offset:576
	ds_load_b128 v[2:5], v1 offset:1040
	s_waitcnt vmcnt(9) lgkmcnt(1)
	v_mul_f64 v[174:175], v[168:169], v[16:17]
	v_mul_f64 v[16:17], v[170:171], v[16:17]
	v_add_f64 v[180:181], v[162:163], v[164:165]
	v_add_f64 v[166:167], v[172:173], v[166:167]
	s_waitcnt vmcnt(8) lgkmcnt(0)
	v_mul_f64 v[172:173], v[2:3], v[20:21]
	v_mul_f64 v[20:21], v[4:5], v[20:21]
	ds_load_b128 v[162:165], v1 offset:1056
	v_fma_f64 v[170:171], v[170:171], v[14:15], v[174:175]
	v_fma_f64 v[14:15], v[168:169], v[14:15], -v[16:17]
	s_waitcnt vmcnt(7) lgkmcnt(0)
	v_mul_f64 v[168:169], v[162:163], v[24:25]
	v_mul_f64 v[24:25], v[164:165], v[24:25]
	v_add_f64 v[16:17], v[180:181], v[178:179]
	v_add_f64 v[166:167], v[166:167], v[176:177]
	v_fma_f64 v[172:173], v[4:5], v[18:19], v[172:173]
	v_fma_f64 v[18:19], v[2:3], v[18:19], -v[20:21]
	v_fma_f64 v[164:165], v[164:165], v[22:23], v[168:169]
	v_fma_f64 v[22:23], v[162:163], v[22:23], -v[24:25]
	v_add_f64 v[20:21], v[16:17], v[14:15]
	v_add_f64 v[166:167], v[166:167], v[170:171]
	ds_load_b128 v[2:5], v1 offset:1072
	ds_load_b128 v[14:17], v1 offset:1088
	s_waitcnt vmcnt(6) lgkmcnt(1)
	v_mul_f64 v[170:171], v[2:3], v[28:29]
	v_mul_f64 v[28:29], v[4:5], v[28:29]
	s_waitcnt vmcnt(5) lgkmcnt(0)
	v_mul_f64 v[24:25], v[14:15], v[32:33]
	v_mul_f64 v[32:33], v[16:17], v[32:33]
	v_add_f64 v[18:19], v[20:21], v[18:19]
	v_add_f64 v[20:21], v[166:167], v[172:173]
	v_fma_f64 v[162:163], v[4:5], v[26:27], v[170:171]
	v_fma_f64 v[26:27], v[2:3], v[26:27], -v[28:29]
	v_fma_f64 v[16:17], v[16:17], v[30:31], v[24:25]
	v_fma_f64 v[14:15], v[14:15], v[30:31], -v[32:33]
	v_add_f64 v[22:23], v[18:19], v[22:23]
	v_add_f64 v[28:29], v[20:21], v[164:165]
	ds_load_b128 v[2:5], v1 offset:1104
	ds_load_b128 v[18:21], v1 offset:1120
	s_waitcnt vmcnt(4) lgkmcnt(1)
	v_mul_f64 v[164:165], v[2:3], v[40:41]
	v_mul_f64 v[40:41], v[4:5], v[40:41]
	v_add_f64 v[22:23], v[22:23], v[26:27]
	v_add_f64 v[24:25], v[28:29], v[162:163]
	s_waitcnt vmcnt(3) lgkmcnt(0)
	v_mul_f64 v[26:27], v[18:19], v[160:161]
	v_mul_f64 v[28:29], v[20:21], v[160:161]
	v_fma_f64 v[30:31], v[4:5], v[38:39], v[164:165]
	v_fma_f64 v[32:33], v[2:3], v[38:39], -v[40:41]
	v_add_f64 v[22:23], v[22:23], v[14:15]
	v_add_f64 v[24:25], v[24:25], v[16:17]
	ds_load_b128 v[2:5], v1 offset:1136
	ds_load_b128 v[14:17], v1 offset:1152
	v_fma_f64 v[20:21], v[20:21], v[158:159], v[26:27]
	v_fma_f64 v[18:19], v[18:19], v[158:159], -v[28:29]
	s_waitcnt vmcnt(2) lgkmcnt(1)
	v_mul_f64 v[38:39], v[2:3], v[36:37]
	v_mul_f64 v[36:37], v[4:5], v[36:37]
	s_waitcnt vmcnt(1) lgkmcnt(0)
	v_mul_f64 v[26:27], v[14:15], v[8:9]
	v_mul_f64 v[8:9], v[16:17], v[8:9]
	v_add_f64 v[22:23], v[22:23], v[32:33]
	v_add_f64 v[24:25], v[24:25], v[30:31]
	v_fma_f64 v[28:29], v[4:5], v[34:35], v[38:39]
	v_fma_f64 v[30:31], v[2:3], v[34:35], -v[36:37]
	ds_load_b128 v[2:5], v1 offset:1168
	v_fma_f64 v[16:17], v[16:17], v[6:7], v[26:27]
	v_fma_f64 v[6:7], v[14:15], v[6:7], -v[8:9]
	v_add_f64 v[18:19], v[22:23], v[18:19]
	v_add_f64 v[20:21], v[24:25], v[20:21]
	s_waitcnt vmcnt(0) lgkmcnt(0)
	v_mul_f64 v[22:23], v[2:3], v[12:13]
	v_mul_f64 v[12:13], v[4:5], v[12:13]
	s_delay_alu instid0(VALU_DEP_4) | instskip(NEXT) | instid1(VALU_DEP_4)
	v_add_f64 v[8:9], v[18:19], v[30:31]
	v_add_f64 v[14:15], v[20:21], v[28:29]
	s_delay_alu instid0(VALU_DEP_4) | instskip(NEXT) | instid1(VALU_DEP_4)
	v_fma_f64 v[4:5], v[4:5], v[10:11], v[22:23]
	v_fma_f64 v[2:3], v[2:3], v[10:11], -v[12:13]
	s_delay_alu instid0(VALU_DEP_4) | instskip(NEXT) | instid1(VALU_DEP_4)
	v_add_f64 v[6:7], v[8:9], v[6:7]
	v_add_f64 v[8:9], v[14:15], v[16:17]
	s_delay_alu instid0(VALU_DEP_2) | instskip(NEXT) | instid1(VALU_DEP_2)
	v_add_f64 v[2:3], v[6:7], v[2:3]
	v_add_f64 v[4:5], v[8:9], v[4:5]
	s_delay_alu instid0(VALU_DEP_2) | instskip(NEXT) | instid1(VALU_DEP_2)
	v_add_f64 v[2:3], v[42:43], -v[2:3]
	v_add_f64 v[4:5], v[44:45], -v[4:5]
	scratch_store_b128 off, v[2:5], off offset:208
	v_cmpx_lt_u32_e32 12, v120
	s_cbranch_execz .LBB100_211
; %bb.210:
	scratch_load_b128 v[5:8], v141, off
	v_mov_b32_e32 v2, v1
	v_mov_b32_e32 v3, v1
	;; [unrolled: 1-line block ×3, first 2 shown]
	scratch_store_b128 off, v[1:4], off offset:192
	s_waitcnt vmcnt(0)
	ds_store_b128 v157, v[5:8]
.LBB100_211:
	s_or_b32 exec_lo, exec_lo, s2
	s_waitcnt lgkmcnt(0)
	s_waitcnt_vscnt null, 0x0
	s_barrier
	buffer_gl0_inv
	s_clause 0x8
	scratch_load_b128 v[2:5], off, off offset:208
	scratch_load_b128 v[6:9], off, off offset:224
	;; [unrolled: 1-line block ×9, first 2 shown]
	ds_load_b128 v[38:41], v1 offset:800
	ds_load_b128 v[42:45], v1 offset:816
	s_clause 0x1
	scratch_load_b128 v[158:161], off, off offset:192
	scratch_load_b128 v[162:165], off, off offset:352
	s_mov_b32 s2, exec_lo
	s_waitcnt vmcnt(10) lgkmcnt(1)
	v_mul_f64 v[166:167], v[40:41], v[4:5]
	v_mul_f64 v[4:5], v[38:39], v[4:5]
	s_waitcnt vmcnt(9) lgkmcnt(0)
	v_mul_f64 v[170:171], v[42:43], v[8:9]
	v_mul_f64 v[8:9], v[44:45], v[8:9]
	s_delay_alu instid0(VALU_DEP_4) | instskip(NEXT) | instid1(VALU_DEP_4)
	v_fma_f64 v[172:173], v[38:39], v[2:3], -v[166:167]
	v_fma_f64 v[174:175], v[40:41], v[2:3], v[4:5]
	ds_load_b128 v[2:5], v1 offset:832
	ds_load_b128 v[166:169], v1 offset:848
	scratch_load_b128 v[38:41], off, off offset:368
	v_fma_f64 v[44:45], v[44:45], v[6:7], v[170:171]
	v_fma_f64 v[42:43], v[42:43], v[6:7], -v[8:9]
	scratch_load_b128 v[6:9], off, off offset:384
	s_waitcnt vmcnt(10) lgkmcnt(1)
	v_mul_f64 v[176:177], v[2:3], v[12:13]
	v_mul_f64 v[12:13], v[4:5], v[12:13]
	v_add_f64 v[170:171], v[172:173], 0
	v_add_f64 v[172:173], v[174:175], 0
	s_waitcnt vmcnt(9) lgkmcnt(0)
	v_mul_f64 v[174:175], v[166:167], v[16:17]
	v_mul_f64 v[16:17], v[168:169], v[16:17]
	v_fma_f64 v[176:177], v[4:5], v[10:11], v[176:177]
	v_fma_f64 v[178:179], v[2:3], v[10:11], -v[12:13]
	ds_load_b128 v[2:5], v1 offset:864
	scratch_load_b128 v[10:13], off, off offset:400
	v_add_f64 v[170:171], v[170:171], v[42:43]
	v_add_f64 v[172:173], v[172:173], v[44:45]
	ds_load_b128 v[42:45], v1 offset:880
	v_fma_f64 v[168:169], v[168:169], v[14:15], v[174:175]
	v_fma_f64 v[166:167], v[166:167], v[14:15], -v[16:17]
	scratch_load_b128 v[14:17], off, off offset:416
	s_waitcnt vmcnt(10) lgkmcnt(1)
	v_mul_f64 v[180:181], v[2:3], v[20:21]
	v_mul_f64 v[20:21], v[4:5], v[20:21]
	s_waitcnt vmcnt(9) lgkmcnt(0)
	v_mul_f64 v[174:175], v[42:43], v[24:25]
	v_mul_f64 v[24:25], v[44:45], v[24:25]
	v_add_f64 v[170:171], v[170:171], v[178:179]
	v_add_f64 v[172:173], v[172:173], v[176:177]
	v_fma_f64 v[176:177], v[4:5], v[18:19], v[180:181]
	v_fma_f64 v[178:179], v[2:3], v[18:19], -v[20:21]
	ds_load_b128 v[2:5], v1 offset:896
	scratch_load_b128 v[18:21], off, off offset:432
	v_fma_f64 v[44:45], v[44:45], v[22:23], v[174:175]
	v_fma_f64 v[42:43], v[42:43], v[22:23], -v[24:25]
	scratch_load_b128 v[22:25], off, off offset:448
	v_add_f64 v[170:171], v[170:171], v[166:167]
	v_add_f64 v[172:173], v[172:173], v[168:169]
	ds_load_b128 v[166:169], v1 offset:912
	s_waitcnt vmcnt(10) lgkmcnt(1)
	v_mul_f64 v[180:181], v[2:3], v[28:29]
	v_mul_f64 v[28:29], v[4:5], v[28:29]
	s_waitcnt vmcnt(9) lgkmcnt(0)
	v_mul_f64 v[174:175], v[166:167], v[32:33]
	v_mul_f64 v[32:33], v[168:169], v[32:33]
	v_add_f64 v[170:171], v[170:171], v[178:179]
	v_add_f64 v[172:173], v[172:173], v[176:177]
	v_fma_f64 v[176:177], v[4:5], v[26:27], v[180:181]
	v_fma_f64 v[178:179], v[2:3], v[26:27], -v[28:29]
	ds_load_b128 v[2:5], v1 offset:928
	scratch_load_b128 v[26:29], off, off offset:464
	v_fma_f64 v[168:169], v[168:169], v[30:31], v[174:175]
	v_fma_f64 v[166:167], v[166:167], v[30:31], -v[32:33]
	scratch_load_b128 v[30:33], off, off offset:480
	v_add_f64 v[170:171], v[170:171], v[42:43]
	v_add_f64 v[172:173], v[172:173], v[44:45]
	ds_load_b128 v[42:45], v1 offset:944
	s_waitcnt vmcnt(10) lgkmcnt(1)
	v_mul_f64 v[180:181], v[2:3], v[36:37]
	v_mul_f64 v[36:37], v[4:5], v[36:37]
	s_waitcnt vmcnt(8) lgkmcnt(0)
	v_mul_f64 v[174:175], v[42:43], v[164:165]
	v_add_f64 v[170:171], v[170:171], v[178:179]
	v_add_f64 v[172:173], v[172:173], v[176:177]
	v_mul_f64 v[176:177], v[44:45], v[164:165]
	v_fma_f64 v[178:179], v[4:5], v[34:35], v[180:181]
	v_fma_f64 v[180:181], v[2:3], v[34:35], -v[36:37]
	ds_load_b128 v[2:5], v1 offset:960
	scratch_load_b128 v[34:37], off, off offset:496
	v_fma_f64 v[44:45], v[44:45], v[162:163], v[174:175]
	v_add_f64 v[170:171], v[170:171], v[166:167]
	v_add_f64 v[168:169], v[172:173], v[168:169]
	ds_load_b128 v[164:167], v1 offset:976
	v_fma_f64 v[162:163], v[42:43], v[162:163], -v[176:177]
	s_waitcnt vmcnt(8) lgkmcnt(1)
	v_mul_f64 v[172:173], v[2:3], v[40:41]
	v_mul_f64 v[182:183], v[4:5], v[40:41]
	scratch_load_b128 v[40:43], off, off offset:512
	s_waitcnt vmcnt(8) lgkmcnt(0)
	v_mul_f64 v[176:177], v[164:165], v[8:9]
	v_mul_f64 v[8:9], v[166:167], v[8:9]
	v_add_f64 v[170:171], v[170:171], v[180:181]
	v_add_f64 v[168:169], v[168:169], v[178:179]
	v_fma_f64 v[178:179], v[4:5], v[38:39], v[172:173]
	v_fma_f64 v[38:39], v[2:3], v[38:39], -v[182:183]
	ds_load_b128 v[2:5], v1 offset:992
	ds_load_b128 v[172:175], v1 offset:1008
	v_fma_f64 v[166:167], v[166:167], v[6:7], v[176:177]
	v_fma_f64 v[164:165], v[164:165], v[6:7], -v[8:9]
	scratch_load_b128 v[6:9], off, off offset:544
	v_add_f64 v[162:163], v[170:171], v[162:163]
	v_add_f64 v[44:45], v[168:169], v[44:45]
	scratch_load_b128 v[168:171], off, off offset:528
	s_waitcnt vmcnt(9) lgkmcnt(1)
	v_mul_f64 v[180:181], v[2:3], v[12:13]
	v_mul_f64 v[12:13], v[4:5], v[12:13]
	s_waitcnt vmcnt(8) lgkmcnt(0)
	v_mul_f64 v[176:177], v[172:173], v[16:17]
	v_mul_f64 v[16:17], v[174:175], v[16:17]
	v_add_f64 v[38:39], v[162:163], v[38:39]
	v_add_f64 v[44:45], v[44:45], v[178:179]
	v_fma_f64 v[178:179], v[4:5], v[10:11], v[180:181]
	v_fma_f64 v[180:181], v[2:3], v[10:11], -v[12:13]
	ds_load_b128 v[2:5], v1 offset:1024
	scratch_load_b128 v[10:13], off, off offset:560
	v_fma_f64 v[174:175], v[174:175], v[14:15], v[176:177]
	v_fma_f64 v[172:173], v[172:173], v[14:15], -v[16:17]
	scratch_load_b128 v[14:17], off, off offset:576
	v_add_f64 v[38:39], v[38:39], v[164:165]
	v_add_f64 v[44:45], v[44:45], v[166:167]
	ds_load_b128 v[162:165], v1 offset:1040
	s_waitcnt vmcnt(9) lgkmcnt(1)
	v_mul_f64 v[166:167], v[2:3], v[20:21]
	v_mul_f64 v[20:21], v[4:5], v[20:21]
	s_waitcnt vmcnt(8) lgkmcnt(0)
	v_mul_f64 v[176:177], v[162:163], v[24:25]
	v_mul_f64 v[24:25], v[164:165], v[24:25]
	v_add_f64 v[38:39], v[38:39], v[180:181]
	v_add_f64 v[44:45], v[44:45], v[178:179]
	v_fma_f64 v[166:167], v[4:5], v[18:19], v[166:167]
	v_fma_f64 v[178:179], v[2:3], v[18:19], -v[20:21]
	ds_load_b128 v[2:5], v1 offset:1056
	ds_load_b128 v[18:21], v1 offset:1072
	v_fma_f64 v[164:165], v[164:165], v[22:23], v[176:177]
	v_fma_f64 v[22:23], v[162:163], v[22:23], -v[24:25]
	v_add_f64 v[38:39], v[38:39], v[172:173]
	v_add_f64 v[44:45], v[44:45], v[174:175]
	s_waitcnt vmcnt(7) lgkmcnt(1)
	v_mul_f64 v[172:173], v[2:3], v[28:29]
	v_mul_f64 v[28:29], v[4:5], v[28:29]
	s_delay_alu instid0(VALU_DEP_4) | instskip(NEXT) | instid1(VALU_DEP_4)
	v_add_f64 v[24:25], v[38:39], v[178:179]
	v_add_f64 v[38:39], v[44:45], v[166:167]
	s_waitcnt vmcnt(6) lgkmcnt(0)
	v_mul_f64 v[44:45], v[18:19], v[32:33]
	v_mul_f64 v[32:33], v[20:21], v[32:33]
	v_fma_f64 v[162:163], v[4:5], v[26:27], v[172:173]
	v_fma_f64 v[26:27], v[2:3], v[26:27], -v[28:29]
	v_add_f64 v[28:29], v[24:25], v[22:23]
	v_add_f64 v[38:39], v[38:39], v[164:165]
	ds_load_b128 v[2:5], v1 offset:1088
	ds_load_b128 v[22:25], v1 offset:1104
	v_fma_f64 v[20:21], v[20:21], v[30:31], v[44:45]
	v_fma_f64 v[18:19], v[18:19], v[30:31], -v[32:33]
	s_waitcnt vmcnt(5) lgkmcnt(1)
	v_mul_f64 v[164:165], v[2:3], v[36:37]
	v_mul_f64 v[36:37], v[4:5], v[36:37]
	s_waitcnt vmcnt(4) lgkmcnt(0)
	v_mul_f64 v[30:31], v[22:23], v[42:43]
	v_add_f64 v[26:27], v[28:29], v[26:27]
	v_add_f64 v[28:29], v[38:39], v[162:163]
	v_mul_f64 v[32:33], v[24:25], v[42:43]
	v_fma_f64 v[38:39], v[4:5], v[34:35], v[164:165]
	v_fma_f64 v[34:35], v[2:3], v[34:35], -v[36:37]
	v_fma_f64 v[24:25], v[24:25], v[40:41], v[30:31]
	v_add_f64 v[26:27], v[26:27], v[18:19]
	v_add_f64 v[28:29], v[28:29], v[20:21]
	ds_load_b128 v[2:5], v1 offset:1120
	ds_load_b128 v[18:21], v1 offset:1136
	v_fma_f64 v[22:23], v[22:23], v[40:41], -v[32:33]
	s_waitcnt vmcnt(2) lgkmcnt(1)
	v_mul_f64 v[36:37], v[2:3], v[170:171]
	v_mul_f64 v[42:43], v[4:5], v[170:171]
	s_waitcnt lgkmcnt(0)
	v_mul_f64 v[30:31], v[18:19], v[8:9]
	v_mul_f64 v[8:9], v[20:21], v[8:9]
	v_add_f64 v[26:27], v[26:27], v[34:35]
	v_add_f64 v[28:29], v[28:29], v[38:39]
	v_fma_f64 v[32:33], v[4:5], v[168:169], v[36:37]
	v_fma_f64 v[34:35], v[2:3], v[168:169], -v[42:43]
	v_fma_f64 v[20:21], v[20:21], v[6:7], v[30:31]
	v_fma_f64 v[6:7], v[18:19], v[6:7], -v[8:9]
	v_add_f64 v[26:27], v[26:27], v[22:23]
	v_add_f64 v[28:29], v[28:29], v[24:25]
	ds_load_b128 v[2:5], v1 offset:1152
	ds_load_b128 v[22:25], v1 offset:1168
	s_waitcnt vmcnt(1) lgkmcnt(1)
	v_mul_f64 v[36:37], v[2:3], v[12:13]
	v_mul_f64 v[12:13], v[4:5], v[12:13]
	v_add_f64 v[8:9], v[26:27], v[34:35]
	v_add_f64 v[18:19], v[28:29], v[32:33]
	s_waitcnt vmcnt(0) lgkmcnt(0)
	v_mul_f64 v[26:27], v[22:23], v[16:17]
	v_mul_f64 v[16:17], v[24:25], v[16:17]
	v_fma_f64 v[4:5], v[4:5], v[10:11], v[36:37]
	v_fma_f64 v[1:2], v[2:3], v[10:11], -v[12:13]
	v_add_f64 v[6:7], v[8:9], v[6:7]
	v_add_f64 v[8:9], v[18:19], v[20:21]
	v_fma_f64 v[10:11], v[24:25], v[14:15], v[26:27]
	v_fma_f64 v[12:13], v[22:23], v[14:15], -v[16:17]
	s_delay_alu instid0(VALU_DEP_4) | instskip(NEXT) | instid1(VALU_DEP_4)
	v_add_f64 v[1:2], v[6:7], v[1:2]
	v_add_f64 v[3:4], v[8:9], v[4:5]
	s_delay_alu instid0(VALU_DEP_2) | instskip(NEXT) | instid1(VALU_DEP_2)
	v_add_f64 v[1:2], v[1:2], v[12:13]
	v_add_f64 v[3:4], v[3:4], v[10:11]
	s_delay_alu instid0(VALU_DEP_2) | instskip(NEXT) | instid1(VALU_DEP_2)
	v_add_f64 v[1:2], v[158:159], -v[1:2]
	v_add_f64 v[3:4], v[160:161], -v[3:4]
	scratch_store_b128 off, v[1:4], off offset:192
	v_cmpx_lt_u32_e32 11, v120
	s_cbranch_execz .LBB100_213
; %bb.212:
	scratch_load_b128 v[1:4], v144, off
	v_mov_b32_e32 v5, 0
	s_delay_alu instid0(VALU_DEP_1)
	v_mov_b32_e32 v6, v5
	v_mov_b32_e32 v7, v5
	;; [unrolled: 1-line block ×3, first 2 shown]
	scratch_store_b128 off, v[5:8], off offset:176
	s_waitcnt vmcnt(0)
	ds_store_b128 v157, v[1:4]
.LBB100_213:
	s_or_b32 exec_lo, exec_lo, s2
	s_waitcnt lgkmcnt(0)
	s_waitcnt_vscnt null, 0x0
	s_barrier
	buffer_gl0_inv
	s_clause 0x7
	scratch_load_b128 v[2:5], off, off offset:192
	scratch_load_b128 v[6:9], off, off offset:208
	;; [unrolled: 1-line block ×8, first 2 shown]
	v_mov_b32_e32 v1, 0
	s_mov_b32 s2, exec_lo
	ds_load_b128 v[34:37], v1 offset:784
	s_clause 0x1
	scratch_load_b128 v[38:41], off, off offset:320
	scratch_load_b128 v[42:45], off, off offset:176
	ds_load_b128 v[158:161], v1 offset:800
	scratch_load_b128 v[162:165], off, off offset:336
	s_waitcnt vmcnt(10) lgkmcnt(1)
	v_mul_f64 v[166:167], v[36:37], v[4:5]
	v_mul_f64 v[4:5], v[34:35], v[4:5]
	s_delay_alu instid0(VALU_DEP_2) | instskip(NEXT) | instid1(VALU_DEP_2)
	v_fma_f64 v[172:173], v[34:35], v[2:3], -v[166:167]
	v_fma_f64 v[174:175], v[36:37], v[2:3], v[4:5]
	scratch_load_b128 v[34:37], off, off offset:352
	ds_load_b128 v[2:5], v1 offset:816
	s_waitcnt vmcnt(10) lgkmcnt(1)
	v_mul_f64 v[170:171], v[158:159], v[8:9]
	v_mul_f64 v[8:9], v[160:161], v[8:9]
	ds_load_b128 v[166:169], v1 offset:832
	s_waitcnt vmcnt(9) lgkmcnt(1)
	v_mul_f64 v[176:177], v[2:3], v[12:13]
	v_mul_f64 v[12:13], v[4:5], v[12:13]
	v_fma_f64 v[160:161], v[160:161], v[6:7], v[170:171]
	v_fma_f64 v[158:159], v[158:159], v[6:7], -v[8:9]
	v_add_f64 v[170:171], v[172:173], 0
	v_add_f64 v[172:173], v[174:175], 0
	scratch_load_b128 v[6:9], off, off offset:368
	v_fma_f64 v[176:177], v[4:5], v[10:11], v[176:177]
	v_fma_f64 v[178:179], v[2:3], v[10:11], -v[12:13]
	scratch_load_b128 v[10:13], off, off offset:384
	ds_load_b128 v[2:5], v1 offset:848
	s_waitcnt vmcnt(10) lgkmcnt(1)
	v_mul_f64 v[174:175], v[166:167], v[16:17]
	v_mul_f64 v[16:17], v[168:169], v[16:17]
	v_add_f64 v[170:171], v[170:171], v[158:159]
	v_add_f64 v[172:173], v[172:173], v[160:161]
	s_waitcnt vmcnt(9) lgkmcnt(0)
	v_mul_f64 v[180:181], v[2:3], v[20:21]
	v_mul_f64 v[20:21], v[4:5], v[20:21]
	ds_load_b128 v[158:161], v1 offset:864
	v_fma_f64 v[168:169], v[168:169], v[14:15], v[174:175]
	v_fma_f64 v[166:167], v[166:167], v[14:15], -v[16:17]
	scratch_load_b128 v[14:17], off, off offset:400
	v_add_f64 v[170:171], v[170:171], v[178:179]
	v_add_f64 v[172:173], v[172:173], v[176:177]
	v_fma_f64 v[176:177], v[4:5], v[18:19], v[180:181]
	v_fma_f64 v[178:179], v[2:3], v[18:19], -v[20:21]
	scratch_load_b128 v[18:21], off, off offset:416
	ds_load_b128 v[2:5], v1 offset:880
	s_waitcnt vmcnt(10) lgkmcnt(1)
	v_mul_f64 v[174:175], v[158:159], v[24:25]
	v_mul_f64 v[24:25], v[160:161], v[24:25]
	s_waitcnt vmcnt(9) lgkmcnt(0)
	v_mul_f64 v[180:181], v[2:3], v[28:29]
	v_mul_f64 v[28:29], v[4:5], v[28:29]
	v_add_f64 v[170:171], v[170:171], v[166:167]
	v_add_f64 v[172:173], v[172:173], v[168:169]
	ds_load_b128 v[166:169], v1 offset:896
	v_fma_f64 v[160:161], v[160:161], v[22:23], v[174:175]
	v_fma_f64 v[158:159], v[158:159], v[22:23], -v[24:25]
	scratch_load_b128 v[22:25], off, off offset:432
	v_add_f64 v[170:171], v[170:171], v[178:179]
	v_add_f64 v[172:173], v[172:173], v[176:177]
	v_fma_f64 v[176:177], v[4:5], v[26:27], v[180:181]
	v_fma_f64 v[178:179], v[2:3], v[26:27], -v[28:29]
	scratch_load_b128 v[26:29], off, off offset:448
	ds_load_b128 v[2:5], v1 offset:912
	s_waitcnt vmcnt(10) lgkmcnt(1)
	v_mul_f64 v[174:175], v[166:167], v[32:33]
	v_mul_f64 v[32:33], v[168:169], v[32:33]
	s_waitcnt vmcnt(9) lgkmcnt(0)
	v_mul_f64 v[180:181], v[2:3], v[40:41]
	v_mul_f64 v[40:41], v[4:5], v[40:41]
	v_add_f64 v[170:171], v[170:171], v[158:159]
	v_add_f64 v[172:173], v[172:173], v[160:161]
	ds_load_b128 v[158:161], v1 offset:928
	v_fma_f64 v[168:169], v[168:169], v[30:31], v[174:175]
	v_fma_f64 v[166:167], v[166:167], v[30:31], -v[32:33]
	scratch_load_b128 v[30:33], off, off offset:464
	v_add_f64 v[170:171], v[170:171], v[178:179]
	v_add_f64 v[172:173], v[172:173], v[176:177]
	v_fma_f64 v[178:179], v[4:5], v[38:39], v[180:181]
	v_fma_f64 v[180:181], v[2:3], v[38:39], -v[40:41]
	scratch_load_b128 v[38:41], off, off offset:480
	ds_load_b128 v[2:5], v1 offset:944
	s_waitcnt vmcnt(9) lgkmcnt(1)
	v_mul_f64 v[174:175], v[158:159], v[164:165]
	v_mul_f64 v[176:177], v[160:161], v[164:165]
	v_add_f64 v[170:171], v[170:171], v[166:167]
	v_add_f64 v[168:169], v[172:173], v[168:169]
	ds_load_b128 v[164:167], v1 offset:960
	v_fma_f64 v[174:175], v[160:161], v[162:163], v[174:175]
	v_fma_f64 v[162:163], v[158:159], v[162:163], -v[176:177]
	scratch_load_b128 v[158:161], off, off offset:496
	s_waitcnt vmcnt(9) lgkmcnt(1)
	v_mul_f64 v[172:173], v[2:3], v[36:37]
	v_mul_f64 v[36:37], v[4:5], v[36:37]
	v_add_f64 v[170:171], v[170:171], v[180:181]
	v_add_f64 v[168:169], v[168:169], v[178:179]
	s_delay_alu instid0(VALU_DEP_4) | instskip(NEXT) | instid1(VALU_DEP_4)
	v_fma_f64 v[172:173], v[4:5], v[34:35], v[172:173]
	v_fma_f64 v[178:179], v[2:3], v[34:35], -v[36:37]
	scratch_load_b128 v[34:37], off, off offset:512
	ds_load_b128 v[2:5], v1 offset:976
	s_waitcnt vmcnt(9) lgkmcnt(1)
	v_mul_f64 v[176:177], v[164:165], v[8:9]
	v_mul_f64 v[8:9], v[166:167], v[8:9]
	s_waitcnt vmcnt(8) lgkmcnt(0)
	v_mul_f64 v[180:181], v[2:3], v[12:13]
	v_mul_f64 v[12:13], v[4:5], v[12:13]
	v_add_f64 v[162:163], v[170:171], v[162:163]
	v_add_f64 v[174:175], v[168:169], v[174:175]
	ds_load_b128 v[168:171], v1 offset:992
	v_fma_f64 v[166:167], v[166:167], v[6:7], v[176:177]
	v_fma_f64 v[164:165], v[164:165], v[6:7], -v[8:9]
	scratch_load_b128 v[6:9], off, off offset:528
	v_fma_f64 v[176:177], v[4:5], v[10:11], v[180:181]
	v_add_f64 v[162:163], v[162:163], v[178:179]
	v_add_f64 v[172:173], v[174:175], v[172:173]
	v_fma_f64 v[178:179], v[2:3], v[10:11], -v[12:13]
	scratch_load_b128 v[10:13], off, off offset:544
	ds_load_b128 v[2:5], v1 offset:1008
	s_waitcnt vmcnt(9) lgkmcnt(1)
	v_mul_f64 v[174:175], v[168:169], v[16:17]
	v_mul_f64 v[16:17], v[170:171], v[16:17]
	v_add_f64 v[180:181], v[162:163], v[164:165]
	v_add_f64 v[166:167], v[172:173], v[166:167]
	s_waitcnt vmcnt(8) lgkmcnt(0)
	v_mul_f64 v[172:173], v[2:3], v[20:21]
	v_mul_f64 v[20:21], v[4:5], v[20:21]
	ds_load_b128 v[162:165], v1 offset:1024
	v_fma_f64 v[170:171], v[170:171], v[14:15], v[174:175]
	v_fma_f64 v[168:169], v[168:169], v[14:15], -v[16:17]
	scratch_load_b128 v[14:17], off, off offset:560
	v_add_f64 v[174:175], v[180:181], v[178:179]
	v_add_f64 v[166:167], v[166:167], v[176:177]
	v_fma_f64 v[172:173], v[4:5], v[18:19], v[172:173]
	v_fma_f64 v[178:179], v[2:3], v[18:19], -v[20:21]
	scratch_load_b128 v[18:21], off, off offset:576
	ds_load_b128 v[2:5], v1 offset:1040
	s_waitcnt vmcnt(9) lgkmcnt(1)
	v_mul_f64 v[176:177], v[162:163], v[24:25]
	v_mul_f64 v[24:25], v[164:165], v[24:25]
	s_waitcnt vmcnt(8) lgkmcnt(0)
	v_mul_f64 v[180:181], v[2:3], v[28:29]
	v_mul_f64 v[28:29], v[4:5], v[28:29]
	v_add_f64 v[174:175], v[174:175], v[168:169]
	v_add_f64 v[170:171], v[166:167], v[170:171]
	ds_load_b128 v[166:169], v1 offset:1056
	v_fma_f64 v[164:165], v[164:165], v[22:23], v[176:177]
	v_fma_f64 v[22:23], v[162:163], v[22:23], -v[24:25]
	v_add_f64 v[24:25], v[174:175], v[178:179]
	v_add_f64 v[162:163], v[170:171], v[172:173]
	s_waitcnt vmcnt(7) lgkmcnt(0)
	v_mul_f64 v[170:171], v[166:167], v[32:33]
	v_mul_f64 v[32:33], v[168:169], v[32:33]
	v_fma_f64 v[172:173], v[4:5], v[26:27], v[180:181]
	v_fma_f64 v[26:27], v[2:3], v[26:27], -v[28:29]
	v_add_f64 v[28:29], v[24:25], v[22:23]
	v_add_f64 v[162:163], v[162:163], v[164:165]
	ds_load_b128 v[2:5], v1 offset:1072
	ds_load_b128 v[22:25], v1 offset:1088
	v_fma_f64 v[168:169], v[168:169], v[30:31], v[170:171]
	v_fma_f64 v[30:31], v[166:167], v[30:31], -v[32:33]
	s_waitcnt vmcnt(6) lgkmcnt(1)
	v_mul_f64 v[164:165], v[2:3], v[40:41]
	v_mul_f64 v[40:41], v[4:5], v[40:41]
	s_waitcnt vmcnt(5) lgkmcnt(0)
	v_mul_f64 v[32:33], v[22:23], v[160:161]
	v_mul_f64 v[160:161], v[24:25], v[160:161]
	v_add_f64 v[26:27], v[28:29], v[26:27]
	v_add_f64 v[28:29], v[162:163], v[172:173]
	v_fma_f64 v[162:163], v[4:5], v[38:39], v[164:165]
	v_fma_f64 v[38:39], v[2:3], v[38:39], -v[40:41]
	v_fma_f64 v[24:25], v[24:25], v[158:159], v[32:33]
	v_fma_f64 v[22:23], v[22:23], v[158:159], -v[160:161]
	v_add_f64 v[30:31], v[26:27], v[30:31]
	v_add_f64 v[40:41], v[28:29], v[168:169]
	ds_load_b128 v[2:5], v1 offset:1104
	ds_load_b128 v[26:29], v1 offset:1120
	s_waitcnt vmcnt(4) lgkmcnt(1)
	v_mul_f64 v[164:165], v[2:3], v[36:37]
	v_mul_f64 v[36:37], v[4:5], v[36:37]
	v_add_f64 v[30:31], v[30:31], v[38:39]
	v_add_f64 v[32:33], v[40:41], v[162:163]
	s_waitcnt vmcnt(3) lgkmcnt(0)
	v_mul_f64 v[38:39], v[26:27], v[8:9]
	v_mul_f64 v[8:9], v[28:29], v[8:9]
	v_fma_f64 v[40:41], v[4:5], v[34:35], v[164:165]
	v_fma_f64 v[34:35], v[2:3], v[34:35], -v[36:37]
	v_add_f64 v[30:31], v[30:31], v[22:23]
	v_add_f64 v[32:33], v[32:33], v[24:25]
	ds_load_b128 v[2:5], v1 offset:1136
	ds_load_b128 v[22:25], v1 offset:1152
	v_fma_f64 v[28:29], v[28:29], v[6:7], v[38:39]
	v_fma_f64 v[6:7], v[26:27], v[6:7], -v[8:9]
	s_waitcnt vmcnt(2) lgkmcnt(1)
	v_mul_f64 v[36:37], v[2:3], v[12:13]
	v_mul_f64 v[12:13], v[4:5], v[12:13]
	v_add_f64 v[8:9], v[30:31], v[34:35]
	v_add_f64 v[26:27], v[32:33], v[40:41]
	s_waitcnt vmcnt(1) lgkmcnt(0)
	v_mul_f64 v[30:31], v[22:23], v[16:17]
	v_mul_f64 v[16:17], v[24:25], v[16:17]
	v_fma_f64 v[32:33], v[4:5], v[10:11], v[36:37]
	v_fma_f64 v[10:11], v[2:3], v[10:11], -v[12:13]
	ds_load_b128 v[2:5], v1 offset:1168
	v_add_f64 v[6:7], v[8:9], v[6:7]
	v_add_f64 v[8:9], v[26:27], v[28:29]
	v_fma_f64 v[24:25], v[24:25], v[14:15], v[30:31]
	v_fma_f64 v[14:15], v[22:23], v[14:15], -v[16:17]
	s_waitcnt vmcnt(0) lgkmcnt(0)
	v_mul_f64 v[12:13], v[2:3], v[20:21]
	v_mul_f64 v[20:21], v[4:5], v[20:21]
	v_add_f64 v[6:7], v[6:7], v[10:11]
	v_add_f64 v[8:9], v[8:9], v[32:33]
	s_delay_alu instid0(VALU_DEP_4) | instskip(NEXT) | instid1(VALU_DEP_4)
	v_fma_f64 v[4:5], v[4:5], v[18:19], v[12:13]
	v_fma_f64 v[2:3], v[2:3], v[18:19], -v[20:21]
	s_delay_alu instid0(VALU_DEP_4) | instskip(NEXT) | instid1(VALU_DEP_4)
	v_add_f64 v[6:7], v[6:7], v[14:15]
	v_add_f64 v[8:9], v[8:9], v[24:25]
	s_delay_alu instid0(VALU_DEP_2) | instskip(NEXT) | instid1(VALU_DEP_2)
	v_add_f64 v[2:3], v[6:7], v[2:3]
	v_add_f64 v[4:5], v[8:9], v[4:5]
	s_delay_alu instid0(VALU_DEP_2) | instskip(NEXT) | instid1(VALU_DEP_2)
	v_add_f64 v[2:3], v[42:43], -v[2:3]
	v_add_f64 v[4:5], v[44:45], -v[4:5]
	scratch_store_b128 off, v[2:5], off offset:176
	v_cmpx_lt_u32_e32 10, v120
	s_cbranch_execz .LBB100_215
; %bb.214:
	scratch_load_b128 v[5:8], v145, off
	v_mov_b32_e32 v2, v1
	v_mov_b32_e32 v3, v1
	;; [unrolled: 1-line block ×3, first 2 shown]
	scratch_store_b128 off, v[1:4], off offset:160
	s_waitcnt vmcnt(0)
	ds_store_b128 v157, v[5:8]
.LBB100_215:
	s_or_b32 exec_lo, exec_lo, s2
	s_waitcnt lgkmcnt(0)
	s_waitcnt_vscnt null, 0x0
	s_barrier
	buffer_gl0_inv
	s_clause 0x8
	scratch_load_b128 v[2:5], off, off offset:176
	scratch_load_b128 v[6:9], off, off offset:192
	;; [unrolled: 1-line block ×9, first 2 shown]
	ds_load_b128 v[38:41], v1 offset:768
	ds_load_b128 v[42:45], v1 offset:784
	s_clause 0x1
	scratch_load_b128 v[158:161], off, off offset:160
	scratch_load_b128 v[162:165], off, off offset:320
	s_mov_b32 s2, exec_lo
	s_waitcnt vmcnt(10) lgkmcnt(1)
	v_mul_f64 v[166:167], v[40:41], v[4:5]
	v_mul_f64 v[4:5], v[38:39], v[4:5]
	s_waitcnt vmcnt(9) lgkmcnt(0)
	v_mul_f64 v[170:171], v[42:43], v[8:9]
	v_mul_f64 v[8:9], v[44:45], v[8:9]
	s_delay_alu instid0(VALU_DEP_4) | instskip(NEXT) | instid1(VALU_DEP_4)
	v_fma_f64 v[172:173], v[38:39], v[2:3], -v[166:167]
	v_fma_f64 v[174:175], v[40:41], v[2:3], v[4:5]
	ds_load_b128 v[2:5], v1 offset:800
	ds_load_b128 v[166:169], v1 offset:816
	scratch_load_b128 v[38:41], off, off offset:336
	v_fma_f64 v[44:45], v[44:45], v[6:7], v[170:171]
	v_fma_f64 v[42:43], v[42:43], v[6:7], -v[8:9]
	scratch_load_b128 v[6:9], off, off offset:352
	s_waitcnt vmcnt(10) lgkmcnt(1)
	v_mul_f64 v[176:177], v[2:3], v[12:13]
	v_mul_f64 v[12:13], v[4:5], v[12:13]
	v_add_f64 v[170:171], v[172:173], 0
	v_add_f64 v[172:173], v[174:175], 0
	s_waitcnt vmcnt(9) lgkmcnt(0)
	v_mul_f64 v[174:175], v[166:167], v[16:17]
	v_mul_f64 v[16:17], v[168:169], v[16:17]
	v_fma_f64 v[176:177], v[4:5], v[10:11], v[176:177]
	v_fma_f64 v[178:179], v[2:3], v[10:11], -v[12:13]
	ds_load_b128 v[2:5], v1 offset:832
	scratch_load_b128 v[10:13], off, off offset:368
	v_add_f64 v[170:171], v[170:171], v[42:43]
	v_add_f64 v[172:173], v[172:173], v[44:45]
	ds_load_b128 v[42:45], v1 offset:848
	v_fma_f64 v[168:169], v[168:169], v[14:15], v[174:175]
	v_fma_f64 v[166:167], v[166:167], v[14:15], -v[16:17]
	scratch_load_b128 v[14:17], off, off offset:384
	s_waitcnt vmcnt(10) lgkmcnt(1)
	v_mul_f64 v[180:181], v[2:3], v[20:21]
	v_mul_f64 v[20:21], v[4:5], v[20:21]
	s_waitcnt vmcnt(9) lgkmcnt(0)
	v_mul_f64 v[174:175], v[42:43], v[24:25]
	v_mul_f64 v[24:25], v[44:45], v[24:25]
	v_add_f64 v[170:171], v[170:171], v[178:179]
	v_add_f64 v[172:173], v[172:173], v[176:177]
	v_fma_f64 v[176:177], v[4:5], v[18:19], v[180:181]
	v_fma_f64 v[178:179], v[2:3], v[18:19], -v[20:21]
	ds_load_b128 v[2:5], v1 offset:864
	scratch_load_b128 v[18:21], off, off offset:400
	v_fma_f64 v[44:45], v[44:45], v[22:23], v[174:175]
	v_fma_f64 v[42:43], v[42:43], v[22:23], -v[24:25]
	scratch_load_b128 v[22:25], off, off offset:416
	v_add_f64 v[170:171], v[170:171], v[166:167]
	v_add_f64 v[172:173], v[172:173], v[168:169]
	ds_load_b128 v[166:169], v1 offset:880
	s_waitcnt vmcnt(10) lgkmcnt(1)
	v_mul_f64 v[180:181], v[2:3], v[28:29]
	v_mul_f64 v[28:29], v[4:5], v[28:29]
	s_waitcnt vmcnt(9) lgkmcnt(0)
	v_mul_f64 v[174:175], v[166:167], v[32:33]
	v_mul_f64 v[32:33], v[168:169], v[32:33]
	v_add_f64 v[170:171], v[170:171], v[178:179]
	v_add_f64 v[172:173], v[172:173], v[176:177]
	v_fma_f64 v[176:177], v[4:5], v[26:27], v[180:181]
	v_fma_f64 v[178:179], v[2:3], v[26:27], -v[28:29]
	ds_load_b128 v[2:5], v1 offset:896
	scratch_load_b128 v[26:29], off, off offset:432
	v_fma_f64 v[168:169], v[168:169], v[30:31], v[174:175]
	v_fma_f64 v[166:167], v[166:167], v[30:31], -v[32:33]
	scratch_load_b128 v[30:33], off, off offset:448
	v_add_f64 v[170:171], v[170:171], v[42:43]
	v_add_f64 v[172:173], v[172:173], v[44:45]
	ds_load_b128 v[42:45], v1 offset:912
	s_waitcnt vmcnt(10) lgkmcnt(1)
	v_mul_f64 v[180:181], v[2:3], v[36:37]
	v_mul_f64 v[36:37], v[4:5], v[36:37]
	s_waitcnt vmcnt(8) lgkmcnt(0)
	v_mul_f64 v[174:175], v[42:43], v[164:165]
	v_add_f64 v[170:171], v[170:171], v[178:179]
	v_add_f64 v[172:173], v[172:173], v[176:177]
	v_mul_f64 v[176:177], v[44:45], v[164:165]
	v_fma_f64 v[178:179], v[4:5], v[34:35], v[180:181]
	v_fma_f64 v[180:181], v[2:3], v[34:35], -v[36:37]
	ds_load_b128 v[2:5], v1 offset:928
	scratch_load_b128 v[34:37], off, off offset:464
	v_fma_f64 v[44:45], v[44:45], v[162:163], v[174:175]
	v_add_f64 v[170:171], v[170:171], v[166:167]
	v_add_f64 v[168:169], v[172:173], v[168:169]
	ds_load_b128 v[164:167], v1 offset:944
	v_fma_f64 v[162:163], v[42:43], v[162:163], -v[176:177]
	s_waitcnt vmcnt(8) lgkmcnt(1)
	v_mul_f64 v[172:173], v[2:3], v[40:41]
	v_mul_f64 v[182:183], v[4:5], v[40:41]
	scratch_load_b128 v[40:43], off, off offset:480
	s_waitcnt vmcnt(8) lgkmcnt(0)
	v_mul_f64 v[176:177], v[164:165], v[8:9]
	v_mul_f64 v[8:9], v[166:167], v[8:9]
	v_add_f64 v[170:171], v[170:171], v[180:181]
	v_add_f64 v[168:169], v[168:169], v[178:179]
	v_fma_f64 v[178:179], v[4:5], v[38:39], v[172:173]
	v_fma_f64 v[38:39], v[2:3], v[38:39], -v[182:183]
	ds_load_b128 v[2:5], v1 offset:960
	ds_load_b128 v[172:175], v1 offset:976
	v_fma_f64 v[166:167], v[166:167], v[6:7], v[176:177]
	v_fma_f64 v[164:165], v[164:165], v[6:7], -v[8:9]
	scratch_load_b128 v[6:9], off, off offset:512
	v_add_f64 v[162:163], v[170:171], v[162:163]
	v_add_f64 v[44:45], v[168:169], v[44:45]
	scratch_load_b128 v[168:171], off, off offset:496
	s_waitcnt vmcnt(9) lgkmcnt(1)
	v_mul_f64 v[180:181], v[2:3], v[12:13]
	v_mul_f64 v[12:13], v[4:5], v[12:13]
	s_waitcnt vmcnt(8) lgkmcnt(0)
	v_mul_f64 v[176:177], v[172:173], v[16:17]
	v_mul_f64 v[16:17], v[174:175], v[16:17]
	v_add_f64 v[38:39], v[162:163], v[38:39]
	v_add_f64 v[44:45], v[44:45], v[178:179]
	v_fma_f64 v[178:179], v[4:5], v[10:11], v[180:181]
	v_fma_f64 v[180:181], v[2:3], v[10:11], -v[12:13]
	ds_load_b128 v[2:5], v1 offset:992
	scratch_load_b128 v[10:13], off, off offset:528
	v_fma_f64 v[174:175], v[174:175], v[14:15], v[176:177]
	v_fma_f64 v[172:173], v[172:173], v[14:15], -v[16:17]
	scratch_load_b128 v[14:17], off, off offset:544
	v_add_f64 v[38:39], v[38:39], v[164:165]
	v_add_f64 v[44:45], v[44:45], v[166:167]
	ds_load_b128 v[162:165], v1 offset:1008
	s_waitcnt vmcnt(9) lgkmcnt(1)
	v_mul_f64 v[166:167], v[2:3], v[20:21]
	v_mul_f64 v[20:21], v[4:5], v[20:21]
	s_waitcnt vmcnt(8) lgkmcnt(0)
	v_mul_f64 v[176:177], v[162:163], v[24:25]
	v_mul_f64 v[24:25], v[164:165], v[24:25]
	v_add_f64 v[38:39], v[38:39], v[180:181]
	v_add_f64 v[44:45], v[44:45], v[178:179]
	v_fma_f64 v[166:167], v[4:5], v[18:19], v[166:167]
	v_fma_f64 v[178:179], v[2:3], v[18:19], -v[20:21]
	ds_load_b128 v[2:5], v1 offset:1024
	scratch_load_b128 v[18:21], off, off offset:560
	v_fma_f64 v[164:165], v[164:165], v[22:23], v[176:177]
	v_fma_f64 v[162:163], v[162:163], v[22:23], -v[24:25]
	scratch_load_b128 v[22:25], off, off offset:576
	v_add_f64 v[38:39], v[38:39], v[172:173]
	v_add_f64 v[44:45], v[44:45], v[174:175]
	ds_load_b128 v[172:175], v1 offset:1040
	s_waitcnt vmcnt(9) lgkmcnt(1)
	v_mul_f64 v[180:181], v[2:3], v[28:29]
	v_mul_f64 v[28:29], v[4:5], v[28:29]
	v_add_f64 v[38:39], v[38:39], v[178:179]
	v_add_f64 v[44:45], v[44:45], v[166:167]
	s_waitcnt vmcnt(8) lgkmcnt(0)
	v_mul_f64 v[166:167], v[172:173], v[32:33]
	v_mul_f64 v[32:33], v[174:175], v[32:33]
	v_fma_f64 v[176:177], v[4:5], v[26:27], v[180:181]
	v_fma_f64 v[178:179], v[2:3], v[26:27], -v[28:29]
	ds_load_b128 v[2:5], v1 offset:1056
	ds_load_b128 v[26:29], v1 offset:1072
	v_add_f64 v[38:39], v[38:39], v[162:163]
	v_add_f64 v[44:45], v[44:45], v[164:165]
	s_waitcnt vmcnt(7) lgkmcnt(1)
	v_mul_f64 v[162:163], v[2:3], v[36:37]
	v_mul_f64 v[36:37], v[4:5], v[36:37]
	v_fma_f64 v[164:165], v[174:175], v[30:31], v[166:167]
	v_fma_f64 v[30:31], v[172:173], v[30:31], -v[32:33]
	v_add_f64 v[32:33], v[38:39], v[178:179]
	v_add_f64 v[38:39], v[44:45], v[176:177]
	s_waitcnt vmcnt(6) lgkmcnt(0)
	v_mul_f64 v[44:45], v[26:27], v[42:43]
	v_mul_f64 v[42:43], v[28:29], v[42:43]
	v_fma_f64 v[162:163], v[4:5], v[34:35], v[162:163]
	v_fma_f64 v[34:35], v[2:3], v[34:35], -v[36:37]
	v_add_f64 v[36:37], v[32:33], v[30:31]
	v_add_f64 v[38:39], v[38:39], v[164:165]
	ds_load_b128 v[2:5], v1 offset:1088
	ds_load_b128 v[30:33], v1 offset:1104
	v_fma_f64 v[28:29], v[28:29], v[40:41], v[44:45]
	v_fma_f64 v[26:27], v[26:27], v[40:41], -v[42:43]
	s_waitcnt vmcnt(4) lgkmcnt(1)
	v_mul_f64 v[164:165], v[2:3], v[170:171]
	v_mul_f64 v[166:167], v[4:5], v[170:171]
	v_add_f64 v[34:35], v[36:37], v[34:35]
	v_add_f64 v[36:37], v[38:39], v[162:163]
	s_waitcnt lgkmcnt(0)
	v_mul_f64 v[38:39], v[30:31], v[8:9]
	v_mul_f64 v[8:9], v[32:33], v[8:9]
	v_fma_f64 v[40:41], v[4:5], v[168:169], v[164:165]
	v_fma_f64 v[42:43], v[2:3], v[168:169], -v[166:167]
	v_add_f64 v[34:35], v[34:35], v[26:27]
	v_add_f64 v[36:37], v[36:37], v[28:29]
	ds_load_b128 v[2:5], v1 offset:1120
	ds_load_b128 v[26:29], v1 offset:1136
	v_fma_f64 v[32:33], v[32:33], v[6:7], v[38:39]
	v_fma_f64 v[6:7], v[30:31], v[6:7], -v[8:9]
	s_waitcnt vmcnt(3) lgkmcnt(1)
	v_mul_f64 v[44:45], v[2:3], v[12:13]
	v_mul_f64 v[12:13], v[4:5], v[12:13]
	v_add_f64 v[8:9], v[34:35], v[42:43]
	v_add_f64 v[30:31], v[36:37], v[40:41]
	s_waitcnt vmcnt(2) lgkmcnt(0)
	v_mul_f64 v[34:35], v[26:27], v[16:17]
	v_mul_f64 v[16:17], v[28:29], v[16:17]
	v_fma_f64 v[36:37], v[4:5], v[10:11], v[44:45]
	v_fma_f64 v[10:11], v[2:3], v[10:11], -v[12:13]
	v_add_f64 v[12:13], v[8:9], v[6:7]
	v_add_f64 v[30:31], v[30:31], v[32:33]
	ds_load_b128 v[2:5], v1 offset:1152
	ds_load_b128 v[6:9], v1 offset:1168
	v_fma_f64 v[28:29], v[28:29], v[14:15], v[34:35]
	v_fma_f64 v[14:15], v[26:27], v[14:15], -v[16:17]
	s_waitcnt vmcnt(1) lgkmcnt(1)
	v_mul_f64 v[32:33], v[2:3], v[20:21]
	v_mul_f64 v[20:21], v[4:5], v[20:21]
	s_waitcnt vmcnt(0) lgkmcnt(0)
	v_mul_f64 v[16:17], v[6:7], v[24:25]
	v_mul_f64 v[24:25], v[8:9], v[24:25]
	v_add_f64 v[10:11], v[12:13], v[10:11]
	v_add_f64 v[12:13], v[30:31], v[36:37]
	v_fma_f64 v[4:5], v[4:5], v[18:19], v[32:33]
	v_fma_f64 v[1:2], v[2:3], v[18:19], -v[20:21]
	v_fma_f64 v[8:9], v[8:9], v[22:23], v[16:17]
	v_fma_f64 v[6:7], v[6:7], v[22:23], -v[24:25]
	v_add_f64 v[10:11], v[10:11], v[14:15]
	v_add_f64 v[12:13], v[12:13], v[28:29]
	s_delay_alu instid0(VALU_DEP_2) | instskip(NEXT) | instid1(VALU_DEP_2)
	v_add_f64 v[1:2], v[10:11], v[1:2]
	v_add_f64 v[3:4], v[12:13], v[4:5]
	s_delay_alu instid0(VALU_DEP_2) | instskip(NEXT) | instid1(VALU_DEP_2)
	;; [unrolled: 3-line block ×3, first 2 shown]
	v_add_f64 v[1:2], v[158:159], -v[1:2]
	v_add_f64 v[3:4], v[160:161], -v[3:4]
	scratch_store_b128 off, v[1:4], off offset:160
	v_cmpx_lt_u32_e32 9, v120
	s_cbranch_execz .LBB100_217
; %bb.216:
	scratch_load_b128 v[1:4], v148, off
	v_mov_b32_e32 v5, 0
	s_delay_alu instid0(VALU_DEP_1)
	v_mov_b32_e32 v6, v5
	v_mov_b32_e32 v7, v5
	;; [unrolled: 1-line block ×3, first 2 shown]
	scratch_store_b128 off, v[5:8], off offset:144
	s_waitcnt vmcnt(0)
	ds_store_b128 v157, v[1:4]
.LBB100_217:
	s_or_b32 exec_lo, exec_lo, s2
	s_waitcnt lgkmcnt(0)
	s_waitcnt_vscnt null, 0x0
	s_barrier
	buffer_gl0_inv
	s_clause 0x7
	scratch_load_b128 v[2:5], off, off offset:160
	scratch_load_b128 v[6:9], off, off offset:176
	;; [unrolled: 1-line block ×8, first 2 shown]
	v_mov_b32_e32 v1, 0
	s_mov_b32 s2, exec_lo
	ds_load_b128 v[38:41], v1 offset:752
	s_clause 0x1
	scratch_load_b128 v[34:37], off, off offset:288
	scratch_load_b128 v[42:45], off, off offset:144
	ds_load_b128 v[158:161], v1 offset:768
	scratch_load_b128 v[162:165], off, off offset:304
	s_waitcnt vmcnt(10) lgkmcnt(1)
	v_mul_f64 v[166:167], v[40:41], v[4:5]
	v_mul_f64 v[4:5], v[38:39], v[4:5]
	s_delay_alu instid0(VALU_DEP_2) | instskip(NEXT) | instid1(VALU_DEP_2)
	v_fma_f64 v[172:173], v[38:39], v[2:3], -v[166:167]
	v_fma_f64 v[174:175], v[40:41], v[2:3], v[4:5]
	scratch_load_b128 v[38:41], off, off offset:320
	ds_load_b128 v[2:5], v1 offset:784
	s_waitcnt vmcnt(10) lgkmcnt(1)
	v_mul_f64 v[170:171], v[158:159], v[8:9]
	v_mul_f64 v[8:9], v[160:161], v[8:9]
	ds_load_b128 v[166:169], v1 offset:800
	s_waitcnt vmcnt(9) lgkmcnt(1)
	v_mul_f64 v[176:177], v[2:3], v[12:13]
	v_mul_f64 v[12:13], v[4:5], v[12:13]
	v_fma_f64 v[160:161], v[160:161], v[6:7], v[170:171]
	v_fma_f64 v[158:159], v[158:159], v[6:7], -v[8:9]
	v_add_f64 v[170:171], v[172:173], 0
	v_add_f64 v[172:173], v[174:175], 0
	scratch_load_b128 v[6:9], off, off offset:336
	v_fma_f64 v[176:177], v[4:5], v[10:11], v[176:177]
	v_fma_f64 v[178:179], v[2:3], v[10:11], -v[12:13]
	scratch_load_b128 v[10:13], off, off offset:352
	ds_load_b128 v[2:5], v1 offset:816
	s_waitcnt vmcnt(10) lgkmcnt(1)
	v_mul_f64 v[174:175], v[166:167], v[16:17]
	v_mul_f64 v[16:17], v[168:169], v[16:17]
	v_add_f64 v[170:171], v[170:171], v[158:159]
	v_add_f64 v[172:173], v[172:173], v[160:161]
	s_waitcnt vmcnt(9) lgkmcnt(0)
	v_mul_f64 v[180:181], v[2:3], v[20:21]
	v_mul_f64 v[20:21], v[4:5], v[20:21]
	ds_load_b128 v[158:161], v1 offset:832
	v_fma_f64 v[168:169], v[168:169], v[14:15], v[174:175]
	v_fma_f64 v[166:167], v[166:167], v[14:15], -v[16:17]
	scratch_load_b128 v[14:17], off, off offset:368
	v_add_f64 v[170:171], v[170:171], v[178:179]
	v_add_f64 v[172:173], v[172:173], v[176:177]
	v_fma_f64 v[176:177], v[4:5], v[18:19], v[180:181]
	v_fma_f64 v[178:179], v[2:3], v[18:19], -v[20:21]
	scratch_load_b128 v[18:21], off, off offset:384
	ds_load_b128 v[2:5], v1 offset:848
	s_waitcnt vmcnt(10) lgkmcnt(1)
	v_mul_f64 v[174:175], v[158:159], v[24:25]
	v_mul_f64 v[24:25], v[160:161], v[24:25]
	s_waitcnt vmcnt(9) lgkmcnt(0)
	v_mul_f64 v[180:181], v[2:3], v[28:29]
	v_mul_f64 v[28:29], v[4:5], v[28:29]
	v_add_f64 v[170:171], v[170:171], v[166:167]
	v_add_f64 v[172:173], v[172:173], v[168:169]
	ds_load_b128 v[166:169], v1 offset:864
	v_fma_f64 v[160:161], v[160:161], v[22:23], v[174:175]
	v_fma_f64 v[158:159], v[158:159], v[22:23], -v[24:25]
	scratch_load_b128 v[22:25], off, off offset:400
	v_add_f64 v[170:171], v[170:171], v[178:179]
	v_add_f64 v[172:173], v[172:173], v[176:177]
	v_fma_f64 v[176:177], v[4:5], v[26:27], v[180:181]
	v_fma_f64 v[178:179], v[2:3], v[26:27], -v[28:29]
	scratch_load_b128 v[26:29], off, off offset:416
	ds_load_b128 v[2:5], v1 offset:880
	s_waitcnt vmcnt(10) lgkmcnt(1)
	v_mul_f64 v[174:175], v[166:167], v[32:33]
	v_mul_f64 v[32:33], v[168:169], v[32:33]
	s_waitcnt vmcnt(9) lgkmcnt(0)
	v_mul_f64 v[180:181], v[2:3], v[36:37]
	v_mul_f64 v[36:37], v[4:5], v[36:37]
	v_add_f64 v[170:171], v[170:171], v[158:159]
	v_add_f64 v[172:173], v[172:173], v[160:161]
	ds_load_b128 v[158:161], v1 offset:896
	v_fma_f64 v[168:169], v[168:169], v[30:31], v[174:175]
	v_fma_f64 v[166:167], v[166:167], v[30:31], -v[32:33]
	scratch_load_b128 v[30:33], off, off offset:432
	v_add_f64 v[170:171], v[170:171], v[178:179]
	v_add_f64 v[172:173], v[172:173], v[176:177]
	v_fma_f64 v[178:179], v[4:5], v[34:35], v[180:181]
	v_fma_f64 v[180:181], v[2:3], v[34:35], -v[36:37]
	scratch_load_b128 v[34:37], off, off offset:448
	ds_load_b128 v[2:5], v1 offset:912
	s_waitcnt vmcnt(9) lgkmcnt(1)
	v_mul_f64 v[174:175], v[158:159], v[164:165]
	v_mul_f64 v[176:177], v[160:161], v[164:165]
	v_add_f64 v[170:171], v[170:171], v[166:167]
	v_add_f64 v[168:169], v[172:173], v[168:169]
	ds_load_b128 v[164:167], v1 offset:928
	v_fma_f64 v[174:175], v[160:161], v[162:163], v[174:175]
	v_fma_f64 v[162:163], v[158:159], v[162:163], -v[176:177]
	scratch_load_b128 v[158:161], off, off offset:464
	s_waitcnt vmcnt(9) lgkmcnt(1)
	v_mul_f64 v[172:173], v[2:3], v[40:41]
	v_mul_f64 v[40:41], v[4:5], v[40:41]
	v_add_f64 v[170:171], v[170:171], v[180:181]
	v_add_f64 v[168:169], v[168:169], v[178:179]
	s_delay_alu instid0(VALU_DEP_4) | instskip(NEXT) | instid1(VALU_DEP_4)
	v_fma_f64 v[172:173], v[4:5], v[38:39], v[172:173]
	v_fma_f64 v[178:179], v[2:3], v[38:39], -v[40:41]
	scratch_load_b128 v[38:41], off, off offset:480
	ds_load_b128 v[2:5], v1 offset:944
	s_waitcnt vmcnt(9) lgkmcnt(1)
	v_mul_f64 v[176:177], v[164:165], v[8:9]
	v_mul_f64 v[8:9], v[166:167], v[8:9]
	s_waitcnt vmcnt(8) lgkmcnt(0)
	v_mul_f64 v[180:181], v[2:3], v[12:13]
	v_mul_f64 v[12:13], v[4:5], v[12:13]
	v_add_f64 v[162:163], v[170:171], v[162:163]
	v_add_f64 v[174:175], v[168:169], v[174:175]
	ds_load_b128 v[168:171], v1 offset:960
	v_fma_f64 v[166:167], v[166:167], v[6:7], v[176:177]
	v_fma_f64 v[164:165], v[164:165], v[6:7], -v[8:9]
	scratch_load_b128 v[6:9], off, off offset:496
	v_fma_f64 v[176:177], v[4:5], v[10:11], v[180:181]
	v_add_f64 v[162:163], v[162:163], v[178:179]
	v_add_f64 v[172:173], v[174:175], v[172:173]
	v_fma_f64 v[178:179], v[2:3], v[10:11], -v[12:13]
	scratch_load_b128 v[10:13], off, off offset:512
	ds_load_b128 v[2:5], v1 offset:976
	s_waitcnt vmcnt(9) lgkmcnt(1)
	v_mul_f64 v[174:175], v[168:169], v[16:17]
	v_mul_f64 v[16:17], v[170:171], v[16:17]
	v_add_f64 v[180:181], v[162:163], v[164:165]
	v_add_f64 v[166:167], v[172:173], v[166:167]
	s_waitcnt vmcnt(8) lgkmcnt(0)
	v_mul_f64 v[172:173], v[2:3], v[20:21]
	v_mul_f64 v[20:21], v[4:5], v[20:21]
	ds_load_b128 v[162:165], v1 offset:992
	v_fma_f64 v[170:171], v[170:171], v[14:15], v[174:175]
	v_fma_f64 v[168:169], v[168:169], v[14:15], -v[16:17]
	scratch_load_b128 v[14:17], off, off offset:528
	v_add_f64 v[174:175], v[180:181], v[178:179]
	v_add_f64 v[166:167], v[166:167], v[176:177]
	v_fma_f64 v[172:173], v[4:5], v[18:19], v[172:173]
	v_fma_f64 v[178:179], v[2:3], v[18:19], -v[20:21]
	scratch_load_b128 v[18:21], off, off offset:544
	ds_load_b128 v[2:5], v1 offset:1008
	s_waitcnt vmcnt(9) lgkmcnt(1)
	v_mul_f64 v[176:177], v[162:163], v[24:25]
	v_mul_f64 v[24:25], v[164:165], v[24:25]
	s_waitcnt vmcnt(8) lgkmcnt(0)
	v_mul_f64 v[180:181], v[2:3], v[28:29]
	v_mul_f64 v[28:29], v[4:5], v[28:29]
	v_add_f64 v[174:175], v[174:175], v[168:169]
	v_add_f64 v[170:171], v[166:167], v[170:171]
	ds_load_b128 v[166:169], v1 offset:1024
	v_fma_f64 v[164:165], v[164:165], v[22:23], v[176:177]
	v_fma_f64 v[162:163], v[162:163], v[22:23], -v[24:25]
	scratch_load_b128 v[22:25], off, off offset:560
	v_fma_f64 v[176:177], v[4:5], v[26:27], v[180:181]
	v_add_f64 v[174:175], v[174:175], v[178:179]
	v_add_f64 v[170:171], v[170:171], v[172:173]
	v_fma_f64 v[178:179], v[2:3], v[26:27], -v[28:29]
	scratch_load_b128 v[26:29], off, off offset:576
	ds_load_b128 v[2:5], v1 offset:1040
	s_waitcnt vmcnt(9) lgkmcnt(1)
	v_mul_f64 v[172:173], v[166:167], v[32:33]
	v_mul_f64 v[32:33], v[168:169], v[32:33]
	s_waitcnt vmcnt(8) lgkmcnt(0)
	v_mul_f64 v[180:181], v[2:3], v[36:37]
	v_mul_f64 v[36:37], v[4:5], v[36:37]
	v_add_f64 v[174:175], v[174:175], v[162:163]
	v_add_f64 v[170:171], v[170:171], v[164:165]
	ds_load_b128 v[162:165], v1 offset:1056
	v_fma_f64 v[168:169], v[168:169], v[30:31], v[172:173]
	v_fma_f64 v[30:31], v[166:167], v[30:31], -v[32:33]
	v_fma_f64 v[172:173], v[4:5], v[34:35], v[180:181]
	v_fma_f64 v[34:35], v[2:3], v[34:35], -v[36:37]
	v_add_f64 v[32:33], v[174:175], v[178:179]
	v_add_f64 v[166:167], v[170:171], v[176:177]
	s_waitcnt vmcnt(7) lgkmcnt(0)
	v_mul_f64 v[170:171], v[162:163], v[160:161]
	v_mul_f64 v[160:161], v[164:165], v[160:161]
	s_delay_alu instid0(VALU_DEP_4) | instskip(NEXT) | instid1(VALU_DEP_4)
	v_add_f64 v[36:37], v[32:33], v[30:31]
	v_add_f64 v[166:167], v[166:167], v[168:169]
	ds_load_b128 v[2:5], v1 offset:1072
	ds_load_b128 v[30:33], v1 offset:1088
	v_fma_f64 v[164:165], v[164:165], v[158:159], v[170:171]
	v_fma_f64 v[158:159], v[162:163], v[158:159], -v[160:161]
	s_waitcnt vmcnt(6) lgkmcnt(1)
	v_mul_f64 v[168:169], v[2:3], v[40:41]
	v_mul_f64 v[40:41], v[4:5], v[40:41]
	s_waitcnt vmcnt(5) lgkmcnt(0)
	v_mul_f64 v[160:161], v[30:31], v[8:9]
	v_mul_f64 v[8:9], v[32:33], v[8:9]
	v_add_f64 v[34:35], v[36:37], v[34:35]
	v_add_f64 v[36:37], v[166:167], v[172:173]
	v_fma_f64 v[162:163], v[4:5], v[38:39], v[168:169]
	v_fma_f64 v[38:39], v[2:3], v[38:39], -v[40:41]
	v_fma_f64 v[32:33], v[32:33], v[6:7], v[160:161]
	v_fma_f64 v[6:7], v[30:31], v[6:7], -v[8:9]
	v_add_f64 v[40:41], v[34:35], v[158:159]
	v_add_f64 v[158:159], v[36:37], v[164:165]
	ds_load_b128 v[2:5], v1 offset:1104
	ds_load_b128 v[34:37], v1 offset:1120
	s_waitcnt vmcnt(4) lgkmcnt(1)
	v_mul_f64 v[164:165], v[2:3], v[12:13]
	v_mul_f64 v[12:13], v[4:5], v[12:13]
	v_add_f64 v[8:9], v[40:41], v[38:39]
	v_add_f64 v[30:31], v[158:159], v[162:163]
	s_waitcnt vmcnt(3) lgkmcnt(0)
	v_mul_f64 v[38:39], v[34:35], v[16:17]
	v_mul_f64 v[16:17], v[36:37], v[16:17]
	v_fma_f64 v[40:41], v[4:5], v[10:11], v[164:165]
	v_fma_f64 v[10:11], v[2:3], v[10:11], -v[12:13]
	v_add_f64 v[12:13], v[8:9], v[6:7]
	v_add_f64 v[30:31], v[30:31], v[32:33]
	ds_load_b128 v[2:5], v1 offset:1136
	ds_load_b128 v[6:9], v1 offset:1152
	v_fma_f64 v[36:37], v[36:37], v[14:15], v[38:39]
	v_fma_f64 v[14:15], v[34:35], v[14:15], -v[16:17]
	s_waitcnt vmcnt(2) lgkmcnt(1)
	v_mul_f64 v[32:33], v[2:3], v[20:21]
	v_mul_f64 v[20:21], v[4:5], v[20:21]
	s_waitcnt vmcnt(1) lgkmcnt(0)
	v_mul_f64 v[16:17], v[6:7], v[24:25]
	v_mul_f64 v[24:25], v[8:9], v[24:25]
	v_add_f64 v[10:11], v[12:13], v[10:11]
	v_add_f64 v[12:13], v[30:31], v[40:41]
	v_fma_f64 v[30:31], v[4:5], v[18:19], v[32:33]
	v_fma_f64 v[18:19], v[2:3], v[18:19], -v[20:21]
	ds_load_b128 v[2:5], v1 offset:1168
	v_fma_f64 v[8:9], v[8:9], v[22:23], v[16:17]
	v_fma_f64 v[6:7], v[6:7], v[22:23], -v[24:25]
	v_add_f64 v[10:11], v[10:11], v[14:15]
	v_add_f64 v[12:13], v[12:13], v[36:37]
	s_waitcnt vmcnt(0) lgkmcnt(0)
	v_mul_f64 v[14:15], v[2:3], v[28:29]
	v_mul_f64 v[20:21], v[4:5], v[28:29]
	s_delay_alu instid0(VALU_DEP_4) | instskip(NEXT) | instid1(VALU_DEP_4)
	v_add_f64 v[10:11], v[10:11], v[18:19]
	v_add_f64 v[12:13], v[12:13], v[30:31]
	s_delay_alu instid0(VALU_DEP_4) | instskip(NEXT) | instid1(VALU_DEP_4)
	v_fma_f64 v[4:5], v[4:5], v[26:27], v[14:15]
	v_fma_f64 v[2:3], v[2:3], v[26:27], -v[20:21]
	s_delay_alu instid0(VALU_DEP_4) | instskip(NEXT) | instid1(VALU_DEP_4)
	v_add_f64 v[6:7], v[10:11], v[6:7]
	v_add_f64 v[8:9], v[12:13], v[8:9]
	s_delay_alu instid0(VALU_DEP_2) | instskip(NEXT) | instid1(VALU_DEP_2)
	v_add_f64 v[2:3], v[6:7], v[2:3]
	v_add_f64 v[4:5], v[8:9], v[4:5]
	s_delay_alu instid0(VALU_DEP_2) | instskip(NEXT) | instid1(VALU_DEP_2)
	v_add_f64 v[2:3], v[42:43], -v[2:3]
	v_add_f64 v[4:5], v[44:45], -v[4:5]
	scratch_store_b128 off, v[2:5], off offset:144
	v_cmpx_lt_u32_e32 8, v120
	s_cbranch_execz .LBB100_219
; %bb.218:
	scratch_load_b128 v[5:8], v146, off
	v_mov_b32_e32 v2, v1
	v_mov_b32_e32 v3, v1
	;; [unrolled: 1-line block ×3, first 2 shown]
	scratch_store_b128 off, v[1:4], off offset:128
	s_waitcnt vmcnt(0)
	ds_store_b128 v157, v[5:8]
.LBB100_219:
	s_or_b32 exec_lo, exec_lo, s2
	s_waitcnt lgkmcnt(0)
	s_waitcnt_vscnt null, 0x0
	s_barrier
	buffer_gl0_inv
	s_clause 0x8
	scratch_load_b128 v[2:5], off, off offset:144
	scratch_load_b128 v[6:9], off, off offset:160
	;; [unrolled: 1-line block ×9, first 2 shown]
	ds_load_b128 v[42:45], v1 offset:736
	ds_load_b128 v[38:41], v1 offset:752
	s_clause 0x1
	scratch_load_b128 v[158:161], off, off offset:128
	scratch_load_b128 v[162:165], off, off offset:288
	s_mov_b32 s2, exec_lo
	s_waitcnt vmcnt(10) lgkmcnt(1)
	v_mul_f64 v[166:167], v[44:45], v[4:5]
	v_mul_f64 v[4:5], v[42:43], v[4:5]
	s_waitcnt vmcnt(9) lgkmcnt(0)
	v_mul_f64 v[170:171], v[38:39], v[8:9]
	v_mul_f64 v[8:9], v[40:41], v[8:9]
	s_delay_alu instid0(VALU_DEP_4) | instskip(NEXT) | instid1(VALU_DEP_4)
	v_fma_f64 v[172:173], v[42:43], v[2:3], -v[166:167]
	v_fma_f64 v[174:175], v[44:45], v[2:3], v[4:5]
	ds_load_b128 v[2:5], v1 offset:768
	ds_load_b128 v[166:169], v1 offset:784
	scratch_load_b128 v[42:45], off, off offset:304
	v_fma_f64 v[40:41], v[40:41], v[6:7], v[170:171]
	v_fma_f64 v[38:39], v[38:39], v[6:7], -v[8:9]
	scratch_load_b128 v[6:9], off, off offset:320
	s_waitcnt vmcnt(10) lgkmcnt(1)
	v_mul_f64 v[176:177], v[2:3], v[12:13]
	v_mul_f64 v[12:13], v[4:5], v[12:13]
	v_add_f64 v[170:171], v[172:173], 0
	v_add_f64 v[172:173], v[174:175], 0
	s_waitcnt vmcnt(9) lgkmcnt(0)
	v_mul_f64 v[174:175], v[166:167], v[16:17]
	v_mul_f64 v[16:17], v[168:169], v[16:17]
	v_fma_f64 v[176:177], v[4:5], v[10:11], v[176:177]
	v_fma_f64 v[178:179], v[2:3], v[10:11], -v[12:13]
	ds_load_b128 v[2:5], v1 offset:800
	scratch_load_b128 v[10:13], off, off offset:336
	v_add_f64 v[170:171], v[170:171], v[38:39]
	v_add_f64 v[172:173], v[172:173], v[40:41]
	ds_load_b128 v[38:41], v1 offset:816
	v_fma_f64 v[168:169], v[168:169], v[14:15], v[174:175]
	v_fma_f64 v[166:167], v[166:167], v[14:15], -v[16:17]
	scratch_load_b128 v[14:17], off, off offset:352
	s_waitcnt vmcnt(10) lgkmcnt(1)
	v_mul_f64 v[180:181], v[2:3], v[20:21]
	v_mul_f64 v[20:21], v[4:5], v[20:21]
	s_waitcnt vmcnt(9) lgkmcnt(0)
	v_mul_f64 v[174:175], v[38:39], v[24:25]
	v_mul_f64 v[24:25], v[40:41], v[24:25]
	v_add_f64 v[170:171], v[170:171], v[178:179]
	v_add_f64 v[172:173], v[172:173], v[176:177]
	v_fma_f64 v[176:177], v[4:5], v[18:19], v[180:181]
	v_fma_f64 v[178:179], v[2:3], v[18:19], -v[20:21]
	ds_load_b128 v[2:5], v1 offset:832
	scratch_load_b128 v[18:21], off, off offset:368
	v_fma_f64 v[40:41], v[40:41], v[22:23], v[174:175]
	v_fma_f64 v[38:39], v[38:39], v[22:23], -v[24:25]
	scratch_load_b128 v[22:25], off, off offset:384
	v_add_f64 v[170:171], v[170:171], v[166:167]
	v_add_f64 v[172:173], v[172:173], v[168:169]
	ds_load_b128 v[166:169], v1 offset:848
	s_waitcnt vmcnt(10) lgkmcnt(1)
	v_mul_f64 v[180:181], v[2:3], v[28:29]
	v_mul_f64 v[28:29], v[4:5], v[28:29]
	s_waitcnt vmcnt(9) lgkmcnt(0)
	v_mul_f64 v[174:175], v[166:167], v[32:33]
	v_mul_f64 v[32:33], v[168:169], v[32:33]
	v_add_f64 v[170:171], v[170:171], v[178:179]
	v_add_f64 v[172:173], v[172:173], v[176:177]
	v_fma_f64 v[176:177], v[4:5], v[26:27], v[180:181]
	v_fma_f64 v[178:179], v[2:3], v[26:27], -v[28:29]
	ds_load_b128 v[2:5], v1 offset:864
	scratch_load_b128 v[26:29], off, off offset:400
	v_fma_f64 v[168:169], v[168:169], v[30:31], v[174:175]
	v_fma_f64 v[166:167], v[166:167], v[30:31], -v[32:33]
	scratch_load_b128 v[30:33], off, off offset:416
	v_add_f64 v[170:171], v[170:171], v[38:39]
	v_add_f64 v[172:173], v[172:173], v[40:41]
	ds_load_b128 v[38:41], v1 offset:880
	s_waitcnt vmcnt(10) lgkmcnt(1)
	v_mul_f64 v[180:181], v[2:3], v[36:37]
	v_mul_f64 v[36:37], v[4:5], v[36:37]
	s_waitcnt vmcnt(8) lgkmcnt(0)
	v_mul_f64 v[174:175], v[38:39], v[164:165]
	v_add_f64 v[170:171], v[170:171], v[178:179]
	v_add_f64 v[172:173], v[172:173], v[176:177]
	v_mul_f64 v[176:177], v[40:41], v[164:165]
	v_fma_f64 v[178:179], v[4:5], v[34:35], v[180:181]
	v_fma_f64 v[180:181], v[2:3], v[34:35], -v[36:37]
	ds_load_b128 v[2:5], v1 offset:896
	scratch_load_b128 v[34:37], off, off offset:432
	v_fma_f64 v[174:175], v[40:41], v[162:163], v[174:175]
	v_add_f64 v[170:171], v[170:171], v[166:167]
	v_add_f64 v[168:169], v[172:173], v[168:169]
	ds_load_b128 v[164:167], v1 offset:912
	v_fma_f64 v[162:163], v[38:39], v[162:163], -v[176:177]
	scratch_load_b128 v[38:41], off, off offset:448
	s_waitcnt vmcnt(9) lgkmcnt(1)
	v_mul_f64 v[172:173], v[2:3], v[44:45]
	v_mul_f64 v[44:45], v[4:5], v[44:45]
	s_waitcnt vmcnt(8) lgkmcnt(0)
	v_mul_f64 v[176:177], v[164:165], v[8:9]
	v_mul_f64 v[8:9], v[166:167], v[8:9]
	v_add_f64 v[170:171], v[170:171], v[180:181]
	v_add_f64 v[168:169], v[168:169], v[178:179]
	v_fma_f64 v[172:173], v[4:5], v[42:43], v[172:173]
	v_fma_f64 v[178:179], v[2:3], v[42:43], -v[44:45]
	ds_load_b128 v[2:5], v1 offset:928
	scratch_load_b128 v[42:45], off, off offset:464
	v_fma_f64 v[166:167], v[166:167], v[6:7], v[176:177]
	v_fma_f64 v[164:165], v[164:165], v[6:7], -v[8:9]
	scratch_load_b128 v[6:9], off, off offset:480
	v_add_f64 v[162:163], v[170:171], v[162:163]
	v_add_f64 v[174:175], v[168:169], v[174:175]
	ds_load_b128 v[168:171], v1 offset:944
	s_waitcnt vmcnt(9) lgkmcnt(1)
	v_mul_f64 v[180:181], v[2:3], v[12:13]
	v_mul_f64 v[12:13], v[4:5], v[12:13]
	v_add_f64 v[162:163], v[162:163], v[178:179]
	v_add_f64 v[172:173], v[174:175], v[172:173]
	s_waitcnt vmcnt(8) lgkmcnt(0)
	v_mul_f64 v[174:175], v[168:169], v[16:17]
	v_mul_f64 v[16:17], v[170:171], v[16:17]
	v_fma_f64 v[176:177], v[4:5], v[10:11], v[180:181]
	v_fma_f64 v[178:179], v[2:3], v[10:11], -v[12:13]
	ds_load_b128 v[2:5], v1 offset:960
	scratch_load_b128 v[10:13], off, off offset:496
	v_add_f64 v[180:181], v[162:163], v[164:165]
	v_add_f64 v[166:167], v[172:173], v[166:167]
	ds_load_b128 v[162:165], v1 offset:976
	s_waitcnt vmcnt(8) lgkmcnt(1)
	v_mul_f64 v[172:173], v[2:3], v[20:21]
	v_mul_f64 v[20:21], v[4:5], v[20:21]
	v_fma_f64 v[170:171], v[170:171], v[14:15], v[174:175]
	v_fma_f64 v[168:169], v[168:169], v[14:15], -v[16:17]
	scratch_load_b128 v[14:17], off, off offset:512
	v_add_f64 v[174:175], v[180:181], v[178:179]
	v_add_f64 v[166:167], v[166:167], v[176:177]
	s_waitcnt vmcnt(8) lgkmcnt(0)
	v_mul_f64 v[176:177], v[162:163], v[24:25]
	v_mul_f64 v[24:25], v[164:165], v[24:25]
	v_fma_f64 v[172:173], v[4:5], v[18:19], v[172:173]
	v_fma_f64 v[178:179], v[2:3], v[18:19], -v[20:21]
	ds_load_b128 v[2:5], v1 offset:992
	scratch_load_b128 v[18:21], off, off offset:528
	v_add_f64 v[174:175], v[174:175], v[168:169]
	v_add_f64 v[170:171], v[166:167], v[170:171]
	ds_load_b128 v[166:169], v1 offset:1008
	s_waitcnt vmcnt(8) lgkmcnt(1)
	v_mul_f64 v[180:181], v[2:3], v[28:29]
	v_mul_f64 v[28:29], v[4:5], v[28:29]
	v_fma_f64 v[164:165], v[164:165], v[22:23], v[176:177]
	v_fma_f64 v[162:163], v[162:163], v[22:23], -v[24:25]
	scratch_load_b128 v[22:25], off, off offset:544
	;; [unrolled: 18-line block ×3, first 2 shown]
	v_add_f64 v[172:173], v[174:175], v[178:179]
	v_add_f64 v[170:171], v[170:171], v[176:177]
	s_waitcnt vmcnt(8) lgkmcnt(0)
	v_mul_f64 v[174:175], v[162:163], v[40:41]
	v_mul_f64 v[40:41], v[164:165], v[40:41]
	v_fma_f64 v[176:177], v[4:5], v[34:35], v[180:181]
	v_fma_f64 v[178:179], v[2:3], v[34:35], -v[36:37]
	ds_load_b128 v[2:5], v1 offset:1056
	ds_load_b128 v[34:37], v1 offset:1072
	v_add_f64 v[166:167], v[172:173], v[166:167]
	v_add_f64 v[168:169], v[170:171], v[168:169]
	s_waitcnt vmcnt(7) lgkmcnt(1)
	v_mul_f64 v[170:171], v[2:3], v[44:45]
	v_mul_f64 v[44:45], v[4:5], v[44:45]
	v_fma_f64 v[164:165], v[164:165], v[38:39], v[174:175]
	v_fma_f64 v[38:39], v[162:163], v[38:39], -v[40:41]
	v_add_f64 v[40:41], v[166:167], v[178:179]
	v_add_f64 v[162:163], v[168:169], v[176:177]
	s_waitcnt vmcnt(6) lgkmcnt(0)
	v_mul_f64 v[166:167], v[34:35], v[8:9]
	v_mul_f64 v[8:9], v[36:37], v[8:9]
	v_fma_f64 v[168:169], v[4:5], v[42:43], v[170:171]
	v_fma_f64 v[42:43], v[2:3], v[42:43], -v[44:45]
	v_add_f64 v[44:45], v[40:41], v[38:39]
	v_add_f64 v[162:163], v[162:163], v[164:165]
	ds_load_b128 v[2:5], v1 offset:1088
	ds_load_b128 v[38:41], v1 offset:1104
	v_fma_f64 v[36:37], v[36:37], v[6:7], v[166:167]
	v_fma_f64 v[6:7], v[34:35], v[6:7], -v[8:9]
	s_waitcnt vmcnt(5) lgkmcnt(1)
	v_mul_f64 v[164:165], v[2:3], v[12:13]
	v_mul_f64 v[12:13], v[4:5], v[12:13]
	v_add_f64 v[8:9], v[44:45], v[42:43]
	v_add_f64 v[34:35], v[162:163], v[168:169]
	s_waitcnt vmcnt(4) lgkmcnt(0)
	v_mul_f64 v[42:43], v[38:39], v[16:17]
	v_mul_f64 v[16:17], v[40:41], v[16:17]
	v_fma_f64 v[44:45], v[4:5], v[10:11], v[164:165]
	v_fma_f64 v[10:11], v[2:3], v[10:11], -v[12:13]
	v_add_f64 v[12:13], v[8:9], v[6:7]
	v_add_f64 v[34:35], v[34:35], v[36:37]
	ds_load_b128 v[2:5], v1 offset:1120
	ds_load_b128 v[6:9], v1 offset:1136
	v_fma_f64 v[40:41], v[40:41], v[14:15], v[42:43]
	v_fma_f64 v[14:15], v[38:39], v[14:15], -v[16:17]
	s_waitcnt vmcnt(3) lgkmcnt(1)
	v_mul_f64 v[36:37], v[2:3], v[20:21]
	v_mul_f64 v[20:21], v[4:5], v[20:21]
	s_waitcnt vmcnt(2) lgkmcnt(0)
	v_mul_f64 v[16:17], v[6:7], v[24:25]
	v_mul_f64 v[24:25], v[8:9], v[24:25]
	v_add_f64 v[10:11], v[12:13], v[10:11]
	v_add_f64 v[12:13], v[34:35], v[44:45]
	v_fma_f64 v[34:35], v[4:5], v[18:19], v[36:37]
	v_fma_f64 v[18:19], v[2:3], v[18:19], -v[20:21]
	v_fma_f64 v[8:9], v[8:9], v[22:23], v[16:17]
	v_fma_f64 v[6:7], v[6:7], v[22:23], -v[24:25]
	v_add_f64 v[14:15], v[10:11], v[14:15]
	v_add_f64 v[20:21], v[12:13], v[40:41]
	ds_load_b128 v[2:5], v1 offset:1152
	ds_load_b128 v[10:13], v1 offset:1168
	s_waitcnt vmcnt(1) lgkmcnt(1)
	v_mul_f64 v[36:37], v[2:3], v[28:29]
	v_mul_f64 v[28:29], v[4:5], v[28:29]
	v_add_f64 v[14:15], v[14:15], v[18:19]
	v_add_f64 v[16:17], v[20:21], v[34:35]
	s_waitcnt vmcnt(0) lgkmcnt(0)
	v_mul_f64 v[18:19], v[10:11], v[32:33]
	v_mul_f64 v[20:21], v[12:13], v[32:33]
	v_fma_f64 v[4:5], v[4:5], v[26:27], v[36:37]
	v_fma_f64 v[1:2], v[2:3], v[26:27], -v[28:29]
	v_add_f64 v[6:7], v[14:15], v[6:7]
	v_add_f64 v[8:9], v[16:17], v[8:9]
	v_fma_f64 v[12:13], v[12:13], v[30:31], v[18:19]
	v_fma_f64 v[10:11], v[10:11], v[30:31], -v[20:21]
	s_delay_alu instid0(VALU_DEP_4) | instskip(NEXT) | instid1(VALU_DEP_4)
	v_add_f64 v[1:2], v[6:7], v[1:2]
	v_add_f64 v[3:4], v[8:9], v[4:5]
	s_delay_alu instid0(VALU_DEP_2) | instskip(NEXT) | instid1(VALU_DEP_2)
	v_add_f64 v[1:2], v[1:2], v[10:11]
	v_add_f64 v[3:4], v[3:4], v[12:13]
	s_delay_alu instid0(VALU_DEP_2) | instskip(NEXT) | instid1(VALU_DEP_2)
	v_add_f64 v[1:2], v[158:159], -v[1:2]
	v_add_f64 v[3:4], v[160:161], -v[3:4]
	scratch_store_b128 off, v[1:4], off offset:128
	v_cmpx_lt_u32_e32 7, v120
	s_cbranch_execz .LBB100_221
; %bb.220:
	scratch_load_b128 v[1:4], v149, off
	v_mov_b32_e32 v5, 0
	s_delay_alu instid0(VALU_DEP_1)
	v_mov_b32_e32 v6, v5
	v_mov_b32_e32 v7, v5
	;; [unrolled: 1-line block ×3, first 2 shown]
	scratch_store_b128 off, v[5:8], off offset:112
	s_waitcnt vmcnt(0)
	ds_store_b128 v157, v[1:4]
.LBB100_221:
	s_or_b32 exec_lo, exec_lo, s2
	s_waitcnt lgkmcnt(0)
	s_waitcnt_vscnt null, 0x0
	s_barrier
	buffer_gl0_inv
	s_clause 0x7
	scratch_load_b128 v[2:5], off, off offset:128
	scratch_load_b128 v[6:9], off, off offset:144
	;; [unrolled: 1-line block ×8, first 2 shown]
	v_mov_b32_e32 v1, 0
	s_mov_b32 s2, exec_lo
	ds_load_b128 v[38:41], v1 offset:720
	s_clause 0x1
	scratch_load_b128 v[34:37], off, off offset:256
	scratch_load_b128 v[42:45], off, off offset:112
	ds_load_b128 v[158:161], v1 offset:736
	scratch_load_b128 v[162:165], off, off offset:272
	s_waitcnt vmcnt(10) lgkmcnt(1)
	v_mul_f64 v[166:167], v[40:41], v[4:5]
	v_mul_f64 v[4:5], v[38:39], v[4:5]
	s_delay_alu instid0(VALU_DEP_2) | instskip(NEXT) | instid1(VALU_DEP_2)
	v_fma_f64 v[172:173], v[38:39], v[2:3], -v[166:167]
	v_fma_f64 v[174:175], v[40:41], v[2:3], v[4:5]
	scratch_load_b128 v[38:41], off, off offset:288
	ds_load_b128 v[2:5], v1 offset:752
	s_waitcnt vmcnt(10) lgkmcnt(1)
	v_mul_f64 v[170:171], v[158:159], v[8:9]
	v_mul_f64 v[8:9], v[160:161], v[8:9]
	ds_load_b128 v[166:169], v1 offset:768
	s_waitcnt vmcnt(9) lgkmcnt(1)
	v_mul_f64 v[176:177], v[2:3], v[12:13]
	v_mul_f64 v[12:13], v[4:5], v[12:13]
	v_fma_f64 v[160:161], v[160:161], v[6:7], v[170:171]
	v_fma_f64 v[158:159], v[158:159], v[6:7], -v[8:9]
	v_add_f64 v[170:171], v[172:173], 0
	v_add_f64 v[172:173], v[174:175], 0
	scratch_load_b128 v[6:9], off, off offset:304
	v_fma_f64 v[176:177], v[4:5], v[10:11], v[176:177]
	v_fma_f64 v[178:179], v[2:3], v[10:11], -v[12:13]
	scratch_load_b128 v[10:13], off, off offset:320
	ds_load_b128 v[2:5], v1 offset:784
	s_waitcnt vmcnt(10) lgkmcnt(1)
	v_mul_f64 v[174:175], v[166:167], v[16:17]
	v_mul_f64 v[16:17], v[168:169], v[16:17]
	v_add_f64 v[170:171], v[170:171], v[158:159]
	v_add_f64 v[172:173], v[172:173], v[160:161]
	s_waitcnt vmcnt(9) lgkmcnt(0)
	v_mul_f64 v[180:181], v[2:3], v[20:21]
	v_mul_f64 v[20:21], v[4:5], v[20:21]
	ds_load_b128 v[158:161], v1 offset:800
	v_fma_f64 v[168:169], v[168:169], v[14:15], v[174:175]
	v_fma_f64 v[166:167], v[166:167], v[14:15], -v[16:17]
	scratch_load_b128 v[14:17], off, off offset:336
	v_add_f64 v[170:171], v[170:171], v[178:179]
	v_add_f64 v[172:173], v[172:173], v[176:177]
	v_fma_f64 v[176:177], v[4:5], v[18:19], v[180:181]
	v_fma_f64 v[178:179], v[2:3], v[18:19], -v[20:21]
	scratch_load_b128 v[18:21], off, off offset:352
	ds_load_b128 v[2:5], v1 offset:816
	s_waitcnt vmcnt(10) lgkmcnt(1)
	v_mul_f64 v[174:175], v[158:159], v[24:25]
	v_mul_f64 v[24:25], v[160:161], v[24:25]
	s_waitcnt vmcnt(9) lgkmcnt(0)
	v_mul_f64 v[180:181], v[2:3], v[28:29]
	v_mul_f64 v[28:29], v[4:5], v[28:29]
	v_add_f64 v[170:171], v[170:171], v[166:167]
	v_add_f64 v[172:173], v[172:173], v[168:169]
	ds_load_b128 v[166:169], v1 offset:832
	v_fma_f64 v[160:161], v[160:161], v[22:23], v[174:175]
	v_fma_f64 v[158:159], v[158:159], v[22:23], -v[24:25]
	scratch_load_b128 v[22:25], off, off offset:368
	v_add_f64 v[170:171], v[170:171], v[178:179]
	v_add_f64 v[172:173], v[172:173], v[176:177]
	v_fma_f64 v[176:177], v[4:5], v[26:27], v[180:181]
	v_fma_f64 v[178:179], v[2:3], v[26:27], -v[28:29]
	scratch_load_b128 v[26:29], off, off offset:384
	ds_load_b128 v[2:5], v1 offset:848
	s_waitcnt vmcnt(10) lgkmcnt(1)
	v_mul_f64 v[174:175], v[166:167], v[32:33]
	v_mul_f64 v[32:33], v[168:169], v[32:33]
	s_waitcnt vmcnt(9) lgkmcnt(0)
	v_mul_f64 v[180:181], v[2:3], v[36:37]
	v_mul_f64 v[36:37], v[4:5], v[36:37]
	v_add_f64 v[170:171], v[170:171], v[158:159]
	v_add_f64 v[172:173], v[172:173], v[160:161]
	ds_load_b128 v[158:161], v1 offset:864
	v_fma_f64 v[168:169], v[168:169], v[30:31], v[174:175]
	v_fma_f64 v[166:167], v[166:167], v[30:31], -v[32:33]
	scratch_load_b128 v[30:33], off, off offset:400
	v_add_f64 v[170:171], v[170:171], v[178:179]
	v_add_f64 v[172:173], v[172:173], v[176:177]
	v_fma_f64 v[178:179], v[4:5], v[34:35], v[180:181]
	v_fma_f64 v[180:181], v[2:3], v[34:35], -v[36:37]
	scratch_load_b128 v[34:37], off, off offset:416
	ds_load_b128 v[2:5], v1 offset:880
	s_waitcnt vmcnt(9) lgkmcnt(1)
	v_mul_f64 v[174:175], v[158:159], v[164:165]
	v_mul_f64 v[176:177], v[160:161], v[164:165]
	v_add_f64 v[170:171], v[170:171], v[166:167]
	v_add_f64 v[168:169], v[172:173], v[168:169]
	ds_load_b128 v[164:167], v1 offset:896
	v_fma_f64 v[174:175], v[160:161], v[162:163], v[174:175]
	v_fma_f64 v[162:163], v[158:159], v[162:163], -v[176:177]
	scratch_load_b128 v[158:161], off, off offset:432
	s_waitcnt vmcnt(9) lgkmcnt(1)
	v_mul_f64 v[172:173], v[2:3], v[40:41]
	v_mul_f64 v[40:41], v[4:5], v[40:41]
	v_add_f64 v[170:171], v[170:171], v[180:181]
	v_add_f64 v[168:169], v[168:169], v[178:179]
	s_delay_alu instid0(VALU_DEP_4) | instskip(NEXT) | instid1(VALU_DEP_4)
	v_fma_f64 v[172:173], v[4:5], v[38:39], v[172:173]
	v_fma_f64 v[178:179], v[2:3], v[38:39], -v[40:41]
	scratch_load_b128 v[38:41], off, off offset:448
	ds_load_b128 v[2:5], v1 offset:912
	s_waitcnt vmcnt(9) lgkmcnt(1)
	v_mul_f64 v[176:177], v[164:165], v[8:9]
	v_mul_f64 v[8:9], v[166:167], v[8:9]
	s_waitcnt vmcnt(8) lgkmcnt(0)
	v_mul_f64 v[180:181], v[2:3], v[12:13]
	v_mul_f64 v[12:13], v[4:5], v[12:13]
	v_add_f64 v[162:163], v[170:171], v[162:163]
	v_add_f64 v[174:175], v[168:169], v[174:175]
	ds_load_b128 v[168:171], v1 offset:928
	v_fma_f64 v[166:167], v[166:167], v[6:7], v[176:177]
	v_fma_f64 v[164:165], v[164:165], v[6:7], -v[8:9]
	scratch_load_b128 v[6:9], off, off offset:464
	v_fma_f64 v[176:177], v[4:5], v[10:11], v[180:181]
	v_add_f64 v[162:163], v[162:163], v[178:179]
	v_add_f64 v[172:173], v[174:175], v[172:173]
	v_fma_f64 v[178:179], v[2:3], v[10:11], -v[12:13]
	scratch_load_b128 v[10:13], off, off offset:480
	ds_load_b128 v[2:5], v1 offset:944
	s_waitcnt vmcnt(9) lgkmcnt(1)
	v_mul_f64 v[174:175], v[168:169], v[16:17]
	v_mul_f64 v[16:17], v[170:171], v[16:17]
	v_add_f64 v[180:181], v[162:163], v[164:165]
	v_add_f64 v[166:167], v[172:173], v[166:167]
	s_waitcnt vmcnt(8) lgkmcnt(0)
	v_mul_f64 v[172:173], v[2:3], v[20:21]
	v_mul_f64 v[20:21], v[4:5], v[20:21]
	ds_load_b128 v[162:165], v1 offset:960
	v_fma_f64 v[170:171], v[170:171], v[14:15], v[174:175]
	v_fma_f64 v[168:169], v[168:169], v[14:15], -v[16:17]
	scratch_load_b128 v[14:17], off, off offset:496
	v_add_f64 v[174:175], v[180:181], v[178:179]
	v_add_f64 v[166:167], v[166:167], v[176:177]
	v_fma_f64 v[172:173], v[4:5], v[18:19], v[172:173]
	v_fma_f64 v[178:179], v[2:3], v[18:19], -v[20:21]
	scratch_load_b128 v[18:21], off, off offset:512
	ds_load_b128 v[2:5], v1 offset:976
	s_waitcnt vmcnt(9) lgkmcnt(1)
	v_mul_f64 v[176:177], v[162:163], v[24:25]
	v_mul_f64 v[24:25], v[164:165], v[24:25]
	s_waitcnt vmcnt(8) lgkmcnt(0)
	v_mul_f64 v[180:181], v[2:3], v[28:29]
	v_mul_f64 v[28:29], v[4:5], v[28:29]
	v_add_f64 v[174:175], v[174:175], v[168:169]
	v_add_f64 v[170:171], v[166:167], v[170:171]
	ds_load_b128 v[166:169], v1 offset:992
	v_fma_f64 v[164:165], v[164:165], v[22:23], v[176:177]
	v_fma_f64 v[162:163], v[162:163], v[22:23], -v[24:25]
	scratch_load_b128 v[22:25], off, off offset:528
	v_fma_f64 v[176:177], v[4:5], v[26:27], v[180:181]
	v_add_f64 v[174:175], v[174:175], v[178:179]
	v_add_f64 v[170:171], v[170:171], v[172:173]
	v_fma_f64 v[178:179], v[2:3], v[26:27], -v[28:29]
	scratch_load_b128 v[26:29], off, off offset:544
	ds_load_b128 v[2:5], v1 offset:1008
	s_waitcnt vmcnt(9) lgkmcnt(1)
	v_mul_f64 v[172:173], v[166:167], v[32:33]
	v_mul_f64 v[32:33], v[168:169], v[32:33]
	s_waitcnt vmcnt(8) lgkmcnt(0)
	v_mul_f64 v[180:181], v[2:3], v[36:37]
	v_mul_f64 v[36:37], v[4:5], v[36:37]
	v_add_f64 v[174:175], v[174:175], v[162:163]
	v_add_f64 v[170:171], v[170:171], v[164:165]
	ds_load_b128 v[162:165], v1 offset:1024
	v_fma_f64 v[168:169], v[168:169], v[30:31], v[172:173]
	v_fma_f64 v[166:167], v[166:167], v[30:31], -v[32:33]
	scratch_load_b128 v[30:33], off, off offset:560
	v_add_f64 v[172:173], v[174:175], v[178:179]
	v_add_f64 v[170:171], v[170:171], v[176:177]
	v_fma_f64 v[176:177], v[4:5], v[34:35], v[180:181]
	v_fma_f64 v[178:179], v[2:3], v[34:35], -v[36:37]
	scratch_load_b128 v[34:37], off, off offset:576
	ds_load_b128 v[2:5], v1 offset:1040
	s_waitcnt vmcnt(9) lgkmcnt(1)
	v_mul_f64 v[174:175], v[162:163], v[160:161]
	v_mul_f64 v[160:161], v[164:165], v[160:161]
	s_waitcnt vmcnt(8) lgkmcnt(0)
	v_mul_f64 v[180:181], v[2:3], v[40:41]
	v_mul_f64 v[40:41], v[4:5], v[40:41]
	v_add_f64 v[172:173], v[172:173], v[166:167]
	v_add_f64 v[170:171], v[170:171], v[168:169]
	ds_load_b128 v[166:169], v1 offset:1056
	v_fma_f64 v[164:165], v[164:165], v[158:159], v[174:175]
	v_fma_f64 v[158:159], v[162:163], v[158:159], -v[160:161]
	v_fma_f64 v[174:175], v[2:3], v[38:39], -v[40:41]
	v_add_f64 v[160:161], v[172:173], v[178:179]
	v_add_f64 v[162:163], v[170:171], v[176:177]
	s_waitcnt vmcnt(7) lgkmcnt(0)
	v_mul_f64 v[170:171], v[166:167], v[8:9]
	v_mul_f64 v[8:9], v[168:169], v[8:9]
	v_fma_f64 v[172:173], v[4:5], v[38:39], v[180:181]
	ds_load_b128 v[2:5], v1 offset:1072
	ds_load_b128 v[38:41], v1 offset:1088
	v_add_f64 v[158:159], v[160:161], v[158:159]
	v_add_f64 v[160:161], v[162:163], v[164:165]
	s_waitcnt vmcnt(6) lgkmcnt(1)
	v_mul_f64 v[162:163], v[2:3], v[12:13]
	v_mul_f64 v[12:13], v[4:5], v[12:13]
	v_fma_f64 v[164:165], v[168:169], v[6:7], v[170:171]
	v_fma_f64 v[6:7], v[166:167], v[6:7], -v[8:9]
	v_add_f64 v[8:9], v[158:159], v[174:175]
	v_add_f64 v[158:159], v[160:161], v[172:173]
	s_waitcnt vmcnt(5) lgkmcnt(0)
	v_mul_f64 v[160:161], v[38:39], v[16:17]
	v_mul_f64 v[16:17], v[40:41], v[16:17]
	v_fma_f64 v[162:163], v[4:5], v[10:11], v[162:163]
	v_fma_f64 v[10:11], v[2:3], v[10:11], -v[12:13]
	v_add_f64 v[12:13], v[8:9], v[6:7]
	v_add_f64 v[158:159], v[158:159], v[164:165]
	ds_load_b128 v[2:5], v1 offset:1104
	ds_load_b128 v[6:9], v1 offset:1120
	v_fma_f64 v[40:41], v[40:41], v[14:15], v[160:161]
	v_fma_f64 v[14:15], v[38:39], v[14:15], -v[16:17]
	s_waitcnt vmcnt(4) lgkmcnt(1)
	v_mul_f64 v[164:165], v[2:3], v[20:21]
	v_mul_f64 v[20:21], v[4:5], v[20:21]
	s_waitcnt vmcnt(3) lgkmcnt(0)
	v_mul_f64 v[16:17], v[6:7], v[24:25]
	v_mul_f64 v[24:25], v[8:9], v[24:25]
	v_add_f64 v[10:11], v[12:13], v[10:11]
	v_add_f64 v[12:13], v[158:159], v[162:163]
	v_fma_f64 v[38:39], v[4:5], v[18:19], v[164:165]
	v_fma_f64 v[18:19], v[2:3], v[18:19], -v[20:21]
	v_fma_f64 v[8:9], v[8:9], v[22:23], v[16:17]
	v_fma_f64 v[6:7], v[6:7], v[22:23], -v[24:25]
	v_add_f64 v[14:15], v[10:11], v[14:15]
	v_add_f64 v[20:21], v[12:13], v[40:41]
	ds_load_b128 v[2:5], v1 offset:1136
	ds_load_b128 v[10:13], v1 offset:1152
	s_waitcnt vmcnt(2) lgkmcnt(1)
	v_mul_f64 v[40:41], v[2:3], v[28:29]
	v_mul_f64 v[28:29], v[4:5], v[28:29]
	v_add_f64 v[14:15], v[14:15], v[18:19]
	v_add_f64 v[16:17], v[20:21], v[38:39]
	s_waitcnt vmcnt(1) lgkmcnt(0)
	v_mul_f64 v[18:19], v[10:11], v[32:33]
	v_mul_f64 v[20:21], v[12:13], v[32:33]
	v_fma_f64 v[22:23], v[4:5], v[26:27], v[40:41]
	v_fma_f64 v[24:25], v[2:3], v[26:27], -v[28:29]
	ds_load_b128 v[2:5], v1 offset:1168
	v_add_f64 v[6:7], v[14:15], v[6:7]
	v_add_f64 v[8:9], v[16:17], v[8:9]
	v_fma_f64 v[12:13], v[12:13], v[30:31], v[18:19]
	v_fma_f64 v[10:11], v[10:11], v[30:31], -v[20:21]
	s_waitcnt vmcnt(0) lgkmcnt(0)
	v_mul_f64 v[14:15], v[2:3], v[36:37]
	v_mul_f64 v[16:17], v[4:5], v[36:37]
	v_add_f64 v[6:7], v[6:7], v[24:25]
	v_add_f64 v[8:9], v[8:9], v[22:23]
	s_delay_alu instid0(VALU_DEP_4) | instskip(NEXT) | instid1(VALU_DEP_4)
	v_fma_f64 v[4:5], v[4:5], v[34:35], v[14:15]
	v_fma_f64 v[2:3], v[2:3], v[34:35], -v[16:17]
	s_delay_alu instid0(VALU_DEP_4) | instskip(NEXT) | instid1(VALU_DEP_4)
	v_add_f64 v[6:7], v[6:7], v[10:11]
	v_add_f64 v[8:9], v[8:9], v[12:13]
	s_delay_alu instid0(VALU_DEP_2) | instskip(NEXT) | instid1(VALU_DEP_2)
	v_add_f64 v[2:3], v[6:7], v[2:3]
	v_add_f64 v[4:5], v[8:9], v[4:5]
	s_delay_alu instid0(VALU_DEP_2) | instskip(NEXT) | instid1(VALU_DEP_2)
	v_add_f64 v[2:3], v[42:43], -v[2:3]
	v_add_f64 v[4:5], v[44:45], -v[4:5]
	scratch_store_b128 off, v[2:5], off offset:112
	v_cmpx_lt_u32_e32 6, v120
	s_cbranch_execz .LBB100_223
; %bb.222:
	scratch_load_b128 v[5:8], v151, off
	v_mov_b32_e32 v2, v1
	v_mov_b32_e32 v3, v1
	;; [unrolled: 1-line block ×3, first 2 shown]
	scratch_store_b128 off, v[1:4], off offset:96
	s_waitcnt vmcnt(0)
	ds_store_b128 v157, v[5:8]
.LBB100_223:
	s_or_b32 exec_lo, exec_lo, s2
	s_waitcnt lgkmcnt(0)
	s_waitcnt_vscnt null, 0x0
	s_barrier
	buffer_gl0_inv
	s_clause 0x8
	scratch_load_b128 v[2:5], off, off offset:112
	scratch_load_b128 v[6:9], off, off offset:128
	;; [unrolled: 1-line block ×9, first 2 shown]
	ds_load_b128 v[42:45], v1 offset:704
	ds_load_b128 v[38:41], v1 offset:720
	s_clause 0x1
	scratch_load_b128 v[158:161], off, off offset:96
	scratch_load_b128 v[162:165], off, off offset:256
	s_mov_b32 s2, exec_lo
	s_waitcnt vmcnt(10) lgkmcnt(1)
	v_mul_f64 v[166:167], v[44:45], v[4:5]
	v_mul_f64 v[4:5], v[42:43], v[4:5]
	s_waitcnt vmcnt(9) lgkmcnt(0)
	v_mul_f64 v[170:171], v[38:39], v[8:9]
	v_mul_f64 v[8:9], v[40:41], v[8:9]
	s_delay_alu instid0(VALU_DEP_4) | instskip(NEXT) | instid1(VALU_DEP_4)
	v_fma_f64 v[172:173], v[42:43], v[2:3], -v[166:167]
	v_fma_f64 v[174:175], v[44:45], v[2:3], v[4:5]
	ds_load_b128 v[2:5], v1 offset:736
	ds_load_b128 v[166:169], v1 offset:752
	scratch_load_b128 v[42:45], off, off offset:272
	v_fma_f64 v[40:41], v[40:41], v[6:7], v[170:171]
	v_fma_f64 v[38:39], v[38:39], v[6:7], -v[8:9]
	scratch_load_b128 v[6:9], off, off offset:288
	s_waitcnt vmcnt(10) lgkmcnt(1)
	v_mul_f64 v[176:177], v[2:3], v[12:13]
	v_mul_f64 v[12:13], v[4:5], v[12:13]
	v_add_f64 v[170:171], v[172:173], 0
	v_add_f64 v[172:173], v[174:175], 0
	s_waitcnt vmcnt(9) lgkmcnt(0)
	v_mul_f64 v[174:175], v[166:167], v[16:17]
	v_mul_f64 v[16:17], v[168:169], v[16:17]
	v_fma_f64 v[176:177], v[4:5], v[10:11], v[176:177]
	v_fma_f64 v[178:179], v[2:3], v[10:11], -v[12:13]
	ds_load_b128 v[2:5], v1 offset:768
	scratch_load_b128 v[10:13], off, off offset:304
	v_add_f64 v[170:171], v[170:171], v[38:39]
	v_add_f64 v[172:173], v[172:173], v[40:41]
	ds_load_b128 v[38:41], v1 offset:784
	v_fma_f64 v[168:169], v[168:169], v[14:15], v[174:175]
	v_fma_f64 v[166:167], v[166:167], v[14:15], -v[16:17]
	scratch_load_b128 v[14:17], off, off offset:320
	s_waitcnt vmcnt(10) lgkmcnt(1)
	v_mul_f64 v[180:181], v[2:3], v[20:21]
	v_mul_f64 v[20:21], v[4:5], v[20:21]
	s_waitcnt vmcnt(9) lgkmcnt(0)
	v_mul_f64 v[174:175], v[38:39], v[24:25]
	v_mul_f64 v[24:25], v[40:41], v[24:25]
	v_add_f64 v[170:171], v[170:171], v[178:179]
	v_add_f64 v[172:173], v[172:173], v[176:177]
	v_fma_f64 v[176:177], v[4:5], v[18:19], v[180:181]
	v_fma_f64 v[178:179], v[2:3], v[18:19], -v[20:21]
	ds_load_b128 v[2:5], v1 offset:800
	scratch_load_b128 v[18:21], off, off offset:336
	v_fma_f64 v[40:41], v[40:41], v[22:23], v[174:175]
	v_fma_f64 v[38:39], v[38:39], v[22:23], -v[24:25]
	scratch_load_b128 v[22:25], off, off offset:352
	v_add_f64 v[170:171], v[170:171], v[166:167]
	v_add_f64 v[172:173], v[172:173], v[168:169]
	ds_load_b128 v[166:169], v1 offset:816
	s_waitcnt vmcnt(10) lgkmcnt(1)
	v_mul_f64 v[180:181], v[2:3], v[28:29]
	v_mul_f64 v[28:29], v[4:5], v[28:29]
	s_waitcnt vmcnt(9) lgkmcnt(0)
	v_mul_f64 v[174:175], v[166:167], v[32:33]
	v_mul_f64 v[32:33], v[168:169], v[32:33]
	v_add_f64 v[170:171], v[170:171], v[178:179]
	v_add_f64 v[172:173], v[172:173], v[176:177]
	v_fma_f64 v[176:177], v[4:5], v[26:27], v[180:181]
	v_fma_f64 v[178:179], v[2:3], v[26:27], -v[28:29]
	ds_load_b128 v[2:5], v1 offset:832
	scratch_load_b128 v[26:29], off, off offset:368
	v_fma_f64 v[168:169], v[168:169], v[30:31], v[174:175]
	v_fma_f64 v[166:167], v[166:167], v[30:31], -v[32:33]
	scratch_load_b128 v[30:33], off, off offset:384
	v_add_f64 v[170:171], v[170:171], v[38:39]
	v_add_f64 v[172:173], v[172:173], v[40:41]
	ds_load_b128 v[38:41], v1 offset:848
	s_waitcnt vmcnt(10) lgkmcnt(1)
	v_mul_f64 v[180:181], v[2:3], v[36:37]
	v_mul_f64 v[36:37], v[4:5], v[36:37]
	s_waitcnt vmcnt(8) lgkmcnt(0)
	v_mul_f64 v[174:175], v[38:39], v[164:165]
	v_add_f64 v[170:171], v[170:171], v[178:179]
	v_add_f64 v[172:173], v[172:173], v[176:177]
	v_mul_f64 v[176:177], v[40:41], v[164:165]
	v_fma_f64 v[178:179], v[4:5], v[34:35], v[180:181]
	v_fma_f64 v[180:181], v[2:3], v[34:35], -v[36:37]
	ds_load_b128 v[2:5], v1 offset:864
	scratch_load_b128 v[34:37], off, off offset:400
	v_fma_f64 v[174:175], v[40:41], v[162:163], v[174:175]
	v_add_f64 v[170:171], v[170:171], v[166:167]
	v_add_f64 v[168:169], v[172:173], v[168:169]
	ds_load_b128 v[164:167], v1 offset:880
	v_fma_f64 v[162:163], v[38:39], v[162:163], -v[176:177]
	scratch_load_b128 v[38:41], off, off offset:416
	s_waitcnt vmcnt(9) lgkmcnt(1)
	v_mul_f64 v[172:173], v[2:3], v[44:45]
	v_mul_f64 v[44:45], v[4:5], v[44:45]
	s_waitcnt vmcnt(8) lgkmcnt(0)
	v_mul_f64 v[176:177], v[164:165], v[8:9]
	v_mul_f64 v[8:9], v[166:167], v[8:9]
	v_add_f64 v[170:171], v[170:171], v[180:181]
	v_add_f64 v[168:169], v[168:169], v[178:179]
	v_fma_f64 v[172:173], v[4:5], v[42:43], v[172:173]
	v_fma_f64 v[178:179], v[2:3], v[42:43], -v[44:45]
	ds_load_b128 v[2:5], v1 offset:896
	scratch_load_b128 v[42:45], off, off offset:432
	v_fma_f64 v[166:167], v[166:167], v[6:7], v[176:177]
	v_fma_f64 v[164:165], v[164:165], v[6:7], -v[8:9]
	scratch_load_b128 v[6:9], off, off offset:448
	v_add_f64 v[162:163], v[170:171], v[162:163]
	v_add_f64 v[174:175], v[168:169], v[174:175]
	ds_load_b128 v[168:171], v1 offset:912
	s_waitcnt vmcnt(9) lgkmcnt(1)
	v_mul_f64 v[180:181], v[2:3], v[12:13]
	v_mul_f64 v[12:13], v[4:5], v[12:13]
	v_add_f64 v[162:163], v[162:163], v[178:179]
	v_add_f64 v[172:173], v[174:175], v[172:173]
	s_waitcnt vmcnt(8) lgkmcnt(0)
	v_mul_f64 v[174:175], v[168:169], v[16:17]
	v_mul_f64 v[16:17], v[170:171], v[16:17]
	v_fma_f64 v[176:177], v[4:5], v[10:11], v[180:181]
	v_fma_f64 v[178:179], v[2:3], v[10:11], -v[12:13]
	ds_load_b128 v[2:5], v1 offset:928
	scratch_load_b128 v[10:13], off, off offset:464
	v_add_f64 v[180:181], v[162:163], v[164:165]
	v_add_f64 v[166:167], v[172:173], v[166:167]
	ds_load_b128 v[162:165], v1 offset:944
	s_waitcnt vmcnt(8) lgkmcnt(1)
	v_mul_f64 v[172:173], v[2:3], v[20:21]
	v_mul_f64 v[20:21], v[4:5], v[20:21]
	v_fma_f64 v[170:171], v[170:171], v[14:15], v[174:175]
	v_fma_f64 v[168:169], v[168:169], v[14:15], -v[16:17]
	scratch_load_b128 v[14:17], off, off offset:480
	v_add_f64 v[174:175], v[180:181], v[178:179]
	v_add_f64 v[166:167], v[166:167], v[176:177]
	s_waitcnt vmcnt(8) lgkmcnt(0)
	v_mul_f64 v[176:177], v[162:163], v[24:25]
	v_mul_f64 v[24:25], v[164:165], v[24:25]
	v_fma_f64 v[172:173], v[4:5], v[18:19], v[172:173]
	v_fma_f64 v[178:179], v[2:3], v[18:19], -v[20:21]
	ds_load_b128 v[2:5], v1 offset:960
	scratch_load_b128 v[18:21], off, off offset:496
	v_add_f64 v[174:175], v[174:175], v[168:169]
	v_add_f64 v[170:171], v[166:167], v[170:171]
	ds_load_b128 v[166:169], v1 offset:976
	s_waitcnt vmcnt(8) lgkmcnt(1)
	v_mul_f64 v[180:181], v[2:3], v[28:29]
	v_mul_f64 v[28:29], v[4:5], v[28:29]
	v_fma_f64 v[164:165], v[164:165], v[22:23], v[176:177]
	v_fma_f64 v[162:163], v[162:163], v[22:23], -v[24:25]
	scratch_load_b128 v[22:25], off, off offset:512
	;; [unrolled: 18-line block ×4, first 2 shown]
	s_waitcnt vmcnt(8) lgkmcnt(0)
	v_mul_f64 v[174:175], v[166:167], v[8:9]
	v_mul_f64 v[8:9], v[168:169], v[8:9]
	v_add_f64 v[172:173], v[172:173], v[178:179]
	v_add_f64 v[170:171], v[170:171], v[176:177]
	v_fma_f64 v[176:177], v[4:5], v[42:43], v[180:181]
	v_fma_f64 v[178:179], v[2:3], v[42:43], -v[44:45]
	ds_load_b128 v[2:5], v1 offset:1056
	ds_load_b128 v[42:45], v1 offset:1072
	v_fma_f64 v[168:169], v[168:169], v[6:7], v[174:175]
	v_fma_f64 v[6:7], v[166:167], v[6:7], -v[8:9]
	v_add_f64 v[162:163], v[172:173], v[162:163]
	v_add_f64 v[164:165], v[170:171], v[164:165]
	s_waitcnt vmcnt(7) lgkmcnt(1)
	v_mul_f64 v[170:171], v[2:3], v[12:13]
	v_mul_f64 v[12:13], v[4:5], v[12:13]
	s_delay_alu instid0(VALU_DEP_4) | instskip(NEXT) | instid1(VALU_DEP_4)
	v_add_f64 v[8:9], v[162:163], v[178:179]
	v_add_f64 v[162:163], v[164:165], v[176:177]
	s_waitcnt vmcnt(6) lgkmcnt(0)
	v_mul_f64 v[164:165], v[42:43], v[16:17]
	v_mul_f64 v[16:17], v[44:45], v[16:17]
	v_fma_f64 v[166:167], v[4:5], v[10:11], v[170:171]
	v_fma_f64 v[10:11], v[2:3], v[10:11], -v[12:13]
	v_add_f64 v[12:13], v[8:9], v[6:7]
	v_add_f64 v[162:163], v[162:163], v[168:169]
	ds_load_b128 v[2:5], v1 offset:1088
	ds_load_b128 v[6:9], v1 offset:1104
	v_fma_f64 v[44:45], v[44:45], v[14:15], v[164:165]
	v_fma_f64 v[14:15], v[42:43], v[14:15], -v[16:17]
	s_waitcnt vmcnt(5) lgkmcnt(1)
	v_mul_f64 v[168:169], v[2:3], v[20:21]
	v_mul_f64 v[20:21], v[4:5], v[20:21]
	s_waitcnt vmcnt(4) lgkmcnt(0)
	v_mul_f64 v[16:17], v[6:7], v[24:25]
	v_mul_f64 v[24:25], v[8:9], v[24:25]
	v_add_f64 v[10:11], v[12:13], v[10:11]
	v_add_f64 v[12:13], v[162:163], v[166:167]
	v_fma_f64 v[42:43], v[4:5], v[18:19], v[168:169]
	v_fma_f64 v[18:19], v[2:3], v[18:19], -v[20:21]
	v_fma_f64 v[8:9], v[8:9], v[22:23], v[16:17]
	v_fma_f64 v[6:7], v[6:7], v[22:23], -v[24:25]
	v_add_f64 v[14:15], v[10:11], v[14:15]
	v_add_f64 v[20:21], v[12:13], v[44:45]
	ds_load_b128 v[2:5], v1 offset:1120
	ds_load_b128 v[10:13], v1 offset:1136
	s_waitcnt vmcnt(3) lgkmcnt(1)
	v_mul_f64 v[44:45], v[2:3], v[28:29]
	v_mul_f64 v[28:29], v[4:5], v[28:29]
	v_add_f64 v[14:15], v[14:15], v[18:19]
	v_add_f64 v[16:17], v[20:21], v[42:43]
	s_waitcnt vmcnt(2) lgkmcnt(0)
	v_mul_f64 v[18:19], v[10:11], v[32:33]
	v_mul_f64 v[20:21], v[12:13], v[32:33]
	v_fma_f64 v[22:23], v[4:5], v[26:27], v[44:45]
	v_fma_f64 v[24:25], v[2:3], v[26:27], -v[28:29]
	v_add_f64 v[14:15], v[14:15], v[6:7]
	v_add_f64 v[16:17], v[16:17], v[8:9]
	ds_load_b128 v[2:5], v1 offset:1152
	ds_load_b128 v[6:9], v1 offset:1168
	v_fma_f64 v[12:13], v[12:13], v[30:31], v[18:19]
	v_fma_f64 v[10:11], v[10:11], v[30:31], -v[20:21]
	s_waitcnt vmcnt(1) lgkmcnt(1)
	v_mul_f64 v[26:27], v[2:3], v[36:37]
	v_mul_f64 v[28:29], v[4:5], v[36:37]
	s_waitcnt vmcnt(0) lgkmcnt(0)
	v_mul_f64 v[18:19], v[6:7], v[40:41]
	v_mul_f64 v[20:21], v[8:9], v[40:41]
	v_add_f64 v[14:15], v[14:15], v[24:25]
	v_add_f64 v[16:17], v[16:17], v[22:23]
	v_fma_f64 v[4:5], v[4:5], v[34:35], v[26:27]
	v_fma_f64 v[1:2], v[2:3], v[34:35], -v[28:29]
	v_fma_f64 v[8:9], v[8:9], v[38:39], v[18:19]
	v_fma_f64 v[6:7], v[6:7], v[38:39], -v[20:21]
	v_add_f64 v[10:11], v[14:15], v[10:11]
	v_add_f64 v[12:13], v[16:17], v[12:13]
	s_delay_alu instid0(VALU_DEP_2) | instskip(NEXT) | instid1(VALU_DEP_2)
	v_add_f64 v[1:2], v[10:11], v[1:2]
	v_add_f64 v[3:4], v[12:13], v[4:5]
	s_delay_alu instid0(VALU_DEP_2) | instskip(NEXT) | instid1(VALU_DEP_2)
	;; [unrolled: 3-line block ×3, first 2 shown]
	v_add_f64 v[1:2], v[158:159], -v[1:2]
	v_add_f64 v[3:4], v[160:161], -v[3:4]
	scratch_store_b128 off, v[1:4], off offset:96
	v_cmpx_lt_u32_e32 5, v120
	s_cbranch_execz .LBB100_225
; %bb.224:
	scratch_load_b128 v[1:4], v152, off
	v_mov_b32_e32 v5, 0
	s_delay_alu instid0(VALU_DEP_1)
	v_mov_b32_e32 v6, v5
	v_mov_b32_e32 v7, v5
	;; [unrolled: 1-line block ×3, first 2 shown]
	scratch_store_b128 off, v[5:8], off offset:80
	s_waitcnt vmcnt(0)
	ds_store_b128 v157, v[1:4]
.LBB100_225:
	s_or_b32 exec_lo, exec_lo, s2
	s_waitcnt lgkmcnt(0)
	s_waitcnt_vscnt null, 0x0
	s_barrier
	buffer_gl0_inv
	s_clause 0x7
	scratch_load_b128 v[2:5], off, off offset:96
	scratch_load_b128 v[6:9], off, off offset:112
	scratch_load_b128 v[10:13], off, off offset:128
	scratch_load_b128 v[14:17], off, off offset:144
	scratch_load_b128 v[18:21], off, off offset:160
	scratch_load_b128 v[22:25], off, off offset:176
	scratch_load_b128 v[26:29], off, off offset:192
	scratch_load_b128 v[30:33], off, off offset:208
	v_mov_b32_e32 v1, 0
	s_mov_b32 s2, exec_lo
	ds_load_b128 v[38:41], v1 offset:688
	s_clause 0x1
	scratch_load_b128 v[34:37], off, off offset:224
	scratch_load_b128 v[42:45], off, off offset:80
	ds_load_b128 v[158:161], v1 offset:704
	scratch_load_b128 v[162:165], off, off offset:240
	s_waitcnt vmcnt(10) lgkmcnt(1)
	v_mul_f64 v[166:167], v[40:41], v[4:5]
	v_mul_f64 v[4:5], v[38:39], v[4:5]
	s_delay_alu instid0(VALU_DEP_2) | instskip(NEXT) | instid1(VALU_DEP_2)
	v_fma_f64 v[172:173], v[38:39], v[2:3], -v[166:167]
	v_fma_f64 v[174:175], v[40:41], v[2:3], v[4:5]
	scratch_load_b128 v[38:41], off, off offset:256
	ds_load_b128 v[2:5], v1 offset:720
	s_waitcnt vmcnt(10) lgkmcnt(1)
	v_mul_f64 v[170:171], v[158:159], v[8:9]
	v_mul_f64 v[8:9], v[160:161], v[8:9]
	ds_load_b128 v[166:169], v1 offset:736
	s_waitcnt vmcnt(9) lgkmcnt(1)
	v_mul_f64 v[176:177], v[2:3], v[12:13]
	v_mul_f64 v[12:13], v[4:5], v[12:13]
	v_fma_f64 v[160:161], v[160:161], v[6:7], v[170:171]
	v_fma_f64 v[158:159], v[158:159], v[6:7], -v[8:9]
	v_add_f64 v[170:171], v[172:173], 0
	v_add_f64 v[172:173], v[174:175], 0
	scratch_load_b128 v[6:9], off, off offset:272
	v_fma_f64 v[176:177], v[4:5], v[10:11], v[176:177]
	v_fma_f64 v[178:179], v[2:3], v[10:11], -v[12:13]
	scratch_load_b128 v[10:13], off, off offset:288
	ds_load_b128 v[2:5], v1 offset:752
	s_waitcnt vmcnt(10) lgkmcnt(1)
	v_mul_f64 v[174:175], v[166:167], v[16:17]
	v_mul_f64 v[16:17], v[168:169], v[16:17]
	v_add_f64 v[170:171], v[170:171], v[158:159]
	v_add_f64 v[172:173], v[172:173], v[160:161]
	s_waitcnt vmcnt(9) lgkmcnt(0)
	v_mul_f64 v[180:181], v[2:3], v[20:21]
	v_mul_f64 v[20:21], v[4:5], v[20:21]
	ds_load_b128 v[158:161], v1 offset:768
	v_fma_f64 v[168:169], v[168:169], v[14:15], v[174:175]
	v_fma_f64 v[166:167], v[166:167], v[14:15], -v[16:17]
	scratch_load_b128 v[14:17], off, off offset:304
	v_add_f64 v[170:171], v[170:171], v[178:179]
	v_add_f64 v[172:173], v[172:173], v[176:177]
	v_fma_f64 v[176:177], v[4:5], v[18:19], v[180:181]
	v_fma_f64 v[178:179], v[2:3], v[18:19], -v[20:21]
	scratch_load_b128 v[18:21], off, off offset:320
	ds_load_b128 v[2:5], v1 offset:784
	s_waitcnt vmcnt(10) lgkmcnt(1)
	v_mul_f64 v[174:175], v[158:159], v[24:25]
	v_mul_f64 v[24:25], v[160:161], v[24:25]
	s_waitcnt vmcnt(9) lgkmcnt(0)
	v_mul_f64 v[180:181], v[2:3], v[28:29]
	v_mul_f64 v[28:29], v[4:5], v[28:29]
	v_add_f64 v[170:171], v[170:171], v[166:167]
	v_add_f64 v[172:173], v[172:173], v[168:169]
	ds_load_b128 v[166:169], v1 offset:800
	v_fma_f64 v[160:161], v[160:161], v[22:23], v[174:175]
	v_fma_f64 v[158:159], v[158:159], v[22:23], -v[24:25]
	scratch_load_b128 v[22:25], off, off offset:336
	v_add_f64 v[170:171], v[170:171], v[178:179]
	v_add_f64 v[172:173], v[172:173], v[176:177]
	v_fma_f64 v[176:177], v[4:5], v[26:27], v[180:181]
	v_fma_f64 v[178:179], v[2:3], v[26:27], -v[28:29]
	scratch_load_b128 v[26:29], off, off offset:352
	ds_load_b128 v[2:5], v1 offset:816
	s_waitcnt vmcnt(10) lgkmcnt(1)
	v_mul_f64 v[174:175], v[166:167], v[32:33]
	v_mul_f64 v[32:33], v[168:169], v[32:33]
	s_waitcnt vmcnt(9) lgkmcnt(0)
	v_mul_f64 v[180:181], v[2:3], v[36:37]
	v_mul_f64 v[36:37], v[4:5], v[36:37]
	v_add_f64 v[170:171], v[170:171], v[158:159]
	v_add_f64 v[172:173], v[172:173], v[160:161]
	ds_load_b128 v[158:161], v1 offset:832
	v_fma_f64 v[168:169], v[168:169], v[30:31], v[174:175]
	v_fma_f64 v[166:167], v[166:167], v[30:31], -v[32:33]
	scratch_load_b128 v[30:33], off, off offset:368
	v_add_f64 v[170:171], v[170:171], v[178:179]
	v_add_f64 v[172:173], v[172:173], v[176:177]
	v_fma_f64 v[178:179], v[4:5], v[34:35], v[180:181]
	v_fma_f64 v[180:181], v[2:3], v[34:35], -v[36:37]
	scratch_load_b128 v[34:37], off, off offset:384
	ds_load_b128 v[2:5], v1 offset:848
	s_waitcnt vmcnt(9) lgkmcnt(1)
	v_mul_f64 v[174:175], v[158:159], v[164:165]
	v_mul_f64 v[176:177], v[160:161], v[164:165]
	v_add_f64 v[170:171], v[170:171], v[166:167]
	v_add_f64 v[168:169], v[172:173], v[168:169]
	ds_load_b128 v[164:167], v1 offset:864
	v_fma_f64 v[174:175], v[160:161], v[162:163], v[174:175]
	v_fma_f64 v[162:163], v[158:159], v[162:163], -v[176:177]
	scratch_load_b128 v[158:161], off, off offset:400
	s_waitcnt vmcnt(9) lgkmcnt(1)
	v_mul_f64 v[172:173], v[2:3], v[40:41]
	v_mul_f64 v[40:41], v[4:5], v[40:41]
	v_add_f64 v[170:171], v[170:171], v[180:181]
	v_add_f64 v[168:169], v[168:169], v[178:179]
	s_delay_alu instid0(VALU_DEP_4) | instskip(NEXT) | instid1(VALU_DEP_4)
	v_fma_f64 v[172:173], v[4:5], v[38:39], v[172:173]
	v_fma_f64 v[178:179], v[2:3], v[38:39], -v[40:41]
	scratch_load_b128 v[38:41], off, off offset:416
	ds_load_b128 v[2:5], v1 offset:880
	s_waitcnt vmcnt(9) lgkmcnt(1)
	v_mul_f64 v[176:177], v[164:165], v[8:9]
	v_mul_f64 v[8:9], v[166:167], v[8:9]
	s_waitcnt vmcnt(8) lgkmcnt(0)
	v_mul_f64 v[180:181], v[2:3], v[12:13]
	v_mul_f64 v[12:13], v[4:5], v[12:13]
	v_add_f64 v[162:163], v[170:171], v[162:163]
	v_add_f64 v[174:175], v[168:169], v[174:175]
	ds_load_b128 v[168:171], v1 offset:896
	v_fma_f64 v[166:167], v[166:167], v[6:7], v[176:177]
	v_fma_f64 v[164:165], v[164:165], v[6:7], -v[8:9]
	scratch_load_b128 v[6:9], off, off offset:432
	v_fma_f64 v[176:177], v[4:5], v[10:11], v[180:181]
	v_add_f64 v[162:163], v[162:163], v[178:179]
	v_add_f64 v[172:173], v[174:175], v[172:173]
	v_fma_f64 v[178:179], v[2:3], v[10:11], -v[12:13]
	scratch_load_b128 v[10:13], off, off offset:448
	ds_load_b128 v[2:5], v1 offset:912
	s_waitcnt vmcnt(9) lgkmcnt(1)
	v_mul_f64 v[174:175], v[168:169], v[16:17]
	v_mul_f64 v[16:17], v[170:171], v[16:17]
	v_add_f64 v[180:181], v[162:163], v[164:165]
	v_add_f64 v[166:167], v[172:173], v[166:167]
	s_waitcnt vmcnt(8) lgkmcnt(0)
	v_mul_f64 v[172:173], v[2:3], v[20:21]
	v_mul_f64 v[20:21], v[4:5], v[20:21]
	ds_load_b128 v[162:165], v1 offset:928
	v_fma_f64 v[170:171], v[170:171], v[14:15], v[174:175]
	v_fma_f64 v[168:169], v[168:169], v[14:15], -v[16:17]
	scratch_load_b128 v[14:17], off, off offset:464
	v_add_f64 v[174:175], v[180:181], v[178:179]
	v_add_f64 v[166:167], v[166:167], v[176:177]
	v_fma_f64 v[172:173], v[4:5], v[18:19], v[172:173]
	v_fma_f64 v[178:179], v[2:3], v[18:19], -v[20:21]
	scratch_load_b128 v[18:21], off, off offset:480
	ds_load_b128 v[2:5], v1 offset:944
	s_waitcnt vmcnt(9) lgkmcnt(1)
	v_mul_f64 v[176:177], v[162:163], v[24:25]
	v_mul_f64 v[24:25], v[164:165], v[24:25]
	s_waitcnt vmcnt(8) lgkmcnt(0)
	v_mul_f64 v[180:181], v[2:3], v[28:29]
	v_mul_f64 v[28:29], v[4:5], v[28:29]
	v_add_f64 v[174:175], v[174:175], v[168:169]
	v_add_f64 v[170:171], v[166:167], v[170:171]
	ds_load_b128 v[166:169], v1 offset:960
	v_fma_f64 v[164:165], v[164:165], v[22:23], v[176:177]
	v_fma_f64 v[162:163], v[162:163], v[22:23], -v[24:25]
	scratch_load_b128 v[22:25], off, off offset:496
	v_fma_f64 v[176:177], v[4:5], v[26:27], v[180:181]
	v_add_f64 v[174:175], v[174:175], v[178:179]
	v_add_f64 v[170:171], v[170:171], v[172:173]
	v_fma_f64 v[178:179], v[2:3], v[26:27], -v[28:29]
	scratch_load_b128 v[26:29], off, off offset:512
	ds_load_b128 v[2:5], v1 offset:976
	s_waitcnt vmcnt(9) lgkmcnt(1)
	v_mul_f64 v[172:173], v[166:167], v[32:33]
	v_mul_f64 v[32:33], v[168:169], v[32:33]
	s_waitcnt vmcnt(8) lgkmcnt(0)
	v_mul_f64 v[180:181], v[2:3], v[36:37]
	v_mul_f64 v[36:37], v[4:5], v[36:37]
	v_add_f64 v[174:175], v[174:175], v[162:163]
	v_add_f64 v[170:171], v[170:171], v[164:165]
	ds_load_b128 v[162:165], v1 offset:992
	v_fma_f64 v[168:169], v[168:169], v[30:31], v[172:173]
	v_fma_f64 v[166:167], v[166:167], v[30:31], -v[32:33]
	scratch_load_b128 v[30:33], off, off offset:528
	v_add_f64 v[172:173], v[174:175], v[178:179]
	v_add_f64 v[170:171], v[170:171], v[176:177]
	v_fma_f64 v[176:177], v[4:5], v[34:35], v[180:181]
	v_fma_f64 v[178:179], v[2:3], v[34:35], -v[36:37]
	scratch_load_b128 v[34:37], off, off offset:544
	ds_load_b128 v[2:5], v1 offset:1008
	s_waitcnt vmcnt(9) lgkmcnt(1)
	v_mul_f64 v[174:175], v[162:163], v[160:161]
	v_mul_f64 v[160:161], v[164:165], v[160:161]
	s_waitcnt vmcnt(8) lgkmcnt(0)
	v_mul_f64 v[180:181], v[2:3], v[40:41]
	v_mul_f64 v[40:41], v[4:5], v[40:41]
	v_add_f64 v[172:173], v[172:173], v[166:167]
	v_add_f64 v[170:171], v[170:171], v[168:169]
	ds_load_b128 v[166:169], v1 offset:1024
	v_fma_f64 v[164:165], v[164:165], v[158:159], v[174:175]
	v_fma_f64 v[162:163], v[162:163], v[158:159], -v[160:161]
	scratch_load_b128 v[158:161], off, off offset:560
	v_add_f64 v[172:173], v[172:173], v[178:179]
	v_add_f64 v[170:171], v[170:171], v[176:177]
	v_fma_f64 v[176:177], v[4:5], v[38:39], v[180:181]
	v_fma_f64 v[178:179], v[2:3], v[38:39], -v[40:41]
	scratch_load_b128 v[38:41], off, off offset:576
	ds_load_b128 v[2:5], v1 offset:1040
	s_waitcnt vmcnt(9) lgkmcnt(1)
	v_mul_f64 v[174:175], v[166:167], v[8:9]
	v_mul_f64 v[8:9], v[168:169], v[8:9]
	s_waitcnt vmcnt(8) lgkmcnt(0)
	v_mul_f64 v[180:181], v[2:3], v[12:13]
	v_mul_f64 v[12:13], v[4:5], v[12:13]
	v_add_f64 v[172:173], v[172:173], v[162:163]
	v_add_f64 v[170:171], v[170:171], v[164:165]
	ds_load_b128 v[162:165], v1 offset:1056
	v_fma_f64 v[168:169], v[168:169], v[6:7], v[174:175]
	v_fma_f64 v[6:7], v[166:167], v[6:7], -v[8:9]
	v_add_f64 v[8:9], v[172:173], v[178:179]
	v_add_f64 v[166:167], v[170:171], v[176:177]
	s_waitcnt vmcnt(7) lgkmcnt(0)
	v_mul_f64 v[170:171], v[162:163], v[16:17]
	v_mul_f64 v[16:17], v[164:165], v[16:17]
	v_fma_f64 v[172:173], v[4:5], v[10:11], v[180:181]
	v_fma_f64 v[10:11], v[2:3], v[10:11], -v[12:13]
	v_add_f64 v[12:13], v[8:9], v[6:7]
	v_add_f64 v[166:167], v[166:167], v[168:169]
	ds_load_b128 v[2:5], v1 offset:1072
	ds_load_b128 v[6:9], v1 offset:1088
	v_fma_f64 v[164:165], v[164:165], v[14:15], v[170:171]
	v_fma_f64 v[14:15], v[162:163], v[14:15], -v[16:17]
	s_waitcnt vmcnt(6) lgkmcnt(1)
	v_mul_f64 v[168:169], v[2:3], v[20:21]
	v_mul_f64 v[20:21], v[4:5], v[20:21]
	s_waitcnt vmcnt(5) lgkmcnt(0)
	v_mul_f64 v[16:17], v[6:7], v[24:25]
	v_mul_f64 v[24:25], v[8:9], v[24:25]
	v_add_f64 v[10:11], v[12:13], v[10:11]
	v_add_f64 v[12:13], v[166:167], v[172:173]
	v_fma_f64 v[162:163], v[4:5], v[18:19], v[168:169]
	v_fma_f64 v[18:19], v[2:3], v[18:19], -v[20:21]
	v_fma_f64 v[8:9], v[8:9], v[22:23], v[16:17]
	v_fma_f64 v[6:7], v[6:7], v[22:23], -v[24:25]
	v_add_f64 v[14:15], v[10:11], v[14:15]
	v_add_f64 v[20:21], v[12:13], v[164:165]
	ds_load_b128 v[2:5], v1 offset:1104
	ds_load_b128 v[10:13], v1 offset:1120
	s_waitcnt vmcnt(4) lgkmcnt(1)
	v_mul_f64 v[164:165], v[2:3], v[28:29]
	v_mul_f64 v[28:29], v[4:5], v[28:29]
	v_add_f64 v[14:15], v[14:15], v[18:19]
	v_add_f64 v[16:17], v[20:21], v[162:163]
	s_waitcnt vmcnt(3) lgkmcnt(0)
	v_mul_f64 v[18:19], v[10:11], v[32:33]
	v_mul_f64 v[20:21], v[12:13], v[32:33]
	v_fma_f64 v[22:23], v[4:5], v[26:27], v[164:165]
	v_fma_f64 v[24:25], v[2:3], v[26:27], -v[28:29]
	v_add_f64 v[14:15], v[14:15], v[6:7]
	v_add_f64 v[16:17], v[16:17], v[8:9]
	ds_load_b128 v[2:5], v1 offset:1136
	ds_load_b128 v[6:9], v1 offset:1152
	v_fma_f64 v[12:13], v[12:13], v[30:31], v[18:19]
	v_fma_f64 v[10:11], v[10:11], v[30:31], -v[20:21]
	s_waitcnt vmcnt(2) lgkmcnt(1)
	v_mul_f64 v[26:27], v[2:3], v[36:37]
	v_mul_f64 v[28:29], v[4:5], v[36:37]
	s_waitcnt vmcnt(1) lgkmcnt(0)
	v_mul_f64 v[18:19], v[6:7], v[160:161]
	v_mul_f64 v[20:21], v[8:9], v[160:161]
	v_add_f64 v[14:15], v[14:15], v[24:25]
	v_add_f64 v[16:17], v[16:17], v[22:23]
	v_fma_f64 v[22:23], v[4:5], v[34:35], v[26:27]
	v_fma_f64 v[24:25], v[2:3], v[34:35], -v[28:29]
	ds_load_b128 v[2:5], v1 offset:1168
	v_fma_f64 v[8:9], v[8:9], v[158:159], v[18:19]
	v_fma_f64 v[6:7], v[6:7], v[158:159], -v[20:21]
	v_add_f64 v[10:11], v[14:15], v[10:11]
	v_add_f64 v[12:13], v[16:17], v[12:13]
	s_waitcnt vmcnt(0) lgkmcnt(0)
	v_mul_f64 v[14:15], v[2:3], v[40:41]
	v_mul_f64 v[16:17], v[4:5], v[40:41]
	s_delay_alu instid0(VALU_DEP_4) | instskip(NEXT) | instid1(VALU_DEP_4)
	v_add_f64 v[10:11], v[10:11], v[24:25]
	v_add_f64 v[12:13], v[12:13], v[22:23]
	s_delay_alu instid0(VALU_DEP_4) | instskip(NEXT) | instid1(VALU_DEP_4)
	v_fma_f64 v[4:5], v[4:5], v[38:39], v[14:15]
	v_fma_f64 v[2:3], v[2:3], v[38:39], -v[16:17]
	s_delay_alu instid0(VALU_DEP_4) | instskip(NEXT) | instid1(VALU_DEP_4)
	v_add_f64 v[6:7], v[10:11], v[6:7]
	v_add_f64 v[8:9], v[12:13], v[8:9]
	s_delay_alu instid0(VALU_DEP_2) | instskip(NEXT) | instid1(VALU_DEP_2)
	v_add_f64 v[2:3], v[6:7], v[2:3]
	v_add_f64 v[4:5], v[8:9], v[4:5]
	s_delay_alu instid0(VALU_DEP_2) | instskip(NEXT) | instid1(VALU_DEP_2)
	v_add_f64 v[2:3], v[42:43], -v[2:3]
	v_add_f64 v[4:5], v[44:45], -v[4:5]
	scratch_store_b128 off, v[2:5], off offset:80
	v_cmpx_lt_u32_e32 4, v120
	s_cbranch_execz .LBB100_227
; %bb.226:
	scratch_load_b128 v[5:8], v121, off
	v_mov_b32_e32 v2, v1
	v_mov_b32_e32 v3, v1
	;; [unrolled: 1-line block ×3, first 2 shown]
	scratch_store_b128 off, v[1:4], off offset:64
	s_waitcnt vmcnt(0)
	ds_store_b128 v157, v[5:8]
.LBB100_227:
	s_or_b32 exec_lo, exec_lo, s2
	s_waitcnt lgkmcnt(0)
	s_waitcnt_vscnt null, 0x0
	s_barrier
	buffer_gl0_inv
	s_clause 0x8
	scratch_load_b128 v[2:5], off, off offset:80
	scratch_load_b128 v[6:9], off, off offset:96
	;; [unrolled: 1-line block ×9, first 2 shown]
	ds_load_b128 v[42:45], v1 offset:672
	ds_load_b128 v[38:41], v1 offset:688
	s_clause 0x1
	scratch_load_b128 v[158:161], off, off offset:64
	scratch_load_b128 v[162:165], off, off offset:224
	s_mov_b32 s2, exec_lo
	s_waitcnt vmcnt(10) lgkmcnt(1)
	v_mul_f64 v[166:167], v[44:45], v[4:5]
	v_mul_f64 v[4:5], v[42:43], v[4:5]
	s_waitcnt vmcnt(9) lgkmcnt(0)
	v_mul_f64 v[170:171], v[38:39], v[8:9]
	v_mul_f64 v[8:9], v[40:41], v[8:9]
	s_delay_alu instid0(VALU_DEP_4) | instskip(NEXT) | instid1(VALU_DEP_4)
	v_fma_f64 v[172:173], v[42:43], v[2:3], -v[166:167]
	v_fma_f64 v[174:175], v[44:45], v[2:3], v[4:5]
	ds_load_b128 v[2:5], v1 offset:704
	ds_load_b128 v[166:169], v1 offset:720
	scratch_load_b128 v[42:45], off, off offset:240
	v_fma_f64 v[40:41], v[40:41], v[6:7], v[170:171]
	v_fma_f64 v[38:39], v[38:39], v[6:7], -v[8:9]
	scratch_load_b128 v[6:9], off, off offset:256
	s_waitcnt vmcnt(10) lgkmcnt(1)
	v_mul_f64 v[176:177], v[2:3], v[12:13]
	v_mul_f64 v[12:13], v[4:5], v[12:13]
	v_add_f64 v[170:171], v[172:173], 0
	v_add_f64 v[172:173], v[174:175], 0
	s_waitcnt vmcnt(9) lgkmcnt(0)
	v_mul_f64 v[174:175], v[166:167], v[16:17]
	v_mul_f64 v[16:17], v[168:169], v[16:17]
	v_fma_f64 v[176:177], v[4:5], v[10:11], v[176:177]
	v_fma_f64 v[178:179], v[2:3], v[10:11], -v[12:13]
	ds_load_b128 v[2:5], v1 offset:736
	scratch_load_b128 v[10:13], off, off offset:272
	v_add_f64 v[170:171], v[170:171], v[38:39]
	v_add_f64 v[172:173], v[172:173], v[40:41]
	ds_load_b128 v[38:41], v1 offset:752
	v_fma_f64 v[168:169], v[168:169], v[14:15], v[174:175]
	v_fma_f64 v[166:167], v[166:167], v[14:15], -v[16:17]
	scratch_load_b128 v[14:17], off, off offset:288
	s_waitcnt vmcnt(10) lgkmcnt(1)
	v_mul_f64 v[180:181], v[2:3], v[20:21]
	v_mul_f64 v[20:21], v[4:5], v[20:21]
	s_waitcnt vmcnt(9) lgkmcnt(0)
	v_mul_f64 v[174:175], v[38:39], v[24:25]
	v_mul_f64 v[24:25], v[40:41], v[24:25]
	v_add_f64 v[170:171], v[170:171], v[178:179]
	v_add_f64 v[172:173], v[172:173], v[176:177]
	v_fma_f64 v[176:177], v[4:5], v[18:19], v[180:181]
	v_fma_f64 v[178:179], v[2:3], v[18:19], -v[20:21]
	ds_load_b128 v[2:5], v1 offset:768
	scratch_load_b128 v[18:21], off, off offset:304
	v_fma_f64 v[40:41], v[40:41], v[22:23], v[174:175]
	v_fma_f64 v[38:39], v[38:39], v[22:23], -v[24:25]
	scratch_load_b128 v[22:25], off, off offset:320
	v_add_f64 v[170:171], v[170:171], v[166:167]
	v_add_f64 v[172:173], v[172:173], v[168:169]
	ds_load_b128 v[166:169], v1 offset:784
	s_waitcnt vmcnt(10) lgkmcnt(1)
	v_mul_f64 v[180:181], v[2:3], v[28:29]
	v_mul_f64 v[28:29], v[4:5], v[28:29]
	s_waitcnt vmcnt(9) lgkmcnt(0)
	v_mul_f64 v[174:175], v[166:167], v[32:33]
	v_mul_f64 v[32:33], v[168:169], v[32:33]
	v_add_f64 v[170:171], v[170:171], v[178:179]
	v_add_f64 v[172:173], v[172:173], v[176:177]
	v_fma_f64 v[176:177], v[4:5], v[26:27], v[180:181]
	v_fma_f64 v[178:179], v[2:3], v[26:27], -v[28:29]
	ds_load_b128 v[2:5], v1 offset:800
	scratch_load_b128 v[26:29], off, off offset:336
	v_fma_f64 v[168:169], v[168:169], v[30:31], v[174:175]
	v_fma_f64 v[166:167], v[166:167], v[30:31], -v[32:33]
	scratch_load_b128 v[30:33], off, off offset:352
	v_add_f64 v[170:171], v[170:171], v[38:39]
	v_add_f64 v[172:173], v[172:173], v[40:41]
	ds_load_b128 v[38:41], v1 offset:816
	s_waitcnt vmcnt(10) lgkmcnt(1)
	v_mul_f64 v[180:181], v[2:3], v[36:37]
	v_mul_f64 v[36:37], v[4:5], v[36:37]
	s_waitcnt vmcnt(8) lgkmcnt(0)
	v_mul_f64 v[174:175], v[38:39], v[164:165]
	v_add_f64 v[170:171], v[170:171], v[178:179]
	v_add_f64 v[172:173], v[172:173], v[176:177]
	v_mul_f64 v[176:177], v[40:41], v[164:165]
	v_fma_f64 v[178:179], v[4:5], v[34:35], v[180:181]
	v_fma_f64 v[180:181], v[2:3], v[34:35], -v[36:37]
	ds_load_b128 v[2:5], v1 offset:832
	scratch_load_b128 v[34:37], off, off offset:368
	v_fma_f64 v[174:175], v[40:41], v[162:163], v[174:175]
	v_add_f64 v[170:171], v[170:171], v[166:167]
	v_add_f64 v[168:169], v[172:173], v[168:169]
	ds_load_b128 v[164:167], v1 offset:848
	v_fma_f64 v[162:163], v[38:39], v[162:163], -v[176:177]
	scratch_load_b128 v[38:41], off, off offset:384
	s_waitcnt vmcnt(9) lgkmcnt(1)
	v_mul_f64 v[172:173], v[2:3], v[44:45]
	v_mul_f64 v[44:45], v[4:5], v[44:45]
	s_waitcnt vmcnt(8) lgkmcnt(0)
	v_mul_f64 v[176:177], v[164:165], v[8:9]
	v_mul_f64 v[8:9], v[166:167], v[8:9]
	v_add_f64 v[170:171], v[170:171], v[180:181]
	v_add_f64 v[168:169], v[168:169], v[178:179]
	v_fma_f64 v[172:173], v[4:5], v[42:43], v[172:173]
	v_fma_f64 v[178:179], v[2:3], v[42:43], -v[44:45]
	ds_load_b128 v[2:5], v1 offset:864
	scratch_load_b128 v[42:45], off, off offset:400
	v_fma_f64 v[166:167], v[166:167], v[6:7], v[176:177]
	v_fma_f64 v[164:165], v[164:165], v[6:7], -v[8:9]
	scratch_load_b128 v[6:9], off, off offset:416
	v_add_f64 v[162:163], v[170:171], v[162:163]
	v_add_f64 v[174:175], v[168:169], v[174:175]
	ds_load_b128 v[168:171], v1 offset:880
	s_waitcnt vmcnt(9) lgkmcnt(1)
	v_mul_f64 v[180:181], v[2:3], v[12:13]
	v_mul_f64 v[12:13], v[4:5], v[12:13]
	v_add_f64 v[162:163], v[162:163], v[178:179]
	v_add_f64 v[172:173], v[174:175], v[172:173]
	s_waitcnt vmcnt(8) lgkmcnt(0)
	v_mul_f64 v[174:175], v[168:169], v[16:17]
	v_mul_f64 v[16:17], v[170:171], v[16:17]
	v_fma_f64 v[176:177], v[4:5], v[10:11], v[180:181]
	v_fma_f64 v[178:179], v[2:3], v[10:11], -v[12:13]
	ds_load_b128 v[2:5], v1 offset:896
	scratch_load_b128 v[10:13], off, off offset:432
	v_add_f64 v[180:181], v[162:163], v[164:165]
	v_add_f64 v[166:167], v[172:173], v[166:167]
	ds_load_b128 v[162:165], v1 offset:912
	s_waitcnt vmcnt(8) lgkmcnt(1)
	v_mul_f64 v[172:173], v[2:3], v[20:21]
	v_mul_f64 v[20:21], v[4:5], v[20:21]
	v_fma_f64 v[170:171], v[170:171], v[14:15], v[174:175]
	v_fma_f64 v[168:169], v[168:169], v[14:15], -v[16:17]
	scratch_load_b128 v[14:17], off, off offset:448
	v_add_f64 v[174:175], v[180:181], v[178:179]
	v_add_f64 v[166:167], v[166:167], v[176:177]
	s_waitcnt vmcnt(8) lgkmcnt(0)
	v_mul_f64 v[176:177], v[162:163], v[24:25]
	v_mul_f64 v[24:25], v[164:165], v[24:25]
	v_fma_f64 v[172:173], v[4:5], v[18:19], v[172:173]
	v_fma_f64 v[178:179], v[2:3], v[18:19], -v[20:21]
	ds_load_b128 v[2:5], v1 offset:928
	scratch_load_b128 v[18:21], off, off offset:464
	v_add_f64 v[174:175], v[174:175], v[168:169]
	v_add_f64 v[170:171], v[166:167], v[170:171]
	ds_load_b128 v[166:169], v1 offset:944
	s_waitcnt vmcnt(8) lgkmcnt(1)
	v_mul_f64 v[180:181], v[2:3], v[28:29]
	v_mul_f64 v[28:29], v[4:5], v[28:29]
	v_fma_f64 v[164:165], v[164:165], v[22:23], v[176:177]
	v_fma_f64 v[162:163], v[162:163], v[22:23], -v[24:25]
	scratch_load_b128 v[22:25], off, off offset:480
	;; [unrolled: 18-line block ×4, first 2 shown]
	s_waitcnt vmcnt(8) lgkmcnt(0)
	v_mul_f64 v[174:175], v[166:167], v[8:9]
	v_mul_f64 v[8:9], v[168:169], v[8:9]
	v_add_f64 v[172:173], v[172:173], v[178:179]
	v_add_f64 v[170:171], v[170:171], v[176:177]
	v_fma_f64 v[176:177], v[4:5], v[42:43], v[180:181]
	v_fma_f64 v[178:179], v[2:3], v[42:43], -v[44:45]
	ds_load_b128 v[2:5], v1 offset:1024
	scratch_load_b128 v[42:45], off, off offset:560
	v_fma_f64 v[168:169], v[168:169], v[6:7], v[174:175]
	v_fma_f64 v[166:167], v[166:167], v[6:7], -v[8:9]
	scratch_load_b128 v[6:9], off, off offset:576
	v_add_f64 v[172:173], v[172:173], v[162:163]
	v_add_f64 v[170:171], v[170:171], v[164:165]
	ds_load_b128 v[162:165], v1 offset:1040
	s_waitcnt vmcnt(9) lgkmcnt(1)
	v_mul_f64 v[180:181], v[2:3], v[12:13]
	v_mul_f64 v[12:13], v[4:5], v[12:13]
	s_waitcnt vmcnt(8) lgkmcnt(0)
	v_mul_f64 v[174:175], v[162:163], v[16:17]
	v_mul_f64 v[16:17], v[164:165], v[16:17]
	v_add_f64 v[172:173], v[172:173], v[178:179]
	v_add_f64 v[170:171], v[170:171], v[176:177]
	v_fma_f64 v[176:177], v[4:5], v[10:11], v[180:181]
	v_fma_f64 v[178:179], v[2:3], v[10:11], -v[12:13]
	ds_load_b128 v[2:5], v1 offset:1056
	ds_load_b128 v[10:13], v1 offset:1072
	v_fma_f64 v[164:165], v[164:165], v[14:15], v[174:175]
	v_fma_f64 v[14:15], v[162:163], v[14:15], -v[16:17]
	v_add_f64 v[166:167], v[172:173], v[166:167]
	v_add_f64 v[168:169], v[170:171], v[168:169]
	s_waitcnt vmcnt(7) lgkmcnt(1)
	v_mul_f64 v[170:171], v[2:3], v[20:21]
	v_mul_f64 v[20:21], v[4:5], v[20:21]
	s_delay_alu instid0(VALU_DEP_4) | instskip(NEXT) | instid1(VALU_DEP_4)
	v_add_f64 v[16:17], v[166:167], v[178:179]
	v_add_f64 v[162:163], v[168:169], v[176:177]
	s_waitcnt vmcnt(6) lgkmcnt(0)
	v_mul_f64 v[166:167], v[10:11], v[24:25]
	v_mul_f64 v[24:25], v[12:13], v[24:25]
	v_fma_f64 v[168:169], v[4:5], v[18:19], v[170:171]
	v_fma_f64 v[18:19], v[2:3], v[18:19], -v[20:21]
	v_add_f64 v[20:21], v[16:17], v[14:15]
	v_add_f64 v[162:163], v[162:163], v[164:165]
	ds_load_b128 v[2:5], v1 offset:1088
	ds_load_b128 v[14:17], v1 offset:1104
	v_fma_f64 v[12:13], v[12:13], v[22:23], v[166:167]
	v_fma_f64 v[10:11], v[10:11], v[22:23], -v[24:25]
	s_waitcnt vmcnt(5) lgkmcnt(1)
	v_mul_f64 v[164:165], v[2:3], v[28:29]
	v_mul_f64 v[28:29], v[4:5], v[28:29]
	s_waitcnt vmcnt(4) lgkmcnt(0)
	v_mul_f64 v[22:23], v[14:15], v[32:33]
	v_mul_f64 v[24:25], v[16:17], v[32:33]
	v_add_f64 v[18:19], v[20:21], v[18:19]
	v_add_f64 v[20:21], v[162:163], v[168:169]
	v_fma_f64 v[32:33], v[4:5], v[26:27], v[164:165]
	v_fma_f64 v[26:27], v[2:3], v[26:27], -v[28:29]
	v_fma_f64 v[16:17], v[16:17], v[30:31], v[22:23]
	v_fma_f64 v[14:15], v[14:15], v[30:31], -v[24:25]
	v_add_f64 v[18:19], v[18:19], v[10:11]
	v_add_f64 v[20:21], v[20:21], v[12:13]
	ds_load_b128 v[2:5], v1 offset:1120
	ds_load_b128 v[10:13], v1 offset:1136
	s_waitcnt vmcnt(3) lgkmcnt(1)
	v_mul_f64 v[28:29], v[2:3], v[36:37]
	v_mul_f64 v[36:37], v[4:5], v[36:37]
	s_waitcnt vmcnt(2) lgkmcnt(0)
	v_mul_f64 v[22:23], v[10:11], v[40:41]
	v_mul_f64 v[24:25], v[12:13], v[40:41]
	v_add_f64 v[18:19], v[18:19], v[26:27]
	v_add_f64 v[20:21], v[20:21], v[32:33]
	v_fma_f64 v[26:27], v[4:5], v[34:35], v[28:29]
	v_fma_f64 v[28:29], v[2:3], v[34:35], -v[36:37]
	v_fma_f64 v[12:13], v[12:13], v[38:39], v[22:23]
	v_fma_f64 v[10:11], v[10:11], v[38:39], -v[24:25]
	v_add_f64 v[18:19], v[18:19], v[14:15]
	v_add_f64 v[20:21], v[20:21], v[16:17]
	ds_load_b128 v[2:5], v1 offset:1152
	ds_load_b128 v[14:17], v1 offset:1168
	s_waitcnt vmcnt(1) lgkmcnt(1)
	v_mul_f64 v[30:31], v[2:3], v[44:45]
	v_mul_f64 v[32:33], v[4:5], v[44:45]
	s_waitcnt vmcnt(0) lgkmcnt(0)
	v_mul_f64 v[22:23], v[14:15], v[8:9]
	v_mul_f64 v[8:9], v[16:17], v[8:9]
	v_add_f64 v[18:19], v[18:19], v[28:29]
	v_add_f64 v[20:21], v[20:21], v[26:27]
	v_fma_f64 v[4:5], v[4:5], v[42:43], v[30:31]
	v_fma_f64 v[1:2], v[2:3], v[42:43], -v[32:33]
	v_fma_f64 v[16:17], v[16:17], v[6:7], v[22:23]
	v_fma_f64 v[6:7], v[14:15], v[6:7], -v[8:9]
	v_add_f64 v[10:11], v[18:19], v[10:11]
	v_add_f64 v[12:13], v[20:21], v[12:13]
	s_delay_alu instid0(VALU_DEP_2) | instskip(NEXT) | instid1(VALU_DEP_2)
	v_add_f64 v[1:2], v[10:11], v[1:2]
	v_add_f64 v[3:4], v[12:13], v[4:5]
	s_delay_alu instid0(VALU_DEP_2) | instskip(NEXT) | instid1(VALU_DEP_2)
	;; [unrolled: 3-line block ×3, first 2 shown]
	v_add_f64 v[1:2], v[158:159], -v[1:2]
	v_add_f64 v[3:4], v[160:161], -v[3:4]
	scratch_store_b128 off, v[1:4], off offset:64
	v_cmpx_lt_u32_e32 3, v120
	s_cbranch_execz .LBB100_229
; %bb.228:
	scratch_load_b128 v[1:4], v122, off
	v_mov_b32_e32 v5, 0
	s_delay_alu instid0(VALU_DEP_1)
	v_mov_b32_e32 v6, v5
	v_mov_b32_e32 v7, v5
	;; [unrolled: 1-line block ×3, first 2 shown]
	scratch_store_b128 off, v[5:8], off offset:48
	s_waitcnt vmcnt(0)
	ds_store_b128 v157, v[1:4]
.LBB100_229:
	s_or_b32 exec_lo, exec_lo, s2
	s_waitcnt lgkmcnt(0)
	s_waitcnt_vscnt null, 0x0
	s_barrier
	buffer_gl0_inv
	s_clause 0x7
	scratch_load_b128 v[2:5], off, off offset:64
	scratch_load_b128 v[6:9], off, off offset:80
	;; [unrolled: 1-line block ×8, first 2 shown]
	v_mov_b32_e32 v1, 0
	s_mov_b32 s2, exec_lo
	ds_load_b128 v[38:41], v1 offset:656
	s_clause 0x1
	scratch_load_b128 v[34:37], off, off offset:192
	scratch_load_b128 v[42:45], off, off offset:48
	ds_load_b128 v[158:161], v1 offset:672
	scratch_load_b128 v[162:165], off, off offset:208
	s_waitcnt vmcnt(10) lgkmcnt(1)
	v_mul_f64 v[166:167], v[40:41], v[4:5]
	v_mul_f64 v[4:5], v[38:39], v[4:5]
	s_delay_alu instid0(VALU_DEP_2) | instskip(NEXT) | instid1(VALU_DEP_2)
	v_fma_f64 v[172:173], v[38:39], v[2:3], -v[166:167]
	v_fma_f64 v[174:175], v[40:41], v[2:3], v[4:5]
	scratch_load_b128 v[38:41], off, off offset:224
	ds_load_b128 v[2:5], v1 offset:688
	s_waitcnt vmcnt(10) lgkmcnt(1)
	v_mul_f64 v[170:171], v[158:159], v[8:9]
	v_mul_f64 v[8:9], v[160:161], v[8:9]
	ds_load_b128 v[166:169], v1 offset:704
	s_waitcnt vmcnt(9) lgkmcnt(1)
	v_mul_f64 v[176:177], v[2:3], v[12:13]
	v_mul_f64 v[12:13], v[4:5], v[12:13]
	v_fma_f64 v[160:161], v[160:161], v[6:7], v[170:171]
	v_fma_f64 v[158:159], v[158:159], v[6:7], -v[8:9]
	v_add_f64 v[170:171], v[172:173], 0
	v_add_f64 v[172:173], v[174:175], 0
	scratch_load_b128 v[6:9], off, off offset:240
	v_fma_f64 v[176:177], v[4:5], v[10:11], v[176:177]
	v_fma_f64 v[178:179], v[2:3], v[10:11], -v[12:13]
	scratch_load_b128 v[10:13], off, off offset:256
	ds_load_b128 v[2:5], v1 offset:720
	s_waitcnt vmcnt(10) lgkmcnt(1)
	v_mul_f64 v[174:175], v[166:167], v[16:17]
	v_mul_f64 v[16:17], v[168:169], v[16:17]
	v_add_f64 v[170:171], v[170:171], v[158:159]
	v_add_f64 v[172:173], v[172:173], v[160:161]
	s_waitcnt vmcnt(9) lgkmcnt(0)
	v_mul_f64 v[180:181], v[2:3], v[20:21]
	v_mul_f64 v[20:21], v[4:5], v[20:21]
	ds_load_b128 v[158:161], v1 offset:736
	v_fma_f64 v[168:169], v[168:169], v[14:15], v[174:175]
	v_fma_f64 v[166:167], v[166:167], v[14:15], -v[16:17]
	scratch_load_b128 v[14:17], off, off offset:272
	v_add_f64 v[170:171], v[170:171], v[178:179]
	v_add_f64 v[172:173], v[172:173], v[176:177]
	v_fma_f64 v[176:177], v[4:5], v[18:19], v[180:181]
	v_fma_f64 v[178:179], v[2:3], v[18:19], -v[20:21]
	scratch_load_b128 v[18:21], off, off offset:288
	ds_load_b128 v[2:5], v1 offset:752
	s_waitcnt vmcnt(10) lgkmcnt(1)
	v_mul_f64 v[174:175], v[158:159], v[24:25]
	v_mul_f64 v[24:25], v[160:161], v[24:25]
	s_waitcnt vmcnt(9) lgkmcnt(0)
	v_mul_f64 v[180:181], v[2:3], v[28:29]
	v_mul_f64 v[28:29], v[4:5], v[28:29]
	v_add_f64 v[170:171], v[170:171], v[166:167]
	v_add_f64 v[172:173], v[172:173], v[168:169]
	ds_load_b128 v[166:169], v1 offset:768
	v_fma_f64 v[160:161], v[160:161], v[22:23], v[174:175]
	v_fma_f64 v[158:159], v[158:159], v[22:23], -v[24:25]
	scratch_load_b128 v[22:25], off, off offset:304
	v_add_f64 v[170:171], v[170:171], v[178:179]
	v_add_f64 v[172:173], v[172:173], v[176:177]
	v_fma_f64 v[176:177], v[4:5], v[26:27], v[180:181]
	v_fma_f64 v[178:179], v[2:3], v[26:27], -v[28:29]
	scratch_load_b128 v[26:29], off, off offset:320
	ds_load_b128 v[2:5], v1 offset:784
	s_waitcnt vmcnt(10) lgkmcnt(1)
	v_mul_f64 v[174:175], v[166:167], v[32:33]
	v_mul_f64 v[32:33], v[168:169], v[32:33]
	s_waitcnt vmcnt(9) lgkmcnt(0)
	v_mul_f64 v[180:181], v[2:3], v[36:37]
	v_mul_f64 v[36:37], v[4:5], v[36:37]
	v_add_f64 v[170:171], v[170:171], v[158:159]
	v_add_f64 v[172:173], v[172:173], v[160:161]
	ds_load_b128 v[158:161], v1 offset:800
	v_fma_f64 v[168:169], v[168:169], v[30:31], v[174:175]
	v_fma_f64 v[166:167], v[166:167], v[30:31], -v[32:33]
	scratch_load_b128 v[30:33], off, off offset:336
	v_add_f64 v[170:171], v[170:171], v[178:179]
	v_add_f64 v[172:173], v[172:173], v[176:177]
	v_fma_f64 v[178:179], v[4:5], v[34:35], v[180:181]
	v_fma_f64 v[180:181], v[2:3], v[34:35], -v[36:37]
	scratch_load_b128 v[34:37], off, off offset:352
	ds_load_b128 v[2:5], v1 offset:816
	s_waitcnt vmcnt(9) lgkmcnt(1)
	v_mul_f64 v[174:175], v[158:159], v[164:165]
	v_mul_f64 v[176:177], v[160:161], v[164:165]
	v_add_f64 v[170:171], v[170:171], v[166:167]
	v_add_f64 v[168:169], v[172:173], v[168:169]
	ds_load_b128 v[164:167], v1 offset:832
	v_fma_f64 v[174:175], v[160:161], v[162:163], v[174:175]
	v_fma_f64 v[162:163], v[158:159], v[162:163], -v[176:177]
	scratch_load_b128 v[158:161], off, off offset:368
	s_waitcnt vmcnt(9) lgkmcnt(1)
	v_mul_f64 v[172:173], v[2:3], v[40:41]
	v_mul_f64 v[40:41], v[4:5], v[40:41]
	v_add_f64 v[170:171], v[170:171], v[180:181]
	v_add_f64 v[168:169], v[168:169], v[178:179]
	s_delay_alu instid0(VALU_DEP_4) | instskip(NEXT) | instid1(VALU_DEP_4)
	v_fma_f64 v[172:173], v[4:5], v[38:39], v[172:173]
	v_fma_f64 v[178:179], v[2:3], v[38:39], -v[40:41]
	scratch_load_b128 v[38:41], off, off offset:384
	ds_load_b128 v[2:5], v1 offset:848
	s_waitcnt vmcnt(9) lgkmcnt(1)
	v_mul_f64 v[176:177], v[164:165], v[8:9]
	v_mul_f64 v[8:9], v[166:167], v[8:9]
	s_waitcnt vmcnt(8) lgkmcnt(0)
	v_mul_f64 v[180:181], v[2:3], v[12:13]
	v_mul_f64 v[12:13], v[4:5], v[12:13]
	v_add_f64 v[162:163], v[170:171], v[162:163]
	v_add_f64 v[174:175], v[168:169], v[174:175]
	ds_load_b128 v[168:171], v1 offset:864
	v_fma_f64 v[166:167], v[166:167], v[6:7], v[176:177]
	v_fma_f64 v[164:165], v[164:165], v[6:7], -v[8:9]
	scratch_load_b128 v[6:9], off, off offset:400
	v_fma_f64 v[176:177], v[4:5], v[10:11], v[180:181]
	v_add_f64 v[162:163], v[162:163], v[178:179]
	v_add_f64 v[172:173], v[174:175], v[172:173]
	v_fma_f64 v[178:179], v[2:3], v[10:11], -v[12:13]
	scratch_load_b128 v[10:13], off, off offset:416
	ds_load_b128 v[2:5], v1 offset:880
	s_waitcnt vmcnt(9) lgkmcnt(1)
	v_mul_f64 v[174:175], v[168:169], v[16:17]
	v_mul_f64 v[16:17], v[170:171], v[16:17]
	v_add_f64 v[180:181], v[162:163], v[164:165]
	v_add_f64 v[166:167], v[172:173], v[166:167]
	s_waitcnt vmcnt(8) lgkmcnt(0)
	v_mul_f64 v[172:173], v[2:3], v[20:21]
	v_mul_f64 v[20:21], v[4:5], v[20:21]
	ds_load_b128 v[162:165], v1 offset:896
	v_fma_f64 v[170:171], v[170:171], v[14:15], v[174:175]
	v_fma_f64 v[168:169], v[168:169], v[14:15], -v[16:17]
	scratch_load_b128 v[14:17], off, off offset:432
	v_add_f64 v[174:175], v[180:181], v[178:179]
	v_add_f64 v[166:167], v[166:167], v[176:177]
	v_fma_f64 v[172:173], v[4:5], v[18:19], v[172:173]
	v_fma_f64 v[178:179], v[2:3], v[18:19], -v[20:21]
	scratch_load_b128 v[18:21], off, off offset:448
	ds_load_b128 v[2:5], v1 offset:912
	s_waitcnt vmcnt(9) lgkmcnt(1)
	v_mul_f64 v[176:177], v[162:163], v[24:25]
	v_mul_f64 v[24:25], v[164:165], v[24:25]
	s_waitcnt vmcnt(8) lgkmcnt(0)
	v_mul_f64 v[180:181], v[2:3], v[28:29]
	v_mul_f64 v[28:29], v[4:5], v[28:29]
	v_add_f64 v[174:175], v[174:175], v[168:169]
	v_add_f64 v[170:171], v[166:167], v[170:171]
	ds_load_b128 v[166:169], v1 offset:928
	v_fma_f64 v[164:165], v[164:165], v[22:23], v[176:177]
	v_fma_f64 v[162:163], v[162:163], v[22:23], -v[24:25]
	scratch_load_b128 v[22:25], off, off offset:464
	v_fma_f64 v[176:177], v[4:5], v[26:27], v[180:181]
	v_add_f64 v[174:175], v[174:175], v[178:179]
	v_add_f64 v[170:171], v[170:171], v[172:173]
	v_fma_f64 v[178:179], v[2:3], v[26:27], -v[28:29]
	scratch_load_b128 v[26:29], off, off offset:480
	ds_load_b128 v[2:5], v1 offset:944
	s_waitcnt vmcnt(9) lgkmcnt(1)
	v_mul_f64 v[172:173], v[166:167], v[32:33]
	v_mul_f64 v[32:33], v[168:169], v[32:33]
	s_waitcnt vmcnt(8) lgkmcnt(0)
	v_mul_f64 v[180:181], v[2:3], v[36:37]
	v_mul_f64 v[36:37], v[4:5], v[36:37]
	v_add_f64 v[174:175], v[174:175], v[162:163]
	v_add_f64 v[170:171], v[170:171], v[164:165]
	ds_load_b128 v[162:165], v1 offset:960
	v_fma_f64 v[168:169], v[168:169], v[30:31], v[172:173]
	v_fma_f64 v[166:167], v[166:167], v[30:31], -v[32:33]
	scratch_load_b128 v[30:33], off, off offset:496
	v_add_f64 v[172:173], v[174:175], v[178:179]
	v_add_f64 v[170:171], v[170:171], v[176:177]
	v_fma_f64 v[176:177], v[4:5], v[34:35], v[180:181]
	v_fma_f64 v[178:179], v[2:3], v[34:35], -v[36:37]
	scratch_load_b128 v[34:37], off, off offset:512
	ds_load_b128 v[2:5], v1 offset:976
	s_waitcnt vmcnt(9) lgkmcnt(1)
	v_mul_f64 v[174:175], v[162:163], v[160:161]
	v_mul_f64 v[160:161], v[164:165], v[160:161]
	s_waitcnt vmcnt(8) lgkmcnt(0)
	v_mul_f64 v[180:181], v[2:3], v[40:41]
	v_mul_f64 v[40:41], v[4:5], v[40:41]
	v_add_f64 v[172:173], v[172:173], v[166:167]
	v_add_f64 v[170:171], v[170:171], v[168:169]
	ds_load_b128 v[166:169], v1 offset:992
	v_fma_f64 v[164:165], v[164:165], v[158:159], v[174:175]
	v_fma_f64 v[162:163], v[162:163], v[158:159], -v[160:161]
	scratch_load_b128 v[158:161], off, off offset:528
	v_add_f64 v[172:173], v[172:173], v[178:179]
	v_add_f64 v[170:171], v[170:171], v[176:177]
	v_fma_f64 v[176:177], v[4:5], v[38:39], v[180:181]
	;; [unrolled: 18-line block ×3, first 2 shown]
	v_fma_f64 v[178:179], v[2:3], v[10:11], -v[12:13]
	scratch_load_b128 v[10:13], off, off offset:576
	ds_load_b128 v[2:5], v1 offset:1040
	s_waitcnt vmcnt(9) lgkmcnt(1)
	v_mul_f64 v[174:175], v[162:163], v[16:17]
	v_mul_f64 v[16:17], v[164:165], v[16:17]
	s_waitcnt vmcnt(8) lgkmcnt(0)
	v_mul_f64 v[180:181], v[2:3], v[20:21]
	v_mul_f64 v[20:21], v[4:5], v[20:21]
	v_add_f64 v[172:173], v[172:173], v[166:167]
	v_add_f64 v[170:171], v[170:171], v[168:169]
	ds_load_b128 v[166:169], v1 offset:1056
	v_fma_f64 v[164:165], v[164:165], v[14:15], v[174:175]
	v_fma_f64 v[14:15], v[162:163], v[14:15], -v[16:17]
	v_add_f64 v[16:17], v[172:173], v[178:179]
	v_add_f64 v[162:163], v[170:171], v[176:177]
	s_waitcnt vmcnt(7) lgkmcnt(0)
	v_mul_f64 v[170:171], v[166:167], v[24:25]
	v_mul_f64 v[24:25], v[168:169], v[24:25]
	v_fma_f64 v[172:173], v[4:5], v[18:19], v[180:181]
	v_fma_f64 v[18:19], v[2:3], v[18:19], -v[20:21]
	v_add_f64 v[20:21], v[16:17], v[14:15]
	v_add_f64 v[162:163], v[162:163], v[164:165]
	ds_load_b128 v[2:5], v1 offset:1072
	ds_load_b128 v[14:17], v1 offset:1088
	v_fma_f64 v[168:169], v[168:169], v[22:23], v[170:171]
	v_fma_f64 v[22:23], v[166:167], v[22:23], -v[24:25]
	s_waitcnt vmcnt(6) lgkmcnt(1)
	v_mul_f64 v[164:165], v[2:3], v[28:29]
	v_mul_f64 v[28:29], v[4:5], v[28:29]
	s_waitcnt vmcnt(5) lgkmcnt(0)
	v_mul_f64 v[24:25], v[14:15], v[32:33]
	v_mul_f64 v[32:33], v[16:17], v[32:33]
	v_add_f64 v[18:19], v[20:21], v[18:19]
	v_add_f64 v[20:21], v[162:163], v[172:173]
	v_fma_f64 v[162:163], v[4:5], v[26:27], v[164:165]
	v_fma_f64 v[26:27], v[2:3], v[26:27], -v[28:29]
	v_fma_f64 v[16:17], v[16:17], v[30:31], v[24:25]
	v_fma_f64 v[14:15], v[14:15], v[30:31], -v[32:33]
	v_add_f64 v[22:23], v[18:19], v[22:23]
	v_add_f64 v[28:29], v[20:21], v[168:169]
	ds_load_b128 v[2:5], v1 offset:1104
	ds_load_b128 v[18:21], v1 offset:1120
	s_waitcnt vmcnt(4) lgkmcnt(1)
	v_mul_f64 v[164:165], v[2:3], v[36:37]
	v_mul_f64 v[36:37], v[4:5], v[36:37]
	v_add_f64 v[22:23], v[22:23], v[26:27]
	v_add_f64 v[24:25], v[28:29], v[162:163]
	s_waitcnt vmcnt(3) lgkmcnt(0)
	v_mul_f64 v[26:27], v[18:19], v[160:161]
	v_mul_f64 v[28:29], v[20:21], v[160:161]
	v_fma_f64 v[30:31], v[4:5], v[34:35], v[164:165]
	v_fma_f64 v[32:33], v[2:3], v[34:35], -v[36:37]
	v_add_f64 v[22:23], v[22:23], v[14:15]
	v_add_f64 v[24:25], v[24:25], v[16:17]
	ds_load_b128 v[2:5], v1 offset:1136
	ds_load_b128 v[14:17], v1 offset:1152
	v_fma_f64 v[20:21], v[20:21], v[158:159], v[26:27]
	v_fma_f64 v[18:19], v[18:19], v[158:159], -v[28:29]
	s_waitcnt vmcnt(2) lgkmcnt(1)
	v_mul_f64 v[34:35], v[2:3], v[40:41]
	v_mul_f64 v[36:37], v[4:5], v[40:41]
	s_waitcnt vmcnt(1) lgkmcnt(0)
	v_mul_f64 v[26:27], v[14:15], v[8:9]
	v_mul_f64 v[8:9], v[16:17], v[8:9]
	v_add_f64 v[22:23], v[22:23], v[32:33]
	v_add_f64 v[24:25], v[24:25], v[30:31]
	v_fma_f64 v[28:29], v[4:5], v[38:39], v[34:35]
	v_fma_f64 v[30:31], v[2:3], v[38:39], -v[36:37]
	ds_load_b128 v[2:5], v1 offset:1168
	v_fma_f64 v[16:17], v[16:17], v[6:7], v[26:27]
	v_fma_f64 v[6:7], v[14:15], v[6:7], -v[8:9]
	v_add_f64 v[18:19], v[22:23], v[18:19]
	v_add_f64 v[20:21], v[24:25], v[20:21]
	s_waitcnt vmcnt(0) lgkmcnt(0)
	v_mul_f64 v[22:23], v[2:3], v[12:13]
	v_mul_f64 v[12:13], v[4:5], v[12:13]
	s_delay_alu instid0(VALU_DEP_4) | instskip(NEXT) | instid1(VALU_DEP_4)
	v_add_f64 v[8:9], v[18:19], v[30:31]
	v_add_f64 v[14:15], v[20:21], v[28:29]
	s_delay_alu instid0(VALU_DEP_4) | instskip(NEXT) | instid1(VALU_DEP_4)
	v_fma_f64 v[4:5], v[4:5], v[10:11], v[22:23]
	v_fma_f64 v[2:3], v[2:3], v[10:11], -v[12:13]
	s_delay_alu instid0(VALU_DEP_4) | instskip(NEXT) | instid1(VALU_DEP_4)
	v_add_f64 v[6:7], v[8:9], v[6:7]
	v_add_f64 v[8:9], v[14:15], v[16:17]
	s_delay_alu instid0(VALU_DEP_2) | instskip(NEXT) | instid1(VALU_DEP_2)
	v_add_f64 v[2:3], v[6:7], v[2:3]
	v_add_f64 v[4:5], v[8:9], v[4:5]
	s_delay_alu instid0(VALU_DEP_2) | instskip(NEXT) | instid1(VALU_DEP_2)
	v_add_f64 v[2:3], v[42:43], -v[2:3]
	v_add_f64 v[4:5], v[44:45], -v[4:5]
	scratch_store_b128 off, v[2:5], off offset:48
	v_cmpx_lt_u32_e32 2, v120
	s_cbranch_execz .LBB100_231
; %bb.230:
	scratch_load_b128 v[5:8], v123, off
	v_mov_b32_e32 v2, v1
	v_mov_b32_e32 v3, v1
	;; [unrolled: 1-line block ×3, first 2 shown]
	scratch_store_b128 off, v[1:4], off offset:32
	s_waitcnt vmcnt(0)
	ds_store_b128 v157, v[5:8]
.LBB100_231:
	s_or_b32 exec_lo, exec_lo, s2
	s_waitcnt lgkmcnt(0)
	s_waitcnt_vscnt null, 0x0
	s_barrier
	buffer_gl0_inv
	s_clause 0x8
	scratch_load_b128 v[2:5], off, off offset:48
	scratch_load_b128 v[6:9], off, off offset:64
	;; [unrolled: 1-line block ×9, first 2 shown]
	ds_load_b128 v[42:45], v1 offset:640
	ds_load_b128 v[38:41], v1 offset:656
	s_clause 0x1
	scratch_load_b128 v[158:161], off, off offset:32
	scratch_load_b128 v[162:165], off, off offset:192
	s_mov_b32 s2, exec_lo
	s_waitcnt vmcnt(10) lgkmcnt(1)
	v_mul_f64 v[166:167], v[44:45], v[4:5]
	v_mul_f64 v[4:5], v[42:43], v[4:5]
	s_waitcnt vmcnt(9) lgkmcnt(0)
	v_mul_f64 v[170:171], v[38:39], v[8:9]
	v_mul_f64 v[8:9], v[40:41], v[8:9]
	s_delay_alu instid0(VALU_DEP_4) | instskip(NEXT) | instid1(VALU_DEP_4)
	v_fma_f64 v[172:173], v[42:43], v[2:3], -v[166:167]
	v_fma_f64 v[174:175], v[44:45], v[2:3], v[4:5]
	ds_load_b128 v[2:5], v1 offset:672
	ds_load_b128 v[166:169], v1 offset:688
	scratch_load_b128 v[42:45], off, off offset:208
	v_fma_f64 v[40:41], v[40:41], v[6:7], v[170:171]
	v_fma_f64 v[38:39], v[38:39], v[6:7], -v[8:9]
	scratch_load_b128 v[6:9], off, off offset:224
	s_waitcnt vmcnt(10) lgkmcnt(1)
	v_mul_f64 v[176:177], v[2:3], v[12:13]
	v_mul_f64 v[12:13], v[4:5], v[12:13]
	v_add_f64 v[170:171], v[172:173], 0
	v_add_f64 v[172:173], v[174:175], 0
	s_waitcnt vmcnt(9) lgkmcnt(0)
	v_mul_f64 v[174:175], v[166:167], v[16:17]
	v_mul_f64 v[16:17], v[168:169], v[16:17]
	v_fma_f64 v[176:177], v[4:5], v[10:11], v[176:177]
	v_fma_f64 v[178:179], v[2:3], v[10:11], -v[12:13]
	ds_load_b128 v[2:5], v1 offset:704
	scratch_load_b128 v[10:13], off, off offset:240
	v_add_f64 v[170:171], v[170:171], v[38:39]
	v_add_f64 v[172:173], v[172:173], v[40:41]
	ds_load_b128 v[38:41], v1 offset:720
	v_fma_f64 v[168:169], v[168:169], v[14:15], v[174:175]
	v_fma_f64 v[166:167], v[166:167], v[14:15], -v[16:17]
	scratch_load_b128 v[14:17], off, off offset:256
	s_waitcnt vmcnt(10) lgkmcnt(1)
	v_mul_f64 v[180:181], v[2:3], v[20:21]
	v_mul_f64 v[20:21], v[4:5], v[20:21]
	s_waitcnt vmcnt(9) lgkmcnt(0)
	v_mul_f64 v[174:175], v[38:39], v[24:25]
	v_mul_f64 v[24:25], v[40:41], v[24:25]
	v_add_f64 v[170:171], v[170:171], v[178:179]
	v_add_f64 v[172:173], v[172:173], v[176:177]
	v_fma_f64 v[176:177], v[4:5], v[18:19], v[180:181]
	v_fma_f64 v[178:179], v[2:3], v[18:19], -v[20:21]
	ds_load_b128 v[2:5], v1 offset:736
	scratch_load_b128 v[18:21], off, off offset:272
	v_fma_f64 v[40:41], v[40:41], v[22:23], v[174:175]
	v_fma_f64 v[38:39], v[38:39], v[22:23], -v[24:25]
	scratch_load_b128 v[22:25], off, off offset:288
	v_add_f64 v[170:171], v[170:171], v[166:167]
	v_add_f64 v[172:173], v[172:173], v[168:169]
	ds_load_b128 v[166:169], v1 offset:752
	s_waitcnt vmcnt(10) lgkmcnt(1)
	v_mul_f64 v[180:181], v[2:3], v[28:29]
	v_mul_f64 v[28:29], v[4:5], v[28:29]
	s_waitcnt vmcnt(9) lgkmcnt(0)
	v_mul_f64 v[174:175], v[166:167], v[32:33]
	v_mul_f64 v[32:33], v[168:169], v[32:33]
	v_add_f64 v[170:171], v[170:171], v[178:179]
	v_add_f64 v[172:173], v[172:173], v[176:177]
	v_fma_f64 v[176:177], v[4:5], v[26:27], v[180:181]
	v_fma_f64 v[178:179], v[2:3], v[26:27], -v[28:29]
	ds_load_b128 v[2:5], v1 offset:768
	scratch_load_b128 v[26:29], off, off offset:304
	v_fma_f64 v[168:169], v[168:169], v[30:31], v[174:175]
	v_fma_f64 v[166:167], v[166:167], v[30:31], -v[32:33]
	scratch_load_b128 v[30:33], off, off offset:320
	v_add_f64 v[170:171], v[170:171], v[38:39]
	v_add_f64 v[172:173], v[172:173], v[40:41]
	ds_load_b128 v[38:41], v1 offset:784
	s_waitcnt vmcnt(10) lgkmcnt(1)
	v_mul_f64 v[180:181], v[2:3], v[36:37]
	v_mul_f64 v[36:37], v[4:5], v[36:37]
	s_waitcnt vmcnt(8) lgkmcnt(0)
	v_mul_f64 v[174:175], v[38:39], v[164:165]
	v_add_f64 v[170:171], v[170:171], v[178:179]
	v_add_f64 v[172:173], v[172:173], v[176:177]
	v_mul_f64 v[176:177], v[40:41], v[164:165]
	v_fma_f64 v[178:179], v[4:5], v[34:35], v[180:181]
	v_fma_f64 v[180:181], v[2:3], v[34:35], -v[36:37]
	ds_load_b128 v[2:5], v1 offset:800
	scratch_load_b128 v[34:37], off, off offset:336
	v_fma_f64 v[174:175], v[40:41], v[162:163], v[174:175]
	v_add_f64 v[170:171], v[170:171], v[166:167]
	v_add_f64 v[168:169], v[172:173], v[168:169]
	ds_load_b128 v[164:167], v1 offset:816
	v_fma_f64 v[162:163], v[38:39], v[162:163], -v[176:177]
	scratch_load_b128 v[38:41], off, off offset:352
	s_waitcnt vmcnt(9) lgkmcnt(1)
	v_mul_f64 v[172:173], v[2:3], v[44:45]
	v_mul_f64 v[44:45], v[4:5], v[44:45]
	s_waitcnt vmcnt(8) lgkmcnt(0)
	v_mul_f64 v[176:177], v[164:165], v[8:9]
	v_mul_f64 v[8:9], v[166:167], v[8:9]
	v_add_f64 v[170:171], v[170:171], v[180:181]
	v_add_f64 v[168:169], v[168:169], v[178:179]
	v_fma_f64 v[172:173], v[4:5], v[42:43], v[172:173]
	v_fma_f64 v[178:179], v[2:3], v[42:43], -v[44:45]
	ds_load_b128 v[2:5], v1 offset:832
	scratch_load_b128 v[42:45], off, off offset:368
	v_fma_f64 v[166:167], v[166:167], v[6:7], v[176:177]
	v_fma_f64 v[164:165], v[164:165], v[6:7], -v[8:9]
	scratch_load_b128 v[6:9], off, off offset:384
	v_add_f64 v[162:163], v[170:171], v[162:163]
	v_add_f64 v[174:175], v[168:169], v[174:175]
	ds_load_b128 v[168:171], v1 offset:848
	s_waitcnt vmcnt(9) lgkmcnt(1)
	v_mul_f64 v[180:181], v[2:3], v[12:13]
	v_mul_f64 v[12:13], v[4:5], v[12:13]
	v_add_f64 v[162:163], v[162:163], v[178:179]
	v_add_f64 v[172:173], v[174:175], v[172:173]
	s_waitcnt vmcnt(8) lgkmcnt(0)
	v_mul_f64 v[174:175], v[168:169], v[16:17]
	v_mul_f64 v[16:17], v[170:171], v[16:17]
	v_fma_f64 v[176:177], v[4:5], v[10:11], v[180:181]
	v_fma_f64 v[178:179], v[2:3], v[10:11], -v[12:13]
	ds_load_b128 v[2:5], v1 offset:864
	scratch_load_b128 v[10:13], off, off offset:400
	v_add_f64 v[180:181], v[162:163], v[164:165]
	v_add_f64 v[166:167], v[172:173], v[166:167]
	ds_load_b128 v[162:165], v1 offset:880
	s_waitcnt vmcnt(8) lgkmcnt(1)
	v_mul_f64 v[172:173], v[2:3], v[20:21]
	v_mul_f64 v[20:21], v[4:5], v[20:21]
	v_fma_f64 v[170:171], v[170:171], v[14:15], v[174:175]
	v_fma_f64 v[168:169], v[168:169], v[14:15], -v[16:17]
	scratch_load_b128 v[14:17], off, off offset:416
	v_add_f64 v[174:175], v[180:181], v[178:179]
	v_add_f64 v[166:167], v[166:167], v[176:177]
	s_waitcnt vmcnt(8) lgkmcnt(0)
	v_mul_f64 v[176:177], v[162:163], v[24:25]
	v_mul_f64 v[24:25], v[164:165], v[24:25]
	v_fma_f64 v[172:173], v[4:5], v[18:19], v[172:173]
	v_fma_f64 v[178:179], v[2:3], v[18:19], -v[20:21]
	ds_load_b128 v[2:5], v1 offset:896
	scratch_load_b128 v[18:21], off, off offset:432
	v_add_f64 v[174:175], v[174:175], v[168:169]
	v_add_f64 v[170:171], v[166:167], v[170:171]
	ds_load_b128 v[166:169], v1 offset:912
	s_waitcnt vmcnt(8) lgkmcnt(1)
	v_mul_f64 v[180:181], v[2:3], v[28:29]
	v_mul_f64 v[28:29], v[4:5], v[28:29]
	v_fma_f64 v[164:165], v[164:165], v[22:23], v[176:177]
	v_fma_f64 v[162:163], v[162:163], v[22:23], -v[24:25]
	scratch_load_b128 v[22:25], off, off offset:448
	;; [unrolled: 18-line block ×4, first 2 shown]
	s_waitcnt vmcnt(8) lgkmcnt(0)
	v_mul_f64 v[174:175], v[166:167], v[8:9]
	v_mul_f64 v[8:9], v[168:169], v[8:9]
	v_add_f64 v[172:173], v[172:173], v[178:179]
	v_add_f64 v[170:171], v[170:171], v[176:177]
	v_fma_f64 v[176:177], v[4:5], v[42:43], v[180:181]
	v_fma_f64 v[178:179], v[2:3], v[42:43], -v[44:45]
	ds_load_b128 v[2:5], v1 offset:992
	scratch_load_b128 v[42:45], off, off offset:528
	v_fma_f64 v[168:169], v[168:169], v[6:7], v[174:175]
	v_fma_f64 v[166:167], v[166:167], v[6:7], -v[8:9]
	scratch_load_b128 v[6:9], off, off offset:544
	v_add_f64 v[172:173], v[172:173], v[162:163]
	v_add_f64 v[170:171], v[170:171], v[164:165]
	ds_load_b128 v[162:165], v1 offset:1008
	s_waitcnt vmcnt(9) lgkmcnt(1)
	v_mul_f64 v[180:181], v[2:3], v[12:13]
	v_mul_f64 v[12:13], v[4:5], v[12:13]
	s_waitcnt vmcnt(8) lgkmcnt(0)
	v_mul_f64 v[174:175], v[162:163], v[16:17]
	v_mul_f64 v[16:17], v[164:165], v[16:17]
	v_add_f64 v[172:173], v[172:173], v[178:179]
	v_add_f64 v[170:171], v[170:171], v[176:177]
	v_fma_f64 v[176:177], v[4:5], v[10:11], v[180:181]
	v_fma_f64 v[178:179], v[2:3], v[10:11], -v[12:13]
	ds_load_b128 v[2:5], v1 offset:1024
	scratch_load_b128 v[10:13], off, off offset:560
	v_fma_f64 v[164:165], v[164:165], v[14:15], v[174:175]
	v_fma_f64 v[162:163], v[162:163], v[14:15], -v[16:17]
	scratch_load_b128 v[14:17], off, off offset:576
	v_add_f64 v[172:173], v[172:173], v[166:167]
	v_add_f64 v[170:171], v[170:171], v[168:169]
	ds_load_b128 v[166:169], v1 offset:1040
	s_waitcnt vmcnt(9) lgkmcnt(1)
	v_mul_f64 v[180:181], v[2:3], v[20:21]
	v_mul_f64 v[20:21], v[4:5], v[20:21]
	s_waitcnt vmcnt(8) lgkmcnt(0)
	v_mul_f64 v[174:175], v[166:167], v[24:25]
	v_mul_f64 v[24:25], v[168:169], v[24:25]
	v_add_f64 v[172:173], v[172:173], v[178:179]
	v_add_f64 v[170:171], v[170:171], v[176:177]
	v_fma_f64 v[176:177], v[4:5], v[18:19], v[180:181]
	v_fma_f64 v[178:179], v[2:3], v[18:19], -v[20:21]
	ds_load_b128 v[2:5], v1 offset:1056
	ds_load_b128 v[18:21], v1 offset:1072
	v_fma_f64 v[168:169], v[168:169], v[22:23], v[174:175]
	v_fma_f64 v[22:23], v[166:167], v[22:23], -v[24:25]
	v_add_f64 v[162:163], v[172:173], v[162:163]
	v_add_f64 v[164:165], v[170:171], v[164:165]
	s_waitcnt vmcnt(7) lgkmcnt(1)
	v_mul_f64 v[170:171], v[2:3], v[28:29]
	v_mul_f64 v[28:29], v[4:5], v[28:29]
	s_delay_alu instid0(VALU_DEP_4) | instskip(NEXT) | instid1(VALU_DEP_4)
	v_add_f64 v[24:25], v[162:163], v[178:179]
	v_add_f64 v[162:163], v[164:165], v[176:177]
	s_waitcnt vmcnt(6) lgkmcnt(0)
	v_mul_f64 v[164:165], v[18:19], v[32:33]
	v_mul_f64 v[32:33], v[20:21], v[32:33]
	v_fma_f64 v[166:167], v[4:5], v[26:27], v[170:171]
	v_fma_f64 v[26:27], v[2:3], v[26:27], -v[28:29]
	v_add_f64 v[28:29], v[24:25], v[22:23]
	v_add_f64 v[162:163], v[162:163], v[168:169]
	ds_load_b128 v[2:5], v1 offset:1088
	ds_load_b128 v[22:25], v1 offset:1104
	v_fma_f64 v[20:21], v[20:21], v[30:31], v[164:165]
	v_fma_f64 v[18:19], v[18:19], v[30:31], -v[32:33]
	s_waitcnt vmcnt(5) lgkmcnt(1)
	v_mul_f64 v[168:169], v[2:3], v[36:37]
	v_mul_f64 v[36:37], v[4:5], v[36:37]
	s_waitcnt vmcnt(4) lgkmcnt(0)
	v_mul_f64 v[30:31], v[22:23], v[40:41]
	v_mul_f64 v[32:33], v[24:25], v[40:41]
	v_add_f64 v[26:27], v[28:29], v[26:27]
	v_add_f64 v[28:29], v[162:163], v[166:167]
	v_fma_f64 v[40:41], v[4:5], v[34:35], v[168:169]
	v_fma_f64 v[34:35], v[2:3], v[34:35], -v[36:37]
	v_fma_f64 v[24:25], v[24:25], v[38:39], v[30:31]
	v_fma_f64 v[22:23], v[22:23], v[38:39], -v[32:33]
	v_add_f64 v[26:27], v[26:27], v[18:19]
	v_add_f64 v[28:29], v[28:29], v[20:21]
	ds_load_b128 v[2:5], v1 offset:1120
	ds_load_b128 v[18:21], v1 offset:1136
	s_waitcnt vmcnt(3) lgkmcnt(1)
	v_mul_f64 v[36:37], v[2:3], v[44:45]
	v_mul_f64 v[44:45], v[4:5], v[44:45]
	s_waitcnt vmcnt(2) lgkmcnt(0)
	v_mul_f64 v[30:31], v[18:19], v[8:9]
	v_mul_f64 v[8:9], v[20:21], v[8:9]
	v_add_f64 v[26:27], v[26:27], v[34:35]
	v_add_f64 v[28:29], v[28:29], v[40:41]
	v_fma_f64 v[32:33], v[4:5], v[42:43], v[36:37]
	v_fma_f64 v[34:35], v[2:3], v[42:43], -v[44:45]
	v_fma_f64 v[20:21], v[20:21], v[6:7], v[30:31]
	v_fma_f64 v[6:7], v[18:19], v[6:7], -v[8:9]
	v_add_f64 v[26:27], v[26:27], v[22:23]
	v_add_f64 v[28:29], v[28:29], v[24:25]
	ds_load_b128 v[2:5], v1 offset:1152
	ds_load_b128 v[22:25], v1 offset:1168
	s_waitcnt vmcnt(1) lgkmcnt(1)
	v_mul_f64 v[36:37], v[2:3], v[12:13]
	v_mul_f64 v[12:13], v[4:5], v[12:13]
	v_add_f64 v[8:9], v[26:27], v[34:35]
	v_add_f64 v[18:19], v[28:29], v[32:33]
	s_waitcnt vmcnt(0) lgkmcnt(0)
	v_mul_f64 v[26:27], v[22:23], v[16:17]
	v_mul_f64 v[16:17], v[24:25], v[16:17]
	v_fma_f64 v[4:5], v[4:5], v[10:11], v[36:37]
	v_fma_f64 v[1:2], v[2:3], v[10:11], -v[12:13]
	v_add_f64 v[6:7], v[8:9], v[6:7]
	v_add_f64 v[8:9], v[18:19], v[20:21]
	v_fma_f64 v[10:11], v[24:25], v[14:15], v[26:27]
	v_fma_f64 v[12:13], v[22:23], v[14:15], -v[16:17]
	s_delay_alu instid0(VALU_DEP_4) | instskip(NEXT) | instid1(VALU_DEP_4)
	v_add_f64 v[1:2], v[6:7], v[1:2]
	v_add_f64 v[3:4], v[8:9], v[4:5]
	s_delay_alu instid0(VALU_DEP_2) | instskip(NEXT) | instid1(VALU_DEP_2)
	v_add_f64 v[1:2], v[1:2], v[12:13]
	v_add_f64 v[3:4], v[3:4], v[10:11]
	s_delay_alu instid0(VALU_DEP_2) | instskip(NEXT) | instid1(VALU_DEP_2)
	v_add_f64 v[1:2], v[158:159], -v[1:2]
	v_add_f64 v[3:4], v[160:161], -v[3:4]
	scratch_store_b128 off, v[1:4], off offset:32
	v_cmpx_lt_u32_e32 1, v120
	s_cbranch_execz .LBB100_233
; %bb.232:
	scratch_load_b128 v[1:4], v124, off
	v_mov_b32_e32 v5, 0
	s_delay_alu instid0(VALU_DEP_1)
	v_mov_b32_e32 v6, v5
	v_mov_b32_e32 v7, v5
	;; [unrolled: 1-line block ×3, first 2 shown]
	scratch_store_b128 off, v[5:8], off offset:16
	s_waitcnt vmcnt(0)
	ds_store_b128 v157, v[1:4]
.LBB100_233:
	s_or_b32 exec_lo, exec_lo, s2
	s_waitcnt lgkmcnt(0)
	s_waitcnt_vscnt null, 0x0
	s_barrier
	buffer_gl0_inv
	s_clause 0x7
	scratch_load_b128 v[2:5], off, off offset:32
	scratch_load_b128 v[6:9], off, off offset:48
	;; [unrolled: 1-line block ×8, first 2 shown]
	v_mov_b32_e32 v1, 0
	s_mov_b32 s2, exec_lo
	ds_load_b128 v[38:41], v1 offset:624
	s_clause 0x1
	scratch_load_b128 v[34:37], off, off offset:160
	scratch_load_b128 v[42:45], off, off offset:16
	ds_load_b128 v[158:161], v1 offset:640
	scratch_load_b128 v[162:165], off, off offset:176
	s_waitcnt vmcnt(10) lgkmcnt(1)
	v_mul_f64 v[166:167], v[40:41], v[4:5]
	v_mul_f64 v[4:5], v[38:39], v[4:5]
	s_delay_alu instid0(VALU_DEP_2) | instskip(NEXT) | instid1(VALU_DEP_2)
	v_fma_f64 v[172:173], v[38:39], v[2:3], -v[166:167]
	v_fma_f64 v[174:175], v[40:41], v[2:3], v[4:5]
	scratch_load_b128 v[38:41], off, off offset:192
	ds_load_b128 v[2:5], v1 offset:656
	s_waitcnt vmcnt(10) lgkmcnt(1)
	v_mul_f64 v[170:171], v[158:159], v[8:9]
	v_mul_f64 v[8:9], v[160:161], v[8:9]
	ds_load_b128 v[166:169], v1 offset:672
	s_waitcnt vmcnt(9) lgkmcnt(1)
	v_mul_f64 v[176:177], v[2:3], v[12:13]
	v_mul_f64 v[12:13], v[4:5], v[12:13]
	v_fma_f64 v[160:161], v[160:161], v[6:7], v[170:171]
	v_fma_f64 v[158:159], v[158:159], v[6:7], -v[8:9]
	v_add_f64 v[170:171], v[172:173], 0
	v_add_f64 v[172:173], v[174:175], 0
	scratch_load_b128 v[6:9], off, off offset:208
	v_fma_f64 v[176:177], v[4:5], v[10:11], v[176:177]
	v_fma_f64 v[178:179], v[2:3], v[10:11], -v[12:13]
	scratch_load_b128 v[10:13], off, off offset:224
	ds_load_b128 v[2:5], v1 offset:688
	s_waitcnt vmcnt(10) lgkmcnt(1)
	v_mul_f64 v[174:175], v[166:167], v[16:17]
	v_mul_f64 v[16:17], v[168:169], v[16:17]
	v_add_f64 v[170:171], v[170:171], v[158:159]
	v_add_f64 v[172:173], v[172:173], v[160:161]
	s_waitcnt vmcnt(9) lgkmcnt(0)
	v_mul_f64 v[180:181], v[2:3], v[20:21]
	v_mul_f64 v[20:21], v[4:5], v[20:21]
	ds_load_b128 v[158:161], v1 offset:704
	v_fma_f64 v[168:169], v[168:169], v[14:15], v[174:175]
	v_fma_f64 v[166:167], v[166:167], v[14:15], -v[16:17]
	scratch_load_b128 v[14:17], off, off offset:240
	v_add_f64 v[170:171], v[170:171], v[178:179]
	v_add_f64 v[172:173], v[172:173], v[176:177]
	v_fma_f64 v[176:177], v[4:5], v[18:19], v[180:181]
	v_fma_f64 v[178:179], v[2:3], v[18:19], -v[20:21]
	scratch_load_b128 v[18:21], off, off offset:256
	ds_load_b128 v[2:5], v1 offset:720
	s_waitcnt vmcnt(10) lgkmcnt(1)
	v_mul_f64 v[174:175], v[158:159], v[24:25]
	v_mul_f64 v[24:25], v[160:161], v[24:25]
	s_waitcnt vmcnt(9) lgkmcnt(0)
	v_mul_f64 v[180:181], v[2:3], v[28:29]
	v_mul_f64 v[28:29], v[4:5], v[28:29]
	v_add_f64 v[170:171], v[170:171], v[166:167]
	v_add_f64 v[172:173], v[172:173], v[168:169]
	ds_load_b128 v[166:169], v1 offset:736
	v_fma_f64 v[160:161], v[160:161], v[22:23], v[174:175]
	v_fma_f64 v[158:159], v[158:159], v[22:23], -v[24:25]
	scratch_load_b128 v[22:25], off, off offset:272
	v_add_f64 v[170:171], v[170:171], v[178:179]
	v_add_f64 v[172:173], v[172:173], v[176:177]
	v_fma_f64 v[176:177], v[4:5], v[26:27], v[180:181]
	v_fma_f64 v[178:179], v[2:3], v[26:27], -v[28:29]
	scratch_load_b128 v[26:29], off, off offset:288
	ds_load_b128 v[2:5], v1 offset:752
	s_waitcnt vmcnt(10) lgkmcnt(1)
	v_mul_f64 v[174:175], v[166:167], v[32:33]
	v_mul_f64 v[32:33], v[168:169], v[32:33]
	s_waitcnt vmcnt(9) lgkmcnt(0)
	v_mul_f64 v[180:181], v[2:3], v[36:37]
	v_mul_f64 v[36:37], v[4:5], v[36:37]
	v_add_f64 v[170:171], v[170:171], v[158:159]
	v_add_f64 v[172:173], v[172:173], v[160:161]
	ds_load_b128 v[158:161], v1 offset:768
	v_fma_f64 v[168:169], v[168:169], v[30:31], v[174:175]
	v_fma_f64 v[166:167], v[166:167], v[30:31], -v[32:33]
	scratch_load_b128 v[30:33], off, off offset:304
	v_add_f64 v[170:171], v[170:171], v[178:179]
	v_add_f64 v[172:173], v[172:173], v[176:177]
	v_fma_f64 v[178:179], v[4:5], v[34:35], v[180:181]
	v_fma_f64 v[180:181], v[2:3], v[34:35], -v[36:37]
	scratch_load_b128 v[34:37], off, off offset:320
	ds_load_b128 v[2:5], v1 offset:784
	s_waitcnt vmcnt(9) lgkmcnt(1)
	v_mul_f64 v[174:175], v[158:159], v[164:165]
	v_mul_f64 v[176:177], v[160:161], v[164:165]
	v_add_f64 v[170:171], v[170:171], v[166:167]
	v_add_f64 v[168:169], v[172:173], v[168:169]
	ds_load_b128 v[164:167], v1 offset:800
	v_fma_f64 v[174:175], v[160:161], v[162:163], v[174:175]
	v_fma_f64 v[162:163], v[158:159], v[162:163], -v[176:177]
	scratch_load_b128 v[158:161], off, off offset:336
	s_waitcnt vmcnt(9) lgkmcnt(1)
	v_mul_f64 v[172:173], v[2:3], v[40:41]
	v_mul_f64 v[40:41], v[4:5], v[40:41]
	v_add_f64 v[170:171], v[170:171], v[180:181]
	v_add_f64 v[168:169], v[168:169], v[178:179]
	s_delay_alu instid0(VALU_DEP_4) | instskip(NEXT) | instid1(VALU_DEP_4)
	v_fma_f64 v[172:173], v[4:5], v[38:39], v[172:173]
	v_fma_f64 v[178:179], v[2:3], v[38:39], -v[40:41]
	scratch_load_b128 v[38:41], off, off offset:352
	ds_load_b128 v[2:5], v1 offset:816
	s_waitcnt vmcnt(9) lgkmcnt(1)
	v_mul_f64 v[176:177], v[164:165], v[8:9]
	v_mul_f64 v[8:9], v[166:167], v[8:9]
	s_waitcnt vmcnt(8) lgkmcnt(0)
	v_mul_f64 v[180:181], v[2:3], v[12:13]
	v_mul_f64 v[12:13], v[4:5], v[12:13]
	v_add_f64 v[162:163], v[170:171], v[162:163]
	v_add_f64 v[174:175], v[168:169], v[174:175]
	ds_load_b128 v[168:171], v1 offset:832
	v_fma_f64 v[166:167], v[166:167], v[6:7], v[176:177]
	v_fma_f64 v[164:165], v[164:165], v[6:7], -v[8:9]
	scratch_load_b128 v[6:9], off, off offset:368
	v_fma_f64 v[176:177], v[4:5], v[10:11], v[180:181]
	v_add_f64 v[162:163], v[162:163], v[178:179]
	v_add_f64 v[172:173], v[174:175], v[172:173]
	v_fma_f64 v[178:179], v[2:3], v[10:11], -v[12:13]
	scratch_load_b128 v[10:13], off, off offset:384
	ds_load_b128 v[2:5], v1 offset:848
	s_waitcnt vmcnt(9) lgkmcnt(1)
	v_mul_f64 v[174:175], v[168:169], v[16:17]
	v_mul_f64 v[16:17], v[170:171], v[16:17]
	v_add_f64 v[180:181], v[162:163], v[164:165]
	v_add_f64 v[166:167], v[172:173], v[166:167]
	s_waitcnt vmcnt(8) lgkmcnt(0)
	v_mul_f64 v[172:173], v[2:3], v[20:21]
	v_mul_f64 v[20:21], v[4:5], v[20:21]
	ds_load_b128 v[162:165], v1 offset:864
	v_fma_f64 v[170:171], v[170:171], v[14:15], v[174:175]
	v_fma_f64 v[168:169], v[168:169], v[14:15], -v[16:17]
	scratch_load_b128 v[14:17], off, off offset:400
	v_add_f64 v[174:175], v[180:181], v[178:179]
	v_add_f64 v[166:167], v[166:167], v[176:177]
	v_fma_f64 v[172:173], v[4:5], v[18:19], v[172:173]
	v_fma_f64 v[178:179], v[2:3], v[18:19], -v[20:21]
	scratch_load_b128 v[18:21], off, off offset:416
	ds_load_b128 v[2:5], v1 offset:880
	s_waitcnt vmcnt(9) lgkmcnt(1)
	v_mul_f64 v[176:177], v[162:163], v[24:25]
	v_mul_f64 v[24:25], v[164:165], v[24:25]
	s_waitcnt vmcnt(8) lgkmcnt(0)
	v_mul_f64 v[180:181], v[2:3], v[28:29]
	v_mul_f64 v[28:29], v[4:5], v[28:29]
	v_add_f64 v[174:175], v[174:175], v[168:169]
	v_add_f64 v[170:171], v[166:167], v[170:171]
	ds_load_b128 v[166:169], v1 offset:896
	v_fma_f64 v[164:165], v[164:165], v[22:23], v[176:177]
	v_fma_f64 v[162:163], v[162:163], v[22:23], -v[24:25]
	scratch_load_b128 v[22:25], off, off offset:432
	v_fma_f64 v[176:177], v[4:5], v[26:27], v[180:181]
	v_add_f64 v[174:175], v[174:175], v[178:179]
	v_add_f64 v[170:171], v[170:171], v[172:173]
	v_fma_f64 v[178:179], v[2:3], v[26:27], -v[28:29]
	scratch_load_b128 v[26:29], off, off offset:448
	ds_load_b128 v[2:5], v1 offset:912
	s_waitcnt vmcnt(9) lgkmcnt(1)
	v_mul_f64 v[172:173], v[166:167], v[32:33]
	v_mul_f64 v[32:33], v[168:169], v[32:33]
	s_waitcnt vmcnt(8) lgkmcnt(0)
	v_mul_f64 v[180:181], v[2:3], v[36:37]
	v_mul_f64 v[36:37], v[4:5], v[36:37]
	v_add_f64 v[174:175], v[174:175], v[162:163]
	v_add_f64 v[170:171], v[170:171], v[164:165]
	ds_load_b128 v[162:165], v1 offset:928
	v_fma_f64 v[168:169], v[168:169], v[30:31], v[172:173]
	v_fma_f64 v[166:167], v[166:167], v[30:31], -v[32:33]
	scratch_load_b128 v[30:33], off, off offset:464
	v_add_f64 v[172:173], v[174:175], v[178:179]
	v_add_f64 v[170:171], v[170:171], v[176:177]
	v_fma_f64 v[176:177], v[4:5], v[34:35], v[180:181]
	v_fma_f64 v[178:179], v[2:3], v[34:35], -v[36:37]
	scratch_load_b128 v[34:37], off, off offset:480
	ds_load_b128 v[2:5], v1 offset:944
	s_waitcnt vmcnt(9) lgkmcnt(1)
	v_mul_f64 v[174:175], v[162:163], v[160:161]
	v_mul_f64 v[160:161], v[164:165], v[160:161]
	s_waitcnt vmcnt(8) lgkmcnt(0)
	v_mul_f64 v[180:181], v[2:3], v[40:41]
	v_mul_f64 v[40:41], v[4:5], v[40:41]
	v_add_f64 v[172:173], v[172:173], v[166:167]
	v_add_f64 v[170:171], v[170:171], v[168:169]
	ds_load_b128 v[166:169], v1 offset:960
	v_fma_f64 v[164:165], v[164:165], v[158:159], v[174:175]
	v_fma_f64 v[162:163], v[162:163], v[158:159], -v[160:161]
	scratch_load_b128 v[158:161], off, off offset:496
	v_add_f64 v[172:173], v[172:173], v[178:179]
	v_add_f64 v[170:171], v[170:171], v[176:177]
	v_fma_f64 v[176:177], v[4:5], v[38:39], v[180:181]
	;; [unrolled: 18-line block ×4, first 2 shown]
	v_fma_f64 v[178:179], v[2:3], v[18:19], -v[20:21]
	scratch_load_b128 v[18:21], off, off offset:576
	ds_load_b128 v[2:5], v1 offset:1040
	s_waitcnt vmcnt(9) lgkmcnt(1)
	v_mul_f64 v[174:175], v[166:167], v[24:25]
	v_mul_f64 v[24:25], v[168:169], v[24:25]
	s_waitcnt vmcnt(8) lgkmcnt(0)
	v_mul_f64 v[180:181], v[2:3], v[28:29]
	v_mul_f64 v[28:29], v[4:5], v[28:29]
	v_add_f64 v[172:173], v[172:173], v[162:163]
	v_add_f64 v[170:171], v[170:171], v[164:165]
	ds_load_b128 v[162:165], v1 offset:1056
	v_fma_f64 v[168:169], v[168:169], v[22:23], v[174:175]
	v_fma_f64 v[22:23], v[166:167], v[22:23], -v[24:25]
	v_add_f64 v[24:25], v[172:173], v[178:179]
	v_add_f64 v[166:167], v[170:171], v[176:177]
	s_waitcnt vmcnt(7) lgkmcnt(0)
	v_mul_f64 v[170:171], v[162:163], v[32:33]
	v_mul_f64 v[32:33], v[164:165], v[32:33]
	v_fma_f64 v[172:173], v[4:5], v[26:27], v[180:181]
	v_fma_f64 v[26:27], v[2:3], v[26:27], -v[28:29]
	v_add_f64 v[28:29], v[24:25], v[22:23]
	v_add_f64 v[166:167], v[166:167], v[168:169]
	ds_load_b128 v[2:5], v1 offset:1072
	ds_load_b128 v[22:25], v1 offset:1088
	v_fma_f64 v[164:165], v[164:165], v[30:31], v[170:171]
	v_fma_f64 v[30:31], v[162:163], v[30:31], -v[32:33]
	s_waitcnt vmcnt(6) lgkmcnt(1)
	v_mul_f64 v[168:169], v[2:3], v[36:37]
	v_mul_f64 v[36:37], v[4:5], v[36:37]
	s_waitcnt vmcnt(5) lgkmcnt(0)
	v_mul_f64 v[32:33], v[22:23], v[160:161]
	v_mul_f64 v[160:161], v[24:25], v[160:161]
	v_add_f64 v[26:27], v[28:29], v[26:27]
	v_add_f64 v[28:29], v[166:167], v[172:173]
	v_fma_f64 v[162:163], v[4:5], v[34:35], v[168:169]
	v_fma_f64 v[34:35], v[2:3], v[34:35], -v[36:37]
	v_fma_f64 v[24:25], v[24:25], v[158:159], v[32:33]
	v_fma_f64 v[22:23], v[22:23], v[158:159], -v[160:161]
	v_add_f64 v[30:31], v[26:27], v[30:31]
	v_add_f64 v[36:37], v[28:29], v[164:165]
	ds_load_b128 v[2:5], v1 offset:1104
	ds_load_b128 v[26:29], v1 offset:1120
	s_waitcnt vmcnt(4) lgkmcnt(1)
	v_mul_f64 v[164:165], v[2:3], v[40:41]
	v_mul_f64 v[40:41], v[4:5], v[40:41]
	v_add_f64 v[30:31], v[30:31], v[34:35]
	v_add_f64 v[32:33], v[36:37], v[162:163]
	s_waitcnt vmcnt(3) lgkmcnt(0)
	v_mul_f64 v[34:35], v[26:27], v[8:9]
	v_mul_f64 v[8:9], v[28:29], v[8:9]
	v_fma_f64 v[36:37], v[4:5], v[38:39], v[164:165]
	v_fma_f64 v[38:39], v[2:3], v[38:39], -v[40:41]
	v_add_f64 v[30:31], v[30:31], v[22:23]
	v_add_f64 v[32:33], v[32:33], v[24:25]
	ds_load_b128 v[2:5], v1 offset:1136
	ds_load_b128 v[22:25], v1 offset:1152
	v_fma_f64 v[28:29], v[28:29], v[6:7], v[34:35]
	v_fma_f64 v[6:7], v[26:27], v[6:7], -v[8:9]
	s_waitcnt vmcnt(2) lgkmcnt(1)
	v_mul_f64 v[40:41], v[2:3], v[12:13]
	v_mul_f64 v[12:13], v[4:5], v[12:13]
	v_add_f64 v[8:9], v[30:31], v[38:39]
	v_add_f64 v[26:27], v[32:33], v[36:37]
	s_waitcnt vmcnt(1) lgkmcnt(0)
	v_mul_f64 v[30:31], v[22:23], v[16:17]
	v_mul_f64 v[16:17], v[24:25], v[16:17]
	v_fma_f64 v[32:33], v[4:5], v[10:11], v[40:41]
	v_fma_f64 v[10:11], v[2:3], v[10:11], -v[12:13]
	ds_load_b128 v[2:5], v1 offset:1168
	v_add_f64 v[6:7], v[8:9], v[6:7]
	v_add_f64 v[8:9], v[26:27], v[28:29]
	v_fma_f64 v[24:25], v[24:25], v[14:15], v[30:31]
	v_fma_f64 v[14:15], v[22:23], v[14:15], -v[16:17]
	s_waitcnt vmcnt(0) lgkmcnt(0)
	v_mul_f64 v[12:13], v[2:3], v[20:21]
	v_mul_f64 v[20:21], v[4:5], v[20:21]
	v_add_f64 v[6:7], v[6:7], v[10:11]
	v_add_f64 v[8:9], v[8:9], v[32:33]
	s_delay_alu instid0(VALU_DEP_4) | instskip(NEXT) | instid1(VALU_DEP_4)
	v_fma_f64 v[4:5], v[4:5], v[18:19], v[12:13]
	v_fma_f64 v[2:3], v[2:3], v[18:19], -v[20:21]
	s_delay_alu instid0(VALU_DEP_4) | instskip(NEXT) | instid1(VALU_DEP_4)
	v_add_f64 v[6:7], v[6:7], v[14:15]
	v_add_f64 v[8:9], v[8:9], v[24:25]
	s_delay_alu instid0(VALU_DEP_2) | instskip(NEXT) | instid1(VALU_DEP_2)
	v_add_f64 v[2:3], v[6:7], v[2:3]
	v_add_f64 v[4:5], v[8:9], v[4:5]
	s_delay_alu instid0(VALU_DEP_2) | instskip(NEXT) | instid1(VALU_DEP_2)
	v_add_f64 v[2:3], v[42:43], -v[2:3]
	v_add_f64 v[4:5], v[44:45], -v[4:5]
	scratch_store_b128 off, v[2:5], off offset:16
	v_cmpx_ne_u32_e32 0, v120
	s_cbranch_execz .LBB100_235
; %bb.234:
	scratch_load_b128 v[5:8], off, off
	v_mov_b32_e32 v2, v1
	v_mov_b32_e32 v3, v1
	;; [unrolled: 1-line block ×3, first 2 shown]
	scratch_store_b128 off, v[1:4], off
	s_waitcnt vmcnt(0)
	ds_store_b128 v157, v[5:8]
.LBB100_235:
	s_or_b32 exec_lo, exec_lo, s2
	s_waitcnt lgkmcnt(0)
	s_waitcnt_vscnt null, 0x0
	s_barrier
	buffer_gl0_inv
	s_clause 0x8
	scratch_load_b128 v[2:5], off, off offset:16
	scratch_load_b128 v[6:9], off, off offset:32
	;; [unrolled: 1-line block ×9, first 2 shown]
	ds_load_b128 v[42:45], v1 offset:608
	ds_load_b128 v[38:41], v1 offset:624
	s_clause 0x1
	scratch_load_b128 v[157:160], off, off
	scratch_load_b128 v[161:164], off, off offset:160
	s_and_b32 vcc_lo, exec_lo, s14
	s_waitcnt vmcnt(10) lgkmcnt(1)
	v_mul_f64 v[165:166], v[44:45], v[4:5]
	v_mul_f64 v[4:5], v[42:43], v[4:5]
	s_waitcnt vmcnt(9) lgkmcnt(0)
	v_mul_f64 v[169:170], v[38:39], v[8:9]
	v_mul_f64 v[8:9], v[40:41], v[8:9]
	s_delay_alu instid0(VALU_DEP_4) | instskip(NEXT) | instid1(VALU_DEP_4)
	v_fma_f64 v[171:172], v[42:43], v[2:3], -v[165:166]
	v_fma_f64 v[173:174], v[44:45], v[2:3], v[4:5]
	ds_load_b128 v[2:5], v1 offset:640
	ds_load_b128 v[165:168], v1 offset:656
	scratch_load_b128 v[42:45], off, off offset:176
	v_fma_f64 v[40:41], v[40:41], v[6:7], v[169:170]
	v_fma_f64 v[38:39], v[38:39], v[6:7], -v[8:9]
	scratch_load_b128 v[6:9], off, off offset:192
	s_waitcnt vmcnt(10) lgkmcnt(1)
	v_mul_f64 v[175:176], v[2:3], v[12:13]
	v_mul_f64 v[12:13], v[4:5], v[12:13]
	v_add_f64 v[169:170], v[171:172], 0
	v_add_f64 v[171:172], v[173:174], 0
	s_waitcnt vmcnt(9) lgkmcnt(0)
	v_mul_f64 v[173:174], v[165:166], v[16:17]
	v_mul_f64 v[16:17], v[167:168], v[16:17]
	v_fma_f64 v[175:176], v[4:5], v[10:11], v[175:176]
	v_fma_f64 v[177:178], v[2:3], v[10:11], -v[12:13]
	ds_load_b128 v[2:5], v1 offset:672
	scratch_load_b128 v[10:13], off, off offset:208
	v_add_f64 v[169:170], v[169:170], v[38:39]
	v_add_f64 v[171:172], v[171:172], v[40:41]
	ds_load_b128 v[38:41], v1 offset:688
	v_fma_f64 v[167:168], v[167:168], v[14:15], v[173:174]
	v_fma_f64 v[165:166], v[165:166], v[14:15], -v[16:17]
	scratch_load_b128 v[14:17], off, off offset:224
	s_waitcnt vmcnt(10) lgkmcnt(1)
	v_mul_f64 v[179:180], v[2:3], v[20:21]
	v_mul_f64 v[20:21], v[4:5], v[20:21]
	s_waitcnt vmcnt(9) lgkmcnt(0)
	v_mul_f64 v[173:174], v[38:39], v[24:25]
	v_mul_f64 v[24:25], v[40:41], v[24:25]
	v_add_f64 v[169:170], v[169:170], v[177:178]
	v_add_f64 v[171:172], v[171:172], v[175:176]
	v_fma_f64 v[175:176], v[4:5], v[18:19], v[179:180]
	v_fma_f64 v[177:178], v[2:3], v[18:19], -v[20:21]
	ds_load_b128 v[2:5], v1 offset:704
	scratch_load_b128 v[18:21], off, off offset:240
	v_fma_f64 v[40:41], v[40:41], v[22:23], v[173:174]
	v_fma_f64 v[38:39], v[38:39], v[22:23], -v[24:25]
	scratch_load_b128 v[22:25], off, off offset:256
	v_add_f64 v[169:170], v[169:170], v[165:166]
	v_add_f64 v[171:172], v[171:172], v[167:168]
	ds_load_b128 v[165:168], v1 offset:720
	s_waitcnt vmcnt(10) lgkmcnt(1)
	v_mul_f64 v[179:180], v[2:3], v[28:29]
	v_mul_f64 v[28:29], v[4:5], v[28:29]
	s_waitcnt vmcnt(9) lgkmcnt(0)
	v_mul_f64 v[173:174], v[165:166], v[32:33]
	v_mul_f64 v[32:33], v[167:168], v[32:33]
	v_add_f64 v[169:170], v[169:170], v[177:178]
	v_add_f64 v[171:172], v[171:172], v[175:176]
	v_fma_f64 v[175:176], v[4:5], v[26:27], v[179:180]
	v_fma_f64 v[177:178], v[2:3], v[26:27], -v[28:29]
	ds_load_b128 v[2:5], v1 offset:736
	scratch_load_b128 v[26:29], off, off offset:272
	v_fma_f64 v[167:168], v[167:168], v[30:31], v[173:174]
	v_fma_f64 v[165:166], v[165:166], v[30:31], -v[32:33]
	scratch_load_b128 v[30:33], off, off offset:288
	v_add_f64 v[169:170], v[169:170], v[38:39]
	v_add_f64 v[171:172], v[171:172], v[40:41]
	ds_load_b128 v[38:41], v1 offset:752
	s_waitcnt vmcnt(10) lgkmcnt(1)
	v_mul_f64 v[179:180], v[2:3], v[36:37]
	v_mul_f64 v[36:37], v[4:5], v[36:37]
	s_waitcnt vmcnt(8) lgkmcnt(0)
	v_mul_f64 v[173:174], v[38:39], v[163:164]
	v_add_f64 v[169:170], v[169:170], v[177:178]
	v_add_f64 v[171:172], v[171:172], v[175:176]
	v_mul_f64 v[175:176], v[40:41], v[163:164]
	v_fma_f64 v[177:178], v[4:5], v[34:35], v[179:180]
	v_fma_f64 v[179:180], v[2:3], v[34:35], -v[36:37]
	ds_load_b128 v[2:5], v1 offset:768
	scratch_load_b128 v[34:37], off, off offset:304
	v_fma_f64 v[173:174], v[40:41], v[161:162], v[173:174]
	v_add_f64 v[169:170], v[169:170], v[165:166]
	v_add_f64 v[167:168], v[171:172], v[167:168]
	ds_load_b128 v[163:166], v1 offset:784
	v_fma_f64 v[161:162], v[38:39], v[161:162], -v[175:176]
	scratch_load_b128 v[38:41], off, off offset:320
	s_waitcnt vmcnt(9) lgkmcnt(1)
	v_mul_f64 v[171:172], v[2:3], v[44:45]
	v_mul_f64 v[44:45], v[4:5], v[44:45]
	s_waitcnt vmcnt(8) lgkmcnt(0)
	v_mul_f64 v[175:176], v[163:164], v[8:9]
	v_mul_f64 v[8:9], v[165:166], v[8:9]
	v_add_f64 v[169:170], v[169:170], v[179:180]
	v_add_f64 v[167:168], v[167:168], v[177:178]
	v_fma_f64 v[171:172], v[4:5], v[42:43], v[171:172]
	v_fma_f64 v[177:178], v[2:3], v[42:43], -v[44:45]
	ds_load_b128 v[2:5], v1 offset:800
	scratch_load_b128 v[42:45], off, off offset:336
	v_fma_f64 v[165:166], v[165:166], v[6:7], v[175:176]
	v_fma_f64 v[163:164], v[163:164], v[6:7], -v[8:9]
	scratch_load_b128 v[6:9], off, off offset:352
	v_add_f64 v[161:162], v[169:170], v[161:162]
	v_add_f64 v[173:174], v[167:168], v[173:174]
	ds_load_b128 v[167:170], v1 offset:816
	s_waitcnt vmcnt(9) lgkmcnt(1)
	v_mul_f64 v[179:180], v[2:3], v[12:13]
	v_mul_f64 v[12:13], v[4:5], v[12:13]
	v_add_f64 v[161:162], v[161:162], v[177:178]
	v_add_f64 v[171:172], v[173:174], v[171:172]
	s_waitcnt vmcnt(8) lgkmcnt(0)
	v_mul_f64 v[173:174], v[167:168], v[16:17]
	v_mul_f64 v[16:17], v[169:170], v[16:17]
	v_fma_f64 v[175:176], v[4:5], v[10:11], v[179:180]
	v_fma_f64 v[177:178], v[2:3], v[10:11], -v[12:13]
	ds_load_b128 v[2:5], v1 offset:832
	scratch_load_b128 v[10:13], off, off offset:368
	v_add_f64 v[179:180], v[161:162], v[163:164]
	v_add_f64 v[165:166], v[171:172], v[165:166]
	ds_load_b128 v[161:164], v1 offset:848
	s_waitcnt vmcnt(8) lgkmcnt(1)
	v_mul_f64 v[171:172], v[2:3], v[20:21]
	v_mul_f64 v[20:21], v[4:5], v[20:21]
	v_fma_f64 v[169:170], v[169:170], v[14:15], v[173:174]
	v_fma_f64 v[167:168], v[167:168], v[14:15], -v[16:17]
	scratch_load_b128 v[14:17], off, off offset:384
	v_add_f64 v[173:174], v[179:180], v[177:178]
	v_add_f64 v[165:166], v[165:166], v[175:176]
	s_waitcnt vmcnt(8) lgkmcnt(0)
	v_mul_f64 v[175:176], v[161:162], v[24:25]
	v_mul_f64 v[24:25], v[163:164], v[24:25]
	v_fma_f64 v[171:172], v[4:5], v[18:19], v[171:172]
	v_fma_f64 v[177:178], v[2:3], v[18:19], -v[20:21]
	ds_load_b128 v[2:5], v1 offset:864
	scratch_load_b128 v[18:21], off, off offset:400
	v_add_f64 v[173:174], v[173:174], v[167:168]
	v_add_f64 v[169:170], v[165:166], v[169:170]
	ds_load_b128 v[165:168], v1 offset:880
	s_waitcnt vmcnt(8) lgkmcnt(1)
	v_mul_f64 v[179:180], v[2:3], v[28:29]
	v_mul_f64 v[28:29], v[4:5], v[28:29]
	v_fma_f64 v[163:164], v[163:164], v[22:23], v[175:176]
	v_fma_f64 v[161:162], v[161:162], v[22:23], -v[24:25]
	scratch_load_b128 v[22:25], off, off offset:416
	;; [unrolled: 18-line block ×4, first 2 shown]
	s_waitcnt vmcnt(8) lgkmcnt(0)
	v_mul_f64 v[173:174], v[165:166], v[8:9]
	v_mul_f64 v[8:9], v[167:168], v[8:9]
	v_add_f64 v[171:172], v[171:172], v[177:178]
	v_add_f64 v[169:170], v[169:170], v[175:176]
	v_fma_f64 v[175:176], v[4:5], v[42:43], v[179:180]
	v_fma_f64 v[177:178], v[2:3], v[42:43], -v[44:45]
	ds_load_b128 v[2:5], v1 offset:960
	scratch_load_b128 v[42:45], off, off offset:496
	v_fma_f64 v[167:168], v[167:168], v[6:7], v[173:174]
	v_fma_f64 v[165:166], v[165:166], v[6:7], -v[8:9]
	scratch_load_b128 v[6:9], off, off offset:512
	v_add_f64 v[171:172], v[171:172], v[161:162]
	v_add_f64 v[169:170], v[169:170], v[163:164]
	ds_load_b128 v[161:164], v1 offset:976
	s_waitcnt vmcnt(9) lgkmcnt(1)
	v_mul_f64 v[179:180], v[2:3], v[12:13]
	v_mul_f64 v[12:13], v[4:5], v[12:13]
	s_waitcnt vmcnt(8) lgkmcnt(0)
	v_mul_f64 v[173:174], v[161:162], v[16:17]
	v_mul_f64 v[16:17], v[163:164], v[16:17]
	v_add_f64 v[171:172], v[171:172], v[177:178]
	v_add_f64 v[169:170], v[169:170], v[175:176]
	v_fma_f64 v[175:176], v[4:5], v[10:11], v[179:180]
	v_fma_f64 v[177:178], v[2:3], v[10:11], -v[12:13]
	ds_load_b128 v[2:5], v1 offset:992
	scratch_load_b128 v[10:13], off, off offset:528
	v_fma_f64 v[163:164], v[163:164], v[14:15], v[173:174]
	v_fma_f64 v[161:162], v[161:162], v[14:15], -v[16:17]
	scratch_load_b128 v[14:17], off, off offset:544
	v_add_f64 v[171:172], v[171:172], v[165:166]
	v_add_f64 v[169:170], v[169:170], v[167:168]
	ds_load_b128 v[165:168], v1 offset:1008
	s_waitcnt vmcnt(9) lgkmcnt(1)
	v_mul_f64 v[179:180], v[2:3], v[20:21]
	v_mul_f64 v[20:21], v[4:5], v[20:21]
	;; [unrolled: 18-line block ×3, first 2 shown]
	s_waitcnt vmcnt(8) lgkmcnt(0)
	v_mul_f64 v[173:174], v[161:162], v[32:33]
	v_mul_f64 v[32:33], v[163:164], v[32:33]
	v_add_f64 v[171:172], v[171:172], v[177:178]
	v_add_f64 v[169:170], v[169:170], v[175:176]
	v_fma_f64 v[175:176], v[4:5], v[26:27], v[179:180]
	v_fma_f64 v[177:178], v[2:3], v[26:27], -v[28:29]
	ds_load_b128 v[2:5], v1 offset:1056
	ds_load_b128 v[26:29], v1 offset:1072
	v_fma_f64 v[163:164], v[163:164], v[30:31], v[173:174]
	v_fma_f64 v[30:31], v[161:162], v[30:31], -v[32:33]
	v_add_f64 v[165:166], v[171:172], v[165:166]
	v_add_f64 v[167:168], v[169:170], v[167:168]
	s_waitcnt vmcnt(7) lgkmcnt(1)
	v_mul_f64 v[169:170], v[2:3], v[36:37]
	v_mul_f64 v[36:37], v[4:5], v[36:37]
	s_delay_alu instid0(VALU_DEP_4) | instskip(NEXT) | instid1(VALU_DEP_4)
	v_add_f64 v[32:33], v[165:166], v[177:178]
	v_add_f64 v[161:162], v[167:168], v[175:176]
	s_waitcnt vmcnt(6) lgkmcnt(0)
	v_mul_f64 v[165:166], v[26:27], v[40:41]
	v_mul_f64 v[40:41], v[28:29], v[40:41]
	v_fma_f64 v[167:168], v[4:5], v[34:35], v[169:170]
	v_fma_f64 v[34:35], v[2:3], v[34:35], -v[36:37]
	v_add_f64 v[36:37], v[32:33], v[30:31]
	v_add_f64 v[161:162], v[161:162], v[163:164]
	ds_load_b128 v[2:5], v1 offset:1088
	ds_load_b128 v[30:33], v1 offset:1104
	v_fma_f64 v[28:29], v[28:29], v[38:39], v[165:166]
	v_fma_f64 v[26:27], v[26:27], v[38:39], -v[40:41]
	s_waitcnt vmcnt(5) lgkmcnt(1)
	v_mul_f64 v[163:164], v[2:3], v[44:45]
	v_mul_f64 v[44:45], v[4:5], v[44:45]
	s_waitcnt vmcnt(4) lgkmcnt(0)
	v_mul_f64 v[38:39], v[30:31], v[8:9]
	v_mul_f64 v[8:9], v[32:33], v[8:9]
	v_add_f64 v[34:35], v[36:37], v[34:35]
	v_add_f64 v[36:37], v[161:162], v[167:168]
	v_fma_f64 v[40:41], v[4:5], v[42:43], v[163:164]
	v_fma_f64 v[42:43], v[2:3], v[42:43], -v[44:45]
	v_fma_f64 v[32:33], v[32:33], v[6:7], v[38:39]
	v_fma_f64 v[6:7], v[30:31], v[6:7], -v[8:9]
	v_add_f64 v[34:35], v[34:35], v[26:27]
	v_add_f64 v[36:37], v[36:37], v[28:29]
	ds_load_b128 v[2:5], v1 offset:1120
	ds_load_b128 v[26:29], v1 offset:1136
	s_waitcnt vmcnt(3) lgkmcnt(1)
	v_mul_f64 v[44:45], v[2:3], v[12:13]
	v_mul_f64 v[12:13], v[4:5], v[12:13]
	v_add_f64 v[8:9], v[34:35], v[42:43]
	v_add_f64 v[30:31], v[36:37], v[40:41]
	s_waitcnt vmcnt(2) lgkmcnt(0)
	v_mul_f64 v[34:35], v[26:27], v[16:17]
	v_mul_f64 v[16:17], v[28:29], v[16:17]
	v_fma_f64 v[36:37], v[4:5], v[10:11], v[44:45]
	v_fma_f64 v[10:11], v[2:3], v[10:11], -v[12:13]
	v_add_f64 v[12:13], v[8:9], v[6:7]
	v_add_f64 v[30:31], v[30:31], v[32:33]
	ds_load_b128 v[2:5], v1 offset:1152
	ds_load_b128 v[6:9], v1 offset:1168
	v_fma_f64 v[28:29], v[28:29], v[14:15], v[34:35]
	v_fma_f64 v[14:15], v[26:27], v[14:15], -v[16:17]
	s_waitcnt vmcnt(1) lgkmcnt(1)
	v_mul_f64 v[32:33], v[2:3], v[20:21]
	v_mul_f64 v[20:21], v[4:5], v[20:21]
	s_waitcnt vmcnt(0) lgkmcnt(0)
	v_mul_f64 v[16:17], v[6:7], v[24:25]
	v_mul_f64 v[24:25], v[8:9], v[24:25]
	v_add_f64 v[10:11], v[12:13], v[10:11]
	v_add_f64 v[12:13], v[30:31], v[36:37]
	v_fma_f64 v[4:5], v[4:5], v[18:19], v[32:33]
	v_fma_f64 v[1:2], v[2:3], v[18:19], -v[20:21]
	v_fma_f64 v[8:9], v[8:9], v[22:23], v[16:17]
	v_fma_f64 v[6:7], v[6:7], v[22:23], -v[24:25]
	v_add_f64 v[10:11], v[10:11], v[14:15]
	v_add_f64 v[12:13], v[12:13], v[28:29]
	s_delay_alu instid0(VALU_DEP_2) | instskip(NEXT) | instid1(VALU_DEP_2)
	v_add_f64 v[1:2], v[10:11], v[1:2]
	v_add_f64 v[3:4], v[12:13], v[4:5]
	s_delay_alu instid0(VALU_DEP_2) | instskip(NEXT) | instid1(VALU_DEP_2)
	;; [unrolled: 3-line block ×3, first 2 shown]
	v_add_f64 v[1:2], v[157:158], -v[1:2]
	v_add_f64 v[3:4], v[159:160], -v[3:4]
	scratch_store_b128 off, v[1:4], off
	s_cbranch_vccz .LBB100_309
; %bb.236:
	v_dual_mov_b32 v1, s8 :: v_dual_mov_b32 v2, s9
	s_load_b64 s[0:1], s[0:1], 0x4
	flat_load_b32 v1, v[1:2] offset:140
	v_bfe_u32 v2, v0, 10, 10
	v_bfe_u32 v0, v0, 20, 10
	s_waitcnt lgkmcnt(0)
	s_lshr_b32 s0, s0, 16
	s_delay_alu instid0(VALU_DEP_2) | instskip(SKIP_1) | instid1(SALU_CYCLE_1)
	v_mul_u32_u24_e32 v2, s1, v2
	s_mul_i32 s0, s0, s1
	v_mul_u32_u24_e32 v3, s0, v120
	s_mov_b32 s0, exec_lo
	s_delay_alu instid0(VALU_DEP_1) | instskip(NEXT) | instid1(VALU_DEP_1)
	v_add3_u32 v0, v3, v2, v0
	v_lshl_add_u32 v0, v0, 4, 0x4a8
	s_waitcnt vmcnt(0)
	v_cmpx_ne_u32_e32 36, v1
	s_cbranch_execz .LBB100_238
; %bb.237:
	v_lshl_add_u32 v9, v1, 4, 0
	s_clause 0x1
	scratch_load_b128 v[1:4], v128, off
	scratch_load_b128 v[5:8], v9, off offset:-16
	s_waitcnt vmcnt(1)
	ds_store_2addr_b64 v0, v[1:2], v[3:4] offset1:1
	s_waitcnt vmcnt(0)
	s_clause 0x1
	scratch_store_b128 v128, v[5:8], off
	scratch_store_b128 v9, v[1:4], off offset:-16
.LBB100_238:
	s_or_b32 exec_lo, exec_lo, s0
	v_dual_mov_b32 v1, s8 :: v_dual_mov_b32 v2, s9
	s_mov_b32 s0, exec_lo
	flat_load_b32 v1, v[1:2] offset:136
	s_waitcnt vmcnt(0) lgkmcnt(0)
	v_cmpx_ne_u32_e32 35, v1
	s_cbranch_execz .LBB100_240
; %bb.239:
	v_lshl_add_u32 v9, v1, 4, 0
	s_clause 0x1
	scratch_load_b128 v[1:4], v132, off
	scratch_load_b128 v[5:8], v9, off offset:-16
	s_waitcnt vmcnt(1)
	ds_store_2addr_b64 v0, v[1:2], v[3:4] offset1:1
	s_waitcnt vmcnt(0)
	s_clause 0x1
	scratch_store_b128 v132, v[5:8], off
	scratch_store_b128 v9, v[1:4], off offset:-16
.LBB100_240:
	s_or_b32 exec_lo, exec_lo, s0
	v_dual_mov_b32 v1, s8 :: v_dual_mov_b32 v2, s9
	s_mov_b32 s0, exec_lo
	flat_load_b32 v1, v[1:2] offset:132
	s_waitcnt vmcnt(0) lgkmcnt(0)
	;; [unrolled: 19-line block ×34, first 2 shown]
	v_cmpx_ne_u32_e32 2, v1
	s_cbranch_execz .LBB100_306
; %bb.305:
	v_lshl_add_u32 v9, v1, 4, 0
	s_clause 0x1
	scratch_load_b128 v[1:4], v124, off
	scratch_load_b128 v[5:8], v9, off offset:-16
	s_waitcnt vmcnt(1)
	ds_store_2addr_b64 v0, v[1:2], v[3:4] offset1:1
	s_waitcnt vmcnt(0)
	s_clause 0x1
	scratch_store_b128 v124, v[5:8], off
	scratch_store_b128 v9, v[1:4], off offset:-16
.LBB100_306:
	s_or_b32 exec_lo, exec_lo, s0
	v_dual_mov_b32 v1, s8 :: v_dual_mov_b32 v2, s9
	s_mov_b32 s0, exec_lo
	flat_load_b32 v1, v[1:2]
	s_waitcnt vmcnt(0) lgkmcnt(0)
	v_cmpx_ne_u32_e32 1, v1
	s_cbranch_execz .LBB100_308
; %bb.307:
	v_lshl_add_u32 v9, v1, 4, 0
	scratch_load_b128 v[1:4], off, off
	scratch_load_b128 v[5:8], v9, off offset:-16
	s_waitcnt vmcnt(1)
	ds_store_2addr_b64 v0, v[1:2], v[3:4] offset1:1
	s_waitcnt vmcnt(0)
	scratch_store_b128 off, v[5:8], off
	scratch_store_b128 v9, v[1:4], off offset:-16
.LBB100_308:
	s_or_b32 exec_lo, exec_lo, s0
.LBB100_309:
	scratch_load_b128 v[0:3], off, off
	s_clause 0x17
	scratch_load_b128 v[4:7], v124, off
	scratch_load_b128 v[8:11], v123, off
	;; [unrolled: 1-line block ×24, first 2 shown]
	s_waitcnt vmcnt(24)
	global_store_b128 v[46:47], v[0:3], off
	s_clause 0x1
	scratch_load_b128 v[0:3], v156, off
	scratch_load_b128 v[44:47], v155, off
	s_waitcnt vmcnt(25)
	global_store_b128 v[48:49], v[4:7], off
	s_clause 0x1
	scratch_load_b128 v[4:7], v154, off
	scratch_load_b128 v[151:154], v153, off
	;; [unrolled: 5-line block ×6, first 2 shown]
	s_waitcnt vmcnt(30)
	global_store_b128 v[58:59], v[24:27], off
	s_waitcnt vmcnt(29)
	global_store_b128 v[60:61], v[28:31], off
	s_waitcnt vmcnt(28)
	global_store_b128 v[62:63], v[32:35], off
	s_waitcnt vmcnt(27)
	global_store_b128 v[64:65], v[36:39], off
	s_waitcnt vmcnt(26)
	global_store_b128 v[66:67], v[40:43], off
	s_waitcnt vmcnt(25)
	global_store_b128 v[68:69], v[120:123], off
	s_waitcnt vmcnt(24)
	global_store_b128 v[70:71], v[157:160], off
	s_waitcnt vmcnt(23)
	global_store_b128 v[72:73], v[143:146], off
	s_waitcnt vmcnt(22)
	global_store_b128 v[74:75], v[161:164], off
	s_waitcnt vmcnt(21)
	global_store_b128 v[76:77], v[165:168], off
	s_waitcnt vmcnt(20)
	global_store_b128 v[78:79], v[169:172], off
	s_waitcnt vmcnt(19)
	global_store_b128 v[80:81], v[173:176], off
	s_waitcnt vmcnt(18)
	global_store_b128 v[82:83], v[135:138], off
	s_waitcnt vmcnt(17)
	global_store_b128 v[84:85], v[177:180], off
	s_waitcnt vmcnt(16)
	global_store_b128 v[86:87], v[181:184], off
	s_waitcnt vmcnt(15)
	global_store_b128 v[88:89], v[185:188], off
	s_waitcnt vmcnt(14)
	global_store_b128 v[90:91], v[189:192], off
	s_waitcnt vmcnt(13)
	global_store_b128 v[92:93], v[193:196], off
	s_waitcnt vmcnt(12)
	global_store_b128 v[94:95], v[197:200], off
	s_waitcnt vmcnt(11)
	global_store_b128 v[96:97], v[0:3], off
	s_waitcnt vmcnt(10)
	global_store_b128 v[98:99], v[44:47], off
	s_waitcnt vmcnt(9)
	global_store_b128 v[100:101], v[4:7], off
	s_waitcnt vmcnt(8)
	global_store_b128 v[102:103], v[151:154], off
	s_waitcnt vmcnt(7)
	global_store_b128 v[104:105], v[8:11], off
	s_waitcnt vmcnt(6)
	global_store_b128 v[106:107], v[48:51], off
	s_waitcnt vmcnt(5)
	global_store_b128 v[108:109], v[12:15], off
	s_waitcnt vmcnt(4)
	global_store_b128 v[110:111], v[139:142], off
	s_waitcnt vmcnt(3)
	global_store_b128 v[112:113], v[16:19], off
	s_waitcnt vmcnt(2)
	global_store_b128 v[114:115], v[52:55], off
	s_waitcnt vmcnt(1)
	global_store_b128 v[116:117], v[20:23], off
	s_waitcnt vmcnt(0)
	global_store_b128 v[118:119], v[124:127], off
	s_endpgm
	.section	.rodata,"a",@progbits
	.p2align	6, 0x0
	.amdhsa_kernel _ZN9rocsolver6v33100L18getri_kernel_smallILi37E19rocblas_complex_numIdEPKPS3_EEvT1_iilPiilS8_bb
		.amdhsa_group_segment_fixed_size 2216
		.amdhsa_private_segment_fixed_size 608
		.amdhsa_kernarg_size 60
		.amdhsa_user_sgpr_count 15
		.amdhsa_user_sgpr_dispatch_ptr 1
		.amdhsa_user_sgpr_queue_ptr 0
		.amdhsa_user_sgpr_kernarg_segment_ptr 1
		.amdhsa_user_sgpr_dispatch_id 0
		.amdhsa_user_sgpr_private_segment_size 0
		.amdhsa_wavefront_size32 1
		.amdhsa_uses_dynamic_stack 0
		.amdhsa_enable_private_segment 1
		.amdhsa_system_sgpr_workgroup_id_x 1
		.amdhsa_system_sgpr_workgroup_id_y 0
		.amdhsa_system_sgpr_workgroup_id_z 0
		.amdhsa_system_sgpr_workgroup_info 0
		.amdhsa_system_vgpr_workitem_id 2
		.amdhsa_next_free_vgpr 213
		.amdhsa_next_free_sgpr 44
		.amdhsa_reserve_vcc 1
		.amdhsa_float_round_mode_32 0
		.amdhsa_float_round_mode_16_64 0
		.amdhsa_float_denorm_mode_32 3
		.amdhsa_float_denorm_mode_16_64 3
		.amdhsa_dx10_clamp 1
		.amdhsa_ieee_mode 1
		.amdhsa_fp16_overflow 0
		.amdhsa_workgroup_processor_mode 1
		.amdhsa_memory_ordered 1
		.amdhsa_forward_progress 0
		.amdhsa_shared_vgpr_count 0
		.amdhsa_exception_fp_ieee_invalid_op 0
		.amdhsa_exception_fp_denorm_src 0
		.amdhsa_exception_fp_ieee_div_zero 0
		.amdhsa_exception_fp_ieee_overflow 0
		.amdhsa_exception_fp_ieee_underflow 0
		.amdhsa_exception_fp_ieee_inexact 0
		.amdhsa_exception_int_div_zero 0
	.end_amdhsa_kernel
	.section	.text._ZN9rocsolver6v33100L18getri_kernel_smallILi37E19rocblas_complex_numIdEPKPS3_EEvT1_iilPiilS8_bb,"axG",@progbits,_ZN9rocsolver6v33100L18getri_kernel_smallILi37E19rocblas_complex_numIdEPKPS3_EEvT1_iilPiilS8_bb,comdat
.Lfunc_end100:
	.size	_ZN9rocsolver6v33100L18getri_kernel_smallILi37E19rocblas_complex_numIdEPKPS3_EEvT1_iilPiilS8_bb, .Lfunc_end100-_ZN9rocsolver6v33100L18getri_kernel_smallILi37E19rocblas_complex_numIdEPKPS3_EEvT1_iilPiilS8_bb
                                        ; -- End function
	.section	.AMDGPU.csdata,"",@progbits
; Kernel info:
; codeLenInByte = 68392
; NumSgprs: 46
; NumVgprs: 213
; ScratchSize: 608
; MemoryBound: 0
; FloatMode: 240
; IeeeMode: 1
; LDSByteSize: 2216 bytes/workgroup (compile time only)
; SGPRBlocks: 5
; VGPRBlocks: 26
; NumSGPRsForWavesPerEU: 46
; NumVGPRsForWavesPerEU: 213
; Occupancy: 7
; WaveLimiterHint : 1
; COMPUTE_PGM_RSRC2:SCRATCH_EN: 1
; COMPUTE_PGM_RSRC2:USER_SGPR: 15
; COMPUTE_PGM_RSRC2:TRAP_HANDLER: 0
; COMPUTE_PGM_RSRC2:TGID_X_EN: 1
; COMPUTE_PGM_RSRC2:TGID_Y_EN: 0
; COMPUTE_PGM_RSRC2:TGID_Z_EN: 0
; COMPUTE_PGM_RSRC2:TIDIG_COMP_CNT: 2
	.section	.text._ZN9rocsolver6v33100L18getri_kernel_smallILi38E19rocblas_complex_numIdEPKPS3_EEvT1_iilPiilS8_bb,"axG",@progbits,_ZN9rocsolver6v33100L18getri_kernel_smallILi38E19rocblas_complex_numIdEPKPS3_EEvT1_iilPiilS8_bb,comdat
	.globl	_ZN9rocsolver6v33100L18getri_kernel_smallILi38E19rocblas_complex_numIdEPKPS3_EEvT1_iilPiilS8_bb ; -- Begin function _ZN9rocsolver6v33100L18getri_kernel_smallILi38E19rocblas_complex_numIdEPKPS3_EEvT1_iilPiilS8_bb
	.p2align	8
	.type	_ZN9rocsolver6v33100L18getri_kernel_smallILi38E19rocblas_complex_numIdEPKPS3_EEvT1_iilPiilS8_bb,@function
_ZN9rocsolver6v33100L18getri_kernel_smallILi38E19rocblas_complex_numIdEPKPS3_EEvT1_iilPiilS8_bb: ; @_ZN9rocsolver6v33100L18getri_kernel_smallILi38E19rocblas_complex_numIdEPKPS3_EEvT1_iilPiilS8_bb
; %bb.0:
	v_and_b32_e32 v122, 0x3ff, v0
	s_mov_b32 s4, exec_lo
	s_delay_alu instid0(VALU_DEP_1)
	v_cmpx_gt_u32_e32 38, v122
	s_cbranch_execz .LBB101_166
; %bb.1:
	s_clause 0x1
	s_load_b32 s17, s[2:3], 0x38
	s_load_b64 s[8:9], s[2:3], 0x0
	s_mov_b32 s10, s15
	s_load_b128 s[4:7], s[2:3], 0x28
	s_waitcnt lgkmcnt(0)
	s_bitcmp1_b32 s17, 8
	s_cselect_b32 s16, -1, 0
	s_ashr_i32 s11, s15, 31
	s_delay_alu instid0(SALU_CYCLE_1) | instskip(NEXT) | instid1(SALU_CYCLE_1)
	s_lshl_b64 s[12:13], s[10:11], 3
	s_add_u32 s8, s8, s12
	s_addc_u32 s9, s9, s13
	s_load_b64 s[14:15], s[8:9], 0x0
	s_bfe_u32 s8, s17, 0x10008
	s_delay_alu instid0(SALU_CYCLE_1)
	s_cmp_eq_u32 s8, 0
                                        ; implicit-def: $sgpr8_sgpr9
	s_cbranch_scc1 .LBB101_3
; %bb.2:
	s_clause 0x1
	s_load_b32 s8, s[2:3], 0x20
	s_load_b64 s[12:13], s[2:3], 0x18
	s_mul_i32 s5, s10, s5
	s_mul_hi_u32 s9, s10, s4
	s_mul_i32 s18, s11, s4
	s_add_i32 s5, s9, s5
	s_mul_i32 s4, s10, s4
	s_add_i32 s5, s5, s18
	s_delay_alu instid0(SALU_CYCLE_1)
	s_lshl_b64 s[4:5], s[4:5], 2
	s_waitcnt lgkmcnt(0)
	s_ashr_i32 s9, s8, 31
	s_add_u32 s12, s12, s4
	s_addc_u32 s13, s13, s5
	s_lshl_b64 s[4:5], s[8:9], 2
	s_delay_alu instid0(SALU_CYCLE_1)
	s_add_u32 s8, s12, s4
	s_addc_u32 s9, s13, s5
.LBB101_3:
	s_load_b64 s[4:5], s[2:3], 0x8
	v_lshlrev_b32_e32 v13, 4, v122
	s_movk_i32 s18, 0xd0
	s_movk_i32 s19, 0xe0
	;; [unrolled: 1-line block ×18, first 2 shown]
	s_waitcnt lgkmcnt(0)
	v_add3_u32 v5, s5, s5, v122
	s_ashr_i32 s3, s4, 31
	s_mov_b32 s2, s4
	s_mov_b32 s12, s5
	s_lshl_b64 s[2:3], s[2:3], 4
	v_add_nc_u32_e32 v7, s5, v5
	v_ashrrev_i32_e32 v6, 31, v5
	s_add_u32 s2, s14, s2
	s_addc_u32 s3, s15, s3
	v_add_co_u32 v46, s4, s2, v13
	v_add_nc_u32_e32 v14, s5, v7
	v_ashrrev_i32_e32 v8, 31, v7
	s_ashr_i32 s13, s5, 31
	v_add_co_ci_u32_e64 v47, null, s3, 0, s4
	s_delay_alu instid0(VALU_DEP_3)
	v_add_nc_u32_e32 v16, s5, v14
	v_lshlrev_b64 v[5:6], 4, v[5:6]
	s_lshl_b64 s[12:13], s[12:13], 4
	v_ashrrev_i32_e32 v15, 31, v14
	v_add_co_u32 v50, vcc_lo, v46, s12
	v_add_nc_u32_e32 v22, s5, v16
	v_lshlrev_b64 v[18:19], 4, v[7:8]
	v_ashrrev_i32_e32 v17, 31, v16
	v_add_co_ci_u32_e32 v51, vcc_lo, s13, v47, vcc_lo
	s_delay_alu instid0(VALU_DEP_4) | instskip(SKIP_3) | instid1(VALU_DEP_4)
	v_add_nc_u32_e32 v24, s5, v22
	v_add_co_u32 v48, vcc_lo, s2, v5
	v_lshlrev_b64 v[14:15], 4, v[14:15]
	v_ashrrev_i32_e32 v23, 31, v22
	v_add_nc_u32_e32 v30, s5, v24
	v_add_co_ci_u32_e32 v49, vcc_lo, s3, v6, vcc_lo
	v_add_co_u32 v54, vcc_lo, s2, v18
	v_lshlrev_b64 v[26:27], 4, v[16:17]
	s_delay_alu instid0(VALU_DEP_4)
	v_add_nc_u32_e32 v32, s5, v30
	v_ashrrev_i32_e32 v25, 31, v24
	v_add_co_ci_u32_e32 v55, vcc_lo, s3, v19, vcc_lo
	v_add_co_u32 v52, vcc_lo, s2, v14
	v_lshlrev_b64 v[22:23], 4, v[22:23]
	v_ashrrev_i32_e32 v31, 31, v30
	v_add_co_ci_u32_e32 v53, vcc_lo, s3, v15, vcc_lo
	v_add_nc_u32_e32 v68, s5, v32
	v_add_co_u32 v58, vcc_lo, s2, v26
	v_lshlrev_b64 v[34:35], 4, v[24:25]
	v_ashrrev_i32_e32 v33, 31, v32
	v_add_co_ci_u32_e32 v59, vcc_lo, s3, v27, vcc_lo
	v_add_co_u32 v56, vcc_lo, s2, v22
	v_lshlrev_b64 v[30:31], 4, v[30:31]
	v_ashrrev_i32_e32 v69, 31, v68
	v_add_co_ci_u32_e32 v57, vcc_lo, s3, v23, vcc_lo
	v_add_co_u32 v60, vcc_lo, s2, v34
	v_lshlrev_b64 v[32:33], 4, v[32:33]
	v_add_co_ci_u32_e32 v61, vcc_lo, s3, v35, vcc_lo
	v_add_co_u32 v62, vcc_lo, s2, v30
	v_lshlrev_b64 v[42:43], 4, v[68:69]
	v_add_co_ci_u32_e32 v63, vcc_lo, s3, v31, vcc_lo
	v_add_co_u32 v64, vcc_lo, s2, v32
	v_add_co_ci_u32_e32 v65, vcc_lo, s3, v33, vcc_lo
	s_delay_alu instid0(VALU_DEP_4)
	v_add_co_u32 v66, vcc_lo, s2, v42
	global_load_b128 v[1:4], v13, s[2:3]
	v_add_co_ci_u32_e32 v67, vcc_lo, s3, v43, vcc_lo
	s_clause 0x9
	global_load_b128 v[5:8], v[50:51], off
	global_load_b128 v[9:12], v[48:49], off
	;; [unrolled: 1-line block ×10, first 2 shown]
	v_add_nc_u32_e32 v68, s5, v68
	s_movk_i32 s4, 0x70
	s_movk_i32 s12, 0x90
	;; [unrolled: 1-line block ×4, first 2 shown]
	v_add_nc_u32_e32 v70, s5, v68
	v_ashrrev_i32_e32 v69, 31, v68
	s_movk_i32 s15, 0xc0
	s_movk_i32 s37, 0x1f0
	;; [unrolled: 1-line block ×3, first 2 shown]
	v_add_nc_u32_e32 v72, s5, v70
	v_ashrrev_i32_e32 v71, 31, v70
	v_lshlrev_b64 v[68:69], 4, v[68:69]
	s_movk_i32 s39, 0x210
	s_movk_i32 s40, 0x220
	v_add_nc_u32_e32 v74, s5, v72
	v_ashrrev_i32_e32 v73, 31, v72
	v_lshlrev_b64 v[70:71], 4, v[70:71]
	v_add_co_u32 v68, vcc_lo, s2, v68
	s_delay_alu instid0(VALU_DEP_4) | instskip(SKIP_3) | instid1(VALU_DEP_4)
	v_add_nc_u32_e32 v76, s5, v74
	v_ashrrev_i32_e32 v75, 31, v74
	v_lshlrev_b64 v[72:73], 4, v[72:73]
	v_add_co_ci_u32_e32 v69, vcc_lo, s3, v69, vcc_lo
	v_add_nc_u32_e32 v78, s5, v76
	v_ashrrev_i32_e32 v77, 31, v76
	v_add_co_u32 v70, vcc_lo, s2, v70
	v_lshlrev_b64 v[74:75], 4, v[74:75]
	s_delay_alu instid0(VALU_DEP_4) | instskip(SKIP_3) | instid1(VALU_DEP_4)
	v_add_nc_u32_e32 v80, s5, v78
	v_ashrrev_i32_e32 v79, 31, v78
	v_add_co_ci_u32_e32 v71, vcc_lo, s3, v71, vcc_lo
	v_add_co_u32 v72, vcc_lo, s2, v72
	v_add_nc_u32_e32 v82, s5, v80
	v_lshlrev_b64 v[76:77], 4, v[76:77]
	v_ashrrev_i32_e32 v81, 31, v80
	v_add_co_ci_u32_e32 v73, vcc_lo, s3, v73, vcc_lo
	s_delay_alu instid0(VALU_DEP_4) | instskip(SKIP_3) | instid1(VALU_DEP_4)
	v_add_nc_u32_e32 v84, s5, v82
	v_add_co_u32 v74, vcc_lo, s2, v74
	v_lshlrev_b64 v[78:79], 4, v[78:79]
	v_ashrrev_i32_e32 v83, 31, v82
	v_add_nc_u32_e32 v86, s5, v84
	v_add_co_ci_u32_e32 v75, vcc_lo, s3, v75, vcc_lo
	v_add_co_u32 v76, vcc_lo, s2, v76
	s_delay_alu instid0(VALU_DEP_3) | instskip(SKIP_3) | instid1(VALU_DEP_4)
	v_add_nc_u32_e32 v88, s5, v86
	v_lshlrev_b64 v[80:81], 4, v[80:81]
	v_ashrrev_i32_e32 v85, 31, v84
	v_add_co_ci_u32_e32 v77, vcc_lo, s3, v77, vcc_lo
	v_add_nc_u32_e32 v90, s5, v88
	v_add_co_u32 v78, vcc_lo, s2, v78
	v_lshlrev_b64 v[82:83], 4, v[82:83]
	v_ashrrev_i32_e32 v87, 31, v86
	s_delay_alu instid0(VALU_DEP_4) | instskip(SKIP_2) | instid1(VALU_DEP_3)
	v_add_nc_u32_e32 v92, s5, v90
	v_add_co_ci_u32_e32 v79, vcc_lo, s3, v79, vcc_lo
	v_add_co_u32 v80, vcc_lo, s2, v80
	v_add_nc_u32_e32 v94, s5, v92
	v_lshlrev_b64 v[84:85], 4, v[84:85]
	v_ashrrev_i32_e32 v89, 31, v88
	v_add_co_ci_u32_e32 v81, vcc_lo, s3, v81, vcc_lo
	s_delay_alu instid0(VALU_DEP_4) | instskip(SKIP_3) | instid1(VALU_DEP_4)
	v_add_nc_u32_e32 v96, s5, v94
	v_add_co_u32 v82, vcc_lo, s2, v82
	v_lshlrev_b64 v[86:87], 4, v[86:87]
	v_ashrrev_i32_e32 v91, 31, v90
	v_add_nc_u32_e32 v98, s5, v96
	v_add_co_ci_u32_e32 v83, vcc_lo, s3, v83, vcc_lo
	v_add_co_u32 v84, vcc_lo, s2, v84
	s_delay_alu instid0(VALU_DEP_3) | instskip(SKIP_3) | instid1(VALU_DEP_4)
	v_add_nc_u32_e32 v100, s5, v98
	v_lshlrev_b64 v[88:89], 4, v[88:89]
	v_ashrrev_i32_e32 v93, 31, v92
	v_add_co_ci_u32_e32 v85, vcc_lo, s3, v85, vcc_lo
	v_add_nc_u32_e32 v102, s5, v100
	v_add_co_u32 v86, vcc_lo, s2, v86
	v_lshlrev_b64 v[90:91], 4, v[90:91]
	v_ashrrev_i32_e32 v95, 31, v94
	s_delay_alu instid0(VALU_DEP_4) | instskip(SKIP_2) | instid1(VALU_DEP_3)
	v_add_nc_u32_e32 v104, s5, v102
	v_add_co_ci_u32_e32 v87, vcc_lo, s3, v87, vcc_lo
	v_add_co_u32 v88, vcc_lo, s2, v88
	v_add_nc_u32_e32 v106, s5, v104
	v_lshlrev_b64 v[92:93], 4, v[92:93]
	v_ashrrev_i32_e32 v97, 31, v96
	v_add_co_ci_u32_e32 v89, vcc_lo, s3, v89, vcc_lo
	s_delay_alu instid0(VALU_DEP_4) | instskip(SKIP_3) | instid1(VALU_DEP_4)
	v_add_nc_u32_e32 v108, s5, v106
	v_add_co_u32 v90, vcc_lo, s2, v90
	v_lshlrev_b64 v[94:95], 4, v[94:95]
	v_add_co_ci_u32_e32 v91, vcc_lo, s3, v91, vcc_lo
	v_add_nc_u32_e32 v110, s5, v108
	v_add_co_u32 v92, vcc_lo, s2, v92
	v_lshlrev_b64 v[96:97], 4, v[96:97]
	v_ashrrev_i32_e32 v99, 31, v98
	s_delay_alu instid0(VALU_DEP_4) | instskip(SKIP_2) | instid1(VALU_DEP_3)
	v_add_nc_u32_e32 v112, s5, v110
	v_add_co_ci_u32_e32 v93, vcc_lo, s3, v93, vcc_lo
	v_add_co_u32 v94, vcc_lo, s2, v94
	v_add_nc_u32_e32 v114, s5, v112
	v_ashrrev_i32_e32 v101, 31, v100
	v_add_co_ci_u32_e32 v95, vcc_lo, s3, v95, vcc_lo
	v_lshlrev_b64 v[123:124], 4, v[98:99]
	s_delay_alu instid0(VALU_DEP_4) | instskip(SKIP_3) | instid1(VALU_DEP_4)
	v_add_nc_u32_e32 v116, s5, v114
	v_add_co_u32 v98, vcc_lo, s2, v96
	v_ashrrev_i32_e32 v103, 31, v102
	v_add_co_ci_u32_e32 v99, vcc_lo, s3, v97, vcc_lo
	v_add_nc_u32_e32 v118, s5, v116
	v_lshlrev_b64 v[125:126], 4, v[100:101]
	v_ashrrev_i32_e32 v105, 31, v104
	v_ashrrev_i32_e32 v107, 31, v106
	;; [unrolled: 1-line block ×3, first 2 shown]
	v_add_nc_u32_e32 v119, s5, v118
	v_ashrrev_i32_e32 v111, 31, v110
	v_ashrrev_i32_e32 v113, 31, v112
	;; [unrolled: 1-line block ×5, first 2 shown]
	s_clause 0x7
	global_load_b128 v[127:130], v[68:69], off
	global_load_b128 v[131:134], v[70:71], off
	;; [unrolled: 1-line block ×8, first 2 shown]
	v_lshlrev_b64 v[119:120], 4, v[119:120]
	s_clause 0x5
	global_load_b128 v[176:179], v[84:85], off
	global_load_b128 v[180:183], v[86:87], off
	;; [unrolled: 1-line block ×6, first 2 shown]
	s_movk_i32 s5, 0x80
	s_movk_i32 s41, 0x230
	v_add_co_u32 v96, vcc_lo, s2, v119
	v_add_co_ci_u32_e32 v97, vcc_lo, s3, v120, vcc_lo
	v_add_co_u32 v100, vcc_lo, s2, v123
	v_lshlrev_b64 v[119:120], 4, v[102:103]
	v_add_co_ci_u32_e32 v101, vcc_lo, s3, v124, vcc_lo
	v_add_co_u32 v102, vcc_lo, s2, v125
	v_add_co_ci_u32_e32 v103, vcc_lo, s3, v126, vcc_lo
	v_lshlrev_b64 v[123:124], 4, v[104:105]
	v_add_co_u32 v104, vcc_lo, s2, v119
	v_add_co_ci_u32_e32 v105, vcc_lo, s3, v120, vcc_lo
	v_lshlrev_b64 v[119:120], 4, v[106:107]
	s_delay_alu instid0(VALU_DEP_4) | instskip(SKIP_2) | instid1(VALU_DEP_4)
	v_add_co_u32 v106, vcc_lo, s2, v123
	v_add_co_ci_u32_e32 v107, vcc_lo, s3, v124, vcc_lo
	v_lshlrev_b64 v[123:124], 4, v[108:109]
	v_add_co_u32 v108, vcc_lo, s2, v119
	v_add_co_ci_u32_e32 v109, vcc_lo, s3, v120, vcc_lo
	v_lshlrev_b64 v[119:120], 4, v[110:111]
	s_delay_alu instid0(VALU_DEP_4) | instskip(SKIP_2) | instid1(VALU_DEP_4)
	v_add_co_u32 v110, vcc_lo, s2, v123
	v_add_co_ci_u32_e32 v111, vcc_lo, s3, v124, vcc_lo
	v_lshlrev_b64 v[123:124], 4, v[112:113]
	v_add_co_u32 v112, vcc_lo, s2, v119
	v_add_co_ci_u32_e32 v113, vcc_lo, s3, v120, vcc_lo
	v_lshlrev_b64 v[120:121], 4, v[114:115]
	s_delay_alu instid0(VALU_DEP_4)
	v_add_co_u32 v114, vcc_lo, s2, v123
	v_ashrrev_i32_e32 v119, 31, v118
	v_add_co_ci_u32_e32 v115, vcc_lo, s3, v124, vcc_lo
	v_lshlrev_b64 v[123:124], 4, v[116:117]
	v_add_co_u32 v116, vcc_lo, s2, v120
	v_add_co_ci_u32_e32 v117, vcc_lo, s3, v121, vcc_lo
	v_lshlrev_b64 v[120:121], 4, v[118:119]
	s_delay_alu instid0(VALU_DEP_4)
	v_add_co_u32 v118, vcc_lo, s2, v123
	v_add_co_ci_u32_e32 v119, vcc_lo, s3, v124, vcc_lo
	global_load_b128 v[200:203], v[96:97], off
	v_add_co_u32 v120, vcc_lo, s2, v120
	v_add_co_ci_u32_e32 v121, vcc_lo, s3, v121, vcc_lo
	s_movk_i32 s2, 0x50
	s_movk_i32 s3, 0x60
	;; [unrolled: 1-line block ×4, first 2 shown]
	v_add_nc_u32_e64 v126, 0, 16
	v_add_nc_u32_e64 v124, 0, 32
	;; [unrolled: 1-line block ×21, first 2 shown]
	s_mov_b32 s3, -1
	s_bitcmp0_b32 s17, 0
	s_waitcnt vmcnt(25)
	scratch_store_b128 off, v[1:4], off
	s_clause 0x1
	global_load_b128 v[1:4], v[98:99], off
	global_load_b128 v[204:207], v[100:101], off
	s_waitcnt vmcnt(26)
	scratch_store_b128 off, v[5:8], off offset:16
	s_waitcnt vmcnt(25)
	scratch_store_b128 off, v[9:12], off offset:32
	s_clause 0x1
	global_load_b128 v[5:8], v[102:103], off
	global_load_b128 v[9:12], v[104:105], off
	s_waitcnt vmcnt(26)
	scratch_store_b128 off, v[14:17], off offset:48
	s_waitcnt vmcnt(25)
	scratch_store_b128 off, v[18:21], off offset:64
	;; [unrolled: 7-line block ×6, first 2 shown]
	s_waitcnt vmcnt(24)
	scratch_store_b128 off, v[135:138], off offset:208
	s_waitcnt vmcnt(23)
	scratch_store_b128 off, v[139:142], off offset:224
	v_add_nc_u32_e64 v142, s24, 0
	v_add_nc_u32_e64 v141, s25, 0
	;; [unrolled: 1-line block ×16, first 2 shown]
	s_waitcnt vmcnt(22)
	scratch_store_b128 off, v[160:163], off offset:240
	s_waitcnt vmcnt(21)
	scratch_store_b128 off, v[164:167], off offset:256
	;; [unrolled: 2-line block ×21, first 2 shown]
	s_waitcnt vmcnt(0)
	s_clause 0x1
	scratch_store_b128 off, v[42:45], off offset:576
	scratch_store_b128 off, v[200:203], off offset:592
	s_cbranch_scc1 .LBB101_164
; %bb.4:
	v_cmp_eq_u32_e64 s2, 0, v122
	s_delay_alu instid0(VALU_DEP_1)
	s_and_saveexec_b32 s3, s2
	s_cbranch_execz .LBB101_6
; %bb.5:
	v_mov_b32_e32 v1, 0
	ds_store_b32 v1, v1 offset:1216
.LBB101_6:
	s_or_b32 exec_lo, exec_lo, s3
	s_waitcnt lgkmcnt(0)
	s_waitcnt_vscnt null, 0x0
	s_barrier
	buffer_gl0_inv
	scratch_load_b128 v[1:4], v13, off
	s_waitcnt vmcnt(0)
	v_cmp_eq_f64_e32 vcc_lo, 0, v[1:2]
	v_cmp_eq_f64_e64 s3, 0, v[3:4]
	s_delay_alu instid0(VALU_DEP_1) | instskip(NEXT) | instid1(SALU_CYCLE_1)
	s_and_b32 s3, vcc_lo, s3
	s_and_saveexec_b32 s4, s3
	s_cbranch_execz .LBB101_10
; %bb.7:
	v_mov_b32_e32 v1, 0
	s_mov_b32 s5, 0
	ds_load_b32 v2, v1 offset:1216
	s_waitcnt lgkmcnt(0)
	v_readfirstlane_b32 s3, v2
	v_add_nc_u32_e32 v2, 1, v122
	s_delay_alu instid0(VALU_DEP_2) | instskip(NEXT) | instid1(VALU_DEP_1)
	s_cmp_eq_u32 s3, 0
	v_cmp_gt_i32_e32 vcc_lo, s3, v2
	s_cselect_b32 s12, -1, 0
	s_delay_alu instid0(SALU_CYCLE_1) | instskip(NEXT) | instid1(SALU_CYCLE_1)
	s_or_b32 s12, s12, vcc_lo
	s_and_b32 exec_lo, exec_lo, s12
	s_cbranch_execz .LBB101_10
; %bb.8:
	v_mov_b32_e32 v3, s3
.LBB101_9:                              ; =>This Inner Loop Header: Depth=1
	ds_cmpstore_rtn_b32 v3, v1, v2, v3 offset:1216
	s_waitcnt lgkmcnt(0)
	v_cmp_ne_u32_e32 vcc_lo, 0, v3
	v_cmp_le_i32_e64 s3, v3, v2
	s_delay_alu instid0(VALU_DEP_1) | instskip(NEXT) | instid1(SALU_CYCLE_1)
	s_and_b32 s3, vcc_lo, s3
	s_and_b32 s3, exec_lo, s3
	s_delay_alu instid0(SALU_CYCLE_1) | instskip(NEXT) | instid1(SALU_CYCLE_1)
	s_or_b32 s5, s3, s5
	s_and_not1_b32 exec_lo, exec_lo, s5
	s_cbranch_execnz .LBB101_9
.LBB101_10:
	s_or_b32 exec_lo, exec_lo, s4
	v_mov_b32_e32 v1, 0
	s_barrier
	buffer_gl0_inv
	ds_load_b32 v2, v1 offset:1216
	s_and_saveexec_b32 s3, s2
	s_cbranch_execz .LBB101_12
; %bb.11:
	s_lshl_b64 s[4:5], s[10:11], 2
	s_delay_alu instid0(SALU_CYCLE_1)
	s_add_u32 s4, s6, s4
	s_addc_u32 s5, s7, s5
	s_waitcnt lgkmcnt(0)
	global_store_b32 v1, v2, s[4:5]
.LBB101_12:
	s_or_b32 exec_lo, exec_lo, s3
	s_waitcnt lgkmcnt(0)
	v_cmp_ne_u32_e32 vcc_lo, 0, v2
	s_mov_b32 s3, 0
	s_cbranch_vccnz .LBB101_164
; %bb.13:
	v_add_nc_u32_e32 v14, 0, v13
                                        ; implicit-def: $vgpr9_vgpr10
	scratch_load_b128 v[1:4], v14, off
	s_waitcnt vmcnt(0)
	v_mov_b32_e32 v5, v1
	v_cmp_gt_f64_e32 vcc_lo, 0, v[1:2]
	v_xor_b32_e32 v6, 0x80000000, v2
	v_xor_b32_e32 v7, 0x80000000, v4
	s_delay_alu instid0(VALU_DEP_2) | instskip(SKIP_1) | instid1(VALU_DEP_3)
	v_cndmask_b32_e32 v6, v2, v6, vcc_lo
	v_cmp_gt_f64_e32 vcc_lo, 0, v[3:4]
	v_dual_cndmask_b32 v8, v4, v7 :: v_dual_mov_b32 v7, v3
	s_delay_alu instid0(VALU_DEP_1) | instskip(SKIP_1) | instid1(SALU_CYCLE_1)
	v_cmp_ngt_f64_e32 vcc_lo, v[5:6], v[7:8]
                                        ; implicit-def: $vgpr5_vgpr6
	s_and_saveexec_b32 s3, vcc_lo
	s_xor_b32 s3, exec_lo, s3
	s_cbranch_execz .LBB101_15
; %bb.14:
	v_div_scale_f64 v[5:6], null, v[3:4], v[3:4], v[1:2]
	v_div_scale_f64 v[11:12], vcc_lo, v[1:2], v[3:4], v[1:2]
	s_delay_alu instid0(VALU_DEP_2) | instskip(SKIP_2) | instid1(VALU_DEP_1)
	v_rcp_f64_e32 v[7:8], v[5:6]
	s_waitcnt_depctr 0xfff
	v_fma_f64 v[9:10], -v[5:6], v[7:8], 1.0
	v_fma_f64 v[7:8], v[7:8], v[9:10], v[7:8]
	s_delay_alu instid0(VALU_DEP_1) | instskip(NEXT) | instid1(VALU_DEP_1)
	v_fma_f64 v[9:10], -v[5:6], v[7:8], 1.0
	v_fma_f64 v[7:8], v[7:8], v[9:10], v[7:8]
	s_delay_alu instid0(VALU_DEP_1) | instskip(NEXT) | instid1(VALU_DEP_1)
	v_mul_f64 v[9:10], v[11:12], v[7:8]
	v_fma_f64 v[5:6], -v[5:6], v[9:10], v[11:12]
	s_delay_alu instid0(VALU_DEP_1) | instskip(NEXT) | instid1(VALU_DEP_1)
	v_div_fmas_f64 v[5:6], v[5:6], v[7:8], v[9:10]
	v_div_fixup_f64 v[5:6], v[5:6], v[3:4], v[1:2]
	s_delay_alu instid0(VALU_DEP_1) | instskip(NEXT) | instid1(VALU_DEP_1)
	v_fma_f64 v[1:2], v[1:2], v[5:6], v[3:4]
	v_div_scale_f64 v[3:4], null, v[1:2], v[1:2], 1.0
	v_div_scale_f64 v[11:12], vcc_lo, 1.0, v[1:2], 1.0
	s_delay_alu instid0(VALU_DEP_2) | instskip(SKIP_2) | instid1(VALU_DEP_1)
	v_rcp_f64_e32 v[7:8], v[3:4]
	s_waitcnt_depctr 0xfff
	v_fma_f64 v[9:10], -v[3:4], v[7:8], 1.0
	v_fma_f64 v[7:8], v[7:8], v[9:10], v[7:8]
	s_delay_alu instid0(VALU_DEP_1) | instskip(NEXT) | instid1(VALU_DEP_1)
	v_fma_f64 v[9:10], -v[3:4], v[7:8], 1.0
	v_fma_f64 v[7:8], v[7:8], v[9:10], v[7:8]
	s_delay_alu instid0(VALU_DEP_1) | instskip(NEXT) | instid1(VALU_DEP_1)
	v_mul_f64 v[9:10], v[11:12], v[7:8]
	v_fma_f64 v[3:4], -v[3:4], v[9:10], v[11:12]
	s_delay_alu instid0(VALU_DEP_1) | instskip(NEXT) | instid1(VALU_DEP_1)
	v_div_fmas_f64 v[3:4], v[3:4], v[7:8], v[9:10]
	v_div_fixup_f64 v[7:8], v[3:4], v[1:2], 1.0
                                        ; implicit-def: $vgpr1_vgpr2
	s_delay_alu instid0(VALU_DEP_1) | instskip(SKIP_1) | instid1(VALU_DEP_2)
	v_mul_f64 v[5:6], v[5:6], v[7:8]
	v_xor_b32_e32 v8, 0x80000000, v8
	v_xor_b32_e32 v10, 0x80000000, v6
	s_delay_alu instid0(VALU_DEP_3)
	v_mov_b32_e32 v9, v5
.LBB101_15:
	s_and_not1_saveexec_b32 s3, s3
	s_cbranch_execz .LBB101_17
; %bb.16:
	v_div_scale_f64 v[5:6], null, v[1:2], v[1:2], v[3:4]
	v_div_scale_f64 v[11:12], vcc_lo, v[3:4], v[1:2], v[3:4]
	s_delay_alu instid0(VALU_DEP_2) | instskip(SKIP_2) | instid1(VALU_DEP_1)
	v_rcp_f64_e32 v[7:8], v[5:6]
	s_waitcnt_depctr 0xfff
	v_fma_f64 v[9:10], -v[5:6], v[7:8], 1.0
	v_fma_f64 v[7:8], v[7:8], v[9:10], v[7:8]
	s_delay_alu instid0(VALU_DEP_1) | instskip(NEXT) | instid1(VALU_DEP_1)
	v_fma_f64 v[9:10], -v[5:6], v[7:8], 1.0
	v_fma_f64 v[7:8], v[7:8], v[9:10], v[7:8]
	s_delay_alu instid0(VALU_DEP_1) | instskip(NEXT) | instid1(VALU_DEP_1)
	v_mul_f64 v[9:10], v[11:12], v[7:8]
	v_fma_f64 v[5:6], -v[5:6], v[9:10], v[11:12]
	s_delay_alu instid0(VALU_DEP_1) | instskip(NEXT) | instid1(VALU_DEP_1)
	v_div_fmas_f64 v[5:6], v[5:6], v[7:8], v[9:10]
	v_div_fixup_f64 v[7:8], v[5:6], v[1:2], v[3:4]
	s_delay_alu instid0(VALU_DEP_1) | instskip(NEXT) | instid1(VALU_DEP_1)
	v_fma_f64 v[1:2], v[3:4], v[7:8], v[1:2]
	v_div_scale_f64 v[3:4], null, v[1:2], v[1:2], 1.0
	s_delay_alu instid0(VALU_DEP_1) | instskip(SKIP_2) | instid1(VALU_DEP_1)
	v_rcp_f64_e32 v[5:6], v[3:4]
	s_waitcnt_depctr 0xfff
	v_fma_f64 v[9:10], -v[3:4], v[5:6], 1.0
	v_fma_f64 v[5:6], v[5:6], v[9:10], v[5:6]
	s_delay_alu instid0(VALU_DEP_1) | instskip(NEXT) | instid1(VALU_DEP_1)
	v_fma_f64 v[9:10], -v[3:4], v[5:6], 1.0
	v_fma_f64 v[5:6], v[5:6], v[9:10], v[5:6]
	v_div_scale_f64 v[9:10], vcc_lo, 1.0, v[1:2], 1.0
	s_delay_alu instid0(VALU_DEP_1) | instskip(NEXT) | instid1(VALU_DEP_1)
	v_mul_f64 v[11:12], v[9:10], v[5:6]
	v_fma_f64 v[3:4], -v[3:4], v[11:12], v[9:10]
	s_delay_alu instid0(VALU_DEP_1) | instskip(NEXT) | instid1(VALU_DEP_1)
	v_div_fmas_f64 v[3:4], v[3:4], v[5:6], v[11:12]
	v_div_fixup_f64 v[5:6], v[3:4], v[1:2], 1.0
	s_delay_alu instid0(VALU_DEP_1)
	v_mul_f64 v[7:8], v[7:8], -v[5:6]
	v_xor_b32_e32 v10, 0x80000000, v6
	v_mov_b32_e32 v9, v5
.LBB101_17:
	s_or_b32 exec_lo, exec_lo, s3
	scratch_store_b128 v14, v[5:8], off
	scratch_load_b128 v[1:4], v126, off
	v_xor_b32_e32 v12, 0x80000000, v8
	v_mov_b32_e32 v11, v7
	v_add_nc_u32_e32 v5, 0x260, v13
	ds_store_b128 v13, v[9:12]
	s_waitcnt vmcnt(0)
	ds_store_b128 v13, v[1:4] offset:608
	s_waitcnt lgkmcnt(0)
	s_waitcnt_vscnt null, 0x0
	s_barrier
	buffer_gl0_inv
	s_and_saveexec_b32 s3, s2
	s_cbranch_execz .LBB101_19
; %bb.18:
	scratch_load_b128 v[1:4], v14, off
	ds_load_b128 v[6:9], v5
	v_mov_b32_e32 v10, 0
	ds_load_b128 v[15:18], v10 offset:16
	s_waitcnt vmcnt(0) lgkmcnt(1)
	v_mul_f64 v[10:11], v[6:7], v[3:4]
	v_mul_f64 v[3:4], v[8:9], v[3:4]
	s_delay_alu instid0(VALU_DEP_2) | instskip(NEXT) | instid1(VALU_DEP_2)
	v_fma_f64 v[8:9], v[8:9], v[1:2], v[10:11]
	v_fma_f64 v[1:2], v[6:7], v[1:2], -v[3:4]
	s_delay_alu instid0(VALU_DEP_2) | instskip(NEXT) | instid1(VALU_DEP_2)
	v_add_f64 v[3:4], v[8:9], 0
	v_add_f64 v[1:2], v[1:2], 0
	s_waitcnt lgkmcnt(0)
	s_delay_alu instid0(VALU_DEP_2) | instskip(NEXT) | instid1(VALU_DEP_2)
	v_mul_f64 v[6:7], v[3:4], v[17:18]
	v_mul_f64 v[8:9], v[1:2], v[17:18]
	s_delay_alu instid0(VALU_DEP_2) | instskip(NEXT) | instid1(VALU_DEP_2)
	v_fma_f64 v[1:2], v[1:2], v[15:16], -v[6:7]
	v_fma_f64 v[3:4], v[3:4], v[15:16], v[8:9]
	scratch_store_b128 off, v[1:4], off offset:16
.LBB101_19:
	s_or_b32 exec_lo, exec_lo, s3
	s_waitcnt_vscnt null, 0x0
	s_barrier
	buffer_gl0_inv
	scratch_load_b128 v[1:4], v124, off
	s_mov_b32 s3, exec_lo
	s_waitcnt vmcnt(0)
	ds_store_b128 v5, v[1:4]
	s_waitcnt lgkmcnt(0)
	s_barrier
	buffer_gl0_inv
	v_cmpx_gt_u32_e32 2, v122
	s_cbranch_execz .LBB101_23
; %bb.20:
	scratch_load_b128 v[1:4], v14, off
	ds_load_b128 v[6:9], v5
	s_waitcnt vmcnt(0) lgkmcnt(0)
	v_mul_f64 v[10:11], v[8:9], v[3:4]
	v_mul_f64 v[3:4], v[6:7], v[3:4]
	s_delay_alu instid0(VALU_DEP_2) | instskip(NEXT) | instid1(VALU_DEP_2)
	v_fma_f64 v[6:7], v[6:7], v[1:2], -v[10:11]
	v_fma_f64 v[3:4], v[8:9], v[1:2], v[3:4]
	s_delay_alu instid0(VALU_DEP_2) | instskip(NEXT) | instid1(VALU_DEP_2)
	v_add_f64 v[1:2], v[6:7], 0
	v_add_f64 v[3:4], v[3:4], 0
	s_and_saveexec_b32 s4, s2
	s_cbranch_execz .LBB101_22
; %bb.21:
	scratch_load_b128 v[6:9], off, off offset:16
	v_mov_b32_e32 v10, 0
	ds_load_b128 v[15:18], v10 offset:624
	s_waitcnt vmcnt(0) lgkmcnt(0)
	v_mul_f64 v[10:11], v[15:16], v[8:9]
	v_mul_f64 v[8:9], v[17:18], v[8:9]
	s_delay_alu instid0(VALU_DEP_2) | instskip(NEXT) | instid1(VALU_DEP_2)
	v_fma_f64 v[10:11], v[17:18], v[6:7], v[10:11]
	v_fma_f64 v[6:7], v[15:16], v[6:7], -v[8:9]
	s_delay_alu instid0(VALU_DEP_2) | instskip(NEXT) | instid1(VALU_DEP_2)
	v_add_f64 v[3:4], v[3:4], v[10:11]
	v_add_f64 v[1:2], v[1:2], v[6:7]
.LBB101_22:
	s_or_b32 exec_lo, exec_lo, s4
	v_mov_b32_e32 v6, 0
	ds_load_b128 v[6:9], v6 offset:32
	s_waitcnt lgkmcnt(0)
	v_mul_f64 v[10:11], v[3:4], v[8:9]
	v_mul_f64 v[8:9], v[1:2], v[8:9]
	s_delay_alu instid0(VALU_DEP_2) | instskip(NEXT) | instid1(VALU_DEP_2)
	v_fma_f64 v[1:2], v[1:2], v[6:7], -v[10:11]
	v_fma_f64 v[3:4], v[3:4], v[6:7], v[8:9]
	scratch_store_b128 off, v[1:4], off offset:32
.LBB101_23:
	s_or_b32 exec_lo, exec_lo, s3
	s_waitcnt_vscnt null, 0x0
	s_barrier
	buffer_gl0_inv
	scratch_load_b128 v[1:4], v125, off
	v_add_nc_u32_e32 v6, -1, v122
	s_mov_b32 s2, exec_lo
	s_waitcnt vmcnt(0)
	ds_store_b128 v5, v[1:4]
	s_waitcnt lgkmcnt(0)
	s_barrier
	buffer_gl0_inv
	v_cmpx_gt_u32_e32 3, v122
	s_cbranch_execz .LBB101_27
; %bb.24:
	v_dual_mov_b32 v1, 0 :: v_dual_add_nc_u32 v8, 0x260, v13
	v_dual_mov_b32 v2, 0 :: v_dual_add_nc_u32 v7, -1, v122
	v_or_b32_e32 v9, 8, v14
	s_mov_b32 s3, 0
	s_delay_alu instid0(VALU_DEP_2)
	v_dual_mov_b32 v4, v2 :: v_dual_mov_b32 v3, v1
	.p2align	6
.LBB101_25:                             ; =>This Inner Loop Header: Depth=1
	scratch_load_b128 v[15:18], v9, off offset:-8
	ds_load_b128 v[19:22], v8
	v_add_nc_u32_e32 v7, 1, v7
	v_add_nc_u32_e32 v8, 16, v8
	;; [unrolled: 1-line block ×3, first 2 shown]
	s_delay_alu instid0(VALU_DEP_3) | instskip(SKIP_4) | instid1(VALU_DEP_2)
	v_cmp_lt_u32_e32 vcc_lo, 1, v7
	s_or_b32 s3, vcc_lo, s3
	s_waitcnt vmcnt(0) lgkmcnt(0)
	v_mul_f64 v[10:11], v[21:22], v[17:18]
	v_mul_f64 v[17:18], v[19:20], v[17:18]
	v_fma_f64 v[10:11], v[19:20], v[15:16], -v[10:11]
	s_delay_alu instid0(VALU_DEP_2) | instskip(NEXT) | instid1(VALU_DEP_2)
	v_fma_f64 v[15:16], v[21:22], v[15:16], v[17:18]
	v_add_f64 v[3:4], v[3:4], v[10:11]
	s_delay_alu instid0(VALU_DEP_2)
	v_add_f64 v[1:2], v[1:2], v[15:16]
	s_and_not1_b32 exec_lo, exec_lo, s3
	s_cbranch_execnz .LBB101_25
; %bb.26:
	s_or_b32 exec_lo, exec_lo, s3
	v_mov_b32_e32 v7, 0
	ds_load_b128 v[7:10], v7 offset:48
	s_waitcnt lgkmcnt(0)
	v_mul_f64 v[11:12], v[1:2], v[9:10]
	v_mul_f64 v[15:16], v[3:4], v[9:10]
	s_delay_alu instid0(VALU_DEP_2) | instskip(NEXT) | instid1(VALU_DEP_2)
	v_fma_f64 v[9:10], v[3:4], v[7:8], -v[11:12]
	v_fma_f64 v[11:12], v[1:2], v[7:8], v[15:16]
	scratch_store_b128 off, v[9:12], off offset:48
.LBB101_27:
	s_or_b32 exec_lo, exec_lo, s2
	s_waitcnt_vscnt null, 0x0
	s_barrier
	buffer_gl0_inv
	scratch_load_b128 v[1:4], v123, off
	s_mov_b32 s2, exec_lo
	s_waitcnt vmcnt(0)
	ds_store_b128 v5, v[1:4]
	s_waitcnt lgkmcnt(0)
	s_barrier
	buffer_gl0_inv
	v_cmpx_gt_u32_e32 4, v122
	s_cbranch_execz .LBB101_31
; %bb.28:
	v_dual_mov_b32 v1, 0 :: v_dual_add_nc_u32 v8, 0x260, v13
	v_dual_mov_b32 v2, 0 :: v_dual_add_nc_u32 v7, -1, v122
	v_or_b32_e32 v9, 8, v14
	s_mov_b32 s3, 0
	s_delay_alu instid0(VALU_DEP_2)
	v_dual_mov_b32 v4, v2 :: v_dual_mov_b32 v3, v1
	.p2align	6
.LBB101_29:                             ; =>This Inner Loop Header: Depth=1
	scratch_load_b128 v[15:18], v9, off offset:-8
	ds_load_b128 v[19:22], v8
	v_add_nc_u32_e32 v7, 1, v7
	v_add_nc_u32_e32 v8, 16, v8
	;; [unrolled: 1-line block ×3, first 2 shown]
	s_delay_alu instid0(VALU_DEP_3) | instskip(SKIP_4) | instid1(VALU_DEP_2)
	v_cmp_lt_u32_e32 vcc_lo, 2, v7
	s_or_b32 s3, vcc_lo, s3
	s_waitcnt vmcnt(0) lgkmcnt(0)
	v_mul_f64 v[10:11], v[21:22], v[17:18]
	v_mul_f64 v[17:18], v[19:20], v[17:18]
	v_fma_f64 v[10:11], v[19:20], v[15:16], -v[10:11]
	s_delay_alu instid0(VALU_DEP_2) | instskip(NEXT) | instid1(VALU_DEP_2)
	v_fma_f64 v[15:16], v[21:22], v[15:16], v[17:18]
	v_add_f64 v[3:4], v[3:4], v[10:11]
	s_delay_alu instid0(VALU_DEP_2)
	v_add_f64 v[1:2], v[1:2], v[15:16]
	s_and_not1_b32 exec_lo, exec_lo, s3
	s_cbranch_execnz .LBB101_29
; %bb.30:
	s_or_b32 exec_lo, exec_lo, s3
	v_mov_b32_e32 v7, 0
	ds_load_b128 v[7:10], v7 offset:64
	s_waitcnt lgkmcnt(0)
	v_mul_f64 v[11:12], v[1:2], v[9:10]
	v_mul_f64 v[15:16], v[3:4], v[9:10]
	s_delay_alu instid0(VALU_DEP_2) | instskip(NEXT) | instid1(VALU_DEP_2)
	v_fma_f64 v[9:10], v[3:4], v[7:8], -v[11:12]
	v_fma_f64 v[11:12], v[1:2], v[7:8], v[15:16]
	scratch_store_b128 off, v[9:12], off offset:64
.LBB101_31:
	s_or_b32 exec_lo, exec_lo, s2
	s_waitcnt_vscnt null, 0x0
	s_barrier
	buffer_gl0_inv
	scratch_load_b128 v[1:4], v159, off
	s_mov_b32 s2, exec_lo
	s_waitcnt vmcnt(0)
	ds_store_b128 v5, v[1:4]
	s_waitcnt lgkmcnt(0)
	s_barrier
	buffer_gl0_inv
	v_cmpx_gt_u32_e32 5, v122
	s_cbranch_execz .LBB101_35
; %bb.32:
	v_dual_mov_b32 v1, 0 :: v_dual_add_nc_u32 v8, 0x260, v13
	v_dual_mov_b32 v2, 0 :: v_dual_add_nc_u32 v7, -1, v122
	v_or_b32_e32 v9, 8, v14
	s_mov_b32 s3, 0
	s_delay_alu instid0(VALU_DEP_2)
	v_dual_mov_b32 v4, v2 :: v_dual_mov_b32 v3, v1
	.p2align	6
.LBB101_33:                             ; =>This Inner Loop Header: Depth=1
	scratch_load_b128 v[15:18], v9, off offset:-8
	ds_load_b128 v[19:22], v8
	v_add_nc_u32_e32 v7, 1, v7
	v_add_nc_u32_e32 v8, 16, v8
	;; [unrolled: 1-line block ×3, first 2 shown]
	s_delay_alu instid0(VALU_DEP_3) | instskip(SKIP_4) | instid1(VALU_DEP_2)
	v_cmp_lt_u32_e32 vcc_lo, 3, v7
	s_or_b32 s3, vcc_lo, s3
	s_waitcnt vmcnt(0) lgkmcnt(0)
	v_mul_f64 v[10:11], v[21:22], v[17:18]
	v_mul_f64 v[17:18], v[19:20], v[17:18]
	v_fma_f64 v[10:11], v[19:20], v[15:16], -v[10:11]
	s_delay_alu instid0(VALU_DEP_2) | instskip(NEXT) | instid1(VALU_DEP_2)
	v_fma_f64 v[15:16], v[21:22], v[15:16], v[17:18]
	v_add_f64 v[3:4], v[3:4], v[10:11]
	s_delay_alu instid0(VALU_DEP_2)
	v_add_f64 v[1:2], v[1:2], v[15:16]
	s_and_not1_b32 exec_lo, exec_lo, s3
	s_cbranch_execnz .LBB101_33
; %bb.34:
	s_or_b32 exec_lo, exec_lo, s3
	v_mov_b32_e32 v7, 0
	ds_load_b128 v[7:10], v7 offset:80
	s_waitcnt lgkmcnt(0)
	v_mul_f64 v[11:12], v[1:2], v[9:10]
	v_mul_f64 v[15:16], v[3:4], v[9:10]
	s_delay_alu instid0(VALU_DEP_2) | instskip(NEXT) | instid1(VALU_DEP_2)
	v_fma_f64 v[9:10], v[3:4], v[7:8], -v[11:12]
	v_fma_f64 v[11:12], v[1:2], v[7:8], v[15:16]
	scratch_store_b128 off, v[9:12], off offset:80
.LBB101_35:
	s_or_b32 exec_lo, exec_lo, s2
	s_waitcnt_vscnt null, 0x0
	s_barrier
	buffer_gl0_inv
	scratch_load_b128 v[1:4], v157, off
	s_mov_b32 s2, exec_lo
	s_waitcnt vmcnt(0)
	ds_store_b128 v5, v[1:4]
	s_waitcnt lgkmcnt(0)
	s_barrier
	buffer_gl0_inv
	v_cmpx_gt_u32_e32 6, v122
	s_cbranch_execz .LBB101_39
; %bb.36:
	v_dual_mov_b32 v1, 0 :: v_dual_add_nc_u32 v8, 0x260, v13
	v_dual_mov_b32 v2, 0 :: v_dual_add_nc_u32 v7, -1, v122
	v_or_b32_e32 v9, 8, v14
	s_mov_b32 s3, 0
	s_delay_alu instid0(VALU_DEP_2)
	v_dual_mov_b32 v4, v2 :: v_dual_mov_b32 v3, v1
	.p2align	6
.LBB101_37:                             ; =>This Inner Loop Header: Depth=1
	scratch_load_b128 v[15:18], v9, off offset:-8
	ds_load_b128 v[19:22], v8
	v_add_nc_u32_e32 v7, 1, v7
	v_add_nc_u32_e32 v8, 16, v8
	v_add_nc_u32_e32 v9, 16, v9
	s_delay_alu instid0(VALU_DEP_3) | instskip(SKIP_4) | instid1(VALU_DEP_2)
	v_cmp_lt_u32_e32 vcc_lo, 4, v7
	s_or_b32 s3, vcc_lo, s3
	s_waitcnt vmcnt(0) lgkmcnt(0)
	v_mul_f64 v[10:11], v[21:22], v[17:18]
	v_mul_f64 v[17:18], v[19:20], v[17:18]
	v_fma_f64 v[10:11], v[19:20], v[15:16], -v[10:11]
	s_delay_alu instid0(VALU_DEP_2) | instskip(NEXT) | instid1(VALU_DEP_2)
	v_fma_f64 v[15:16], v[21:22], v[15:16], v[17:18]
	v_add_f64 v[3:4], v[3:4], v[10:11]
	s_delay_alu instid0(VALU_DEP_2)
	v_add_f64 v[1:2], v[1:2], v[15:16]
	s_and_not1_b32 exec_lo, exec_lo, s3
	s_cbranch_execnz .LBB101_37
; %bb.38:
	s_or_b32 exec_lo, exec_lo, s3
	v_mov_b32_e32 v7, 0
	ds_load_b128 v[7:10], v7 offset:96
	s_waitcnt lgkmcnt(0)
	v_mul_f64 v[11:12], v[1:2], v[9:10]
	v_mul_f64 v[15:16], v[3:4], v[9:10]
	s_delay_alu instid0(VALU_DEP_2) | instskip(NEXT) | instid1(VALU_DEP_2)
	v_fma_f64 v[9:10], v[3:4], v[7:8], -v[11:12]
	v_fma_f64 v[11:12], v[1:2], v[7:8], v[15:16]
	scratch_store_b128 off, v[9:12], off offset:96
.LBB101_39:
	s_or_b32 exec_lo, exec_lo, s2
	s_waitcnt_vscnt null, 0x0
	s_barrier
	buffer_gl0_inv
	scratch_load_b128 v[1:4], v158, off
	s_mov_b32 s2, exec_lo
	s_waitcnt vmcnt(0)
	ds_store_b128 v5, v[1:4]
	s_waitcnt lgkmcnt(0)
	s_barrier
	buffer_gl0_inv
	v_cmpx_gt_u32_e32 7, v122
	s_cbranch_execz .LBB101_43
; %bb.40:
	v_dual_mov_b32 v1, 0 :: v_dual_add_nc_u32 v8, 0x260, v13
	v_dual_mov_b32 v2, 0 :: v_dual_add_nc_u32 v7, -1, v122
	v_or_b32_e32 v9, 8, v14
	s_mov_b32 s3, 0
	s_delay_alu instid0(VALU_DEP_2)
	v_dual_mov_b32 v4, v2 :: v_dual_mov_b32 v3, v1
	.p2align	6
.LBB101_41:                             ; =>This Inner Loop Header: Depth=1
	scratch_load_b128 v[15:18], v9, off offset:-8
	ds_load_b128 v[19:22], v8
	v_add_nc_u32_e32 v7, 1, v7
	v_add_nc_u32_e32 v8, 16, v8
	;; [unrolled: 1-line block ×3, first 2 shown]
	s_delay_alu instid0(VALU_DEP_3) | instskip(SKIP_4) | instid1(VALU_DEP_2)
	v_cmp_lt_u32_e32 vcc_lo, 5, v7
	s_or_b32 s3, vcc_lo, s3
	s_waitcnt vmcnt(0) lgkmcnt(0)
	v_mul_f64 v[10:11], v[21:22], v[17:18]
	v_mul_f64 v[17:18], v[19:20], v[17:18]
	v_fma_f64 v[10:11], v[19:20], v[15:16], -v[10:11]
	s_delay_alu instid0(VALU_DEP_2) | instskip(NEXT) | instid1(VALU_DEP_2)
	v_fma_f64 v[15:16], v[21:22], v[15:16], v[17:18]
	v_add_f64 v[3:4], v[3:4], v[10:11]
	s_delay_alu instid0(VALU_DEP_2)
	v_add_f64 v[1:2], v[1:2], v[15:16]
	s_and_not1_b32 exec_lo, exec_lo, s3
	s_cbranch_execnz .LBB101_41
; %bb.42:
	s_or_b32 exec_lo, exec_lo, s3
	v_mov_b32_e32 v7, 0
	ds_load_b128 v[7:10], v7 offset:112
	s_waitcnt lgkmcnt(0)
	v_mul_f64 v[11:12], v[1:2], v[9:10]
	v_mul_f64 v[15:16], v[3:4], v[9:10]
	s_delay_alu instid0(VALU_DEP_2) | instskip(NEXT) | instid1(VALU_DEP_2)
	v_fma_f64 v[9:10], v[3:4], v[7:8], -v[11:12]
	v_fma_f64 v[11:12], v[1:2], v[7:8], v[15:16]
	scratch_store_b128 off, v[9:12], off offset:112
.LBB101_43:
	s_or_b32 exec_lo, exec_lo, s2
	s_waitcnt_vscnt null, 0x0
	s_barrier
	buffer_gl0_inv
	scratch_load_b128 v[1:4], v156, off
	s_mov_b32 s2, exec_lo
	s_waitcnt vmcnt(0)
	ds_store_b128 v5, v[1:4]
	s_waitcnt lgkmcnt(0)
	s_barrier
	buffer_gl0_inv
	v_cmpx_gt_u32_e32 8, v122
	s_cbranch_execz .LBB101_47
; %bb.44:
	v_dual_mov_b32 v1, 0 :: v_dual_add_nc_u32 v8, 0x260, v13
	v_dual_mov_b32 v2, 0 :: v_dual_add_nc_u32 v7, -1, v122
	v_or_b32_e32 v9, 8, v14
	s_mov_b32 s3, 0
	s_delay_alu instid0(VALU_DEP_2)
	v_dual_mov_b32 v4, v2 :: v_dual_mov_b32 v3, v1
	.p2align	6
.LBB101_45:                             ; =>This Inner Loop Header: Depth=1
	scratch_load_b128 v[15:18], v9, off offset:-8
	ds_load_b128 v[19:22], v8
	v_add_nc_u32_e32 v7, 1, v7
	v_add_nc_u32_e32 v8, 16, v8
	v_add_nc_u32_e32 v9, 16, v9
	s_delay_alu instid0(VALU_DEP_3) | instskip(SKIP_4) | instid1(VALU_DEP_2)
	v_cmp_lt_u32_e32 vcc_lo, 6, v7
	s_or_b32 s3, vcc_lo, s3
	s_waitcnt vmcnt(0) lgkmcnt(0)
	v_mul_f64 v[10:11], v[21:22], v[17:18]
	v_mul_f64 v[17:18], v[19:20], v[17:18]
	v_fma_f64 v[10:11], v[19:20], v[15:16], -v[10:11]
	s_delay_alu instid0(VALU_DEP_2) | instskip(NEXT) | instid1(VALU_DEP_2)
	v_fma_f64 v[15:16], v[21:22], v[15:16], v[17:18]
	v_add_f64 v[3:4], v[3:4], v[10:11]
	s_delay_alu instid0(VALU_DEP_2)
	v_add_f64 v[1:2], v[1:2], v[15:16]
	s_and_not1_b32 exec_lo, exec_lo, s3
	s_cbranch_execnz .LBB101_45
; %bb.46:
	s_or_b32 exec_lo, exec_lo, s3
	v_mov_b32_e32 v7, 0
	ds_load_b128 v[7:10], v7 offset:128
	s_waitcnt lgkmcnt(0)
	v_mul_f64 v[11:12], v[1:2], v[9:10]
	v_mul_f64 v[15:16], v[3:4], v[9:10]
	s_delay_alu instid0(VALU_DEP_2) | instskip(NEXT) | instid1(VALU_DEP_2)
	v_fma_f64 v[9:10], v[3:4], v[7:8], -v[11:12]
	v_fma_f64 v[11:12], v[1:2], v[7:8], v[15:16]
	scratch_store_b128 off, v[9:12], off offset:128
.LBB101_47:
	s_or_b32 exec_lo, exec_lo, s2
	s_waitcnt_vscnt null, 0x0
	s_barrier
	buffer_gl0_inv
	scratch_load_b128 v[1:4], v155, off
	s_mov_b32 s2, exec_lo
	s_waitcnt vmcnt(0)
	ds_store_b128 v5, v[1:4]
	s_waitcnt lgkmcnt(0)
	s_barrier
	buffer_gl0_inv
	v_cmpx_gt_u32_e32 9, v122
	s_cbranch_execz .LBB101_51
; %bb.48:
	v_dual_mov_b32 v1, 0 :: v_dual_add_nc_u32 v8, 0x260, v13
	v_dual_mov_b32 v2, 0 :: v_dual_add_nc_u32 v7, -1, v122
	v_or_b32_e32 v9, 8, v14
	s_mov_b32 s3, 0
	s_delay_alu instid0(VALU_DEP_2)
	v_dual_mov_b32 v4, v2 :: v_dual_mov_b32 v3, v1
	.p2align	6
.LBB101_49:                             ; =>This Inner Loop Header: Depth=1
	scratch_load_b128 v[15:18], v9, off offset:-8
	ds_load_b128 v[19:22], v8
	v_add_nc_u32_e32 v7, 1, v7
	v_add_nc_u32_e32 v8, 16, v8
	;; [unrolled: 1-line block ×3, first 2 shown]
	s_delay_alu instid0(VALU_DEP_3) | instskip(SKIP_4) | instid1(VALU_DEP_2)
	v_cmp_lt_u32_e32 vcc_lo, 7, v7
	s_or_b32 s3, vcc_lo, s3
	s_waitcnt vmcnt(0) lgkmcnt(0)
	v_mul_f64 v[10:11], v[21:22], v[17:18]
	v_mul_f64 v[17:18], v[19:20], v[17:18]
	v_fma_f64 v[10:11], v[19:20], v[15:16], -v[10:11]
	s_delay_alu instid0(VALU_DEP_2) | instskip(NEXT) | instid1(VALU_DEP_2)
	v_fma_f64 v[15:16], v[21:22], v[15:16], v[17:18]
	v_add_f64 v[3:4], v[3:4], v[10:11]
	s_delay_alu instid0(VALU_DEP_2)
	v_add_f64 v[1:2], v[1:2], v[15:16]
	s_and_not1_b32 exec_lo, exec_lo, s3
	s_cbranch_execnz .LBB101_49
; %bb.50:
	s_or_b32 exec_lo, exec_lo, s3
	v_mov_b32_e32 v7, 0
	ds_load_b128 v[7:10], v7 offset:144
	s_waitcnt lgkmcnt(0)
	v_mul_f64 v[11:12], v[1:2], v[9:10]
	v_mul_f64 v[15:16], v[3:4], v[9:10]
	s_delay_alu instid0(VALU_DEP_2) | instskip(NEXT) | instid1(VALU_DEP_2)
	v_fma_f64 v[9:10], v[3:4], v[7:8], -v[11:12]
	v_fma_f64 v[11:12], v[1:2], v[7:8], v[15:16]
	scratch_store_b128 off, v[9:12], off offset:144
.LBB101_51:
	s_or_b32 exec_lo, exec_lo, s2
	s_waitcnt_vscnt null, 0x0
	s_barrier
	buffer_gl0_inv
	scratch_load_b128 v[1:4], v153, off
	s_mov_b32 s2, exec_lo
	s_waitcnt vmcnt(0)
	ds_store_b128 v5, v[1:4]
	s_waitcnt lgkmcnt(0)
	s_barrier
	buffer_gl0_inv
	v_cmpx_gt_u32_e32 10, v122
	s_cbranch_execz .LBB101_55
; %bb.52:
	v_dual_mov_b32 v1, 0 :: v_dual_add_nc_u32 v8, 0x260, v13
	v_dual_mov_b32 v2, 0 :: v_dual_add_nc_u32 v7, -1, v122
	v_or_b32_e32 v9, 8, v14
	s_mov_b32 s3, 0
	s_delay_alu instid0(VALU_DEP_2)
	v_dual_mov_b32 v4, v2 :: v_dual_mov_b32 v3, v1
	.p2align	6
.LBB101_53:                             ; =>This Inner Loop Header: Depth=1
	scratch_load_b128 v[15:18], v9, off offset:-8
	ds_load_b128 v[19:22], v8
	v_add_nc_u32_e32 v7, 1, v7
	v_add_nc_u32_e32 v8, 16, v8
	;; [unrolled: 1-line block ×3, first 2 shown]
	s_delay_alu instid0(VALU_DEP_3) | instskip(SKIP_4) | instid1(VALU_DEP_2)
	v_cmp_lt_u32_e32 vcc_lo, 8, v7
	s_or_b32 s3, vcc_lo, s3
	s_waitcnt vmcnt(0) lgkmcnt(0)
	v_mul_f64 v[10:11], v[21:22], v[17:18]
	v_mul_f64 v[17:18], v[19:20], v[17:18]
	v_fma_f64 v[10:11], v[19:20], v[15:16], -v[10:11]
	s_delay_alu instid0(VALU_DEP_2) | instskip(NEXT) | instid1(VALU_DEP_2)
	v_fma_f64 v[15:16], v[21:22], v[15:16], v[17:18]
	v_add_f64 v[3:4], v[3:4], v[10:11]
	s_delay_alu instid0(VALU_DEP_2)
	v_add_f64 v[1:2], v[1:2], v[15:16]
	s_and_not1_b32 exec_lo, exec_lo, s3
	s_cbranch_execnz .LBB101_53
; %bb.54:
	s_or_b32 exec_lo, exec_lo, s3
	v_mov_b32_e32 v7, 0
	ds_load_b128 v[7:10], v7 offset:160
	s_waitcnt lgkmcnt(0)
	v_mul_f64 v[11:12], v[1:2], v[9:10]
	v_mul_f64 v[15:16], v[3:4], v[9:10]
	s_delay_alu instid0(VALU_DEP_2) | instskip(NEXT) | instid1(VALU_DEP_2)
	v_fma_f64 v[9:10], v[3:4], v[7:8], -v[11:12]
	v_fma_f64 v[11:12], v[1:2], v[7:8], v[15:16]
	scratch_store_b128 off, v[9:12], off offset:160
.LBB101_55:
	s_or_b32 exec_lo, exec_lo, s2
	s_waitcnt_vscnt null, 0x0
	s_barrier
	buffer_gl0_inv
	scratch_load_b128 v[1:4], v154, off
	s_mov_b32 s2, exec_lo
	s_waitcnt vmcnt(0)
	ds_store_b128 v5, v[1:4]
	s_waitcnt lgkmcnt(0)
	s_barrier
	buffer_gl0_inv
	v_cmpx_gt_u32_e32 11, v122
	s_cbranch_execz .LBB101_59
; %bb.56:
	v_dual_mov_b32 v1, 0 :: v_dual_add_nc_u32 v8, 0x260, v13
	v_dual_mov_b32 v2, 0 :: v_dual_add_nc_u32 v7, -1, v122
	v_or_b32_e32 v9, 8, v14
	s_mov_b32 s3, 0
	s_delay_alu instid0(VALU_DEP_2)
	v_dual_mov_b32 v4, v2 :: v_dual_mov_b32 v3, v1
	.p2align	6
.LBB101_57:                             ; =>This Inner Loop Header: Depth=1
	scratch_load_b128 v[15:18], v9, off offset:-8
	ds_load_b128 v[19:22], v8
	v_add_nc_u32_e32 v7, 1, v7
	v_add_nc_u32_e32 v8, 16, v8
	;; [unrolled: 1-line block ×3, first 2 shown]
	s_delay_alu instid0(VALU_DEP_3) | instskip(SKIP_4) | instid1(VALU_DEP_2)
	v_cmp_lt_u32_e32 vcc_lo, 9, v7
	s_or_b32 s3, vcc_lo, s3
	s_waitcnt vmcnt(0) lgkmcnt(0)
	v_mul_f64 v[10:11], v[21:22], v[17:18]
	v_mul_f64 v[17:18], v[19:20], v[17:18]
	v_fma_f64 v[10:11], v[19:20], v[15:16], -v[10:11]
	s_delay_alu instid0(VALU_DEP_2) | instskip(NEXT) | instid1(VALU_DEP_2)
	v_fma_f64 v[15:16], v[21:22], v[15:16], v[17:18]
	v_add_f64 v[3:4], v[3:4], v[10:11]
	s_delay_alu instid0(VALU_DEP_2)
	v_add_f64 v[1:2], v[1:2], v[15:16]
	s_and_not1_b32 exec_lo, exec_lo, s3
	s_cbranch_execnz .LBB101_57
; %bb.58:
	s_or_b32 exec_lo, exec_lo, s3
	v_mov_b32_e32 v7, 0
	ds_load_b128 v[7:10], v7 offset:176
	s_waitcnt lgkmcnt(0)
	v_mul_f64 v[11:12], v[1:2], v[9:10]
	v_mul_f64 v[15:16], v[3:4], v[9:10]
	s_delay_alu instid0(VALU_DEP_2) | instskip(NEXT) | instid1(VALU_DEP_2)
	v_fma_f64 v[9:10], v[3:4], v[7:8], -v[11:12]
	v_fma_f64 v[11:12], v[1:2], v[7:8], v[15:16]
	scratch_store_b128 off, v[9:12], off offset:176
.LBB101_59:
	s_or_b32 exec_lo, exec_lo, s2
	s_waitcnt_vscnt null, 0x0
	s_barrier
	buffer_gl0_inv
	scratch_load_b128 v[1:4], v152, off
	s_mov_b32 s2, exec_lo
	s_waitcnt vmcnt(0)
	ds_store_b128 v5, v[1:4]
	s_waitcnt lgkmcnt(0)
	s_barrier
	buffer_gl0_inv
	v_cmpx_gt_u32_e32 12, v122
	s_cbranch_execz .LBB101_63
; %bb.60:
	v_dual_mov_b32 v1, 0 :: v_dual_add_nc_u32 v8, 0x260, v13
	v_dual_mov_b32 v2, 0 :: v_dual_add_nc_u32 v7, -1, v122
	v_or_b32_e32 v9, 8, v14
	s_mov_b32 s3, 0
	s_delay_alu instid0(VALU_DEP_2)
	v_dual_mov_b32 v4, v2 :: v_dual_mov_b32 v3, v1
	.p2align	6
.LBB101_61:                             ; =>This Inner Loop Header: Depth=1
	scratch_load_b128 v[15:18], v9, off offset:-8
	ds_load_b128 v[19:22], v8
	v_add_nc_u32_e32 v7, 1, v7
	v_add_nc_u32_e32 v8, 16, v8
	;; [unrolled: 1-line block ×3, first 2 shown]
	s_delay_alu instid0(VALU_DEP_3) | instskip(SKIP_4) | instid1(VALU_DEP_2)
	v_cmp_lt_u32_e32 vcc_lo, 10, v7
	s_or_b32 s3, vcc_lo, s3
	s_waitcnt vmcnt(0) lgkmcnt(0)
	v_mul_f64 v[10:11], v[21:22], v[17:18]
	v_mul_f64 v[17:18], v[19:20], v[17:18]
	v_fma_f64 v[10:11], v[19:20], v[15:16], -v[10:11]
	s_delay_alu instid0(VALU_DEP_2) | instskip(NEXT) | instid1(VALU_DEP_2)
	v_fma_f64 v[15:16], v[21:22], v[15:16], v[17:18]
	v_add_f64 v[3:4], v[3:4], v[10:11]
	s_delay_alu instid0(VALU_DEP_2)
	v_add_f64 v[1:2], v[1:2], v[15:16]
	s_and_not1_b32 exec_lo, exec_lo, s3
	s_cbranch_execnz .LBB101_61
; %bb.62:
	s_or_b32 exec_lo, exec_lo, s3
	v_mov_b32_e32 v7, 0
	ds_load_b128 v[7:10], v7 offset:192
	s_waitcnt lgkmcnt(0)
	v_mul_f64 v[11:12], v[1:2], v[9:10]
	v_mul_f64 v[15:16], v[3:4], v[9:10]
	s_delay_alu instid0(VALU_DEP_2) | instskip(NEXT) | instid1(VALU_DEP_2)
	v_fma_f64 v[9:10], v[3:4], v[7:8], -v[11:12]
	v_fma_f64 v[11:12], v[1:2], v[7:8], v[15:16]
	scratch_store_b128 off, v[9:12], off offset:192
.LBB101_63:
	s_or_b32 exec_lo, exec_lo, s2
	s_waitcnt_vscnt null, 0x0
	s_barrier
	buffer_gl0_inv
	scratch_load_b128 v[1:4], v150, off
	s_mov_b32 s2, exec_lo
	s_waitcnt vmcnt(0)
	ds_store_b128 v5, v[1:4]
	s_waitcnt lgkmcnt(0)
	s_barrier
	buffer_gl0_inv
	v_cmpx_gt_u32_e32 13, v122
	s_cbranch_execz .LBB101_67
; %bb.64:
	v_dual_mov_b32 v1, 0 :: v_dual_add_nc_u32 v8, 0x260, v13
	v_dual_mov_b32 v2, 0 :: v_dual_add_nc_u32 v7, -1, v122
	v_or_b32_e32 v9, 8, v14
	s_mov_b32 s3, 0
	s_delay_alu instid0(VALU_DEP_2)
	v_dual_mov_b32 v4, v2 :: v_dual_mov_b32 v3, v1
	.p2align	6
.LBB101_65:                             ; =>This Inner Loop Header: Depth=1
	scratch_load_b128 v[15:18], v9, off offset:-8
	ds_load_b128 v[19:22], v8
	v_add_nc_u32_e32 v7, 1, v7
	v_add_nc_u32_e32 v8, 16, v8
	;; [unrolled: 1-line block ×3, first 2 shown]
	s_delay_alu instid0(VALU_DEP_3) | instskip(SKIP_4) | instid1(VALU_DEP_2)
	v_cmp_lt_u32_e32 vcc_lo, 11, v7
	s_or_b32 s3, vcc_lo, s3
	s_waitcnt vmcnt(0) lgkmcnt(0)
	v_mul_f64 v[10:11], v[21:22], v[17:18]
	v_mul_f64 v[17:18], v[19:20], v[17:18]
	v_fma_f64 v[10:11], v[19:20], v[15:16], -v[10:11]
	s_delay_alu instid0(VALU_DEP_2) | instskip(NEXT) | instid1(VALU_DEP_2)
	v_fma_f64 v[15:16], v[21:22], v[15:16], v[17:18]
	v_add_f64 v[3:4], v[3:4], v[10:11]
	s_delay_alu instid0(VALU_DEP_2)
	v_add_f64 v[1:2], v[1:2], v[15:16]
	s_and_not1_b32 exec_lo, exec_lo, s3
	s_cbranch_execnz .LBB101_65
; %bb.66:
	s_or_b32 exec_lo, exec_lo, s3
	v_mov_b32_e32 v7, 0
	ds_load_b128 v[7:10], v7 offset:208
	s_waitcnt lgkmcnt(0)
	v_mul_f64 v[11:12], v[1:2], v[9:10]
	v_mul_f64 v[15:16], v[3:4], v[9:10]
	s_delay_alu instid0(VALU_DEP_2) | instskip(NEXT) | instid1(VALU_DEP_2)
	v_fma_f64 v[9:10], v[3:4], v[7:8], -v[11:12]
	v_fma_f64 v[11:12], v[1:2], v[7:8], v[15:16]
	scratch_store_b128 off, v[9:12], off offset:208
.LBB101_67:
	s_or_b32 exec_lo, exec_lo, s2
	s_waitcnt_vscnt null, 0x0
	s_barrier
	buffer_gl0_inv
	scratch_load_b128 v[1:4], v148, off
	s_mov_b32 s2, exec_lo
	s_waitcnt vmcnt(0)
	ds_store_b128 v5, v[1:4]
	s_waitcnt lgkmcnt(0)
	s_barrier
	buffer_gl0_inv
	v_cmpx_gt_u32_e32 14, v122
	s_cbranch_execz .LBB101_71
; %bb.68:
	v_dual_mov_b32 v1, 0 :: v_dual_add_nc_u32 v8, 0x260, v13
	v_dual_mov_b32 v2, 0 :: v_dual_add_nc_u32 v7, -1, v122
	v_or_b32_e32 v9, 8, v14
	s_mov_b32 s3, 0
	s_delay_alu instid0(VALU_DEP_2)
	v_dual_mov_b32 v4, v2 :: v_dual_mov_b32 v3, v1
	.p2align	6
.LBB101_69:                             ; =>This Inner Loop Header: Depth=1
	scratch_load_b128 v[15:18], v9, off offset:-8
	ds_load_b128 v[19:22], v8
	v_add_nc_u32_e32 v7, 1, v7
	v_add_nc_u32_e32 v8, 16, v8
	;; [unrolled: 1-line block ×3, first 2 shown]
	s_delay_alu instid0(VALU_DEP_3) | instskip(SKIP_4) | instid1(VALU_DEP_2)
	v_cmp_lt_u32_e32 vcc_lo, 12, v7
	s_or_b32 s3, vcc_lo, s3
	s_waitcnt vmcnt(0) lgkmcnt(0)
	v_mul_f64 v[10:11], v[21:22], v[17:18]
	v_mul_f64 v[17:18], v[19:20], v[17:18]
	v_fma_f64 v[10:11], v[19:20], v[15:16], -v[10:11]
	s_delay_alu instid0(VALU_DEP_2) | instskip(NEXT) | instid1(VALU_DEP_2)
	v_fma_f64 v[15:16], v[21:22], v[15:16], v[17:18]
	v_add_f64 v[3:4], v[3:4], v[10:11]
	s_delay_alu instid0(VALU_DEP_2)
	v_add_f64 v[1:2], v[1:2], v[15:16]
	s_and_not1_b32 exec_lo, exec_lo, s3
	s_cbranch_execnz .LBB101_69
; %bb.70:
	s_or_b32 exec_lo, exec_lo, s3
	v_mov_b32_e32 v7, 0
	ds_load_b128 v[7:10], v7 offset:224
	s_waitcnt lgkmcnt(0)
	v_mul_f64 v[11:12], v[1:2], v[9:10]
	v_mul_f64 v[15:16], v[3:4], v[9:10]
	s_delay_alu instid0(VALU_DEP_2) | instskip(NEXT) | instid1(VALU_DEP_2)
	v_fma_f64 v[9:10], v[3:4], v[7:8], -v[11:12]
	v_fma_f64 v[11:12], v[1:2], v[7:8], v[15:16]
	scratch_store_b128 off, v[9:12], off offset:224
.LBB101_71:
	s_or_b32 exec_lo, exec_lo, s2
	s_waitcnt_vscnt null, 0x0
	s_barrier
	buffer_gl0_inv
	scratch_load_b128 v[1:4], v149, off
	s_mov_b32 s2, exec_lo
	s_waitcnt vmcnt(0)
	ds_store_b128 v5, v[1:4]
	s_waitcnt lgkmcnt(0)
	s_barrier
	buffer_gl0_inv
	v_cmpx_gt_u32_e32 15, v122
	s_cbranch_execz .LBB101_75
; %bb.72:
	v_dual_mov_b32 v1, 0 :: v_dual_add_nc_u32 v8, 0x260, v13
	v_dual_mov_b32 v2, 0 :: v_dual_add_nc_u32 v7, -1, v122
	v_or_b32_e32 v9, 8, v14
	s_mov_b32 s3, 0
	s_delay_alu instid0(VALU_DEP_2)
	v_dual_mov_b32 v4, v2 :: v_dual_mov_b32 v3, v1
	.p2align	6
.LBB101_73:                             ; =>This Inner Loop Header: Depth=1
	scratch_load_b128 v[15:18], v9, off offset:-8
	ds_load_b128 v[19:22], v8
	v_add_nc_u32_e32 v7, 1, v7
	v_add_nc_u32_e32 v8, 16, v8
	;; [unrolled: 1-line block ×3, first 2 shown]
	s_delay_alu instid0(VALU_DEP_3) | instskip(SKIP_4) | instid1(VALU_DEP_2)
	v_cmp_lt_u32_e32 vcc_lo, 13, v7
	s_or_b32 s3, vcc_lo, s3
	s_waitcnt vmcnt(0) lgkmcnt(0)
	v_mul_f64 v[10:11], v[21:22], v[17:18]
	v_mul_f64 v[17:18], v[19:20], v[17:18]
	v_fma_f64 v[10:11], v[19:20], v[15:16], -v[10:11]
	s_delay_alu instid0(VALU_DEP_2) | instskip(NEXT) | instid1(VALU_DEP_2)
	v_fma_f64 v[15:16], v[21:22], v[15:16], v[17:18]
	v_add_f64 v[3:4], v[3:4], v[10:11]
	s_delay_alu instid0(VALU_DEP_2)
	v_add_f64 v[1:2], v[1:2], v[15:16]
	s_and_not1_b32 exec_lo, exec_lo, s3
	s_cbranch_execnz .LBB101_73
; %bb.74:
	s_or_b32 exec_lo, exec_lo, s3
	v_mov_b32_e32 v7, 0
	ds_load_b128 v[7:10], v7 offset:240
	s_waitcnt lgkmcnt(0)
	v_mul_f64 v[11:12], v[1:2], v[9:10]
	v_mul_f64 v[15:16], v[3:4], v[9:10]
	s_delay_alu instid0(VALU_DEP_2) | instskip(NEXT) | instid1(VALU_DEP_2)
	v_fma_f64 v[9:10], v[3:4], v[7:8], -v[11:12]
	v_fma_f64 v[11:12], v[1:2], v[7:8], v[15:16]
	scratch_store_b128 off, v[9:12], off offset:240
.LBB101_75:
	s_or_b32 exec_lo, exec_lo, s2
	s_waitcnt_vscnt null, 0x0
	s_barrier
	buffer_gl0_inv
	scratch_load_b128 v[1:4], v147, off
	s_mov_b32 s2, exec_lo
	s_waitcnt vmcnt(0)
	ds_store_b128 v5, v[1:4]
	s_waitcnt lgkmcnt(0)
	s_barrier
	buffer_gl0_inv
	v_cmpx_gt_u32_e32 16, v122
	s_cbranch_execz .LBB101_79
; %bb.76:
	v_dual_mov_b32 v1, 0 :: v_dual_add_nc_u32 v8, 0x260, v13
	v_dual_mov_b32 v2, 0 :: v_dual_add_nc_u32 v7, -1, v122
	v_or_b32_e32 v9, 8, v14
	s_mov_b32 s3, 0
	s_delay_alu instid0(VALU_DEP_2)
	v_dual_mov_b32 v4, v2 :: v_dual_mov_b32 v3, v1
	.p2align	6
.LBB101_77:                             ; =>This Inner Loop Header: Depth=1
	scratch_load_b128 v[15:18], v9, off offset:-8
	ds_load_b128 v[19:22], v8
	v_add_nc_u32_e32 v7, 1, v7
	v_add_nc_u32_e32 v8, 16, v8
	;; [unrolled: 1-line block ×3, first 2 shown]
	s_delay_alu instid0(VALU_DEP_3) | instskip(SKIP_4) | instid1(VALU_DEP_2)
	v_cmp_lt_u32_e32 vcc_lo, 14, v7
	s_or_b32 s3, vcc_lo, s3
	s_waitcnt vmcnt(0) lgkmcnt(0)
	v_mul_f64 v[10:11], v[21:22], v[17:18]
	v_mul_f64 v[17:18], v[19:20], v[17:18]
	v_fma_f64 v[10:11], v[19:20], v[15:16], -v[10:11]
	s_delay_alu instid0(VALU_DEP_2) | instskip(NEXT) | instid1(VALU_DEP_2)
	v_fma_f64 v[15:16], v[21:22], v[15:16], v[17:18]
	v_add_f64 v[3:4], v[3:4], v[10:11]
	s_delay_alu instid0(VALU_DEP_2)
	v_add_f64 v[1:2], v[1:2], v[15:16]
	s_and_not1_b32 exec_lo, exec_lo, s3
	s_cbranch_execnz .LBB101_77
; %bb.78:
	s_or_b32 exec_lo, exec_lo, s3
	v_mov_b32_e32 v7, 0
	ds_load_b128 v[7:10], v7 offset:256
	s_waitcnt lgkmcnt(0)
	v_mul_f64 v[11:12], v[1:2], v[9:10]
	v_mul_f64 v[15:16], v[3:4], v[9:10]
	s_delay_alu instid0(VALU_DEP_2) | instskip(NEXT) | instid1(VALU_DEP_2)
	v_fma_f64 v[9:10], v[3:4], v[7:8], -v[11:12]
	v_fma_f64 v[11:12], v[1:2], v[7:8], v[15:16]
	scratch_store_b128 off, v[9:12], off offset:256
.LBB101_79:
	s_or_b32 exec_lo, exec_lo, s2
	s_waitcnt_vscnt null, 0x0
	s_barrier
	buffer_gl0_inv
	scratch_load_b128 v[1:4], v145, off
	s_mov_b32 s2, exec_lo
	s_waitcnt vmcnt(0)
	ds_store_b128 v5, v[1:4]
	s_waitcnt lgkmcnt(0)
	s_barrier
	buffer_gl0_inv
	v_cmpx_gt_u32_e32 17, v122
	s_cbranch_execz .LBB101_83
; %bb.80:
	v_dual_mov_b32 v1, 0 :: v_dual_add_nc_u32 v8, 0x260, v13
	v_dual_mov_b32 v2, 0 :: v_dual_add_nc_u32 v7, -1, v122
	v_or_b32_e32 v9, 8, v14
	s_mov_b32 s3, 0
	s_delay_alu instid0(VALU_DEP_2)
	v_dual_mov_b32 v4, v2 :: v_dual_mov_b32 v3, v1
	.p2align	6
.LBB101_81:                             ; =>This Inner Loop Header: Depth=1
	scratch_load_b128 v[15:18], v9, off offset:-8
	ds_load_b128 v[19:22], v8
	v_add_nc_u32_e32 v7, 1, v7
	v_add_nc_u32_e32 v8, 16, v8
	;; [unrolled: 1-line block ×3, first 2 shown]
	s_delay_alu instid0(VALU_DEP_3) | instskip(SKIP_4) | instid1(VALU_DEP_2)
	v_cmp_lt_u32_e32 vcc_lo, 15, v7
	s_or_b32 s3, vcc_lo, s3
	s_waitcnt vmcnt(0) lgkmcnt(0)
	v_mul_f64 v[10:11], v[21:22], v[17:18]
	v_mul_f64 v[17:18], v[19:20], v[17:18]
	v_fma_f64 v[10:11], v[19:20], v[15:16], -v[10:11]
	s_delay_alu instid0(VALU_DEP_2) | instskip(NEXT) | instid1(VALU_DEP_2)
	v_fma_f64 v[15:16], v[21:22], v[15:16], v[17:18]
	v_add_f64 v[3:4], v[3:4], v[10:11]
	s_delay_alu instid0(VALU_DEP_2)
	v_add_f64 v[1:2], v[1:2], v[15:16]
	s_and_not1_b32 exec_lo, exec_lo, s3
	s_cbranch_execnz .LBB101_81
; %bb.82:
	s_or_b32 exec_lo, exec_lo, s3
	v_mov_b32_e32 v7, 0
	ds_load_b128 v[7:10], v7 offset:272
	s_waitcnt lgkmcnt(0)
	v_mul_f64 v[11:12], v[1:2], v[9:10]
	v_mul_f64 v[15:16], v[3:4], v[9:10]
	s_delay_alu instid0(VALU_DEP_2) | instskip(NEXT) | instid1(VALU_DEP_2)
	v_fma_f64 v[9:10], v[3:4], v[7:8], -v[11:12]
	v_fma_f64 v[11:12], v[1:2], v[7:8], v[15:16]
	scratch_store_b128 off, v[9:12], off offset:272
.LBB101_83:
	s_or_b32 exec_lo, exec_lo, s2
	s_waitcnt_vscnt null, 0x0
	s_barrier
	buffer_gl0_inv
	scratch_load_b128 v[1:4], v143, off
	s_mov_b32 s2, exec_lo
	s_waitcnt vmcnt(0)
	ds_store_b128 v5, v[1:4]
	s_waitcnt lgkmcnt(0)
	s_barrier
	buffer_gl0_inv
	v_cmpx_gt_u32_e32 18, v122
	s_cbranch_execz .LBB101_87
; %bb.84:
	v_dual_mov_b32 v1, 0 :: v_dual_add_nc_u32 v8, 0x260, v13
	v_dual_mov_b32 v2, 0 :: v_dual_add_nc_u32 v7, -1, v122
	v_or_b32_e32 v9, 8, v14
	s_mov_b32 s3, 0
	s_delay_alu instid0(VALU_DEP_2)
	v_dual_mov_b32 v4, v2 :: v_dual_mov_b32 v3, v1
	.p2align	6
.LBB101_85:                             ; =>This Inner Loop Header: Depth=1
	scratch_load_b128 v[15:18], v9, off offset:-8
	ds_load_b128 v[19:22], v8
	v_add_nc_u32_e32 v7, 1, v7
	v_add_nc_u32_e32 v8, 16, v8
	;; [unrolled: 1-line block ×3, first 2 shown]
	s_delay_alu instid0(VALU_DEP_3) | instskip(SKIP_4) | instid1(VALU_DEP_2)
	v_cmp_lt_u32_e32 vcc_lo, 16, v7
	s_or_b32 s3, vcc_lo, s3
	s_waitcnt vmcnt(0) lgkmcnt(0)
	v_mul_f64 v[10:11], v[21:22], v[17:18]
	v_mul_f64 v[17:18], v[19:20], v[17:18]
	v_fma_f64 v[10:11], v[19:20], v[15:16], -v[10:11]
	s_delay_alu instid0(VALU_DEP_2) | instskip(NEXT) | instid1(VALU_DEP_2)
	v_fma_f64 v[15:16], v[21:22], v[15:16], v[17:18]
	v_add_f64 v[3:4], v[3:4], v[10:11]
	s_delay_alu instid0(VALU_DEP_2)
	v_add_f64 v[1:2], v[1:2], v[15:16]
	s_and_not1_b32 exec_lo, exec_lo, s3
	s_cbranch_execnz .LBB101_85
; %bb.86:
	s_or_b32 exec_lo, exec_lo, s3
	v_mov_b32_e32 v7, 0
	ds_load_b128 v[7:10], v7 offset:288
	s_waitcnt lgkmcnt(0)
	v_mul_f64 v[11:12], v[1:2], v[9:10]
	v_mul_f64 v[15:16], v[3:4], v[9:10]
	s_delay_alu instid0(VALU_DEP_2) | instskip(NEXT) | instid1(VALU_DEP_2)
	v_fma_f64 v[9:10], v[3:4], v[7:8], -v[11:12]
	v_fma_f64 v[11:12], v[1:2], v[7:8], v[15:16]
	scratch_store_b128 off, v[9:12], off offset:288
.LBB101_87:
	s_or_b32 exec_lo, exec_lo, s2
	s_waitcnt_vscnt null, 0x0
	s_barrier
	buffer_gl0_inv
	scratch_load_b128 v[1:4], v142, off
	s_mov_b32 s2, exec_lo
	s_waitcnt vmcnt(0)
	ds_store_b128 v5, v[1:4]
	s_waitcnt lgkmcnt(0)
	s_barrier
	buffer_gl0_inv
	v_cmpx_gt_u32_e32 19, v122
	s_cbranch_execz .LBB101_91
; %bb.88:
	v_dual_mov_b32 v1, 0 :: v_dual_add_nc_u32 v8, 0x260, v13
	v_dual_mov_b32 v2, 0 :: v_dual_add_nc_u32 v7, -1, v122
	v_or_b32_e32 v9, 8, v14
	s_mov_b32 s3, 0
	s_delay_alu instid0(VALU_DEP_2)
	v_dual_mov_b32 v4, v2 :: v_dual_mov_b32 v3, v1
	.p2align	6
.LBB101_89:                             ; =>This Inner Loop Header: Depth=1
	scratch_load_b128 v[15:18], v9, off offset:-8
	ds_load_b128 v[19:22], v8
	v_add_nc_u32_e32 v7, 1, v7
	v_add_nc_u32_e32 v8, 16, v8
	;; [unrolled: 1-line block ×3, first 2 shown]
	s_delay_alu instid0(VALU_DEP_3) | instskip(SKIP_4) | instid1(VALU_DEP_2)
	v_cmp_lt_u32_e32 vcc_lo, 17, v7
	s_or_b32 s3, vcc_lo, s3
	s_waitcnt vmcnt(0) lgkmcnt(0)
	v_mul_f64 v[10:11], v[21:22], v[17:18]
	v_mul_f64 v[17:18], v[19:20], v[17:18]
	v_fma_f64 v[10:11], v[19:20], v[15:16], -v[10:11]
	s_delay_alu instid0(VALU_DEP_2) | instskip(NEXT) | instid1(VALU_DEP_2)
	v_fma_f64 v[15:16], v[21:22], v[15:16], v[17:18]
	v_add_f64 v[3:4], v[3:4], v[10:11]
	s_delay_alu instid0(VALU_DEP_2)
	v_add_f64 v[1:2], v[1:2], v[15:16]
	s_and_not1_b32 exec_lo, exec_lo, s3
	s_cbranch_execnz .LBB101_89
; %bb.90:
	s_or_b32 exec_lo, exec_lo, s3
	v_mov_b32_e32 v7, 0
	ds_load_b128 v[7:10], v7 offset:304
	s_waitcnt lgkmcnt(0)
	v_mul_f64 v[11:12], v[1:2], v[9:10]
	v_mul_f64 v[15:16], v[3:4], v[9:10]
	s_delay_alu instid0(VALU_DEP_2) | instskip(NEXT) | instid1(VALU_DEP_2)
	v_fma_f64 v[9:10], v[3:4], v[7:8], -v[11:12]
	v_fma_f64 v[11:12], v[1:2], v[7:8], v[15:16]
	scratch_store_b128 off, v[9:12], off offset:304
.LBB101_91:
	s_or_b32 exec_lo, exec_lo, s2
	s_waitcnt_vscnt null, 0x0
	s_barrier
	buffer_gl0_inv
	scratch_load_b128 v[1:4], v141, off
	s_mov_b32 s2, exec_lo
	s_waitcnt vmcnt(0)
	ds_store_b128 v5, v[1:4]
	s_waitcnt lgkmcnt(0)
	s_barrier
	buffer_gl0_inv
	v_cmpx_gt_u32_e32 20, v122
	s_cbranch_execz .LBB101_95
; %bb.92:
	v_dual_mov_b32 v1, 0 :: v_dual_add_nc_u32 v8, 0x260, v13
	v_dual_mov_b32 v2, 0 :: v_dual_add_nc_u32 v7, -1, v122
	v_or_b32_e32 v9, 8, v14
	s_mov_b32 s3, 0
	s_delay_alu instid0(VALU_DEP_2)
	v_dual_mov_b32 v4, v2 :: v_dual_mov_b32 v3, v1
	.p2align	6
.LBB101_93:                             ; =>This Inner Loop Header: Depth=1
	scratch_load_b128 v[15:18], v9, off offset:-8
	ds_load_b128 v[19:22], v8
	v_add_nc_u32_e32 v7, 1, v7
	v_add_nc_u32_e32 v8, 16, v8
	;; [unrolled: 1-line block ×3, first 2 shown]
	s_delay_alu instid0(VALU_DEP_3) | instskip(SKIP_4) | instid1(VALU_DEP_2)
	v_cmp_lt_u32_e32 vcc_lo, 18, v7
	s_or_b32 s3, vcc_lo, s3
	s_waitcnt vmcnt(0) lgkmcnt(0)
	v_mul_f64 v[10:11], v[21:22], v[17:18]
	v_mul_f64 v[17:18], v[19:20], v[17:18]
	v_fma_f64 v[10:11], v[19:20], v[15:16], -v[10:11]
	s_delay_alu instid0(VALU_DEP_2) | instskip(NEXT) | instid1(VALU_DEP_2)
	v_fma_f64 v[15:16], v[21:22], v[15:16], v[17:18]
	v_add_f64 v[3:4], v[3:4], v[10:11]
	s_delay_alu instid0(VALU_DEP_2)
	v_add_f64 v[1:2], v[1:2], v[15:16]
	s_and_not1_b32 exec_lo, exec_lo, s3
	s_cbranch_execnz .LBB101_93
; %bb.94:
	s_or_b32 exec_lo, exec_lo, s3
	v_mov_b32_e32 v7, 0
	ds_load_b128 v[7:10], v7 offset:320
	s_waitcnt lgkmcnt(0)
	v_mul_f64 v[11:12], v[1:2], v[9:10]
	v_mul_f64 v[15:16], v[3:4], v[9:10]
	s_delay_alu instid0(VALU_DEP_2) | instskip(NEXT) | instid1(VALU_DEP_2)
	v_fma_f64 v[9:10], v[3:4], v[7:8], -v[11:12]
	v_fma_f64 v[11:12], v[1:2], v[7:8], v[15:16]
	scratch_store_b128 off, v[9:12], off offset:320
.LBB101_95:
	s_or_b32 exec_lo, exec_lo, s2
	s_waitcnt_vscnt null, 0x0
	s_barrier
	buffer_gl0_inv
	scratch_load_b128 v[1:4], v139, off
	s_mov_b32 s2, exec_lo
	s_waitcnt vmcnt(0)
	ds_store_b128 v5, v[1:4]
	s_waitcnt lgkmcnt(0)
	s_barrier
	buffer_gl0_inv
	v_cmpx_gt_u32_e32 21, v122
	s_cbranch_execz .LBB101_99
; %bb.96:
	v_dual_mov_b32 v1, 0 :: v_dual_add_nc_u32 v8, 0x260, v13
	v_dual_mov_b32 v2, 0 :: v_dual_add_nc_u32 v7, -1, v122
	v_or_b32_e32 v9, 8, v14
	s_mov_b32 s3, 0
	s_delay_alu instid0(VALU_DEP_2)
	v_dual_mov_b32 v4, v2 :: v_dual_mov_b32 v3, v1
	.p2align	6
.LBB101_97:                             ; =>This Inner Loop Header: Depth=1
	scratch_load_b128 v[15:18], v9, off offset:-8
	ds_load_b128 v[19:22], v8
	v_add_nc_u32_e32 v7, 1, v7
	v_add_nc_u32_e32 v8, 16, v8
	;; [unrolled: 1-line block ×3, first 2 shown]
	s_delay_alu instid0(VALU_DEP_3) | instskip(SKIP_4) | instid1(VALU_DEP_2)
	v_cmp_lt_u32_e32 vcc_lo, 19, v7
	s_or_b32 s3, vcc_lo, s3
	s_waitcnt vmcnt(0) lgkmcnt(0)
	v_mul_f64 v[10:11], v[21:22], v[17:18]
	v_mul_f64 v[17:18], v[19:20], v[17:18]
	v_fma_f64 v[10:11], v[19:20], v[15:16], -v[10:11]
	s_delay_alu instid0(VALU_DEP_2) | instskip(NEXT) | instid1(VALU_DEP_2)
	v_fma_f64 v[15:16], v[21:22], v[15:16], v[17:18]
	v_add_f64 v[3:4], v[3:4], v[10:11]
	s_delay_alu instid0(VALU_DEP_2)
	v_add_f64 v[1:2], v[1:2], v[15:16]
	s_and_not1_b32 exec_lo, exec_lo, s3
	s_cbranch_execnz .LBB101_97
; %bb.98:
	s_or_b32 exec_lo, exec_lo, s3
	v_mov_b32_e32 v7, 0
	ds_load_b128 v[7:10], v7 offset:336
	s_waitcnt lgkmcnt(0)
	v_mul_f64 v[11:12], v[1:2], v[9:10]
	v_mul_f64 v[15:16], v[3:4], v[9:10]
	s_delay_alu instid0(VALU_DEP_2) | instskip(NEXT) | instid1(VALU_DEP_2)
	v_fma_f64 v[9:10], v[3:4], v[7:8], -v[11:12]
	v_fma_f64 v[11:12], v[1:2], v[7:8], v[15:16]
	scratch_store_b128 off, v[9:12], off offset:336
.LBB101_99:
	s_or_b32 exec_lo, exec_lo, s2
	s_waitcnt_vscnt null, 0x0
	s_barrier
	buffer_gl0_inv
	scratch_load_b128 v[1:4], v137, off
	s_mov_b32 s2, exec_lo
	s_waitcnt vmcnt(0)
	ds_store_b128 v5, v[1:4]
	s_waitcnt lgkmcnt(0)
	s_barrier
	buffer_gl0_inv
	v_cmpx_gt_u32_e32 22, v122
	s_cbranch_execz .LBB101_103
; %bb.100:
	v_dual_mov_b32 v1, 0 :: v_dual_add_nc_u32 v8, 0x260, v13
	v_dual_mov_b32 v2, 0 :: v_dual_add_nc_u32 v7, -1, v122
	v_or_b32_e32 v9, 8, v14
	s_mov_b32 s3, 0
	s_delay_alu instid0(VALU_DEP_2)
	v_dual_mov_b32 v4, v2 :: v_dual_mov_b32 v3, v1
	.p2align	6
.LBB101_101:                            ; =>This Inner Loop Header: Depth=1
	scratch_load_b128 v[15:18], v9, off offset:-8
	ds_load_b128 v[19:22], v8
	v_add_nc_u32_e32 v7, 1, v7
	v_add_nc_u32_e32 v8, 16, v8
	v_add_nc_u32_e32 v9, 16, v9
	s_delay_alu instid0(VALU_DEP_3) | instskip(SKIP_4) | instid1(VALU_DEP_2)
	v_cmp_lt_u32_e32 vcc_lo, 20, v7
	s_or_b32 s3, vcc_lo, s3
	s_waitcnt vmcnt(0) lgkmcnt(0)
	v_mul_f64 v[10:11], v[21:22], v[17:18]
	v_mul_f64 v[17:18], v[19:20], v[17:18]
	v_fma_f64 v[10:11], v[19:20], v[15:16], -v[10:11]
	s_delay_alu instid0(VALU_DEP_2) | instskip(NEXT) | instid1(VALU_DEP_2)
	v_fma_f64 v[15:16], v[21:22], v[15:16], v[17:18]
	v_add_f64 v[3:4], v[3:4], v[10:11]
	s_delay_alu instid0(VALU_DEP_2)
	v_add_f64 v[1:2], v[1:2], v[15:16]
	s_and_not1_b32 exec_lo, exec_lo, s3
	s_cbranch_execnz .LBB101_101
; %bb.102:
	s_or_b32 exec_lo, exec_lo, s3
	v_mov_b32_e32 v7, 0
	ds_load_b128 v[7:10], v7 offset:352
	s_waitcnt lgkmcnt(0)
	v_mul_f64 v[11:12], v[1:2], v[9:10]
	v_mul_f64 v[15:16], v[3:4], v[9:10]
	s_delay_alu instid0(VALU_DEP_2) | instskip(NEXT) | instid1(VALU_DEP_2)
	v_fma_f64 v[9:10], v[3:4], v[7:8], -v[11:12]
	v_fma_f64 v[11:12], v[1:2], v[7:8], v[15:16]
	scratch_store_b128 off, v[9:12], off offset:352
.LBB101_103:
	s_or_b32 exec_lo, exec_lo, s2
	s_waitcnt_vscnt null, 0x0
	s_barrier
	buffer_gl0_inv
	scratch_load_b128 v[1:4], v136, off
	s_mov_b32 s2, exec_lo
	s_waitcnt vmcnt(0)
	ds_store_b128 v5, v[1:4]
	s_waitcnt lgkmcnt(0)
	s_barrier
	buffer_gl0_inv
	v_cmpx_gt_u32_e32 23, v122
	s_cbranch_execz .LBB101_107
; %bb.104:
	v_dual_mov_b32 v1, 0 :: v_dual_add_nc_u32 v8, 0x260, v13
	v_dual_mov_b32 v2, 0 :: v_dual_add_nc_u32 v7, -1, v122
	v_or_b32_e32 v9, 8, v14
	s_mov_b32 s3, 0
	s_delay_alu instid0(VALU_DEP_2)
	v_dual_mov_b32 v4, v2 :: v_dual_mov_b32 v3, v1
	.p2align	6
.LBB101_105:                            ; =>This Inner Loop Header: Depth=1
	scratch_load_b128 v[15:18], v9, off offset:-8
	ds_load_b128 v[19:22], v8
	v_add_nc_u32_e32 v7, 1, v7
	v_add_nc_u32_e32 v8, 16, v8
	;; [unrolled: 1-line block ×3, first 2 shown]
	s_delay_alu instid0(VALU_DEP_3) | instskip(SKIP_4) | instid1(VALU_DEP_2)
	v_cmp_lt_u32_e32 vcc_lo, 21, v7
	s_or_b32 s3, vcc_lo, s3
	s_waitcnt vmcnt(0) lgkmcnt(0)
	v_mul_f64 v[10:11], v[21:22], v[17:18]
	v_mul_f64 v[17:18], v[19:20], v[17:18]
	v_fma_f64 v[10:11], v[19:20], v[15:16], -v[10:11]
	s_delay_alu instid0(VALU_DEP_2) | instskip(NEXT) | instid1(VALU_DEP_2)
	v_fma_f64 v[15:16], v[21:22], v[15:16], v[17:18]
	v_add_f64 v[3:4], v[3:4], v[10:11]
	s_delay_alu instid0(VALU_DEP_2)
	v_add_f64 v[1:2], v[1:2], v[15:16]
	s_and_not1_b32 exec_lo, exec_lo, s3
	s_cbranch_execnz .LBB101_105
; %bb.106:
	s_or_b32 exec_lo, exec_lo, s3
	v_mov_b32_e32 v7, 0
	ds_load_b128 v[7:10], v7 offset:368
	s_waitcnt lgkmcnt(0)
	v_mul_f64 v[11:12], v[1:2], v[9:10]
	v_mul_f64 v[15:16], v[3:4], v[9:10]
	s_delay_alu instid0(VALU_DEP_2) | instskip(NEXT) | instid1(VALU_DEP_2)
	v_fma_f64 v[9:10], v[3:4], v[7:8], -v[11:12]
	v_fma_f64 v[11:12], v[1:2], v[7:8], v[15:16]
	scratch_store_b128 off, v[9:12], off offset:368
.LBB101_107:
	s_or_b32 exec_lo, exec_lo, s2
	s_waitcnt_vscnt null, 0x0
	s_barrier
	buffer_gl0_inv
	scratch_load_b128 v[1:4], v134, off
	s_mov_b32 s2, exec_lo
	s_waitcnt vmcnt(0)
	ds_store_b128 v5, v[1:4]
	s_waitcnt lgkmcnt(0)
	s_barrier
	buffer_gl0_inv
	v_cmpx_gt_u32_e32 24, v122
	s_cbranch_execz .LBB101_111
; %bb.108:
	v_dual_mov_b32 v1, 0 :: v_dual_add_nc_u32 v8, 0x260, v13
	v_dual_mov_b32 v2, 0 :: v_dual_add_nc_u32 v7, -1, v122
	v_or_b32_e32 v9, 8, v14
	s_mov_b32 s3, 0
	s_delay_alu instid0(VALU_DEP_2)
	v_dual_mov_b32 v4, v2 :: v_dual_mov_b32 v3, v1
	.p2align	6
.LBB101_109:                            ; =>This Inner Loop Header: Depth=1
	scratch_load_b128 v[15:18], v9, off offset:-8
	ds_load_b128 v[19:22], v8
	v_add_nc_u32_e32 v7, 1, v7
	v_add_nc_u32_e32 v8, 16, v8
	v_add_nc_u32_e32 v9, 16, v9
	s_delay_alu instid0(VALU_DEP_3) | instskip(SKIP_4) | instid1(VALU_DEP_2)
	v_cmp_lt_u32_e32 vcc_lo, 22, v7
	s_or_b32 s3, vcc_lo, s3
	s_waitcnt vmcnt(0) lgkmcnt(0)
	v_mul_f64 v[10:11], v[21:22], v[17:18]
	v_mul_f64 v[17:18], v[19:20], v[17:18]
	v_fma_f64 v[10:11], v[19:20], v[15:16], -v[10:11]
	s_delay_alu instid0(VALU_DEP_2) | instskip(NEXT) | instid1(VALU_DEP_2)
	v_fma_f64 v[15:16], v[21:22], v[15:16], v[17:18]
	v_add_f64 v[3:4], v[3:4], v[10:11]
	s_delay_alu instid0(VALU_DEP_2)
	v_add_f64 v[1:2], v[1:2], v[15:16]
	s_and_not1_b32 exec_lo, exec_lo, s3
	s_cbranch_execnz .LBB101_109
; %bb.110:
	s_or_b32 exec_lo, exec_lo, s3
	v_mov_b32_e32 v7, 0
	ds_load_b128 v[7:10], v7 offset:384
	s_waitcnt lgkmcnt(0)
	v_mul_f64 v[11:12], v[1:2], v[9:10]
	v_mul_f64 v[15:16], v[3:4], v[9:10]
	s_delay_alu instid0(VALU_DEP_2) | instskip(NEXT) | instid1(VALU_DEP_2)
	v_fma_f64 v[9:10], v[3:4], v[7:8], -v[11:12]
	v_fma_f64 v[11:12], v[1:2], v[7:8], v[15:16]
	scratch_store_b128 off, v[9:12], off offset:384
.LBB101_111:
	s_or_b32 exec_lo, exec_lo, s2
	s_waitcnt_vscnt null, 0x0
	s_barrier
	buffer_gl0_inv
	scratch_load_b128 v[1:4], v132, off
	s_mov_b32 s2, exec_lo
	s_waitcnt vmcnt(0)
	ds_store_b128 v5, v[1:4]
	s_waitcnt lgkmcnt(0)
	s_barrier
	buffer_gl0_inv
	v_cmpx_gt_u32_e32 25, v122
	s_cbranch_execz .LBB101_115
; %bb.112:
	v_dual_mov_b32 v1, 0 :: v_dual_add_nc_u32 v8, 0x260, v13
	v_dual_mov_b32 v2, 0 :: v_dual_add_nc_u32 v7, -1, v122
	v_or_b32_e32 v9, 8, v14
	s_mov_b32 s3, 0
	s_delay_alu instid0(VALU_DEP_2)
	v_dual_mov_b32 v4, v2 :: v_dual_mov_b32 v3, v1
	.p2align	6
.LBB101_113:                            ; =>This Inner Loop Header: Depth=1
	scratch_load_b128 v[15:18], v9, off offset:-8
	ds_load_b128 v[19:22], v8
	v_add_nc_u32_e32 v7, 1, v7
	v_add_nc_u32_e32 v8, 16, v8
	;; [unrolled: 1-line block ×3, first 2 shown]
	s_delay_alu instid0(VALU_DEP_3) | instskip(SKIP_4) | instid1(VALU_DEP_2)
	v_cmp_lt_u32_e32 vcc_lo, 23, v7
	s_or_b32 s3, vcc_lo, s3
	s_waitcnt vmcnt(0) lgkmcnt(0)
	v_mul_f64 v[10:11], v[21:22], v[17:18]
	v_mul_f64 v[17:18], v[19:20], v[17:18]
	v_fma_f64 v[10:11], v[19:20], v[15:16], -v[10:11]
	s_delay_alu instid0(VALU_DEP_2) | instskip(NEXT) | instid1(VALU_DEP_2)
	v_fma_f64 v[15:16], v[21:22], v[15:16], v[17:18]
	v_add_f64 v[3:4], v[3:4], v[10:11]
	s_delay_alu instid0(VALU_DEP_2)
	v_add_f64 v[1:2], v[1:2], v[15:16]
	s_and_not1_b32 exec_lo, exec_lo, s3
	s_cbranch_execnz .LBB101_113
; %bb.114:
	s_or_b32 exec_lo, exec_lo, s3
	v_mov_b32_e32 v7, 0
	ds_load_b128 v[7:10], v7 offset:400
	s_waitcnt lgkmcnt(0)
	v_mul_f64 v[11:12], v[1:2], v[9:10]
	v_mul_f64 v[15:16], v[3:4], v[9:10]
	s_delay_alu instid0(VALU_DEP_2) | instskip(NEXT) | instid1(VALU_DEP_2)
	v_fma_f64 v[9:10], v[3:4], v[7:8], -v[11:12]
	v_fma_f64 v[11:12], v[1:2], v[7:8], v[15:16]
	scratch_store_b128 off, v[9:12], off offset:400
.LBB101_115:
	s_or_b32 exec_lo, exec_lo, s2
	s_waitcnt_vscnt null, 0x0
	s_barrier
	buffer_gl0_inv
	scratch_load_b128 v[1:4], v131, off
	s_mov_b32 s2, exec_lo
	s_waitcnt vmcnt(0)
	ds_store_b128 v5, v[1:4]
	s_waitcnt lgkmcnt(0)
	s_barrier
	buffer_gl0_inv
	v_cmpx_gt_u32_e32 26, v122
	s_cbranch_execz .LBB101_119
; %bb.116:
	v_dual_mov_b32 v1, 0 :: v_dual_add_nc_u32 v8, 0x260, v13
	v_dual_mov_b32 v2, 0 :: v_dual_add_nc_u32 v7, -1, v122
	v_or_b32_e32 v9, 8, v14
	s_mov_b32 s3, 0
	s_delay_alu instid0(VALU_DEP_2)
	v_dual_mov_b32 v4, v2 :: v_dual_mov_b32 v3, v1
	.p2align	6
.LBB101_117:                            ; =>This Inner Loop Header: Depth=1
	scratch_load_b128 v[15:18], v9, off offset:-8
	ds_load_b128 v[19:22], v8
	v_add_nc_u32_e32 v7, 1, v7
	v_add_nc_u32_e32 v8, 16, v8
	;; [unrolled: 1-line block ×3, first 2 shown]
	s_delay_alu instid0(VALU_DEP_3) | instskip(SKIP_4) | instid1(VALU_DEP_2)
	v_cmp_lt_u32_e32 vcc_lo, 24, v7
	s_or_b32 s3, vcc_lo, s3
	s_waitcnt vmcnt(0) lgkmcnt(0)
	v_mul_f64 v[10:11], v[21:22], v[17:18]
	v_mul_f64 v[17:18], v[19:20], v[17:18]
	v_fma_f64 v[10:11], v[19:20], v[15:16], -v[10:11]
	s_delay_alu instid0(VALU_DEP_2) | instskip(NEXT) | instid1(VALU_DEP_2)
	v_fma_f64 v[15:16], v[21:22], v[15:16], v[17:18]
	v_add_f64 v[3:4], v[3:4], v[10:11]
	s_delay_alu instid0(VALU_DEP_2)
	v_add_f64 v[1:2], v[1:2], v[15:16]
	s_and_not1_b32 exec_lo, exec_lo, s3
	s_cbranch_execnz .LBB101_117
; %bb.118:
	s_or_b32 exec_lo, exec_lo, s3
	v_mov_b32_e32 v7, 0
	ds_load_b128 v[7:10], v7 offset:416
	s_waitcnt lgkmcnt(0)
	v_mul_f64 v[11:12], v[1:2], v[9:10]
	v_mul_f64 v[15:16], v[3:4], v[9:10]
	s_delay_alu instid0(VALU_DEP_2) | instskip(NEXT) | instid1(VALU_DEP_2)
	v_fma_f64 v[9:10], v[3:4], v[7:8], -v[11:12]
	v_fma_f64 v[11:12], v[1:2], v[7:8], v[15:16]
	scratch_store_b128 off, v[9:12], off offset:416
.LBB101_119:
	s_or_b32 exec_lo, exec_lo, s2
	s_waitcnt_vscnt null, 0x0
	s_barrier
	buffer_gl0_inv
	scratch_load_b128 v[1:4], v130, off
	s_mov_b32 s2, exec_lo
	s_waitcnt vmcnt(0)
	ds_store_b128 v5, v[1:4]
	s_waitcnt lgkmcnt(0)
	s_barrier
	buffer_gl0_inv
	v_cmpx_gt_u32_e32 27, v122
	s_cbranch_execz .LBB101_123
; %bb.120:
	v_dual_mov_b32 v1, 0 :: v_dual_add_nc_u32 v8, 0x260, v13
	v_dual_mov_b32 v2, 0 :: v_dual_add_nc_u32 v7, -1, v122
	v_or_b32_e32 v9, 8, v14
	s_mov_b32 s3, 0
	s_delay_alu instid0(VALU_DEP_2)
	v_dual_mov_b32 v4, v2 :: v_dual_mov_b32 v3, v1
	.p2align	6
.LBB101_121:                            ; =>This Inner Loop Header: Depth=1
	scratch_load_b128 v[15:18], v9, off offset:-8
	ds_load_b128 v[19:22], v8
	v_add_nc_u32_e32 v7, 1, v7
	v_add_nc_u32_e32 v8, 16, v8
	;; [unrolled: 1-line block ×3, first 2 shown]
	s_delay_alu instid0(VALU_DEP_3) | instskip(SKIP_4) | instid1(VALU_DEP_2)
	v_cmp_lt_u32_e32 vcc_lo, 25, v7
	s_or_b32 s3, vcc_lo, s3
	s_waitcnt vmcnt(0) lgkmcnt(0)
	v_mul_f64 v[10:11], v[21:22], v[17:18]
	v_mul_f64 v[17:18], v[19:20], v[17:18]
	v_fma_f64 v[10:11], v[19:20], v[15:16], -v[10:11]
	s_delay_alu instid0(VALU_DEP_2) | instskip(NEXT) | instid1(VALU_DEP_2)
	v_fma_f64 v[15:16], v[21:22], v[15:16], v[17:18]
	v_add_f64 v[3:4], v[3:4], v[10:11]
	s_delay_alu instid0(VALU_DEP_2)
	v_add_f64 v[1:2], v[1:2], v[15:16]
	s_and_not1_b32 exec_lo, exec_lo, s3
	s_cbranch_execnz .LBB101_121
; %bb.122:
	s_or_b32 exec_lo, exec_lo, s3
	v_mov_b32_e32 v7, 0
	ds_load_b128 v[7:10], v7 offset:432
	s_waitcnt lgkmcnt(0)
	v_mul_f64 v[11:12], v[1:2], v[9:10]
	v_mul_f64 v[15:16], v[3:4], v[9:10]
	s_delay_alu instid0(VALU_DEP_2) | instskip(NEXT) | instid1(VALU_DEP_2)
	v_fma_f64 v[9:10], v[3:4], v[7:8], -v[11:12]
	v_fma_f64 v[11:12], v[1:2], v[7:8], v[15:16]
	scratch_store_b128 off, v[9:12], off offset:432
.LBB101_123:
	s_or_b32 exec_lo, exec_lo, s2
	s_waitcnt_vscnt null, 0x0
	s_barrier
	buffer_gl0_inv
	scratch_load_b128 v[1:4], v129, off
	s_mov_b32 s2, exec_lo
	s_waitcnt vmcnt(0)
	ds_store_b128 v5, v[1:4]
	s_waitcnt lgkmcnt(0)
	s_barrier
	buffer_gl0_inv
	v_cmpx_gt_u32_e32 28, v122
	s_cbranch_execz .LBB101_127
; %bb.124:
	v_dual_mov_b32 v1, 0 :: v_dual_add_nc_u32 v8, 0x260, v13
	v_dual_mov_b32 v2, 0 :: v_dual_add_nc_u32 v7, -1, v122
	v_or_b32_e32 v9, 8, v14
	s_mov_b32 s3, 0
	s_delay_alu instid0(VALU_DEP_2)
	v_dual_mov_b32 v4, v2 :: v_dual_mov_b32 v3, v1
	.p2align	6
.LBB101_125:                            ; =>This Inner Loop Header: Depth=1
	scratch_load_b128 v[15:18], v9, off offset:-8
	ds_load_b128 v[19:22], v8
	v_add_nc_u32_e32 v7, 1, v7
	v_add_nc_u32_e32 v8, 16, v8
	;; [unrolled: 1-line block ×3, first 2 shown]
	s_delay_alu instid0(VALU_DEP_3) | instskip(SKIP_4) | instid1(VALU_DEP_2)
	v_cmp_lt_u32_e32 vcc_lo, 26, v7
	s_or_b32 s3, vcc_lo, s3
	s_waitcnt vmcnt(0) lgkmcnt(0)
	v_mul_f64 v[10:11], v[21:22], v[17:18]
	v_mul_f64 v[17:18], v[19:20], v[17:18]
	v_fma_f64 v[10:11], v[19:20], v[15:16], -v[10:11]
	s_delay_alu instid0(VALU_DEP_2) | instskip(NEXT) | instid1(VALU_DEP_2)
	v_fma_f64 v[15:16], v[21:22], v[15:16], v[17:18]
	v_add_f64 v[3:4], v[3:4], v[10:11]
	s_delay_alu instid0(VALU_DEP_2)
	v_add_f64 v[1:2], v[1:2], v[15:16]
	s_and_not1_b32 exec_lo, exec_lo, s3
	s_cbranch_execnz .LBB101_125
; %bb.126:
	s_or_b32 exec_lo, exec_lo, s3
	v_mov_b32_e32 v7, 0
	ds_load_b128 v[7:10], v7 offset:448
	s_waitcnt lgkmcnt(0)
	v_mul_f64 v[11:12], v[1:2], v[9:10]
	v_mul_f64 v[15:16], v[3:4], v[9:10]
	s_delay_alu instid0(VALU_DEP_2) | instskip(NEXT) | instid1(VALU_DEP_2)
	v_fma_f64 v[9:10], v[3:4], v[7:8], -v[11:12]
	v_fma_f64 v[11:12], v[1:2], v[7:8], v[15:16]
	scratch_store_b128 off, v[9:12], off offset:448
.LBB101_127:
	s_or_b32 exec_lo, exec_lo, s2
	s_waitcnt_vscnt null, 0x0
	s_barrier
	buffer_gl0_inv
	scratch_load_b128 v[1:4], v128, off
	s_mov_b32 s2, exec_lo
	s_waitcnt vmcnt(0)
	ds_store_b128 v5, v[1:4]
	s_waitcnt lgkmcnt(0)
	s_barrier
	buffer_gl0_inv
	v_cmpx_gt_u32_e32 29, v122
	s_cbranch_execz .LBB101_131
; %bb.128:
	v_dual_mov_b32 v1, 0 :: v_dual_add_nc_u32 v8, 0x260, v13
	v_dual_mov_b32 v2, 0 :: v_dual_add_nc_u32 v7, -1, v122
	v_or_b32_e32 v9, 8, v14
	s_mov_b32 s3, 0
	s_delay_alu instid0(VALU_DEP_2)
	v_dual_mov_b32 v4, v2 :: v_dual_mov_b32 v3, v1
	.p2align	6
.LBB101_129:                            ; =>This Inner Loop Header: Depth=1
	scratch_load_b128 v[15:18], v9, off offset:-8
	ds_load_b128 v[19:22], v8
	v_add_nc_u32_e32 v7, 1, v7
	v_add_nc_u32_e32 v8, 16, v8
	v_add_nc_u32_e32 v9, 16, v9
	s_delay_alu instid0(VALU_DEP_3) | instskip(SKIP_4) | instid1(VALU_DEP_2)
	v_cmp_lt_u32_e32 vcc_lo, 27, v7
	s_or_b32 s3, vcc_lo, s3
	s_waitcnt vmcnt(0) lgkmcnt(0)
	v_mul_f64 v[10:11], v[21:22], v[17:18]
	v_mul_f64 v[17:18], v[19:20], v[17:18]
	v_fma_f64 v[10:11], v[19:20], v[15:16], -v[10:11]
	s_delay_alu instid0(VALU_DEP_2) | instskip(NEXT) | instid1(VALU_DEP_2)
	v_fma_f64 v[15:16], v[21:22], v[15:16], v[17:18]
	v_add_f64 v[3:4], v[3:4], v[10:11]
	s_delay_alu instid0(VALU_DEP_2)
	v_add_f64 v[1:2], v[1:2], v[15:16]
	s_and_not1_b32 exec_lo, exec_lo, s3
	s_cbranch_execnz .LBB101_129
; %bb.130:
	s_or_b32 exec_lo, exec_lo, s3
	v_mov_b32_e32 v7, 0
	ds_load_b128 v[7:10], v7 offset:464
	s_waitcnt lgkmcnt(0)
	v_mul_f64 v[11:12], v[1:2], v[9:10]
	v_mul_f64 v[15:16], v[3:4], v[9:10]
	s_delay_alu instid0(VALU_DEP_2) | instskip(NEXT) | instid1(VALU_DEP_2)
	v_fma_f64 v[9:10], v[3:4], v[7:8], -v[11:12]
	v_fma_f64 v[11:12], v[1:2], v[7:8], v[15:16]
	scratch_store_b128 off, v[9:12], off offset:464
.LBB101_131:
	s_or_b32 exec_lo, exec_lo, s2
	s_waitcnt_vscnt null, 0x0
	s_barrier
	buffer_gl0_inv
	scratch_load_b128 v[1:4], v127, off
	s_mov_b32 s2, exec_lo
	s_waitcnt vmcnt(0)
	ds_store_b128 v5, v[1:4]
	s_waitcnt lgkmcnt(0)
	s_barrier
	buffer_gl0_inv
	v_cmpx_gt_u32_e32 30, v122
	s_cbranch_execz .LBB101_135
; %bb.132:
	v_dual_mov_b32 v1, 0 :: v_dual_add_nc_u32 v8, 0x260, v13
	v_dual_mov_b32 v2, 0 :: v_dual_add_nc_u32 v7, -1, v122
	v_or_b32_e32 v9, 8, v14
	s_mov_b32 s3, 0
	s_delay_alu instid0(VALU_DEP_2)
	v_dual_mov_b32 v4, v2 :: v_dual_mov_b32 v3, v1
	.p2align	6
.LBB101_133:                            ; =>This Inner Loop Header: Depth=1
	scratch_load_b128 v[15:18], v9, off offset:-8
	ds_load_b128 v[19:22], v8
	v_add_nc_u32_e32 v7, 1, v7
	v_add_nc_u32_e32 v8, 16, v8
	;; [unrolled: 1-line block ×3, first 2 shown]
	s_delay_alu instid0(VALU_DEP_3) | instskip(SKIP_4) | instid1(VALU_DEP_2)
	v_cmp_lt_u32_e32 vcc_lo, 28, v7
	s_or_b32 s3, vcc_lo, s3
	s_waitcnt vmcnt(0) lgkmcnt(0)
	v_mul_f64 v[10:11], v[21:22], v[17:18]
	v_mul_f64 v[17:18], v[19:20], v[17:18]
	v_fma_f64 v[10:11], v[19:20], v[15:16], -v[10:11]
	s_delay_alu instid0(VALU_DEP_2) | instskip(NEXT) | instid1(VALU_DEP_2)
	v_fma_f64 v[15:16], v[21:22], v[15:16], v[17:18]
	v_add_f64 v[3:4], v[3:4], v[10:11]
	s_delay_alu instid0(VALU_DEP_2)
	v_add_f64 v[1:2], v[1:2], v[15:16]
	s_and_not1_b32 exec_lo, exec_lo, s3
	s_cbranch_execnz .LBB101_133
; %bb.134:
	s_or_b32 exec_lo, exec_lo, s3
	v_mov_b32_e32 v7, 0
	ds_load_b128 v[7:10], v7 offset:480
	s_waitcnt lgkmcnt(0)
	v_mul_f64 v[11:12], v[1:2], v[9:10]
	v_mul_f64 v[15:16], v[3:4], v[9:10]
	s_delay_alu instid0(VALU_DEP_2) | instskip(NEXT) | instid1(VALU_DEP_2)
	v_fma_f64 v[9:10], v[3:4], v[7:8], -v[11:12]
	v_fma_f64 v[11:12], v[1:2], v[7:8], v[15:16]
	scratch_store_b128 off, v[9:12], off offset:480
.LBB101_135:
	s_or_b32 exec_lo, exec_lo, s2
	s_waitcnt_vscnt null, 0x0
	s_barrier
	buffer_gl0_inv
	scratch_load_b128 v[1:4], v151, off
	s_mov_b32 s2, exec_lo
	s_waitcnt vmcnt(0)
	ds_store_b128 v5, v[1:4]
	s_waitcnt lgkmcnt(0)
	s_barrier
	buffer_gl0_inv
	v_cmpx_gt_u32_e32 31, v122
	s_cbranch_execz .LBB101_139
; %bb.136:
	v_dual_mov_b32 v1, 0 :: v_dual_add_nc_u32 v8, 0x260, v13
	v_dual_mov_b32 v2, 0 :: v_dual_add_nc_u32 v7, -1, v122
	v_or_b32_e32 v9, 8, v14
	s_mov_b32 s3, 0
	s_delay_alu instid0(VALU_DEP_2)
	v_dual_mov_b32 v4, v2 :: v_dual_mov_b32 v3, v1
	.p2align	6
.LBB101_137:                            ; =>This Inner Loop Header: Depth=1
	scratch_load_b128 v[15:18], v9, off offset:-8
	ds_load_b128 v[19:22], v8
	v_add_nc_u32_e32 v7, 1, v7
	v_add_nc_u32_e32 v8, 16, v8
	;; [unrolled: 1-line block ×3, first 2 shown]
	s_delay_alu instid0(VALU_DEP_3) | instskip(SKIP_4) | instid1(VALU_DEP_2)
	v_cmp_lt_u32_e32 vcc_lo, 29, v7
	s_or_b32 s3, vcc_lo, s3
	s_waitcnt vmcnt(0) lgkmcnt(0)
	v_mul_f64 v[10:11], v[21:22], v[17:18]
	v_mul_f64 v[17:18], v[19:20], v[17:18]
	v_fma_f64 v[10:11], v[19:20], v[15:16], -v[10:11]
	s_delay_alu instid0(VALU_DEP_2) | instskip(NEXT) | instid1(VALU_DEP_2)
	v_fma_f64 v[15:16], v[21:22], v[15:16], v[17:18]
	v_add_f64 v[3:4], v[3:4], v[10:11]
	s_delay_alu instid0(VALU_DEP_2)
	v_add_f64 v[1:2], v[1:2], v[15:16]
	s_and_not1_b32 exec_lo, exec_lo, s3
	s_cbranch_execnz .LBB101_137
; %bb.138:
	s_or_b32 exec_lo, exec_lo, s3
	v_mov_b32_e32 v7, 0
	ds_load_b128 v[7:10], v7 offset:496
	s_waitcnt lgkmcnt(0)
	v_mul_f64 v[11:12], v[1:2], v[9:10]
	v_mul_f64 v[15:16], v[3:4], v[9:10]
	s_delay_alu instid0(VALU_DEP_2) | instskip(NEXT) | instid1(VALU_DEP_2)
	v_fma_f64 v[9:10], v[3:4], v[7:8], -v[11:12]
	v_fma_f64 v[11:12], v[1:2], v[7:8], v[15:16]
	scratch_store_b128 off, v[9:12], off offset:496
.LBB101_139:
	s_or_b32 exec_lo, exec_lo, s2
	s_waitcnt_vscnt null, 0x0
	s_barrier
	buffer_gl0_inv
	scratch_load_b128 v[1:4], v146, off
	s_mov_b32 s2, exec_lo
	s_waitcnt vmcnt(0)
	ds_store_b128 v5, v[1:4]
	s_waitcnt lgkmcnt(0)
	s_barrier
	buffer_gl0_inv
	v_cmpx_gt_u32_e32 32, v122
	s_cbranch_execz .LBB101_143
; %bb.140:
	v_dual_mov_b32 v1, 0 :: v_dual_add_nc_u32 v8, 0x260, v13
	v_dual_mov_b32 v2, 0 :: v_dual_add_nc_u32 v7, -1, v122
	v_or_b32_e32 v9, 8, v14
	s_mov_b32 s3, 0
	s_delay_alu instid0(VALU_DEP_2)
	v_dual_mov_b32 v4, v2 :: v_dual_mov_b32 v3, v1
	.p2align	6
.LBB101_141:                            ; =>This Inner Loop Header: Depth=1
	scratch_load_b128 v[15:18], v9, off offset:-8
	ds_load_b128 v[19:22], v8
	v_add_nc_u32_e32 v7, 1, v7
	v_add_nc_u32_e32 v8, 16, v8
	;; [unrolled: 1-line block ×3, first 2 shown]
	s_delay_alu instid0(VALU_DEP_3) | instskip(SKIP_4) | instid1(VALU_DEP_2)
	v_cmp_lt_u32_e32 vcc_lo, 30, v7
	s_or_b32 s3, vcc_lo, s3
	s_waitcnt vmcnt(0) lgkmcnt(0)
	v_mul_f64 v[10:11], v[21:22], v[17:18]
	v_mul_f64 v[17:18], v[19:20], v[17:18]
	v_fma_f64 v[10:11], v[19:20], v[15:16], -v[10:11]
	s_delay_alu instid0(VALU_DEP_2) | instskip(NEXT) | instid1(VALU_DEP_2)
	v_fma_f64 v[15:16], v[21:22], v[15:16], v[17:18]
	v_add_f64 v[3:4], v[3:4], v[10:11]
	s_delay_alu instid0(VALU_DEP_2)
	v_add_f64 v[1:2], v[1:2], v[15:16]
	s_and_not1_b32 exec_lo, exec_lo, s3
	s_cbranch_execnz .LBB101_141
; %bb.142:
	s_or_b32 exec_lo, exec_lo, s3
	v_mov_b32_e32 v7, 0
	ds_load_b128 v[7:10], v7 offset:512
	s_waitcnt lgkmcnt(0)
	v_mul_f64 v[11:12], v[1:2], v[9:10]
	v_mul_f64 v[15:16], v[3:4], v[9:10]
	s_delay_alu instid0(VALU_DEP_2) | instskip(NEXT) | instid1(VALU_DEP_2)
	v_fma_f64 v[9:10], v[3:4], v[7:8], -v[11:12]
	v_fma_f64 v[11:12], v[1:2], v[7:8], v[15:16]
	scratch_store_b128 off, v[9:12], off offset:512
.LBB101_143:
	s_or_b32 exec_lo, exec_lo, s2
	s_waitcnt_vscnt null, 0x0
	s_barrier
	buffer_gl0_inv
	scratch_load_b128 v[1:4], v144, off
	s_mov_b32 s2, exec_lo
	s_waitcnt vmcnt(0)
	ds_store_b128 v5, v[1:4]
	s_waitcnt lgkmcnt(0)
	s_barrier
	buffer_gl0_inv
	v_cmpx_gt_u32_e32 33, v122
	s_cbranch_execz .LBB101_147
; %bb.144:
	v_dual_mov_b32 v1, 0 :: v_dual_add_nc_u32 v8, 0x260, v13
	v_dual_mov_b32 v2, 0 :: v_dual_add_nc_u32 v7, -1, v122
	v_or_b32_e32 v9, 8, v14
	s_mov_b32 s3, 0
	s_delay_alu instid0(VALU_DEP_2)
	v_dual_mov_b32 v4, v2 :: v_dual_mov_b32 v3, v1
	.p2align	6
.LBB101_145:                            ; =>This Inner Loop Header: Depth=1
	scratch_load_b128 v[15:18], v9, off offset:-8
	ds_load_b128 v[19:22], v8
	v_add_nc_u32_e32 v7, 1, v7
	v_add_nc_u32_e32 v8, 16, v8
	;; [unrolled: 1-line block ×3, first 2 shown]
	s_delay_alu instid0(VALU_DEP_3) | instskip(SKIP_4) | instid1(VALU_DEP_2)
	v_cmp_lt_u32_e32 vcc_lo, 31, v7
	s_or_b32 s3, vcc_lo, s3
	s_waitcnt vmcnt(0) lgkmcnt(0)
	v_mul_f64 v[10:11], v[21:22], v[17:18]
	v_mul_f64 v[17:18], v[19:20], v[17:18]
	v_fma_f64 v[10:11], v[19:20], v[15:16], -v[10:11]
	s_delay_alu instid0(VALU_DEP_2) | instskip(NEXT) | instid1(VALU_DEP_2)
	v_fma_f64 v[15:16], v[21:22], v[15:16], v[17:18]
	v_add_f64 v[3:4], v[3:4], v[10:11]
	s_delay_alu instid0(VALU_DEP_2)
	v_add_f64 v[1:2], v[1:2], v[15:16]
	s_and_not1_b32 exec_lo, exec_lo, s3
	s_cbranch_execnz .LBB101_145
; %bb.146:
	s_or_b32 exec_lo, exec_lo, s3
	v_mov_b32_e32 v7, 0
	ds_load_b128 v[7:10], v7 offset:528
	s_waitcnt lgkmcnt(0)
	v_mul_f64 v[11:12], v[1:2], v[9:10]
	v_mul_f64 v[15:16], v[3:4], v[9:10]
	s_delay_alu instid0(VALU_DEP_2) | instskip(NEXT) | instid1(VALU_DEP_2)
	v_fma_f64 v[9:10], v[3:4], v[7:8], -v[11:12]
	v_fma_f64 v[11:12], v[1:2], v[7:8], v[15:16]
	scratch_store_b128 off, v[9:12], off offset:528
.LBB101_147:
	s_or_b32 exec_lo, exec_lo, s2
	s_waitcnt_vscnt null, 0x0
	s_barrier
	buffer_gl0_inv
	scratch_load_b128 v[1:4], v140, off
	s_mov_b32 s2, exec_lo
	s_waitcnt vmcnt(0)
	ds_store_b128 v5, v[1:4]
	s_waitcnt lgkmcnt(0)
	s_barrier
	buffer_gl0_inv
	v_cmpx_gt_u32_e32 34, v122
	s_cbranch_execz .LBB101_151
; %bb.148:
	v_dual_mov_b32 v1, 0 :: v_dual_add_nc_u32 v8, 0x260, v13
	v_dual_mov_b32 v2, 0 :: v_dual_add_nc_u32 v7, -1, v122
	v_or_b32_e32 v9, 8, v14
	s_mov_b32 s3, 0
	s_delay_alu instid0(VALU_DEP_2)
	v_dual_mov_b32 v4, v2 :: v_dual_mov_b32 v3, v1
	.p2align	6
.LBB101_149:                            ; =>This Inner Loop Header: Depth=1
	scratch_load_b128 v[15:18], v9, off offset:-8
	ds_load_b128 v[19:22], v8
	v_add_nc_u32_e32 v7, 1, v7
	v_add_nc_u32_e32 v8, 16, v8
	;; [unrolled: 1-line block ×3, first 2 shown]
	s_delay_alu instid0(VALU_DEP_3) | instskip(SKIP_4) | instid1(VALU_DEP_2)
	v_cmp_lt_u32_e32 vcc_lo, 32, v7
	s_or_b32 s3, vcc_lo, s3
	s_waitcnt vmcnt(0) lgkmcnt(0)
	v_mul_f64 v[10:11], v[21:22], v[17:18]
	v_mul_f64 v[17:18], v[19:20], v[17:18]
	v_fma_f64 v[10:11], v[19:20], v[15:16], -v[10:11]
	s_delay_alu instid0(VALU_DEP_2) | instskip(NEXT) | instid1(VALU_DEP_2)
	v_fma_f64 v[15:16], v[21:22], v[15:16], v[17:18]
	v_add_f64 v[3:4], v[3:4], v[10:11]
	s_delay_alu instid0(VALU_DEP_2)
	v_add_f64 v[1:2], v[1:2], v[15:16]
	s_and_not1_b32 exec_lo, exec_lo, s3
	s_cbranch_execnz .LBB101_149
; %bb.150:
	s_or_b32 exec_lo, exec_lo, s3
	v_mov_b32_e32 v7, 0
	ds_load_b128 v[7:10], v7 offset:544
	s_waitcnt lgkmcnt(0)
	v_mul_f64 v[11:12], v[1:2], v[9:10]
	v_mul_f64 v[15:16], v[3:4], v[9:10]
	s_delay_alu instid0(VALU_DEP_2) | instskip(NEXT) | instid1(VALU_DEP_2)
	v_fma_f64 v[9:10], v[3:4], v[7:8], -v[11:12]
	v_fma_f64 v[11:12], v[1:2], v[7:8], v[15:16]
	scratch_store_b128 off, v[9:12], off offset:544
.LBB101_151:
	s_or_b32 exec_lo, exec_lo, s2
	s_waitcnt_vscnt null, 0x0
	s_barrier
	buffer_gl0_inv
	scratch_load_b128 v[1:4], v138, off
	s_mov_b32 s2, exec_lo
	s_waitcnt vmcnt(0)
	ds_store_b128 v5, v[1:4]
	s_waitcnt lgkmcnt(0)
	s_barrier
	buffer_gl0_inv
	v_cmpx_gt_u32_e32 35, v122
	s_cbranch_execz .LBB101_155
; %bb.152:
	v_dual_mov_b32 v1, 0 :: v_dual_add_nc_u32 v8, 0x260, v13
	v_dual_mov_b32 v2, 0 :: v_dual_add_nc_u32 v7, -1, v122
	v_or_b32_e32 v9, 8, v14
	s_mov_b32 s3, 0
	s_delay_alu instid0(VALU_DEP_2)
	v_dual_mov_b32 v4, v2 :: v_dual_mov_b32 v3, v1
	.p2align	6
.LBB101_153:                            ; =>This Inner Loop Header: Depth=1
	scratch_load_b128 v[15:18], v9, off offset:-8
	ds_load_b128 v[19:22], v8
	v_add_nc_u32_e32 v7, 1, v7
	v_add_nc_u32_e32 v8, 16, v8
	;; [unrolled: 1-line block ×3, first 2 shown]
	s_delay_alu instid0(VALU_DEP_3) | instskip(SKIP_4) | instid1(VALU_DEP_2)
	v_cmp_lt_u32_e32 vcc_lo, 33, v7
	s_or_b32 s3, vcc_lo, s3
	s_waitcnt vmcnt(0) lgkmcnt(0)
	v_mul_f64 v[10:11], v[21:22], v[17:18]
	v_mul_f64 v[17:18], v[19:20], v[17:18]
	v_fma_f64 v[10:11], v[19:20], v[15:16], -v[10:11]
	s_delay_alu instid0(VALU_DEP_2) | instskip(NEXT) | instid1(VALU_DEP_2)
	v_fma_f64 v[15:16], v[21:22], v[15:16], v[17:18]
	v_add_f64 v[3:4], v[3:4], v[10:11]
	s_delay_alu instid0(VALU_DEP_2)
	v_add_f64 v[1:2], v[1:2], v[15:16]
	s_and_not1_b32 exec_lo, exec_lo, s3
	s_cbranch_execnz .LBB101_153
; %bb.154:
	s_or_b32 exec_lo, exec_lo, s3
	v_mov_b32_e32 v7, 0
	ds_load_b128 v[7:10], v7 offset:560
	s_waitcnt lgkmcnt(0)
	v_mul_f64 v[11:12], v[1:2], v[9:10]
	v_mul_f64 v[15:16], v[3:4], v[9:10]
	s_delay_alu instid0(VALU_DEP_2) | instskip(NEXT) | instid1(VALU_DEP_2)
	v_fma_f64 v[9:10], v[3:4], v[7:8], -v[11:12]
	v_fma_f64 v[11:12], v[1:2], v[7:8], v[15:16]
	scratch_store_b128 off, v[9:12], off offset:560
.LBB101_155:
	s_or_b32 exec_lo, exec_lo, s2
	s_waitcnt_vscnt null, 0x0
	s_barrier
	buffer_gl0_inv
	scratch_load_b128 v[1:4], v135, off
	s_mov_b32 s2, exec_lo
	s_waitcnt vmcnt(0)
	ds_store_b128 v5, v[1:4]
	s_waitcnt lgkmcnt(0)
	s_barrier
	buffer_gl0_inv
	v_cmpx_gt_u32_e32 36, v122
	s_cbranch_execz .LBB101_159
; %bb.156:
	v_dual_mov_b32 v1, 0 :: v_dual_add_nc_u32 v8, 0x260, v13
	v_dual_mov_b32 v2, 0 :: v_dual_add_nc_u32 v7, -1, v122
	v_or_b32_e32 v9, 8, v14
	s_mov_b32 s3, 0
	s_delay_alu instid0(VALU_DEP_2)
	v_dual_mov_b32 v4, v2 :: v_dual_mov_b32 v3, v1
	.p2align	6
.LBB101_157:                            ; =>This Inner Loop Header: Depth=1
	scratch_load_b128 v[10:13], v9, off offset:-8
	ds_load_b128 v[15:18], v8
	v_add_nc_u32_e32 v7, 1, v7
	v_add_nc_u32_e32 v8, 16, v8
	;; [unrolled: 1-line block ×3, first 2 shown]
	s_delay_alu instid0(VALU_DEP_3) | instskip(SKIP_4) | instid1(VALU_DEP_2)
	v_cmp_lt_u32_e32 vcc_lo, 34, v7
	s_or_b32 s3, vcc_lo, s3
	s_waitcnt vmcnt(0) lgkmcnt(0)
	v_mul_f64 v[19:20], v[17:18], v[12:13]
	v_mul_f64 v[12:13], v[15:16], v[12:13]
	v_fma_f64 v[15:16], v[15:16], v[10:11], -v[19:20]
	s_delay_alu instid0(VALU_DEP_2) | instskip(NEXT) | instid1(VALU_DEP_2)
	v_fma_f64 v[10:11], v[17:18], v[10:11], v[12:13]
	v_add_f64 v[3:4], v[3:4], v[15:16]
	s_delay_alu instid0(VALU_DEP_2)
	v_add_f64 v[1:2], v[1:2], v[10:11]
	s_and_not1_b32 exec_lo, exec_lo, s3
	s_cbranch_execnz .LBB101_157
; %bb.158:
	s_or_b32 exec_lo, exec_lo, s3
	v_mov_b32_e32 v7, 0
	ds_load_b128 v[7:10], v7 offset:576
	s_waitcnt lgkmcnt(0)
	v_mul_f64 v[11:12], v[1:2], v[9:10]
	v_mul_f64 v[15:16], v[3:4], v[9:10]
	s_delay_alu instid0(VALU_DEP_2) | instskip(NEXT) | instid1(VALU_DEP_2)
	v_fma_f64 v[9:10], v[3:4], v[7:8], -v[11:12]
	v_fma_f64 v[11:12], v[1:2], v[7:8], v[15:16]
	scratch_store_b128 off, v[9:12], off offset:576
.LBB101_159:
	s_or_b32 exec_lo, exec_lo, s2
	s_waitcnt_vscnt null, 0x0
	s_barrier
	buffer_gl0_inv
	scratch_load_b128 v[1:4], v133, off
	s_mov_b32 s2, exec_lo
	s_waitcnt vmcnt(0)
	ds_store_b128 v5, v[1:4]
	s_waitcnt lgkmcnt(0)
	s_barrier
	buffer_gl0_inv
	v_cmpx_ne_u32_e32 37, v122
	s_cbranch_execz .LBB101_163
; %bb.160:
	v_mov_b32_e32 v1, 0
	v_mov_b32_e32 v2, 0
	v_or_b32_e32 v7, 8, v14
	s_mov_b32 s3, 0
	s_delay_alu instid0(VALU_DEP_2)
	v_dual_mov_b32 v4, v2 :: v_dual_mov_b32 v3, v1
	.p2align	6
.LBB101_161:                            ; =>This Inner Loop Header: Depth=1
	scratch_load_b128 v[8:11], v7, off offset:-8
	ds_load_b128 v[12:15], v5
	v_add_nc_u32_e32 v6, 1, v6
	v_add_nc_u32_e32 v5, 16, v5
	;; [unrolled: 1-line block ×3, first 2 shown]
	s_delay_alu instid0(VALU_DEP_3) | instskip(SKIP_4) | instid1(VALU_DEP_2)
	v_cmp_lt_u32_e32 vcc_lo, 35, v6
	s_or_b32 s3, vcc_lo, s3
	s_waitcnt vmcnt(0) lgkmcnt(0)
	v_mul_f64 v[16:17], v[14:15], v[10:11]
	v_mul_f64 v[10:11], v[12:13], v[10:11]
	v_fma_f64 v[12:13], v[12:13], v[8:9], -v[16:17]
	s_delay_alu instid0(VALU_DEP_2) | instskip(NEXT) | instid1(VALU_DEP_2)
	v_fma_f64 v[8:9], v[14:15], v[8:9], v[10:11]
	v_add_f64 v[3:4], v[3:4], v[12:13]
	s_delay_alu instid0(VALU_DEP_2)
	v_add_f64 v[1:2], v[1:2], v[8:9]
	s_and_not1_b32 exec_lo, exec_lo, s3
	s_cbranch_execnz .LBB101_161
; %bb.162:
	s_or_b32 exec_lo, exec_lo, s3
	v_mov_b32_e32 v5, 0
	ds_load_b128 v[5:8], v5 offset:592
	s_waitcnt lgkmcnt(0)
	v_mul_f64 v[9:10], v[1:2], v[7:8]
	v_mul_f64 v[7:8], v[3:4], v[7:8]
	s_delay_alu instid0(VALU_DEP_2) | instskip(NEXT) | instid1(VALU_DEP_2)
	v_fma_f64 v[3:4], v[3:4], v[5:6], -v[9:10]
	v_fma_f64 v[5:6], v[1:2], v[5:6], v[7:8]
	scratch_store_b128 off, v[3:6], off offset:592
.LBB101_163:
	s_or_b32 exec_lo, exec_lo, s2
	s_mov_b32 s3, -1
	s_waitcnt_vscnt null, 0x0
	s_barrier
	buffer_gl0_inv
.LBB101_164:
	s_and_b32 vcc_lo, exec_lo, s3
	s_cbranch_vccz .LBB101_166
; %bb.165:
	s_lshl_b64 s[2:3], s[10:11], 2
	v_mov_b32_e32 v1, 0
	s_add_u32 s2, s6, s2
	s_addc_u32 s3, s7, s3
	global_load_b32 v1, v1, s[2:3]
	s_waitcnt vmcnt(0)
	v_cmp_ne_u32_e32 vcc_lo, 0, v1
	s_cbranch_vccz .LBB101_167
.LBB101_166:
	s_endpgm
.LBB101_167:
	v_lshl_add_u32 v160, v122, 4, 0x260
	s_mov_b32 s2, exec_lo
	v_cmpx_eq_u32_e32 37, v122
	s_cbranch_execz .LBB101_169
; %bb.168:
	scratch_load_b128 v[1:4], v135, off
	v_mov_b32_e32 v5, 0
	s_delay_alu instid0(VALU_DEP_1)
	v_mov_b32_e32 v6, v5
	v_mov_b32_e32 v7, v5
	;; [unrolled: 1-line block ×3, first 2 shown]
	scratch_store_b128 off, v[5:8], off offset:576
	s_waitcnt vmcnt(0)
	ds_store_b128 v160, v[1:4]
.LBB101_169:
	s_or_b32 exec_lo, exec_lo, s2
	s_waitcnt lgkmcnt(0)
	s_waitcnt_vscnt null, 0x0
	s_barrier
	buffer_gl0_inv
	s_clause 0x1
	scratch_load_b128 v[2:5], off, off offset:592
	scratch_load_b128 v[6:9], off, off offset:576
	v_mov_b32_e32 v1, 0
	s_mov_b32 s2, exec_lo
	ds_load_b128 v[10:13], v1 offset:1200
	s_waitcnt vmcnt(1) lgkmcnt(0)
	v_mul_f64 v[14:15], v[12:13], v[4:5]
	v_mul_f64 v[4:5], v[10:11], v[4:5]
	s_delay_alu instid0(VALU_DEP_2) | instskip(NEXT) | instid1(VALU_DEP_2)
	v_fma_f64 v[10:11], v[10:11], v[2:3], -v[14:15]
	v_fma_f64 v[2:3], v[12:13], v[2:3], v[4:5]
	s_delay_alu instid0(VALU_DEP_2) | instskip(NEXT) | instid1(VALU_DEP_2)
	v_add_f64 v[4:5], v[10:11], 0
	v_add_f64 v[10:11], v[2:3], 0
	s_waitcnt vmcnt(0)
	s_delay_alu instid0(VALU_DEP_2) | instskip(NEXT) | instid1(VALU_DEP_2)
	v_add_f64 v[2:3], v[6:7], -v[4:5]
	v_add_f64 v[4:5], v[8:9], -v[10:11]
	scratch_store_b128 off, v[2:5], off offset:576
	v_cmpx_lt_u32_e32 35, v122
	s_cbranch_execz .LBB101_171
; %bb.170:
	scratch_load_b128 v[5:8], v138, off
	v_mov_b32_e32 v2, v1
	v_mov_b32_e32 v3, v1
	;; [unrolled: 1-line block ×3, first 2 shown]
	scratch_store_b128 off, v[1:4], off offset:560
	s_waitcnt vmcnt(0)
	ds_store_b128 v160, v[5:8]
.LBB101_171:
	s_or_b32 exec_lo, exec_lo, s2
	s_waitcnt lgkmcnt(0)
	s_waitcnt_vscnt null, 0x0
	s_barrier
	buffer_gl0_inv
	s_clause 0x2
	scratch_load_b128 v[2:5], off, off offset:576
	scratch_load_b128 v[6:9], off, off offset:592
	;; [unrolled: 1-line block ×3, first 2 shown]
	ds_load_b128 v[14:17], v1 offset:1184
	ds_load_b128 v[18:21], v1 offset:1200
	s_mov_b32 s2, exec_lo
	s_waitcnt vmcnt(2) lgkmcnt(1)
	v_mul_f64 v[22:23], v[16:17], v[4:5]
	v_mul_f64 v[4:5], v[14:15], v[4:5]
	s_waitcnt vmcnt(1) lgkmcnt(0)
	v_mul_f64 v[24:25], v[18:19], v[8:9]
	v_mul_f64 v[8:9], v[20:21], v[8:9]
	s_delay_alu instid0(VALU_DEP_4) | instskip(NEXT) | instid1(VALU_DEP_4)
	v_fma_f64 v[14:15], v[14:15], v[2:3], -v[22:23]
	v_fma_f64 v[1:2], v[16:17], v[2:3], v[4:5]
	s_delay_alu instid0(VALU_DEP_4) | instskip(NEXT) | instid1(VALU_DEP_4)
	v_fma_f64 v[3:4], v[20:21], v[6:7], v[24:25]
	v_fma_f64 v[5:6], v[18:19], v[6:7], -v[8:9]
	s_delay_alu instid0(VALU_DEP_4) | instskip(NEXT) | instid1(VALU_DEP_4)
	v_add_f64 v[7:8], v[14:15], 0
	v_add_f64 v[1:2], v[1:2], 0
	s_delay_alu instid0(VALU_DEP_2) | instskip(NEXT) | instid1(VALU_DEP_2)
	v_add_f64 v[5:6], v[7:8], v[5:6]
	v_add_f64 v[3:4], v[1:2], v[3:4]
	s_waitcnt vmcnt(0)
	s_delay_alu instid0(VALU_DEP_2) | instskip(NEXT) | instid1(VALU_DEP_2)
	v_add_f64 v[1:2], v[10:11], -v[5:6]
	v_add_f64 v[3:4], v[12:13], -v[3:4]
	scratch_store_b128 off, v[1:4], off offset:560
	v_cmpx_lt_u32_e32 34, v122
	s_cbranch_execz .LBB101_173
; %bb.172:
	scratch_load_b128 v[1:4], v140, off
	v_mov_b32_e32 v5, 0
	s_delay_alu instid0(VALU_DEP_1)
	v_mov_b32_e32 v6, v5
	v_mov_b32_e32 v7, v5
	;; [unrolled: 1-line block ×3, first 2 shown]
	scratch_store_b128 off, v[5:8], off offset:544
	s_waitcnt vmcnt(0)
	ds_store_b128 v160, v[1:4]
.LBB101_173:
	s_or_b32 exec_lo, exec_lo, s2
	s_waitcnt lgkmcnt(0)
	s_waitcnt_vscnt null, 0x0
	s_barrier
	buffer_gl0_inv
	s_clause 0x3
	scratch_load_b128 v[2:5], off, off offset:560
	scratch_load_b128 v[6:9], off, off offset:576
	;; [unrolled: 1-line block ×4, first 2 shown]
	v_mov_b32_e32 v1, 0
	ds_load_b128 v[18:21], v1 offset:1168
	ds_load_b128 v[22:25], v1 offset:1184
	s_mov_b32 s2, exec_lo
	s_waitcnt vmcnt(3) lgkmcnt(1)
	v_mul_f64 v[26:27], v[20:21], v[4:5]
	v_mul_f64 v[4:5], v[18:19], v[4:5]
	s_waitcnt vmcnt(2) lgkmcnt(0)
	v_mul_f64 v[28:29], v[22:23], v[8:9]
	v_mul_f64 v[8:9], v[24:25], v[8:9]
	s_delay_alu instid0(VALU_DEP_4) | instskip(NEXT) | instid1(VALU_DEP_4)
	v_fma_f64 v[18:19], v[18:19], v[2:3], -v[26:27]
	v_fma_f64 v[20:21], v[20:21], v[2:3], v[4:5]
	ds_load_b128 v[2:5], v1 offset:1200
	v_fma_f64 v[24:25], v[24:25], v[6:7], v[28:29]
	v_fma_f64 v[6:7], v[22:23], v[6:7], -v[8:9]
	s_waitcnt vmcnt(1) lgkmcnt(0)
	v_mul_f64 v[26:27], v[2:3], v[12:13]
	v_mul_f64 v[12:13], v[4:5], v[12:13]
	v_add_f64 v[8:9], v[18:19], 0
	v_add_f64 v[18:19], v[20:21], 0
	s_delay_alu instid0(VALU_DEP_4) | instskip(NEXT) | instid1(VALU_DEP_4)
	v_fma_f64 v[4:5], v[4:5], v[10:11], v[26:27]
	v_fma_f64 v[2:3], v[2:3], v[10:11], -v[12:13]
	s_delay_alu instid0(VALU_DEP_4) | instskip(NEXT) | instid1(VALU_DEP_4)
	v_add_f64 v[6:7], v[8:9], v[6:7]
	v_add_f64 v[8:9], v[18:19], v[24:25]
	s_delay_alu instid0(VALU_DEP_2) | instskip(NEXT) | instid1(VALU_DEP_2)
	v_add_f64 v[2:3], v[6:7], v[2:3]
	v_add_f64 v[4:5], v[8:9], v[4:5]
	s_waitcnt vmcnt(0)
	s_delay_alu instid0(VALU_DEP_2) | instskip(NEXT) | instid1(VALU_DEP_2)
	v_add_f64 v[2:3], v[14:15], -v[2:3]
	v_add_f64 v[4:5], v[16:17], -v[4:5]
	scratch_store_b128 off, v[2:5], off offset:544
	v_cmpx_lt_u32_e32 33, v122
	s_cbranch_execz .LBB101_175
; %bb.174:
	scratch_load_b128 v[5:8], v144, off
	v_mov_b32_e32 v2, v1
	v_mov_b32_e32 v3, v1
	v_mov_b32_e32 v4, v1
	scratch_store_b128 off, v[1:4], off offset:528
	s_waitcnt vmcnt(0)
	ds_store_b128 v160, v[5:8]
.LBB101_175:
	s_or_b32 exec_lo, exec_lo, s2
	s_waitcnt lgkmcnt(0)
	s_waitcnt_vscnt null, 0x0
	s_barrier
	buffer_gl0_inv
	s_clause 0x4
	scratch_load_b128 v[2:5], off, off offset:544
	scratch_load_b128 v[6:9], off, off offset:560
	;; [unrolled: 1-line block ×5, first 2 shown]
	ds_load_b128 v[22:25], v1 offset:1152
	ds_load_b128 v[26:29], v1 offset:1168
	s_mov_b32 s2, exec_lo
	s_waitcnt vmcnt(4) lgkmcnt(1)
	v_mul_f64 v[30:31], v[24:25], v[4:5]
	v_mul_f64 v[4:5], v[22:23], v[4:5]
	s_waitcnt vmcnt(3) lgkmcnt(0)
	v_mul_f64 v[32:33], v[26:27], v[8:9]
	v_mul_f64 v[8:9], v[28:29], v[8:9]
	s_delay_alu instid0(VALU_DEP_4) | instskip(NEXT) | instid1(VALU_DEP_4)
	v_fma_f64 v[30:31], v[22:23], v[2:3], -v[30:31]
	v_fma_f64 v[34:35], v[24:25], v[2:3], v[4:5]
	ds_load_b128 v[2:5], v1 offset:1184
	ds_load_b128 v[22:25], v1 offset:1200
	v_fma_f64 v[28:29], v[28:29], v[6:7], v[32:33]
	v_fma_f64 v[6:7], v[26:27], v[6:7], -v[8:9]
	s_waitcnt vmcnt(2) lgkmcnt(1)
	v_mul_f64 v[36:37], v[2:3], v[12:13]
	v_mul_f64 v[12:13], v[4:5], v[12:13]
	v_add_f64 v[8:9], v[30:31], 0
	v_add_f64 v[26:27], v[34:35], 0
	s_waitcnt vmcnt(1) lgkmcnt(0)
	v_mul_f64 v[30:31], v[22:23], v[16:17]
	v_mul_f64 v[16:17], v[24:25], v[16:17]
	v_fma_f64 v[4:5], v[4:5], v[10:11], v[36:37]
	v_fma_f64 v[1:2], v[2:3], v[10:11], -v[12:13]
	v_add_f64 v[6:7], v[8:9], v[6:7]
	v_add_f64 v[8:9], v[26:27], v[28:29]
	v_fma_f64 v[10:11], v[24:25], v[14:15], v[30:31]
	v_fma_f64 v[12:13], v[22:23], v[14:15], -v[16:17]
	s_delay_alu instid0(VALU_DEP_4) | instskip(NEXT) | instid1(VALU_DEP_4)
	v_add_f64 v[1:2], v[6:7], v[1:2]
	v_add_f64 v[3:4], v[8:9], v[4:5]
	s_delay_alu instid0(VALU_DEP_2) | instskip(NEXT) | instid1(VALU_DEP_2)
	v_add_f64 v[1:2], v[1:2], v[12:13]
	v_add_f64 v[3:4], v[3:4], v[10:11]
	s_waitcnt vmcnt(0)
	s_delay_alu instid0(VALU_DEP_2) | instskip(NEXT) | instid1(VALU_DEP_2)
	v_add_f64 v[1:2], v[18:19], -v[1:2]
	v_add_f64 v[3:4], v[20:21], -v[3:4]
	scratch_store_b128 off, v[1:4], off offset:528
	v_cmpx_lt_u32_e32 32, v122
	s_cbranch_execz .LBB101_177
; %bb.176:
	scratch_load_b128 v[1:4], v146, off
	v_mov_b32_e32 v5, 0
	s_delay_alu instid0(VALU_DEP_1)
	v_mov_b32_e32 v6, v5
	v_mov_b32_e32 v7, v5
	;; [unrolled: 1-line block ×3, first 2 shown]
	scratch_store_b128 off, v[5:8], off offset:512
	s_waitcnt vmcnt(0)
	ds_store_b128 v160, v[1:4]
.LBB101_177:
	s_or_b32 exec_lo, exec_lo, s2
	s_waitcnt lgkmcnt(0)
	s_waitcnt_vscnt null, 0x0
	s_barrier
	buffer_gl0_inv
	s_clause 0x5
	scratch_load_b128 v[2:5], off, off offset:528
	scratch_load_b128 v[6:9], off, off offset:544
	;; [unrolled: 1-line block ×6, first 2 shown]
	v_mov_b32_e32 v1, 0
	ds_load_b128 v[26:29], v1 offset:1136
	ds_load_b128 v[30:33], v1 offset:1152
	s_mov_b32 s2, exec_lo
	s_waitcnt vmcnt(5) lgkmcnt(1)
	v_mul_f64 v[34:35], v[28:29], v[4:5]
	v_mul_f64 v[4:5], v[26:27], v[4:5]
	s_waitcnt vmcnt(4) lgkmcnt(0)
	v_mul_f64 v[36:37], v[30:31], v[8:9]
	v_mul_f64 v[8:9], v[32:33], v[8:9]
	s_delay_alu instid0(VALU_DEP_4) | instskip(NEXT) | instid1(VALU_DEP_4)
	v_fma_f64 v[34:35], v[26:27], v[2:3], -v[34:35]
	v_fma_f64 v[38:39], v[28:29], v[2:3], v[4:5]
	ds_load_b128 v[2:5], v1 offset:1168
	ds_load_b128 v[26:29], v1 offset:1184
	v_fma_f64 v[32:33], v[32:33], v[6:7], v[36:37]
	v_fma_f64 v[6:7], v[30:31], v[6:7], -v[8:9]
	s_waitcnt vmcnt(3) lgkmcnt(1)
	v_mul_f64 v[40:41], v[2:3], v[12:13]
	v_mul_f64 v[12:13], v[4:5], v[12:13]
	v_add_f64 v[8:9], v[34:35], 0
	v_add_f64 v[30:31], v[38:39], 0
	s_waitcnt vmcnt(2) lgkmcnt(0)
	v_mul_f64 v[34:35], v[26:27], v[16:17]
	v_mul_f64 v[16:17], v[28:29], v[16:17]
	v_fma_f64 v[36:37], v[4:5], v[10:11], v[40:41]
	v_fma_f64 v[10:11], v[2:3], v[10:11], -v[12:13]
	ds_load_b128 v[2:5], v1 offset:1200
	v_add_f64 v[6:7], v[8:9], v[6:7]
	v_add_f64 v[8:9], v[30:31], v[32:33]
	v_fma_f64 v[28:29], v[28:29], v[14:15], v[34:35]
	v_fma_f64 v[14:15], v[26:27], v[14:15], -v[16:17]
	s_waitcnt vmcnt(1) lgkmcnt(0)
	v_mul_f64 v[12:13], v[2:3], v[20:21]
	v_mul_f64 v[20:21], v[4:5], v[20:21]
	v_add_f64 v[6:7], v[6:7], v[10:11]
	v_add_f64 v[8:9], v[8:9], v[36:37]
	s_delay_alu instid0(VALU_DEP_4) | instskip(NEXT) | instid1(VALU_DEP_4)
	v_fma_f64 v[4:5], v[4:5], v[18:19], v[12:13]
	v_fma_f64 v[2:3], v[2:3], v[18:19], -v[20:21]
	s_delay_alu instid0(VALU_DEP_4) | instskip(NEXT) | instid1(VALU_DEP_4)
	v_add_f64 v[6:7], v[6:7], v[14:15]
	v_add_f64 v[8:9], v[8:9], v[28:29]
	s_delay_alu instid0(VALU_DEP_2) | instskip(NEXT) | instid1(VALU_DEP_2)
	v_add_f64 v[2:3], v[6:7], v[2:3]
	v_add_f64 v[4:5], v[8:9], v[4:5]
	s_waitcnt vmcnt(0)
	s_delay_alu instid0(VALU_DEP_2) | instskip(NEXT) | instid1(VALU_DEP_2)
	v_add_f64 v[2:3], v[22:23], -v[2:3]
	v_add_f64 v[4:5], v[24:25], -v[4:5]
	scratch_store_b128 off, v[2:5], off offset:512
	v_cmpx_lt_u32_e32 31, v122
	s_cbranch_execz .LBB101_179
; %bb.178:
	scratch_load_b128 v[5:8], v151, off
	v_mov_b32_e32 v2, v1
	v_mov_b32_e32 v3, v1
	;; [unrolled: 1-line block ×3, first 2 shown]
	scratch_store_b128 off, v[1:4], off offset:496
	s_waitcnt vmcnt(0)
	ds_store_b128 v160, v[5:8]
.LBB101_179:
	s_or_b32 exec_lo, exec_lo, s2
	s_waitcnt lgkmcnt(0)
	s_waitcnt_vscnt null, 0x0
	s_barrier
	buffer_gl0_inv
	s_clause 0x5
	scratch_load_b128 v[2:5], off, off offset:512
	scratch_load_b128 v[6:9], off, off offset:528
	;; [unrolled: 1-line block ×6, first 2 shown]
	ds_load_b128 v[26:29], v1 offset:1120
	ds_load_b128 v[34:37], v1 offset:1136
	scratch_load_b128 v[30:33], off, off offset:496
	s_mov_b32 s2, exec_lo
	s_waitcnt vmcnt(6) lgkmcnt(1)
	v_mul_f64 v[38:39], v[28:29], v[4:5]
	v_mul_f64 v[4:5], v[26:27], v[4:5]
	s_waitcnt vmcnt(5) lgkmcnt(0)
	v_mul_f64 v[40:41], v[34:35], v[8:9]
	v_mul_f64 v[8:9], v[36:37], v[8:9]
	s_delay_alu instid0(VALU_DEP_4) | instskip(NEXT) | instid1(VALU_DEP_4)
	v_fma_f64 v[38:39], v[26:27], v[2:3], -v[38:39]
	v_fma_f64 v[42:43], v[28:29], v[2:3], v[4:5]
	ds_load_b128 v[2:5], v1 offset:1152
	ds_load_b128 v[26:29], v1 offset:1168
	v_fma_f64 v[36:37], v[36:37], v[6:7], v[40:41]
	v_fma_f64 v[6:7], v[34:35], v[6:7], -v[8:9]
	s_waitcnt vmcnt(4) lgkmcnt(1)
	v_mul_f64 v[44:45], v[2:3], v[12:13]
	v_mul_f64 v[12:13], v[4:5], v[12:13]
	v_add_f64 v[8:9], v[38:39], 0
	v_add_f64 v[34:35], v[42:43], 0
	s_waitcnt vmcnt(3) lgkmcnt(0)
	v_mul_f64 v[38:39], v[26:27], v[16:17]
	v_mul_f64 v[16:17], v[28:29], v[16:17]
	v_fma_f64 v[40:41], v[4:5], v[10:11], v[44:45]
	v_fma_f64 v[10:11], v[2:3], v[10:11], -v[12:13]
	v_add_f64 v[12:13], v[8:9], v[6:7]
	v_add_f64 v[34:35], v[34:35], v[36:37]
	ds_load_b128 v[2:5], v1 offset:1184
	ds_load_b128 v[6:9], v1 offset:1200
	v_fma_f64 v[28:29], v[28:29], v[14:15], v[38:39]
	v_fma_f64 v[14:15], v[26:27], v[14:15], -v[16:17]
	s_waitcnt vmcnt(2) lgkmcnt(1)
	v_mul_f64 v[36:37], v[2:3], v[20:21]
	v_mul_f64 v[20:21], v[4:5], v[20:21]
	s_waitcnt vmcnt(1) lgkmcnt(0)
	v_mul_f64 v[16:17], v[6:7], v[24:25]
	v_mul_f64 v[24:25], v[8:9], v[24:25]
	v_add_f64 v[10:11], v[12:13], v[10:11]
	v_add_f64 v[12:13], v[34:35], v[40:41]
	v_fma_f64 v[4:5], v[4:5], v[18:19], v[36:37]
	v_fma_f64 v[1:2], v[2:3], v[18:19], -v[20:21]
	v_fma_f64 v[8:9], v[8:9], v[22:23], v[16:17]
	v_fma_f64 v[6:7], v[6:7], v[22:23], -v[24:25]
	v_add_f64 v[10:11], v[10:11], v[14:15]
	v_add_f64 v[12:13], v[12:13], v[28:29]
	s_delay_alu instid0(VALU_DEP_2) | instskip(NEXT) | instid1(VALU_DEP_2)
	v_add_f64 v[1:2], v[10:11], v[1:2]
	v_add_f64 v[3:4], v[12:13], v[4:5]
	s_delay_alu instid0(VALU_DEP_2) | instskip(NEXT) | instid1(VALU_DEP_2)
	v_add_f64 v[1:2], v[1:2], v[6:7]
	v_add_f64 v[3:4], v[3:4], v[8:9]
	s_waitcnt vmcnt(0)
	s_delay_alu instid0(VALU_DEP_2) | instskip(NEXT) | instid1(VALU_DEP_2)
	v_add_f64 v[1:2], v[30:31], -v[1:2]
	v_add_f64 v[3:4], v[32:33], -v[3:4]
	scratch_store_b128 off, v[1:4], off offset:496
	v_cmpx_lt_u32_e32 30, v122
	s_cbranch_execz .LBB101_181
; %bb.180:
	scratch_load_b128 v[1:4], v127, off
	v_mov_b32_e32 v5, 0
	s_delay_alu instid0(VALU_DEP_1)
	v_mov_b32_e32 v6, v5
	v_mov_b32_e32 v7, v5
	;; [unrolled: 1-line block ×3, first 2 shown]
	scratch_store_b128 off, v[5:8], off offset:480
	s_waitcnt vmcnt(0)
	ds_store_b128 v160, v[1:4]
.LBB101_181:
	s_or_b32 exec_lo, exec_lo, s2
	s_waitcnt lgkmcnt(0)
	s_waitcnt_vscnt null, 0x0
	s_barrier
	buffer_gl0_inv
	s_clause 0x6
	scratch_load_b128 v[2:5], off, off offset:496
	scratch_load_b128 v[6:9], off, off offset:512
	;; [unrolled: 1-line block ×7, first 2 shown]
	v_mov_b32_e32 v1, 0
	scratch_load_b128 v[34:37], off, off offset:480
	s_mov_b32 s2, exec_lo
	ds_load_b128 v[30:33], v1 offset:1104
	ds_load_b128 v[38:41], v1 offset:1120
	s_waitcnt vmcnt(7) lgkmcnt(1)
	v_mul_f64 v[42:43], v[32:33], v[4:5]
	v_mul_f64 v[4:5], v[30:31], v[4:5]
	s_waitcnt vmcnt(6) lgkmcnt(0)
	v_mul_f64 v[44:45], v[38:39], v[8:9]
	v_mul_f64 v[8:9], v[40:41], v[8:9]
	s_delay_alu instid0(VALU_DEP_4) | instskip(NEXT) | instid1(VALU_DEP_4)
	v_fma_f64 v[42:43], v[30:31], v[2:3], -v[42:43]
	v_fma_f64 v[161:162], v[32:33], v[2:3], v[4:5]
	ds_load_b128 v[2:5], v1 offset:1136
	ds_load_b128 v[30:33], v1 offset:1152
	v_fma_f64 v[40:41], v[40:41], v[6:7], v[44:45]
	v_fma_f64 v[6:7], v[38:39], v[6:7], -v[8:9]
	s_waitcnt vmcnt(5) lgkmcnt(1)
	v_mul_f64 v[163:164], v[2:3], v[12:13]
	v_mul_f64 v[12:13], v[4:5], v[12:13]
	v_add_f64 v[8:9], v[42:43], 0
	v_add_f64 v[38:39], v[161:162], 0
	s_waitcnt vmcnt(4) lgkmcnt(0)
	v_mul_f64 v[42:43], v[30:31], v[16:17]
	v_mul_f64 v[16:17], v[32:33], v[16:17]
	v_fma_f64 v[44:45], v[4:5], v[10:11], v[163:164]
	v_fma_f64 v[10:11], v[2:3], v[10:11], -v[12:13]
	v_add_f64 v[12:13], v[8:9], v[6:7]
	v_add_f64 v[38:39], v[38:39], v[40:41]
	ds_load_b128 v[2:5], v1 offset:1168
	ds_load_b128 v[6:9], v1 offset:1184
	v_fma_f64 v[32:33], v[32:33], v[14:15], v[42:43]
	v_fma_f64 v[14:15], v[30:31], v[14:15], -v[16:17]
	s_waitcnt vmcnt(3) lgkmcnt(1)
	v_mul_f64 v[40:41], v[2:3], v[20:21]
	v_mul_f64 v[20:21], v[4:5], v[20:21]
	s_waitcnt vmcnt(2) lgkmcnt(0)
	v_mul_f64 v[16:17], v[6:7], v[24:25]
	v_mul_f64 v[24:25], v[8:9], v[24:25]
	v_add_f64 v[10:11], v[12:13], v[10:11]
	v_add_f64 v[12:13], v[38:39], v[44:45]
	v_fma_f64 v[30:31], v[4:5], v[18:19], v[40:41]
	v_fma_f64 v[18:19], v[2:3], v[18:19], -v[20:21]
	ds_load_b128 v[2:5], v1 offset:1200
	v_fma_f64 v[8:9], v[8:9], v[22:23], v[16:17]
	v_fma_f64 v[6:7], v[6:7], v[22:23], -v[24:25]
	v_add_f64 v[10:11], v[10:11], v[14:15]
	v_add_f64 v[12:13], v[12:13], v[32:33]
	s_waitcnt vmcnt(1) lgkmcnt(0)
	v_mul_f64 v[14:15], v[2:3], v[28:29]
	v_mul_f64 v[20:21], v[4:5], v[28:29]
	s_delay_alu instid0(VALU_DEP_4) | instskip(NEXT) | instid1(VALU_DEP_4)
	v_add_f64 v[10:11], v[10:11], v[18:19]
	v_add_f64 v[12:13], v[12:13], v[30:31]
	s_delay_alu instid0(VALU_DEP_4) | instskip(NEXT) | instid1(VALU_DEP_4)
	v_fma_f64 v[4:5], v[4:5], v[26:27], v[14:15]
	v_fma_f64 v[2:3], v[2:3], v[26:27], -v[20:21]
	s_delay_alu instid0(VALU_DEP_4) | instskip(NEXT) | instid1(VALU_DEP_4)
	v_add_f64 v[6:7], v[10:11], v[6:7]
	v_add_f64 v[8:9], v[12:13], v[8:9]
	s_delay_alu instid0(VALU_DEP_2) | instskip(NEXT) | instid1(VALU_DEP_2)
	v_add_f64 v[2:3], v[6:7], v[2:3]
	v_add_f64 v[4:5], v[8:9], v[4:5]
	s_waitcnt vmcnt(0)
	s_delay_alu instid0(VALU_DEP_2) | instskip(NEXT) | instid1(VALU_DEP_2)
	v_add_f64 v[2:3], v[34:35], -v[2:3]
	v_add_f64 v[4:5], v[36:37], -v[4:5]
	scratch_store_b128 off, v[2:5], off offset:480
	v_cmpx_lt_u32_e32 29, v122
	s_cbranch_execz .LBB101_183
; %bb.182:
	scratch_load_b128 v[5:8], v128, off
	v_mov_b32_e32 v2, v1
	v_mov_b32_e32 v3, v1
	v_mov_b32_e32 v4, v1
	scratch_store_b128 off, v[1:4], off offset:464
	s_waitcnt vmcnt(0)
	ds_store_b128 v160, v[5:8]
.LBB101_183:
	s_or_b32 exec_lo, exec_lo, s2
	s_waitcnt lgkmcnt(0)
	s_waitcnt_vscnt null, 0x0
	s_barrier
	buffer_gl0_inv
	s_clause 0x7
	scratch_load_b128 v[2:5], off, off offset:480
	scratch_load_b128 v[6:9], off, off offset:496
	;; [unrolled: 1-line block ×8, first 2 shown]
	ds_load_b128 v[34:37], v1 offset:1088
	ds_load_b128 v[38:41], v1 offset:1104
	s_mov_b32 s2, exec_lo
	s_waitcnt vmcnt(7) lgkmcnt(1)
	v_mul_f64 v[42:43], v[36:37], v[4:5]
	v_mul_f64 v[4:5], v[34:35], v[4:5]
	s_waitcnt vmcnt(6) lgkmcnt(0)
	v_mul_f64 v[44:45], v[38:39], v[8:9]
	v_mul_f64 v[8:9], v[40:41], v[8:9]
	s_delay_alu instid0(VALU_DEP_4) | instskip(NEXT) | instid1(VALU_DEP_4)
	v_fma_f64 v[42:43], v[34:35], v[2:3], -v[42:43]
	v_fma_f64 v[161:162], v[36:37], v[2:3], v[4:5]
	ds_load_b128 v[2:5], v1 offset:1120
	scratch_load_b128 v[34:37], off, off offset:464
	v_fma_f64 v[40:41], v[40:41], v[6:7], v[44:45]
	v_fma_f64 v[38:39], v[38:39], v[6:7], -v[8:9]
	ds_load_b128 v[6:9], v1 offset:1136
	s_waitcnt vmcnt(6) lgkmcnt(1)
	v_mul_f64 v[163:164], v[2:3], v[12:13]
	v_mul_f64 v[12:13], v[4:5], v[12:13]
	v_add_f64 v[42:43], v[42:43], 0
	v_add_f64 v[44:45], v[161:162], 0
	s_waitcnt vmcnt(5) lgkmcnt(0)
	v_mul_f64 v[161:162], v[6:7], v[16:17]
	v_mul_f64 v[16:17], v[8:9], v[16:17]
	v_fma_f64 v[163:164], v[4:5], v[10:11], v[163:164]
	v_fma_f64 v[10:11], v[2:3], v[10:11], -v[12:13]
	ds_load_b128 v[2:5], v1 offset:1152
	v_add_f64 v[12:13], v[42:43], v[38:39]
	v_add_f64 v[38:39], v[44:45], v[40:41]
	v_fma_f64 v[42:43], v[8:9], v[14:15], v[161:162]
	v_fma_f64 v[14:15], v[6:7], v[14:15], -v[16:17]
	ds_load_b128 v[6:9], v1 offset:1168
	s_waitcnt vmcnt(4) lgkmcnt(1)
	v_mul_f64 v[40:41], v[2:3], v[20:21]
	v_mul_f64 v[20:21], v[4:5], v[20:21]
	s_waitcnt vmcnt(3) lgkmcnt(0)
	v_mul_f64 v[16:17], v[6:7], v[24:25]
	v_mul_f64 v[24:25], v[8:9], v[24:25]
	v_add_f64 v[10:11], v[12:13], v[10:11]
	v_add_f64 v[12:13], v[38:39], v[163:164]
	v_fma_f64 v[38:39], v[4:5], v[18:19], v[40:41]
	v_fma_f64 v[18:19], v[2:3], v[18:19], -v[20:21]
	ds_load_b128 v[2:5], v1 offset:1184
	v_fma_f64 v[16:17], v[8:9], v[22:23], v[16:17]
	v_fma_f64 v[22:23], v[6:7], v[22:23], -v[24:25]
	ds_load_b128 v[6:9], v1 offset:1200
	s_waitcnt vmcnt(2) lgkmcnt(1)
	v_mul_f64 v[20:21], v[4:5], v[28:29]
	v_add_f64 v[10:11], v[10:11], v[14:15]
	v_add_f64 v[12:13], v[12:13], v[42:43]
	v_mul_f64 v[14:15], v[2:3], v[28:29]
	s_waitcnt vmcnt(1) lgkmcnt(0)
	v_mul_f64 v[24:25], v[8:9], v[32:33]
	v_fma_f64 v[1:2], v[2:3], v[26:27], -v[20:21]
	v_add_f64 v[10:11], v[10:11], v[18:19]
	v_add_f64 v[12:13], v[12:13], v[38:39]
	v_mul_f64 v[18:19], v[6:7], v[32:33]
	v_fma_f64 v[4:5], v[4:5], v[26:27], v[14:15]
	v_fma_f64 v[6:7], v[6:7], v[30:31], -v[24:25]
	v_add_f64 v[10:11], v[10:11], v[22:23]
	v_add_f64 v[12:13], v[12:13], v[16:17]
	v_fma_f64 v[8:9], v[8:9], v[30:31], v[18:19]
	s_delay_alu instid0(VALU_DEP_3) | instskip(NEXT) | instid1(VALU_DEP_3)
	v_add_f64 v[1:2], v[10:11], v[1:2]
	v_add_f64 v[3:4], v[12:13], v[4:5]
	s_delay_alu instid0(VALU_DEP_2) | instskip(NEXT) | instid1(VALU_DEP_2)
	v_add_f64 v[1:2], v[1:2], v[6:7]
	v_add_f64 v[3:4], v[3:4], v[8:9]
	s_waitcnt vmcnt(0)
	s_delay_alu instid0(VALU_DEP_2) | instskip(NEXT) | instid1(VALU_DEP_2)
	v_add_f64 v[1:2], v[34:35], -v[1:2]
	v_add_f64 v[3:4], v[36:37], -v[3:4]
	scratch_store_b128 off, v[1:4], off offset:464
	v_cmpx_lt_u32_e32 28, v122
	s_cbranch_execz .LBB101_185
; %bb.184:
	scratch_load_b128 v[1:4], v129, off
	v_mov_b32_e32 v5, 0
	s_delay_alu instid0(VALU_DEP_1)
	v_mov_b32_e32 v6, v5
	v_mov_b32_e32 v7, v5
	;; [unrolled: 1-line block ×3, first 2 shown]
	scratch_store_b128 off, v[5:8], off offset:448
	s_waitcnt vmcnt(0)
	ds_store_b128 v160, v[1:4]
.LBB101_185:
	s_or_b32 exec_lo, exec_lo, s2
	s_waitcnt lgkmcnt(0)
	s_waitcnt_vscnt null, 0x0
	s_barrier
	buffer_gl0_inv
	s_clause 0x7
	scratch_load_b128 v[2:5], off, off offset:464
	scratch_load_b128 v[6:9], off, off offset:480
	scratch_load_b128 v[10:13], off, off offset:496
	scratch_load_b128 v[14:17], off, off offset:512
	scratch_load_b128 v[18:21], off, off offset:528
	scratch_load_b128 v[22:25], off, off offset:544
	scratch_load_b128 v[26:29], off, off offset:560
	scratch_load_b128 v[30:33], off, off offset:576
	v_mov_b32_e32 v1, 0
	scratch_load_b128 v[38:41], off, off offset:592
	s_mov_b32 s2, exec_lo
	ds_load_b128 v[34:37], v1 offset:1072
	ds_load_b128 v[42:45], v1 offset:1088
	s_waitcnt vmcnt(8) lgkmcnt(1)
	v_mul_f64 v[161:162], v[36:37], v[4:5]
	v_mul_f64 v[4:5], v[34:35], v[4:5]
	s_waitcnt vmcnt(7) lgkmcnt(0)
	v_mul_f64 v[163:164], v[42:43], v[8:9]
	v_mul_f64 v[8:9], v[44:45], v[8:9]
	s_delay_alu instid0(VALU_DEP_4) | instskip(NEXT) | instid1(VALU_DEP_4)
	v_fma_f64 v[34:35], v[34:35], v[2:3], -v[161:162]
	v_fma_f64 v[36:37], v[36:37], v[2:3], v[4:5]
	ds_load_b128 v[2:5], v1 offset:1104
	v_fma_f64 v[44:45], v[44:45], v[6:7], v[163:164]
	v_fma_f64 v[42:43], v[42:43], v[6:7], -v[8:9]
	ds_load_b128 v[6:9], v1 offset:1120
	s_waitcnt vmcnt(6) lgkmcnt(1)
	v_mul_f64 v[161:162], v[2:3], v[12:13]
	v_mul_f64 v[12:13], v[4:5], v[12:13]
	s_waitcnt vmcnt(5) lgkmcnt(0)
	v_mul_f64 v[167:168], v[6:7], v[16:17]
	v_mul_f64 v[16:17], v[8:9], v[16:17]
	v_add_f64 v[163:164], v[34:35], 0
	v_add_f64 v[165:166], v[36:37], 0
	scratch_load_b128 v[34:37], off, off offset:448
	v_fma_f64 v[161:162], v[4:5], v[10:11], v[161:162]
	v_fma_f64 v[10:11], v[2:3], v[10:11], -v[12:13]
	ds_load_b128 v[2:5], v1 offset:1136
	v_add_f64 v[12:13], v[163:164], v[42:43]
	v_add_f64 v[42:43], v[165:166], v[44:45]
	v_fma_f64 v[163:164], v[8:9], v[14:15], v[167:168]
	v_fma_f64 v[14:15], v[6:7], v[14:15], -v[16:17]
	ds_load_b128 v[6:9], v1 offset:1152
	s_waitcnt vmcnt(5) lgkmcnt(1)
	v_mul_f64 v[44:45], v[2:3], v[20:21]
	v_mul_f64 v[20:21], v[4:5], v[20:21]
	s_waitcnt vmcnt(4) lgkmcnt(0)
	v_mul_f64 v[16:17], v[6:7], v[24:25]
	v_mul_f64 v[24:25], v[8:9], v[24:25]
	v_add_f64 v[10:11], v[12:13], v[10:11]
	v_add_f64 v[12:13], v[42:43], v[161:162]
	v_fma_f64 v[42:43], v[4:5], v[18:19], v[44:45]
	v_fma_f64 v[18:19], v[2:3], v[18:19], -v[20:21]
	ds_load_b128 v[2:5], v1 offset:1168
	v_fma_f64 v[16:17], v[8:9], v[22:23], v[16:17]
	v_fma_f64 v[22:23], v[6:7], v[22:23], -v[24:25]
	ds_load_b128 v[6:9], v1 offset:1184
	s_waitcnt vmcnt(3) lgkmcnt(1)
	v_mul_f64 v[20:21], v[4:5], v[28:29]
	v_add_f64 v[10:11], v[10:11], v[14:15]
	v_add_f64 v[12:13], v[12:13], v[163:164]
	v_mul_f64 v[14:15], v[2:3], v[28:29]
	s_waitcnt vmcnt(2) lgkmcnt(0)
	v_mul_f64 v[24:25], v[8:9], v[32:33]
	v_fma_f64 v[20:21], v[2:3], v[26:27], -v[20:21]
	v_add_f64 v[10:11], v[10:11], v[18:19]
	v_add_f64 v[12:13], v[12:13], v[42:43]
	v_mul_f64 v[18:19], v[6:7], v[32:33]
	v_fma_f64 v[14:15], v[4:5], v[26:27], v[14:15]
	ds_load_b128 v[2:5], v1 offset:1200
	v_fma_f64 v[6:7], v[6:7], v[30:31], -v[24:25]
	v_add_f64 v[10:11], v[10:11], v[22:23]
	v_add_f64 v[12:13], v[12:13], v[16:17]
	s_waitcnt vmcnt(1) lgkmcnt(0)
	v_mul_f64 v[16:17], v[2:3], v[40:41]
	v_mul_f64 v[22:23], v[4:5], v[40:41]
	v_fma_f64 v[8:9], v[8:9], v[30:31], v[18:19]
	v_add_f64 v[10:11], v[10:11], v[20:21]
	v_add_f64 v[12:13], v[12:13], v[14:15]
	v_fma_f64 v[4:5], v[4:5], v[38:39], v[16:17]
	v_fma_f64 v[2:3], v[2:3], v[38:39], -v[22:23]
	s_delay_alu instid0(VALU_DEP_4) | instskip(NEXT) | instid1(VALU_DEP_4)
	v_add_f64 v[6:7], v[10:11], v[6:7]
	v_add_f64 v[8:9], v[12:13], v[8:9]
	s_delay_alu instid0(VALU_DEP_2) | instskip(NEXT) | instid1(VALU_DEP_2)
	v_add_f64 v[2:3], v[6:7], v[2:3]
	v_add_f64 v[4:5], v[8:9], v[4:5]
	s_waitcnt vmcnt(0)
	s_delay_alu instid0(VALU_DEP_2) | instskip(NEXT) | instid1(VALU_DEP_2)
	v_add_f64 v[2:3], v[34:35], -v[2:3]
	v_add_f64 v[4:5], v[36:37], -v[4:5]
	scratch_store_b128 off, v[2:5], off offset:448
	v_cmpx_lt_u32_e32 27, v122
	s_cbranch_execz .LBB101_187
; %bb.186:
	scratch_load_b128 v[5:8], v130, off
	v_mov_b32_e32 v2, v1
	v_mov_b32_e32 v3, v1
	;; [unrolled: 1-line block ×3, first 2 shown]
	scratch_store_b128 off, v[1:4], off offset:432
	s_waitcnt vmcnt(0)
	ds_store_b128 v160, v[5:8]
.LBB101_187:
	s_or_b32 exec_lo, exec_lo, s2
	s_waitcnt lgkmcnt(0)
	s_waitcnt_vscnt null, 0x0
	s_barrier
	buffer_gl0_inv
	s_clause 0x8
	scratch_load_b128 v[2:5], off, off offset:448
	scratch_load_b128 v[6:9], off, off offset:464
	;; [unrolled: 1-line block ×9, first 2 shown]
	ds_load_b128 v[38:41], v1 offset:1056
	ds_load_b128 v[42:45], v1 offset:1072
	s_clause 0x1
	scratch_load_b128 v[161:164], off, off offset:432
	scratch_load_b128 v[165:168], off, off offset:592
	s_mov_b32 s2, exec_lo
	s_waitcnt vmcnt(10) lgkmcnt(1)
	v_mul_f64 v[169:170], v[40:41], v[4:5]
	v_mul_f64 v[4:5], v[38:39], v[4:5]
	s_waitcnt vmcnt(9) lgkmcnt(0)
	v_mul_f64 v[171:172], v[42:43], v[8:9]
	v_mul_f64 v[8:9], v[44:45], v[8:9]
	s_delay_alu instid0(VALU_DEP_4) | instskip(NEXT) | instid1(VALU_DEP_4)
	v_fma_f64 v[169:170], v[38:39], v[2:3], -v[169:170]
	v_fma_f64 v[173:174], v[40:41], v[2:3], v[4:5]
	ds_load_b128 v[2:5], v1 offset:1088
	ds_load_b128 v[38:41], v1 offset:1104
	v_fma_f64 v[44:45], v[44:45], v[6:7], v[171:172]
	v_fma_f64 v[6:7], v[42:43], v[6:7], -v[8:9]
	s_waitcnt vmcnt(8) lgkmcnt(1)
	v_mul_f64 v[175:176], v[2:3], v[12:13]
	v_mul_f64 v[12:13], v[4:5], v[12:13]
	v_add_f64 v[8:9], v[169:170], 0
	v_add_f64 v[42:43], v[173:174], 0
	s_waitcnt vmcnt(7) lgkmcnt(0)
	v_mul_f64 v[169:170], v[38:39], v[16:17]
	v_mul_f64 v[16:17], v[40:41], v[16:17]
	v_fma_f64 v[171:172], v[4:5], v[10:11], v[175:176]
	v_fma_f64 v[10:11], v[2:3], v[10:11], -v[12:13]
	v_add_f64 v[12:13], v[8:9], v[6:7]
	v_add_f64 v[42:43], v[42:43], v[44:45]
	ds_load_b128 v[2:5], v1 offset:1120
	ds_load_b128 v[6:9], v1 offset:1136
	v_fma_f64 v[40:41], v[40:41], v[14:15], v[169:170]
	v_fma_f64 v[14:15], v[38:39], v[14:15], -v[16:17]
	s_waitcnt vmcnt(6) lgkmcnt(1)
	v_mul_f64 v[44:45], v[2:3], v[20:21]
	v_mul_f64 v[20:21], v[4:5], v[20:21]
	s_waitcnt vmcnt(5) lgkmcnt(0)
	v_mul_f64 v[16:17], v[6:7], v[24:25]
	v_mul_f64 v[24:25], v[8:9], v[24:25]
	v_add_f64 v[10:11], v[12:13], v[10:11]
	v_add_f64 v[12:13], v[42:43], v[171:172]
	v_fma_f64 v[38:39], v[4:5], v[18:19], v[44:45]
	v_fma_f64 v[18:19], v[2:3], v[18:19], -v[20:21]
	v_fma_f64 v[8:9], v[8:9], v[22:23], v[16:17]
	v_fma_f64 v[6:7], v[6:7], v[22:23], -v[24:25]
	v_add_f64 v[14:15], v[10:11], v[14:15]
	v_add_f64 v[20:21], v[12:13], v[40:41]
	ds_load_b128 v[2:5], v1 offset:1152
	ds_load_b128 v[10:13], v1 offset:1168
	s_waitcnt vmcnt(4) lgkmcnt(1)
	v_mul_f64 v[40:41], v[2:3], v[28:29]
	v_mul_f64 v[28:29], v[4:5], v[28:29]
	v_add_f64 v[14:15], v[14:15], v[18:19]
	v_add_f64 v[16:17], v[20:21], v[38:39]
	s_waitcnt vmcnt(3) lgkmcnt(0)
	v_mul_f64 v[18:19], v[10:11], v[32:33]
	v_mul_f64 v[20:21], v[12:13], v[32:33]
	v_fma_f64 v[22:23], v[4:5], v[26:27], v[40:41]
	v_fma_f64 v[24:25], v[2:3], v[26:27], -v[28:29]
	v_add_f64 v[14:15], v[14:15], v[6:7]
	v_add_f64 v[16:17], v[16:17], v[8:9]
	ds_load_b128 v[2:5], v1 offset:1184
	ds_load_b128 v[6:9], v1 offset:1200
	v_fma_f64 v[12:13], v[12:13], v[30:31], v[18:19]
	v_fma_f64 v[10:11], v[10:11], v[30:31], -v[20:21]
	s_waitcnt vmcnt(2) lgkmcnt(1)
	v_mul_f64 v[26:27], v[2:3], v[36:37]
	v_mul_f64 v[28:29], v[4:5], v[36:37]
	s_waitcnt vmcnt(0) lgkmcnt(0)
	v_mul_f64 v[18:19], v[6:7], v[167:168]
	v_mul_f64 v[20:21], v[8:9], v[167:168]
	v_add_f64 v[14:15], v[14:15], v[24:25]
	v_add_f64 v[16:17], v[16:17], v[22:23]
	v_fma_f64 v[4:5], v[4:5], v[34:35], v[26:27]
	v_fma_f64 v[1:2], v[2:3], v[34:35], -v[28:29]
	v_fma_f64 v[8:9], v[8:9], v[165:166], v[18:19]
	v_fma_f64 v[6:7], v[6:7], v[165:166], -v[20:21]
	v_add_f64 v[10:11], v[14:15], v[10:11]
	v_add_f64 v[12:13], v[16:17], v[12:13]
	s_delay_alu instid0(VALU_DEP_2) | instskip(NEXT) | instid1(VALU_DEP_2)
	v_add_f64 v[1:2], v[10:11], v[1:2]
	v_add_f64 v[3:4], v[12:13], v[4:5]
	s_delay_alu instid0(VALU_DEP_2) | instskip(NEXT) | instid1(VALU_DEP_2)
	;; [unrolled: 3-line block ×3, first 2 shown]
	v_add_f64 v[1:2], v[161:162], -v[1:2]
	v_add_f64 v[3:4], v[163:164], -v[3:4]
	scratch_store_b128 off, v[1:4], off offset:432
	v_cmpx_lt_u32_e32 26, v122
	s_cbranch_execz .LBB101_189
; %bb.188:
	scratch_load_b128 v[1:4], v131, off
	v_mov_b32_e32 v5, 0
	s_delay_alu instid0(VALU_DEP_1)
	v_mov_b32_e32 v6, v5
	v_mov_b32_e32 v7, v5
	;; [unrolled: 1-line block ×3, first 2 shown]
	scratch_store_b128 off, v[5:8], off offset:416
	s_waitcnt vmcnt(0)
	ds_store_b128 v160, v[1:4]
.LBB101_189:
	s_or_b32 exec_lo, exec_lo, s2
	s_waitcnt lgkmcnt(0)
	s_waitcnt_vscnt null, 0x0
	s_barrier
	buffer_gl0_inv
	s_clause 0x7
	scratch_load_b128 v[2:5], off, off offset:432
	scratch_load_b128 v[6:9], off, off offset:448
	;; [unrolled: 1-line block ×8, first 2 shown]
	v_mov_b32_e32 v1, 0
	s_mov_b32 s2, exec_lo
	ds_load_b128 v[34:37], v1 offset:1040
	s_clause 0x1
	scratch_load_b128 v[38:41], off, off offset:560
	scratch_load_b128 v[42:45], off, off offset:416
	ds_load_b128 v[161:164], v1 offset:1056
	scratch_load_b128 v[165:168], off, off offset:576
	s_waitcnt vmcnt(10) lgkmcnt(1)
	v_mul_f64 v[169:170], v[36:37], v[4:5]
	v_mul_f64 v[4:5], v[34:35], v[4:5]
	s_delay_alu instid0(VALU_DEP_2) | instskip(NEXT) | instid1(VALU_DEP_2)
	v_fma_f64 v[175:176], v[34:35], v[2:3], -v[169:170]
	v_fma_f64 v[177:178], v[36:37], v[2:3], v[4:5]
	scratch_load_b128 v[34:37], off, off offset:592
	ds_load_b128 v[2:5], v1 offset:1072
	s_waitcnt vmcnt(10) lgkmcnt(1)
	v_mul_f64 v[173:174], v[161:162], v[8:9]
	v_mul_f64 v[8:9], v[163:164], v[8:9]
	ds_load_b128 v[169:172], v1 offset:1088
	s_waitcnt vmcnt(9) lgkmcnt(1)
	v_mul_f64 v[179:180], v[2:3], v[12:13]
	v_mul_f64 v[12:13], v[4:5], v[12:13]
	v_fma_f64 v[163:164], v[163:164], v[6:7], v[173:174]
	v_fma_f64 v[6:7], v[161:162], v[6:7], -v[8:9]
	v_add_f64 v[8:9], v[175:176], 0
	v_add_f64 v[161:162], v[177:178], 0
	s_waitcnt vmcnt(8) lgkmcnt(0)
	v_mul_f64 v[173:174], v[169:170], v[16:17]
	v_mul_f64 v[16:17], v[171:172], v[16:17]
	v_fma_f64 v[175:176], v[4:5], v[10:11], v[179:180]
	v_fma_f64 v[10:11], v[2:3], v[10:11], -v[12:13]
	v_add_f64 v[12:13], v[8:9], v[6:7]
	v_add_f64 v[161:162], v[161:162], v[163:164]
	ds_load_b128 v[2:5], v1 offset:1104
	ds_load_b128 v[6:9], v1 offset:1120
	v_fma_f64 v[171:172], v[171:172], v[14:15], v[173:174]
	v_fma_f64 v[14:15], v[169:170], v[14:15], -v[16:17]
	s_waitcnt vmcnt(7) lgkmcnt(1)
	v_mul_f64 v[163:164], v[2:3], v[20:21]
	v_mul_f64 v[20:21], v[4:5], v[20:21]
	s_waitcnt vmcnt(6) lgkmcnt(0)
	v_mul_f64 v[16:17], v[6:7], v[24:25]
	v_mul_f64 v[24:25], v[8:9], v[24:25]
	v_add_f64 v[10:11], v[12:13], v[10:11]
	v_add_f64 v[12:13], v[161:162], v[175:176]
	v_fma_f64 v[161:162], v[4:5], v[18:19], v[163:164]
	v_fma_f64 v[18:19], v[2:3], v[18:19], -v[20:21]
	v_fma_f64 v[8:9], v[8:9], v[22:23], v[16:17]
	v_fma_f64 v[6:7], v[6:7], v[22:23], -v[24:25]
	v_add_f64 v[14:15], v[10:11], v[14:15]
	v_add_f64 v[20:21], v[12:13], v[171:172]
	ds_load_b128 v[2:5], v1 offset:1136
	ds_load_b128 v[10:13], v1 offset:1152
	s_waitcnt vmcnt(5) lgkmcnt(1)
	v_mul_f64 v[163:164], v[2:3], v[28:29]
	v_mul_f64 v[28:29], v[4:5], v[28:29]
	v_add_f64 v[14:15], v[14:15], v[18:19]
	v_add_f64 v[16:17], v[20:21], v[161:162]
	s_waitcnt vmcnt(4) lgkmcnt(0)
	v_mul_f64 v[18:19], v[10:11], v[32:33]
	v_mul_f64 v[20:21], v[12:13], v[32:33]
	v_fma_f64 v[22:23], v[4:5], v[26:27], v[163:164]
	v_fma_f64 v[24:25], v[2:3], v[26:27], -v[28:29]
	v_add_f64 v[14:15], v[14:15], v[6:7]
	v_add_f64 v[16:17], v[16:17], v[8:9]
	ds_load_b128 v[2:5], v1 offset:1168
	ds_load_b128 v[6:9], v1 offset:1184
	v_fma_f64 v[12:13], v[12:13], v[30:31], v[18:19]
	v_fma_f64 v[10:11], v[10:11], v[30:31], -v[20:21]
	s_waitcnt vmcnt(3) lgkmcnt(1)
	v_mul_f64 v[26:27], v[2:3], v[40:41]
	v_mul_f64 v[28:29], v[4:5], v[40:41]
	s_waitcnt vmcnt(1) lgkmcnt(0)
	v_mul_f64 v[18:19], v[6:7], v[167:168]
	v_mul_f64 v[20:21], v[8:9], v[167:168]
	v_add_f64 v[14:15], v[14:15], v[24:25]
	v_add_f64 v[16:17], v[16:17], v[22:23]
	v_fma_f64 v[22:23], v[4:5], v[38:39], v[26:27]
	v_fma_f64 v[24:25], v[2:3], v[38:39], -v[28:29]
	ds_load_b128 v[2:5], v1 offset:1200
	v_fma_f64 v[8:9], v[8:9], v[165:166], v[18:19]
	v_fma_f64 v[6:7], v[6:7], v[165:166], -v[20:21]
	v_add_f64 v[10:11], v[14:15], v[10:11]
	v_add_f64 v[12:13], v[16:17], v[12:13]
	s_waitcnt vmcnt(0) lgkmcnt(0)
	v_mul_f64 v[14:15], v[2:3], v[36:37]
	v_mul_f64 v[16:17], v[4:5], v[36:37]
	s_delay_alu instid0(VALU_DEP_4) | instskip(NEXT) | instid1(VALU_DEP_4)
	v_add_f64 v[10:11], v[10:11], v[24:25]
	v_add_f64 v[12:13], v[12:13], v[22:23]
	s_delay_alu instid0(VALU_DEP_4) | instskip(NEXT) | instid1(VALU_DEP_4)
	v_fma_f64 v[4:5], v[4:5], v[34:35], v[14:15]
	v_fma_f64 v[2:3], v[2:3], v[34:35], -v[16:17]
	s_delay_alu instid0(VALU_DEP_4) | instskip(NEXT) | instid1(VALU_DEP_4)
	v_add_f64 v[6:7], v[10:11], v[6:7]
	v_add_f64 v[8:9], v[12:13], v[8:9]
	s_delay_alu instid0(VALU_DEP_2) | instskip(NEXT) | instid1(VALU_DEP_2)
	v_add_f64 v[2:3], v[6:7], v[2:3]
	v_add_f64 v[4:5], v[8:9], v[4:5]
	s_delay_alu instid0(VALU_DEP_2) | instskip(NEXT) | instid1(VALU_DEP_2)
	v_add_f64 v[2:3], v[42:43], -v[2:3]
	v_add_f64 v[4:5], v[44:45], -v[4:5]
	scratch_store_b128 off, v[2:5], off offset:416
	v_cmpx_lt_u32_e32 25, v122
	s_cbranch_execz .LBB101_191
; %bb.190:
	scratch_load_b128 v[5:8], v132, off
	v_mov_b32_e32 v2, v1
	v_mov_b32_e32 v3, v1
	;; [unrolled: 1-line block ×3, first 2 shown]
	scratch_store_b128 off, v[1:4], off offset:400
	s_waitcnt vmcnt(0)
	ds_store_b128 v160, v[5:8]
.LBB101_191:
	s_or_b32 exec_lo, exec_lo, s2
	s_waitcnt lgkmcnt(0)
	s_waitcnt_vscnt null, 0x0
	s_barrier
	buffer_gl0_inv
	s_clause 0x8
	scratch_load_b128 v[2:5], off, off offset:416
	scratch_load_b128 v[6:9], off, off offset:432
	scratch_load_b128 v[10:13], off, off offset:448
	scratch_load_b128 v[14:17], off, off offset:464
	scratch_load_b128 v[18:21], off, off offset:480
	scratch_load_b128 v[22:25], off, off offset:496
	scratch_load_b128 v[26:29], off, off offset:512
	scratch_load_b128 v[30:33], off, off offset:528
	scratch_load_b128 v[34:37], off, off offset:544
	ds_load_b128 v[38:41], v1 offset:1024
	ds_load_b128 v[42:45], v1 offset:1040
	s_clause 0x1
	scratch_load_b128 v[161:164], off, off offset:400
	scratch_load_b128 v[165:168], off, off offset:560
	s_mov_b32 s2, exec_lo
	s_waitcnt vmcnt(10) lgkmcnt(1)
	v_mul_f64 v[169:170], v[40:41], v[4:5]
	v_mul_f64 v[4:5], v[38:39], v[4:5]
	s_waitcnt vmcnt(9) lgkmcnt(0)
	v_mul_f64 v[173:174], v[42:43], v[8:9]
	v_mul_f64 v[8:9], v[44:45], v[8:9]
	s_delay_alu instid0(VALU_DEP_4) | instskip(NEXT) | instid1(VALU_DEP_4)
	v_fma_f64 v[175:176], v[38:39], v[2:3], -v[169:170]
	v_fma_f64 v[177:178], v[40:41], v[2:3], v[4:5]
	ds_load_b128 v[2:5], v1 offset:1056
	ds_load_b128 v[169:172], v1 offset:1072
	scratch_load_b128 v[38:41], off, off offset:576
	v_fma_f64 v[44:45], v[44:45], v[6:7], v[173:174]
	v_fma_f64 v[42:43], v[42:43], v[6:7], -v[8:9]
	scratch_load_b128 v[6:9], off, off offset:592
	s_waitcnt vmcnt(10) lgkmcnt(1)
	v_mul_f64 v[179:180], v[2:3], v[12:13]
	v_mul_f64 v[12:13], v[4:5], v[12:13]
	v_add_f64 v[173:174], v[175:176], 0
	v_add_f64 v[175:176], v[177:178], 0
	s_waitcnt vmcnt(9) lgkmcnt(0)
	v_mul_f64 v[177:178], v[169:170], v[16:17]
	v_mul_f64 v[16:17], v[171:172], v[16:17]
	v_fma_f64 v[179:180], v[4:5], v[10:11], v[179:180]
	v_fma_f64 v[181:182], v[2:3], v[10:11], -v[12:13]
	ds_load_b128 v[2:5], v1 offset:1088
	ds_load_b128 v[10:13], v1 offset:1104
	v_add_f64 v[42:43], v[173:174], v[42:43]
	v_add_f64 v[44:45], v[175:176], v[44:45]
	v_fma_f64 v[171:172], v[171:172], v[14:15], v[177:178]
	v_fma_f64 v[14:15], v[169:170], v[14:15], -v[16:17]
	s_waitcnt vmcnt(8) lgkmcnt(1)
	v_mul_f64 v[173:174], v[2:3], v[20:21]
	v_mul_f64 v[20:21], v[4:5], v[20:21]
	v_add_f64 v[16:17], v[42:43], v[181:182]
	v_add_f64 v[42:43], v[44:45], v[179:180]
	s_waitcnt vmcnt(7) lgkmcnt(0)
	v_mul_f64 v[44:45], v[10:11], v[24:25]
	v_mul_f64 v[24:25], v[12:13], v[24:25]
	v_fma_f64 v[169:170], v[4:5], v[18:19], v[173:174]
	v_fma_f64 v[18:19], v[2:3], v[18:19], -v[20:21]
	v_add_f64 v[20:21], v[16:17], v[14:15]
	v_add_f64 v[42:43], v[42:43], v[171:172]
	ds_load_b128 v[2:5], v1 offset:1120
	ds_load_b128 v[14:17], v1 offset:1136
	v_fma_f64 v[12:13], v[12:13], v[22:23], v[44:45]
	v_fma_f64 v[10:11], v[10:11], v[22:23], -v[24:25]
	s_waitcnt vmcnt(6) lgkmcnt(1)
	v_mul_f64 v[171:172], v[2:3], v[28:29]
	v_mul_f64 v[28:29], v[4:5], v[28:29]
	s_waitcnt vmcnt(5) lgkmcnt(0)
	v_mul_f64 v[22:23], v[14:15], v[32:33]
	v_mul_f64 v[24:25], v[16:17], v[32:33]
	v_add_f64 v[18:19], v[20:21], v[18:19]
	v_add_f64 v[20:21], v[42:43], v[169:170]
	v_fma_f64 v[32:33], v[4:5], v[26:27], v[171:172]
	v_fma_f64 v[26:27], v[2:3], v[26:27], -v[28:29]
	v_fma_f64 v[16:17], v[16:17], v[30:31], v[22:23]
	v_fma_f64 v[14:15], v[14:15], v[30:31], -v[24:25]
	v_add_f64 v[18:19], v[18:19], v[10:11]
	v_add_f64 v[20:21], v[20:21], v[12:13]
	ds_load_b128 v[2:5], v1 offset:1152
	ds_load_b128 v[10:13], v1 offset:1168
	s_waitcnt vmcnt(4) lgkmcnt(1)
	v_mul_f64 v[28:29], v[2:3], v[36:37]
	v_mul_f64 v[36:37], v[4:5], v[36:37]
	s_waitcnt vmcnt(2) lgkmcnt(0)
	v_mul_f64 v[22:23], v[10:11], v[167:168]
	v_mul_f64 v[24:25], v[12:13], v[167:168]
	v_add_f64 v[18:19], v[18:19], v[26:27]
	v_add_f64 v[20:21], v[20:21], v[32:33]
	v_fma_f64 v[26:27], v[4:5], v[34:35], v[28:29]
	v_fma_f64 v[28:29], v[2:3], v[34:35], -v[36:37]
	v_fma_f64 v[12:13], v[12:13], v[165:166], v[22:23]
	v_fma_f64 v[10:11], v[10:11], v[165:166], -v[24:25]
	v_add_f64 v[18:19], v[18:19], v[14:15]
	v_add_f64 v[20:21], v[20:21], v[16:17]
	ds_load_b128 v[2:5], v1 offset:1184
	ds_load_b128 v[14:17], v1 offset:1200
	s_waitcnt vmcnt(1) lgkmcnt(1)
	v_mul_f64 v[30:31], v[2:3], v[40:41]
	v_mul_f64 v[32:33], v[4:5], v[40:41]
	s_waitcnt vmcnt(0) lgkmcnt(0)
	v_mul_f64 v[22:23], v[14:15], v[8:9]
	v_mul_f64 v[8:9], v[16:17], v[8:9]
	v_add_f64 v[18:19], v[18:19], v[28:29]
	v_add_f64 v[20:21], v[20:21], v[26:27]
	v_fma_f64 v[4:5], v[4:5], v[38:39], v[30:31]
	v_fma_f64 v[1:2], v[2:3], v[38:39], -v[32:33]
	v_fma_f64 v[16:17], v[16:17], v[6:7], v[22:23]
	v_fma_f64 v[6:7], v[14:15], v[6:7], -v[8:9]
	v_add_f64 v[10:11], v[18:19], v[10:11]
	v_add_f64 v[12:13], v[20:21], v[12:13]
	s_delay_alu instid0(VALU_DEP_2) | instskip(NEXT) | instid1(VALU_DEP_2)
	v_add_f64 v[1:2], v[10:11], v[1:2]
	v_add_f64 v[3:4], v[12:13], v[4:5]
	s_delay_alu instid0(VALU_DEP_2) | instskip(NEXT) | instid1(VALU_DEP_2)
	;; [unrolled: 3-line block ×3, first 2 shown]
	v_add_f64 v[1:2], v[161:162], -v[1:2]
	v_add_f64 v[3:4], v[163:164], -v[3:4]
	scratch_store_b128 off, v[1:4], off offset:400
	v_cmpx_lt_u32_e32 24, v122
	s_cbranch_execz .LBB101_193
; %bb.192:
	scratch_load_b128 v[1:4], v134, off
	v_mov_b32_e32 v5, 0
	s_delay_alu instid0(VALU_DEP_1)
	v_mov_b32_e32 v6, v5
	v_mov_b32_e32 v7, v5
	;; [unrolled: 1-line block ×3, first 2 shown]
	scratch_store_b128 off, v[5:8], off offset:384
	s_waitcnt vmcnt(0)
	ds_store_b128 v160, v[1:4]
.LBB101_193:
	s_or_b32 exec_lo, exec_lo, s2
	s_waitcnt lgkmcnt(0)
	s_waitcnt_vscnt null, 0x0
	s_barrier
	buffer_gl0_inv
	s_clause 0x7
	scratch_load_b128 v[2:5], off, off offset:400
	scratch_load_b128 v[6:9], off, off offset:416
	;; [unrolled: 1-line block ×8, first 2 shown]
	v_mov_b32_e32 v1, 0
	s_mov_b32 s2, exec_lo
	ds_load_b128 v[34:37], v1 offset:1008
	s_clause 0x1
	scratch_load_b128 v[38:41], off, off offset:528
	scratch_load_b128 v[42:45], off, off offset:384
	ds_load_b128 v[161:164], v1 offset:1024
	scratch_load_b128 v[165:168], off, off offset:544
	s_waitcnt vmcnt(10) lgkmcnt(1)
	v_mul_f64 v[169:170], v[36:37], v[4:5]
	v_mul_f64 v[4:5], v[34:35], v[4:5]
	s_delay_alu instid0(VALU_DEP_2) | instskip(NEXT) | instid1(VALU_DEP_2)
	v_fma_f64 v[175:176], v[34:35], v[2:3], -v[169:170]
	v_fma_f64 v[177:178], v[36:37], v[2:3], v[4:5]
	scratch_load_b128 v[34:37], off, off offset:560
	ds_load_b128 v[2:5], v1 offset:1040
	s_waitcnt vmcnt(10) lgkmcnt(1)
	v_mul_f64 v[173:174], v[161:162], v[8:9]
	v_mul_f64 v[8:9], v[163:164], v[8:9]
	ds_load_b128 v[169:172], v1 offset:1056
	s_waitcnt vmcnt(9) lgkmcnt(1)
	v_mul_f64 v[179:180], v[2:3], v[12:13]
	v_mul_f64 v[12:13], v[4:5], v[12:13]
	v_fma_f64 v[163:164], v[163:164], v[6:7], v[173:174]
	v_fma_f64 v[161:162], v[161:162], v[6:7], -v[8:9]
	v_add_f64 v[173:174], v[175:176], 0
	v_add_f64 v[175:176], v[177:178], 0
	scratch_load_b128 v[6:9], off, off offset:576
	v_fma_f64 v[179:180], v[4:5], v[10:11], v[179:180]
	v_fma_f64 v[181:182], v[2:3], v[10:11], -v[12:13]
	scratch_load_b128 v[10:13], off, off offset:592
	ds_load_b128 v[2:5], v1 offset:1072
	s_waitcnt vmcnt(10) lgkmcnt(1)
	v_mul_f64 v[177:178], v[169:170], v[16:17]
	v_mul_f64 v[16:17], v[171:172], v[16:17]
	v_add_f64 v[173:174], v[173:174], v[161:162]
	v_add_f64 v[175:176], v[175:176], v[163:164]
	s_waitcnt vmcnt(9) lgkmcnt(0)
	v_mul_f64 v[183:184], v[2:3], v[20:21]
	v_mul_f64 v[20:21], v[4:5], v[20:21]
	ds_load_b128 v[161:164], v1 offset:1088
	v_fma_f64 v[171:172], v[171:172], v[14:15], v[177:178]
	v_fma_f64 v[14:15], v[169:170], v[14:15], -v[16:17]
	v_add_f64 v[16:17], v[173:174], v[181:182]
	v_add_f64 v[169:170], v[175:176], v[179:180]
	s_waitcnt vmcnt(8) lgkmcnt(0)
	v_mul_f64 v[173:174], v[161:162], v[24:25]
	v_mul_f64 v[24:25], v[163:164], v[24:25]
	v_fma_f64 v[175:176], v[4:5], v[18:19], v[183:184]
	v_fma_f64 v[18:19], v[2:3], v[18:19], -v[20:21]
	v_add_f64 v[20:21], v[16:17], v[14:15]
	v_add_f64 v[169:170], v[169:170], v[171:172]
	ds_load_b128 v[2:5], v1 offset:1104
	ds_load_b128 v[14:17], v1 offset:1120
	v_fma_f64 v[163:164], v[163:164], v[22:23], v[173:174]
	v_fma_f64 v[22:23], v[161:162], v[22:23], -v[24:25]
	s_waitcnt vmcnt(7) lgkmcnt(1)
	v_mul_f64 v[171:172], v[2:3], v[28:29]
	v_mul_f64 v[28:29], v[4:5], v[28:29]
	s_waitcnt vmcnt(6) lgkmcnt(0)
	v_mul_f64 v[24:25], v[14:15], v[32:33]
	v_mul_f64 v[32:33], v[16:17], v[32:33]
	v_add_f64 v[18:19], v[20:21], v[18:19]
	v_add_f64 v[20:21], v[169:170], v[175:176]
	v_fma_f64 v[161:162], v[4:5], v[26:27], v[171:172]
	v_fma_f64 v[26:27], v[2:3], v[26:27], -v[28:29]
	v_fma_f64 v[16:17], v[16:17], v[30:31], v[24:25]
	v_fma_f64 v[14:15], v[14:15], v[30:31], -v[32:33]
	v_add_f64 v[22:23], v[18:19], v[22:23]
	v_add_f64 v[28:29], v[20:21], v[163:164]
	ds_load_b128 v[2:5], v1 offset:1136
	ds_load_b128 v[18:21], v1 offset:1152
	s_waitcnt vmcnt(5) lgkmcnt(1)
	v_mul_f64 v[163:164], v[2:3], v[40:41]
	v_mul_f64 v[40:41], v[4:5], v[40:41]
	v_add_f64 v[22:23], v[22:23], v[26:27]
	v_add_f64 v[24:25], v[28:29], v[161:162]
	s_waitcnt vmcnt(3) lgkmcnt(0)
	v_mul_f64 v[26:27], v[18:19], v[167:168]
	v_mul_f64 v[28:29], v[20:21], v[167:168]
	v_fma_f64 v[30:31], v[4:5], v[38:39], v[163:164]
	v_fma_f64 v[32:33], v[2:3], v[38:39], -v[40:41]
	v_add_f64 v[22:23], v[22:23], v[14:15]
	v_add_f64 v[24:25], v[24:25], v[16:17]
	ds_load_b128 v[2:5], v1 offset:1168
	ds_load_b128 v[14:17], v1 offset:1184
	v_fma_f64 v[20:21], v[20:21], v[165:166], v[26:27]
	v_fma_f64 v[18:19], v[18:19], v[165:166], -v[28:29]
	s_waitcnt vmcnt(2) lgkmcnt(1)
	v_mul_f64 v[38:39], v[2:3], v[36:37]
	v_mul_f64 v[36:37], v[4:5], v[36:37]
	v_add_f64 v[22:23], v[22:23], v[32:33]
	v_add_f64 v[24:25], v[24:25], v[30:31]
	s_waitcnt vmcnt(1) lgkmcnt(0)
	v_mul_f64 v[26:27], v[14:15], v[8:9]
	v_mul_f64 v[8:9], v[16:17], v[8:9]
	v_fma_f64 v[28:29], v[4:5], v[34:35], v[38:39]
	v_fma_f64 v[30:31], v[2:3], v[34:35], -v[36:37]
	ds_load_b128 v[2:5], v1 offset:1200
	v_add_f64 v[18:19], v[22:23], v[18:19]
	v_add_f64 v[20:21], v[24:25], v[20:21]
	s_waitcnt vmcnt(0) lgkmcnt(0)
	v_mul_f64 v[22:23], v[2:3], v[12:13]
	v_mul_f64 v[12:13], v[4:5], v[12:13]
	v_fma_f64 v[16:17], v[16:17], v[6:7], v[26:27]
	v_fma_f64 v[6:7], v[14:15], v[6:7], -v[8:9]
	v_add_f64 v[8:9], v[18:19], v[30:31]
	v_add_f64 v[14:15], v[20:21], v[28:29]
	v_fma_f64 v[4:5], v[4:5], v[10:11], v[22:23]
	v_fma_f64 v[2:3], v[2:3], v[10:11], -v[12:13]
	s_delay_alu instid0(VALU_DEP_4) | instskip(NEXT) | instid1(VALU_DEP_4)
	v_add_f64 v[6:7], v[8:9], v[6:7]
	v_add_f64 v[8:9], v[14:15], v[16:17]
	s_delay_alu instid0(VALU_DEP_2) | instskip(NEXT) | instid1(VALU_DEP_2)
	v_add_f64 v[2:3], v[6:7], v[2:3]
	v_add_f64 v[4:5], v[8:9], v[4:5]
	s_delay_alu instid0(VALU_DEP_2) | instskip(NEXT) | instid1(VALU_DEP_2)
	v_add_f64 v[2:3], v[42:43], -v[2:3]
	v_add_f64 v[4:5], v[44:45], -v[4:5]
	scratch_store_b128 off, v[2:5], off offset:384
	v_cmpx_lt_u32_e32 23, v122
	s_cbranch_execz .LBB101_195
; %bb.194:
	scratch_load_b128 v[5:8], v136, off
	v_mov_b32_e32 v2, v1
	v_mov_b32_e32 v3, v1
	v_mov_b32_e32 v4, v1
	scratch_store_b128 off, v[1:4], off offset:368
	s_waitcnt vmcnt(0)
	ds_store_b128 v160, v[5:8]
.LBB101_195:
	s_or_b32 exec_lo, exec_lo, s2
	s_waitcnt lgkmcnt(0)
	s_waitcnt_vscnt null, 0x0
	s_barrier
	buffer_gl0_inv
	s_clause 0x8
	scratch_load_b128 v[2:5], off, off offset:384
	scratch_load_b128 v[6:9], off, off offset:400
	;; [unrolled: 1-line block ×9, first 2 shown]
	ds_load_b128 v[38:41], v1 offset:992
	ds_load_b128 v[42:45], v1 offset:1008
	s_clause 0x1
	scratch_load_b128 v[161:164], off, off offset:368
	scratch_load_b128 v[165:168], off, off offset:528
	s_mov_b32 s2, exec_lo
	s_waitcnt vmcnt(10) lgkmcnt(1)
	v_mul_f64 v[169:170], v[40:41], v[4:5]
	v_mul_f64 v[4:5], v[38:39], v[4:5]
	s_waitcnt vmcnt(9) lgkmcnt(0)
	v_mul_f64 v[173:174], v[42:43], v[8:9]
	v_mul_f64 v[8:9], v[44:45], v[8:9]
	s_delay_alu instid0(VALU_DEP_4) | instskip(NEXT) | instid1(VALU_DEP_4)
	v_fma_f64 v[175:176], v[38:39], v[2:3], -v[169:170]
	v_fma_f64 v[177:178], v[40:41], v[2:3], v[4:5]
	ds_load_b128 v[2:5], v1 offset:1024
	ds_load_b128 v[169:172], v1 offset:1040
	scratch_load_b128 v[38:41], off, off offset:544
	v_fma_f64 v[44:45], v[44:45], v[6:7], v[173:174]
	v_fma_f64 v[42:43], v[42:43], v[6:7], -v[8:9]
	scratch_load_b128 v[6:9], off, off offset:560
	s_waitcnt vmcnt(10) lgkmcnt(1)
	v_mul_f64 v[179:180], v[2:3], v[12:13]
	v_mul_f64 v[12:13], v[4:5], v[12:13]
	v_add_f64 v[173:174], v[175:176], 0
	v_add_f64 v[175:176], v[177:178], 0
	s_waitcnt vmcnt(9) lgkmcnt(0)
	v_mul_f64 v[177:178], v[169:170], v[16:17]
	v_mul_f64 v[16:17], v[171:172], v[16:17]
	v_fma_f64 v[179:180], v[4:5], v[10:11], v[179:180]
	v_fma_f64 v[181:182], v[2:3], v[10:11], -v[12:13]
	ds_load_b128 v[2:5], v1 offset:1056
	scratch_load_b128 v[10:13], off, off offset:576
	v_add_f64 v[173:174], v[173:174], v[42:43]
	v_add_f64 v[175:176], v[175:176], v[44:45]
	ds_load_b128 v[42:45], v1 offset:1072
	v_fma_f64 v[171:172], v[171:172], v[14:15], v[177:178]
	v_fma_f64 v[169:170], v[169:170], v[14:15], -v[16:17]
	scratch_load_b128 v[14:17], off, off offset:592
	s_waitcnt vmcnt(10) lgkmcnt(1)
	v_mul_f64 v[183:184], v[2:3], v[20:21]
	v_mul_f64 v[20:21], v[4:5], v[20:21]
	s_waitcnt vmcnt(9) lgkmcnt(0)
	v_mul_f64 v[177:178], v[42:43], v[24:25]
	v_mul_f64 v[24:25], v[44:45], v[24:25]
	v_add_f64 v[173:174], v[173:174], v[181:182]
	v_add_f64 v[175:176], v[175:176], v[179:180]
	v_fma_f64 v[179:180], v[4:5], v[18:19], v[183:184]
	v_fma_f64 v[181:182], v[2:3], v[18:19], -v[20:21]
	ds_load_b128 v[2:5], v1 offset:1088
	ds_load_b128 v[18:21], v1 offset:1104
	v_fma_f64 v[44:45], v[44:45], v[22:23], v[177:178]
	v_fma_f64 v[22:23], v[42:43], v[22:23], -v[24:25]
	v_add_f64 v[169:170], v[173:174], v[169:170]
	v_add_f64 v[171:172], v[175:176], v[171:172]
	s_waitcnt vmcnt(8) lgkmcnt(1)
	v_mul_f64 v[173:174], v[2:3], v[28:29]
	v_mul_f64 v[28:29], v[4:5], v[28:29]
	s_delay_alu instid0(VALU_DEP_4) | instskip(NEXT) | instid1(VALU_DEP_4)
	v_add_f64 v[24:25], v[169:170], v[181:182]
	v_add_f64 v[42:43], v[171:172], v[179:180]
	s_waitcnt vmcnt(7) lgkmcnt(0)
	v_mul_f64 v[169:170], v[18:19], v[32:33]
	v_mul_f64 v[32:33], v[20:21], v[32:33]
	v_fma_f64 v[171:172], v[4:5], v[26:27], v[173:174]
	v_fma_f64 v[26:27], v[2:3], v[26:27], -v[28:29]
	v_add_f64 v[28:29], v[24:25], v[22:23]
	v_add_f64 v[42:43], v[42:43], v[44:45]
	ds_load_b128 v[2:5], v1 offset:1120
	ds_load_b128 v[22:25], v1 offset:1136
	v_fma_f64 v[20:21], v[20:21], v[30:31], v[169:170]
	v_fma_f64 v[18:19], v[18:19], v[30:31], -v[32:33]
	s_waitcnt vmcnt(6) lgkmcnt(1)
	v_mul_f64 v[44:45], v[2:3], v[36:37]
	v_mul_f64 v[36:37], v[4:5], v[36:37]
	s_waitcnt vmcnt(4) lgkmcnt(0)
	v_mul_f64 v[30:31], v[22:23], v[167:168]
	v_mul_f64 v[32:33], v[24:25], v[167:168]
	v_add_f64 v[26:27], v[28:29], v[26:27]
	v_add_f64 v[28:29], v[42:43], v[171:172]
	v_fma_f64 v[42:43], v[4:5], v[34:35], v[44:45]
	v_fma_f64 v[34:35], v[2:3], v[34:35], -v[36:37]
	v_fma_f64 v[24:25], v[24:25], v[165:166], v[30:31]
	v_fma_f64 v[22:23], v[22:23], v[165:166], -v[32:33]
	v_add_f64 v[26:27], v[26:27], v[18:19]
	v_add_f64 v[28:29], v[28:29], v[20:21]
	ds_load_b128 v[2:5], v1 offset:1152
	ds_load_b128 v[18:21], v1 offset:1168
	s_waitcnt vmcnt(3) lgkmcnt(1)
	v_mul_f64 v[36:37], v[2:3], v[40:41]
	v_mul_f64 v[40:41], v[4:5], v[40:41]
	s_waitcnt vmcnt(2) lgkmcnt(0)
	v_mul_f64 v[30:31], v[18:19], v[8:9]
	v_mul_f64 v[8:9], v[20:21], v[8:9]
	v_add_f64 v[26:27], v[26:27], v[34:35]
	v_add_f64 v[28:29], v[28:29], v[42:43]
	v_fma_f64 v[32:33], v[4:5], v[38:39], v[36:37]
	v_fma_f64 v[34:35], v[2:3], v[38:39], -v[40:41]
	v_fma_f64 v[20:21], v[20:21], v[6:7], v[30:31]
	v_fma_f64 v[6:7], v[18:19], v[6:7], -v[8:9]
	v_add_f64 v[26:27], v[26:27], v[22:23]
	v_add_f64 v[28:29], v[28:29], v[24:25]
	ds_load_b128 v[2:5], v1 offset:1184
	ds_load_b128 v[22:25], v1 offset:1200
	s_waitcnt vmcnt(1) lgkmcnt(1)
	v_mul_f64 v[36:37], v[2:3], v[12:13]
	v_mul_f64 v[12:13], v[4:5], v[12:13]
	v_add_f64 v[8:9], v[26:27], v[34:35]
	v_add_f64 v[18:19], v[28:29], v[32:33]
	s_waitcnt vmcnt(0) lgkmcnt(0)
	v_mul_f64 v[26:27], v[22:23], v[16:17]
	v_mul_f64 v[16:17], v[24:25], v[16:17]
	v_fma_f64 v[4:5], v[4:5], v[10:11], v[36:37]
	v_fma_f64 v[1:2], v[2:3], v[10:11], -v[12:13]
	v_add_f64 v[6:7], v[8:9], v[6:7]
	v_add_f64 v[8:9], v[18:19], v[20:21]
	v_fma_f64 v[10:11], v[24:25], v[14:15], v[26:27]
	v_fma_f64 v[12:13], v[22:23], v[14:15], -v[16:17]
	s_delay_alu instid0(VALU_DEP_4) | instskip(NEXT) | instid1(VALU_DEP_4)
	v_add_f64 v[1:2], v[6:7], v[1:2]
	v_add_f64 v[3:4], v[8:9], v[4:5]
	s_delay_alu instid0(VALU_DEP_2) | instskip(NEXT) | instid1(VALU_DEP_2)
	v_add_f64 v[1:2], v[1:2], v[12:13]
	v_add_f64 v[3:4], v[3:4], v[10:11]
	s_delay_alu instid0(VALU_DEP_2) | instskip(NEXT) | instid1(VALU_DEP_2)
	v_add_f64 v[1:2], v[161:162], -v[1:2]
	v_add_f64 v[3:4], v[163:164], -v[3:4]
	scratch_store_b128 off, v[1:4], off offset:368
	v_cmpx_lt_u32_e32 22, v122
	s_cbranch_execz .LBB101_197
; %bb.196:
	scratch_load_b128 v[1:4], v137, off
	v_mov_b32_e32 v5, 0
	s_delay_alu instid0(VALU_DEP_1)
	v_mov_b32_e32 v6, v5
	v_mov_b32_e32 v7, v5
	;; [unrolled: 1-line block ×3, first 2 shown]
	scratch_store_b128 off, v[5:8], off offset:352
	s_waitcnt vmcnt(0)
	ds_store_b128 v160, v[1:4]
.LBB101_197:
	s_or_b32 exec_lo, exec_lo, s2
	s_waitcnt lgkmcnt(0)
	s_waitcnt_vscnt null, 0x0
	s_barrier
	buffer_gl0_inv
	s_clause 0x7
	scratch_load_b128 v[2:5], off, off offset:368
	scratch_load_b128 v[6:9], off, off offset:384
	;; [unrolled: 1-line block ×8, first 2 shown]
	v_mov_b32_e32 v1, 0
	s_mov_b32 s2, exec_lo
	ds_load_b128 v[34:37], v1 offset:976
	s_clause 0x1
	scratch_load_b128 v[38:41], off, off offset:496
	scratch_load_b128 v[42:45], off, off offset:352
	ds_load_b128 v[161:164], v1 offset:992
	scratch_load_b128 v[165:168], off, off offset:512
	s_waitcnt vmcnt(10) lgkmcnt(1)
	v_mul_f64 v[169:170], v[36:37], v[4:5]
	v_mul_f64 v[4:5], v[34:35], v[4:5]
	s_delay_alu instid0(VALU_DEP_2) | instskip(NEXT) | instid1(VALU_DEP_2)
	v_fma_f64 v[175:176], v[34:35], v[2:3], -v[169:170]
	v_fma_f64 v[177:178], v[36:37], v[2:3], v[4:5]
	scratch_load_b128 v[34:37], off, off offset:528
	ds_load_b128 v[2:5], v1 offset:1008
	s_waitcnt vmcnt(10) lgkmcnt(1)
	v_mul_f64 v[173:174], v[161:162], v[8:9]
	v_mul_f64 v[8:9], v[163:164], v[8:9]
	ds_load_b128 v[169:172], v1 offset:1024
	s_waitcnt vmcnt(9) lgkmcnt(1)
	v_mul_f64 v[179:180], v[2:3], v[12:13]
	v_mul_f64 v[12:13], v[4:5], v[12:13]
	v_fma_f64 v[163:164], v[163:164], v[6:7], v[173:174]
	v_fma_f64 v[161:162], v[161:162], v[6:7], -v[8:9]
	v_add_f64 v[173:174], v[175:176], 0
	v_add_f64 v[175:176], v[177:178], 0
	scratch_load_b128 v[6:9], off, off offset:544
	v_fma_f64 v[179:180], v[4:5], v[10:11], v[179:180]
	v_fma_f64 v[181:182], v[2:3], v[10:11], -v[12:13]
	scratch_load_b128 v[10:13], off, off offset:560
	ds_load_b128 v[2:5], v1 offset:1040
	s_waitcnt vmcnt(10) lgkmcnt(1)
	v_mul_f64 v[177:178], v[169:170], v[16:17]
	v_mul_f64 v[16:17], v[171:172], v[16:17]
	v_add_f64 v[173:174], v[173:174], v[161:162]
	v_add_f64 v[175:176], v[175:176], v[163:164]
	s_waitcnt vmcnt(9) lgkmcnt(0)
	v_mul_f64 v[183:184], v[2:3], v[20:21]
	v_mul_f64 v[20:21], v[4:5], v[20:21]
	ds_load_b128 v[161:164], v1 offset:1056
	v_fma_f64 v[171:172], v[171:172], v[14:15], v[177:178]
	v_fma_f64 v[169:170], v[169:170], v[14:15], -v[16:17]
	scratch_load_b128 v[14:17], off, off offset:576
	v_add_f64 v[173:174], v[173:174], v[181:182]
	v_add_f64 v[175:176], v[175:176], v[179:180]
	v_fma_f64 v[179:180], v[4:5], v[18:19], v[183:184]
	v_fma_f64 v[181:182], v[2:3], v[18:19], -v[20:21]
	scratch_load_b128 v[18:21], off, off offset:592
	ds_load_b128 v[2:5], v1 offset:1072
	s_waitcnt vmcnt(10) lgkmcnt(1)
	v_mul_f64 v[177:178], v[161:162], v[24:25]
	v_mul_f64 v[24:25], v[163:164], v[24:25]
	s_waitcnt vmcnt(9) lgkmcnt(0)
	v_mul_f64 v[183:184], v[2:3], v[28:29]
	v_mul_f64 v[28:29], v[4:5], v[28:29]
	v_add_f64 v[173:174], v[173:174], v[169:170]
	v_add_f64 v[175:176], v[175:176], v[171:172]
	ds_load_b128 v[169:172], v1 offset:1088
	v_fma_f64 v[163:164], v[163:164], v[22:23], v[177:178]
	v_fma_f64 v[22:23], v[161:162], v[22:23], -v[24:25]
	v_add_f64 v[24:25], v[173:174], v[181:182]
	v_add_f64 v[161:162], v[175:176], v[179:180]
	s_waitcnt vmcnt(8) lgkmcnt(0)
	v_mul_f64 v[173:174], v[169:170], v[32:33]
	v_mul_f64 v[32:33], v[171:172], v[32:33]
	v_fma_f64 v[175:176], v[4:5], v[26:27], v[183:184]
	v_fma_f64 v[26:27], v[2:3], v[26:27], -v[28:29]
	v_add_f64 v[28:29], v[24:25], v[22:23]
	v_add_f64 v[161:162], v[161:162], v[163:164]
	ds_load_b128 v[2:5], v1 offset:1104
	ds_load_b128 v[22:25], v1 offset:1120
	v_fma_f64 v[171:172], v[171:172], v[30:31], v[173:174]
	v_fma_f64 v[30:31], v[169:170], v[30:31], -v[32:33]
	s_waitcnt vmcnt(7) lgkmcnt(1)
	v_mul_f64 v[163:164], v[2:3], v[40:41]
	v_mul_f64 v[40:41], v[4:5], v[40:41]
	s_waitcnt vmcnt(5) lgkmcnt(0)
	v_mul_f64 v[32:33], v[22:23], v[167:168]
	v_add_f64 v[26:27], v[28:29], v[26:27]
	v_add_f64 v[28:29], v[161:162], v[175:176]
	v_mul_f64 v[161:162], v[24:25], v[167:168]
	v_fma_f64 v[163:164], v[4:5], v[38:39], v[163:164]
	v_fma_f64 v[38:39], v[2:3], v[38:39], -v[40:41]
	v_fma_f64 v[24:25], v[24:25], v[165:166], v[32:33]
	v_add_f64 v[30:31], v[26:27], v[30:31]
	v_add_f64 v[40:41], v[28:29], v[171:172]
	ds_load_b128 v[2:5], v1 offset:1136
	ds_load_b128 v[26:29], v1 offset:1152
	v_fma_f64 v[22:23], v[22:23], v[165:166], -v[161:162]
	s_waitcnt vmcnt(4) lgkmcnt(1)
	v_mul_f64 v[167:168], v[2:3], v[36:37]
	v_mul_f64 v[36:37], v[4:5], v[36:37]
	v_add_f64 v[30:31], v[30:31], v[38:39]
	v_add_f64 v[32:33], v[40:41], v[163:164]
	s_waitcnt vmcnt(3) lgkmcnt(0)
	v_mul_f64 v[38:39], v[26:27], v[8:9]
	v_mul_f64 v[8:9], v[28:29], v[8:9]
	v_fma_f64 v[40:41], v[4:5], v[34:35], v[167:168]
	v_fma_f64 v[34:35], v[2:3], v[34:35], -v[36:37]
	v_add_f64 v[30:31], v[30:31], v[22:23]
	v_add_f64 v[32:33], v[32:33], v[24:25]
	ds_load_b128 v[2:5], v1 offset:1168
	ds_load_b128 v[22:25], v1 offset:1184
	v_fma_f64 v[28:29], v[28:29], v[6:7], v[38:39]
	v_fma_f64 v[6:7], v[26:27], v[6:7], -v[8:9]
	s_waitcnt vmcnt(2) lgkmcnt(1)
	v_mul_f64 v[36:37], v[2:3], v[12:13]
	v_mul_f64 v[12:13], v[4:5], v[12:13]
	v_add_f64 v[8:9], v[30:31], v[34:35]
	v_add_f64 v[26:27], v[32:33], v[40:41]
	s_waitcnt vmcnt(1) lgkmcnt(0)
	v_mul_f64 v[30:31], v[22:23], v[16:17]
	v_mul_f64 v[16:17], v[24:25], v[16:17]
	v_fma_f64 v[32:33], v[4:5], v[10:11], v[36:37]
	v_fma_f64 v[10:11], v[2:3], v[10:11], -v[12:13]
	ds_load_b128 v[2:5], v1 offset:1200
	v_add_f64 v[6:7], v[8:9], v[6:7]
	v_add_f64 v[8:9], v[26:27], v[28:29]
	v_fma_f64 v[24:25], v[24:25], v[14:15], v[30:31]
	v_fma_f64 v[14:15], v[22:23], v[14:15], -v[16:17]
	s_waitcnt vmcnt(0) lgkmcnt(0)
	v_mul_f64 v[12:13], v[2:3], v[20:21]
	v_mul_f64 v[20:21], v[4:5], v[20:21]
	v_add_f64 v[6:7], v[6:7], v[10:11]
	v_add_f64 v[8:9], v[8:9], v[32:33]
	s_delay_alu instid0(VALU_DEP_4) | instskip(NEXT) | instid1(VALU_DEP_4)
	v_fma_f64 v[4:5], v[4:5], v[18:19], v[12:13]
	v_fma_f64 v[2:3], v[2:3], v[18:19], -v[20:21]
	s_delay_alu instid0(VALU_DEP_4) | instskip(NEXT) | instid1(VALU_DEP_4)
	v_add_f64 v[6:7], v[6:7], v[14:15]
	v_add_f64 v[8:9], v[8:9], v[24:25]
	s_delay_alu instid0(VALU_DEP_2) | instskip(NEXT) | instid1(VALU_DEP_2)
	v_add_f64 v[2:3], v[6:7], v[2:3]
	v_add_f64 v[4:5], v[8:9], v[4:5]
	s_delay_alu instid0(VALU_DEP_2) | instskip(NEXT) | instid1(VALU_DEP_2)
	v_add_f64 v[2:3], v[42:43], -v[2:3]
	v_add_f64 v[4:5], v[44:45], -v[4:5]
	scratch_store_b128 off, v[2:5], off offset:352
	v_cmpx_lt_u32_e32 21, v122
	s_cbranch_execz .LBB101_199
; %bb.198:
	scratch_load_b128 v[5:8], v139, off
	v_mov_b32_e32 v2, v1
	v_mov_b32_e32 v3, v1
	;; [unrolled: 1-line block ×3, first 2 shown]
	scratch_store_b128 off, v[1:4], off offset:336
	s_waitcnt vmcnt(0)
	ds_store_b128 v160, v[5:8]
.LBB101_199:
	s_or_b32 exec_lo, exec_lo, s2
	s_waitcnt lgkmcnt(0)
	s_waitcnt_vscnt null, 0x0
	s_barrier
	buffer_gl0_inv
	s_clause 0x8
	scratch_load_b128 v[2:5], off, off offset:352
	scratch_load_b128 v[6:9], off, off offset:368
	;; [unrolled: 1-line block ×9, first 2 shown]
	ds_load_b128 v[38:41], v1 offset:960
	ds_load_b128 v[42:45], v1 offset:976
	s_clause 0x1
	scratch_load_b128 v[161:164], off, off offset:336
	scratch_load_b128 v[165:168], off, off offset:496
	s_mov_b32 s2, exec_lo
	s_waitcnt vmcnt(10) lgkmcnt(1)
	v_mul_f64 v[169:170], v[40:41], v[4:5]
	v_mul_f64 v[4:5], v[38:39], v[4:5]
	s_waitcnt vmcnt(9) lgkmcnt(0)
	v_mul_f64 v[173:174], v[42:43], v[8:9]
	v_mul_f64 v[8:9], v[44:45], v[8:9]
	s_delay_alu instid0(VALU_DEP_4) | instskip(NEXT) | instid1(VALU_DEP_4)
	v_fma_f64 v[175:176], v[38:39], v[2:3], -v[169:170]
	v_fma_f64 v[177:178], v[40:41], v[2:3], v[4:5]
	ds_load_b128 v[2:5], v1 offset:992
	ds_load_b128 v[169:172], v1 offset:1008
	scratch_load_b128 v[38:41], off, off offset:512
	v_fma_f64 v[44:45], v[44:45], v[6:7], v[173:174]
	v_fma_f64 v[42:43], v[42:43], v[6:7], -v[8:9]
	scratch_load_b128 v[6:9], off, off offset:528
	s_waitcnt vmcnt(10) lgkmcnt(1)
	v_mul_f64 v[179:180], v[2:3], v[12:13]
	v_mul_f64 v[12:13], v[4:5], v[12:13]
	v_add_f64 v[173:174], v[175:176], 0
	v_add_f64 v[175:176], v[177:178], 0
	s_waitcnt vmcnt(9) lgkmcnt(0)
	v_mul_f64 v[177:178], v[169:170], v[16:17]
	v_mul_f64 v[16:17], v[171:172], v[16:17]
	v_fma_f64 v[179:180], v[4:5], v[10:11], v[179:180]
	v_fma_f64 v[181:182], v[2:3], v[10:11], -v[12:13]
	ds_load_b128 v[2:5], v1 offset:1024
	scratch_load_b128 v[10:13], off, off offset:544
	v_add_f64 v[173:174], v[173:174], v[42:43]
	v_add_f64 v[175:176], v[175:176], v[44:45]
	ds_load_b128 v[42:45], v1 offset:1040
	v_fma_f64 v[171:172], v[171:172], v[14:15], v[177:178]
	v_fma_f64 v[169:170], v[169:170], v[14:15], -v[16:17]
	scratch_load_b128 v[14:17], off, off offset:560
	s_waitcnt vmcnt(10) lgkmcnt(1)
	v_mul_f64 v[183:184], v[2:3], v[20:21]
	v_mul_f64 v[20:21], v[4:5], v[20:21]
	s_waitcnt vmcnt(9) lgkmcnt(0)
	v_mul_f64 v[177:178], v[42:43], v[24:25]
	v_mul_f64 v[24:25], v[44:45], v[24:25]
	v_add_f64 v[173:174], v[173:174], v[181:182]
	v_add_f64 v[175:176], v[175:176], v[179:180]
	v_fma_f64 v[179:180], v[4:5], v[18:19], v[183:184]
	v_fma_f64 v[181:182], v[2:3], v[18:19], -v[20:21]
	ds_load_b128 v[2:5], v1 offset:1056
	scratch_load_b128 v[18:21], off, off offset:576
	v_fma_f64 v[44:45], v[44:45], v[22:23], v[177:178]
	v_fma_f64 v[42:43], v[42:43], v[22:23], -v[24:25]
	scratch_load_b128 v[22:25], off, off offset:592
	v_add_f64 v[173:174], v[173:174], v[169:170]
	v_add_f64 v[175:176], v[175:176], v[171:172]
	ds_load_b128 v[169:172], v1 offset:1072
	s_waitcnt vmcnt(10) lgkmcnt(1)
	v_mul_f64 v[183:184], v[2:3], v[28:29]
	v_mul_f64 v[28:29], v[4:5], v[28:29]
	s_waitcnt vmcnt(9) lgkmcnt(0)
	v_mul_f64 v[177:178], v[169:170], v[32:33]
	v_mul_f64 v[32:33], v[171:172], v[32:33]
	v_add_f64 v[173:174], v[173:174], v[181:182]
	v_add_f64 v[175:176], v[175:176], v[179:180]
	v_fma_f64 v[179:180], v[4:5], v[26:27], v[183:184]
	v_fma_f64 v[181:182], v[2:3], v[26:27], -v[28:29]
	ds_load_b128 v[2:5], v1 offset:1088
	ds_load_b128 v[26:29], v1 offset:1104
	v_fma_f64 v[171:172], v[171:172], v[30:31], v[177:178]
	v_fma_f64 v[30:31], v[169:170], v[30:31], -v[32:33]
	v_add_f64 v[42:43], v[173:174], v[42:43]
	v_add_f64 v[44:45], v[175:176], v[44:45]
	s_waitcnt vmcnt(8) lgkmcnt(1)
	v_mul_f64 v[173:174], v[2:3], v[36:37]
	v_mul_f64 v[36:37], v[4:5], v[36:37]
	s_delay_alu instid0(VALU_DEP_4) | instskip(NEXT) | instid1(VALU_DEP_4)
	v_add_f64 v[32:33], v[42:43], v[181:182]
	v_add_f64 v[42:43], v[44:45], v[179:180]
	s_waitcnt vmcnt(6) lgkmcnt(0)
	v_mul_f64 v[44:45], v[26:27], v[167:168]
	v_mul_f64 v[167:168], v[28:29], v[167:168]
	v_fma_f64 v[169:170], v[4:5], v[34:35], v[173:174]
	v_fma_f64 v[34:35], v[2:3], v[34:35], -v[36:37]
	v_add_f64 v[36:37], v[32:33], v[30:31]
	v_add_f64 v[42:43], v[42:43], v[171:172]
	ds_load_b128 v[2:5], v1 offset:1120
	ds_load_b128 v[30:33], v1 offset:1136
	v_fma_f64 v[28:29], v[28:29], v[165:166], v[44:45]
	v_fma_f64 v[26:27], v[26:27], v[165:166], -v[167:168]
	s_waitcnt vmcnt(5) lgkmcnt(1)
	v_mul_f64 v[171:172], v[2:3], v[40:41]
	v_mul_f64 v[40:41], v[4:5], v[40:41]
	v_add_f64 v[34:35], v[36:37], v[34:35]
	v_add_f64 v[36:37], v[42:43], v[169:170]
	s_waitcnt vmcnt(4) lgkmcnt(0)
	v_mul_f64 v[42:43], v[30:31], v[8:9]
	v_mul_f64 v[8:9], v[32:33], v[8:9]
	v_fma_f64 v[44:45], v[4:5], v[38:39], v[171:172]
	v_fma_f64 v[38:39], v[2:3], v[38:39], -v[40:41]
	v_add_f64 v[34:35], v[34:35], v[26:27]
	v_add_f64 v[36:37], v[36:37], v[28:29]
	ds_load_b128 v[2:5], v1 offset:1152
	ds_load_b128 v[26:29], v1 offset:1168
	v_fma_f64 v[32:33], v[32:33], v[6:7], v[42:43]
	v_fma_f64 v[6:7], v[30:31], v[6:7], -v[8:9]
	s_waitcnt vmcnt(3) lgkmcnt(1)
	v_mul_f64 v[40:41], v[2:3], v[12:13]
	v_mul_f64 v[12:13], v[4:5], v[12:13]
	;; [unrolled: 16-line block ×3, first 2 shown]
	s_waitcnt vmcnt(0) lgkmcnt(0)
	v_mul_f64 v[16:17], v[6:7], v[24:25]
	v_mul_f64 v[24:25], v[8:9], v[24:25]
	v_add_f64 v[10:11], v[12:13], v[10:11]
	v_add_f64 v[12:13], v[30:31], v[36:37]
	v_fma_f64 v[4:5], v[4:5], v[18:19], v[32:33]
	v_fma_f64 v[1:2], v[2:3], v[18:19], -v[20:21]
	v_fma_f64 v[8:9], v[8:9], v[22:23], v[16:17]
	v_fma_f64 v[6:7], v[6:7], v[22:23], -v[24:25]
	v_add_f64 v[10:11], v[10:11], v[14:15]
	v_add_f64 v[12:13], v[12:13], v[28:29]
	s_delay_alu instid0(VALU_DEP_2) | instskip(NEXT) | instid1(VALU_DEP_2)
	v_add_f64 v[1:2], v[10:11], v[1:2]
	v_add_f64 v[3:4], v[12:13], v[4:5]
	s_delay_alu instid0(VALU_DEP_2) | instskip(NEXT) | instid1(VALU_DEP_2)
	v_add_f64 v[1:2], v[1:2], v[6:7]
	v_add_f64 v[3:4], v[3:4], v[8:9]
	s_delay_alu instid0(VALU_DEP_2) | instskip(NEXT) | instid1(VALU_DEP_2)
	v_add_f64 v[1:2], v[161:162], -v[1:2]
	v_add_f64 v[3:4], v[163:164], -v[3:4]
	scratch_store_b128 off, v[1:4], off offset:336
	v_cmpx_lt_u32_e32 20, v122
	s_cbranch_execz .LBB101_201
; %bb.200:
	scratch_load_b128 v[1:4], v141, off
	v_mov_b32_e32 v5, 0
	s_delay_alu instid0(VALU_DEP_1)
	v_mov_b32_e32 v6, v5
	v_mov_b32_e32 v7, v5
	;; [unrolled: 1-line block ×3, first 2 shown]
	scratch_store_b128 off, v[5:8], off offset:320
	s_waitcnt vmcnt(0)
	ds_store_b128 v160, v[1:4]
.LBB101_201:
	s_or_b32 exec_lo, exec_lo, s2
	s_waitcnt lgkmcnt(0)
	s_waitcnt_vscnt null, 0x0
	s_barrier
	buffer_gl0_inv
	s_clause 0x7
	scratch_load_b128 v[2:5], off, off offset:336
	scratch_load_b128 v[6:9], off, off offset:352
	;; [unrolled: 1-line block ×8, first 2 shown]
	v_mov_b32_e32 v1, 0
	s_mov_b32 s2, exec_lo
	ds_load_b128 v[34:37], v1 offset:944
	s_clause 0x1
	scratch_load_b128 v[38:41], off, off offset:464
	scratch_load_b128 v[42:45], off, off offset:320
	ds_load_b128 v[161:164], v1 offset:960
	scratch_load_b128 v[165:168], off, off offset:480
	s_waitcnt vmcnt(10) lgkmcnt(1)
	v_mul_f64 v[169:170], v[36:37], v[4:5]
	v_mul_f64 v[4:5], v[34:35], v[4:5]
	s_delay_alu instid0(VALU_DEP_2) | instskip(NEXT) | instid1(VALU_DEP_2)
	v_fma_f64 v[175:176], v[34:35], v[2:3], -v[169:170]
	v_fma_f64 v[177:178], v[36:37], v[2:3], v[4:5]
	scratch_load_b128 v[34:37], off, off offset:496
	ds_load_b128 v[2:5], v1 offset:976
	s_waitcnt vmcnt(10) lgkmcnt(1)
	v_mul_f64 v[173:174], v[161:162], v[8:9]
	v_mul_f64 v[8:9], v[163:164], v[8:9]
	ds_load_b128 v[169:172], v1 offset:992
	s_waitcnt vmcnt(9) lgkmcnt(1)
	v_mul_f64 v[179:180], v[2:3], v[12:13]
	v_mul_f64 v[12:13], v[4:5], v[12:13]
	v_fma_f64 v[163:164], v[163:164], v[6:7], v[173:174]
	v_fma_f64 v[161:162], v[161:162], v[6:7], -v[8:9]
	v_add_f64 v[173:174], v[175:176], 0
	v_add_f64 v[175:176], v[177:178], 0
	scratch_load_b128 v[6:9], off, off offset:512
	v_fma_f64 v[179:180], v[4:5], v[10:11], v[179:180]
	v_fma_f64 v[181:182], v[2:3], v[10:11], -v[12:13]
	scratch_load_b128 v[10:13], off, off offset:528
	ds_load_b128 v[2:5], v1 offset:1008
	s_waitcnt vmcnt(10) lgkmcnt(1)
	v_mul_f64 v[177:178], v[169:170], v[16:17]
	v_mul_f64 v[16:17], v[171:172], v[16:17]
	v_add_f64 v[173:174], v[173:174], v[161:162]
	v_add_f64 v[175:176], v[175:176], v[163:164]
	s_waitcnt vmcnt(9) lgkmcnt(0)
	v_mul_f64 v[183:184], v[2:3], v[20:21]
	v_mul_f64 v[20:21], v[4:5], v[20:21]
	ds_load_b128 v[161:164], v1 offset:1024
	v_fma_f64 v[171:172], v[171:172], v[14:15], v[177:178]
	v_fma_f64 v[169:170], v[169:170], v[14:15], -v[16:17]
	scratch_load_b128 v[14:17], off, off offset:544
	v_add_f64 v[173:174], v[173:174], v[181:182]
	v_add_f64 v[175:176], v[175:176], v[179:180]
	v_fma_f64 v[179:180], v[4:5], v[18:19], v[183:184]
	v_fma_f64 v[181:182], v[2:3], v[18:19], -v[20:21]
	scratch_load_b128 v[18:21], off, off offset:560
	ds_load_b128 v[2:5], v1 offset:1040
	s_waitcnt vmcnt(10) lgkmcnt(1)
	v_mul_f64 v[177:178], v[161:162], v[24:25]
	v_mul_f64 v[24:25], v[163:164], v[24:25]
	s_waitcnt vmcnt(9) lgkmcnt(0)
	v_mul_f64 v[183:184], v[2:3], v[28:29]
	v_mul_f64 v[28:29], v[4:5], v[28:29]
	v_add_f64 v[173:174], v[173:174], v[169:170]
	v_add_f64 v[175:176], v[175:176], v[171:172]
	ds_load_b128 v[169:172], v1 offset:1056
	v_fma_f64 v[163:164], v[163:164], v[22:23], v[177:178]
	v_fma_f64 v[161:162], v[161:162], v[22:23], -v[24:25]
	scratch_load_b128 v[22:25], off, off offset:576
	v_add_f64 v[173:174], v[173:174], v[181:182]
	v_add_f64 v[175:176], v[175:176], v[179:180]
	v_fma_f64 v[179:180], v[4:5], v[26:27], v[183:184]
	v_fma_f64 v[181:182], v[2:3], v[26:27], -v[28:29]
	scratch_load_b128 v[26:29], off, off offset:592
	ds_load_b128 v[2:5], v1 offset:1072
	s_waitcnt vmcnt(10) lgkmcnt(1)
	v_mul_f64 v[177:178], v[169:170], v[32:33]
	v_mul_f64 v[32:33], v[171:172], v[32:33]
	s_waitcnt vmcnt(9) lgkmcnt(0)
	v_mul_f64 v[183:184], v[2:3], v[40:41]
	v_mul_f64 v[40:41], v[4:5], v[40:41]
	v_add_f64 v[173:174], v[173:174], v[161:162]
	v_add_f64 v[175:176], v[175:176], v[163:164]
	ds_load_b128 v[161:164], v1 offset:1088
	v_fma_f64 v[171:172], v[171:172], v[30:31], v[177:178]
	v_fma_f64 v[30:31], v[169:170], v[30:31], -v[32:33]
	v_add_f64 v[32:33], v[173:174], v[181:182]
	v_add_f64 v[169:170], v[175:176], v[179:180]
	s_waitcnt vmcnt(7) lgkmcnt(0)
	v_mul_f64 v[173:174], v[161:162], v[167:168]
	v_mul_f64 v[167:168], v[163:164], v[167:168]
	v_fma_f64 v[175:176], v[4:5], v[38:39], v[183:184]
	v_fma_f64 v[38:39], v[2:3], v[38:39], -v[40:41]
	v_add_f64 v[40:41], v[32:33], v[30:31]
	v_add_f64 v[169:170], v[169:170], v[171:172]
	ds_load_b128 v[2:5], v1 offset:1104
	ds_load_b128 v[30:33], v1 offset:1120
	v_fma_f64 v[163:164], v[163:164], v[165:166], v[173:174]
	v_fma_f64 v[161:162], v[161:162], v[165:166], -v[167:168]
	s_waitcnt vmcnt(6) lgkmcnt(1)
	v_mul_f64 v[171:172], v[2:3], v[36:37]
	v_mul_f64 v[36:37], v[4:5], v[36:37]
	v_add_f64 v[38:39], v[40:41], v[38:39]
	v_add_f64 v[40:41], v[169:170], v[175:176]
	s_waitcnt vmcnt(5) lgkmcnt(0)
	v_mul_f64 v[165:166], v[30:31], v[8:9]
	v_mul_f64 v[8:9], v[32:33], v[8:9]
	v_fma_f64 v[167:168], v[4:5], v[34:35], v[171:172]
	v_fma_f64 v[169:170], v[2:3], v[34:35], -v[36:37]
	ds_load_b128 v[2:5], v1 offset:1136
	ds_load_b128 v[34:37], v1 offset:1152
	v_add_f64 v[38:39], v[38:39], v[161:162]
	v_add_f64 v[40:41], v[40:41], v[163:164]
	s_waitcnt vmcnt(4) lgkmcnt(1)
	v_mul_f64 v[161:162], v[2:3], v[12:13]
	v_mul_f64 v[12:13], v[4:5], v[12:13]
	v_fma_f64 v[32:33], v[32:33], v[6:7], v[165:166]
	v_fma_f64 v[6:7], v[30:31], v[6:7], -v[8:9]
	v_add_f64 v[8:9], v[38:39], v[169:170]
	v_add_f64 v[30:31], v[40:41], v[167:168]
	s_waitcnt vmcnt(3) lgkmcnt(0)
	v_mul_f64 v[38:39], v[34:35], v[16:17]
	v_mul_f64 v[16:17], v[36:37], v[16:17]
	v_fma_f64 v[40:41], v[4:5], v[10:11], v[161:162]
	v_fma_f64 v[10:11], v[2:3], v[10:11], -v[12:13]
	v_add_f64 v[12:13], v[8:9], v[6:7]
	v_add_f64 v[30:31], v[30:31], v[32:33]
	ds_load_b128 v[2:5], v1 offset:1168
	ds_load_b128 v[6:9], v1 offset:1184
	v_fma_f64 v[36:37], v[36:37], v[14:15], v[38:39]
	v_fma_f64 v[14:15], v[34:35], v[14:15], -v[16:17]
	s_waitcnt vmcnt(2) lgkmcnt(1)
	v_mul_f64 v[32:33], v[2:3], v[20:21]
	v_mul_f64 v[20:21], v[4:5], v[20:21]
	s_waitcnt vmcnt(1) lgkmcnt(0)
	v_mul_f64 v[16:17], v[6:7], v[24:25]
	v_mul_f64 v[24:25], v[8:9], v[24:25]
	v_add_f64 v[10:11], v[12:13], v[10:11]
	v_add_f64 v[12:13], v[30:31], v[40:41]
	v_fma_f64 v[30:31], v[4:5], v[18:19], v[32:33]
	v_fma_f64 v[18:19], v[2:3], v[18:19], -v[20:21]
	ds_load_b128 v[2:5], v1 offset:1200
	v_fma_f64 v[8:9], v[8:9], v[22:23], v[16:17]
	v_fma_f64 v[6:7], v[6:7], v[22:23], -v[24:25]
	v_add_f64 v[10:11], v[10:11], v[14:15]
	v_add_f64 v[12:13], v[12:13], v[36:37]
	s_waitcnt vmcnt(0) lgkmcnt(0)
	v_mul_f64 v[14:15], v[2:3], v[28:29]
	v_mul_f64 v[20:21], v[4:5], v[28:29]
	s_delay_alu instid0(VALU_DEP_4) | instskip(NEXT) | instid1(VALU_DEP_4)
	v_add_f64 v[10:11], v[10:11], v[18:19]
	v_add_f64 v[12:13], v[12:13], v[30:31]
	s_delay_alu instid0(VALU_DEP_4) | instskip(NEXT) | instid1(VALU_DEP_4)
	v_fma_f64 v[4:5], v[4:5], v[26:27], v[14:15]
	v_fma_f64 v[2:3], v[2:3], v[26:27], -v[20:21]
	s_delay_alu instid0(VALU_DEP_4) | instskip(NEXT) | instid1(VALU_DEP_4)
	v_add_f64 v[6:7], v[10:11], v[6:7]
	v_add_f64 v[8:9], v[12:13], v[8:9]
	s_delay_alu instid0(VALU_DEP_2) | instskip(NEXT) | instid1(VALU_DEP_2)
	v_add_f64 v[2:3], v[6:7], v[2:3]
	v_add_f64 v[4:5], v[8:9], v[4:5]
	s_delay_alu instid0(VALU_DEP_2) | instskip(NEXT) | instid1(VALU_DEP_2)
	v_add_f64 v[2:3], v[42:43], -v[2:3]
	v_add_f64 v[4:5], v[44:45], -v[4:5]
	scratch_store_b128 off, v[2:5], off offset:320
	v_cmpx_lt_u32_e32 19, v122
	s_cbranch_execz .LBB101_203
; %bb.202:
	scratch_load_b128 v[5:8], v142, off
	v_mov_b32_e32 v2, v1
	v_mov_b32_e32 v3, v1
	;; [unrolled: 1-line block ×3, first 2 shown]
	scratch_store_b128 off, v[1:4], off offset:304
	s_waitcnt vmcnt(0)
	ds_store_b128 v160, v[5:8]
.LBB101_203:
	s_or_b32 exec_lo, exec_lo, s2
	s_waitcnt lgkmcnt(0)
	s_waitcnt_vscnt null, 0x0
	s_barrier
	buffer_gl0_inv
	s_clause 0x8
	scratch_load_b128 v[2:5], off, off offset:320
	scratch_load_b128 v[6:9], off, off offset:336
	;; [unrolled: 1-line block ×9, first 2 shown]
	ds_load_b128 v[38:41], v1 offset:928
	ds_load_b128 v[42:45], v1 offset:944
	s_clause 0x1
	scratch_load_b128 v[161:164], off, off offset:304
	scratch_load_b128 v[165:168], off, off offset:464
	s_mov_b32 s2, exec_lo
	s_waitcnt vmcnt(10) lgkmcnt(1)
	v_mul_f64 v[169:170], v[40:41], v[4:5]
	v_mul_f64 v[4:5], v[38:39], v[4:5]
	s_waitcnt vmcnt(9) lgkmcnt(0)
	v_mul_f64 v[173:174], v[42:43], v[8:9]
	v_mul_f64 v[8:9], v[44:45], v[8:9]
	s_delay_alu instid0(VALU_DEP_4) | instskip(NEXT) | instid1(VALU_DEP_4)
	v_fma_f64 v[175:176], v[38:39], v[2:3], -v[169:170]
	v_fma_f64 v[177:178], v[40:41], v[2:3], v[4:5]
	ds_load_b128 v[2:5], v1 offset:960
	ds_load_b128 v[169:172], v1 offset:976
	scratch_load_b128 v[38:41], off, off offset:480
	v_fma_f64 v[44:45], v[44:45], v[6:7], v[173:174]
	v_fma_f64 v[42:43], v[42:43], v[6:7], -v[8:9]
	scratch_load_b128 v[6:9], off, off offset:496
	s_waitcnt vmcnt(10) lgkmcnt(1)
	v_mul_f64 v[179:180], v[2:3], v[12:13]
	v_mul_f64 v[12:13], v[4:5], v[12:13]
	v_add_f64 v[173:174], v[175:176], 0
	v_add_f64 v[175:176], v[177:178], 0
	s_waitcnt vmcnt(9) lgkmcnt(0)
	v_mul_f64 v[177:178], v[169:170], v[16:17]
	v_mul_f64 v[16:17], v[171:172], v[16:17]
	v_fma_f64 v[179:180], v[4:5], v[10:11], v[179:180]
	v_fma_f64 v[181:182], v[2:3], v[10:11], -v[12:13]
	ds_load_b128 v[2:5], v1 offset:992
	scratch_load_b128 v[10:13], off, off offset:512
	v_add_f64 v[173:174], v[173:174], v[42:43]
	v_add_f64 v[175:176], v[175:176], v[44:45]
	ds_load_b128 v[42:45], v1 offset:1008
	v_fma_f64 v[171:172], v[171:172], v[14:15], v[177:178]
	v_fma_f64 v[169:170], v[169:170], v[14:15], -v[16:17]
	scratch_load_b128 v[14:17], off, off offset:528
	s_waitcnt vmcnt(10) lgkmcnt(1)
	v_mul_f64 v[183:184], v[2:3], v[20:21]
	v_mul_f64 v[20:21], v[4:5], v[20:21]
	s_waitcnt vmcnt(9) lgkmcnt(0)
	v_mul_f64 v[177:178], v[42:43], v[24:25]
	v_mul_f64 v[24:25], v[44:45], v[24:25]
	v_add_f64 v[173:174], v[173:174], v[181:182]
	v_add_f64 v[175:176], v[175:176], v[179:180]
	v_fma_f64 v[179:180], v[4:5], v[18:19], v[183:184]
	v_fma_f64 v[181:182], v[2:3], v[18:19], -v[20:21]
	ds_load_b128 v[2:5], v1 offset:1024
	scratch_load_b128 v[18:21], off, off offset:544
	v_fma_f64 v[44:45], v[44:45], v[22:23], v[177:178]
	v_fma_f64 v[42:43], v[42:43], v[22:23], -v[24:25]
	scratch_load_b128 v[22:25], off, off offset:560
	v_add_f64 v[173:174], v[173:174], v[169:170]
	v_add_f64 v[175:176], v[175:176], v[171:172]
	ds_load_b128 v[169:172], v1 offset:1040
	s_waitcnt vmcnt(10) lgkmcnt(1)
	v_mul_f64 v[183:184], v[2:3], v[28:29]
	v_mul_f64 v[28:29], v[4:5], v[28:29]
	s_waitcnt vmcnt(9) lgkmcnt(0)
	v_mul_f64 v[177:178], v[169:170], v[32:33]
	v_mul_f64 v[32:33], v[171:172], v[32:33]
	v_add_f64 v[173:174], v[173:174], v[181:182]
	v_add_f64 v[175:176], v[175:176], v[179:180]
	v_fma_f64 v[179:180], v[4:5], v[26:27], v[183:184]
	v_fma_f64 v[181:182], v[2:3], v[26:27], -v[28:29]
	ds_load_b128 v[2:5], v1 offset:1056
	scratch_load_b128 v[26:29], off, off offset:576
	v_fma_f64 v[171:172], v[171:172], v[30:31], v[177:178]
	v_fma_f64 v[169:170], v[169:170], v[30:31], -v[32:33]
	scratch_load_b128 v[30:33], off, off offset:592
	v_add_f64 v[173:174], v[173:174], v[42:43]
	v_add_f64 v[175:176], v[175:176], v[44:45]
	ds_load_b128 v[42:45], v1 offset:1072
	s_waitcnt vmcnt(10) lgkmcnt(1)
	v_mul_f64 v[183:184], v[2:3], v[36:37]
	v_mul_f64 v[36:37], v[4:5], v[36:37]
	s_waitcnt vmcnt(8) lgkmcnt(0)
	v_mul_f64 v[177:178], v[42:43], v[167:168]
	v_mul_f64 v[167:168], v[44:45], v[167:168]
	v_add_f64 v[173:174], v[173:174], v[181:182]
	v_add_f64 v[175:176], v[175:176], v[179:180]
	v_fma_f64 v[179:180], v[4:5], v[34:35], v[183:184]
	v_fma_f64 v[181:182], v[2:3], v[34:35], -v[36:37]
	ds_load_b128 v[2:5], v1 offset:1088
	ds_load_b128 v[34:37], v1 offset:1104
	v_fma_f64 v[44:45], v[44:45], v[165:166], v[177:178]
	v_fma_f64 v[42:43], v[42:43], v[165:166], -v[167:168]
	v_add_f64 v[169:170], v[173:174], v[169:170]
	v_add_f64 v[171:172], v[175:176], v[171:172]
	s_waitcnt vmcnt(7) lgkmcnt(1)
	v_mul_f64 v[173:174], v[2:3], v[40:41]
	v_mul_f64 v[40:41], v[4:5], v[40:41]
	s_delay_alu instid0(VALU_DEP_4) | instskip(NEXT) | instid1(VALU_DEP_4)
	v_add_f64 v[165:166], v[169:170], v[181:182]
	v_add_f64 v[167:168], v[171:172], v[179:180]
	s_waitcnt vmcnt(6) lgkmcnt(0)
	v_mul_f64 v[169:170], v[34:35], v[8:9]
	v_mul_f64 v[8:9], v[36:37], v[8:9]
	v_fma_f64 v[171:172], v[4:5], v[38:39], v[173:174]
	v_fma_f64 v[173:174], v[2:3], v[38:39], -v[40:41]
	ds_load_b128 v[2:5], v1 offset:1120
	ds_load_b128 v[38:41], v1 offset:1136
	v_add_f64 v[42:43], v[165:166], v[42:43]
	v_add_f64 v[44:45], v[167:168], v[44:45]
	v_fma_f64 v[36:37], v[36:37], v[6:7], v[169:170]
	s_waitcnt vmcnt(5) lgkmcnt(1)
	v_mul_f64 v[165:166], v[2:3], v[12:13]
	v_mul_f64 v[12:13], v[4:5], v[12:13]
	v_fma_f64 v[6:7], v[34:35], v[6:7], -v[8:9]
	v_add_f64 v[8:9], v[42:43], v[173:174]
	v_add_f64 v[34:35], v[44:45], v[171:172]
	s_waitcnt vmcnt(4) lgkmcnt(0)
	v_mul_f64 v[42:43], v[38:39], v[16:17]
	v_mul_f64 v[16:17], v[40:41], v[16:17]
	v_fma_f64 v[44:45], v[4:5], v[10:11], v[165:166]
	v_fma_f64 v[10:11], v[2:3], v[10:11], -v[12:13]
	v_add_f64 v[12:13], v[8:9], v[6:7]
	v_add_f64 v[34:35], v[34:35], v[36:37]
	ds_load_b128 v[2:5], v1 offset:1152
	ds_load_b128 v[6:9], v1 offset:1168
	v_fma_f64 v[40:41], v[40:41], v[14:15], v[42:43]
	v_fma_f64 v[14:15], v[38:39], v[14:15], -v[16:17]
	s_waitcnt vmcnt(3) lgkmcnt(1)
	v_mul_f64 v[36:37], v[2:3], v[20:21]
	v_mul_f64 v[20:21], v[4:5], v[20:21]
	s_waitcnt vmcnt(2) lgkmcnt(0)
	v_mul_f64 v[16:17], v[6:7], v[24:25]
	v_mul_f64 v[24:25], v[8:9], v[24:25]
	v_add_f64 v[10:11], v[12:13], v[10:11]
	v_add_f64 v[12:13], v[34:35], v[44:45]
	v_fma_f64 v[34:35], v[4:5], v[18:19], v[36:37]
	v_fma_f64 v[18:19], v[2:3], v[18:19], -v[20:21]
	v_fma_f64 v[8:9], v[8:9], v[22:23], v[16:17]
	v_fma_f64 v[6:7], v[6:7], v[22:23], -v[24:25]
	v_add_f64 v[14:15], v[10:11], v[14:15]
	v_add_f64 v[20:21], v[12:13], v[40:41]
	ds_load_b128 v[2:5], v1 offset:1184
	ds_load_b128 v[10:13], v1 offset:1200
	s_waitcnt vmcnt(1) lgkmcnt(1)
	v_mul_f64 v[36:37], v[2:3], v[28:29]
	v_mul_f64 v[28:29], v[4:5], v[28:29]
	v_add_f64 v[14:15], v[14:15], v[18:19]
	v_add_f64 v[16:17], v[20:21], v[34:35]
	s_waitcnt vmcnt(0) lgkmcnt(0)
	v_mul_f64 v[18:19], v[10:11], v[32:33]
	v_mul_f64 v[20:21], v[12:13], v[32:33]
	v_fma_f64 v[4:5], v[4:5], v[26:27], v[36:37]
	v_fma_f64 v[1:2], v[2:3], v[26:27], -v[28:29]
	v_add_f64 v[6:7], v[14:15], v[6:7]
	v_add_f64 v[8:9], v[16:17], v[8:9]
	v_fma_f64 v[12:13], v[12:13], v[30:31], v[18:19]
	v_fma_f64 v[10:11], v[10:11], v[30:31], -v[20:21]
	s_delay_alu instid0(VALU_DEP_4) | instskip(NEXT) | instid1(VALU_DEP_4)
	v_add_f64 v[1:2], v[6:7], v[1:2]
	v_add_f64 v[3:4], v[8:9], v[4:5]
	s_delay_alu instid0(VALU_DEP_2) | instskip(NEXT) | instid1(VALU_DEP_2)
	v_add_f64 v[1:2], v[1:2], v[10:11]
	v_add_f64 v[3:4], v[3:4], v[12:13]
	s_delay_alu instid0(VALU_DEP_2) | instskip(NEXT) | instid1(VALU_DEP_2)
	v_add_f64 v[1:2], v[161:162], -v[1:2]
	v_add_f64 v[3:4], v[163:164], -v[3:4]
	scratch_store_b128 off, v[1:4], off offset:304
	v_cmpx_lt_u32_e32 18, v122
	s_cbranch_execz .LBB101_205
; %bb.204:
	scratch_load_b128 v[1:4], v143, off
	v_mov_b32_e32 v5, 0
	s_delay_alu instid0(VALU_DEP_1)
	v_mov_b32_e32 v6, v5
	v_mov_b32_e32 v7, v5
	;; [unrolled: 1-line block ×3, first 2 shown]
	scratch_store_b128 off, v[5:8], off offset:288
	s_waitcnt vmcnt(0)
	ds_store_b128 v160, v[1:4]
.LBB101_205:
	s_or_b32 exec_lo, exec_lo, s2
	s_waitcnt lgkmcnt(0)
	s_waitcnt_vscnt null, 0x0
	s_barrier
	buffer_gl0_inv
	s_clause 0x7
	scratch_load_b128 v[2:5], off, off offset:304
	scratch_load_b128 v[6:9], off, off offset:320
	;; [unrolled: 1-line block ×8, first 2 shown]
	v_mov_b32_e32 v1, 0
	s_mov_b32 s2, exec_lo
	ds_load_b128 v[34:37], v1 offset:912
	s_clause 0x1
	scratch_load_b128 v[38:41], off, off offset:432
	scratch_load_b128 v[42:45], off, off offset:288
	ds_load_b128 v[161:164], v1 offset:928
	scratch_load_b128 v[165:168], off, off offset:448
	s_waitcnt vmcnt(10) lgkmcnt(1)
	v_mul_f64 v[169:170], v[36:37], v[4:5]
	v_mul_f64 v[4:5], v[34:35], v[4:5]
	s_delay_alu instid0(VALU_DEP_2) | instskip(NEXT) | instid1(VALU_DEP_2)
	v_fma_f64 v[175:176], v[34:35], v[2:3], -v[169:170]
	v_fma_f64 v[177:178], v[36:37], v[2:3], v[4:5]
	scratch_load_b128 v[34:37], off, off offset:464
	ds_load_b128 v[2:5], v1 offset:944
	s_waitcnt vmcnt(10) lgkmcnt(1)
	v_mul_f64 v[173:174], v[161:162], v[8:9]
	v_mul_f64 v[8:9], v[163:164], v[8:9]
	ds_load_b128 v[169:172], v1 offset:960
	s_waitcnt vmcnt(9) lgkmcnt(1)
	v_mul_f64 v[179:180], v[2:3], v[12:13]
	v_mul_f64 v[12:13], v[4:5], v[12:13]
	v_fma_f64 v[163:164], v[163:164], v[6:7], v[173:174]
	v_fma_f64 v[161:162], v[161:162], v[6:7], -v[8:9]
	v_add_f64 v[173:174], v[175:176], 0
	v_add_f64 v[175:176], v[177:178], 0
	scratch_load_b128 v[6:9], off, off offset:480
	v_fma_f64 v[179:180], v[4:5], v[10:11], v[179:180]
	v_fma_f64 v[181:182], v[2:3], v[10:11], -v[12:13]
	scratch_load_b128 v[10:13], off, off offset:496
	ds_load_b128 v[2:5], v1 offset:976
	s_waitcnt vmcnt(10) lgkmcnt(1)
	v_mul_f64 v[177:178], v[169:170], v[16:17]
	v_mul_f64 v[16:17], v[171:172], v[16:17]
	v_add_f64 v[173:174], v[173:174], v[161:162]
	v_add_f64 v[175:176], v[175:176], v[163:164]
	s_waitcnt vmcnt(9) lgkmcnt(0)
	v_mul_f64 v[183:184], v[2:3], v[20:21]
	v_mul_f64 v[20:21], v[4:5], v[20:21]
	ds_load_b128 v[161:164], v1 offset:992
	v_fma_f64 v[171:172], v[171:172], v[14:15], v[177:178]
	v_fma_f64 v[169:170], v[169:170], v[14:15], -v[16:17]
	scratch_load_b128 v[14:17], off, off offset:512
	v_add_f64 v[173:174], v[173:174], v[181:182]
	v_add_f64 v[175:176], v[175:176], v[179:180]
	v_fma_f64 v[179:180], v[4:5], v[18:19], v[183:184]
	v_fma_f64 v[181:182], v[2:3], v[18:19], -v[20:21]
	scratch_load_b128 v[18:21], off, off offset:528
	ds_load_b128 v[2:5], v1 offset:1008
	s_waitcnt vmcnt(10) lgkmcnt(1)
	v_mul_f64 v[177:178], v[161:162], v[24:25]
	v_mul_f64 v[24:25], v[163:164], v[24:25]
	s_waitcnt vmcnt(9) lgkmcnt(0)
	v_mul_f64 v[183:184], v[2:3], v[28:29]
	v_mul_f64 v[28:29], v[4:5], v[28:29]
	v_add_f64 v[173:174], v[173:174], v[169:170]
	v_add_f64 v[175:176], v[175:176], v[171:172]
	ds_load_b128 v[169:172], v1 offset:1024
	v_fma_f64 v[163:164], v[163:164], v[22:23], v[177:178]
	v_fma_f64 v[161:162], v[161:162], v[22:23], -v[24:25]
	scratch_load_b128 v[22:25], off, off offset:544
	v_add_f64 v[173:174], v[173:174], v[181:182]
	v_add_f64 v[175:176], v[175:176], v[179:180]
	v_fma_f64 v[179:180], v[4:5], v[26:27], v[183:184]
	v_fma_f64 v[181:182], v[2:3], v[26:27], -v[28:29]
	scratch_load_b128 v[26:29], off, off offset:560
	ds_load_b128 v[2:5], v1 offset:1040
	s_waitcnt vmcnt(10) lgkmcnt(1)
	v_mul_f64 v[177:178], v[169:170], v[32:33]
	v_mul_f64 v[32:33], v[171:172], v[32:33]
	s_waitcnt vmcnt(9) lgkmcnt(0)
	v_mul_f64 v[183:184], v[2:3], v[40:41]
	v_mul_f64 v[40:41], v[4:5], v[40:41]
	v_add_f64 v[173:174], v[173:174], v[161:162]
	v_add_f64 v[175:176], v[175:176], v[163:164]
	ds_load_b128 v[161:164], v1 offset:1056
	v_fma_f64 v[171:172], v[171:172], v[30:31], v[177:178]
	v_fma_f64 v[169:170], v[169:170], v[30:31], -v[32:33]
	scratch_load_b128 v[30:33], off, off offset:576
	v_add_f64 v[173:174], v[173:174], v[181:182]
	v_add_f64 v[175:176], v[175:176], v[179:180]
	v_fma_f64 v[181:182], v[4:5], v[38:39], v[183:184]
	v_fma_f64 v[183:184], v[2:3], v[38:39], -v[40:41]
	scratch_load_b128 v[38:41], off, off offset:592
	ds_load_b128 v[2:5], v1 offset:1072
	s_waitcnt vmcnt(9) lgkmcnt(1)
	v_mul_f64 v[177:178], v[161:162], v[167:168]
	v_mul_f64 v[179:180], v[163:164], v[167:168]
	v_add_f64 v[173:174], v[173:174], v[169:170]
	v_add_f64 v[171:172], v[175:176], v[171:172]
	ds_load_b128 v[167:170], v1 offset:1088
	v_fma_f64 v[163:164], v[163:164], v[165:166], v[177:178]
	v_fma_f64 v[161:162], v[161:162], v[165:166], -v[179:180]
	s_waitcnt vmcnt(8) lgkmcnt(1)
	v_mul_f64 v[175:176], v[2:3], v[36:37]
	v_mul_f64 v[36:37], v[4:5], v[36:37]
	v_add_f64 v[165:166], v[173:174], v[183:184]
	v_add_f64 v[171:172], v[171:172], v[181:182]
	s_delay_alu instid0(VALU_DEP_4) | instskip(NEXT) | instid1(VALU_DEP_4)
	v_fma_f64 v[175:176], v[4:5], v[34:35], v[175:176]
	v_fma_f64 v[177:178], v[2:3], v[34:35], -v[36:37]
	ds_load_b128 v[2:5], v1 offset:1104
	ds_load_b128 v[34:37], v1 offset:1120
	s_waitcnt vmcnt(7) lgkmcnt(2)
	v_mul_f64 v[173:174], v[167:168], v[8:9]
	v_mul_f64 v[8:9], v[169:170], v[8:9]
	v_add_f64 v[161:162], v[165:166], v[161:162]
	v_add_f64 v[163:164], v[171:172], v[163:164]
	s_waitcnt vmcnt(6) lgkmcnt(1)
	v_mul_f64 v[165:166], v[2:3], v[12:13]
	v_mul_f64 v[12:13], v[4:5], v[12:13]
	v_fma_f64 v[169:170], v[169:170], v[6:7], v[173:174]
	v_fma_f64 v[6:7], v[167:168], v[6:7], -v[8:9]
	v_add_f64 v[8:9], v[161:162], v[177:178]
	v_add_f64 v[161:162], v[163:164], v[175:176]
	s_waitcnt vmcnt(5) lgkmcnt(0)
	v_mul_f64 v[163:164], v[34:35], v[16:17]
	v_mul_f64 v[16:17], v[36:37], v[16:17]
	v_fma_f64 v[165:166], v[4:5], v[10:11], v[165:166]
	v_fma_f64 v[10:11], v[2:3], v[10:11], -v[12:13]
	v_add_f64 v[12:13], v[8:9], v[6:7]
	v_add_f64 v[161:162], v[161:162], v[169:170]
	ds_load_b128 v[2:5], v1 offset:1136
	ds_load_b128 v[6:9], v1 offset:1152
	v_fma_f64 v[36:37], v[36:37], v[14:15], v[163:164]
	v_fma_f64 v[14:15], v[34:35], v[14:15], -v[16:17]
	s_waitcnt vmcnt(4) lgkmcnt(1)
	v_mul_f64 v[167:168], v[2:3], v[20:21]
	v_mul_f64 v[20:21], v[4:5], v[20:21]
	s_waitcnt vmcnt(3) lgkmcnt(0)
	v_mul_f64 v[16:17], v[6:7], v[24:25]
	v_mul_f64 v[24:25], v[8:9], v[24:25]
	v_add_f64 v[10:11], v[12:13], v[10:11]
	v_add_f64 v[12:13], v[161:162], v[165:166]
	v_fma_f64 v[34:35], v[4:5], v[18:19], v[167:168]
	v_fma_f64 v[18:19], v[2:3], v[18:19], -v[20:21]
	v_fma_f64 v[8:9], v[8:9], v[22:23], v[16:17]
	v_fma_f64 v[6:7], v[6:7], v[22:23], -v[24:25]
	v_add_f64 v[14:15], v[10:11], v[14:15]
	v_add_f64 v[20:21], v[12:13], v[36:37]
	ds_load_b128 v[2:5], v1 offset:1168
	ds_load_b128 v[10:13], v1 offset:1184
	s_waitcnt vmcnt(2) lgkmcnt(1)
	v_mul_f64 v[36:37], v[2:3], v[28:29]
	v_mul_f64 v[28:29], v[4:5], v[28:29]
	v_add_f64 v[14:15], v[14:15], v[18:19]
	v_add_f64 v[16:17], v[20:21], v[34:35]
	s_waitcnt vmcnt(1) lgkmcnt(0)
	v_mul_f64 v[18:19], v[10:11], v[32:33]
	v_mul_f64 v[20:21], v[12:13], v[32:33]
	v_fma_f64 v[22:23], v[4:5], v[26:27], v[36:37]
	v_fma_f64 v[24:25], v[2:3], v[26:27], -v[28:29]
	ds_load_b128 v[2:5], v1 offset:1200
	v_add_f64 v[6:7], v[14:15], v[6:7]
	v_add_f64 v[8:9], v[16:17], v[8:9]
	v_fma_f64 v[12:13], v[12:13], v[30:31], v[18:19]
	v_fma_f64 v[10:11], v[10:11], v[30:31], -v[20:21]
	s_waitcnt vmcnt(0) lgkmcnt(0)
	v_mul_f64 v[14:15], v[2:3], v[40:41]
	v_mul_f64 v[16:17], v[4:5], v[40:41]
	v_add_f64 v[6:7], v[6:7], v[24:25]
	v_add_f64 v[8:9], v[8:9], v[22:23]
	s_delay_alu instid0(VALU_DEP_4) | instskip(NEXT) | instid1(VALU_DEP_4)
	v_fma_f64 v[4:5], v[4:5], v[38:39], v[14:15]
	v_fma_f64 v[2:3], v[2:3], v[38:39], -v[16:17]
	s_delay_alu instid0(VALU_DEP_4) | instskip(NEXT) | instid1(VALU_DEP_4)
	v_add_f64 v[6:7], v[6:7], v[10:11]
	v_add_f64 v[8:9], v[8:9], v[12:13]
	s_delay_alu instid0(VALU_DEP_2) | instskip(NEXT) | instid1(VALU_DEP_2)
	v_add_f64 v[2:3], v[6:7], v[2:3]
	v_add_f64 v[4:5], v[8:9], v[4:5]
	s_delay_alu instid0(VALU_DEP_2) | instskip(NEXT) | instid1(VALU_DEP_2)
	v_add_f64 v[2:3], v[42:43], -v[2:3]
	v_add_f64 v[4:5], v[44:45], -v[4:5]
	scratch_store_b128 off, v[2:5], off offset:288
	v_cmpx_lt_u32_e32 17, v122
	s_cbranch_execz .LBB101_207
; %bb.206:
	scratch_load_b128 v[5:8], v145, off
	v_mov_b32_e32 v2, v1
	v_mov_b32_e32 v3, v1
	;; [unrolled: 1-line block ×3, first 2 shown]
	scratch_store_b128 off, v[1:4], off offset:272
	s_waitcnt vmcnt(0)
	ds_store_b128 v160, v[5:8]
.LBB101_207:
	s_or_b32 exec_lo, exec_lo, s2
	s_waitcnt lgkmcnt(0)
	s_waitcnt_vscnt null, 0x0
	s_barrier
	buffer_gl0_inv
	s_clause 0x8
	scratch_load_b128 v[2:5], off, off offset:288
	scratch_load_b128 v[6:9], off, off offset:304
	;; [unrolled: 1-line block ×9, first 2 shown]
	ds_load_b128 v[38:41], v1 offset:896
	ds_load_b128 v[42:45], v1 offset:912
	s_clause 0x1
	scratch_load_b128 v[161:164], off, off offset:272
	scratch_load_b128 v[165:168], off, off offset:432
	s_mov_b32 s2, exec_lo
	s_waitcnt vmcnt(10) lgkmcnt(1)
	v_mul_f64 v[169:170], v[40:41], v[4:5]
	v_mul_f64 v[4:5], v[38:39], v[4:5]
	s_waitcnt vmcnt(9) lgkmcnt(0)
	v_mul_f64 v[173:174], v[42:43], v[8:9]
	v_mul_f64 v[8:9], v[44:45], v[8:9]
	s_delay_alu instid0(VALU_DEP_4) | instskip(NEXT) | instid1(VALU_DEP_4)
	v_fma_f64 v[175:176], v[38:39], v[2:3], -v[169:170]
	v_fma_f64 v[177:178], v[40:41], v[2:3], v[4:5]
	ds_load_b128 v[2:5], v1 offset:928
	ds_load_b128 v[169:172], v1 offset:944
	scratch_load_b128 v[38:41], off, off offset:448
	v_fma_f64 v[44:45], v[44:45], v[6:7], v[173:174]
	v_fma_f64 v[42:43], v[42:43], v[6:7], -v[8:9]
	scratch_load_b128 v[6:9], off, off offset:464
	s_waitcnt vmcnt(10) lgkmcnt(1)
	v_mul_f64 v[179:180], v[2:3], v[12:13]
	v_mul_f64 v[12:13], v[4:5], v[12:13]
	v_add_f64 v[173:174], v[175:176], 0
	v_add_f64 v[175:176], v[177:178], 0
	s_waitcnt vmcnt(9) lgkmcnt(0)
	v_mul_f64 v[177:178], v[169:170], v[16:17]
	v_mul_f64 v[16:17], v[171:172], v[16:17]
	v_fma_f64 v[179:180], v[4:5], v[10:11], v[179:180]
	v_fma_f64 v[181:182], v[2:3], v[10:11], -v[12:13]
	ds_load_b128 v[2:5], v1 offset:960
	scratch_load_b128 v[10:13], off, off offset:480
	v_add_f64 v[173:174], v[173:174], v[42:43]
	v_add_f64 v[175:176], v[175:176], v[44:45]
	ds_load_b128 v[42:45], v1 offset:976
	v_fma_f64 v[171:172], v[171:172], v[14:15], v[177:178]
	v_fma_f64 v[169:170], v[169:170], v[14:15], -v[16:17]
	scratch_load_b128 v[14:17], off, off offset:496
	s_waitcnt vmcnt(10) lgkmcnt(1)
	v_mul_f64 v[183:184], v[2:3], v[20:21]
	v_mul_f64 v[20:21], v[4:5], v[20:21]
	s_waitcnt vmcnt(9) lgkmcnt(0)
	v_mul_f64 v[177:178], v[42:43], v[24:25]
	v_mul_f64 v[24:25], v[44:45], v[24:25]
	v_add_f64 v[173:174], v[173:174], v[181:182]
	v_add_f64 v[175:176], v[175:176], v[179:180]
	v_fma_f64 v[179:180], v[4:5], v[18:19], v[183:184]
	v_fma_f64 v[181:182], v[2:3], v[18:19], -v[20:21]
	ds_load_b128 v[2:5], v1 offset:992
	scratch_load_b128 v[18:21], off, off offset:512
	v_fma_f64 v[44:45], v[44:45], v[22:23], v[177:178]
	v_fma_f64 v[42:43], v[42:43], v[22:23], -v[24:25]
	scratch_load_b128 v[22:25], off, off offset:528
	v_add_f64 v[173:174], v[173:174], v[169:170]
	v_add_f64 v[175:176], v[175:176], v[171:172]
	ds_load_b128 v[169:172], v1 offset:1008
	s_waitcnt vmcnt(10) lgkmcnt(1)
	v_mul_f64 v[183:184], v[2:3], v[28:29]
	v_mul_f64 v[28:29], v[4:5], v[28:29]
	s_waitcnt vmcnt(9) lgkmcnt(0)
	v_mul_f64 v[177:178], v[169:170], v[32:33]
	v_mul_f64 v[32:33], v[171:172], v[32:33]
	v_add_f64 v[173:174], v[173:174], v[181:182]
	v_add_f64 v[175:176], v[175:176], v[179:180]
	v_fma_f64 v[179:180], v[4:5], v[26:27], v[183:184]
	v_fma_f64 v[181:182], v[2:3], v[26:27], -v[28:29]
	ds_load_b128 v[2:5], v1 offset:1024
	scratch_load_b128 v[26:29], off, off offset:544
	v_fma_f64 v[171:172], v[171:172], v[30:31], v[177:178]
	v_fma_f64 v[169:170], v[169:170], v[30:31], -v[32:33]
	scratch_load_b128 v[30:33], off, off offset:560
	v_add_f64 v[173:174], v[173:174], v[42:43]
	v_add_f64 v[175:176], v[175:176], v[44:45]
	ds_load_b128 v[42:45], v1 offset:1040
	s_waitcnt vmcnt(10) lgkmcnt(1)
	v_mul_f64 v[183:184], v[2:3], v[36:37]
	v_mul_f64 v[36:37], v[4:5], v[36:37]
	s_waitcnt vmcnt(8) lgkmcnt(0)
	v_mul_f64 v[177:178], v[42:43], v[167:168]
	v_add_f64 v[173:174], v[173:174], v[181:182]
	v_add_f64 v[175:176], v[175:176], v[179:180]
	v_mul_f64 v[179:180], v[44:45], v[167:168]
	v_fma_f64 v[181:182], v[4:5], v[34:35], v[183:184]
	v_fma_f64 v[183:184], v[2:3], v[34:35], -v[36:37]
	ds_load_b128 v[2:5], v1 offset:1056
	scratch_load_b128 v[34:37], off, off offset:576
	v_fma_f64 v[44:45], v[44:45], v[165:166], v[177:178]
	v_add_f64 v[173:174], v[173:174], v[169:170]
	v_add_f64 v[171:172], v[175:176], v[171:172]
	ds_load_b128 v[167:170], v1 offset:1072
	v_fma_f64 v[165:166], v[42:43], v[165:166], -v[179:180]
	s_waitcnt vmcnt(8) lgkmcnt(1)
	v_mul_f64 v[175:176], v[2:3], v[40:41]
	v_mul_f64 v[185:186], v[4:5], v[40:41]
	scratch_load_b128 v[40:43], off, off offset:592
	s_waitcnt vmcnt(8) lgkmcnt(0)
	v_mul_f64 v[177:178], v[167:168], v[8:9]
	v_mul_f64 v[8:9], v[169:170], v[8:9]
	v_add_f64 v[173:174], v[173:174], v[183:184]
	v_add_f64 v[171:172], v[171:172], v[181:182]
	v_fma_f64 v[175:176], v[4:5], v[38:39], v[175:176]
	v_fma_f64 v[38:39], v[2:3], v[38:39], -v[185:186]
	v_fma_f64 v[169:170], v[169:170], v[6:7], v[177:178]
	v_fma_f64 v[6:7], v[167:168], v[6:7], -v[8:9]
	v_add_f64 v[165:166], v[173:174], v[165:166]
	v_add_f64 v[44:45], v[171:172], v[44:45]
	ds_load_b128 v[2:5], v1 offset:1088
	ds_load_b128 v[171:174], v1 offset:1104
	s_waitcnt vmcnt(7) lgkmcnt(1)
	v_mul_f64 v[179:180], v[2:3], v[12:13]
	v_mul_f64 v[12:13], v[4:5], v[12:13]
	v_add_f64 v[8:9], v[165:166], v[38:39]
	v_add_f64 v[38:39], v[44:45], v[175:176]
	s_waitcnt vmcnt(6) lgkmcnt(0)
	v_mul_f64 v[44:45], v[171:172], v[16:17]
	v_mul_f64 v[16:17], v[173:174], v[16:17]
	v_fma_f64 v[165:166], v[4:5], v[10:11], v[179:180]
	v_fma_f64 v[10:11], v[2:3], v[10:11], -v[12:13]
	v_add_f64 v[12:13], v[8:9], v[6:7]
	v_add_f64 v[38:39], v[38:39], v[169:170]
	ds_load_b128 v[2:5], v1 offset:1120
	ds_load_b128 v[6:9], v1 offset:1136
	v_fma_f64 v[44:45], v[173:174], v[14:15], v[44:45]
	v_fma_f64 v[14:15], v[171:172], v[14:15], -v[16:17]
	s_waitcnt vmcnt(5) lgkmcnt(1)
	v_mul_f64 v[167:168], v[2:3], v[20:21]
	v_mul_f64 v[20:21], v[4:5], v[20:21]
	s_waitcnt vmcnt(4) lgkmcnt(0)
	v_mul_f64 v[16:17], v[6:7], v[24:25]
	v_mul_f64 v[24:25], v[8:9], v[24:25]
	v_add_f64 v[10:11], v[12:13], v[10:11]
	v_add_f64 v[12:13], v[38:39], v[165:166]
	v_fma_f64 v[38:39], v[4:5], v[18:19], v[167:168]
	v_fma_f64 v[18:19], v[2:3], v[18:19], -v[20:21]
	v_fma_f64 v[8:9], v[8:9], v[22:23], v[16:17]
	v_fma_f64 v[6:7], v[6:7], v[22:23], -v[24:25]
	v_add_f64 v[14:15], v[10:11], v[14:15]
	v_add_f64 v[20:21], v[12:13], v[44:45]
	ds_load_b128 v[2:5], v1 offset:1152
	ds_load_b128 v[10:13], v1 offset:1168
	s_waitcnt vmcnt(3) lgkmcnt(1)
	v_mul_f64 v[44:45], v[2:3], v[28:29]
	v_mul_f64 v[28:29], v[4:5], v[28:29]
	v_add_f64 v[14:15], v[14:15], v[18:19]
	v_add_f64 v[16:17], v[20:21], v[38:39]
	s_waitcnt vmcnt(2) lgkmcnt(0)
	v_mul_f64 v[18:19], v[10:11], v[32:33]
	v_mul_f64 v[20:21], v[12:13], v[32:33]
	v_fma_f64 v[22:23], v[4:5], v[26:27], v[44:45]
	v_fma_f64 v[24:25], v[2:3], v[26:27], -v[28:29]
	v_add_f64 v[14:15], v[14:15], v[6:7]
	v_add_f64 v[16:17], v[16:17], v[8:9]
	ds_load_b128 v[2:5], v1 offset:1184
	ds_load_b128 v[6:9], v1 offset:1200
	v_fma_f64 v[12:13], v[12:13], v[30:31], v[18:19]
	v_fma_f64 v[10:11], v[10:11], v[30:31], -v[20:21]
	s_waitcnt vmcnt(1) lgkmcnt(1)
	v_mul_f64 v[26:27], v[2:3], v[36:37]
	v_mul_f64 v[28:29], v[4:5], v[36:37]
	s_waitcnt vmcnt(0) lgkmcnt(0)
	v_mul_f64 v[18:19], v[6:7], v[42:43]
	v_add_f64 v[14:15], v[14:15], v[24:25]
	v_add_f64 v[16:17], v[16:17], v[22:23]
	v_mul_f64 v[20:21], v[8:9], v[42:43]
	v_fma_f64 v[4:5], v[4:5], v[34:35], v[26:27]
	v_fma_f64 v[1:2], v[2:3], v[34:35], -v[28:29]
	v_fma_f64 v[8:9], v[8:9], v[40:41], v[18:19]
	v_add_f64 v[10:11], v[14:15], v[10:11]
	v_add_f64 v[12:13], v[16:17], v[12:13]
	v_fma_f64 v[6:7], v[6:7], v[40:41], -v[20:21]
	s_delay_alu instid0(VALU_DEP_3) | instskip(NEXT) | instid1(VALU_DEP_3)
	v_add_f64 v[1:2], v[10:11], v[1:2]
	v_add_f64 v[3:4], v[12:13], v[4:5]
	s_delay_alu instid0(VALU_DEP_2) | instskip(NEXT) | instid1(VALU_DEP_2)
	v_add_f64 v[1:2], v[1:2], v[6:7]
	v_add_f64 v[3:4], v[3:4], v[8:9]
	s_delay_alu instid0(VALU_DEP_2) | instskip(NEXT) | instid1(VALU_DEP_2)
	v_add_f64 v[1:2], v[161:162], -v[1:2]
	v_add_f64 v[3:4], v[163:164], -v[3:4]
	scratch_store_b128 off, v[1:4], off offset:272
	v_cmpx_lt_u32_e32 16, v122
	s_cbranch_execz .LBB101_209
; %bb.208:
	scratch_load_b128 v[1:4], v147, off
	v_mov_b32_e32 v5, 0
	s_delay_alu instid0(VALU_DEP_1)
	v_mov_b32_e32 v6, v5
	v_mov_b32_e32 v7, v5
	v_mov_b32_e32 v8, v5
	scratch_store_b128 off, v[5:8], off offset:256
	s_waitcnt vmcnt(0)
	ds_store_b128 v160, v[1:4]
.LBB101_209:
	s_or_b32 exec_lo, exec_lo, s2
	s_waitcnt lgkmcnt(0)
	s_waitcnt_vscnt null, 0x0
	s_barrier
	buffer_gl0_inv
	s_clause 0x7
	scratch_load_b128 v[2:5], off, off offset:272
	scratch_load_b128 v[6:9], off, off offset:288
	scratch_load_b128 v[10:13], off, off offset:304
	scratch_load_b128 v[14:17], off, off offset:320
	scratch_load_b128 v[18:21], off, off offset:336
	scratch_load_b128 v[22:25], off, off offset:352
	scratch_load_b128 v[26:29], off, off offset:368
	scratch_load_b128 v[30:33], off, off offset:384
	v_mov_b32_e32 v1, 0
	s_mov_b32 s2, exec_lo
	ds_load_b128 v[34:37], v1 offset:880
	s_clause 0x1
	scratch_load_b128 v[38:41], off, off offset:400
	scratch_load_b128 v[42:45], off, off offset:256
	ds_load_b128 v[161:164], v1 offset:896
	scratch_load_b128 v[165:168], off, off offset:416
	s_waitcnt vmcnt(10) lgkmcnt(1)
	v_mul_f64 v[169:170], v[36:37], v[4:5]
	v_mul_f64 v[4:5], v[34:35], v[4:5]
	s_delay_alu instid0(VALU_DEP_2) | instskip(NEXT) | instid1(VALU_DEP_2)
	v_fma_f64 v[175:176], v[34:35], v[2:3], -v[169:170]
	v_fma_f64 v[177:178], v[36:37], v[2:3], v[4:5]
	scratch_load_b128 v[34:37], off, off offset:432
	ds_load_b128 v[2:5], v1 offset:912
	s_waitcnt vmcnt(10) lgkmcnt(1)
	v_mul_f64 v[173:174], v[161:162], v[8:9]
	v_mul_f64 v[8:9], v[163:164], v[8:9]
	ds_load_b128 v[169:172], v1 offset:928
	s_waitcnt vmcnt(9) lgkmcnt(1)
	v_mul_f64 v[179:180], v[2:3], v[12:13]
	v_mul_f64 v[12:13], v[4:5], v[12:13]
	v_fma_f64 v[163:164], v[163:164], v[6:7], v[173:174]
	v_fma_f64 v[161:162], v[161:162], v[6:7], -v[8:9]
	v_add_f64 v[173:174], v[175:176], 0
	v_add_f64 v[175:176], v[177:178], 0
	scratch_load_b128 v[6:9], off, off offset:448
	v_fma_f64 v[179:180], v[4:5], v[10:11], v[179:180]
	v_fma_f64 v[181:182], v[2:3], v[10:11], -v[12:13]
	scratch_load_b128 v[10:13], off, off offset:464
	ds_load_b128 v[2:5], v1 offset:944
	s_waitcnt vmcnt(10) lgkmcnt(1)
	v_mul_f64 v[177:178], v[169:170], v[16:17]
	v_mul_f64 v[16:17], v[171:172], v[16:17]
	v_add_f64 v[173:174], v[173:174], v[161:162]
	v_add_f64 v[175:176], v[175:176], v[163:164]
	s_waitcnt vmcnt(9) lgkmcnt(0)
	v_mul_f64 v[183:184], v[2:3], v[20:21]
	v_mul_f64 v[20:21], v[4:5], v[20:21]
	ds_load_b128 v[161:164], v1 offset:960
	v_fma_f64 v[171:172], v[171:172], v[14:15], v[177:178]
	v_fma_f64 v[169:170], v[169:170], v[14:15], -v[16:17]
	scratch_load_b128 v[14:17], off, off offset:480
	v_add_f64 v[173:174], v[173:174], v[181:182]
	v_add_f64 v[175:176], v[175:176], v[179:180]
	v_fma_f64 v[179:180], v[4:5], v[18:19], v[183:184]
	v_fma_f64 v[181:182], v[2:3], v[18:19], -v[20:21]
	scratch_load_b128 v[18:21], off, off offset:496
	ds_load_b128 v[2:5], v1 offset:976
	s_waitcnt vmcnt(10) lgkmcnt(1)
	v_mul_f64 v[177:178], v[161:162], v[24:25]
	v_mul_f64 v[24:25], v[163:164], v[24:25]
	s_waitcnt vmcnt(9) lgkmcnt(0)
	v_mul_f64 v[183:184], v[2:3], v[28:29]
	v_mul_f64 v[28:29], v[4:5], v[28:29]
	v_add_f64 v[173:174], v[173:174], v[169:170]
	v_add_f64 v[175:176], v[175:176], v[171:172]
	ds_load_b128 v[169:172], v1 offset:992
	v_fma_f64 v[163:164], v[163:164], v[22:23], v[177:178]
	v_fma_f64 v[161:162], v[161:162], v[22:23], -v[24:25]
	scratch_load_b128 v[22:25], off, off offset:512
	v_add_f64 v[173:174], v[173:174], v[181:182]
	v_add_f64 v[175:176], v[175:176], v[179:180]
	v_fma_f64 v[179:180], v[4:5], v[26:27], v[183:184]
	v_fma_f64 v[181:182], v[2:3], v[26:27], -v[28:29]
	scratch_load_b128 v[26:29], off, off offset:528
	ds_load_b128 v[2:5], v1 offset:1008
	s_waitcnt vmcnt(10) lgkmcnt(1)
	v_mul_f64 v[177:178], v[169:170], v[32:33]
	v_mul_f64 v[32:33], v[171:172], v[32:33]
	s_waitcnt vmcnt(9) lgkmcnt(0)
	v_mul_f64 v[183:184], v[2:3], v[40:41]
	v_mul_f64 v[40:41], v[4:5], v[40:41]
	v_add_f64 v[173:174], v[173:174], v[161:162]
	v_add_f64 v[175:176], v[175:176], v[163:164]
	ds_load_b128 v[161:164], v1 offset:1024
	v_fma_f64 v[171:172], v[171:172], v[30:31], v[177:178]
	v_fma_f64 v[169:170], v[169:170], v[30:31], -v[32:33]
	scratch_load_b128 v[30:33], off, off offset:544
	v_add_f64 v[173:174], v[173:174], v[181:182]
	v_add_f64 v[175:176], v[175:176], v[179:180]
	v_fma_f64 v[181:182], v[4:5], v[38:39], v[183:184]
	v_fma_f64 v[183:184], v[2:3], v[38:39], -v[40:41]
	scratch_load_b128 v[38:41], off, off offset:560
	ds_load_b128 v[2:5], v1 offset:1040
	s_waitcnt vmcnt(9) lgkmcnt(1)
	v_mul_f64 v[177:178], v[161:162], v[167:168]
	v_mul_f64 v[179:180], v[163:164], v[167:168]
	v_add_f64 v[173:174], v[173:174], v[169:170]
	v_add_f64 v[171:172], v[175:176], v[171:172]
	ds_load_b128 v[167:170], v1 offset:1056
	v_fma_f64 v[177:178], v[163:164], v[165:166], v[177:178]
	v_fma_f64 v[165:166], v[161:162], v[165:166], -v[179:180]
	scratch_load_b128 v[161:164], off, off offset:576
	s_waitcnt vmcnt(9) lgkmcnt(1)
	v_mul_f64 v[175:176], v[2:3], v[36:37]
	v_mul_f64 v[36:37], v[4:5], v[36:37]
	v_add_f64 v[173:174], v[173:174], v[183:184]
	v_add_f64 v[171:172], v[171:172], v[181:182]
	s_delay_alu instid0(VALU_DEP_4) | instskip(NEXT) | instid1(VALU_DEP_4)
	v_fma_f64 v[175:176], v[4:5], v[34:35], v[175:176]
	v_fma_f64 v[181:182], v[2:3], v[34:35], -v[36:37]
	scratch_load_b128 v[34:37], off, off offset:592
	ds_load_b128 v[2:5], v1 offset:1072
	s_waitcnt vmcnt(9) lgkmcnt(1)
	v_mul_f64 v[179:180], v[167:168], v[8:9]
	v_mul_f64 v[8:9], v[169:170], v[8:9]
	s_waitcnt vmcnt(8) lgkmcnt(0)
	v_mul_f64 v[183:184], v[2:3], v[12:13]
	v_mul_f64 v[12:13], v[4:5], v[12:13]
	v_add_f64 v[165:166], v[173:174], v[165:166]
	v_add_f64 v[177:178], v[171:172], v[177:178]
	ds_load_b128 v[171:174], v1 offset:1088
	v_fma_f64 v[169:170], v[169:170], v[6:7], v[179:180]
	v_fma_f64 v[6:7], v[167:168], v[6:7], -v[8:9]
	v_add_f64 v[8:9], v[165:166], v[181:182]
	v_add_f64 v[165:166], v[177:178], v[175:176]
	s_waitcnt vmcnt(7) lgkmcnt(0)
	v_mul_f64 v[167:168], v[171:172], v[16:17]
	v_mul_f64 v[16:17], v[173:174], v[16:17]
	v_fma_f64 v[175:176], v[4:5], v[10:11], v[183:184]
	v_fma_f64 v[10:11], v[2:3], v[10:11], -v[12:13]
	v_add_f64 v[12:13], v[8:9], v[6:7]
	v_add_f64 v[165:166], v[165:166], v[169:170]
	ds_load_b128 v[2:5], v1 offset:1104
	ds_load_b128 v[6:9], v1 offset:1120
	v_fma_f64 v[167:168], v[173:174], v[14:15], v[167:168]
	v_fma_f64 v[14:15], v[171:172], v[14:15], -v[16:17]
	s_waitcnt vmcnt(6) lgkmcnt(1)
	v_mul_f64 v[169:170], v[2:3], v[20:21]
	v_mul_f64 v[20:21], v[4:5], v[20:21]
	s_waitcnt vmcnt(5) lgkmcnt(0)
	v_mul_f64 v[16:17], v[6:7], v[24:25]
	v_mul_f64 v[24:25], v[8:9], v[24:25]
	v_add_f64 v[10:11], v[12:13], v[10:11]
	v_add_f64 v[12:13], v[165:166], v[175:176]
	v_fma_f64 v[165:166], v[4:5], v[18:19], v[169:170]
	v_fma_f64 v[18:19], v[2:3], v[18:19], -v[20:21]
	v_fma_f64 v[8:9], v[8:9], v[22:23], v[16:17]
	v_fma_f64 v[6:7], v[6:7], v[22:23], -v[24:25]
	v_add_f64 v[14:15], v[10:11], v[14:15]
	v_add_f64 v[20:21], v[12:13], v[167:168]
	ds_load_b128 v[2:5], v1 offset:1136
	ds_load_b128 v[10:13], v1 offset:1152
	s_waitcnt vmcnt(4) lgkmcnt(1)
	v_mul_f64 v[167:168], v[2:3], v[28:29]
	v_mul_f64 v[28:29], v[4:5], v[28:29]
	v_add_f64 v[14:15], v[14:15], v[18:19]
	v_add_f64 v[16:17], v[20:21], v[165:166]
	s_waitcnt vmcnt(3) lgkmcnt(0)
	v_mul_f64 v[18:19], v[10:11], v[32:33]
	v_mul_f64 v[20:21], v[12:13], v[32:33]
	v_fma_f64 v[22:23], v[4:5], v[26:27], v[167:168]
	v_fma_f64 v[24:25], v[2:3], v[26:27], -v[28:29]
	v_add_f64 v[14:15], v[14:15], v[6:7]
	v_add_f64 v[16:17], v[16:17], v[8:9]
	ds_load_b128 v[2:5], v1 offset:1168
	ds_load_b128 v[6:9], v1 offset:1184
	v_fma_f64 v[12:13], v[12:13], v[30:31], v[18:19]
	v_fma_f64 v[10:11], v[10:11], v[30:31], -v[20:21]
	s_waitcnt vmcnt(2) lgkmcnt(1)
	v_mul_f64 v[26:27], v[2:3], v[40:41]
	v_mul_f64 v[28:29], v[4:5], v[40:41]
	s_waitcnt vmcnt(1) lgkmcnt(0)
	v_mul_f64 v[18:19], v[6:7], v[163:164]
	v_mul_f64 v[20:21], v[8:9], v[163:164]
	v_add_f64 v[14:15], v[14:15], v[24:25]
	v_add_f64 v[16:17], v[16:17], v[22:23]
	v_fma_f64 v[22:23], v[4:5], v[38:39], v[26:27]
	v_fma_f64 v[24:25], v[2:3], v[38:39], -v[28:29]
	ds_load_b128 v[2:5], v1 offset:1200
	v_fma_f64 v[8:9], v[8:9], v[161:162], v[18:19]
	v_fma_f64 v[6:7], v[6:7], v[161:162], -v[20:21]
	v_add_f64 v[10:11], v[14:15], v[10:11]
	v_add_f64 v[12:13], v[16:17], v[12:13]
	s_waitcnt vmcnt(0) lgkmcnt(0)
	v_mul_f64 v[14:15], v[2:3], v[36:37]
	v_mul_f64 v[16:17], v[4:5], v[36:37]
	s_delay_alu instid0(VALU_DEP_4) | instskip(NEXT) | instid1(VALU_DEP_4)
	v_add_f64 v[10:11], v[10:11], v[24:25]
	v_add_f64 v[12:13], v[12:13], v[22:23]
	s_delay_alu instid0(VALU_DEP_4) | instskip(NEXT) | instid1(VALU_DEP_4)
	v_fma_f64 v[4:5], v[4:5], v[34:35], v[14:15]
	v_fma_f64 v[2:3], v[2:3], v[34:35], -v[16:17]
	s_delay_alu instid0(VALU_DEP_4) | instskip(NEXT) | instid1(VALU_DEP_4)
	v_add_f64 v[6:7], v[10:11], v[6:7]
	v_add_f64 v[8:9], v[12:13], v[8:9]
	s_delay_alu instid0(VALU_DEP_2) | instskip(NEXT) | instid1(VALU_DEP_2)
	v_add_f64 v[2:3], v[6:7], v[2:3]
	v_add_f64 v[4:5], v[8:9], v[4:5]
	s_delay_alu instid0(VALU_DEP_2) | instskip(NEXT) | instid1(VALU_DEP_2)
	v_add_f64 v[2:3], v[42:43], -v[2:3]
	v_add_f64 v[4:5], v[44:45], -v[4:5]
	scratch_store_b128 off, v[2:5], off offset:256
	v_cmpx_lt_u32_e32 15, v122
	s_cbranch_execz .LBB101_211
; %bb.210:
	scratch_load_b128 v[5:8], v149, off
	v_mov_b32_e32 v2, v1
	v_mov_b32_e32 v3, v1
	;; [unrolled: 1-line block ×3, first 2 shown]
	scratch_store_b128 off, v[1:4], off offset:240
	s_waitcnt vmcnt(0)
	ds_store_b128 v160, v[5:8]
.LBB101_211:
	s_or_b32 exec_lo, exec_lo, s2
	s_waitcnt lgkmcnt(0)
	s_waitcnt_vscnt null, 0x0
	s_barrier
	buffer_gl0_inv
	s_clause 0x8
	scratch_load_b128 v[2:5], off, off offset:256
	scratch_load_b128 v[6:9], off, off offset:272
	;; [unrolled: 1-line block ×9, first 2 shown]
	ds_load_b128 v[38:41], v1 offset:864
	ds_load_b128 v[42:45], v1 offset:880
	s_clause 0x1
	scratch_load_b128 v[161:164], off, off offset:240
	scratch_load_b128 v[165:168], off, off offset:400
	s_mov_b32 s2, exec_lo
	s_waitcnt vmcnt(10) lgkmcnt(1)
	v_mul_f64 v[169:170], v[40:41], v[4:5]
	v_mul_f64 v[4:5], v[38:39], v[4:5]
	s_waitcnt vmcnt(9) lgkmcnt(0)
	v_mul_f64 v[173:174], v[42:43], v[8:9]
	v_mul_f64 v[8:9], v[44:45], v[8:9]
	s_delay_alu instid0(VALU_DEP_4) | instskip(NEXT) | instid1(VALU_DEP_4)
	v_fma_f64 v[175:176], v[38:39], v[2:3], -v[169:170]
	v_fma_f64 v[177:178], v[40:41], v[2:3], v[4:5]
	ds_load_b128 v[2:5], v1 offset:896
	ds_load_b128 v[169:172], v1 offset:912
	scratch_load_b128 v[38:41], off, off offset:416
	v_fma_f64 v[44:45], v[44:45], v[6:7], v[173:174]
	v_fma_f64 v[42:43], v[42:43], v[6:7], -v[8:9]
	scratch_load_b128 v[6:9], off, off offset:432
	s_waitcnt vmcnt(10) lgkmcnt(1)
	v_mul_f64 v[179:180], v[2:3], v[12:13]
	v_mul_f64 v[12:13], v[4:5], v[12:13]
	v_add_f64 v[173:174], v[175:176], 0
	v_add_f64 v[175:176], v[177:178], 0
	s_waitcnt vmcnt(9) lgkmcnt(0)
	v_mul_f64 v[177:178], v[169:170], v[16:17]
	v_mul_f64 v[16:17], v[171:172], v[16:17]
	v_fma_f64 v[179:180], v[4:5], v[10:11], v[179:180]
	v_fma_f64 v[181:182], v[2:3], v[10:11], -v[12:13]
	ds_load_b128 v[2:5], v1 offset:928
	scratch_load_b128 v[10:13], off, off offset:448
	v_add_f64 v[173:174], v[173:174], v[42:43]
	v_add_f64 v[175:176], v[175:176], v[44:45]
	ds_load_b128 v[42:45], v1 offset:944
	v_fma_f64 v[171:172], v[171:172], v[14:15], v[177:178]
	v_fma_f64 v[169:170], v[169:170], v[14:15], -v[16:17]
	scratch_load_b128 v[14:17], off, off offset:464
	s_waitcnt vmcnt(10) lgkmcnt(1)
	v_mul_f64 v[183:184], v[2:3], v[20:21]
	v_mul_f64 v[20:21], v[4:5], v[20:21]
	s_waitcnt vmcnt(9) lgkmcnt(0)
	v_mul_f64 v[177:178], v[42:43], v[24:25]
	v_mul_f64 v[24:25], v[44:45], v[24:25]
	v_add_f64 v[173:174], v[173:174], v[181:182]
	v_add_f64 v[175:176], v[175:176], v[179:180]
	v_fma_f64 v[179:180], v[4:5], v[18:19], v[183:184]
	v_fma_f64 v[181:182], v[2:3], v[18:19], -v[20:21]
	ds_load_b128 v[2:5], v1 offset:960
	scratch_load_b128 v[18:21], off, off offset:480
	v_fma_f64 v[44:45], v[44:45], v[22:23], v[177:178]
	v_fma_f64 v[42:43], v[42:43], v[22:23], -v[24:25]
	scratch_load_b128 v[22:25], off, off offset:496
	v_add_f64 v[173:174], v[173:174], v[169:170]
	v_add_f64 v[175:176], v[175:176], v[171:172]
	ds_load_b128 v[169:172], v1 offset:976
	s_waitcnt vmcnt(10) lgkmcnt(1)
	v_mul_f64 v[183:184], v[2:3], v[28:29]
	v_mul_f64 v[28:29], v[4:5], v[28:29]
	s_waitcnt vmcnt(9) lgkmcnt(0)
	v_mul_f64 v[177:178], v[169:170], v[32:33]
	v_mul_f64 v[32:33], v[171:172], v[32:33]
	v_add_f64 v[173:174], v[173:174], v[181:182]
	v_add_f64 v[175:176], v[175:176], v[179:180]
	v_fma_f64 v[179:180], v[4:5], v[26:27], v[183:184]
	v_fma_f64 v[181:182], v[2:3], v[26:27], -v[28:29]
	ds_load_b128 v[2:5], v1 offset:992
	scratch_load_b128 v[26:29], off, off offset:512
	v_fma_f64 v[171:172], v[171:172], v[30:31], v[177:178]
	v_fma_f64 v[169:170], v[169:170], v[30:31], -v[32:33]
	scratch_load_b128 v[30:33], off, off offset:528
	v_add_f64 v[173:174], v[173:174], v[42:43]
	v_add_f64 v[175:176], v[175:176], v[44:45]
	ds_load_b128 v[42:45], v1 offset:1008
	s_waitcnt vmcnt(10) lgkmcnt(1)
	v_mul_f64 v[183:184], v[2:3], v[36:37]
	v_mul_f64 v[36:37], v[4:5], v[36:37]
	s_waitcnt vmcnt(8) lgkmcnt(0)
	v_mul_f64 v[177:178], v[42:43], v[167:168]
	v_add_f64 v[173:174], v[173:174], v[181:182]
	v_add_f64 v[175:176], v[175:176], v[179:180]
	v_mul_f64 v[179:180], v[44:45], v[167:168]
	v_fma_f64 v[181:182], v[4:5], v[34:35], v[183:184]
	v_fma_f64 v[183:184], v[2:3], v[34:35], -v[36:37]
	ds_load_b128 v[2:5], v1 offset:1024
	scratch_load_b128 v[34:37], off, off offset:544
	v_fma_f64 v[44:45], v[44:45], v[165:166], v[177:178]
	v_add_f64 v[173:174], v[173:174], v[169:170]
	v_add_f64 v[171:172], v[175:176], v[171:172]
	ds_load_b128 v[167:170], v1 offset:1040
	v_fma_f64 v[165:166], v[42:43], v[165:166], -v[179:180]
	s_waitcnt vmcnt(8) lgkmcnt(1)
	v_mul_f64 v[175:176], v[2:3], v[40:41]
	v_mul_f64 v[185:186], v[4:5], v[40:41]
	scratch_load_b128 v[40:43], off, off offset:560
	s_waitcnt vmcnt(8) lgkmcnt(0)
	v_mul_f64 v[179:180], v[167:168], v[8:9]
	v_mul_f64 v[8:9], v[169:170], v[8:9]
	v_add_f64 v[173:174], v[173:174], v[183:184]
	v_add_f64 v[171:172], v[171:172], v[181:182]
	v_fma_f64 v[181:182], v[4:5], v[38:39], v[175:176]
	v_fma_f64 v[38:39], v[2:3], v[38:39], -v[185:186]
	ds_load_b128 v[2:5], v1 offset:1056
	ds_load_b128 v[175:178], v1 offset:1072
	v_fma_f64 v[169:170], v[169:170], v[6:7], v[179:180]
	v_fma_f64 v[167:168], v[167:168], v[6:7], -v[8:9]
	scratch_load_b128 v[6:9], off, off offset:592
	v_add_f64 v[165:166], v[173:174], v[165:166]
	v_add_f64 v[44:45], v[171:172], v[44:45]
	scratch_load_b128 v[171:174], off, off offset:576
	s_waitcnt vmcnt(9) lgkmcnt(1)
	v_mul_f64 v[183:184], v[2:3], v[12:13]
	v_mul_f64 v[12:13], v[4:5], v[12:13]
	v_add_f64 v[38:39], v[165:166], v[38:39]
	v_add_f64 v[44:45], v[44:45], v[181:182]
	s_waitcnt vmcnt(8) lgkmcnt(0)
	v_mul_f64 v[165:166], v[175:176], v[16:17]
	v_mul_f64 v[16:17], v[177:178], v[16:17]
	v_fma_f64 v[179:180], v[4:5], v[10:11], v[183:184]
	v_fma_f64 v[181:182], v[2:3], v[10:11], -v[12:13]
	ds_load_b128 v[2:5], v1 offset:1088
	ds_load_b128 v[10:13], v1 offset:1104
	v_add_f64 v[38:39], v[38:39], v[167:168]
	v_add_f64 v[44:45], v[44:45], v[169:170]
	s_waitcnt vmcnt(7) lgkmcnt(1)
	v_mul_f64 v[167:168], v[2:3], v[20:21]
	v_mul_f64 v[20:21], v[4:5], v[20:21]
	v_fma_f64 v[165:166], v[177:178], v[14:15], v[165:166]
	v_fma_f64 v[14:15], v[175:176], v[14:15], -v[16:17]
	v_add_f64 v[16:17], v[38:39], v[181:182]
	v_add_f64 v[38:39], v[44:45], v[179:180]
	s_waitcnt vmcnt(6) lgkmcnt(0)
	v_mul_f64 v[44:45], v[10:11], v[24:25]
	v_mul_f64 v[24:25], v[12:13], v[24:25]
	v_fma_f64 v[167:168], v[4:5], v[18:19], v[167:168]
	v_fma_f64 v[18:19], v[2:3], v[18:19], -v[20:21]
	v_add_f64 v[20:21], v[16:17], v[14:15]
	v_add_f64 v[38:39], v[38:39], v[165:166]
	ds_load_b128 v[2:5], v1 offset:1120
	ds_load_b128 v[14:17], v1 offset:1136
	v_fma_f64 v[12:13], v[12:13], v[22:23], v[44:45]
	v_fma_f64 v[10:11], v[10:11], v[22:23], -v[24:25]
	s_waitcnt vmcnt(5) lgkmcnt(1)
	v_mul_f64 v[165:166], v[2:3], v[28:29]
	v_mul_f64 v[28:29], v[4:5], v[28:29]
	s_waitcnt vmcnt(4) lgkmcnt(0)
	v_mul_f64 v[22:23], v[14:15], v[32:33]
	v_mul_f64 v[24:25], v[16:17], v[32:33]
	v_add_f64 v[18:19], v[20:21], v[18:19]
	v_add_f64 v[20:21], v[38:39], v[167:168]
	v_fma_f64 v[32:33], v[4:5], v[26:27], v[165:166]
	v_fma_f64 v[26:27], v[2:3], v[26:27], -v[28:29]
	v_fma_f64 v[16:17], v[16:17], v[30:31], v[22:23]
	v_fma_f64 v[14:15], v[14:15], v[30:31], -v[24:25]
	v_add_f64 v[18:19], v[18:19], v[10:11]
	v_add_f64 v[20:21], v[20:21], v[12:13]
	ds_load_b128 v[2:5], v1 offset:1152
	ds_load_b128 v[10:13], v1 offset:1168
	s_waitcnt vmcnt(3) lgkmcnt(1)
	v_mul_f64 v[28:29], v[2:3], v[36:37]
	v_mul_f64 v[36:37], v[4:5], v[36:37]
	s_waitcnt vmcnt(2) lgkmcnt(0)
	v_mul_f64 v[22:23], v[10:11], v[42:43]
	v_add_f64 v[18:19], v[18:19], v[26:27]
	v_add_f64 v[20:21], v[20:21], v[32:33]
	v_mul_f64 v[24:25], v[12:13], v[42:43]
	v_fma_f64 v[26:27], v[4:5], v[34:35], v[28:29]
	v_fma_f64 v[28:29], v[2:3], v[34:35], -v[36:37]
	v_fma_f64 v[12:13], v[12:13], v[40:41], v[22:23]
	v_add_f64 v[18:19], v[18:19], v[14:15]
	v_add_f64 v[20:21], v[20:21], v[16:17]
	ds_load_b128 v[2:5], v1 offset:1184
	ds_load_b128 v[14:17], v1 offset:1200
	v_fma_f64 v[10:11], v[10:11], v[40:41], -v[24:25]
	s_waitcnt vmcnt(0) lgkmcnt(1)
	v_mul_f64 v[30:31], v[2:3], v[173:174]
	v_mul_f64 v[32:33], v[4:5], v[173:174]
	s_waitcnt lgkmcnt(0)
	v_mul_f64 v[22:23], v[14:15], v[8:9]
	v_mul_f64 v[8:9], v[16:17], v[8:9]
	v_add_f64 v[18:19], v[18:19], v[28:29]
	v_add_f64 v[20:21], v[20:21], v[26:27]
	v_fma_f64 v[4:5], v[4:5], v[171:172], v[30:31]
	v_fma_f64 v[1:2], v[2:3], v[171:172], -v[32:33]
	v_fma_f64 v[16:17], v[16:17], v[6:7], v[22:23]
	v_fma_f64 v[6:7], v[14:15], v[6:7], -v[8:9]
	v_add_f64 v[10:11], v[18:19], v[10:11]
	v_add_f64 v[12:13], v[20:21], v[12:13]
	s_delay_alu instid0(VALU_DEP_2) | instskip(NEXT) | instid1(VALU_DEP_2)
	v_add_f64 v[1:2], v[10:11], v[1:2]
	v_add_f64 v[3:4], v[12:13], v[4:5]
	s_delay_alu instid0(VALU_DEP_2) | instskip(NEXT) | instid1(VALU_DEP_2)
	;; [unrolled: 3-line block ×3, first 2 shown]
	v_add_f64 v[1:2], v[161:162], -v[1:2]
	v_add_f64 v[3:4], v[163:164], -v[3:4]
	scratch_store_b128 off, v[1:4], off offset:240
	v_cmpx_lt_u32_e32 14, v122
	s_cbranch_execz .LBB101_213
; %bb.212:
	scratch_load_b128 v[1:4], v148, off
	v_mov_b32_e32 v5, 0
	s_delay_alu instid0(VALU_DEP_1)
	v_mov_b32_e32 v6, v5
	v_mov_b32_e32 v7, v5
	;; [unrolled: 1-line block ×3, first 2 shown]
	scratch_store_b128 off, v[5:8], off offset:224
	s_waitcnt vmcnt(0)
	ds_store_b128 v160, v[1:4]
.LBB101_213:
	s_or_b32 exec_lo, exec_lo, s2
	s_waitcnt lgkmcnt(0)
	s_waitcnt_vscnt null, 0x0
	s_barrier
	buffer_gl0_inv
	s_clause 0x7
	scratch_load_b128 v[2:5], off, off offset:240
	scratch_load_b128 v[6:9], off, off offset:256
	;; [unrolled: 1-line block ×8, first 2 shown]
	v_mov_b32_e32 v1, 0
	s_mov_b32 s2, exec_lo
	ds_load_b128 v[34:37], v1 offset:848
	s_clause 0x1
	scratch_load_b128 v[38:41], off, off offset:368
	scratch_load_b128 v[42:45], off, off offset:224
	ds_load_b128 v[161:164], v1 offset:864
	scratch_load_b128 v[165:168], off, off offset:384
	s_waitcnt vmcnt(10) lgkmcnt(1)
	v_mul_f64 v[169:170], v[36:37], v[4:5]
	v_mul_f64 v[4:5], v[34:35], v[4:5]
	s_delay_alu instid0(VALU_DEP_2) | instskip(NEXT) | instid1(VALU_DEP_2)
	v_fma_f64 v[175:176], v[34:35], v[2:3], -v[169:170]
	v_fma_f64 v[177:178], v[36:37], v[2:3], v[4:5]
	scratch_load_b128 v[34:37], off, off offset:400
	ds_load_b128 v[2:5], v1 offset:880
	s_waitcnt vmcnt(10) lgkmcnt(1)
	v_mul_f64 v[173:174], v[161:162], v[8:9]
	v_mul_f64 v[8:9], v[163:164], v[8:9]
	ds_load_b128 v[169:172], v1 offset:896
	s_waitcnt vmcnt(9) lgkmcnt(1)
	v_mul_f64 v[179:180], v[2:3], v[12:13]
	v_mul_f64 v[12:13], v[4:5], v[12:13]
	v_fma_f64 v[163:164], v[163:164], v[6:7], v[173:174]
	v_fma_f64 v[161:162], v[161:162], v[6:7], -v[8:9]
	v_add_f64 v[173:174], v[175:176], 0
	v_add_f64 v[175:176], v[177:178], 0
	scratch_load_b128 v[6:9], off, off offset:416
	v_fma_f64 v[179:180], v[4:5], v[10:11], v[179:180]
	v_fma_f64 v[181:182], v[2:3], v[10:11], -v[12:13]
	scratch_load_b128 v[10:13], off, off offset:432
	ds_load_b128 v[2:5], v1 offset:912
	s_waitcnt vmcnt(10) lgkmcnt(1)
	v_mul_f64 v[177:178], v[169:170], v[16:17]
	v_mul_f64 v[16:17], v[171:172], v[16:17]
	v_add_f64 v[173:174], v[173:174], v[161:162]
	v_add_f64 v[175:176], v[175:176], v[163:164]
	s_waitcnt vmcnt(9) lgkmcnt(0)
	v_mul_f64 v[183:184], v[2:3], v[20:21]
	v_mul_f64 v[20:21], v[4:5], v[20:21]
	ds_load_b128 v[161:164], v1 offset:928
	v_fma_f64 v[171:172], v[171:172], v[14:15], v[177:178]
	v_fma_f64 v[169:170], v[169:170], v[14:15], -v[16:17]
	scratch_load_b128 v[14:17], off, off offset:448
	v_add_f64 v[173:174], v[173:174], v[181:182]
	v_add_f64 v[175:176], v[175:176], v[179:180]
	v_fma_f64 v[179:180], v[4:5], v[18:19], v[183:184]
	v_fma_f64 v[181:182], v[2:3], v[18:19], -v[20:21]
	scratch_load_b128 v[18:21], off, off offset:464
	ds_load_b128 v[2:5], v1 offset:944
	s_waitcnt vmcnt(10) lgkmcnt(1)
	v_mul_f64 v[177:178], v[161:162], v[24:25]
	v_mul_f64 v[24:25], v[163:164], v[24:25]
	s_waitcnt vmcnt(9) lgkmcnt(0)
	v_mul_f64 v[183:184], v[2:3], v[28:29]
	v_mul_f64 v[28:29], v[4:5], v[28:29]
	v_add_f64 v[173:174], v[173:174], v[169:170]
	v_add_f64 v[175:176], v[175:176], v[171:172]
	ds_load_b128 v[169:172], v1 offset:960
	v_fma_f64 v[163:164], v[163:164], v[22:23], v[177:178]
	v_fma_f64 v[161:162], v[161:162], v[22:23], -v[24:25]
	scratch_load_b128 v[22:25], off, off offset:480
	v_add_f64 v[173:174], v[173:174], v[181:182]
	v_add_f64 v[175:176], v[175:176], v[179:180]
	v_fma_f64 v[179:180], v[4:5], v[26:27], v[183:184]
	v_fma_f64 v[181:182], v[2:3], v[26:27], -v[28:29]
	scratch_load_b128 v[26:29], off, off offset:496
	ds_load_b128 v[2:5], v1 offset:976
	s_waitcnt vmcnt(10) lgkmcnt(1)
	v_mul_f64 v[177:178], v[169:170], v[32:33]
	v_mul_f64 v[32:33], v[171:172], v[32:33]
	s_waitcnt vmcnt(9) lgkmcnt(0)
	v_mul_f64 v[183:184], v[2:3], v[40:41]
	v_mul_f64 v[40:41], v[4:5], v[40:41]
	v_add_f64 v[173:174], v[173:174], v[161:162]
	v_add_f64 v[175:176], v[175:176], v[163:164]
	ds_load_b128 v[161:164], v1 offset:992
	v_fma_f64 v[171:172], v[171:172], v[30:31], v[177:178]
	v_fma_f64 v[169:170], v[169:170], v[30:31], -v[32:33]
	scratch_load_b128 v[30:33], off, off offset:512
	v_add_f64 v[173:174], v[173:174], v[181:182]
	v_add_f64 v[175:176], v[175:176], v[179:180]
	v_fma_f64 v[181:182], v[4:5], v[38:39], v[183:184]
	v_fma_f64 v[183:184], v[2:3], v[38:39], -v[40:41]
	scratch_load_b128 v[38:41], off, off offset:528
	ds_load_b128 v[2:5], v1 offset:1008
	s_waitcnt vmcnt(9) lgkmcnt(1)
	v_mul_f64 v[177:178], v[161:162], v[167:168]
	v_mul_f64 v[179:180], v[163:164], v[167:168]
	v_add_f64 v[173:174], v[173:174], v[169:170]
	v_add_f64 v[171:172], v[175:176], v[171:172]
	ds_load_b128 v[167:170], v1 offset:1024
	v_fma_f64 v[177:178], v[163:164], v[165:166], v[177:178]
	v_fma_f64 v[165:166], v[161:162], v[165:166], -v[179:180]
	scratch_load_b128 v[161:164], off, off offset:544
	s_waitcnt vmcnt(9) lgkmcnt(1)
	v_mul_f64 v[175:176], v[2:3], v[36:37]
	v_mul_f64 v[36:37], v[4:5], v[36:37]
	v_add_f64 v[173:174], v[173:174], v[183:184]
	v_add_f64 v[171:172], v[171:172], v[181:182]
	s_delay_alu instid0(VALU_DEP_4) | instskip(NEXT) | instid1(VALU_DEP_4)
	v_fma_f64 v[175:176], v[4:5], v[34:35], v[175:176]
	v_fma_f64 v[181:182], v[2:3], v[34:35], -v[36:37]
	scratch_load_b128 v[34:37], off, off offset:560
	ds_load_b128 v[2:5], v1 offset:1040
	s_waitcnt vmcnt(9) lgkmcnt(1)
	v_mul_f64 v[179:180], v[167:168], v[8:9]
	v_mul_f64 v[8:9], v[169:170], v[8:9]
	s_waitcnt vmcnt(8) lgkmcnt(0)
	v_mul_f64 v[183:184], v[2:3], v[12:13]
	v_mul_f64 v[12:13], v[4:5], v[12:13]
	v_add_f64 v[165:166], v[173:174], v[165:166]
	v_add_f64 v[177:178], v[171:172], v[177:178]
	ds_load_b128 v[171:174], v1 offset:1056
	v_fma_f64 v[169:170], v[169:170], v[6:7], v[179:180]
	v_fma_f64 v[167:168], v[167:168], v[6:7], -v[8:9]
	scratch_load_b128 v[6:9], off, off offset:576
	v_fma_f64 v[179:180], v[4:5], v[10:11], v[183:184]
	v_add_f64 v[165:166], v[165:166], v[181:182]
	v_add_f64 v[175:176], v[177:178], v[175:176]
	v_fma_f64 v[181:182], v[2:3], v[10:11], -v[12:13]
	scratch_load_b128 v[10:13], off, off offset:592
	ds_load_b128 v[2:5], v1 offset:1072
	s_waitcnt vmcnt(9) lgkmcnt(1)
	v_mul_f64 v[177:178], v[171:172], v[16:17]
	v_mul_f64 v[16:17], v[173:174], v[16:17]
	v_add_f64 v[183:184], v[165:166], v[167:168]
	v_add_f64 v[169:170], v[175:176], v[169:170]
	s_waitcnt vmcnt(8) lgkmcnt(0)
	v_mul_f64 v[175:176], v[2:3], v[20:21]
	v_mul_f64 v[20:21], v[4:5], v[20:21]
	ds_load_b128 v[165:168], v1 offset:1088
	v_fma_f64 v[173:174], v[173:174], v[14:15], v[177:178]
	v_fma_f64 v[14:15], v[171:172], v[14:15], -v[16:17]
	s_waitcnt vmcnt(7) lgkmcnt(0)
	v_mul_f64 v[171:172], v[165:166], v[24:25]
	v_mul_f64 v[24:25], v[167:168], v[24:25]
	v_add_f64 v[16:17], v[183:184], v[181:182]
	v_add_f64 v[169:170], v[169:170], v[179:180]
	v_fma_f64 v[175:176], v[4:5], v[18:19], v[175:176]
	v_fma_f64 v[18:19], v[2:3], v[18:19], -v[20:21]
	v_fma_f64 v[167:168], v[167:168], v[22:23], v[171:172]
	v_fma_f64 v[22:23], v[165:166], v[22:23], -v[24:25]
	v_add_f64 v[20:21], v[16:17], v[14:15]
	v_add_f64 v[169:170], v[169:170], v[173:174]
	ds_load_b128 v[2:5], v1 offset:1104
	ds_load_b128 v[14:17], v1 offset:1120
	s_waitcnt vmcnt(6) lgkmcnt(1)
	v_mul_f64 v[173:174], v[2:3], v[28:29]
	v_mul_f64 v[28:29], v[4:5], v[28:29]
	s_waitcnt vmcnt(5) lgkmcnt(0)
	v_mul_f64 v[24:25], v[14:15], v[32:33]
	v_mul_f64 v[32:33], v[16:17], v[32:33]
	v_add_f64 v[18:19], v[20:21], v[18:19]
	v_add_f64 v[20:21], v[169:170], v[175:176]
	v_fma_f64 v[165:166], v[4:5], v[26:27], v[173:174]
	v_fma_f64 v[26:27], v[2:3], v[26:27], -v[28:29]
	v_fma_f64 v[16:17], v[16:17], v[30:31], v[24:25]
	v_fma_f64 v[14:15], v[14:15], v[30:31], -v[32:33]
	v_add_f64 v[22:23], v[18:19], v[22:23]
	v_add_f64 v[28:29], v[20:21], v[167:168]
	ds_load_b128 v[2:5], v1 offset:1136
	ds_load_b128 v[18:21], v1 offset:1152
	s_waitcnt vmcnt(4) lgkmcnt(1)
	v_mul_f64 v[167:168], v[2:3], v[40:41]
	v_mul_f64 v[40:41], v[4:5], v[40:41]
	v_add_f64 v[22:23], v[22:23], v[26:27]
	v_add_f64 v[24:25], v[28:29], v[165:166]
	s_waitcnt vmcnt(3) lgkmcnt(0)
	v_mul_f64 v[26:27], v[18:19], v[163:164]
	v_mul_f64 v[28:29], v[20:21], v[163:164]
	v_fma_f64 v[30:31], v[4:5], v[38:39], v[167:168]
	v_fma_f64 v[32:33], v[2:3], v[38:39], -v[40:41]
	v_add_f64 v[22:23], v[22:23], v[14:15]
	v_add_f64 v[24:25], v[24:25], v[16:17]
	ds_load_b128 v[2:5], v1 offset:1168
	ds_load_b128 v[14:17], v1 offset:1184
	v_fma_f64 v[20:21], v[20:21], v[161:162], v[26:27]
	v_fma_f64 v[18:19], v[18:19], v[161:162], -v[28:29]
	s_waitcnt vmcnt(2) lgkmcnt(1)
	v_mul_f64 v[38:39], v[2:3], v[36:37]
	v_mul_f64 v[36:37], v[4:5], v[36:37]
	s_waitcnt vmcnt(1) lgkmcnt(0)
	v_mul_f64 v[26:27], v[14:15], v[8:9]
	v_mul_f64 v[8:9], v[16:17], v[8:9]
	v_add_f64 v[22:23], v[22:23], v[32:33]
	v_add_f64 v[24:25], v[24:25], v[30:31]
	v_fma_f64 v[28:29], v[4:5], v[34:35], v[38:39]
	v_fma_f64 v[30:31], v[2:3], v[34:35], -v[36:37]
	ds_load_b128 v[2:5], v1 offset:1200
	v_fma_f64 v[16:17], v[16:17], v[6:7], v[26:27]
	v_fma_f64 v[6:7], v[14:15], v[6:7], -v[8:9]
	v_add_f64 v[18:19], v[22:23], v[18:19]
	v_add_f64 v[20:21], v[24:25], v[20:21]
	s_waitcnt vmcnt(0) lgkmcnt(0)
	v_mul_f64 v[22:23], v[2:3], v[12:13]
	v_mul_f64 v[12:13], v[4:5], v[12:13]
	s_delay_alu instid0(VALU_DEP_4) | instskip(NEXT) | instid1(VALU_DEP_4)
	v_add_f64 v[8:9], v[18:19], v[30:31]
	v_add_f64 v[14:15], v[20:21], v[28:29]
	s_delay_alu instid0(VALU_DEP_4) | instskip(NEXT) | instid1(VALU_DEP_4)
	v_fma_f64 v[4:5], v[4:5], v[10:11], v[22:23]
	v_fma_f64 v[2:3], v[2:3], v[10:11], -v[12:13]
	s_delay_alu instid0(VALU_DEP_4) | instskip(NEXT) | instid1(VALU_DEP_4)
	v_add_f64 v[6:7], v[8:9], v[6:7]
	v_add_f64 v[8:9], v[14:15], v[16:17]
	s_delay_alu instid0(VALU_DEP_2) | instskip(NEXT) | instid1(VALU_DEP_2)
	v_add_f64 v[2:3], v[6:7], v[2:3]
	v_add_f64 v[4:5], v[8:9], v[4:5]
	s_delay_alu instid0(VALU_DEP_2) | instskip(NEXT) | instid1(VALU_DEP_2)
	v_add_f64 v[2:3], v[42:43], -v[2:3]
	v_add_f64 v[4:5], v[44:45], -v[4:5]
	scratch_store_b128 off, v[2:5], off offset:224
	v_cmpx_lt_u32_e32 13, v122
	s_cbranch_execz .LBB101_215
; %bb.214:
	scratch_load_b128 v[5:8], v150, off
	v_mov_b32_e32 v2, v1
	v_mov_b32_e32 v3, v1
	;; [unrolled: 1-line block ×3, first 2 shown]
	scratch_store_b128 off, v[1:4], off offset:208
	s_waitcnt vmcnt(0)
	ds_store_b128 v160, v[5:8]
.LBB101_215:
	s_or_b32 exec_lo, exec_lo, s2
	s_waitcnt lgkmcnt(0)
	s_waitcnt_vscnt null, 0x0
	s_barrier
	buffer_gl0_inv
	s_clause 0x8
	scratch_load_b128 v[2:5], off, off offset:224
	scratch_load_b128 v[6:9], off, off offset:240
	scratch_load_b128 v[10:13], off, off offset:256
	scratch_load_b128 v[14:17], off, off offset:272
	scratch_load_b128 v[18:21], off, off offset:288
	scratch_load_b128 v[22:25], off, off offset:304
	scratch_load_b128 v[26:29], off, off offset:320
	scratch_load_b128 v[30:33], off, off offset:336
	scratch_load_b128 v[34:37], off, off offset:352
	ds_load_b128 v[38:41], v1 offset:832
	ds_load_b128 v[42:45], v1 offset:848
	s_clause 0x1
	scratch_load_b128 v[161:164], off, off offset:208
	scratch_load_b128 v[165:168], off, off offset:368
	s_mov_b32 s2, exec_lo
	s_waitcnt vmcnt(10) lgkmcnt(1)
	v_mul_f64 v[169:170], v[40:41], v[4:5]
	v_mul_f64 v[4:5], v[38:39], v[4:5]
	s_waitcnt vmcnt(9) lgkmcnt(0)
	v_mul_f64 v[173:174], v[42:43], v[8:9]
	v_mul_f64 v[8:9], v[44:45], v[8:9]
	s_delay_alu instid0(VALU_DEP_4) | instskip(NEXT) | instid1(VALU_DEP_4)
	v_fma_f64 v[175:176], v[38:39], v[2:3], -v[169:170]
	v_fma_f64 v[177:178], v[40:41], v[2:3], v[4:5]
	ds_load_b128 v[2:5], v1 offset:864
	ds_load_b128 v[169:172], v1 offset:880
	scratch_load_b128 v[38:41], off, off offset:384
	v_fma_f64 v[44:45], v[44:45], v[6:7], v[173:174]
	v_fma_f64 v[42:43], v[42:43], v[6:7], -v[8:9]
	scratch_load_b128 v[6:9], off, off offset:400
	s_waitcnt vmcnt(10) lgkmcnt(1)
	v_mul_f64 v[179:180], v[2:3], v[12:13]
	v_mul_f64 v[12:13], v[4:5], v[12:13]
	v_add_f64 v[173:174], v[175:176], 0
	v_add_f64 v[175:176], v[177:178], 0
	s_waitcnt vmcnt(9) lgkmcnt(0)
	v_mul_f64 v[177:178], v[169:170], v[16:17]
	v_mul_f64 v[16:17], v[171:172], v[16:17]
	v_fma_f64 v[179:180], v[4:5], v[10:11], v[179:180]
	v_fma_f64 v[181:182], v[2:3], v[10:11], -v[12:13]
	ds_load_b128 v[2:5], v1 offset:896
	scratch_load_b128 v[10:13], off, off offset:416
	v_add_f64 v[173:174], v[173:174], v[42:43]
	v_add_f64 v[175:176], v[175:176], v[44:45]
	ds_load_b128 v[42:45], v1 offset:912
	v_fma_f64 v[171:172], v[171:172], v[14:15], v[177:178]
	v_fma_f64 v[169:170], v[169:170], v[14:15], -v[16:17]
	scratch_load_b128 v[14:17], off, off offset:432
	s_waitcnt vmcnt(10) lgkmcnt(1)
	v_mul_f64 v[183:184], v[2:3], v[20:21]
	v_mul_f64 v[20:21], v[4:5], v[20:21]
	s_waitcnt vmcnt(9) lgkmcnt(0)
	v_mul_f64 v[177:178], v[42:43], v[24:25]
	v_mul_f64 v[24:25], v[44:45], v[24:25]
	v_add_f64 v[173:174], v[173:174], v[181:182]
	v_add_f64 v[175:176], v[175:176], v[179:180]
	v_fma_f64 v[179:180], v[4:5], v[18:19], v[183:184]
	v_fma_f64 v[181:182], v[2:3], v[18:19], -v[20:21]
	ds_load_b128 v[2:5], v1 offset:928
	scratch_load_b128 v[18:21], off, off offset:448
	v_fma_f64 v[44:45], v[44:45], v[22:23], v[177:178]
	v_fma_f64 v[42:43], v[42:43], v[22:23], -v[24:25]
	scratch_load_b128 v[22:25], off, off offset:464
	v_add_f64 v[173:174], v[173:174], v[169:170]
	v_add_f64 v[175:176], v[175:176], v[171:172]
	ds_load_b128 v[169:172], v1 offset:944
	s_waitcnt vmcnt(10) lgkmcnt(1)
	v_mul_f64 v[183:184], v[2:3], v[28:29]
	v_mul_f64 v[28:29], v[4:5], v[28:29]
	s_waitcnt vmcnt(9) lgkmcnt(0)
	v_mul_f64 v[177:178], v[169:170], v[32:33]
	v_mul_f64 v[32:33], v[171:172], v[32:33]
	v_add_f64 v[173:174], v[173:174], v[181:182]
	v_add_f64 v[175:176], v[175:176], v[179:180]
	v_fma_f64 v[179:180], v[4:5], v[26:27], v[183:184]
	v_fma_f64 v[181:182], v[2:3], v[26:27], -v[28:29]
	ds_load_b128 v[2:5], v1 offset:960
	scratch_load_b128 v[26:29], off, off offset:480
	v_fma_f64 v[171:172], v[171:172], v[30:31], v[177:178]
	v_fma_f64 v[169:170], v[169:170], v[30:31], -v[32:33]
	scratch_load_b128 v[30:33], off, off offset:496
	v_add_f64 v[173:174], v[173:174], v[42:43]
	v_add_f64 v[175:176], v[175:176], v[44:45]
	ds_load_b128 v[42:45], v1 offset:976
	s_waitcnt vmcnt(10) lgkmcnt(1)
	v_mul_f64 v[183:184], v[2:3], v[36:37]
	v_mul_f64 v[36:37], v[4:5], v[36:37]
	s_waitcnt vmcnt(8) lgkmcnt(0)
	v_mul_f64 v[177:178], v[42:43], v[167:168]
	v_add_f64 v[173:174], v[173:174], v[181:182]
	v_add_f64 v[175:176], v[175:176], v[179:180]
	v_mul_f64 v[179:180], v[44:45], v[167:168]
	v_fma_f64 v[181:182], v[4:5], v[34:35], v[183:184]
	v_fma_f64 v[183:184], v[2:3], v[34:35], -v[36:37]
	ds_load_b128 v[2:5], v1 offset:992
	scratch_load_b128 v[34:37], off, off offset:512
	v_fma_f64 v[44:45], v[44:45], v[165:166], v[177:178]
	v_add_f64 v[173:174], v[173:174], v[169:170]
	v_add_f64 v[171:172], v[175:176], v[171:172]
	ds_load_b128 v[167:170], v1 offset:1008
	v_fma_f64 v[165:166], v[42:43], v[165:166], -v[179:180]
	s_waitcnt vmcnt(8) lgkmcnt(1)
	v_mul_f64 v[175:176], v[2:3], v[40:41]
	v_mul_f64 v[185:186], v[4:5], v[40:41]
	scratch_load_b128 v[40:43], off, off offset:528
	s_waitcnt vmcnt(8) lgkmcnt(0)
	v_mul_f64 v[179:180], v[167:168], v[8:9]
	v_mul_f64 v[8:9], v[169:170], v[8:9]
	v_add_f64 v[173:174], v[173:174], v[183:184]
	v_add_f64 v[171:172], v[171:172], v[181:182]
	v_fma_f64 v[181:182], v[4:5], v[38:39], v[175:176]
	v_fma_f64 v[38:39], v[2:3], v[38:39], -v[185:186]
	ds_load_b128 v[2:5], v1 offset:1024
	ds_load_b128 v[175:178], v1 offset:1040
	v_fma_f64 v[169:170], v[169:170], v[6:7], v[179:180]
	v_fma_f64 v[167:168], v[167:168], v[6:7], -v[8:9]
	scratch_load_b128 v[6:9], off, off offset:560
	v_add_f64 v[165:166], v[173:174], v[165:166]
	v_add_f64 v[44:45], v[171:172], v[44:45]
	scratch_load_b128 v[171:174], off, off offset:544
	s_waitcnt vmcnt(9) lgkmcnt(1)
	v_mul_f64 v[183:184], v[2:3], v[12:13]
	v_mul_f64 v[12:13], v[4:5], v[12:13]
	s_waitcnt vmcnt(8) lgkmcnt(0)
	v_mul_f64 v[179:180], v[175:176], v[16:17]
	v_mul_f64 v[16:17], v[177:178], v[16:17]
	v_add_f64 v[38:39], v[165:166], v[38:39]
	v_add_f64 v[44:45], v[44:45], v[181:182]
	v_fma_f64 v[181:182], v[4:5], v[10:11], v[183:184]
	v_fma_f64 v[183:184], v[2:3], v[10:11], -v[12:13]
	ds_load_b128 v[2:5], v1 offset:1056
	scratch_load_b128 v[10:13], off, off offset:576
	v_fma_f64 v[177:178], v[177:178], v[14:15], v[179:180]
	v_fma_f64 v[175:176], v[175:176], v[14:15], -v[16:17]
	scratch_load_b128 v[14:17], off, off offset:592
	v_add_f64 v[38:39], v[38:39], v[167:168]
	v_add_f64 v[44:45], v[44:45], v[169:170]
	ds_load_b128 v[165:168], v1 offset:1072
	s_waitcnt vmcnt(9) lgkmcnt(1)
	v_mul_f64 v[169:170], v[2:3], v[20:21]
	v_mul_f64 v[20:21], v[4:5], v[20:21]
	s_waitcnt vmcnt(8) lgkmcnt(0)
	v_mul_f64 v[179:180], v[165:166], v[24:25]
	v_mul_f64 v[24:25], v[167:168], v[24:25]
	v_add_f64 v[38:39], v[38:39], v[183:184]
	v_add_f64 v[44:45], v[44:45], v[181:182]
	v_fma_f64 v[169:170], v[4:5], v[18:19], v[169:170]
	v_fma_f64 v[181:182], v[2:3], v[18:19], -v[20:21]
	ds_load_b128 v[2:5], v1 offset:1088
	ds_load_b128 v[18:21], v1 offset:1104
	v_fma_f64 v[167:168], v[167:168], v[22:23], v[179:180]
	v_fma_f64 v[22:23], v[165:166], v[22:23], -v[24:25]
	v_add_f64 v[38:39], v[38:39], v[175:176]
	v_add_f64 v[44:45], v[44:45], v[177:178]
	s_waitcnt vmcnt(7) lgkmcnt(1)
	v_mul_f64 v[175:176], v[2:3], v[28:29]
	v_mul_f64 v[28:29], v[4:5], v[28:29]
	s_delay_alu instid0(VALU_DEP_4) | instskip(NEXT) | instid1(VALU_DEP_4)
	v_add_f64 v[24:25], v[38:39], v[181:182]
	v_add_f64 v[38:39], v[44:45], v[169:170]
	s_waitcnt vmcnt(6) lgkmcnt(0)
	v_mul_f64 v[44:45], v[18:19], v[32:33]
	v_mul_f64 v[32:33], v[20:21], v[32:33]
	v_fma_f64 v[165:166], v[4:5], v[26:27], v[175:176]
	v_fma_f64 v[26:27], v[2:3], v[26:27], -v[28:29]
	v_add_f64 v[28:29], v[24:25], v[22:23]
	v_add_f64 v[38:39], v[38:39], v[167:168]
	ds_load_b128 v[2:5], v1 offset:1120
	ds_load_b128 v[22:25], v1 offset:1136
	v_fma_f64 v[20:21], v[20:21], v[30:31], v[44:45]
	v_fma_f64 v[18:19], v[18:19], v[30:31], -v[32:33]
	s_waitcnt vmcnt(5) lgkmcnt(1)
	v_mul_f64 v[167:168], v[2:3], v[36:37]
	v_mul_f64 v[36:37], v[4:5], v[36:37]
	s_waitcnt vmcnt(4) lgkmcnt(0)
	v_mul_f64 v[30:31], v[22:23], v[42:43]
	v_add_f64 v[26:27], v[28:29], v[26:27]
	v_add_f64 v[28:29], v[38:39], v[165:166]
	v_mul_f64 v[32:33], v[24:25], v[42:43]
	v_fma_f64 v[38:39], v[4:5], v[34:35], v[167:168]
	v_fma_f64 v[34:35], v[2:3], v[34:35], -v[36:37]
	v_fma_f64 v[24:25], v[24:25], v[40:41], v[30:31]
	v_add_f64 v[26:27], v[26:27], v[18:19]
	v_add_f64 v[28:29], v[28:29], v[20:21]
	ds_load_b128 v[2:5], v1 offset:1152
	ds_load_b128 v[18:21], v1 offset:1168
	v_fma_f64 v[22:23], v[22:23], v[40:41], -v[32:33]
	s_waitcnt vmcnt(2) lgkmcnt(1)
	v_mul_f64 v[36:37], v[2:3], v[173:174]
	v_mul_f64 v[42:43], v[4:5], v[173:174]
	s_waitcnt lgkmcnt(0)
	v_mul_f64 v[30:31], v[18:19], v[8:9]
	v_mul_f64 v[8:9], v[20:21], v[8:9]
	v_add_f64 v[26:27], v[26:27], v[34:35]
	v_add_f64 v[28:29], v[28:29], v[38:39]
	v_fma_f64 v[32:33], v[4:5], v[171:172], v[36:37]
	v_fma_f64 v[34:35], v[2:3], v[171:172], -v[42:43]
	v_fma_f64 v[20:21], v[20:21], v[6:7], v[30:31]
	v_fma_f64 v[6:7], v[18:19], v[6:7], -v[8:9]
	v_add_f64 v[26:27], v[26:27], v[22:23]
	v_add_f64 v[28:29], v[28:29], v[24:25]
	ds_load_b128 v[2:5], v1 offset:1184
	ds_load_b128 v[22:25], v1 offset:1200
	s_waitcnt vmcnt(1) lgkmcnt(1)
	v_mul_f64 v[36:37], v[2:3], v[12:13]
	v_mul_f64 v[12:13], v[4:5], v[12:13]
	v_add_f64 v[8:9], v[26:27], v[34:35]
	v_add_f64 v[18:19], v[28:29], v[32:33]
	s_waitcnt vmcnt(0) lgkmcnt(0)
	v_mul_f64 v[26:27], v[22:23], v[16:17]
	v_mul_f64 v[16:17], v[24:25], v[16:17]
	v_fma_f64 v[4:5], v[4:5], v[10:11], v[36:37]
	v_fma_f64 v[1:2], v[2:3], v[10:11], -v[12:13]
	v_add_f64 v[6:7], v[8:9], v[6:7]
	v_add_f64 v[8:9], v[18:19], v[20:21]
	v_fma_f64 v[10:11], v[24:25], v[14:15], v[26:27]
	v_fma_f64 v[12:13], v[22:23], v[14:15], -v[16:17]
	s_delay_alu instid0(VALU_DEP_4) | instskip(NEXT) | instid1(VALU_DEP_4)
	v_add_f64 v[1:2], v[6:7], v[1:2]
	v_add_f64 v[3:4], v[8:9], v[4:5]
	s_delay_alu instid0(VALU_DEP_2) | instskip(NEXT) | instid1(VALU_DEP_2)
	v_add_f64 v[1:2], v[1:2], v[12:13]
	v_add_f64 v[3:4], v[3:4], v[10:11]
	s_delay_alu instid0(VALU_DEP_2) | instskip(NEXT) | instid1(VALU_DEP_2)
	v_add_f64 v[1:2], v[161:162], -v[1:2]
	v_add_f64 v[3:4], v[163:164], -v[3:4]
	scratch_store_b128 off, v[1:4], off offset:208
	v_cmpx_lt_u32_e32 12, v122
	s_cbranch_execz .LBB101_217
; %bb.216:
	scratch_load_b128 v[1:4], v152, off
	v_mov_b32_e32 v5, 0
	s_delay_alu instid0(VALU_DEP_1)
	v_mov_b32_e32 v6, v5
	v_mov_b32_e32 v7, v5
	;; [unrolled: 1-line block ×3, first 2 shown]
	scratch_store_b128 off, v[5:8], off offset:192
	s_waitcnt vmcnt(0)
	ds_store_b128 v160, v[1:4]
.LBB101_217:
	s_or_b32 exec_lo, exec_lo, s2
	s_waitcnt lgkmcnt(0)
	s_waitcnt_vscnt null, 0x0
	s_barrier
	buffer_gl0_inv
	s_clause 0x7
	scratch_load_b128 v[2:5], off, off offset:208
	scratch_load_b128 v[6:9], off, off offset:224
	;; [unrolled: 1-line block ×8, first 2 shown]
	v_mov_b32_e32 v1, 0
	s_mov_b32 s2, exec_lo
	ds_load_b128 v[34:37], v1 offset:816
	s_clause 0x1
	scratch_load_b128 v[38:41], off, off offset:336
	scratch_load_b128 v[42:45], off, off offset:192
	ds_load_b128 v[161:164], v1 offset:832
	scratch_load_b128 v[165:168], off, off offset:352
	s_waitcnt vmcnt(10) lgkmcnt(1)
	v_mul_f64 v[169:170], v[36:37], v[4:5]
	v_mul_f64 v[4:5], v[34:35], v[4:5]
	s_delay_alu instid0(VALU_DEP_2) | instskip(NEXT) | instid1(VALU_DEP_2)
	v_fma_f64 v[175:176], v[34:35], v[2:3], -v[169:170]
	v_fma_f64 v[177:178], v[36:37], v[2:3], v[4:5]
	scratch_load_b128 v[34:37], off, off offset:368
	ds_load_b128 v[2:5], v1 offset:848
	s_waitcnt vmcnt(10) lgkmcnt(1)
	v_mul_f64 v[173:174], v[161:162], v[8:9]
	v_mul_f64 v[8:9], v[163:164], v[8:9]
	ds_load_b128 v[169:172], v1 offset:864
	s_waitcnt vmcnt(9) lgkmcnt(1)
	v_mul_f64 v[179:180], v[2:3], v[12:13]
	v_mul_f64 v[12:13], v[4:5], v[12:13]
	v_fma_f64 v[163:164], v[163:164], v[6:7], v[173:174]
	v_fma_f64 v[161:162], v[161:162], v[6:7], -v[8:9]
	v_add_f64 v[173:174], v[175:176], 0
	v_add_f64 v[175:176], v[177:178], 0
	scratch_load_b128 v[6:9], off, off offset:384
	v_fma_f64 v[179:180], v[4:5], v[10:11], v[179:180]
	v_fma_f64 v[181:182], v[2:3], v[10:11], -v[12:13]
	scratch_load_b128 v[10:13], off, off offset:400
	ds_load_b128 v[2:5], v1 offset:880
	s_waitcnt vmcnt(10) lgkmcnt(1)
	v_mul_f64 v[177:178], v[169:170], v[16:17]
	v_mul_f64 v[16:17], v[171:172], v[16:17]
	v_add_f64 v[173:174], v[173:174], v[161:162]
	v_add_f64 v[175:176], v[175:176], v[163:164]
	s_waitcnt vmcnt(9) lgkmcnt(0)
	v_mul_f64 v[183:184], v[2:3], v[20:21]
	v_mul_f64 v[20:21], v[4:5], v[20:21]
	ds_load_b128 v[161:164], v1 offset:896
	v_fma_f64 v[171:172], v[171:172], v[14:15], v[177:178]
	v_fma_f64 v[169:170], v[169:170], v[14:15], -v[16:17]
	scratch_load_b128 v[14:17], off, off offset:416
	v_add_f64 v[173:174], v[173:174], v[181:182]
	v_add_f64 v[175:176], v[175:176], v[179:180]
	v_fma_f64 v[179:180], v[4:5], v[18:19], v[183:184]
	v_fma_f64 v[181:182], v[2:3], v[18:19], -v[20:21]
	scratch_load_b128 v[18:21], off, off offset:432
	ds_load_b128 v[2:5], v1 offset:912
	s_waitcnt vmcnt(10) lgkmcnt(1)
	v_mul_f64 v[177:178], v[161:162], v[24:25]
	v_mul_f64 v[24:25], v[163:164], v[24:25]
	s_waitcnt vmcnt(9) lgkmcnt(0)
	v_mul_f64 v[183:184], v[2:3], v[28:29]
	v_mul_f64 v[28:29], v[4:5], v[28:29]
	v_add_f64 v[173:174], v[173:174], v[169:170]
	v_add_f64 v[175:176], v[175:176], v[171:172]
	ds_load_b128 v[169:172], v1 offset:928
	v_fma_f64 v[163:164], v[163:164], v[22:23], v[177:178]
	v_fma_f64 v[161:162], v[161:162], v[22:23], -v[24:25]
	scratch_load_b128 v[22:25], off, off offset:448
	v_add_f64 v[173:174], v[173:174], v[181:182]
	v_add_f64 v[175:176], v[175:176], v[179:180]
	v_fma_f64 v[179:180], v[4:5], v[26:27], v[183:184]
	v_fma_f64 v[181:182], v[2:3], v[26:27], -v[28:29]
	scratch_load_b128 v[26:29], off, off offset:464
	ds_load_b128 v[2:5], v1 offset:944
	s_waitcnt vmcnt(10) lgkmcnt(1)
	v_mul_f64 v[177:178], v[169:170], v[32:33]
	v_mul_f64 v[32:33], v[171:172], v[32:33]
	s_waitcnt vmcnt(9) lgkmcnt(0)
	v_mul_f64 v[183:184], v[2:3], v[40:41]
	v_mul_f64 v[40:41], v[4:5], v[40:41]
	v_add_f64 v[173:174], v[173:174], v[161:162]
	v_add_f64 v[175:176], v[175:176], v[163:164]
	ds_load_b128 v[161:164], v1 offset:960
	v_fma_f64 v[171:172], v[171:172], v[30:31], v[177:178]
	v_fma_f64 v[169:170], v[169:170], v[30:31], -v[32:33]
	scratch_load_b128 v[30:33], off, off offset:480
	v_add_f64 v[173:174], v[173:174], v[181:182]
	v_add_f64 v[175:176], v[175:176], v[179:180]
	v_fma_f64 v[181:182], v[4:5], v[38:39], v[183:184]
	v_fma_f64 v[183:184], v[2:3], v[38:39], -v[40:41]
	scratch_load_b128 v[38:41], off, off offset:496
	ds_load_b128 v[2:5], v1 offset:976
	s_waitcnt vmcnt(9) lgkmcnt(1)
	v_mul_f64 v[177:178], v[161:162], v[167:168]
	v_mul_f64 v[179:180], v[163:164], v[167:168]
	v_add_f64 v[173:174], v[173:174], v[169:170]
	v_add_f64 v[171:172], v[175:176], v[171:172]
	ds_load_b128 v[167:170], v1 offset:992
	v_fma_f64 v[177:178], v[163:164], v[165:166], v[177:178]
	v_fma_f64 v[165:166], v[161:162], v[165:166], -v[179:180]
	scratch_load_b128 v[161:164], off, off offset:512
	s_waitcnt vmcnt(9) lgkmcnt(1)
	v_mul_f64 v[175:176], v[2:3], v[36:37]
	v_mul_f64 v[36:37], v[4:5], v[36:37]
	v_add_f64 v[173:174], v[173:174], v[183:184]
	v_add_f64 v[171:172], v[171:172], v[181:182]
	s_delay_alu instid0(VALU_DEP_4) | instskip(NEXT) | instid1(VALU_DEP_4)
	v_fma_f64 v[175:176], v[4:5], v[34:35], v[175:176]
	v_fma_f64 v[181:182], v[2:3], v[34:35], -v[36:37]
	scratch_load_b128 v[34:37], off, off offset:528
	ds_load_b128 v[2:5], v1 offset:1008
	s_waitcnt vmcnt(9) lgkmcnt(1)
	v_mul_f64 v[179:180], v[167:168], v[8:9]
	v_mul_f64 v[8:9], v[169:170], v[8:9]
	s_waitcnt vmcnt(8) lgkmcnt(0)
	v_mul_f64 v[183:184], v[2:3], v[12:13]
	v_mul_f64 v[12:13], v[4:5], v[12:13]
	v_add_f64 v[165:166], v[173:174], v[165:166]
	v_add_f64 v[177:178], v[171:172], v[177:178]
	ds_load_b128 v[171:174], v1 offset:1024
	v_fma_f64 v[169:170], v[169:170], v[6:7], v[179:180]
	v_fma_f64 v[167:168], v[167:168], v[6:7], -v[8:9]
	scratch_load_b128 v[6:9], off, off offset:544
	v_fma_f64 v[179:180], v[4:5], v[10:11], v[183:184]
	v_add_f64 v[165:166], v[165:166], v[181:182]
	v_add_f64 v[175:176], v[177:178], v[175:176]
	v_fma_f64 v[181:182], v[2:3], v[10:11], -v[12:13]
	scratch_load_b128 v[10:13], off, off offset:560
	ds_load_b128 v[2:5], v1 offset:1040
	s_waitcnt vmcnt(9) lgkmcnt(1)
	v_mul_f64 v[177:178], v[171:172], v[16:17]
	v_mul_f64 v[16:17], v[173:174], v[16:17]
	v_add_f64 v[183:184], v[165:166], v[167:168]
	v_add_f64 v[169:170], v[175:176], v[169:170]
	s_waitcnt vmcnt(8) lgkmcnt(0)
	v_mul_f64 v[175:176], v[2:3], v[20:21]
	v_mul_f64 v[20:21], v[4:5], v[20:21]
	ds_load_b128 v[165:168], v1 offset:1056
	v_fma_f64 v[173:174], v[173:174], v[14:15], v[177:178]
	v_fma_f64 v[171:172], v[171:172], v[14:15], -v[16:17]
	scratch_load_b128 v[14:17], off, off offset:576
	v_add_f64 v[177:178], v[183:184], v[181:182]
	v_add_f64 v[169:170], v[169:170], v[179:180]
	v_fma_f64 v[175:176], v[4:5], v[18:19], v[175:176]
	v_fma_f64 v[181:182], v[2:3], v[18:19], -v[20:21]
	scratch_load_b128 v[18:21], off, off offset:592
	ds_load_b128 v[2:5], v1 offset:1072
	s_waitcnt vmcnt(9) lgkmcnt(1)
	v_mul_f64 v[179:180], v[165:166], v[24:25]
	v_mul_f64 v[24:25], v[167:168], v[24:25]
	s_waitcnt vmcnt(8) lgkmcnt(0)
	v_mul_f64 v[183:184], v[2:3], v[28:29]
	v_mul_f64 v[28:29], v[4:5], v[28:29]
	v_add_f64 v[177:178], v[177:178], v[171:172]
	v_add_f64 v[173:174], v[169:170], v[173:174]
	ds_load_b128 v[169:172], v1 offset:1088
	v_fma_f64 v[167:168], v[167:168], v[22:23], v[179:180]
	v_fma_f64 v[22:23], v[165:166], v[22:23], -v[24:25]
	v_add_f64 v[24:25], v[177:178], v[181:182]
	v_add_f64 v[165:166], v[173:174], v[175:176]
	s_waitcnt vmcnt(7) lgkmcnt(0)
	v_mul_f64 v[173:174], v[169:170], v[32:33]
	v_mul_f64 v[32:33], v[171:172], v[32:33]
	v_fma_f64 v[175:176], v[4:5], v[26:27], v[183:184]
	v_fma_f64 v[26:27], v[2:3], v[26:27], -v[28:29]
	v_add_f64 v[28:29], v[24:25], v[22:23]
	v_add_f64 v[165:166], v[165:166], v[167:168]
	ds_load_b128 v[2:5], v1 offset:1104
	ds_load_b128 v[22:25], v1 offset:1120
	v_fma_f64 v[171:172], v[171:172], v[30:31], v[173:174]
	v_fma_f64 v[30:31], v[169:170], v[30:31], -v[32:33]
	s_waitcnt vmcnt(6) lgkmcnt(1)
	v_mul_f64 v[167:168], v[2:3], v[40:41]
	v_mul_f64 v[40:41], v[4:5], v[40:41]
	s_waitcnt vmcnt(5) lgkmcnt(0)
	v_mul_f64 v[32:33], v[22:23], v[163:164]
	v_mul_f64 v[163:164], v[24:25], v[163:164]
	v_add_f64 v[26:27], v[28:29], v[26:27]
	v_add_f64 v[28:29], v[165:166], v[175:176]
	v_fma_f64 v[165:166], v[4:5], v[38:39], v[167:168]
	v_fma_f64 v[38:39], v[2:3], v[38:39], -v[40:41]
	v_fma_f64 v[24:25], v[24:25], v[161:162], v[32:33]
	v_fma_f64 v[22:23], v[22:23], v[161:162], -v[163:164]
	v_add_f64 v[30:31], v[26:27], v[30:31]
	v_add_f64 v[40:41], v[28:29], v[171:172]
	ds_load_b128 v[2:5], v1 offset:1136
	ds_load_b128 v[26:29], v1 offset:1152
	s_waitcnt vmcnt(4) lgkmcnt(1)
	v_mul_f64 v[167:168], v[2:3], v[36:37]
	v_mul_f64 v[36:37], v[4:5], v[36:37]
	v_add_f64 v[30:31], v[30:31], v[38:39]
	v_add_f64 v[32:33], v[40:41], v[165:166]
	s_waitcnt vmcnt(3) lgkmcnt(0)
	v_mul_f64 v[38:39], v[26:27], v[8:9]
	v_mul_f64 v[8:9], v[28:29], v[8:9]
	v_fma_f64 v[40:41], v[4:5], v[34:35], v[167:168]
	v_fma_f64 v[34:35], v[2:3], v[34:35], -v[36:37]
	v_add_f64 v[30:31], v[30:31], v[22:23]
	v_add_f64 v[32:33], v[32:33], v[24:25]
	ds_load_b128 v[2:5], v1 offset:1168
	ds_load_b128 v[22:25], v1 offset:1184
	v_fma_f64 v[28:29], v[28:29], v[6:7], v[38:39]
	v_fma_f64 v[6:7], v[26:27], v[6:7], -v[8:9]
	s_waitcnt vmcnt(2) lgkmcnt(1)
	v_mul_f64 v[36:37], v[2:3], v[12:13]
	v_mul_f64 v[12:13], v[4:5], v[12:13]
	v_add_f64 v[8:9], v[30:31], v[34:35]
	v_add_f64 v[26:27], v[32:33], v[40:41]
	s_waitcnt vmcnt(1) lgkmcnt(0)
	v_mul_f64 v[30:31], v[22:23], v[16:17]
	v_mul_f64 v[16:17], v[24:25], v[16:17]
	v_fma_f64 v[32:33], v[4:5], v[10:11], v[36:37]
	v_fma_f64 v[10:11], v[2:3], v[10:11], -v[12:13]
	ds_load_b128 v[2:5], v1 offset:1200
	v_add_f64 v[6:7], v[8:9], v[6:7]
	v_add_f64 v[8:9], v[26:27], v[28:29]
	v_fma_f64 v[24:25], v[24:25], v[14:15], v[30:31]
	v_fma_f64 v[14:15], v[22:23], v[14:15], -v[16:17]
	s_waitcnt vmcnt(0) lgkmcnt(0)
	v_mul_f64 v[12:13], v[2:3], v[20:21]
	v_mul_f64 v[20:21], v[4:5], v[20:21]
	v_add_f64 v[6:7], v[6:7], v[10:11]
	v_add_f64 v[8:9], v[8:9], v[32:33]
	s_delay_alu instid0(VALU_DEP_4) | instskip(NEXT) | instid1(VALU_DEP_4)
	v_fma_f64 v[4:5], v[4:5], v[18:19], v[12:13]
	v_fma_f64 v[2:3], v[2:3], v[18:19], -v[20:21]
	s_delay_alu instid0(VALU_DEP_4) | instskip(NEXT) | instid1(VALU_DEP_4)
	v_add_f64 v[6:7], v[6:7], v[14:15]
	v_add_f64 v[8:9], v[8:9], v[24:25]
	s_delay_alu instid0(VALU_DEP_2) | instskip(NEXT) | instid1(VALU_DEP_2)
	v_add_f64 v[2:3], v[6:7], v[2:3]
	v_add_f64 v[4:5], v[8:9], v[4:5]
	s_delay_alu instid0(VALU_DEP_2) | instskip(NEXT) | instid1(VALU_DEP_2)
	v_add_f64 v[2:3], v[42:43], -v[2:3]
	v_add_f64 v[4:5], v[44:45], -v[4:5]
	scratch_store_b128 off, v[2:5], off offset:192
	v_cmpx_lt_u32_e32 11, v122
	s_cbranch_execz .LBB101_219
; %bb.218:
	scratch_load_b128 v[5:8], v154, off
	v_mov_b32_e32 v2, v1
	v_mov_b32_e32 v3, v1
	;; [unrolled: 1-line block ×3, first 2 shown]
	scratch_store_b128 off, v[1:4], off offset:176
	s_waitcnt vmcnt(0)
	ds_store_b128 v160, v[5:8]
.LBB101_219:
	s_or_b32 exec_lo, exec_lo, s2
	s_waitcnt lgkmcnt(0)
	s_waitcnt_vscnt null, 0x0
	s_barrier
	buffer_gl0_inv
	s_clause 0x8
	scratch_load_b128 v[2:5], off, off offset:192
	scratch_load_b128 v[6:9], off, off offset:208
	;; [unrolled: 1-line block ×9, first 2 shown]
	ds_load_b128 v[38:41], v1 offset:800
	ds_load_b128 v[42:45], v1 offset:816
	s_clause 0x1
	scratch_load_b128 v[161:164], off, off offset:176
	scratch_load_b128 v[165:168], off, off offset:336
	s_mov_b32 s2, exec_lo
	s_waitcnt vmcnt(10) lgkmcnt(1)
	v_mul_f64 v[169:170], v[40:41], v[4:5]
	v_mul_f64 v[4:5], v[38:39], v[4:5]
	s_waitcnt vmcnt(9) lgkmcnt(0)
	v_mul_f64 v[173:174], v[42:43], v[8:9]
	v_mul_f64 v[8:9], v[44:45], v[8:9]
	s_delay_alu instid0(VALU_DEP_4) | instskip(NEXT) | instid1(VALU_DEP_4)
	v_fma_f64 v[175:176], v[38:39], v[2:3], -v[169:170]
	v_fma_f64 v[177:178], v[40:41], v[2:3], v[4:5]
	ds_load_b128 v[2:5], v1 offset:832
	ds_load_b128 v[169:172], v1 offset:848
	scratch_load_b128 v[38:41], off, off offset:352
	v_fma_f64 v[44:45], v[44:45], v[6:7], v[173:174]
	v_fma_f64 v[42:43], v[42:43], v[6:7], -v[8:9]
	scratch_load_b128 v[6:9], off, off offset:368
	s_waitcnt vmcnt(10) lgkmcnt(1)
	v_mul_f64 v[179:180], v[2:3], v[12:13]
	v_mul_f64 v[12:13], v[4:5], v[12:13]
	v_add_f64 v[173:174], v[175:176], 0
	v_add_f64 v[175:176], v[177:178], 0
	s_waitcnt vmcnt(9) lgkmcnt(0)
	v_mul_f64 v[177:178], v[169:170], v[16:17]
	v_mul_f64 v[16:17], v[171:172], v[16:17]
	v_fma_f64 v[179:180], v[4:5], v[10:11], v[179:180]
	v_fma_f64 v[181:182], v[2:3], v[10:11], -v[12:13]
	ds_load_b128 v[2:5], v1 offset:864
	scratch_load_b128 v[10:13], off, off offset:384
	v_add_f64 v[173:174], v[173:174], v[42:43]
	v_add_f64 v[175:176], v[175:176], v[44:45]
	ds_load_b128 v[42:45], v1 offset:880
	v_fma_f64 v[171:172], v[171:172], v[14:15], v[177:178]
	v_fma_f64 v[169:170], v[169:170], v[14:15], -v[16:17]
	scratch_load_b128 v[14:17], off, off offset:400
	s_waitcnt vmcnt(10) lgkmcnt(1)
	v_mul_f64 v[183:184], v[2:3], v[20:21]
	v_mul_f64 v[20:21], v[4:5], v[20:21]
	s_waitcnt vmcnt(9) lgkmcnt(0)
	v_mul_f64 v[177:178], v[42:43], v[24:25]
	v_mul_f64 v[24:25], v[44:45], v[24:25]
	v_add_f64 v[173:174], v[173:174], v[181:182]
	v_add_f64 v[175:176], v[175:176], v[179:180]
	v_fma_f64 v[179:180], v[4:5], v[18:19], v[183:184]
	v_fma_f64 v[181:182], v[2:3], v[18:19], -v[20:21]
	ds_load_b128 v[2:5], v1 offset:896
	scratch_load_b128 v[18:21], off, off offset:416
	v_fma_f64 v[44:45], v[44:45], v[22:23], v[177:178]
	v_fma_f64 v[42:43], v[42:43], v[22:23], -v[24:25]
	scratch_load_b128 v[22:25], off, off offset:432
	v_add_f64 v[173:174], v[173:174], v[169:170]
	v_add_f64 v[175:176], v[175:176], v[171:172]
	ds_load_b128 v[169:172], v1 offset:912
	s_waitcnt vmcnt(10) lgkmcnt(1)
	v_mul_f64 v[183:184], v[2:3], v[28:29]
	v_mul_f64 v[28:29], v[4:5], v[28:29]
	s_waitcnt vmcnt(9) lgkmcnt(0)
	v_mul_f64 v[177:178], v[169:170], v[32:33]
	v_mul_f64 v[32:33], v[171:172], v[32:33]
	v_add_f64 v[173:174], v[173:174], v[181:182]
	v_add_f64 v[175:176], v[175:176], v[179:180]
	v_fma_f64 v[179:180], v[4:5], v[26:27], v[183:184]
	v_fma_f64 v[181:182], v[2:3], v[26:27], -v[28:29]
	ds_load_b128 v[2:5], v1 offset:928
	scratch_load_b128 v[26:29], off, off offset:448
	v_fma_f64 v[171:172], v[171:172], v[30:31], v[177:178]
	v_fma_f64 v[169:170], v[169:170], v[30:31], -v[32:33]
	scratch_load_b128 v[30:33], off, off offset:464
	v_add_f64 v[173:174], v[173:174], v[42:43]
	v_add_f64 v[175:176], v[175:176], v[44:45]
	ds_load_b128 v[42:45], v1 offset:944
	s_waitcnt vmcnt(10) lgkmcnt(1)
	v_mul_f64 v[183:184], v[2:3], v[36:37]
	v_mul_f64 v[36:37], v[4:5], v[36:37]
	s_waitcnt vmcnt(8) lgkmcnt(0)
	v_mul_f64 v[177:178], v[42:43], v[167:168]
	v_add_f64 v[173:174], v[173:174], v[181:182]
	v_add_f64 v[175:176], v[175:176], v[179:180]
	v_mul_f64 v[179:180], v[44:45], v[167:168]
	v_fma_f64 v[181:182], v[4:5], v[34:35], v[183:184]
	v_fma_f64 v[183:184], v[2:3], v[34:35], -v[36:37]
	ds_load_b128 v[2:5], v1 offset:960
	scratch_load_b128 v[34:37], off, off offset:480
	v_fma_f64 v[44:45], v[44:45], v[165:166], v[177:178]
	v_add_f64 v[173:174], v[173:174], v[169:170]
	v_add_f64 v[171:172], v[175:176], v[171:172]
	ds_load_b128 v[167:170], v1 offset:976
	v_fma_f64 v[165:166], v[42:43], v[165:166], -v[179:180]
	s_waitcnt vmcnt(8) lgkmcnt(1)
	v_mul_f64 v[175:176], v[2:3], v[40:41]
	v_mul_f64 v[185:186], v[4:5], v[40:41]
	scratch_load_b128 v[40:43], off, off offset:496
	s_waitcnt vmcnt(8) lgkmcnt(0)
	v_mul_f64 v[179:180], v[167:168], v[8:9]
	v_mul_f64 v[8:9], v[169:170], v[8:9]
	v_add_f64 v[173:174], v[173:174], v[183:184]
	v_add_f64 v[171:172], v[171:172], v[181:182]
	v_fma_f64 v[181:182], v[4:5], v[38:39], v[175:176]
	v_fma_f64 v[38:39], v[2:3], v[38:39], -v[185:186]
	ds_load_b128 v[2:5], v1 offset:992
	ds_load_b128 v[175:178], v1 offset:1008
	v_fma_f64 v[169:170], v[169:170], v[6:7], v[179:180]
	v_fma_f64 v[167:168], v[167:168], v[6:7], -v[8:9]
	scratch_load_b128 v[6:9], off, off offset:528
	v_add_f64 v[165:166], v[173:174], v[165:166]
	v_add_f64 v[44:45], v[171:172], v[44:45]
	scratch_load_b128 v[171:174], off, off offset:512
	s_waitcnt vmcnt(9) lgkmcnt(1)
	v_mul_f64 v[183:184], v[2:3], v[12:13]
	v_mul_f64 v[12:13], v[4:5], v[12:13]
	s_waitcnt vmcnt(8) lgkmcnt(0)
	v_mul_f64 v[179:180], v[175:176], v[16:17]
	v_mul_f64 v[16:17], v[177:178], v[16:17]
	v_add_f64 v[38:39], v[165:166], v[38:39]
	v_add_f64 v[44:45], v[44:45], v[181:182]
	v_fma_f64 v[181:182], v[4:5], v[10:11], v[183:184]
	v_fma_f64 v[183:184], v[2:3], v[10:11], -v[12:13]
	ds_load_b128 v[2:5], v1 offset:1024
	scratch_load_b128 v[10:13], off, off offset:544
	v_fma_f64 v[177:178], v[177:178], v[14:15], v[179:180]
	v_fma_f64 v[175:176], v[175:176], v[14:15], -v[16:17]
	scratch_load_b128 v[14:17], off, off offset:560
	v_add_f64 v[38:39], v[38:39], v[167:168]
	v_add_f64 v[44:45], v[44:45], v[169:170]
	ds_load_b128 v[165:168], v1 offset:1040
	s_waitcnt vmcnt(9) lgkmcnt(1)
	v_mul_f64 v[169:170], v[2:3], v[20:21]
	v_mul_f64 v[20:21], v[4:5], v[20:21]
	s_waitcnt vmcnt(8) lgkmcnt(0)
	v_mul_f64 v[179:180], v[165:166], v[24:25]
	v_mul_f64 v[24:25], v[167:168], v[24:25]
	v_add_f64 v[38:39], v[38:39], v[183:184]
	v_add_f64 v[44:45], v[44:45], v[181:182]
	v_fma_f64 v[169:170], v[4:5], v[18:19], v[169:170]
	v_fma_f64 v[181:182], v[2:3], v[18:19], -v[20:21]
	ds_load_b128 v[2:5], v1 offset:1056
	scratch_load_b128 v[18:21], off, off offset:576
	v_fma_f64 v[167:168], v[167:168], v[22:23], v[179:180]
	v_fma_f64 v[165:166], v[165:166], v[22:23], -v[24:25]
	scratch_load_b128 v[22:25], off, off offset:592
	v_add_f64 v[38:39], v[38:39], v[175:176]
	v_add_f64 v[44:45], v[44:45], v[177:178]
	ds_load_b128 v[175:178], v1 offset:1072
	s_waitcnt vmcnt(9) lgkmcnt(1)
	v_mul_f64 v[183:184], v[2:3], v[28:29]
	v_mul_f64 v[28:29], v[4:5], v[28:29]
	v_add_f64 v[38:39], v[38:39], v[181:182]
	v_add_f64 v[44:45], v[44:45], v[169:170]
	s_waitcnt vmcnt(8) lgkmcnt(0)
	v_mul_f64 v[169:170], v[175:176], v[32:33]
	v_mul_f64 v[32:33], v[177:178], v[32:33]
	v_fma_f64 v[179:180], v[4:5], v[26:27], v[183:184]
	v_fma_f64 v[181:182], v[2:3], v[26:27], -v[28:29]
	ds_load_b128 v[2:5], v1 offset:1088
	ds_load_b128 v[26:29], v1 offset:1104
	v_add_f64 v[38:39], v[38:39], v[165:166]
	v_add_f64 v[44:45], v[44:45], v[167:168]
	s_waitcnt vmcnt(7) lgkmcnt(1)
	v_mul_f64 v[165:166], v[2:3], v[36:37]
	v_mul_f64 v[36:37], v[4:5], v[36:37]
	v_fma_f64 v[167:168], v[177:178], v[30:31], v[169:170]
	v_fma_f64 v[30:31], v[175:176], v[30:31], -v[32:33]
	v_add_f64 v[32:33], v[38:39], v[181:182]
	v_add_f64 v[38:39], v[44:45], v[179:180]
	s_waitcnt vmcnt(6) lgkmcnt(0)
	v_mul_f64 v[44:45], v[26:27], v[42:43]
	v_mul_f64 v[42:43], v[28:29], v[42:43]
	v_fma_f64 v[165:166], v[4:5], v[34:35], v[165:166]
	v_fma_f64 v[34:35], v[2:3], v[34:35], -v[36:37]
	v_add_f64 v[36:37], v[32:33], v[30:31]
	v_add_f64 v[38:39], v[38:39], v[167:168]
	ds_load_b128 v[2:5], v1 offset:1120
	ds_load_b128 v[30:33], v1 offset:1136
	v_fma_f64 v[28:29], v[28:29], v[40:41], v[44:45]
	v_fma_f64 v[26:27], v[26:27], v[40:41], -v[42:43]
	s_waitcnt vmcnt(4) lgkmcnt(1)
	v_mul_f64 v[167:168], v[2:3], v[173:174]
	v_mul_f64 v[169:170], v[4:5], v[173:174]
	v_add_f64 v[34:35], v[36:37], v[34:35]
	v_add_f64 v[36:37], v[38:39], v[165:166]
	s_waitcnt lgkmcnt(0)
	v_mul_f64 v[38:39], v[30:31], v[8:9]
	v_mul_f64 v[8:9], v[32:33], v[8:9]
	v_fma_f64 v[40:41], v[4:5], v[171:172], v[167:168]
	v_fma_f64 v[42:43], v[2:3], v[171:172], -v[169:170]
	v_add_f64 v[34:35], v[34:35], v[26:27]
	v_add_f64 v[36:37], v[36:37], v[28:29]
	ds_load_b128 v[2:5], v1 offset:1152
	ds_load_b128 v[26:29], v1 offset:1168
	v_fma_f64 v[32:33], v[32:33], v[6:7], v[38:39]
	v_fma_f64 v[6:7], v[30:31], v[6:7], -v[8:9]
	s_waitcnt vmcnt(3) lgkmcnt(1)
	v_mul_f64 v[44:45], v[2:3], v[12:13]
	v_mul_f64 v[12:13], v[4:5], v[12:13]
	v_add_f64 v[8:9], v[34:35], v[42:43]
	v_add_f64 v[30:31], v[36:37], v[40:41]
	s_waitcnt vmcnt(2) lgkmcnt(0)
	v_mul_f64 v[34:35], v[26:27], v[16:17]
	v_mul_f64 v[16:17], v[28:29], v[16:17]
	v_fma_f64 v[36:37], v[4:5], v[10:11], v[44:45]
	v_fma_f64 v[10:11], v[2:3], v[10:11], -v[12:13]
	v_add_f64 v[12:13], v[8:9], v[6:7]
	v_add_f64 v[30:31], v[30:31], v[32:33]
	ds_load_b128 v[2:5], v1 offset:1184
	ds_load_b128 v[6:9], v1 offset:1200
	v_fma_f64 v[28:29], v[28:29], v[14:15], v[34:35]
	v_fma_f64 v[14:15], v[26:27], v[14:15], -v[16:17]
	s_waitcnt vmcnt(1) lgkmcnt(1)
	v_mul_f64 v[32:33], v[2:3], v[20:21]
	v_mul_f64 v[20:21], v[4:5], v[20:21]
	s_waitcnt vmcnt(0) lgkmcnt(0)
	v_mul_f64 v[16:17], v[6:7], v[24:25]
	v_mul_f64 v[24:25], v[8:9], v[24:25]
	v_add_f64 v[10:11], v[12:13], v[10:11]
	v_add_f64 v[12:13], v[30:31], v[36:37]
	v_fma_f64 v[4:5], v[4:5], v[18:19], v[32:33]
	v_fma_f64 v[1:2], v[2:3], v[18:19], -v[20:21]
	v_fma_f64 v[8:9], v[8:9], v[22:23], v[16:17]
	v_fma_f64 v[6:7], v[6:7], v[22:23], -v[24:25]
	v_add_f64 v[10:11], v[10:11], v[14:15]
	v_add_f64 v[12:13], v[12:13], v[28:29]
	s_delay_alu instid0(VALU_DEP_2) | instskip(NEXT) | instid1(VALU_DEP_2)
	v_add_f64 v[1:2], v[10:11], v[1:2]
	v_add_f64 v[3:4], v[12:13], v[4:5]
	s_delay_alu instid0(VALU_DEP_2) | instskip(NEXT) | instid1(VALU_DEP_2)
	;; [unrolled: 3-line block ×3, first 2 shown]
	v_add_f64 v[1:2], v[161:162], -v[1:2]
	v_add_f64 v[3:4], v[163:164], -v[3:4]
	scratch_store_b128 off, v[1:4], off offset:176
	v_cmpx_lt_u32_e32 10, v122
	s_cbranch_execz .LBB101_221
; %bb.220:
	scratch_load_b128 v[1:4], v153, off
	v_mov_b32_e32 v5, 0
	s_delay_alu instid0(VALU_DEP_1)
	v_mov_b32_e32 v6, v5
	v_mov_b32_e32 v7, v5
	;; [unrolled: 1-line block ×3, first 2 shown]
	scratch_store_b128 off, v[5:8], off offset:160
	s_waitcnt vmcnt(0)
	ds_store_b128 v160, v[1:4]
.LBB101_221:
	s_or_b32 exec_lo, exec_lo, s2
	s_waitcnt lgkmcnt(0)
	s_waitcnt_vscnt null, 0x0
	s_barrier
	buffer_gl0_inv
	s_clause 0x7
	scratch_load_b128 v[2:5], off, off offset:176
	scratch_load_b128 v[6:9], off, off offset:192
	scratch_load_b128 v[10:13], off, off offset:208
	scratch_load_b128 v[14:17], off, off offset:224
	scratch_load_b128 v[18:21], off, off offset:240
	scratch_load_b128 v[22:25], off, off offset:256
	scratch_load_b128 v[26:29], off, off offset:272
	scratch_load_b128 v[30:33], off, off offset:288
	v_mov_b32_e32 v1, 0
	s_mov_b32 s2, exec_lo
	ds_load_b128 v[38:41], v1 offset:784
	s_clause 0x1
	scratch_load_b128 v[34:37], off, off offset:304
	scratch_load_b128 v[42:45], off, off offset:160
	ds_load_b128 v[161:164], v1 offset:800
	scratch_load_b128 v[165:168], off, off offset:320
	s_waitcnt vmcnt(10) lgkmcnt(1)
	v_mul_f64 v[169:170], v[40:41], v[4:5]
	v_mul_f64 v[4:5], v[38:39], v[4:5]
	s_delay_alu instid0(VALU_DEP_2) | instskip(NEXT) | instid1(VALU_DEP_2)
	v_fma_f64 v[175:176], v[38:39], v[2:3], -v[169:170]
	v_fma_f64 v[177:178], v[40:41], v[2:3], v[4:5]
	scratch_load_b128 v[38:41], off, off offset:336
	ds_load_b128 v[2:5], v1 offset:816
	s_waitcnt vmcnt(10) lgkmcnt(1)
	v_mul_f64 v[173:174], v[161:162], v[8:9]
	v_mul_f64 v[8:9], v[163:164], v[8:9]
	ds_load_b128 v[169:172], v1 offset:832
	s_waitcnt vmcnt(9) lgkmcnt(1)
	v_mul_f64 v[179:180], v[2:3], v[12:13]
	v_mul_f64 v[12:13], v[4:5], v[12:13]
	v_fma_f64 v[163:164], v[163:164], v[6:7], v[173:174]
	v_fma_f64 v[161:162], v[161:162], v[6:7], -v[8:9]
	v_add_f64 v[173:174], v[175:176], 0
	v_add_f64 v[175:176], v[177:178], 0
	scratch_load_b128 v[6:9], off, off offset:352
	v_fma_f64 v[179:180], v[4:5], v[10:11], v[179:180]
	v_fma_f64 v[181:182], v[2:3], v[10:11], -v[12:13]
	scratch_load_b128 v[10:13], off, off offset:368
	ds_load_b128 v[2:5], v1 offset:848
	s_waitcnt vmcnt(10) lgkmcnt(1)
	v_mul_f64 v[177:178], v[169:170], v[16:17]
	v_mul_f64 v[16:17], v[171:172], v[16:17]
	v_add_f64 v[173:174], v[173:174], v[161:162]
	v_add_f64 v[175:176], v[175:176], v[163:164]
	s_waitcnt vmcnt(9) lgkmcnt(0)
	v_mul_f64 v[183:184], v[2:3], v[20:21]
	v_mul_f64 v[20:21], v[4:5], v[20:21]
	ds_load_b128 v[161:164], v1 offset:864
	v_fma_f64 v[171:172], v[171:172], v[14:15], v[177:178]
	v_fma_f64 v[169:170], v[169:170], v[14:15], -v[16:17]
	scratch_load_b128 v[14:17], off, off offset:384
	v_add_f64 v[173:174], v[173:174], v[181:182]
	v_add_f64 v[175:176], v[175:176], v[179:180]
	v_fma_f64 v[179:180], v[4:5], v[18:19], v[183:184]
	v_fma_f64 v[181:182], v[2:3], v[18:19], -v[20:21]
	scratch_load_b128 v[18:21], off, off offset:400
	ds_load_b128 v[2:5], v1 offset:880
	s_waitcnt vmcnt(10) lgkmcnt(1)
	v_mul_f64 v[177:178], v[161:162], v[24:25]
	v_mul_f64 v[24:25], v[163:164], v[24:25]
	s_waitcnt vmcnt(9) lgkmcnt(0)
	v_mul_f64 v[183:184], v[2:3], v[28:29]
	v_mul_f64 v[28:29], v[4:5], v[28:29]
	v_add_f64 v[173:174], v[173:174], v[169:170]
	v_add_f64 v[175:176], v[175:176], v[171:172]
	ds_load_b128 v[169:172], v1 offset:896
	v_fma_f64 v[163:164], v[163:164], v[22:23], v[177:178]
	v_fma_f64 v[161:162], v[161:162], v[22:23], -v[24:25]
	scratch_load_b128 v[22:25], off, off offset:416
	v_add_f64 v[173:174], v[173:174], v[181:182]
	v_add_f64 v[175:176], v[175:176], v[179:180]
	v_fma_f64 v[179:180], v[4:5], v[26:27], v[183:184]
	v_fma_f64 v[181:182], v[2:3], v[26:27], -v[28:29]
	scratch_load_b128 v[26:29], off, off offset:432
	ds_load_b128 v[2:5], v1 offset:912
	s_waitcnt vmcnt(10) lgkmcnt(1)
	v_mul_f64 v[177:178], v[169:170], v[32:33]
	v_mul_f64 v[32:33], v[171:172], v[32:33]
	s_waitcnt vmcnt(9) lgkmcnt(0)
	v_mul_f64 v[183:184], v[2:3], v[36:37]
	v_mul_f64 v[36:37], v[4:5], v[36:37]
	v_add_f64 v[173:174], v[173:174], v[161:162]
	v_add_f64 v[175:176], v[175:176], v[163:164]
	ds_load_b128 v[161:164], v1 offset:928
	v_fma_f64 v[171:172], v[171:172], v[30:31], v[177:178]
	v_fma_f64 v[169:170], v[169:170], v[30:31], -v[32:33]
	scratch_load_b128 v[30:33], off, off offset:448
	v_add_f64 v[173:174], v[173:174], v[181:182]
	v_add_f64 v[175:176], v[175:176], v[179:180]
	v_fma_f64 v[181:182], v[4:5], v[34:35], v[183:184]
	v_fma_f64 v[183:184], v[2:3], v[34:35], -v[36:37]
	scratch_load_b128 v[34:37], off, off offset:464
	ds_load_b128 v[2:5], v1 offset:944
	s_waitcnt vmcnt(9) lgkmcnt(1)
	v_mul_f64 v[177:178], v[161:162], v[167:168]
	v_mul_f64 v[179:180], v[163:164], v[167:168]
	v_add_f64 v[173:174], v[173:174], v[169:170]
	v_add_f64 v[171:172], v[175:176], v[171:172]
	ds_load_b128 v[167:170], v1 offset:960
	v_fma_f64 v[177:178], v[163:164], v[165:166], v[177:178]
	v_fma_f64 v[165:166], v[161:162], v[165:166], -v[179:180]
	scratch_load_b128 v[161:164], off, off offset:480
	s_waitcnt vmcnt(9) lgkmcnt(1)
	v_mul_f64 v[175:176], v[2:3], v[40:41]
	v_mul_f64 v[40:41], v[4:5], v[40:41]
	v_add_f64 v[173:174], v[173:174], v[183:184]
	v_add_f64 v[171:172], v[171:172], v[181:182]
	s_delay_alu instid0(VALU_DEP_4) | instskip(NEXT) | instid1(VALU_DEP_4)
	v_fma_f64 v[175:176], v[4:5], v[38:39], v[175:176]
	v_fma_f64 v[181:182], v[2:3], v[38:39], -v[40:41]
	scratch_load_b128 v[38:41], off, off offset:496
	ds_load_b128 v[2:5], v1 offset:976
	s_waitcnt vmcnt(9) lgkmcnt(1)
	v_mul_f64 v[179:180], v[167:168], v[8:9]
	v_mul_f64 v[8:9], v[169:170], v[8:9]
	s_waitcnt vmcnt(8) lgkmcnt(0)
	v_mul_f64 v[183:184], v[2:3], v[12:13]
	v_mul_f64 v[12:13], v[4:5], v[12:13]
	v_add_f64 v[165:166], v[173:174], v[165:166]
	v_add_f64 v[177:178], v[171:172], v[177:178]
	ds_load_b128 v[171:174], v1 offset:992
	v_fma_f64 v[169:170], v[169:170], v[6:7], v[179:180]
	v_fma_f64 v[167:168], v[167:168], v[6:7], -v[8:9]
	scratch_load_b128 v[6:9], off, off offset:512
	v_fma_f64 v[179:180], v[4:5], v[10:11], v[183:184]
	v_add_f64 v[165:166], v[165:166], v[181:182]
	v_add_f64 v[175:176], v[177:178], v[175:176]
	v_fma_f64 v[181:182], v[2:3], v[10:11], -v[12:13]
	scratch_load_b128 v[10:13], off, off offset:528
	ds_load_b128 v[2:5], v1 offset:1008
	s_waitcnt vmcnt(9) lgkmcnt(1)
	v_mul_f64 v[177:178], v[171:172], v[16:17]
	v_mul_f64 v[16:17], v[173:174], v[16:17]
	v_add_f64 v[183:184], v[165:166], v[167:168]
	v_add_f64 v[169:170], v[175:176], v[169:170]
	s_waitcnt vmcnt(8) lgkmcnt(0)
	v_mul_f64 v[175:176], v[2:3], v[20:21]
	v_mul_f64 v[20:21], v[4:5], v[20:21]
	ds_load_b128 v[165:168], v1 offset:1024
	v_fma_f64 v[173:174], v[173:174], v[14:15], v[177:178]
	v_fma_f64 v[171:172], v[171:172], v[14:15], -v[16:17]
	scratch_load_b128 v[14:17], off, off offset:544
	v_add_f64 v[177:178], v[183:184], v[181:182]
	v_add_f64 v[169:170], v[169:170], v[179:180]
	v_fma_f64 v[175:176], v[4:5], v[18:19], v[175:176]
	v_fma_f64 v[181:182], v[2:3], v[18:19], -v[20:21]
	scratch_load_b128 v[18:21], off, off offset:560
	ds_load_b128 v[2:5], v1 offset:1040
	s_waitcnt vmcnt(9) lgkmcnt(1)
	v_mul_f64 v[179:180], v[165:166], v[24:25]
	v_mul_f64 v[24:25], v[167:168], v[24:25]
	s_waitcnt vmcnt(8) lgkmcnt(0)
	v_mul_f64 v[183:184], v[2:3], v[28:29]
	v_mul_f64 v[28:29], v[4:5], v[28:29]
	v_add_f64 v[177:178], v[177:178], v[171:172]
	v_add_f64 v[173:174], v[169:170], v[173:174]
	ds_load_b128 v[169:172], v1 offset:1056
	v_fma_f64 v[167:168], v[167:168], v[22:23], v[179:180]
	v_fma_f64 v[165:166], v[165:166], v[22:23], -v[24:25]
	scratch_load_b128 v[22:25], off, off offset:576
	v_fma_f64 v[179:180], v[4:5], v[26:27], v[183:184]
	v_add_f64 v[177:178], v[177:178], v[181:182]
	v_add_f64 v[173:174], v[173:174], v[175:176]
	v_fma_f64 v[181:182], v[2:3], v[26:27], -v[28:29]
	scratch_load_b128 v[26:29], off, off offset:592
	ds_load_b128 v[2:5], v1 offset:1072
	s_waitcnt vmcnt(9) lgkmcnt(1)
	v_mul_f64 v[175:176], v[169:170], v[32:33]
	v_mul_f64 v[32:33], v[171:172], v[32:33]
	s_waitcnt vmcnt(8) lgkmcnt(0)
	v_mul_f64 v[183:184], v[2:3], v[36:37]
	v_mul_f64 v[36:37], v[4:5], v[36:37]
	v_add_f64 v[177:178], v[177:178], v[165:166]
	v_add_f64 v[173:174], v[173:174], v[167:168]
	ds_load_b128 v[165:168], v1 offset:1088
	v_fma_f64 v[171:172], v[171:172], v[30:31], v[175:176]
	v_fma_f64 v[30:31], v[169:170], v[30:31], -v[32:33]
	v_fma_f64 v[175:176], v[4:5], v[34:35], v[183:184]
	v_fma_f64 v[34:35], v[2:3], v[34:35], -v[36:37]
	v_add_f64 v[32:33], v[177:178], v[181:182]
	v_add_f64 v[169:170], v[173:174], v[179:180]
	s_waitcnt vmcnt(7) lgkmcnt(0)
	v_mul_f64 v[173:174], v[165:166], v[163:164]
	v_mul_f64 v[163:164], v[167:168], v[163:164]
	s_delay_alu instid0(VALU_DEP_4) | instskip(NEXT) | instid1(VALU_DEP_4)
	v_add_f64 v[36:37], v[32:33], v[30:31]
	v_add_f64 v[169:170], v[169:170], v[171:172]
	ds_load_b128 v[2:5], v1 offset:1104
	ds_load_b128 v[30:33], v1 offset:1120
	v_fma_f64 v[167:168], v[167:168], v[161:162], v[173:174]
	v_fma_f64 v[161:162], v[165:166], v[161:162], -v[163:164]
	s_waitcnt vmcnt(6) lgkmcnt(1)
	v_mul_f64 v[171:172], v[2:3], v[40:41]
	v_mul_f64 v[40:41], v[4:5], v[40:41]
	s_waitcnt vmcnt(5) lgkmcnt(0)
	v_mul_f64 v[163:164], v[30:31], v[8:9]
	v_mul_f64 v[8:9], v[32:33], v[8:9]
	v_add_f64 v[34:35], v[36:37], v[34:35]
	v_add_f64 v[36:37], v[169:170], v[175:176]
	v_fma_f64 v[165:166], v[4:5], v[38:39], v[171:172]
	v_fma_f64 v[38:39], v[2:3], v[38:39], -v[40:41]
	v_fma_f64 v[32:33], v[32:33], v[6:7], v[163:164]
	v_fma_f64 v[6:7], v[30:31], v[6:7], -v[8:9]
	v_add_f64 v[40:41], v[34:35], v[161:162]
	v_add_f64 v[161:162], v[36:37], v[167:168]
	ds_load_b128 v[2:5], v1 offset:1136
	ds_load_b128 v[34:37], v1 offset:1152
	s_waitcnt vmcnt(4) lgkmcnt(1)
	v_mul_f64 v[167:168], v[2:3], v[12:13]
	v_mul_f64 v[12:13], v[4:5], v[12:13]
	v_add_f64 v[8:9], v[40:41], v[38:39]
	v_add_f64 v[30:31], v[161:162], v[165:166]
	s_waitcnt vmcnt(3) lgkmcnt(0)
	v_mul_f64 v[38:39], v[34:35], v[16:17]
	v_mul_f64 v[16:17], v[36:37], v[16:17]
	v_fma_f64 v[40:41], v[4:5], v[10:11], v[167:168]
	v_fma_f64 v[10:11], v[2:3], v[10:11], -v[12:13]
	v_add_f64 v[12:13], v[8:9], v[6:7]
	v_add_f64 v[30:31], v[30:31], v[32:33]
	ds_load_b128 v[2:5], v1 offset:1168
	ds_load_b128 v[6:9], v1 offset:1184
	v_fma_f64 v[36:37], v[36:37], v[14:15], v[38:39]
	v_fma_f64 v[14:15], v[34:35], v[14:15], -v[16:17]
	s_waitcnt vmcnt(2) lgkmcnt(1)
	v_mul_f64 v[32:33], v[2:3], v[20:21]
	v_mul_f64 v[20:21], v[4:5], v[20:21]
	s_waitcnt vmcnt(1) lgkmcnt(0)
	v_mul_f64 v[16:17], v[6:7], v[24:25]
	v_mul_f64 v[24:25], v[8:9], v[24:25]
	v_add_f64 v[10:11], v[12:13], v[10:11]
	v_add_f64 v[12:13], v[30:31], v[40:41]
	v_fma_f64 v[30:31], v[4:5], v[18:19], v[32:33]
	v_fma_f64 v[18:19], v[2:3], v[18:19], -v[20:21]
	ds_load_b128 v[2:5], v1 offset:1200
	v_fma_f64 v[8:9], v[8:9], v[22:23], v[16:17]
	v_fma_f64 v[6:7], v[6:7], v[22:23], -v[24:25]
	v_add_f64 v[10:11], v[10:11], v[14:15]
	v_add_f64 v[12:13], v[12:13], v[36:37]
	s_waitcnt vmcnt(0) lgkmcnt(0)
	v_mul_f64 v[14:15], v[2:3], v[28:29]
	v_mul_f64 v[20:21], v[4:5], v[28:29]
	s_delay_alu instid0(VALU_DEP_4) | instskip(NEXT) | instid1(VALU_DEP_4)
	v_add_f64 v[10:11], v[10:11], v[18:19]
	v_add_f64 v[12:13], v[12:13], v[30:31]
	s_delay_alu instid0(VALU_DEP_4) | instskip(NEXT) | instid1(VALU_DEP_4)
	v_fma_f64 v[4:5], v[4:5], v[26:27], v[14:15]
	v_fma_f64 v[2:3], v[2:3], v[26:27], -v[20:21]
	s_delay_alu instid0(VALU_DEP_4) | instskip(NEXT) | instid1(VALU_DEP_4)
	v_add_f64 v[6:7], v[10:11], v[6:7]
	v_add_f64 v[8:9], v[12:13], v[8:9]
	s_delay_alu instid0(VALU_DEP_2) | instskip(NEXT) | instid1(VALU_DEP_2)
	v_add_f64 v[2:3], v[6:7], v[2:3]
	v_add_f64 v[4:5], v[8:9], v[4:5]
	s_delay_alu instid0(VALU_DEP_2) | instskip(NEXT) | instid1(VALU_DEP_2)
	v_add_f64 v[2:3], v[42:43], -v[2:3]
	v_add_f64 v[4:5], v[44:45], -v[4:5]
	scratch_store_b128 off, v[2:5], off offset:160
	v_cmpx_lt_u32_e32 9, v122
	s_cbranch_execz .LBB101_223
; %bb.222:
	scratch_load_b128 v[5:8], v155, off
	v_mov_b32_e32 v2, v1
	v_mov_b32_e32 v3, v1
	;; [unrolled: 1-line block ×3, first 2 shown]
	scratch_store_b128 off, v[1:4], off offset:144
	s_waitcnt vmcnt(0)
	ds_store_b128 v160, v[5:8]
.LBB101_223:
	s_or_b32 exec_lo, exec_lo, s2
	s_waitcnt lgkmcnt(0)
	s_waitcnt_vscnt null, 0x0
	s_barrier
	buffer_gl0_inv
	s_clause 0x8
	scratch_load_b128 v[2:5], off, off offset:160
	scratch_load_b128 v[6:9], off, off offset:176
	scratch_load_b128 v[10:13], off, off offset:192
	scratch_load_b128 v[14:17], off, off offset:208
	scratch_load_b128 v[18:21], off, off offset:224
	scratch_load_b128 v[22:25], off, off offset:240
	scratch_load_b128 v[26:29], off, off offset:256
	scratch_load_b128 v[30:33], off, off offset:272
	scratch_load_b128 v[34:37], off, off offset:288
	ds_load_b128 v[42:45], v1 offset:768
	ds_load_b128 v[38:41], v1 offset:784
	s_clause 0x1
	scratch_load_b128 v[161:164], off, off offset:144
	scratch_load_b128 v[165:168], off, off offset:304
	s_mov_b32 s2, exec_lo
	s_waitcnt vmcnt(10) lgkmcnt(1)
	v_mul_f64 v[169:170], v[44:45], v[4:5]
	v_mul_f64 v[4:5], v[42:43], v[4:5]
	s_waitcnt vmcnt(9) lgkmcnt(0)
	v_mul_f64 v[173:174], v[38:39], v[8:9]
	v_mul_f64 v[8:9], v[40:41], v[8:9]
	s_delay_alu instid0(VALU_DEP_4) | instskip(NEXT) | instid1(VALU_DEP_4)
	v_fma_f64 v[175:176], v[42:43], v[2:3], -v[169:170]
	v_fma_f64 v[177:178], v[44:45], v[2:3], v[4:5]
	ds_load_b128 v[2:5], v1 offset:800
	ds_load_b128 v[169:172], v1 offset:816
	scratch_load_b128 v[42:45], off, off offset:320
	v_fma_f64 v[40:41], v[40:41], v[6:7], v[173:174]
	v_fma_f64 v[38:39], v[38:39], v[6:7], -v[8:9]
	scratch_load_b128 v[6:9], off, off offset:336
	s_waitcnt vmcnt(10) lgkmcnt(1)
	v_mul_f64 v[179:180], v[2:3], v[12:13]
	v_mul_f64 v[12:13], v[4:5], v[12:13]
	v_add_f64 v[173:174], v[175:176], 0
	v_add_f64 v[175:176], v[177:178], 0
	s_waitcnt vmcnt(9) lgkmcnt(0)
	v_mul_f64 v[177:178], v[169:170], v[16:17]
	v_mul_f64 v[16:17], v[171:172], v[16:17]
	v_fma_f64 v[179:180], v[4:5], v[10:11], v[179:180]
	v_fma_f64 v[181:182], v[2:3], v[10:11], -v[12:13]
	ds_load_b128 v[2:5], v1 offset:832
	scratch_load_b128 v[10:13], off, off offset:352
	v_add_f64 v[173:174], v[173:174], v[38:39]
	v_add_f64 v[175:176], v[175:176], v[40:41]
	ds_load_b128 v[38:41], v1 offset:848
	v_fma_f64 v[171:172], v[171:172], v[14:15], v[177:178]
	v_fma_f64 v[169:170], v[169:170], v[14:15], -v[16:17]
	scratch_load_b128 v[14:17], off, off offset:368
	s_waitcnt vmcnt(10) lgkmcnt(1)
	v_mul_f64 v[183:184], v[2:3], v[20:21]
	v_mul_f64 v[20:21], v[4:5], v[20:21]
	s_waitcnt vmcnt(9) lgkmcnt(0)
	v_mul_f64 v[177:178], v[38:39], v[24:25]
	v_mul_f64 v[24:25], v[40:41], v[24:25]
	v_add_f64 v[173:174], v[173:174], v[181:182]
	v_add_f64 v[175:176], v[175:176], v[179:180]
	v_fma_f64 v[179:180], v[4:5], v[18:19], v[183:184]
	v_fma_f64 v[181:182], v[2:3], v[18:19], -v[20:21]
	ds_load_b128 v[2:5], v1 offset:864
	scratch_load_b128 v[18:21], off, off offset:384
	v_fma_f64 v[40:41], v[40:41], v[22:23], v[177:178]
	v_fma_f64 v[38:39], v[38:39], v[22:23], -v[24:25]
	scratch_load_b128 v[22:25], off, off offset:400
	v_add_f64 v[173:174], v[173:174], v[169:170]
	v_add_f64 v[175:176], v[175:176], v[171:172]
	ds_load_b128 v[169:172], v1 offset:880
	s_waitcnt vmcnt(10) lgkmcnt(1)
	v_mul_f64 v[183:184], v[2:3], v[28:29]
	v_mul_f64 v[28:29], v[4:5], v[28:29]
	s_waitcnt vmcnt(9) lgkmcnt(0)
	v_mul_f64 v[177:178], v[169:170], v[32:33]
	v_mul_f64 v[32:33], v[171:172], v[32:33]
	v_add_f64 v[173:174], v[173:174], v[181:182]
	v_add_f64 v[175:176], v[175:176], v[179:180]
	v_fma_f64 v[179:180], v[4:5], v[26:27], v[183:184]
	v_fma_f64 v[181:182], v[2:3], v[26:27], -v[28:29]
	ds_load_b128 v[2:5], v1 offset:896
	scratch_load_b128 v[26:29], off, off offset:416
	v_fma_f64 v[171:172], v[171:172], v[30:31], v[177:178]
	v_fma_f64 v[169:170], v[169:170], v[30:31], -v[32:33]
	scratch_load_b128 v[30:33], off, off offset:432
	v_add_f64 v[173:174], v[173:174], v[38:39]
	v_add_f64 v[175:176], v[175:176], v[40:41]
	ds_load_b128 v[38:41], v1 offset:912
	s_waitcnt vmcnt(10) lgkmcnt(1)
	v_mul_f64 v[183:184], v[2:3], v[36:37]
	v_mul_f64 v[36:37], v[4:5], v[36:37]
	s_waitcnt vmcnt(8) lgkmcnt(0)
	v_mul_f64 v[177:178], v[38:39], v[167:168]
	v_add_f64 v[173:174], v[173:174], v[181:182]
	v_add_f64 v[175:176], v[175:176], v[179:180]
	v_mul_f64 v[179:180], v[40:41], v[167:168]
	v_fma_f64 v[181:182], v[4:5], v[34:35], v[183:184]
	v_fma_f64 v[183:184], v[2:3], v[34:35], -v[36:37]
	ds_load_b128 v[2:5], v1 offset:928
	scratch_load_b128 v[34:37], off, off offset:448
	v_fma_f64 v[177:178], v[40:41], v[165:166], v[177:178]
	v_add_f64 v[173:174], v[173:174], v[169:170]
	v_add_f64 v[171:172], v[175:176], v[171:172]
	ds_load_b128 v[167:170], v1 offset:944
	v_fma_f64 v[165:166], v[38:39], v[165:166], -v[179:180]
	scratch_load_b128 v[38:41], off, off offset:464
	s_waitcnt vmcnt(9) lgkmcnt(1)
	v_mul_f64 v[175:176], v[2:3], v[44:45]
	v_mul_f64 v[44:45], v[4:5], v[44:45]
	s_waitcnt vmcnt(8) lgkmcnt(0)
	v_mul_f64 v[179:180], v[167:168], v[8:9]
	v_mul_f64 v[8:9], v[169:170], v[8:9]
	v_add_f64 v[173:174], v[173:174], v[183:184]
	v_add_f64 v[171:172], v[171:172], v[181:182]
	v_fma_f64 v[175:176], v[4:5], v[42:43], v[175:176]
	v_fma_f64 v[181:182], v[2:3], v[42:43], -v[44:45]
	ds_load_b128 v[2:5], v1 offset:960
	scratch_load_b128 v[42:45], off, off offset:480
	v_fma_f64 v[169:170], v[169:170], v[6:7], v[179:180]
	v_fma_f64 v[167:168], v[167:168], v[6:7], -v[8:9]
	scratch_load_b128 v[6:9], off, off offset:496
	v_add_f64 v[165:166], v[173:174], v[165:166]
	v_add_f64 v[177:178], v[171:172], v[177:178]
	ds_load_b128 v[171:174], v1 offset:976
	s_waitcnt vmcnt(9) lgkmcnt(1)
	v_mul_f64 v[183:184], v[2:3], v[12:13]
	v_mul_f64 v[12:13], v[4:5], v[12:13]
	v_add_f64 v[165:166], v[165:166], v[181:182]
	v_add_f64 v[175:176], v[177:178], v[175:176]
	s_waitcnt vmcnt(8) lgkmcnt(0)
	v_mul_f64 v[177:178], v[171:172], v[16:17]
	v_mul_f64 v[16:17], v[173:174], v[16:17]
	v_fma_f64 v[179:180], v[4:5], v[10:11], v[183:184]
	v_fma_f64 v[181:182], v[2:3], v[10:11], -v[12:13]
	ds_load_b128 v[2:5], v1 offset:992
	scratch_load_b128 v[10:13], off, off offset:512
	v_add_f64 v[183:184], v[165:166], v[167:168]
	v_add_f64 v[169:170], v[175:176], v[169:170]
	ds_load_b128 v[165:168], v1 offset:1008
	s_waitcnt vmcnt(8) lgkmcnt(1)
	v_mul_f64 v[175:176], v[2:3], v[20:21]
	v_mul_f64 v[20:21], v[4:5], v[20:21]
	v_fma_f64 v[173:174], v[173:174], v[14:15], v[177:178]
	v_fma_f64 v[171:172], v[171:172], v[14:15], -v[16:17]
	scratch_load_b128 v[14:17], off, off offset:528
	v_add_f64 v[177:178], v[183:184], v[181:182]
	v_add_f64 v[169:170], v[169:170], v[179:180]
	s_waitcnt vmcnt(8) lgkmcnt(0)
	v_mul_f64 v[179:180], v[165:166], v[24:25]
	v_mul_f64 v[24:25], v[167:168], v[24:25]
	v_fma_f64 v[175:176], v[4:5], v[18:19], v[175:176]
	v_fma_f64 v[181:182], v[2:3], v[18:19], -v[20:21]
	ds_load_b128 v[2:5], v1 offset:1024
	scratch_load_b128 v[18:21], off, off offset:544
	v_add_f64 v[177:178], v[177:178], v[171:172]
	v_add_f64 v[173:174], v[169:170], v[173:174]
	ds_load_b128 v[169:172], v1 offset:1040
	s_waitcnt vmcnt(8) lgkmcnt(1)
	v_mul_f64 v[183:184], v[2:3], v[28:29]
	v_mul_f64 v[28:29], v[4:5], v[28:29]
	v_fma_f64 v[167:168], v[167:168], v[22:23], v[179:180]
	v_fma_f64 v[165:166], v[165:166], v[22:23], -v[24:25]
	scratch_load_b128 v[22:25], off, off offset:560
	;; [unrolled: 18-line block ×3, first 2 shown]
	v_add_f64 v[175:176], v[177:178], v[181:182]
	v_add_f64 v[173:174], v[173:174], v[179:180]
	s_waitcnt vmcnt(8) lgkmcnt(0)
	v_mul_f64 v[177:178], v[165:166], v[40:41]
	v_mul_f64 v[40:41], v[167:168], v[40:41]
	v_fma_f64 v[179:180], v[4:5], v[34:35], v[183:184]
	v_fma_f64 v[181:182], v[2:3], v[34:35], -v[36:37]
	ds_load_b128 v[2:5], v1 offset:1088
	ds_load_b128 v[34:37], v1 offset:1104
	v_add_f64 v[169:170], v[175:176], v[169:170]
	v_add_f64 v[171:172], v[173:174], v[171:172]
	s_waitcnt vmcnt(7) lgkmcnt(1)
	v_mul_f64 v[173:174], v[2:3], v[44:45]
	v_mul_f64 v[44:45], v[4:5], v[44:45]
	v_fma_f64 v[167:168], v[167:168], v[38:39], v[177:178]
	v_fma_f64 v[38:39], v[165:166], v[38:39], -v[40:41]
	v_add_f64 v[40:41], v[169:170], v[181:182]
	v_add_f64 v[165:166], v[171:172], v[179:180]
	s_waitcnt vmcnt(6) lgkmcnt(0)
	v_mul_f64 v[169:170], v[34:35], v[8:9]
	v_mul_f64 v[8:9], v[36:37], v[8:9]
	v_fma_f64 v[171:172], v[4:5], v[42:43], v[173:174]
	v_fma_f64 v[42:43], v[2:3], v[42:43], -v[44:45]
	v_add_f64 v[44:45], v[40:41], v[38:39]
	v_add_f64 v[165:166], v[165:166], v[167:168]
	ds_load_b128 v[2:5], v1 offset:1120
	ds_load_b128 v[38:41], v1 offset:1136
	v_fma_f64 v[36:37], v[36:37], v[6:7], v[169:170]
	v_fma_f64 v[6:7], v[34:35], v[6:7], -v[8:9]
	s_waitcnt vmcnt(5) lgkmcnt(1)
	v_mul_f64 v[167:168], v[2:3], v[12:13]
	v_mul_f64 v[12:13], v[4:5], v[12:13]
	v_add_f64 v[8:9], v[44:45], v[42:43]
	v_add_f64 v[34:35], v[165:166], v[171:172]
	s_waitcnt vmcnt(4) lgkmcnt(0)
	v_mul_f64 v[42:43], v[38:39], v[16:17]
	v_mul_f64 v[16:17], v[40:41], v[16:17]
	v_fma_f64 v[44:45], v[4:5], v[10:11], v[167:168]
	v_fma_f64 v[10:11], v[2:3], v[10:11], -v[12:13]
	v_add_f64 v[12:13], v[8:9], v[6:7]
	v_add_f64 v[34:35], v[34:35], v[36:37]
	ds_load_b128 v[2:5], v1 offset:1152
	ds_load_b128 v[6:9], v1 offset:1168
	v_fma_f64 v[40:41], v[40:41], v[14:15], v[42:43]
	v_fma_f64 v[14:15], v[38:39], v[14:15], -v[16:17]
	s_waitcnt vmcnt(3) lgkmcnt(1)
	v_mul_f64 v[36:37], v[2:3], v[20:21]
	v_mul_f64 v[20:21], v[4:5], v[20:21]
	s_waitcnt vmcnt(2) lgkmcnt(0)
	v_mul_f64 v[16:17], v[6:7], v[24:25]
	v_mul_f64 v[24:25], v[8:9], v[24:25]
	v_add_f64 v[10:11], v[12:13], v[10:11]
	v_add_f64 v[12:13], v[34:35], v[44:45]
	v_fma_f64 v[34:35], v[4:5], v[18:19], v[36:37]
	v_fma_f64 v[18:19], v[2:3], v[18:19], -v[20:21]
	v_fma_f64 v[8:9], v[8:9], v[22:23], v[16:17]
	v_fma_f64 v[6:7], v[6:7], v[22:23], -v[24:25]
	v_add_f64 v[14:15], v[10:11], v[14:15]
	v_add_f64 v[20:21], v[12:13], v[40:41]
	ds_load_b128 v[2:5], v1 offset:1184
	ds_load_b128 v[10:13], v1 offset:1200
	s_waitcnt vmcnt(1) lgkmcnt(1)
	v_mul_f64 v[36:37], v[2:3], v[28:29]
	v_mul_f64 v[28:29], v[4:5], v[28:29]
	v_add_f64 v[14:15], v[14:15], v[18:19]
	v_add_f64 v[16:17], v[20:21], v[34:35]
	s_waitcnt vmcnt(0) lgkmcnt(0)
	v_mul_f64 v[18:19], v[10:11], v[32:33]
	v_mul_f64 v[20:21], v[12:13], v[32:33]
	v_fma_f64 v[4:5], v[4:5], v[26:27], v[36:37]
	v_fma_f64 v[1:2], v[2:3], v[26:27], -v[28:29]
	v_add_f64 v[6:7], v[14:15], v[6:7]
	v_add_f64 v[8:9], v[16:17], v[8:9]
	v_fma_f64 v[12:13], v[12:13], v[30:31], v[18:19]
	v_fma_f64 v[10:11], v[10:11], v[30:31], -v[20:21]
	s_delay_alu instid0(VALU_DEP_4) | instskip(NEXT) | instid1(VALU_DEP_4)
	v_add_f64 v[1:2], v[6:7], v[1:2]
	v_add_f64 v[3:4], v[8:9], v[4:5]
	s_delay_alu instid0(VALU_DEP_2) | instskip(NEXT) | instid1(VALU_DEP_2)
	v_add_f64 v[1:2], v[1:2], v[10:11]
	v_add_f64 v[3:4], v[3:4], v[12:13]
	s_delay_alu instid0(VALU_DEP_2) | instskip(NEXT) | instid1(VALU_DEP_2)
	v_add_f64 v[1:2], v[161:162], -v[1:2]
	v_add_f64 v[3:4], v[163:164], -v[3:4]
	scratch_store_b128 off, v[1:4], off offset:144
	v_cmpx_lt_u32_e32 8, v122
	s_cbranch_execz .LBB101_225
; %bb.224:
	scratch_load_b128 v[1:4], v156, off
	v_mov_b32_e32 v5, 0
	s_delay_alu instid0(VALU_DEP_1)
	v_mov_b32_e32 v6, v5
	v_mov_b32_e32 v7, v5
	;; [unrolled: 1-line block ×3, first 2 shown]
	scratch_store_b128 off, v[5:8], off offset:128
	s_waitcnt vmcnt(0)
	ds_store_b128 v160, v[1:4]
.LBB101_225:
	s_or_b32 exec_lo, exec_lo, s2
	s_waitcnt lgkmcnt(0)
	s_waitcnt_vscnt null, 0x0
	s_barrier
	buffer_gl0_inv
	s_clause 0x7
	scratch_load_b128 v[2:5], off, off offset:144
	scratch_load_b128 v[6:9], off, off offset:160
	;; [unrolled: 1-line block ×8, first 2 shown]
	v_mov_b32_e32 v1, 0
	s_mov_b32 s2, exec_lo
	ds_load_b128 v[38:41], v1 offset:752
	s_clause 0x1
	scratch_load_b128 v[34:37], off, off offset:272
	scratch_load_b128 v[42:45], off, off offset:128
	ds_load_b128 v[161:164], v1 offset:768
	scratch_load_b128 v[165:168], off, off offset:288
	s_waitcnt vmcnt(10) lgkmcnt(1)
	v_mul_f64 v[169:170], v[40:41], v[4:5]
	v_mul_f64 v[4:5], v[38:39], v[4:5]
	s_delay_alu instid0(VALU_DEP_2) | instskip(NEXT) | instid1(VALU_DEP_2)
	v_fma_f64 v[175:176], v[38:39], v[2:3], -v[169:170]
	v_fma_f64 v[177:178], v[40:41], v[2:3], v[4:5]
	scratch_load_b128 v[38:41], off, off offset:304
	ds_load_b128 v[2:5], v1 offset:784
	s_waitcnt vmcnt(10) lgkmcnt(1)
	v_mul_f64 v[173:174], v[161:162], v[8:9]
	v_mul_f64 v[8:9], v[163:164], v[8:9]
	ds_load_b128 v[169:172], v1 offset:800
	s_waitcnt vmcnt(9) lgkmcnt(1)
	v_mul_f64 v[179:180], v[2:3], v[12:13]
	v_mul_f64 v[12:13], v[4:5], v[12:13]
	v_fma_f64 v[163:164], v[163:164], v[6:7], v[173:174]
	v_fma_f64 v[161:162], v[161:162], v[6:7], -v[8:9]
	v_add_f64 v[173:174], v[175:176], 0
	v_add_f64 v[175:176], v[177:178], 0
	scratch_load_b128 v[6:9], off, off offset:320
	v_fma_f64 v[179:180], v[4:5], v[10:11], v[179:180]
	v_fma_f64 v[181:182], v[2:3], v[10:11], -v[12:13]
	scratch_load_b128 v[10:13], off, off offset:336
	ds_load_b128 v[2:5], v1 offset:816
	s_waitcnt vmcnt(10) lgkmcnt(1)
	v_mul_f64 v[177:178], v[169:170], v[16:17]
	v_mul_f64 v[16:17], v[171:172], v[16:17]
	v_add_f64 v[173:174], v[173:174], v[161:162]
	v_add_f64 v[175:176], v[175:176], v[163:164]
	s_waitcnt vmcnt(9) lgkmcnt(0)
	v_mul_f64 v[183:184], v[2:3], v[20:21]
	v_mul_f64 v[20:21], v[4:5], v[20:21]
	ds_load_b128 v[161:164], v1 offset:832
	v_fma_f64 v[171:172], v[171:172], v[14:15], v[177:178]
	v_fma_f64 v[169:170], v[169:170], v[14:15], -v[16:17]
	scratch_load_b128 v[14:17], off, off offset:352
	v_add_f64 v[173:174], v[173:174], v[181:182]
	v_add_f64 v[175:176], v[175:176], v[179:180]
	v_fma_f64 v[179:180], v[4:5], v[18:19], v[183:184]
	v_fma_f64 v[181:182], v[2:3], v[18:19], -v[20:21]
	scratch_load_b128 v[18:21], off, off offset:368
	ds_load_b128 v[2:5], v1 offset:848
	s_waitcnt vmcnt(10) lgkmcnt(1)
	v_mul_f64 v[177:178], v[161:162], v[24:25]
	v_mul_f64 v[24:25], v[163:164], v[24:25]
	s_waitcnt vmcnt(9) lgkmcnt(0)
	v_mul_f64 v[183:184], v[2:3], v[28:29]
	v_mul_f64 v[28:29], v[4:5], v[28:29]
	v_add_f64 v[173:174], v[173:174], v[169:170]
	v_add_f64 v[175:176], v[175:176], v[171:172]
	ds_load_b128 v[169:172], v1 offset:864
	v_fma_f64 v[163:164], v[163:164], v[22:23], v[177:178]
	v_fma_f64 v[161:162], v[161:162], v[22:23], -v[24:25]
	scratch_load_b128 v[22:25], off, off offset:384
	v_add_f64 v[173:174], v[173:174], v[181:182]
	v_add_f64 v[175:176], v[175:176], v[179:180]
	v_fma_f64 v[179:180], v[4:5], v[26:27], v[183:184]
	v_fma_f64 v[181:182], v[2:3], v[26:27], -v[28:29]
	scratch_load_b128 v[26:29], off, off offset:400
	ds_load_b128 v[2:5], v1 offset:880
	s_waitcnt vmcnt(10) lgkmcnt(1)
	v_mul_f64 v[177:178], v[169:170], v[32:33]
	v_mul_f64 v[32:33], v[171:172], v[32:33]
	s_waitcnt vmcnt(9) lgkmcnt(0)
	v_mul_f64 v[183:184], v[2:3], v[36:37]
	v_mul_f64 v[36:37], v[4:5], v[36:37]
	v_add_f64 v[173:174], v[173:174], v[161:162]
	v_add_f64 v[175:176], v[175:176], v[163:164]
	ds_load_b128 v[161:164], v1 offset:896
	v_fma_f64 v[171:172], v[171:172], v[30:31], v[177:178]
	v_fma_f64 v[169:170], v[169:170], v[30:31], -v[32:33]
	scratch_load_b128 v[30:33], off, off offset:416
	v_add_f64 v[173:174], v[173:174], v[181:182]
	v_add_f64 v[175:176], v[175:176], v[179:180]
	v_fma_f64 v[181:182], v[4:5], v[34:35], v[183:184]
	v_fma_f64 v[183:184], v[2:3], v[34:35], -v[36:37]
	scratch_load_b128 v[34:37], off, off offset:432
	ds_load_b128 v[2:5], v1 offset:912
	s_waitcnt vmcnt(9) lgkmcnt(1)
	v_mul_f64 v[177:178], v[161:162], v[167:168]
	v_mul_f64 v[179:180], v[163:164], v[167:168]
	v_add_f64 v[173:174], v[173:174], v[169:170]
	v_add_f64 v[171:172], v[175:176], v[171:172]
	ds_load_b128 v[167:170], v1 offset:928
	v_fma_f64 v[177:178], v[163:164], v[165:166], v[177:178]
	v_fma_f64 v[165:166], v[161:162], v[165:166], -v[179:180]
	scratch_load_b128 v[161:164], off, off offset:448
	s_waitcnt vmcnt(9) lgkmcnt(1)
	v_mul_f64 v[175:176], v[2:3], v[40:41]
	v_mul_f64 v[40:41], v[4:5], v[40:41]
	v_add_f64 v[173:174], v[173:174], v[183:184]
	v_add_f64 v[171:172], v[171:172], v[181:182]
	s_delay_alu instid0(VALU_DEP_4) | instskip(NEXT) | instid1(VALU_DEP_4)
	v_fma_f64 v[175:176], v[4:5], v[38:39], v[175:176]
	v_fma_f64 v[181:182], v[2:3], v[38:39], -v[40:41]
	scratch_load_b128 v[38:41], off, off offset:464
	ds_load_b128 v[2:5], v1 offset:944
	s_waitcnt vmcnt(9) lgkmcnt(1)
	v_mul_f64 v[179:180], v[167:168], v[8:9]
	v_mul_f64 v[8:9], v[169:170], v[8:9]
	s_waitcnt vmcnt(8) lgkmcnt(0)
	v_mul_f64 v[183:184], v[2:3], v[12:13]
	v_mul_f64 v[12:13], v[4:5], v[12:13]
	v_add_f64 v[165:166], v[173:174], v[165:166]
	v_add_f64 v[177:178], v[171:172], v[177:178]
	ds_load_b128 v[171:174], v1 offset:960
	v_fma_f64 v[169:170], v[169:170], v[6:7], v[179:180]
	v_fma_f64 v[167:168], v[167:168], v[6:7], -v[8:9]
	scratch_load_b128 v[6:9], off, off offset:480
	v_fma_f64 v[179:180], v[4:5], v[10:11], v[183:184]
	v_add_f64 v[165:166], v[165:166], v[181:182]
	v_add_f64 v[175:176], v[177:178], v[175:176]
	v_fma_f64 v[181:182], v[2:3], v[10:11], -v[12:13]
	scratch_load_b128 v[10:13], off, off offset:496
	ds_load_b128 v[2:5], v1 offset:976
	s_waitcnt vmcnt(9) lgkmcnt(1)
	v_mul_f64 v[177:178], v[171:172], v[16:17]
	v_mul_f64 v[16:17], v[173:174], v[16:17]
	v_add_f64 v[183:184], v[165:166], v[167:168]
	v_add_f64 v[169:170], v[175:176], v[169:170]
	s_waitcnt vmcnt(8) lgkmcnt(0)
	v_mul_f64 v[175:176], v[2:3], v[20:21]
	v_mul_f64 v[20:21], v[4:5], v[20:21]
	ds_load_b128 v[165:168], v1 offset:992
	v_fma_f64 v[173:174], v[173:174], v[14:15], v[177:178]
	v_fma_f64 v[171:172], v[171:172], v[14:15], -v[16:17]
	scratch_load_b128 v[14:17], off, off offset:512
	v_add_f64 v[177:178], v[183:184], v[181:182]
	v_add_f64 v[169:170], v[169:170], v[179:180]
	v_fma_f64 v[175:176], v[4:5], v[18:19], v[175:176]
	v_fma_f64 v[181:182], v[2:3], v[18:19], -v[20:21]
	scratch_load_b128 v[18:21], off, off offset:528
	ds_load_b128 v[2:5], v1 offset:1008
	s_waitcnt vmcnt(9) lgkmcnt(1)
	v_mul_f64 v[179:180], v[165:166], v[24:25]
	v_mul_f64 v[24:25], v[167:168], v[24:25]
	s_waitcnt vmcnt(8) lgkmcnt(0)
	v_mul_f64 v[183:184], v[2:3], v[28:29]
	v_mul_f64 v[28:29], v[4:5], v[28:29]
	v_add_f64 v[177:178], v[177:178], v[171:172]
	v_add_f64 v[173:174], v[169:170], v[173:174]
	ds_load_b128 v[169:172], v1 offset:1024
	v_fma_f64 v[167:168], v[167:168], v[22:23], v[179:180]
	v_fma_f64 v[165:166], v[165:166], v[22:23], -v[24:25]
	scratch_load_b128 v[22:25], off, off offset:544
	v_fma_f64 v[179:180], v[4:5], v[26:27], v[183:184]
	v_add_f64 v[177:178], v[177:178], v[181:182]
	v_add_f64 v[173:174], v[173:174], v[175:176]
	v_fma_f64 v[181:182], v[2:3], v[26:27], -v[28:29]
	scratch_load_b128 v[26:29], off, off offset:560
	ds_load_b128 v[2:5], v1 offset:1040
	s_waitcnt vmcnt(9) lgkmcnt(1)
	v_mul_f64 v[175:176], v[169:170], v[32:33]
	v_mul_f64 v[32:33], v[171:172], v[32:33]
	s_waitcnt vmcnt(8) lgkmcnt(0)
	v_mul_f64 v[183:184], v[2:3], v[36:37]
	v_mul_f64 v[36:37], v[4:5], v[36:37]
	v_add_f64 v[177:178], v[177:178], v[165:166]
	v_add_f64 v[173:174], v[173:174], v[167:168]
	ds_load_b128 v[165:168], v1 offset:1056
	v_fma_f64 v[171:172], v[171:172], v[30:31], v[175:176]
	v_fma_f64 v[169:170], v[169:170], v[30:31], -v[32:33]
	scratch_load_b128 v[30:33], off, off offset:576
	v_add_f64 v[175:176], v[177:178], v[181:182]
	v_add_f64 v[173:174], v[173:174], v[179:180]
	v_fma_f64 v[179:180], v[4:5], v[34:35], v[183:184]
	v_fma_f64 v[181:182], v[2:3], v[34:35], -v[36:37]
	scratch_load_b128 v[34:37], off, off offset:592
	ds_load_b128 v[2:5], v1 offset:1072
	s_waitcnt vmcnt(9) lgkmcnt(1)
	v_mul_f64 v[177:178], v[165:166], v[163:164]
	v_mul_f64 v[163:164], v[167:168], v[163:164]
	s_waitcnt vmcnt(8) lgkmcnt(0)
	v_mul_f64 v[183:184], v[2:3], v[40:41]
	v_mul_f64 v[40:41], v[4:5], v[40:41]
	v_add_f64 v[175:176], v[175:176], v[169:170]
	v_add_f64 v[173:174], v[173:174], v[171:172]
	ds_load_b128 v[169:172], v1 offset:1088
	v_fma_f64 v[167:168], v[167:168], v[161:162], v[177:178]
	v_fma_f64 v[161:162], v[165:166], v[161:162], -v[163:164]
	v_fma_f64 v[177:178], v[2:3], v[38:39], -v[40:41]
	v_add_f64 v[163:164], v[175:176], v[181:182]
	v_add_f64 v[165:166], v[173:174], v[179:180]
	s_waitcnt vmcnt(7) lgkmcnt(0)
	v_mul_f64 v[173:174], v[169:170], v[8:9]
	v_mul_f64 v[8:9], v[171:172], v[8:9]
	v_fma_f64 v[175:176], v[4:5], v[38:39], v[183:184]
	ds_load_b128 v[2:5], v1 offset:1104
	ds_load_b128 v[38:41], v1 offset:1120
	v_add_f64 v[161:162], v[163:164], v[161:162]
	v_add_f64 v[163:164], v[165:166], v[167:168]
	s_waitcnt vmcnt(6) lgkmcnt(1)
	v_mul_f64 v[165:166], v[2:3], v[12:13]
	v_mul_f64 v[12:13], v[4:5], v[12:13]
	v_fma_f64 v[167:168], v[171:172], v[6:7], v[173:174]
	v_fma_f64 v[6:7], v[169:170], v[6:7], -v[8:9]
	v_add_f64 v[8:9], v[161:162], v[177:178]
	v_add_f64 v[161:162], v[163:164], v[175:176]
	s_waitcnt vmcnt(5) lgkmcnt(0)
	v_mul_f64 v[163:164], v[38:39], v[16:17]
	v_mul_f64 v[16:17], v[40:41], v[16:17]
	v_fma_f64 v[165:166], v[4:5], v[10:11], v[165:166]
	v_fma_f64 v[10:11], v[2:3], v[10:11], -v[12:13]
	v_add_f64 v[12:13], v[8:9], v[6:7]
	v_add_f64 v[161:162], v[161:162], v[167:168]
	ds_load_b128 v[2:5], v1 offset:1136
	ds_load_b128 v[6:9], v1 offset:1152
	v_fma_f64 v[40:41], v[40:41], v[14:15], v[163:164]
	v_fma_f64 v[14:15], v[38:39], v[14:15], -v[16:17]
	s_waitcnt vmcnt(4) lgkmcnt(1)
	v_mul_f64 v[167:168], v[2:3], v[20:21]
	v_mul_f64 v[20:21], v[4:5], v[20:21]
	s_waitcnt vmcnt(3) lgkmcnt(0)
	v_mul_f64 v[16:17], v[6:7], v[24:25]
	v_mul_f64 v[24:25], v[8:9], v[24:25]
	v_add_f64 v[10:11], v[12:13], v[10:11]
	v_add_f64 v[12:13], v[161:162], v[165:166]
	v_fma_f64 v[38:39], v[4:5], v[18:19], v[167:168]
	v_fma_f64 v[18:19], v[2:3], v[18:19], -v[20:21]
	v_fma_f64 v[8:9], v[8:9], v[22:23], v[16:17]
	v_fma_f64 v[6:7], v[6:7], v[22:23], -v[24:25]
	v_add_f64 v[14:15], v[10:11], v[14:15]
	v_add_f64 v[20:21], v[12:13], v[40:41]
	ds_load_b128 v[2:5], v1 offset:1168
	ds_load_b128 v[10:13], v1 offset:1184
	s_waitcnt vmcnt(2) lgkmcnt(1)
	v_mul_f64 v[40:41], v[2:3], v[28:29]
	v_mul_f64 v[28:29], v[4:5], v[28:29]
	v_add_f64 v[14:15], v[14:15], v[18:19]
	v_add_f64 v[16:17], v[20:21], v[38:39]
	s_waitcnt vmcnt(1) lgkmcnt(0)
	v_mul_f64 v[18:19], v[10:11], v[32:33]
	v_mul_f64 v[20:21], v[12:13], v[32:33]
	v_fma_f64 v[22:23], v[4:5], v[26:27], v[40:41]
	v_fma_f64 v[24:25], v[2:3], v[26:27], -v[28:29]
	ds_load_b128 v[2:5], v1 offset:1200
	v_add_f64 v[6:7], v[14:15], v[6:7]
	v_add_f64 v[8:9], v[16:17], v[8:9]
	v_fma_f64 v[12:13], v[12:13], v[30:31], v[18:19]
	v_fma_f64 v[10:11], v[10:11], v[30:31], -v[20:21]
	s_waitcnt vmcnt(0) lgkmcnt(0)
	v_mul_f64 v[14:15], v[2:3], v[36:37]
	v_mul_f64 v[16:17], v[4:5], v[36:37]
	v_add_f64 v[6:7], v[6:7], v[24:25]
	v_add_f64 v[8:9], v[8:9], v[22:23]
	s_delay_alu instid0(VALU_DEP_4) | instskip(NEXT) | instid1(VALU_DEP_4)
	v_fma_f64 v[4:5], v[4:5], v[34:35], v[14:15]
	v_fma_f64 v[2:3], v[2:3], v[34:35], -v[16:17]
	s_delay_alu instid0(VALU_DEP_4) | instskip(NEXT) | instid1(VALU_DEP_4)
	v_add_f64 v[6:7], v[6:7], v[10:11]
	v_add_f64 v[8:9], v[8:9], v[12:13]
	s_delay_alu instid0(VALU_DEP_2) | instskip(NEXT) | instid1(VALU_DEP_2)
	v_add_f64 v[2:3], v[6:7], v[2:3]
	v_add_f64 v[4:5], v[8:9], v[4:5]
	s_delay_alu instid0(VALU_DEP_2) | instskip(NEXT) | instid1(VALU_DEP_2)
	v_add_f64 v[2:3], v[42:43], -v[2:3]
	v_add_f64 v[4:5], v[44:45], -v[4:5]
	scratch_store_b128 off, v[2:5], off offset:128
	v_cmpx_lt_u32_e32 7, v122
	s_cbranch_execz .LBB101_227
; %bb.226:
	scratch_load_b128 v[5:8], v158, off
	v_mov_b32_e32 v2, v1
	v_mov_b32_e32 v3, v1
	;; [unrolled: 1-line block ×3, first 2 shown]
	scratch_store_b128 off, v[1:4], off offset:112
	s_waitcnt vmcnt(0)
	ds_store_b128 v160, v[5:8]
.LBB101_227:
	s_or_b32 exec_lo, exec_lo, s2
	s_waitcnt lgkmcnt(0)
	s_waitcnt_vscnt null, 0x0
	s_barrier
	buffer_gl0_inv
	s_clause 0x8
	scratch_load_b128 v[2:5], off, off offset:128
	scratch_load_b128 v[6:9], off, off offset:144
	;; [unrolled: 1-line block ×9, first 2 shown]
	ds_load_b128 v[42:45], v1 offset:736
	ds_load_b128 v[38:41], v1 offset:752
	s_clause 0x1
	scratch_load_b128 v[161:164], off, off offset:112
	scratch_load_b128 v[165:168], off, off offset:272
	s_mov_b32 s2, exec_lo
	s_waitcnt vmcnt(10) lgkmcnt(1)
	v_mul_f64 v[169:170], v[44:45], v[4:5]
	v_mul_f64 v[4:5], v[42:43], v[4:5]
	s_waitcnt vmcnt(9) lgkmcnt(0)
	v_mul_f64 v[173:174], v[38:39], v[8:9]
	v_mul_f64 v[8:9], v[40:41], v[8:9]
	s_delay_alu instid0(VALU_DEP_4) | instskip(NEXT) | instid1(VALU_DEP_4)
	v_fma_f64 v[175:176], v[42:43], v[2:3], -v[169:170]
	v_fma_f64 v[177:178], v[44:45], v[2:3], v[4:5]
	ds_load_b128 v[2:5], v1 offset:768
	ds_load_b128 v[169:172], v1 offset:784
	scratch_load_b128 v[42:45], off, off offset:288
	v_fma_f64 v[40:41], v[40:41], v[6:7], v[173:174]
	v_fma_f64 v[38:39], v[38:39], v[6:7], -v[8:9]
	scratch_load_b128 v[6:9], off, off offset:304
	s_waitcnt vmcnt(10) lgkmcnt(1)
	v_mul_f64 v[179:180], v[2:3], v[12:13]
	v_mul_f64 v[12:13], v[4:5], v[12:13]
	v_add_f64 v[173:174], v[175:176], 0
	v_add_f64 v[175:176], v[177:178], 0
	s_waitcnt vmcnt(9) lgkmcnt(0)
	v_mul_f64 v[177:178], v[169:170], v[16:17]
	v_mul_f64 v[16:17], v[171:172], v[16:17]
	v_fma_f64 v[179:180], v[4:5], v[10:11], v[179:180]
	v_fma_f64 v[181:182], v[2:3], v[10:11], -v[12:13]
	ds_load_b128 v[2:5], v1 offset:800
	scratch_load_b128 v[10:13], off, off offset:320
	v_add_f64 v[173:174], v[173:174], v[38:39]
	v_add_f64 v[175:176], v[175:176], v[40:41]
	ds_load_b128 v[38:41], v1 offset:816
	v_fma_f64 v[171:172], v[171:172], v[14:15], v[177:178]
	v_fma_f64 v[169:170], v[169:170], v[14:15], -v[16:17]
	scratch_load_b128 v[14:17], off, off offset:336
	s_waitcnt vmcnt(10) lgkmcnt(1)
	v_mul_f64 v[183:184], v[2:3], v[20:21]
	v_mul_f64 v[20:21], v[4:5], v[20:21]
	s_waitcnt vmcnt(9) lgkmcnt(0)
	v_mul_f64 v[177:178], v[38:39], v[24:25]
	v_mul_f64 v[24:25], v[40:41], v[24:25]
	v_add_f64 v[173:174], v[173:174], v[181:182]
	v_add_f64 v[175:176], v[175:176], v[179:180]
	v_fma_f64 v[179:180], v[4:5], v[18:19], v[183:184]
	v_fma_f64 v[181:182], v[2:3], v[18:19], -v[20:21]
	ds_load_b128 v[2:5], v1 offset:832
	scratch_load_b128 v[18:21], off, off offset:352
	v_fma_f64 v[40:41], v[40:41], v[22:23], v[177:178]
	v_fma_f64 v[38:39], v[38:39], v[22:23], -v[24:25]
	scratch_load_b128 v[22:25], off, off offset:368
	v_add_f64 v[173:174], v[173:174], v[169:170]
	v_add_f64 v[175:176], v[175:176], v[171:172]
	ds_load_b128 v[169:172], v1 offset:848
	s_waitcnt vmcnt(10) lgkmcnt(1)
	v_mul_f64 v[183:184], v[2:3], v[28:29]
	v_mul_f64 v[28:29], v[4:5], v[28:29]
	s_waitcnt vmcnt(9) lgkmcnt(0)
	v_mul_f64 v[177:178], v[169:170], v[32:33]
	v_mul_f64 v[32:33], v[171:172], v[32:33]
	v_add_f64 v[173:174], v[173:174], v[181:182]
	v_add_f64 v[175:176], v[175:176], v[179:180]
	v_fma_f64 v[179:180], v[4:5], v[26:27], v[183:184]
	v_fma_f64 v[181:182], v[2:3], v[26:27], -v[28:29]
	ds_load_b128 v[2:5], v1 offset:864
	scratch_load_b128 v[26:29], off, off offset:384
	v_fma_f64 v[171:172], v[171:172], v[30:31], v[177:178]
	v_fma_f64 v[169:170], v[169:170], v[30:31], -v[32:33]
	scratch_load_b128 v[30:33], off, off offset:400
	v_add_f64 v[173:174], v[173:174], v[38:39]
	v_add_f64 v[175:176], v[175:176], v[40:41]
	ds_load_b128 v[38:41], v1 offset:880
	s_waitcnt vmcnt(10) lgkmcnt(1)
	v_mul_f64 v[183:184], v[2:3], v[36:37]
	v_mul_f64 v[36:37], v[4:5], v[36:37]
	s_waitcnt vmcnt(8) lgkmcnt(0)
	v_mul_f64 v[177:178], v[38:39], v[167:168]
	v_add_f64 v[173:174], v[173:174], v[181:182]
	v_add_f64 v[175:176], v[175:176], v[179:180]
	v_mul_f64 v[179:180], v[40:41], v[167:168]
	v_fma_f64 v[181:182], v[4:5], v[34:35], v[183:184]
	v_fma_f64 v[183:184], v[2:3], v[34:35], -v[36:37]
	ds_load_b128 v[2:5], v1 offset:896
	scratch_load_b128 v[34:37], off, off offset:416
	v_fma_f64 v[177:178], v[40:41], v[165:166], v[177:178]
	v_add_f64 v[173:174], v[173:174], v[169:170]
	v_add_f64 v[171:172], v[175:176], v[171:172]
	ds_load_b128 v[167:170], v1 offset:912
	v_fma_f64 v[165:166], v[38:39], v[165:166], -v[179:180]
	scratch_load_b128 v[38:41], off, off offset:432
	s_waitcnt vmcnt(9) lgkmcnt(1)
	v_mul_f64 v[175:176], v[2:3], v[44:45]
	v_mul_f64 v[44:45], v[4:5], v[44:45]
	s_waitcnt vmcnt(8) lgkmcnt(0)
	v_mul_f64 v[179:180], v[167:168], v[8:9]
	v_mul_f64 v[8:9], v[169:170], v[8:9]
	v_add_f64 v[173:174], v[173:174], v[183:184]
	v_add_f64 v[171:172], v[171:172], v[181:182]
	v_fma_f64 v[175:176], v[4:5], v[42:43], v[175:176]
	v_fma_f64 v[181:182], v[2:3], v[42:43], -v[44:45]
	ds_load_b128 v[2:5], v1 offset:928
	scratch_load_b128 v[42:45], off, off offset:448
	v_fma_f64 v[169:170], v[169:170], v[6:7], v[179:180]
	v_fma_f64 v[167:168], v[167:168], v[6:7], -v[8:9]
	scratch_load_b128 v[6:9], off, off offset:464
	v_add_f64 v[165:166], v[173:174], v[165:166]
	v_add_f64 v[177:178], v[171:172], v[177:178]
	ds_load_b128 v[171:174], v1 offset:944
	s_waitcnt vmcnt(9) lgkmcnt(1)
	v_mul_f64 v[183:184], v[2:3], v[12:13]
	v_mul_f64 v[12:13], v[4:5], v[12:13]
	v_add_f64 v[165:166], v[165:166], v[181:182]
	v_add_f64 v[175:176], v[177:178], v[175:176]
	s_waitcnt vmcnt(8) lgkmcnt(0)
	v_mul_f64 v[177:178], v[171:172], v[16:17]
	v_mul_f64 v[16:17], v[173:174], v[16:17]
	v_fma_f64 v[179:180], v[4:5], v[10:11], v[183:184]
	v_fma_f64 v[181:182], v[2:3], v[10:11], -v[12:13]
	ds_load_b128 v[2:5], v1 offset:960
	scratch_load_b128 v[10:13], off, off offset:480
	v_add_f64 v[183:184], v[165:166], v[167:168]
	v_add_f64 v[169:170], v[175:176], v[169:170]
	ds_load_b128 v[165:168], v1 offset:976
	s_waitcnt vmcnt(8) lgkmcnt(1)
	v_mul_f64 v[175:176], v[2:3], v[20:21]
	v_mul_f64 v[20:21], v[4:5], v[20:21]
	v_fma_f64 v[173:174], v[173:174], v[14:15], v[177:178]
	v_fma_f64 v[171:172], v[171:172], v[14:15], -v[16:17]
	scratch_load_b128 v[14:17], off, off offset:496
	v_add_f64 v[177:178], v[183:184], v[181:182]
	v_add_f64 v[169:170], v[169:170], v[179:180]
	s_waitcnt vmcnt(8) lgkmcnt(0)
	v_mul_f64 v[179:180], v[165:166], v[24:25]
	v_mul_f64 v[24:25], v[167:168], v[24:25]
	v_fma_f64 v[175:176], v[4:5], v[18:19], v[175:176]
	v_fma_f64 v[181:182], v[2:3], v[18:19], -v[20:21]
	ds_load_b128 v[2:5], v1 offset:992
	scratch_load_b128 v[18:21], off, off offset:512
	v_add_f64 v[177:178], v[177:178], v[171:172]
	v_add_f64 v[173:174], v[169:170], v[173:174]
	ds_load_b128 v[169:172], v1 offset:1008
	s_waitcnt vmcnt(8) lgkmcnt(1)
	v_mul_f64 v[183:184], v[2:3], v[28:29]
	v_mul_f64 v[28:29], v[4:5], v[28:29]
	v_fma_f64 v[167:168], v[167:168], v[22:23], v[179:180]
	v_fma_f64 v[165:166], v[165:166], v[22:23], -v[24:25]
	scratch_load_b128 v[22:25], off, off offset:528
	;; [unrolled: 18-line block ×4, first 2 shown]
	s_waitcnt vmcnt(8) lgkmcnt(0)
	v_mul_f64 v[177:178], v[169:170], v[8:9]
	v_mul_f64 v[8:9], v[171:172], v[8:9]
	v_add_f64 v[175:176], v[175:176], v[181:182]
	v_add_f64 v[173:174], v[173:174], v[179:180]
	v_fma_f64 v[179:180], v[4:5], v[42:43], v[183:184]
	v_fma_f64 v[181:182], v[2:3], v[42:43], -v[44:45]
	ds_load_b128 v[2:5], v1 offset:1088
	ds_load_b128 v[42:45], v1 offset:1104
	v_fma_f64 v[171:172], v[171:172], v[6:7], v[177:178]
	v_fma_f64 v[6:7], v[169:170], v[6:7], -v[8:9]
	v_add_f64 v[165:166], v[175:176], v[165:166]
	v_add_f64 v[167:168], v[173:174], v[167:168]
	s_waitcnt vmcnt(7) lgkmcnt(1)
	v_mul_f64 v[173:174], v[2:3], v[12:13]
	v_mul_f64 v[12:13], v[4:5], v[12:13]
	s_delay_alu instid0(VALU_DEP_4) | instskip(NEXT) | instid1(VALU_DEP_4)
	v_add_f64 v[8:9], v[165:166], v[181:182]
	v_add_f64 v[165:166], v[167:168], v[179:180]
	s_waitcnt vmcnt(6) lgkmcnt(0)
	v_mul_f64 v[167:168], v[42:43], v[16:17]
	v_mul_f64 v[16:17], v[44:45], v[16:17]
	v_fma_f64 v[169:170], v[4:5], v[10:11], v[173:174]
	v_fma_f64 v[10:11], v[2:3], v[10:11], -v[12:13]
	v_add_f64 v[12:13], v[8:9], v[6:7]
	v_add_f64 v[165:166], v[165:166], v[171:172]
	ds_load_b128 v[2:5], v1 offset:1120
	ds_load_b128 v[6:9], v1 offset:1136
	v_fma_f64 v[44:45], v[44:45], v[14:15], v[167:168]
	v_fma_f64 v[14:15], v[42:43], v[14:15], -v[16:17]
	s_waitcnt vmcnt(5) lgkmcnt(1)
	v_mul_f64 v[171:172], v[2:3], v[20:21]
	v_mul_f64 v[20:21], v[4:5], v[20:21]
	s_waitcnt vmcnt(4) lgkmcnt(0)
	v_mul_f64 v[16:17], v[6:7], v[24:25]
	v_mul_f64 v[24:25], v[8:9], v[24:25]
	v_add_f64 v[10:11], v[12:13], v[10:11]
	v_add_f64 v[12:13], v[165:166], v[169:170]
	v_fma_f64 v[42:43], v[4:5], v[18:19], v[171:172]
	v_fma_f64 v[18:19], v[2:3], v[18:19], -v[20:21]
	v_fma_f64 v[8:9], v[8:9], v[22:23], v[16:17]
	v_fma_f64 v[6:7], v[6:7], v[22:23], -v[24:25]
	v_add_f64 v[14:15], v[10:11], v[14:15]
	v_add_f64 v[20:21], v[12:13], v[44:45]
	ds_load_b128 v[2:5], v1 offset:1152
	ds_load_b128 v[10:13], v1 offset:1168
	s_waitcnt vmcnt(3) lgkmcnt(1)
	v_mul_f64 v[44:45], v[2:3], v[28:29]
	v_mul_f64 v[28:29], v[4:5], v[28:29]
	v_add_f64 v[14:15], v[14:15], v[18:19]
	v_add_f64 v[16:17], v[20:21], v[42:43]
	s_waitcnt vmcnt(2) lgkmcnt(0)
	v_mul_f64 v[18:19], v[10:11], v[32:33]
	v_mul_f64 v[20:21], v[12:13], v[32:33]
	v_fma_f64 v[22:23], v[4:5], v[26:27], v[44:45]
	v_fma_f64 v[24:25], v[2:3], v[26:27], -v[28:29]
	v_add_f64 v[14:15], v[14:15], v[6:7]
	v_add_f64 v[16:17], v[16:17], v[8:9]
	ds_load_b128 v[2:5], v1 offset:1184
	ds_load_b128 v[6:9], v1 offset:1200
	v_fma_f64 v[12:13], v[12:13], v[30:31], v[18:19]
	v_fma_f64 v[10:11], v[10:11], v[30:31], -v[20:21]
	s_waitcnt vmcnt(1) lgkmcnt(1)
	v_mul_f64 v[26:27], v[2:3], v[36:37]
	v_mul_f64 v[28:29], v[4:5], v[36:37]
	s_waitcnt vmcnt(0) lgkmcnt(0)
	v_mul_f64 v[18:19], v[6:7], v[40:41]
	v_mul_f64 v[20:21], v[8:9], v[40:41]
	v_add_f64 v[14:15], v[14:15], v[24:25]
	v_add_f64 v[16:17], v[16:17], v[22:23]
	v_fma_f64 v[4:5], v[4:5], v[34:35], v[26:27]
	v_fma_f64 v[1:2], v[2:3], v[34:35], -v[28:29]
	v_fma_f64 v[8:9], v[8:9], v[38:39], v[18:19]
	v_fma_f64 v[6:7], v[6:7], v[38:39], -v[20:21]
	v_add_f64 v[10:11], v[14:15], v[10:11]
	v_add_f64 v[12:13], v[16:17], v[12:13]
	s_delay_alu instid0(VALU_DEP_2) | instskip(NEXT) | instid1(VALU_DEP_2)
	v_add_f64 v[1:2], v[10:11], v[1:2]
	v_add_f64 v[3:4], v[12:13], v[4:5]
	s_delay_alu instid0(VALU_DEP_2) | instskip(NEXT) | instid1(VALU_DEP_2)
	v_add_f64 v[1:2], v[1:2], v[6:7]
	v_add_f64 v[3:4], v[3:4], v[8:9]
	s_delay_alu instid0(VALU_DEP_2) | instskip(NEXT) | instid1(VALU_DEP_2)
	v_add_f64 v[1:2], v[161:162], -v[1:2]
	v_add_f64 v[3:4], v[163:164], -v[3:4]
	scratch_store_b128 off, v[1:4], off offset:112
	v_cmpx_lt_u32_e32 6, v122
	s_cbranch_execz .LBB101_229
; %bb.228:
	scratch_load_b128 v[1:4], v157, off
	v_mov_b32_e32 v5, 0
	s_delay_alu instid0(VALU_DEP_1)
	v_mov_b32_e32 v6, v5
	v_mov_b32_e32 v7, v5
	;; [unrolled: 1-line block ×3, first 2 shown]
	scratch_store_b128 off, v[5:8], off offset:96
	s_waitcnt vmcnt(0)
	ds_store_b128 v160, v[1:4]
.LBB101_229:
	s_or_b32 exec_lo, exec_lo, s2
	s_waitcnt lgkmcnt(0)
	s_waitcnt_vscnt null, 0x0
	s_barrier
	buffer_gl0_inv
	s_clause 0x7
	scratch_load_b128 v[2:5], off, off offset:112
	scratch_load_b128 v[6:9], off, off offset:128
	;; [unrolled: 1-line block ×8, first 2 shown]
	v_mov_b32_e32 v1, 0
	s_mov_b32 s2, exec_lo
	ds_load_b128 v[38:41], v1 offset:720
	s_clause 0x1
	scratch_load_b128 v[34:37], off, off offset:240
	scratch_load_b128 v[42:45], off, off offset:96
	ds_load_b128 v[161:164], v1 offset:736
	scratch_load_b128 v[165:168], off, off offset:256
	s_waitcnt vmcnt(10) lgkmcnt(1)
	v_mul_f64 v[169:170], v[40:41], v[4:5]
	v_mul_f64 v[4:5], v[38:39], v[4:5]
	s_delay_alu instid0(VALU_DEP_2) | instskip(NEXT) | instid1(VALU_DEP_2)
	v_fma_f64 v[175:176], v[38:39], v[2:3], -v[169:170]
	v_fma_f64 v[177:178], v[40:41], v[2:3], v[4:5]
	scratch_load_b128 v[38:41], off, off offset:272
	ds_load_b128 v[2:5], v1 offset:752
	s_waitcnt vmcnt(10) lgkmcnt(1)
	v_mul_f64 v[173:174], v[161:162], v[8:9]
	v_mul_f64 v[8:9], v[163:164], v[8:9]
	ds_load_b128 v[169:172], v1 offset:768
	s_waitcnt vmcnt(9) lgkmcnt(1)
	v_mul_f64 v[179:180], v[2:3], v[12:13]
	v_mul_f64 v[12:13], v[4:5], v[12:13]
	v_fma_f64 v[163:164], v[163:164], v[6:7], v[173:174]
	v_fma_f64 v[161:162], v[161:162], v[6:7], -v[8:9]
	v_add_f64 v[173:174], v[175:176], 0
	v_add_f64 v[175:176], v[177:178], 0
	scratch_load_b128 v[6:9], off, off offset:288
	v_fma_f64 v[179:180], v[4:5], v[10:11], v[179:180]
	v_fma_f64 v[181:182], v[2:3], v[10:11], -v[12:13]
	scratch_load_b128 v[10:13], off, off offset:304
	ds_load_b128 v[2:5], v1 offset:784
	s_waitcnt vmcnt(10) lgkmcnt(1)
	v_mul_f64 v[177:178], v[169:170], v[16:17]
	v_mul_f64 v[16:17], v[171:172], v[16:17]
	v_add_f64 v[173:174], v[173:174], v[161:162]
	v_add_f64 v[175:176], v[175:176], v[163:164]
	s_waitcnt vmcnt(9) lgkmcnt(0)
	v_mul_f64 v[183:184], v[2:3], v[20:21]
	v_mul_f64 v[20:21], v[4:5], v[20:21]
	ds_load_b128 v[161:164], v1 offset:800
	v_fma_f64 v[171:172], v[171:172], v[14:15], v[177:178]
	v_fma_f64 v[169:170], v[169:170], v[14:15], -v[16:17]
	scratch_load_b128 v[14:17], off, off offset:320
	v_add_f64 v[173:174], v[173:174], v[181:182]
	v_add_f64 v[175:176], v[175:176], v[179:180]
	v_fma_f64 v[179:180], v[4:5], v[18:19], v[183:184]
	v_fma_f64 v[181:182], v[2:3], v[18:19], -v[20:21]
	scratch_load_b128 v[18:21], off, off offset:336
	ds_load_b128 v[2:5], v1 offset:816
	s_waitcnt vmcnt(10) lgkmcnt(1)
	v_mul_f64 v[177:178], v[161:162], v[24:25]
	v_mul_f64 v[24:25], v[163:164], v[24:25]
	s_waitcnt vmcnt(9) lgkmcnt(0)
	v_mul_f64 v[183:184], v[2:3], v[28:29]
	v_mul_f64 v[28:29], v[4:5], v[28:29]
	v_add_f64 v[173:174], v[173:174], v[169:170]
	v_add_f64 v[175:176], v[175:176], v[171:172]
	ds_load_b128 v[169:172], v1 offset:832
	v_fma_f64 v[163:164], v[163:164], v[22:23], v[177:178]
	v_fma_f64 v[161:162], v[161:162], v[22:23], -v[24:25]
	scratch_load_b128 v[22:25], off, off offset:352
	v_add_f64 v[173:174], v[173:174], v[181:182]
	v_add_f64 v[175:176], v[175:176], v[179:180]
	v_fma_f64 v[179:180], v[4:5], v[26:27], v[183:184]
	v_fma_f64 v[181:182], v[2:3], v[26:27], -v[28:29]
	scratch_load_b128 v[26:29], off, off offset:368
	ds_load_b128 v[2:5], v1 offset:848
	s_waitcnt vmcnt(10) lgkmcnt(1)
	v_mul_f64 v[177:178], v[169:170], v[32:33]
	v_mul_f64 v[32:33], v[171:172], v[32:33]
	s_waitcnt vmcnt(9) lgkmcnt(0)
	v_mul_f64 v[183:184], v[2:3], v[36:37]
	v_mul_f64 v[36:37], v[4:5], v[36:37]
	v_add_f64 v[173:174], v[173:174], v[161:162]
	v_add_f64 v[175:176], v[175:176], v[163:164]
	ds_load_b128 v[161:164], v1 offset:864
	v_fma_f64 v[171:172], v[171:172], v[30:31], v[177:178]
	v_fma_f64 v[169:170], v[169:170], v[30:31], -v[32:33]
	scratch_load_b128 v[30:33], off, off offset:384
	v_add_f64 v[173:174], v[173:174], v[181:182]
	v_add_f64 v[175:176], v[175:176], v[179:180]
	v_fma_f64 v[181:182], v[4:5], v[34:35], v[183:184]
	v_fma_f64 v[183:184], v[2:3], v[34:35], -v[36:37]
	scratch_load_b128 v[34:37], off, off offset:400
	ds_load_b128 v[2:5], v1 offset:880
	s_waitcnt vmcnt(9) lgkmcnt(1)
	v_mul_f64 v[177:178], v[161:162], v[167:168]
	v_mul_f64 v[179:180], v[163:164], v[167:168]
	v_add_f64 v[173:174], v[173:174], v[169:170]
	v_add_f64 v[171:172], v[175:176], v[171:172]
	ds_load_b128 v[167:170], v1 offset:896
	v_fma_f64 v[177:178], v[163:164], v[165:166], v[177:178]
	v_fma_f64 v[165:166], v[161:162], v[165:166], -v[179:180]
	scratch_load_b128 v[161:164], off, off offset:416
	s_waitcnt vmcnt(9) lgkmcnt(1)
	v_mul_f64 v[175:176], v[2:3], v[40:41]
	v_mul_f64 v[40:41], v[4:5], v[40:41]
	v_add_f64 v[173:174], v[173:174], v[183:184]
	v_add_f64 v[171:172], v[171:172], v[181:182]
	s_delay_alu instid0(VALU_DEP_4) | instskip(NEXT) | instid1(VALU_DEP_4)
	v_fma_f64 v[175:176], v[4:5], v[38:39], v[175:176]
	v_fma_f64 v[181:182], v[2:3], v[38:39], -v[40:41]
	scratch_load_b128 v[38:41], off, off offset:432
	ds_load_b128 v[2:5], v1 offset:912
	s_waitcnt vmcnt(9) lgkmcnt(1)
	v_mul_f64 v[179:180], v[167:168], v[8:9]
	v_mul_f64 v[8:9], v[169:170], v[8:9]
	s_waitcnt vmcnt(8) lgkmcnt(0)
	v_mul_f64 v[183:184], v[2:3], v[12:13]
	v_mul_f64 v[12:13], v[4:5], v[12:13]
	v_add_f64 v[165:166], v[173:174], v[165:166]
	v_add_f64 v[177:178], v[171:172], v[177:178]
	ds_load_b128 v[171:174], v1 offset:928
	v_fma_f64 v[169:170], v[169:170], v[6:7], v[179:180]
	v_fma_f64 v[167:168], v[167:168], v[6:7], -v[8:9]
	scratch_load_b128 v[6:9], off, off offset:448
	v_fma_f64 v[179:180], v[4:5], v[10:11], v[183:184]
	v_add_f64 v[165:166], v[165:166], v[181:182]
	v_add_f64 v[175:176], v[177:178], v[175:176]
	v_fma_f64 v[181:182], v[2:3], v[10:11], -v[12:13]
	scratch_load_b128 v[10:13], off, off offset:464
	ds_load_b128 v[2:5], v1 offset:944
	s_waitcnt vmcnt(9) lgkmcnt(1)
	v_mul_f64 v[177:178], v[171:172], v[16:17]
	v_mul_f64 v[16:17], v[173:174], v[16:17]
	v_add_f64 v[183:184], v[165:166], v[167:168]
	v_add_f64 v[169:170], v[175:176], v[169:170]
	s_waitcnt vmcnt(8) lgkmcnt(0)
	v_mul_f64 v[175:176], v[2:3], v[20:21]
	v_mul_f64 v[20:21], v[4:5], v[20:21]
	ds_load_b128 v[165:168], v1 offset:960
	v_fma_f64 v[173:174], v[173:174], v[14:15], v[177:178]
	v_fma_f64 v[171:172], v[171:172], v[14:15], -v[16:17]
	scratch_load_b128 v[14:17], off, off offset:480
	v_add_f64 v[177:178], v[183:184], v[181:182]
	v_add_f64 v[169:170], v[169:170], v[179:180]
	v_fma_f64 v[175:176], v[4:5], v[18:19], v[175:176]
	v_fma_f64 v[181:182], v[2:3], v[18:19], -v[20:21]
	scratch_load_b128 v[18:21], off, off offset:496
	ds_load_b128 v[2:5], v1 offset:976
	s_waitcnt vmcnt(9) lgkmcnt(1)
	v_mul_f64 v[179:180], v[165:166], v[24:25]
	v_mul_f64 v[24:25], v[167:168], v[24:25]
	s_waitcnt vmcnt(8) lgkmcnt(0)
	v_mul_f64 v[183:184], v[2:3], v[28:29]
	v_mul_f64 v[28:29], v[4:5], v[28:29]
	v_add_f64 v[177:178], v[177:178], v[171:172]
	v_add_f64 v[173:174], v[169:170], v[173:174]
	ds_load_b128 v[169:172], v1 offset:992
	v_fma_f64 v[167:168], v[167:168], v[22:23], v[179:180]
	v_fma_f64 v[165:166], v[165:166], v[22:23], -v[24:25]
	scratch_load_b128 v[22:25], off, off offset:512
	v_fma_f64 v[179:180], v[4:5], v[26:27], v[183:184]
	v_add_f64 v[177:178], v[177:178], v[181:182]
	v_add_f64 v[173:174], v[173:174], v[175:176]
	v_fma_f64 v[181:182], v[2:3], v[26:27], -v[28:29]
	scratch_load_b128 v[26:29], off, off offset:528
	ds_load_b128 v[2:5], v1 offset:1008
	s_waitcnt vmcnt(9) lgkmcnt(1)
	v_mul_f64 v[175:176], v[169:170], v[32:33]
	v_mul_f64 v[32:33], v[171:172], v[32:33]
	s_waitcnt vmcnt(8) lgkmcnt(0)
	v_mul_f64 v[183:184], v[2:3], v[36:37]
	v_mul_f64 v[36:37], v[4:5], v[36:37]
	v_add_f64 v[177:178], v[177:178], v[165:166]
	v_add_f64 v[173:174], v[173:174], v[167:168]
	ds_load_b128 v[165:168], v1 offset:1024
	v_fma_f64 v[171:172], v[171:172], v[30:31], v[175:176]
	v_fma_f64 v[169:170], v[169:170], v[30:31], -v[32:33]
	scratch_load_b128 v[30:33], off, off offset:544
	v_add_f64 v[175:176], v[177:178], v[181:182]
	v_add_f64 v[173:174], v[173:174], v[179:180]
	v_fma_f64 v[179:180], v[4:5], v[34:35], v[183:184]
	v_fma_f64 v[181:182], v[2:3], v[34:35], -v[36:37]
	scratch_load_b128 v[34:37], off, off offset:560
	ds_load_b128 v[2:5], v1 offset:1040
	s_waitcnt vmcnt(9) lgkmcnt(1)
	v_mul_f64 v[177:178], v[165:166], v[163:164]
	v_mul_f64 v[163:164], v[167:168], v[163:164]
	s_waitcnt vmcnt(8) lgkmcnt(0)
	v_mul_f64 v[183:184], v[2:3], v[40:41]
	v_mul_f64 v[40:41], v[4:5], v[40:41]
	v_add_f64 v[175:176], v[175:176], v[169:170]
	v_add_f64 v[173:174], v[173:174], v[171:172]
	ds_load_b128 v[169:172], v1 offset:1056
	v_fma_f64 v[167:168], v[167:168], v[161:162], v[177:178]
	v_fma_f64 v[165:166], v[165:166], v[161:162], -v[163:164]
	scratch_load_b128 v[161:164], off, off offset:576
	v_add_f64 v[175:176], v[175:176], v[181:182]
	v_add_f64 v[173:174], v[173:174], v[179:180]
	v_fma_f64 v[179:180], v[4:5], v[38:39], v[183:184]
	v_fma_f64 v[181:182], v[2:3], v[38:39], -v[40:41]
	scratch_load_b128 v[38:41], off, off offset:592
	ds_load_b128 v[2:5], v1 offset:1072
	s_waitcnt vmcnt(9) lgkmcnt(1)
	v_mul_f64 v[177:178], v[169:170], v[8:9]
	v_mul_f64 v[8:9], v[171:172], v[8:9]
	s_waitcnt vmcnt(8) lgkmcnt(0)
	v_mul_f64 v[183:184], v[2:3], v[12:13]
	v_mul_f64 v[12:13], v[4:5], v[12:13]
	v_add_f64 v[175:176], v[175:176], v[165:166]
	v_add_f64 v[173:174], v[173:174], v[167:168]
	ds_load_b128 v[165:168], v1 offset:1088
	v_fma_f64 v[171:172], v[171:172], v[6:7], v[177:178]
	v_fma_f64 v[6:7], v[169:170], v[6:7], -v[8:9]
	v_add_f64 v[8:9], v[175:176], v[181:182]
	v_add_f64 v[169:170], v[173:174], v[179:180]
	s_waitcnt vmcnt(7) lgkmcnt(0)
	v_mul_f64 v[173:174], v[165:166], v[16:17]
	v_mul_f64 v[16:17], v[167:168], v[16:17]
	v_fma_f64 v[175:176], v[4:5], v[10:11], v[183:184]
	v_fma_f64 v[10:11], v[2:3], v[10:11], -v[12:13]
	v_add_f64 v[12:13], v[8:9], v[6:7]
	v_add_f64 v[169:170], v[169:170], v[171:172]
	ds_load_b128 v[2:5], v1 offset:1104
	ds_load_b128 v[6:9], v1 offset:1120
	v_fma_f64 v[167:168], v[167:168], v[14:15], v[173:174]
	v_fma_f64 v[14:15], v[165:166], v[14:15], -v[16:17]
	s_waitcnt vmcnt(6) lgkmcnt(1)
	v_mul_f64 v[171:172], v[2:3], v[20:21]
	v_mul_f64 v[20:21], v[4:5], v[20:21]
	s_waitcnt vmcnt(5) lgkmcnt(0)
	v_mul_f64 v[16:17], v[6:7], v[24:25]
	v_mul_f64 v[24:25], v[8:9], v[24:25]
	v_add_f64 v[10:11], v[12:13], v[10:11]
	v_add_f64 v[12:13], v[169:170], v[175:176]
	v_fma_f64 v[165:166], v[4:5], v[18:19], v[171:172]
	v_fma_f64 v[18:19], v[2:3], v[18:19], -v[20:21]
	v_fma_f64 v[8:9], v[8:9], v[22:23], v[16:17]
	v_fma_f64 v[6:7], v[6:7], v[22:23], -v[24:25]
	v_add_f64 v[14:15], v[10:11], v[14:15]
	v_add_f64 v[20:21], v[12:13], v[167:168]
	ds_load_b128 v[2:5], v1 offset:1136
	ds_load_b128 v[10:13], v1 offset:1152
	s_waitcnt vmcnt(4) lgkmcnt(1)
	v_mul_f64 v[167:168], v[2:3], v[28:29]
	v_mul_f64 v[28:29], v[4:5], v[28:29]
	v_add_f64 v[14:15], v[14:15], v[18:19]
	v_add_f64 v[16:17], v[20:21], v[165:166]
	s_waitcnt vmcnt(3) lgkmcnt(0)
	v_mul_f64 v[18:19], v[10:11], v[32:33]
	v_mul_f64 v[20:21], v[12:13], v[32:33]
	v_fma_f64 v[22:23], v[4:5], v[26:27], v[167:168]
	v_fma_f64 v[24:25], v[2:3], v[26:27], -v[28:29]
	v_add_f64 v[14:15], v[14:15], v[6:7]
	v_add_f64 v[16:17], v[16:17], v[8:9]
	ds_load_b128 v[2:5], v1 offset:1168
	ds_load_b128 v[6:9], v1 offset:1184
	v_fma_f64 v[12:13], v[12:13], v[30:31], v[18:19]
	v_fma_f64 v[10:11], v[10:11], v[30:31], -v[20:21]
	s_waitcnt vmcnt(2) lgkmcnt(1)
	v_mul_f64 v[26:27], v[2:3], v[36:37]
	v_mul_f64 v[28:29], v[4:5], v[36:37]
	s_waitcnt vmcnt(1) lgkmcnt(0)
	v_mul_f64 v[18:19], v[6:7], v[163:164]
	v_mul_f64 v[20:21], v[8:9], v[163:164]
	v_add_f64 v[14:15], v[14:15], v[24:25]
	v_add_f64 v[16:17], v[16:17], v[22:23]
	v_fma_f64 v[22:23], v[4:5], v[34:35], v[26:27]
	v_fma_f64 v[24:25], v[2:3], v[34:35], -v[28:29]
	ds_load_b128 v[2:5], v1 offset:1200
	v_fma_f64 v[8:9], v[8:9], v[161:162], v[18:19]
	v_fma_f64 v[6:7], v[6:7], v[161:162], -v[20:21]
	v_add_f64 v[10:11], v[14:15], v[10:11]
	v_add_f64 v[12:13], v[16:17], v[12:13]
	s_waitcnt vmcnt(0) lgkmcnt(0)
	v_mul_f64 v[14:15], v[2:3], v[40:41]
	v_mul_f64 v[16:17], v[4:5], v[40:41]
	s_delay_alu instid0(VALU_DEP_4) | instskip(NEXT) | instid1(VALU_DEP_4)
	v_add_f64 v[10:11], v[10:11], v[24:25]
	v_add_f64 v[12:13], v[12:13], v[22:23]
	s_delay_alu instid0(VALU_DEP_4) | instskip(NEXT) | instid1(VALU_DEP_4)
	v_fma_f64 v[4:5], v[4:5], v[38:39], v[14:15]
	v_fma_f64 v[2:3], v[2:3], v[38:39], -v[16:17]
	s_delay_alu instid0(VALU_DEP_4) | instskip(NEXT) | instid1(VALU_DEP_4)
	v_add_f64 v[6:7], v[10:11], v[6:7]
	v_add_f64 v[8:9], v[12:13], v[8:9]
	s_delay_alu instid0(VALU_DEP_2) | instskip(NEXT) | instid1(VALU_DEP_2)
	v_add_f64 v[2:3], v[6:7], v[2:3]
	v_add_f64 v[4:5], v[8:9], v[4:5]
	s_delay_alu instid0(VALU_DEP_2) | instskip(NEXT) | instid1(VALU_DEP_2)
	v_add_f64 v[2:3], v[42:43], -v[2:3]
	v_add_f64 v[4:5], v[44:45], -v[4:5]
	scratch_store_b128 off, v[2:5], off offset:96
	v_cmpx_lt_u32_e32 5, v122
	s_cbranch_execz .LBB101_231
; %bb.230:
	scratch_load_b128 v[5:8], v159, off
	v_mov_b32_e32 v2, v1
	v_mov_b32_e32 v3, v1
	;; [unrolled: 1-line block ×3, first 2 shown]
	scratch_store_b128 off, v[1:4], off offset:80
	s_waitcnt vmcnt(0)
	ds_store_b128 v160, v[5:8]
.LBB101_231:
	s_or_b32 exec_lo, exec_lo, s2
	s_waitcnt lgkmcnt(0)
	s_waitcnt_vscnt null, 0x0
	s_barrier
	buffer_gl0_inv
	s_clause 0x8
	scratch_load_b128 v[2:5], off, off offset:96
	scratch_load_b128 v[6:9], off, off offset:112
	;; [unrolled: 1-line block ×9, first 2 shown]
	ds_load_b128 v[42:45], v1 offset:704
	ds_load_b128 v[38:41], v1 offset:720
	s_clause 0x1
	scratch_load_b128 v[161:164], off, off offset:80
	scratch_load_b128 v[165:168], off, off offset:240
	s_mov_b32 s2, exec_lo
	s_waitcnt vmcnt(10) lgkmcnt(1)
	v_mul_f64 v[169:170], v[44:45], v[4:5]
	v_mul_f64 v[4:5], v[42:43], v[4:5]
	s_waitcnt vmcnt(9) lgkmcnt(0)
	v_mul_f64 v[173:174], v[38:39], v[8:9]
	v_mul_f64 v[8:9], v[40:41], v[8:9]
	s_delay_alu instid0(VALU_DEP_4) | instskip(NEXT) | instid1(VALU_DEP_4)
	v_fma_f64 v[175:176], v[42:43], v[2:3], -v[169:170]
	v_fma_f64 v[177:178], v[44:45], v[2:3], v[4:5]
	ds_load_b128 v[2:5], v1 offset:736
	ds_load_b128 v[169:172], v1 offset:752
	scratch_load_b128 v[42:45], off, off offset:256
	v_fma_f64 v[40:41], v[40:41], v[6:7], v[173:174]
	v_fma_f64 v[38:39], v[38:39], v[6:7], -v[8:9]
	scratch_load_b128 v[6:9], off, off offset:272
	s_waitcnt vmcnt(10) lgkmcnt(1)
	v_mul_f64 v[179:180], v[2:3], v[12:13]
	v_mul_f64 v[12:13], v[4:5], v[12:13]
	v_add_f64 v[173:174], v[175:176], 0
	v_add_f64 v[175:176], v[177:178], 0
	s_waitcnt vmcnt(9) lgkmcnt(0)
	v_mul_f64 v[177:178], v[169:170], v[16:17]
	v_mul_f64 v[16:17], v[171:172], v[16:17]
	v_fma_f64 v[179:180], v[4:5], v[10:11], v[179:180]
	v_fma_f64 v[181:182], v[2:3], v[10:11], -v[12:13]
	ds_load_b128 v[2:5], v1 offset:768
	scratch_load_b128 v[10:13], off, off offset:288
	v_add_f64 v[173:174], v[173:174], v[38:39]
	v_add_f64 v[175:176], v[175:176], v[40:41]
	ds_load_b128 v[38:41], v1 offset:784
	v_fma_f64 v[171:172], v[171:172], v[14:15], v[177:178]
	v_fma_f64 v[169:170], v[169:170], v[14:15], -v[16:17]
	scratch_load_b128 v[14:17], off, off offset:304
	s_waitcnt vmcnt(10) lgkmcnt(1)
	v_mul_f64 v[183:184], v[2:3], v[20:21]
	v_mul_f64 v[20:21], v[4:5], v[20:21]
	s_waitcnt vmcnt(9) lgkmcnt(0)
	v_mul_f64 v[177:178], v[38:39], v[24:25]
	v_mul_f64 v[24:25], v[40:41], v[24:25]
	v_add_f64 v[173:174], v[173:174], v[181:182]
	v_add_f64 v[175:176], v[175:176], v[179:180]
	v_fma_f64 v[179:180], v[4:5], v[18:19], v[183:184]
	v_fma_f64 v[181:182], v[2:3], v[18:19], -v[20:21]
	ds_load_b128 v[2:5], v1 offset:800
	scratch_load_b128 v[18:21], off, off offset:320
	v_fma_f64 v[40:41], v[40:41], v[22:23], v[177:178]
	v_fma_f64 v[38:39], v[38:39], v[22:23], -v[24:25]
	scratch_load_b128 v[22:25], off, off offset:336
	v_add_f64 v[173:174], v[173:174], v[169:170]
	v_add_f64 v[175:176], v[175:176], v[171:172]
	ds_load_b128 v[169:172], v1 offset:816
	s_waitcnt vmcnt(10) lgkmcnt(1)
	v_mul_f64 v[183:184], v[2:3], v[28:29]
	v_mul_f64 v[28:29], v[4:5], v[28:29]
	s_waitcnt vmcnt(9) lgkmcnt(0)
	v_mul_f64 v[177:178], v[169:170], v[32:33]
	v_mul_f64 v[32:33], v[171:172], v[32:33]
	v_add_f64 v[173:174], v[173:174], v[181:182]
	v_add_f64 v[175:176], v[175:176], v[179:180]
	v_fma_f64 v[179:180], v[4:5], v[26:27], v[183:184]
	v_fma_f64 v[181:182], v[2:3], v[26:27], -v[28:29]
	ds_load_b128 v[2:5], v1 offset:832
	scratch_load_b128 v[26:29], off, off offset:352
	v_fma_f64 v[171:172], v[171:172], v[30:31], v[177:178]
	v_fma_f64 v[169:170], v[169:170], v[30:31], -v[32:33]
	scratch_load_b128 v[30:33], off, off offset:368
	v_add_f64 v[173:174], v[173:174], v[38:39]
	v_add_f64 v[175:176], v[175:176], v[40:41]
	ds_load_b128 v[38:41], v1 offset:848
	s_waitcnt vmcnt(10) lgkmcnt(1)
	v_mul_f64 v[183:184], v[2:3], v[36:37]
	v_mul_f64 v[36:37], v[4:5], v[36:37]
	s_waitcnt vmcnt(8) lgkmcnt(0)
	v_mul_f64 v[177:178], v[38:39], v[167:168]
	v_add_f64 v[173:174], v[173:174], v[181:182]
	v_add_f64 v[175:176], v[175:176], v[179:180]
	v_mul_f64 v[179:180], v[40:41], v[167:168]
	v_fma_f64 v[181:182], v[4:5], v[34:35], v[183:184]
	v_fma_f64 v[183:184], v[2:3], v[34:35], -v[36:37]
	ds_load_b128 v[2:5], v1 offset:864
	scratch_load_b128 v[34:37], off, off offset:384
	v_fma_f64 v[177:178], v[40:41], v[165:166], v[177:178]
	v_add_f64 v[173:174], v[173:174], v[169:170]
	v_add_f64 v[171:172], v[175:176], v[171:172]
	ds_load_b128 v[167:170], v1 offset:880
	v_fma_f64 v[165:166], v[38:39], v[165:166], -v[179:180]
	scratch_load_b128 v[38:41], off, off offset:400
	s_waitcnt vmcnt(9) lgkmcnt(1)
	v_mul_f64 v[175:176], v[2:3], v[44:45]
	v_mul_f64 v[44:45], v[4:5], v[44:45]
	s_waitcnt vmcnt(8) lgkmcnt(0)
	v_mul_f64 v[179:180], v[167:168], v[8:9]
	v_mul_f64 v[8:9], v[169:170], v[8:9]
	v_add_f64 v[173:174], v[173:174], v[183:184]
	v_add_f64 v[171:172], v[171:172], v[181:182]
	v_fma_f64 v[175:176], v[4:5], v[42:43], v[175:176]
	v_fma_f64 v[181:182], v[2:3], v[42:43], -v[44:45]
	ds_load_b128 v[2:5], v1 offset:896
	scratch_load_b128 v[42:45], off, off offset:416
	v_fma_f64 v[169:170], v[169:170], v[6:7], v[179:180]
	v_fma_f64 v[167:168], v[167:168], v[6:7], -v[8:9]
	scratch_load_b128 v[6:9], off, off offset:432
	v_add_f64 v[165:166], v[173:174], v[165:166]
	v_add_f64 v[177:178], v[171:172], v[177:178]
	ds_load_b128 v[171:174], v1 offset:912
	s_waitcnt vmcnt(9) lgkmcnt(1)
	v_mul_f64 v[183:184], v[2:3], v[12:13]
	v_mul_f64 v[12:13], v[4:5], v[12:13]
	v_add_f64 v[165:166], v[165:166], v[181:182]
	v_add_f64 v[175:176], v[177:178], v[175:176]
	s_waitcnt vmcnt(8) lgkmcnt(0)
	v_mul_f64 v[177:178], v[171:172], v[16:17]
	v_mul_f64 v[16:17], v[173:174], v[16:17]
	v_fma_f64 v[179:180], v[4:5], v[10:11], v[183:184]
	v_fma_f64 v[181:182], v[2:3], v[10:11], -v[12:13]
	ds_load_b128 v[2:5], v1 offset:928
	scratch_load_b128 v[10:13], off, off offset:448
	v_add_f64 v[183:184], v[165:166], v[167:168]
	v_add_f64 v[169:170], v[175:176], v[169:170]
	ds_load_b128 v[165:168], v1 offset:944
	s_waitcnt vmcnt(8) lgkmcnt(1)
	v_mul_f64 v[175:176], v[2:3], v[20:21]
	v_mul_f64 v[20:21], v[4:5], v[20:21]
	v_fma_f64 v[173:174], v[173:174], v[14:15], v[177:178]
	v_fma_f64 v[171:172], v[171:172], v[14:15], -v[16:17]
	scratch_load_b128 v[14:17], off, off offset:464
	v_add_f64 v[177:178], v[183:184], v[181:182]
	v_add_f64 v[169:170], v[169:170], v[179:180]
	s_waitcnt vmcnt(8) lgkmcnt(0)
	v_mul_f64 v[179:180], v[165:166], v[24:25]
	v_mul_f64 v[24:25], v[167:168], v[24:25]
	v_fma_f64 v[175:176], v[4:5], v[18:19], v[175:176]
	v_fma_f64 v[181:182], v[2:3], v[18:19], -v[20:21]
	ds_load_b128 v[2:5], v1 offset:960
	scratch_load_b128 v[18:21], off, off offset:480
	v_add_f64 v[177:178], v[177:178], v[171:172]
	v_add_f64 v[173:174], v[169:170], v[173:174]
	ds_load_b128 v[169:172], v1 offset:976
	s_waitcnt vmcnt(8) lgkmcnt(1)
	v_mul_f64 v[183:184], v[2:3], v[28:29]
	v_mul_f64 v[28:29], v[4:5], v[28:29]
	v_fma_f64 v[167:168], v[167:168], v[22:23], v[179:180]
	v_fma_f64 v[165:166], v[165:166], v[22:23], -v[24:25]
	scratch_load_b128 v[22:25], off, off offset:496
	;; [unrolled: 18-line block ×4, first 2 shown]
	s_waitcnt vmcnt(8) lgkmcnt(0)
	v_mul_f64 v[177:178], v[169:170], v[8:9]
	v_mul_f64 v[8:9], v[171:172], v[8:9]
	v_add_f64 v[175:176], v[175:176], v[181:182]
	v_add_f64 v[173:174], v[173:174], v[179:180]
	v_fma_f64 v[179:180], v[4:5], v[42:43], v[183:184]
	v_fma_f64 v[181:182], v[2:3], v[42:43], -v[44:45]
	ds_load_b128 v[2:5], v1 offset:1056
	scratch_load_b128 v[42:45], off, off offset:576
	v_fma_f64 v[171:172], v[171:172], v[6:7], v[177:178]
	v_fma_f64 v[169:170], v[169:170], v[6:7], -v[8:9]
	scratch_load_b128 v[6:9], off, off offset:592
	v_add_f64 v[175:176], v[175:176], v[165:166]
	v_add_f64 v[173:174], v[173:174], v[167:168]
	ds_load_b128 v[165:168], v1 offset:1072
	s_waitcnt vmcnt(9) lgkmcnt(1)
	v_mul_f64 v[183:184], v[2:3], v[12:13]
	v_mul_f64 v[12:13], v[4:5], v[12:13]
	s_waitcnt vmcnt(8) lgkmcnt(0)
	v_mul_f64 v[177:178], v[165:166], v[16:17]
	v_mul_f64 v[16:17], v[167:168], v[16:17]
	v_add_f64 v[175:176], v[175:176], v[181:182]
	v_add_f64 v[173:174], v[173:174], v[179:180]
	v_fma_f64 v[179:180], v[4:5], v[10:11], v[183:184]
	v_fma_f64 v[181:182], v[2:3], v[10:11], -v[12:13]
	ds_load_b128 v[2:5], v1 offset:1088
	ds_load_b128 v[10:13], v1 offset:1104
	v_fma_f64 v[167:168], v[167:168], v[14:15], v[177:178]
	v_fma_f64 v[14:15], v[165:166], v[14:15], -v[16:17]
	v_add_f64 v[169:170], v[175:176], v[169:170]
	v_add_f64 v[171:172], v[173:174], v[171:172]
	s_waitcnt vmcnt(7) lgkmcnt(1)
	v_mul_f64 v[173:174], v[2:3], v[20:21]
	v_mul_f64 v[20:21], v[4:5], v[20:21]
	s_delay_alu instid0(VALU_DEP_4) | instskip(NEXT) | instid1(VALU_DEP_4)
	v_add_f64 v[16:17], v[169:170], v[181:182]
	v_add_f64 v[165:166], v[171:172], v[179:180]
	s_waitcnt vmcnt(6) lgkmcnt(0)
	v_mul_f64 v[169:170], v[10:11], v[24:25]
	v_mul_f64 v[24:25], v[12:13], v[24:25]
	v_fma_f64 v[171:172], v[4:5], v[18:19], v[173:174]
	v_fma_f64 v[18:19], v[2:3], v[18:19], -v[20:21]
	v_add_f64 v[20:21], v[16:17], v[14:15]
	v_add_f64 v[165:166], v[165:166], v[167:168]
	ds_load_b128 v[2:5], v1 offset:1120
	ds_load_b128 v[14:17], v1 offset:1136
	v_fma_f64 v[12:13], v[12:13], v[22:23], v[169:170]
	v_fma_f64 v[10:11], v[10:11], v[22:23], -v[24:25]
	s_waitcnt vmcnt(5) lgkmcnt(1)
	v_mul_f64 v[167:168], v[2:3], v[28:29]
	v_mul_f64 v[28:29], v[4:5], v[28:29]
	s_waitcnt vmcnt(4) lgkmcnt(0)
	v_mul_f64 v[22:23], v[14:15], v[32:33]
	v_mul_f64 v[24:25], v[16:17], v[32:33]
	v_add_f64 v[18:19], v[20:21], v[18:19]
	v_add_f64 v[20:21], v[165:166], v[171:172]
	v_fma_f64 v[32:33], v[4:5], v[26:27], v[167:168]
	v_fma_f64 v[26:27], v[2:3], v[26:27], -v[28:29]
	v_fma_f64 v[16:17], v[16:17], v[30:31], v[22:23]
	v_fma_f64 v[14:15], v[14:15], v[30:31], -v[24:25]
	v_add_f64 v[18:19], v[18:19], v[10:11]
	v_add_f64 v[20:21], v[20:21], v[12:13]
	ds_load_b128 v[2:5], v1 offset:1152
	ds_load_b128 v[10:13], v1 offset:1168
	s_waitcnt vmcnt(3) lgkmcnt(1)
	v_mul_f64 v[28:29], v[2:3], v[36:37]
	v_mul_f64 v[36:37], v[4:5], v[36:37]
	s_waitcnt vmcnt(2) lgkmcnt(0)
	v_mul_f64 v[22:23], v[10:11], v[40:41]
	v_mul_f64 v[24:25], v[12:13], v[40:41]
	v_add_f64 v[18:19], v[18:19], v[26:27]
	v_add_f64 v[20:21], v[20:21], v[32:33]
	v_fma_f64 v[26:27], v[4:5], v[34:35], v[28:29]
	v_fma_f64 v[28:29], v[2:3], v[34:35], -v[36:37]
	v_fma_f64 v[12:13], v[12:13], v[38:39], v[22:23]
	v_fma_f64 v[10:11], v[10:11], v[38:39], -v[24:25]
	v_add_f64 v[18:19], v[18:19], v[14:15]
	v_add_f64 v[20:21], v[20:21], v[16:17]
	ds_load_b128 v[2:5], v1 offset:1184
	ds_load_b128 v[14:17], v1 offset:1200
	s_waitcnt vmcnt(1) lgkmcnt(1)
	v_mul_f64 v[30:31], v[2:3], v[44:45]
	v_mul_f64 v[32:33], v[4:5], v[44:45]
	s_waitcnt vmcnt(0) lgkmcnt(0)
	v_mul_f64 v[22:23], v[14:15], v[8:9]
	v_mul_f64 v[8:9], v[16:17], v[8:9]
	v_add_f64 v[18:19], v[18:19], v[28:29]
	v_add_f64 v[20:21], v[20:21], v[26:27]
	v_fma_f64 v[4:5], v[4:5], v[42:43], v[30:31]
	v_fma_f64 v[1:2], v[2:3], v[42:43], -v[32:33]
	v_fma_f64 v[16:17], v[16:17], v[6:7], v[22:23]
	v_fma_f64 v[6:7], v[14:15], v[6:7], -v[8:9]
	v_add_f64 v[10:11], v[18:19], v[10:11]
	v_add_f64 v[12:13], v[20:21], v[12:13]
	s_delay_alu instid0(VALU_DEP_2) | instskip(NEXT) | instid1(VALU_DEP_2)
	v_add_f64 v[1:2], v[10:11], v[1:2]
	v_add_f64 v[3:4], v[12:13], v[4:5]
	s_delay_alu instid0(VALU_DEP_2) | instskip(NEXT) | instid1(VALU_DEP_2)
	;; [unrolled: 3-line block ×3, first 2 shown]
	v_add_f64 v[1:2], v[161:162], -v[1:2]
	v_add_f64 v[3:4], v[163:164], -v[3:4]
	scratch_store_b128 off, v[1:4], off offset:80
	v_cmpx_lt_u32_e32 4, v122
	s_cbranch_execz .LBB101_233
; %bb.232:
	scratch_load_b128 v[1:4], v123, off
	v_mov_b32_e32 v5, 0
	s_delay_alu instid0(VALU_DEP_1)
	v_mov_b32_e32 v6, v5
	v_mov_b32_e32 v7, v5
	;; [unrolled: 1-line block ×3, first 2 shown]
	scratch_store_b128 off, v[5:8], off offset:64
	s_waitcnt vmcnt(0)
	ds_store_b128 v160, v[1:4]
.LBB101_233:
	s_or_b32 exec_lo, exec_lo, s2
	s_waitcnt lgkmcnt(0)
	s_waitcnt_vscnt null, 0x0
	s_barrier
	buffer_gl0_inv
	s_clause 0x7
	scratch_load_b128 v[2:5], off, off offset:80
	scratch_load_b128 v[6:9], off, off offset:96
	;; [unrolled: 1-line block ×8, first 2 shown]
	v_mov_b32_e32 v1, 0
	s_mov_b32 s2, exec_lo
	ds_load_b128 v[38:41], v1 offset:688
	s_clause 0x1
	scratch_load_b128 v[34:37], off, off offset:208
	scratch_load_b128 v[42:45], off, off offset:64
	ds_load_b128 v[161:164], v1 offset:704
	scratch_load_b128 v[165:168], off, off offset:224
	s_waitcnt vmcnt(10) lgkmcnt(1)
	v_mul_f64 v[169:170], v[40:41], v[4:5]
	v_mul_f64 v[4:5], v[38:39], v[4:5]
	s_delay_alu instid0(VALU_DEP_2) | instskip(NEXT) | instid1(VALU_DEP_2)
	v_fma_f64 v[175:176], v[38:39], v[2:3], -v[169:170]
	v_fma_f64 v[177:178], v[40:41], v[2:3], v[4:5]
	scratch_load_b128 v[38:41], off, off offset:240
	ds_load_b128 v[2:5], v1 offset:720
	s_waitcnt vmcnt(10) lgkmcnt(1)
	v_mul_f64 v[173:174], v[161:162], v[8:9]
	v_mul_f64 v[8:9], v[163:164], v[8:9]
	ds_load_b128 v[169:172], v1 offset:736
	s_waitcnt vmcnt(9) lgkmcnt(1)
	v_mul_f64 v[179:180], v[2:3], v[12:13]
	v_mul_f64 v[12:13], v[4:5], v[12:13]
	v_fma_f64 v[163:164], v[163:164], v[6:7], v[173:174]
	v_fma_f64 v[161:162], v[161:162], v[6:7], -v[8:9]
	v_add_f64 v[173:174], v[175:176], 0
	v_add_f64 v[175:176], v[177:178], 0
	scratch_load_b128 v[6:9], off, off offset:256
	v_fma_f64 v[179:180], v[4:5], v[10:11], v[179:180]
	v_fma_f64 v[181:182], v[2:3], v[10:11], -v[12:13]
	scratch_load_b128 v[10:13], off, off offset:272
	ds_load_b128 v[2:5], v1 offset:752
	s_waitcnt vmcnt(10) lgkmcnt(1)
	v_mul_f64 v[177:178], v[169:170], v[16:17]
	v_mul_f64 v[16:17], v[171:172], v[16:17]
	v_add_f64 v[173:174], v[173:174], v[161:162]
	v_add_f64 v[175:176], v[175:176], v[163:164]
	s_waitcnt vmcnt(9) lgkmcnt(0)
	v_mul_f64 v[183:184], v[2:3], v[20:21]
	v_mul_f64 v[20:21], v[4:5], v[20:21]
	ds_load_b128 v[161:164], v1 offset:768
	v_fma_f64 v[171:172], v[171:172], v[14:15], v[177:178]
	v_fma_f64 v[169:170], v[169:170], v[14:15], -v[16:17]
	scratch_load_b128 v[14:17], off, off offset:288
	v_add_f64 v[173:174], v[173:174], v[181:182]
	v_add_f64 v[175:176], v[175:176], v[179:180]
	v_fma_f64 v[179:180], v[4:5], v[18:19], v[183:184]
	v_fma_f64 v[181:182], v[2:3], v[18:19], -v[20:21]
	scratch_load_b128 v[18:21], off, off offset:304
	ds_load_b128 v[2:5], v1 offset:784
	s_waitcnt vmcnt(10) lgkmcnt(1)
	v_mul_f64 v[177:178], v[161:162], v[24:25]
	v_mul_f64 v[24:25], v[163:164], v[24:25]
	s_waitcnt vmcnt(9) lgkmcnt(0)
	v_mul_f64 v[183:184], v[2:3], v[28:29]
	v_mul_f64 v[28:29], v[4:5], v[28:29]
	v_add_f64 v[173:174], v[173:174], v[169:170]
	v_add_f64 v[175:176], v[175:176], v[171:172]
	ds_load_b128 v[169:172], v1 offset:800
	v_fma_f64 v[163:164], v[163:164], v[22:23], v[177:178]
	v_fma_f64 v[161:162], v[161:162], v[22:23], -v[24:25]
	scratch_load_b128 v[22:25], off, off offset:320
	v_add_f64 v[173:174], v[173:174], v[181:182]
	v_add_f64 v[175:176], v[175:176], v[179:180]
	v_fma_f64 v[179:180], v[4:5], v[26:27], v[183:184]
	v_fma_f64 v[181:182], v[2:3], v[26:27], -v[28:29]
	scratch_load_b128 v[26:29], off, off offset:336
	ds_load_b128 v[2:5], v1 offset:816
	s_waitcnt vmcnt(10) lgkmcnt(1)
	v_mul_f64 v[177:178], v[169:170], v[32:33]
	v_mul_f64 v[32:33], v[171:172], v[32:33]
	s_waitcnt vmcnt(9) lgkmcnt(0)
	v_mul_f64 v[183:184], v[2:3], v[36:37]
	v_mul_f64 v[36:37], v[4:5], v[36:37]
	v_add_f64 v[173:174], v[173:174], v[161:162]
	v_add_f64 v[175:176], v[175:176], v[163:164]
	ds_load_b128 v[161:164], v1 offset:832
	v_fma_f64 v[171:172], v[171:172], v[30:31], v[177:178]
	v_fma_f64 v[169:170], v[169:170], v[30:31], -v[32:33]
	scratch_load_b128 v[30:33], off, off offset:352
	v_add_f64 v[173:174], v[173:174], v[181:182]
	v_add_f64 v[175:176], v[175:176], v[179:180]
	v_fma_f64 v[181:182], v[4:5], v[34:35], v[183:184]
	v_fma_f64 v[183:184], v[2:3], v[34:35], -v[36:37]
	scratch_load_b128 v[34:37], off, off offset:368
	ds_load_b128 v[2:5], v1 offset:848
	s_waitcnt vmcnt(9) lgkmcnt(1)
	v_mul_f64 v[177:178], v[161:162], v[167:168]
	v_mul_f64 v[179:180], v[163:164], v[167:168]
	v_add_f64 v[173:174], v[173:174], v[169:170]
	v_add_f64 v[171:172], v[175:176], v[171:172]
	ds_load_b128 v[167:170], v1 offset:864
	v_fma_f64 v[177:178], v[163:164], v[165:166], v[177:178]
	v_fma_f64 v[165:166], v[161:162], v[165:166], -v[179:180]
	scratch_load_b128 v[161:164], off, off offset:384
	s_waitcnt vmcnt(9) lgkmcnt(1)
	v_mul_f64 v[175:176], v[2:3], v[40:41]
	v_mul_f64 v[40:41], v[4:5], v[40:41]
	v_add_f64 v[173:174], v[173:174], v[183:184]
	v_add_f64 v[171:172], v[171:172], v[181:182]
	s_delay_alu instid0(VALU_DEP_4) | instskip(NEXT) | instid1(VALU_DEP_4)
	v_fma_f64 v[175:176], v[4:5], v[38:39], v[175:176]
	v_fma_f64 v[181:182], v[2:3], v[38:39], -v[40:41]
	scratch_load_b128 v[38:41], off, off offset:400
	ds_load_b128 v[2:5], v1 offset:880
	s_waitcnt vmcnt(9) lgkmcnt(1)
	v_mul_f64 v[179:180], v[167:168], v[8:9]
	v_mul_f64 v[8:9], v[169:170], v[8:9]
	s_waitcnt vmcnt(8) lgkmcnt(0)
	v_mul_f64 v[183:184], v[2:3], v[12:13]
	v_mul_f64 v[12:13], v[4:5], v[12:13]
	v_add_f64 v[165:166], v[173:174], v[165:166]
	v_add_f64 v[177:178], v[171:172], v[177:178]
	ds_load_b128 v[171:174], v1 offset:896
	v_fma_f64 v[169:170], v[169:170], v[6:7], v[179:180]
	v_fma_f64 v[167:168], v[167:168], v[6:7], -v[8:9]
	scratch_load_b128 v[6:9], off, off offset:416
	v_fma_f64 v[179:180], v[4:5], v[10:11], v[183:184]
	v_add_f64 v[165:166], v[165:166], v[181:182]
	v_add_f64 v[175:176], v[177:178], v[175:176]
	v_fma_f64 v[181:182], v[2:3], v[10:11], -v[12:13]
	scratch_load_b128 v[10:13], off, off offset:432
	ds_load_b128 v[2:5], v1 offset:912
	s_waitcnt vmcnt(9) lgkmcnt(1)
	v_mul_f64 v[177:178], v[171:172], v[16:17]
	v_mul_f64 v[16:17], v[173:174], v[16:17]
	v_add_f64 v[183:184], v[165:166], v[167:168]
	v_add_f64 v[169:170], v[175:176], v[169:170]
	s_waitcnt vmcnt(8) lgkmcnt(0)
	v_mul_f64 v[175:176], v[2:3], v[20:21]
	v_mul_f64 v[20:21], v[4:5], v[20:21]
	ds_load_b128 v[165:168], v1 offset:928
	v_fma_f64 v[173:174], v[173:174], v[14:15], v[177:178]
	v_fma_f64 v[171:172], v[171:172], v[14:15], -v[16:17]
	scratch_load_b128 v[14:17], off, off offset:448
	v_add_f64 v[177:178], v[183:184], v[181:182]
	v_add_f64 v[169:170], v[169:170], v[179:180]
	v_fma_f64 v[175:176], v[4:5], v[18:19], v[175:176]
	v_fma_f64 v[181:182], v[2:3], v[18:19], -v[20:21]
	scratch_load_b128 v[18:21], off, off offset:464
	ds_load_b128 v[2:5], v1 offset:944
	s_waitcnt vmcnt(9) lgkmcnt(1)
	v_mul_f64 v[179:180], v[165:166], v[24:25]
	v_mul_f64 v[24:25], v[167:168], v[24:25]
	s_waitcnt vmcnt(8) lgkmcnt(0)
	v_mul_f64 v[183:184], v[2:3], v[28:29]
	v_mul_f64 v[28:29], v[4:5], v[28:29]
	v_add_f64 v[177:178], v[177:178], v[171:172]
	v_add_f64 v[173:174], v[169:170], v[173:174]
	ds_load_b128 v[169:172], v1 offset:960
	v_fma_f64 v[167:168], v[167:168], v[22:23], v[179:180]
	v_fma_f64 v[165:166], v[165:166], v[22:23], -v[24:25]
	scratch_load_b128 v[22:25], off, off offset:480
	v_fma_f64 v[179:180], v[4:5], v[26:27], v[183:184]
	v_add_f64 v[177:178], v[177:178], v[181:182]
	v_add_f64 v[173:174], v[173:174], v[175:176]
	v_fma_f64 v[181:182], v[2:3], v[26:27], -v[28:29]
	scratch_load_b128 v[26:29], off, off offset:496
	ds_load_b128 v[2:5], v1 offset:976
	s_waitcnt vmcnt(9) lgkmcnt(1)
	v_mul_f64 v[175:176], v[169:170], v[32:33]
	v_mul_f64 v[32:33], v[171:172], v[32:33]
	s_waitcnt vmcnt(8) lgkmcnt(0)
	v_mul_f64 v[183:184], v[2:3], v[36:37]
	v_mul_f64 v[36:37], v[4:5], v[36:37]
	v_add_f64 v[177:178], v[177:178], v[165:166]
	v_add_f64 v[173:174], v[173:174], v[167:168]
	ds_load_b128 v[165:168], v1 offset:992
	v_fma_f64 v[171:172], v[171:172], v[30:31], v[175:176]
	v_fma_f64 v[169:170], v[169:170], v[30:31], -v[32:33]
	scratch_load_b128 v[30:33], off, off offset:512
	v_add_f64 v[175:176], v[177:178], v[181:182]
	v_add_f64 v[173:174], v[173:174], v[179:180]
	v_fma_f64 v[179:180], v[4:5], v[34:35], v[183:184]
	v_fma_f64 v[181:182], v[2:3], v[34:35], -v[36:37]
	scratch_load_b128 v[34:37], off, off offset:528
	ds_load_b128 v[2:5], v1 offset:1008
	s_waitcnt vmcnt(9) lgkmcnt(1)
	v_mul_f64 v[177:178], v[165:166], v[163:164]
	v_mul_f64 v[163:164], v[167:168], v[163:164]
	s_waitcnt vmcnt(8) lgkmcnt(0)
	v_mul_f64 v[183:184], v[2:3], v[40:41]
	v_mul_f64 v[40:41], v[4:5], v[40:41]
	v_add_f64 v[175:176], v[175:176], v[169:170]
	v_add_f64 v[173:174], v[173:174], v[171:172]
	ds_load_b128 v[169:172], v1 offset:1024
	v_fma_f64 v[167:168], v[167:168], v[161:162], v[177:178]
	v_fma_f64 v[165:166], v[165:166], v[161:162], -v[163:164]
	scratch_load_b128 v[161:164], off, off offset:544
	v_add_f64 v[175:176], v[175:176], v[181:182]
	v_add_f64 v[173:174], v[173:174], v[179:180]
	v_fma_f64 v[179:180], v[4:5], v[38:39], v[183:184]
	;; [unrolled: 18-line block ×3, first 2 shown]
	v_fma_f64 v[181:182], v[2:3], v[10:11], -v[12:13]
	scratch_load_b128 v[10:13], off, off offset:592
	ds_load_b128 v[2:5], v1 offset:1072
	s_waitcnt vmcnt(9) lgkmcnt(1)
	v_mul_f64 v[177:178], v[165:166], v[16:17]
	v_mul_f64 v[16:17], v[167:168], v[16:17]
	s_waitcnt vmcnt(8) lgkmcnt(0)
	v_mul_f64 v[183:184], v[2:3], v[20:21]
	v_mul_f64 v[20:21], v[4:5], v[20:21]
	v_add_f64 v[175:176], v[175:176], v[169:170]
	v_add_f64 v[173:174], v[173:174], v[171:172]
	ds_load_b128 v[169:172], v1 offset:1088
	v_fma_f64 v[167:168], v[167:168], v[14:15], v[177:178]
	v_fma_f64 v[14:15], v[165:166], v[14:15], -v[16:17]
	v_add_f64 v[16:17], v[175:176], v[181:182]
	v_add_f64 v[165:166], v[173:174], v[179:180]
	s_waitcnt vmcnt(7) lgkmcnt(0)
	v_mul_f64 v[173:174], v[169:170], v[24:25]
	v_mul_f64 v[24:25], v[171:172], v[24:25]
	v_fma_f64 v[175:176], v[4:5], v[18:19], v[183:184]
	v_fma_f64 v[18:19], v[2:3], v[18:19], -v[20:21]
	v_add_f64 v[20:21], v[16:17], v[14:15]
	v_add_f64 v[165:166], v[165:166], v[167:168]
	ds_load_b128 v[2:5], v1 offset:1104
	ds_load_b128 v[14:17], v1 offset:1120
	v_fma_f64 v[171:172], v[171:172], v[22:23], v[173:174]
	v_fma_f64 v[22:23], v[169:170], v[22:23], -v[24:25]
	s_waitcnt vmcnt(6) lgkmcnt(1)
	v_mul_f64 v[167:168], v[2:3], v[28:29]
	v_mul_f64 v[28:29], v[4:5], v[28:29]
	s_waitcnt vmcnt(5) lgkmcnt(0)
	v_mul_f64 v[24:25], v[14:15], v[32:33]
	v_mul_f64 v[32:33], v[16:17], v[32:33]
	v_add_f64 v[18:19], v[20:21], v[18:19]
	v_add_f64 v[20:21], v[165:166], v[175:176]
	v_fma_f64 v[165:166], v[4:5], v[26:27], v[167:168]
	v_fma_f64 v[26:27], v[2:3], v[26:27], -v[28:29]
	v_fma_f64 v[16:17], v[16:17], v[30:31], v[24:25]
	v_fma_f64 v[14:15], v[14:15], v[30:31], -v[32:33]
	v_add_f64 v[22:23], v[18:19], v[22:23]
	v_add_f64 v[28:29], v[20:21], v[171:172]
	ds_load_b128 v[2:5], v1 offset:1136
	ds_load_b128 v[18:21], v1 offset:1152
	s_waitcnt vmcnt(4) lgkmcnt(1)
	v_mul_f64 v[167:168], v[2:3], v[36:37]
	v_mul_f64 v[36:37], v[4:5], v[36:37]
	v_add_f64 v[22:23], v[22:23], v[26:27]
	v_add_f64 v[24:25], v[28:29], v[165:166]
	s_waitcnt vmcnt(3) lgkmcnt(0)
	v_mul_f64 v[26:27], v[18:19], v[163:164]
	v_mul_f64 v[28:29], v[20:21], v[163:164]
	v_fma_f64 v[30:31], v[4:5], v[34:35], v[167:168]
	v_fma_f64 v[32:33], v[2:3], v[34:35], -v[36:37]
	v_add_f64 v[22:23], v[22:23], v[14:15]
	v_add_f64 v[24:25], v[24:25], v[16:17]
	ds_load_b128 v[2:5], v1 offset:1168
	ds_load_b128 v[14:17], v1 offset:1184
	v_fma_f64 v[20:21], v[20:21], v[161:162], v[26:27]
	v_fma_f64 v[18:19], v[18:19], v[161:162], -v[28:29]
	s_waitcnt vmcnt(2) lgkmcnt(1)
	v_mul_f64 v[34:35], v[2:3], v[40:41]
	v_mul_f64 v[36:37], v[4:5], v[40:41]
	s_waitcnt vmcnt(1) lgkmcnt(0)
	v_mul_f64 v[26:27], v[14:15], v[8:9]
	v_mul_f64 v[8:9], v[16:17], v[8:9]
	v_add_f64 v[22:23], v[22:23], v[32:33]
	v_add_f64 v[24:25], v[24:25], v[30:31]
	v_fma_f64 v[28:29], v[4:5], v[38:39], v[34:35]
	v_fma_f64 v[30:31], v[2:3], v[38:39], -v[36:37]
	ds_load_b128 v[2:5], v1 offset:1200
	v_fma_f64 v[16:17], v[16:17], v[6:7], v[26:27]
	v_fma_f64 v[6:7], v[14:15], v[6:7], -v[8:9]
	v_add_f64 v[18:19], v[22:23], v[18:19]
	v_add_f64 v[20:21], v[24:25], v[20:21]
	s_waitcnt vmcnt(0) lgkmcnt(0)
	v_mul_f64 v[22:23], v[2:3], v[12:13]
	v_mul_f64 v[12:13], v[4:5], v[12:13]
	s_delay_alu instid0(VALU_DEP_4) | instskip(NEXT) | instid1(VALU_DEP_4)
	v_add_f64 v[8:9], v[18:19], v[30:31]
	v_add_f64 v[14:15], v[20:21], v[28:29]
	s_delay_alu instid0(VALU_DEP_4) | instskip(NEXT) | instid1(VALU_DEP_4)
	v_fma_f64 v[4:5], v[4:5], v[10:11], v[22:23]
	v_fma_f64 v[2:3], v[2:3], v[10:11], -v[12:13]
	s_delay_alu instid0(VALU_DEP_4) | instskip(NEXT) | instid1(VALU_DEP_4)
	v_add_f64 v[6:7], v[8:9], v[6:7]
	v_add_f64 v[8:9], v[14:15], v[16:17]
	s_delay_alu instid0(VALU_DEP_2) | instskip(NEXT) | instid1(VALU_DEP_2)
	v_add_f64 v[2:3], v[6:7], v[2:3]
	v_add_f64 v[4:5], v[8:9], v[4:5]
	s_delay_alu instid0(VALU_DEP_2) | instskip(NEXT) | instid1(VALU_DEP_2)
	v_add_f64 v[2:3], v[42:43], -v[2:3]
	v_add_f64 v[4:5], v[44:45], -v[4:5]
	scratch_store_b128 off, v[2:5], off offset:64
	v_cmpx_lt_u32_e32 3, v122
	s_cbranch_execz .LBB101_235
; %bb.234:
	scratch_load_b128 v[5:8], v125, off
	v_mov_b32_e32 v2, v1
	v_mov_b32_e32 v3, v1
	;; [unrolled: 1-line block ×3, first 2 shown]
	scratch_store_b128 off, v[1:4], off offset:48
	s_waitcnt vmcnt(0)
	ds_store_b128 v160, v[5:8]
.LBB101_235:
	s_or_b32 exec_lo, exec_lo, s2
	s_waitcnt lgkmcnt(0)
	s_waitcnt_vscnt null, 0x0
	s_barrier
	buffer_gl0_inv
	s_clause 0x8
	scratch_load_b128 v[2:5], off, off offset:64
	scratch_load_b128 v[6:9], off, off offset:80
	;; [unrolled: 1-line block ×9, first 2 shown]
	ds_load_b128 v[42:45], v1 offset:672
	ds_load_b128 v[38:41], v1 offset:688
	s_clause 0x1
	scratch_load_b128 v[161:164], off, off offset:48
	scratch_load_b128 v[165:168], off, off offset:208
	s_mov_b32 s2, exec_lo
	s_waitcnt vmcnt(10) lgkmcnt(1)
	v_mul_f64 v[169:170], v[44:45], v[4:5]
	v_mul_f64 v[4:5], v[42:43], v[4:5]
	s_waitcnt vmcnt(9) lgkmcnt(0)
	v_mul_f64 v[173:174], v[38:39], v[8:9]
	v_mul_f64 v[8:9], v[40:41], v[8:9]
	s_delay_alu instid0(VALU_DEP_4) | instskip(NEXT) | instid1(VALU_DEP_4)
	v_fma_f64 v[175:176], v[42:43], v[2:3], -v[169:170]
	v_fma_f64 v[177:178], v[44:45], v[2:3], v[4:5]
	ds_load_b128 v[2:5], v1 offset:704
	ds_load_b128 v[169:172], v1 offset:720
	scratch_load_b128 v[42:45], off, off offset:224
	v_fma_f64 v[40:41], v[40:41], v[6:7], v[173:174]
	v_fma_f64 v[38:39], v[38:39], v[6:7], -v[8:9]
	scratch_load_b128 v[6:9], off, off offset:240
	s_waitcnt vmcnt(10) lgkmcnt(1)
	v_mul_f64 v[179:180], v[2:3], v[12:13]
	v_mul_f64 v[12:13], v[4:5], v[12:13]
	v_add_f64 v[173:174], v[175:176], 0
	v_add_f64 v[175:176], v[177:178], 0
	s_waitcnt vmcnt(9) lgkmcnt(0)
	v_mul_f64 v[177:178], v[169:170], v[16:17]
	v_mul_f64 v[16:17], v[171:172], v[16:17]
	v_fma_f64 v[179:180], v[4:5], v[10:11], v[179:180]
	v_fma_f64 v[181:182], v[2:3], v[10:11], -v[12:13]
	ds_load_b128 v[2:5], v1 offset:736
	scratch_load_b128 v[10:13], off, off offset:256
	v_add_f64 v[173:174], v[173:174], v[38:39]
	v_add_f64 v[175:176], v[175:176], v[40:41]
	ds_load_b128 v[38:41], v1 offset:752
	v_fma_f64 v[171:172], v[171:172], v[14:15], v[177:178]
	v_fma_f64 v[169:170], v[169:170], v[14:15], -v[16:17]
	scratch_load_b128 v[14:17], off, off offset:272
	s_waitcnt vmcnt(10) lgkmcnt(1)
	v_mul_f64 v[183:184], v[2:3], v[20:21]
	v_mul_f64 v[20:21], v[4:5], v[20:21]
	s_waitcnt vmcnt(9) lgkmcnt(0)
	v_mul_f64 v[177:178], v[38:39], v[24:25]
	v_mul_f64 v[24:25], v[40:41], v[24:25]
	v_add_f64 v[173:174], v[173:174], v[181:182]
	v_add_f64 v[175:176], v[175:176], v[179:180]
	v_fma_f64 v[179:180], v[4:5], v[18:19], v[183:184]
	v_fma_f64 v[181:182], v[2:3], v[18:19], -v[20:21]
	ds_load_b128 v[2:5], v1 offset:768
	scratch_load_b128 v[18:21], off, off offset:288
	v_fma_f64 v[40:41], v[40:41], v[22:23], v[177:178]
	v_fma_f64 v[38:39], v[38:39], v[22:23], -v[24:25]
	scratch_load_b128 v[22:25], off, off offset:304
	v_add_f64 v[173:174], v[173:174], v[169:170]
	v_add_f64 v[175:176], v[175:176], v[171:172]
	ds_load_b128 v[169:172], v1 offset:784
	s_waitcnt vmcnt(10) lgkmcnt(1)
	v_mul_f64 v[183:184], v[2:3], v[28:29]
	v_mul_f64 v[28:29], v[4:5], v[28:29]
	s_waitcnt vmcnt(9) lgkmcnt(0)
	v_mul_f64 v[177:178], v[169:170], v[32:33]
	v_mul_f64 v[32:33], v[171:172], v[32:33]
	v_add_f64 v[173:174], v[173:174], v[181:182]
	v_add_f64 v[175:176], v[175:176], v[179:180]
	v_fma_f64 v[179:180], v[4:5], v[26:27], v[183:184]
	v_fma_f64 v[181:182], v[2:3], v[26:27], -v[28:29]
	ds_load_b128 v[2:5], v1 offset:800
	scratch_load_b128 v[26:29], off, off offset:320
	v_fma_f64 v[171:172], v[171:172], v[30:31], v[177:178]
	v_fma_f64 v[169:170], v[169:170], v[30:31], -v[32:33]
	scratch_load_b128 v[30:33], off, off offset:336
	v_add_f64 v[173:174], v[173:174], v[38:39]
	v_add_f64 v[175:176], v[175:176], v[40:41]
	ds_load_b128 v[38:41], v1 offset:816
	s_waitcnt vmcnt(10) lgkmcnt(1)
	v_mul_f64 v[183:184], v[2:3], v[36:37]
	v_mul_f64 v[36:37], v[4:5], v[36:37]
	s_waitcnt vmcnt(8) lgkmcnt(0)
	v_mul_f64 v[177:178], v[38:39], v[167:168]
	v_add_f64 v[173:174], v[173:174], v[181:182]
	v_add_f64 v[175:176], v[175:176], v[179:180]
	v_mul_f64 v[179:180], v[40:41], v[167:168]
	v_fma_f64 v[181:182], v[4:5], v[34:35], v[183:184]
	v_fma_f64 v[183:184], v[2:3], v[34:35], -v[36:37]
	ds_load_b128 v[2:5], v1 offset:832
	scratch_load_b128 v[34:37], off, off offset:352
	v_fma_f64 v[177:178], v[40:41], v[165:166], v[177:178]
	v_add_f64 v[173:174], v[173:174], v[169:170]
	v_add_f64 v[171:172], v[175:176], v[171:172]
	ds_load_b128 v[167:170], v1 offset:848
	v_fma_f64 v[165:166], v[38:39], v[165:166], -v[179:180]
	scratch_load_b128 v[38:41], off, off offset:368
	s_waitcnt vmcnt(9) lgkmcnt(1)
	v_mul_f64 v[175:176], v[2:3], v[44:45]
	v_mul_f64 v[44:45], v[4:5], v[44:45]
	s_waitcnt vmcnt(8) lgkmcnt(0)
	v_mul_f64 v[179:180], v[167:168], v[8:9]
	v_mul_f64 v[8:9], v[169:170], v[8:9]
	v_add_f64 v[173:174], v[173:174], v[183:184]
	v_add_f64 v[171:172], v[171:172], v[181:182]
	v_fma_f64 v[175:176], v[4:5], v[42:43], v[175:176]
	v_fma_f64 v[181:182], v[2:3], v[42:43], -v[44:45]
	ds_load_b128 v[2:5], v1 offset:864
	scratch_load_b128 v[42:45], off, off offset:384
	v_fma_f64 v[169:170], v[169:170], v[6:7], v[179:180]
	v_fma_f64 v[167:168], v[167:168], v[6:7], -v[8:9]
	scratch_load_b128 v[6:9], off, off offset:400
	v_add_f64 v[165:166], v[173:174], v[165:166]
	v_add_f64 v[177:178], v[171:172], v[177:178]
	ds_load_b128 v[171:174], v1 offset:880
	s_waitcnt vmcnt(9) lgkmcnt(1)
	v_mul_f64 v[183:184], v[2:3], v[12:13]
	v_mul_f64 v[12:13], v[4:5], v[12:13]
	v_add_f64 v[165:166], v[165:166], v[181:182]
	v_add_f64 v[175:176], v[177:178], v[175:176]
	s_waitcnt vmcnt(8) lgkmcnt(0)
	v_mul_f64 v[177:178], v[171:172], v[16:17]
	v_mul_f64 v[16:17], v[173:174], v[16:17]
	v_fma_f64 v[179:180], v[4:5], v[10:11], v[183:184]
	v_fma_f64 v[181:182], v[2:3], v[10:11], -v[12:13]
	ds_load_b128 v[2:5], v1 offset:896
	scratch_load_b128 v[10:13], off, off offset:416
	v_add_f64 v[183:184], v[165:166], v[167:168]
	v_add_f64 v[169:170], v[175:176], v[169:170]
	ds_load_b128 v[165:168], v1 offset:912
	s_waitcnt vmcnt(8) lgkmcnt(1)
	v_mul_f64 v[175:176], v[2:3], v[20:21]
	v_mul_f64 v[20:21], v[4:5], v[20:21]
	v_fma_f64 v[173:174], v[173:174], v[14:15], v[177:178]
	v_fma_f64 v[171:172], v[171:172], v[14:15], -v[16:17]
	scratch_load_b128 v[14:17], off, off offset:432
	v_add_f64 v[177:178], v[183:184], v[181:182]
	v_add_f64 v[169:170], v[169:170], v[179:180]
	s_waitcnt vmcnt(8) lgkmcnt(0)
	v_mul_f64 v[179:180], v[165:166], v[24:25]
	v_mul_f64 v[24:25], v[167:168], v[24:25]
	v_fma_f64 v[175:176], v[4:5], v[18:19], v[175:176]
	v_fma_f64 v[181:182], v[2:3], v[18:19], -v[20:21]
	ds_load_b128 v[2:5], v1 offset:928
	scratch_load_b128 v[18:21], off, off offset:448
	v_add_f64 v[177:178], v[177:178], v[171:172]
	v_add_f64 v[173:174], v[169:170], v[173:174]
	ds_load_b128 v[169:172], v1 offset:944
	s_waitcnt vmcnt(8) lgkmcnt(1)
	v_mul_f64 v[183:184], v[2:3], v[28:29]
	v_mul_f64 v[28:29], v[4:5], v[28:29]
	v_fma_f64 v[167:168], v[167:168], v[22:23], v[179:180]
	v_fma_f64 v[165:166], v[165:166], v[22:23], -v[24:25]
	scratch_load_b128 v[22:25], off, off offset:464
	;; [unrolled: 18-line block ×4, first 2 shown]
	s_waitcnt vmcnt(8) lgkmcnt(0)
	v_mul_f64 v[177:178], v[169:170], v[8:9]
	v_mul_f64 v[8:9], v[171:172], v[8:9]
	v_add_f64 v[175:176], v[175:176], v[181:182]
	v_add_f64 v[173:174], v[173:174], v[179:180]
	v_fma_f64 v[179:180], v[4:5], v[42:43], v[183:184]
	v_fma_f64 v[181:182], v[2:3], v[42:43], -v[44:45]
	ds_load_b128 v[2:5], v1 offset:1024
	scratch_load_b128 v[42:45], off, off offset:544
	v_fma_f64 v[171:172], v[171:172], v[6:7], v[177:178]
	v_fma_f64 v[169:170], v[169:170], v[6:7], -v[8:9]
	scratch_load_b128 v[6:9], off, off offset:560
	v_add_f64 v[175:176], v[175:176], v[165:166]
	v_add_f64 v[173:174], v[173:174], v[167:168]
	ds_load_b128 v[165:168], v1 offset:1040
	s_waitcnt vmcnt(9) lgkmcnt(1)
	v_mul_f64 v[183:184], v[2:3], v[12:13]
	v_mul_f64 v[12:13], v[4:5], v[12:13]
	s_waitcnt vmcnt(8) lgkmcnt(0)
	v_mul_f64 v[177:178], v[165:166], v[16:17]
	v_mul_f64 v[16:17], v[167:168], v[16:17]
	v_add_f64 v[175:176], v[175:176], v[181:182]
	v_add_f64 v[173:174], v[173:174], v[179:180]
	v_fma_f64 v[179:180], v[4:5], v[10:11], v[183:184]
	v_fma_f64 v[181:182], v[2:3], v[10:11], -v[12:13]
	ds_load_b128 v[2:5], v1 offset:1056
	scratch_load_b128 v[10:13], off, off offset:576
	v_fma_f64 v[167:168], v[167:168], v[14:15], v[177:178]
	v_fma_f64 v[165:166], v[165:166], v[14:15], -v[16:17]
	scratch_load_b128 v[14:17], off, off offset:592
	v_add_f64 v[175:176], v[175:176], v[169:170]
	v_add_f64 v[173:174], v[173:174], v[171:172]
	ds_load_b128 v[169:172], v1 offset:1072
	s_waitcnt vmcnt(9) lgkmcnt(1)
	v_mul_f64 v[183:184], v[2:3], v[20:21]
	v_mul_f64 v[20:21], v[4:5], v[20:21]
	s_waitcnt vmcnt(8) lgkmcnt(0)
	v_mul_f64 v[177:178], v[169:170], v[24:25]
	v_mul_f64 v[24:25], v[171:172], v[24:25]
	v_add_f64 v[175:176], v[175:176], v[181:182]
	v_add_f64 v[173:174], v[173:174], v[179:180]
	v_fma_f64 v[179:180], v[4:5], v[18:19], v[183:184]
	v_fma_f64 v[181:182], v[2:3], v[18:19], -v[20:21]
	ds_load_b128 v[2:5], v1 offset:1088
	ds_load_b128 v[18:21], v1 offset:1104
	v_fma_f64 v[171:172], v[171:172], v[22:23], v[177:178]
	v_fma_f64 v[22:23], v[169:170], v[22:23], -v[24:25]
	v_add_f64 v[165:166], v[175:176], v[165:166]
	v_add_f64 v[167:168], v[173:174], v[167:168]
	s_waitcnt vmcnt(7) lgkmcnt(1)
	v_mul_f64 v[173:174], v[2:3], v[28:29]
	v_mul_f64 v[28:29], v[4:5], v[28:29]
	s_delay_alu instid0(VALU_DEP_4) | instskip(NEXT) | instid1(VALU_DEP_4)
	v_add_f64 v[24:25], v[165:166], v[181:182]
	v_add_f64 v[165:166], v[167:168], v[179:180]
	s_waitcnt vmcnt(6) lgkmcnt(0)
	v_mul_f64 v[167:168], v[18:19], v[32:33]
	v_mul_f64 v[32:33], v[20:21], v[32:33]
	v_fma_f64 v[169:170], v[4:5], v[26:27], v[173:174]
	v_fma_f64 v[26:27], v[2:3], v[26:27], -v[28:29]
	v_add_f64 v[28:29], v[24:25], v[22:23]
	v_add_f64 v[165:166], v[165:166], v[171:172]
	ds_load_b128 v[2:5], v1 offset:1120
	ds_load_b128 v[22:25], v1 offset:1136
	v_fma_f64 v[20:21], v[20:21], v[30:31], v[167:168]
	v_fma_f64 v[18:19], v[18:19], v[30:31], -v[32:33]
	s_waitcnt vmcnt(5) lgkmcnt(1)
	v_mul_f64 v[171:172], v[2:3], v[36:37]
	v_mul_f64 v[36:37], v[4:5], v[36:37]
	s_waitcnt vmcnt(4) lgkmcnt(0)
	v_mul_f64 v[30:31], v[22:23], v[40:41]
	v_mul_f64 v[32:33], v[24:25], v[40:41]
	v_add_f64 v[26:27], v[28:29], v[26:27]
	v_add_f64 v[28:29], v[165:166], v[169:170]
	v_fma_f64 v[40:41], v[4:5], v[34:35], v[171:172]
	v_fma_f64 v[34:35], v[2:3], v[34:35], -v[36:37]
	v_fma_f64 v[24:25], v[24:25], v[38:39], v[30:31]
	v_fma_f64 v[22:23], v[22:23], v[38:39], -v[32:33]
	v_add_f64 v[26:27], v[26:27], v[18:19]
	v_add_f64 v[28:29], v[28:29], v[20:21]
	ds_load_b128 v[2:5], v1 offset:1152
	ds_load_b128 v[18:21], v1 offset:1168
	s_waitcnt vmcnt(3) lgkmcnt(1)
	v_mul_f64 v[36:37], v[2:3], v[44:45]
	v_mul_f64 v[44:45], v[4:5], v[44:45]
	s_waitcnt vmcnt(2) lgkmcnt(0)
	v_mul_f64 v[30:31], v[18:19], v[8:9]
	v_mul_f64 v[8:9], v[20:21], v[8:9]
	v_add_f64 v[26:27], v[26:27], v[34:35]
	v_add_f64 v[28:29], v[28:29], v[40:41]
	v_fma_f64 v[32:33], v[4:5], v[42:43], v[36:37]
	v_fma_f64 v[34:35], v[2:3], v[42:43], -v[44:45]
	v_fma_f64 v[20:21], v[20:21], v[6:7], v[30:31]
	v_fma_f64 v[6:7], v[18:19], v[6:7], -v[8:9]
	v_add_f64 v[26:27], v[26:27], v[22:23]
	v_add_f64 v[28:29], v[28:29], v[24:25]
	ds_load_b128 v[2:5], v1 offset:1184
	ds_load_b128 v[22:25], v1 offset:1200
	s_waitcnt vmcnt(1) lgkmcnt(1)
	v_mul_f64 v[36:37], v[2:3], v[12:13]
	v_mul_f64 v[12:13], v[4:5], v[12:13]
	v_add_f64 v[8:9], v[26:27], v[34:35]
	v_add_f64 v[18:19], v[28:29], v[32:33]
	s_waitcnt vmcnt(0) lgkmcnt(0)
	v_mul_f64 v[26:27], v[22:23], v[16:17]
	v_mul_f64 v[16:17], v[24:25], v[16:17]
	v_fma_f64 v[4:5], v[4:5], v[10:11], v[36:37]
	v_fma_f64 v[1:2], v[2:3], v[10:11], -v[12:13]
	v_add_f64 v[6:7], v[8:9], v[6:7]
	v_add_f64 v[8:9], v[18:19], v[20:21]
	v_fma_f64 v[10:11], v[24:25], v[14:15], v[26:27]
	v_fma_f64 v[12:13], v[22:23], v[14:15], -v[16:17]
	s_delay_alu instid0(VALU_DEP_4) | instskip(NEXT) | instid1(VALU_DEP_4)
	v_add_f64 v[1:2], v[6:7], v[1:2]
	v_add_f64 v[3:4], v[8:9], v[4:5]
	s_delay_alu instid0(VALU_DEP_2) | instskip(NEXT) | instid1(VALU_DEP_2)
	v_add_f64 v[1:2], v[1:2], v[12:13]
	v_add_f64 v[3:4], v[3:4], v[10:11]
	s_delay_alu instid0(VALU_DEP_2) | instskip(NEXT) | instid1(VALU_DEP_2)
	v_add_f64 v[1:2], v[161:162], -v[1:2]
	v_add_f64 v[3:4], v[163:164], -v[3:4]
	scratch_store_b128 off, v[1:4], off offset:48
	v_cmpx_lt_u32_e32 2, v122
	s_cbranch_execz .LBB101_237
; %bb.236:
	scratch_load_b128 v[1:4], v124, off
	v_mov_b32_e32 v5, 0
	s_delay_alu instid0(VALU_DEP_1)
	v_mov_b32_e32 v6, v5
	v_mov_b32_e32 v7, v5
	;; [unrolled: 1-line block ×3, first 2 shown]
	scratch_store_b128 off, v[5:8], off offset:32
	s_waitcnt vmcnt(0)
	ds_store_b128 v160, v[1:4]
.LBB101_237:
	s_or_b32 exec_lo, exec_lo, s2
	s_waitcnt lgkmcnt(0)
	s_waitcnt_vscnt null, 0x0
	s_barrier
	buffer_gl0_inv
	s_clause 0x7
	scratch_load_b128 v[2:5], off, off offset:48
	scratch_load_b128 v[6:9], off, off offset:64
	;; [unrolled: 1-line block ×8, first 2 shown]
	v_mov_b32_e32 v1, 0
	s_mov_b32 s2, exec_lo
	ds_load_b128 v[38:41], v1 offset:656
	s_clause 0x1
	scratch_load_b128 v[34:37], off, off offset:176
	scratch_load_b128 v[42:45], off, off offset:32
	ds_load_b128 v[161:164], v1 offset:672
	scratch_load_b128 v[165:168], off, off offset:192
	s_waitcnt vmcnt(10) lgkmcnt(1)
	v_mul_f64 v[169:170], v[40:41], v[4:5]
	v_mul_f64 v[4:5], v[38:39], v[4:5]
	s_delay_alu instid0(VALU_DEP_2) | instskip(NEXT) | instid1(VALU_DEP_2)
	v_fma_f64 v[175:176], v[38:39], v[2:3], -v[169:170]
	v_fma_f64 v[177:178], v[40:41], v[2:3], v[4:5]
	scratch_load_b128 v[38:41], off, off offset:208
	ds_load_b128 v[2:5], v1 offset:688
	s_waitcnt vmcnt(10) lgkmcnt(1)
	v_mul_f64 v[173:174], v[161:162], v[8:9]
	v_mul_f64 v[8:9], v[163:164], v[8:9]
	ds_load_b128 v[169:172], v1 offset:704
	s_waitcnt vmcnt(9) lgkmcnt(1)
	v_mul_f64 v[179:180], v[2:3], v[12:13]
	v_mul_f64 v[12:13], v[4:5], v[12:13]
	v_fma_f64 v[163:164], v[163:164], v[6:7], v[173:174]
	v_fma_f64 v[161:162], v[161:162], v[6:7], -v[8:9]
	v_add_f64 v[173:174], v[175:176], 0
	v_add_f64 v[175:176], v[177:178], 0
	scratch_load_b128 v[6:9], off, off offset:224
	v_fma_f64 v[179:180], v[4:5], v[10:11], v[179:180]
	v_fma_f64 v[181:182], v[2:3], v[10:11], -v[12:13]
	scratch_load_b128 v[10:13], off, off offset:240
	ds_load_b128 v[2:5], v1 offset:720
	s_waitcnt vmcnt(10) lgkmcnt(1)
	v_mul_f64 v[177:178], v[169:170], v[16:17]
	v_mul_f64 v[16:17], v[171:172], v[16:17]
	v_add_f64 v[173:174], v[173:174], v[161:162]
	v_add_f64 v[175:176], v[175:176], v[163:164]
	s_waitcnt vmcnt(9) lgkmcnt(0)
	v_mul_f64 v[183:184], v[2:3], v[20:21]
	v_mul_f64 v[20:21], v[4:5], v[20:21]
	ds_load_b128 v[161:164], v1 offset:736
	v_fma_f64 v[171:172], v[171:172], v[14:15], v[177:178]
	v_fma_f64 v[169:170], v[169:170], v[14:15], -v[16:17]
	scratch_load_b128 v[14:17], off, off offset:256
	v_add_f64 v[173:174], v[173:174], v[181:182]
	v_add_f64 v[175:176], v[175:176], v[179:180]
	v_fma_f64 v[179:180], v[4:5], v[18:19], v[183:184]
	v_fma_f64 v[181:182], v[2:3], v[18:19], -v[20:21]
	scratch_load_b128 v[18:21], off, off offset:272
	ds_load_b128 v[2:5], v1 offset:752
	s_waitcnt vmcnt(10) lgkmcnt(1)
	v_mul_f64 v[177:178], v[161:162], v[24:25]
	v_mul_f64 v[24:25], v[163:164], v[24:25]
	s_waitcnt vmcnt(9) lgkmcnt(0)
	v_mul_f64 v[183:184], v[2:3], v[28:29]
	v_mul_f64 v[28:29], v[4:5], v[28:29]
	v_add_f64 v[173:174], v[173:174], v[169:170]
	v_add_f64 v[175:176], v[175:176], v[171:172]
	ds_load_b128 v[169:172], v1 offset:768
	v_fma_f64 v[163:164], v[163:164], v[22:23], v[177:178]
	v_fma_f64 v[161:162], v[161:162], v[22:23], -v[24:25]
	scratch_load_b128 v[22:25], off, off offset:288
	v_add_f64 v[173:174], v[173:174], v[181:182]
	v_add_f64 v[175:176], v[175:176], v[179:180]
	v_fma_f64 v[179:180], v[4:5], v[26:27], v[183:184]
	v_fma_f64 v[181:182], v[2:3], v[26:27], -v[28:29]
	scratch_load_b128 v[26:29], off, off offset:304
	ds_load_b128 v[2:5], v1 offset:784
	s_waitcnt vmcnt(10) lgkmcnt(1)
	v_mul_f64 v[177:178], v[169:170], v[32:33]
	v_mul_f64 v[32:33], v[171:172], v[32:33]
	s_waitcnt vmcnt(9) lgkmcnt(0)
	v_mul_f64 v[183:184], v[2:3], v[36:37]
	v_mul_f64 v[36:37], v[4:5], v[36:37]
	v_add_f64 v[173:174], v[173:174], v[161:162]
	v_add_f64 v[175:176], v[175:176], v[163:164]
	ds_load_b128 v[161:164], v1 offset:800
	v_fma_f64 v[171:172], v[171:172], v[30:31], v[177:178]
	v_fma_f64 v[169:170], v[169:170], v[30:31], -v[32:33]
	scratch_load_b128 v[30:33], off, off offset:320
	v_add_f64 v[173:174], v[173:174], v[181:182]
	v_add_f64 v[175:176], v[175:176], v[179:180]
	v_fma_f64 v[181:182], v[4:5], v[34:35], v[183:184]
	v_fma_f64 v[183:184], v[2:3], v[34:35], -v[36:37]
	scratch_load_b128 v[34:37], off, off offset:336
	ds_load_b128 v[2:5], v1 offset:816
	s_waitcnt vmcnt(9) lgkmcnt(1)
	v_mul_f64 v[177:178], v[161:162], v[167:168]
	v_mul_f64 v[179:180], v[163:164], v[167:168]
	v_add_f64 v[173:174], v[173:174], v[169:170]
	v_add_f64 v[171:172], v[175:176], v[171:172]
	ds_load_b128 v[167:170], v1 offset:832
	v_fma_f64 v[177:178], v[163:164], v[165:166], v[177:178]
	v_fma_f64 v[165:166], v[161:162], v[165:166], -v[179:180]
	scratch_load_b128 v[161:164], off, off offset:352
	s_waitcnt vmcnt(9) lgkmcnt(1)
	v_mul_f64 v[175:176], v[2:3], v[40:41]
	v_mul_f64 v[40:41], v[4:5], v[40:41]
	v_add_f64 v[173:174], v[173:174], v[183:184]
	v_add_f64 v[171:172], v[171:172], v[181:182]
	s_delay_alu instid0(VALU_DEP_4) | instskip(NEXT) | instid1(VALU_DEP_4)
	v_fma_f64 v[175:176], v[4:5], v[38:39], v[175:176]
	v_fma_f64 v[181:182], v[2:3], v[38:39], -v[40:41]
	scratch_load_b128 v[38:41], off, off offset:368
	ds_load_b128 v[2:5], v1 offset:848
	s_waitcnt vmcnt(9) lgkmcnt(1)
	v_mul_f64 v[179:180], v[167:168], v[8:9]
	v_mul_f64 v[8:9], v[169:170], v[8:9]
	s_waitcnt vmcnt(8) lgkmcnt(0)
	v_mul_f64 v[183:184], v[2:3], v[12:13]
	v_mul_f64 v[12:13], v[4:5], v[12:13]
	v_add_f64 v[165:166], v[173:174], v[165:166]
	v_add_f64 v[177:178], v[171:172], v[177:178]
	ds_load_b128 v[171:174], v1 offset:864
	v_fma_f64 v[169:170], v[169:170], v[6:7], v[179:180]
	v_fma_f64 v[167:168], v[167:168], v[6:7], -v[8:9]
	scratch_load_b128 v[6:9], off, off offset:384
	v_fma_f64 v[179:180], v[4:5], v[10:11], v[183:184]
	v_add_f64 v[165:166], v[165:166], v[181:182]
	v_add_f64 v[175:176], v[177:178], v[175:176]
	v_fma_f64 v[181:182], v[2:3], v[10:11], -v[12:13]
	scratch_load_b128 v[10:13], off, off offset:400
	ds_load_b128 v[2:5], v1 offset:880
	s_waitcnt vmcnt(9) lgkmcnt(1)
	v_mul_f64 v[177:178], v[171:172], v[16:17]
	v_mul_f64 v[16:17], v[173:174], v[16:17]
	v_add_f64 v[183:184], v[165:166], v[167:168]
	v_add_f64 v[169:170], v[175:176], v[169:170]
	s_waitcnt vmcnt(8) lgkmcnt(0)
	v_mul_f64 v[175:176], v[2:3], v[20:21]
	v_mul_f64 v[20:21], v[4:5], v[20:21]
	ds_load_b128 v[165:168], v1 offset:896
	v_fma_f64 v[173:174], v[173:174], v[14:15], v[177:178]
	v_fma_f64 v[171:172], v[171:172], v[14:15], -v[16:17]
	scratch_load_b128 v[14:17], off, off offset:416
	v_add_f64 v[177:178], v[183:184], v[181:182]
	v_add_f64 v[169:170], v[169:170], v[179:180]
	v_fma_f64 v[175:176], v[4:5], v[18:19], v[175:176]
	v_fma_f64 v[181:182], v[2:3], v[18:19], -v[20:21]
	scratch_load_b128 v[18:21], off, off offset:432
	ds_load_b128 v[2:5], v1 offset:912
	s_waitcnt vmcnt(9) lgkmcnt(1)
	v_mul_f64 v[179:180], v[165:166], v[24:25]
	v_mul_f64 v[24:25], v[167:168], v[24:25]
	s_waitcnt vmcnt(8) lgkmcnt(0)
	v_mul_f64 v[183:184], v[2:3], v[28:29]
	v_mul_f64 v[28:29], v[4:5], v[28:29]
	v_add_f64 v[177:178], v[177:178], v[171:172]
	v_add_f64 v[173:174], v[169:170], v[173:174]
	ds_load_b128 v[169:172], v1 offset:928
	v_fma_f64 v[167:168], v[167:168], v[22:23], v[179:180]
	v_fma_f64 v[165:166], v[165:166], v[22:23], -v[24:25]
	scratch_load_b128 v[22:25], off, off offset:448
	v_fma_f64 v[179:180], v[4:5], v[26:27], v[183:184]
	v_add_f64 v[177:178], v[177:178], v[181:182]
	v_add_f64 v[173:174], v[173:174], v[175:176]
	v_fma_f64 v[181:182], v[2:3], v[26:27], -v[28:29]
	scratch_load_b128 v[26:29], off, off offset:464
	ds_load_b128 v[2:5], v1 offset:944
	s_waitcnt vmcnt(9) lgkmcnt(1)
	v_mul_f64 v[175:176], v[169:170], v[32:33]
	v_mul_f64 v[32:33], v[171:172], v[32:33]
	s_waitcnt vmcnt(8) lgkmcnt(0)
	v_mul_f64 v[183:184], v[2:3], v[36:37]
	v_mul_f64 v[36:37], v[4:5], v[36:37]
	v_add_f64 v[177:178], v[177:178], v[165:166]
	v_add_f64 v[173:174], v[173:174], v[167:168]
	ds_load_b128 v[165:168], v1 offset:960
	v_fma_f64 v[171:172], v[171:172], v[30:31], v[175:176]
	v_fma_f64 v[169:170], v[169:170], v[30:31], -v[32:33]
	scratch_load_b128 v[30:33], off, off offset:480
	v_add_f64 v[175:176], v[177:178], v[181:182]
	v_add_f64 v[173:174], v[173:174], v[179:180]
	v_fma_f64 v[179:180], v[4:5], v[34:35], v[183:184]
	v_fma_f64 v[181:182], v[2:3], v[34:35], -v[36:37]
	scratch_load_b128 v[34:37], off, off offset:496
	ds_load_b128 v[2:5], v1 offset:976
	s_waitcnt vmcnt(9) lgkmcnt(1)
	v_mul_f64 v[177:178], v[165:166], v[163:164]
	v_mul_f64 v[163:164], v[167:168], v[163:164]
	s_waitcnt vmcnt(8) lgkmcnt(0)
	v_mul_f64 v[183:184], v[2:3], v[40:41]
	v_mul_f64 v[40:41], v[4:5], v[40:41]
	v_add_f64 v[175:176], v[175:176], v[169:170]
	v_add_f64 v[173:174], v[173:174], v[171:172]
	ds_load_b128 v[169:172], v1 offset:992
	v_fma_f64 v[167:168], v[167:168], v[161:162], v[177:178]
	v_fma_f64 v[165:166], v[165:166], v[161:162], -v[163:164]
	scratch_load_b128 v[161:164], off, off offset:512
	v_add_f64 v[175:176], v[175:176], v[181:182]
	v_add_f64 v[173:174], v[173:174], v[179:180]
	v_fma_f64 v[179:180], v[4:5], v[38:39], v[183:184]
	;; [unrolled: 18-line block ×4, first 2 shown]
	v_fma_f64 v[181:182], v[2:3], v[18:19], -v[20:21]
	scratch_load_b128 v[18:21], off, off offset:592
	ds_load_b128 v[2:5], v1 offset:1072
	s_waitcnt vmcnt(9) lgkmcnt(1)
	v_mul_f64 v[177:178], v[169:170], v[24:25]
	v_mul_f64 v[24:25], v[171:172], v[24:25]
	s_waitcnt vmcnt(8) lgkmcnt(0)
	v_mul_f64 v[183:184], v[2:3], v[28:29]
	v_mul_f64 v[28:29], v[4:5], v[28:29]
	v_add_f64 v[175:176], v[175:176], v[165:166]
	v_add_f64 v[173:174], v[173:174], v[167:168]
	ds_load_b128 v[165:168], v1 offset:1088
	v_fma_f64 v[171:172], v[171:172], v[22:23], v[177:178]
	v_fma_f64 v[22:23], v[169:170], v[22:23], -v[24:25]
	v_add_f64 v[24:25], v[175:176], v[181:182]
	v_add_f64 v[169:170], v[173:174], v[179:180]
	s_waitcnt vmcnt(7) lgkmcnt(0)
	v_mul_f64 v[173:174], v[165:166], v[32:33]
	v_mul_f64 v[32:33], v[167:168], v[32:33]
	v_fma_f64 v[175:176], v[4:5], v[26:27], v[183:184]
	v_fma_f64 v[26:27], v[2:3], v[26:27], -v[28:29]
	v_add_f64 v[28:29], v[24:25], v[22:23]
	v_add_f64 v[169:170], v[169:170], v[171:172]
	ds_load_b128 v[2:5], v1 offset:1104
	ds_load_b128 v[22:25], v1 offset:1120
	v_fma_f64 v[167:168], v[167:168], v[30:31], v[173:174]
	v_fma_f64 v[30:31], v[165:166], v[30:31], -v[32:33]
	s_waitcnt vmcnt(6) lgkmcnt(1)
	v_mul_f64 v[171:172], v[2:3], v[36:37]
	v_mul_f64 v[36:37], v[4:5], v[36:37]
	s_waitcnt vmcnt(5) lgkmcnt(0)
	v_mul_f64 v[32:33], v[22:23], v[163:164]
	v_mul_f64 v[163:164], v[24:25], v[163:164]
	v_add_f64 v[26:27], v[28:29], v[26:27]
	v_add_f64 v[28:29], v[169:170], v[175:176]
	v_fma_f64 v[165:166], v[4:5], v[34:35], v[171:172]
	v_fma_f64 v[34:35], v[2:3], v[34:35], -v[36:37]
	v_fma_f64 v[24:25], v[24:25], v[161:162], v[32:33]
	v_fma_f64 v[22:23], v[22:23], v[161:162], -v[163:164]
	v_add_f64 v[30:31], v[26:27], v[30:31]
	v_add_f64 v[36:37], v[28:29], v[167:168]
	ds_load_b128 v[2:5], v1 offset:1136
	ds_load_b128 v[26:29], v1 offset:1152
	s_waitcnt vmcnt(4) lgkmcnt(1)
	v_mul_f64 v[167:168], v[2:3], v[40:41]
	v_mul_f64 v[40:41], v[4:5], v[40:41]
	v_add_f64 v[30:31], v[30:31], v[34:35]
	v_add_f64 v[32:33], v[36:37], v[165:166]
	s_waitcnt vmcnt(3) lgkmcnt(0)
	v_mul_f64 v[34:35], v[26:27], v[8:9]
	v_mul_f64 v[8:9], v[28:29], v[8:9]
	v_fma_f64 v[36:37], v[4:5], v[38:39], v[167:168]
	v_fma_f64 v[38:39], v[2:3], v[38:39], -v[40:41]
	v_add_f64 v[30:31], v[30:31], v[22:23]
	v_add_f64 v[32:33], v[32:33], v[24:25]
	ds_load_b128 v[2:5], v1 offset:1168
	ds_load_b128 v[22:25], v1 offset:1184
	v_fma_f64 v[28:29], v[28:29], v[6:7], v[34:35]
	v_fma_f64 v[6:7], v[26:27], v[6:7], -v[8:9]
	s_waitcnt vmcnt(2) lgkmcnt(1)
	v_mul_f64 v[40:41], v[2:3], v[12:13]
	v_mul_f64 v[12:13], v[4:5], v[12:13]
	v_add_f64 v[8:9], v[30:31], v[38:39]
	v_add_f64 v[26:27], v[32:33], v[36:37]
	s_waitcnt vmcnt(1) lgkmcnt(0)
	v_mul_f64 v[30:31], v[22:23], v[16:17]
	v_mul_f64 v[16:17], v[24:25], v[16:17]
	v_fma_f64 v[32:33], v[4:5], v[10:11], v[40:41]
	v_fma_f64 v[10:11], v[2:3], v[10:11], -v[12:13]
	ds_load_b128 v[2:5], v1 offset:1200
	v_add_f64 v[6:7], v[8:9], v[6:7]
	v_add_f64 v[8:9], v[26:27], v[28:29]
	v_fma_f64 v[24:25], v[24:25], v[14:15], v[30:31]
	v_fma_f64 v[14:15], v[22:23], v[14:15], -v[16:17]
	s_waitcnt vmcnt(0) lgkmcnt(0)
	v_mul_f64 v[12:13], v[2:3], v[20:21]
	v_mul_f64 v[20:21], v[4:5], v[20:21]
	v_add_f64 v[6:7], v[6:7], v[10:11]
	v_add_f64 v[8:9], v[8:9], v[32:33]
	s_delay_alu instid0(VALU_DEP_4) | instskip(NEXT) | instid1(VALU_DEP_4)
	v_fma_f64 v[4:5], v[4:5], v[18:19], v[12:13]
	v_fma_f64 v[2:3], v[2:3], v[18:19], -v[20:21]
	s_delay_alu instid0(VALU_DEP_4) | instskip(NEXT) | instid1(VALU_DEP_4)
	v_add_f64 v[6:7], v[6:7], v[14:15]
	v_add_f64 v[8:9], v[8:9], v[24:25]
	s_delay_alu instid0(VALU_DEP_2) | instskip(NEXT) | instid1(VALU_DEP_2)
	v_add_f64 v[2:3], v[6:7], v[2:3]
	v_add_f64 v[4:5], v[8:9], v[4:5]
	s_delay_alu instid0(VALU_DEP_2) | instskip(NEXT) | instid1(VALU_DEP_2)
	v_add_f64 v[2:3], v[42:43], -v[2:3]
	v_add_f64 v[4:5], v[44:45], -v[4:5]
	scratch_store_b128 off, v[2:5], off offset:32
	v_cmpx_lt_u32_e32 1, v122
	s_cbranch_execz .LBB101_239
; %bb.238:
	scratch_load_b128 v[5:8], v126, off
	v_mov_b32_e32 v2, v1
	v_mov_b32_e32 v3, v1
	;; [unrolled: 1-line block ×3, first 2 shown]
	scratch_store_b128 off, v[1:4], off offset:16
	s_waitcnt vmcnt(0)
	ds_store_b128 v160, v[5:8]
.LBB101_239:
	s_or_b32 exec_lo, exec_lo, s2
	s_waitcnt lgkmcnt(0)
	s_waitcnt_vscnt null, 0x0
	s_barrier
	buffer_gl0_inv
	s_clause 0x8
	scratch_load_b128 v[2:5], off, off offset:32
	scratch_load_b128 v[6:9], off, off offset:48
	scratch_load_b128 v[10:13], off, off offset:64
	scratch_load_b128 v[14:17], off, off offset:80
	scratch_load_b128 v[18:21], off, off offset:96
	scratch_load_b128 v[22:25], off, off offset:112
	scratch_load_b128 v[26:29], off, off offset:128
	scratch_load_b128 v[30:33], off, off offset:144
	scratch_load_b128 v[34:37], off, off offset:160
	ds_load_b128 v[42:45], v1 offset:640
	ds_load_b128 v[38:41], v1 offset:656
	s_clause 0x1
	scratch_load_b128 v[161:164], off, off offset:16
	scratch_load_b128 v[165:168], off, off offset:176
	s_mov_b32 s2, exec_lo
	s_waitcnt vmcnt(10) lgkmcnt(1)
	v_mul_f64 v[169:170], v[44:45], v[4:5]
	v_mul_f64 v[4:5], v[42:43], v[4:5]
	s_waitcnt vmcnt(9) lgkmcnt(0)
	v_mul_f64 v[173:174], v[38:39], v[8:9]
	v_mul_f64 v[8:9], v[40:41], v[8:9]
	s_delay_alu instid0(VALU_DEP_4) | instskip(NEXT) | instid1(VALU_DEP_4)
	v_fma_f64 v[175:176], v[42:43], v[2:3], -v[169:170]
	v_fma_f64 v[177:178], v[44:45], v[2:3], v[4:5]
	ds_load_b128 v[2:5], v1 offset:672
	ds_load_b128 v[169:172], v1 offset:688
	scratch_load_b128 v[42:45], off, off offset:192
	v_fma_f64 v[40:41], v[40:41], v[6:7], v[173:174]
	v_fma_f64 v[38:39], v[38:39], v[6:7], -v[8:9]
	scratch_load_b128 v[6:9], off, off offset:208
	s_waitcnt vmcnt(10) lgkmcnt(1)
	v_mul_f64 v[179:180], v[2:3], v[12:13]
	v_mul_f64 v[12:13], v[4:5], v[12:13]
	v_add_f64 v[173:174], v[175:176], 0
	v_add_f64 v[175:176], v[177:178], 0
	s_waitcnt vmcnt(9) lgkmcnt(0)
	v_mul_f64 v[177:178], v[169:170], v[16:17]
	v_mul_f64 v[16:17], v[171:172], v[16:17]
	v_fma_f64 v[179:180], v[4:5], v[10:11], v[179:180]
	v_fma_f64 v[181:182], v[2:3], v[10:11], -v[12:13]
	ds_load_b128 v[2:5], v1 offset:704
	scratch_load_b128 v[10:13], off, off offset:224
	v_add_f64 v[173:174], v[173:174], v[38:39]
	v_add_f64 v[175:176], v[175:176], v[40:41]
	ds_load_b128 v[38:41], v1 offset:720
	v_fma_f64 v[171:172], v[171:172], v[14:15], v[177:178]
	v_fma_f64 v[169:170], v[169:170], v[14:15], -v[16:17]
	scratch_load_b128 v[14:17], off, off offset:240
	s_waitcnt vmcnt(10) lgkmcnt(1)
	v_mul_f64 v[183:184], v[2:3], v[20:21]
	v_mul_f64 v[20:21], v[4:5], v[20:21]
	s_waitcnt vmcnt(9) lgkmcnt(0)
	v_mul_f64 v[177:178], v[38:39], v[24:25]
	v_mul_f64 v[24:25], v[40:41], v[24:25]
	v_add_f64 v[173:174], v[173:174], v[181:182]
	v_add_f64 v[175:176], v[175:176], v[179:180]
	v_fma_f64 v[179:180], v[4:5], v[18:19], v[183:184]
	v_fma_f64 v[181:182], v[2:3], v[18:19], -v[20:21]
	ds_load_b128 v[2:5], v1 offset:736
	scratch_load_b128 v[18:21], off, off offset:256
	v_fma_f64 v[40:41], v[40:41], v[22:23], v[177:178]
	v_fma_f64 v[38:39], v[38:39], v[22:23], -v[24:25]
	scratch_load_b128 v[22:25], off, off offset:272
	v_add_f64 v[173:174], v[173:174], v[169:170]
	v_add_f64 v[175:176], v[175:176], v[171:172]
	ds_load_b128 v[169:172], v1 offset:752
	s_waitcnt vmcnt(10) lgkmcnt(1)
	v_mul_f64 v[183:184], v[2:3], v[28:29]
	v_mul_f64 v[28:29], v[4:5], v[28:29]
	s_waitcnt vmcnt(9) lgkmcnt(0)
	v_mul_f64 v[177:178], v[169:170], v[32:33]
	v_mul_f64 v[32:33], v[171:172], v[32:33]
	v_add_f64 v[173:174], v[173:174], v[181:182]
	v_add_f64 v[175:176], v[175:176], v[179:180]
	v_fma_f64 v[179:180], v[4:5], v[26:27], v[183:184]
	v_fma_f64 v[181:182], v[2:3], v[26:27], -v[28:29]
	ds_load_b128 v[2:5], v1 offset:768
	scratch_load_b128 v[26:29], off, off offset:288
	v_fma_f64 v[171:172], v[171:172], v[30:31], v[177:178]
	v_fma_f64 v[169:170], v[169:170], v[30:31], -v[32:33]
	scratch_load_b128 v[30:33], off, off offset:304
	v_add_f64 v[173:174], v[173:174], v[38:39]
	v_add_f64 v[175:176], v[175:176], v[40:41]
	ds_load_b128 v[38:41], v1 offset:784
	s_waitcnt vmcnt(10) lgkmcnt(1)
	v_mul_f64 v[183:184], v[2:3], v[36:37]
	v_mul_f64 v[36:37], v[4:5], v[36:37]
	s_waitcnt vmcnt(8) lgkmcnt(0)
	v_mul_f64 v[177:178], v[38:39], v[167:168]
	v_add_f64 v[173:174], v[173:174], v[181:182]
	v_add_f64 v[175:176], v[175:176], v[179:180]
	v_mul_f64 v[179:180], v[40:41], v[167:168]
	v_fma_f64 v[181:182], v[4:5], v[34:35], v[183:184]
	v_fma_f64 v[183:184], v[2:3], v[34:35], -v[36:37]
	ds_load_b128 v[2:5], v1 offset:800
	scratch_load_b128 v[34:37], off, off offset:320
	v_fma_f64 v[177:178], v[40:41], v[165:166], v[177:178]
	v_add_f64 v[173:174], v[173:174], v[169:170]
	v_add_f64 v[171:172], v[175:176], v[171:172]
	ds_load_b128 v[167:170], v1 offset:816
	v_fma_f64 v[165:166], v[38:39], v[165:166], -v[179:180]
	scratch_load_b128 v[38:41], off, off offset:336
	s_waitcnt vmcnt(9) lgkmcnt(1)
	v_mul_f64 v[175:176], v[2:3], v[44:45]
	v_mul_f64 v[44:45], v[4:5], v[44:45]
	s_waitcnt vmcnt(8) lgkmcnt(0)
	v_mul_f64 v[179:180], v[167:168], v[8:9]
	v_mul_f64 v[8:9], v[169:170], v[8:9]
	v_add_f64 v[173:174], v[173:174], v[183:184]
	v_add_f64 v[171:172], v[171:172], v[181:182]
	v_fma_f64 v[175:176], v[4:5], v[42:43], v[175:176]
	v_fma_f64 v[181:182], v[2:3], v[42:43], -v[44:45]
	ds_load_b128 v[2:5], v1 offset:832
	scratch_load_b128 v[42:45], off, off offset:352
	v_fma_f64 v[169:170], v[169:170], v[6:7], v[179:180]
	v_fma_f64 v[167:168], v[167:168], v[6:7], -v[8:9]
	scratch_load_b128 v[6:9], off, off offset:368
	v_add_f64 v[165:166], v[173:174], v[165:166]
	v_add_f64 v[177:178], v[171:172], v[177:178]
	ds_load_b128 v[171:174], v1 offset:848
	s_waitcnt vmcnt(9) lgkmcnt(1)
	v_mul_f64 v[183:184], v[2:3], v[12:13]
	v_mul_f64 v[12:13], v[4:5], v[12:13]
	v_add_f64 v[165:166], v[165:166], v[181:182]
	v_add_f64 v[175:176], v[177:178], v[175:176]
	s_waitcnt vmcnt(8) lgkmcnt(0)
	v_mul_f64 v[177:178], v[171:172], v[16:17]
	v_mul_f64 v[16:17], v[173:174], v[16:17]
	v_fma_f64 v[179:180], v[4:5], v[10:11], v[183:184]
	v_fma_f64 v[181:182], v[2:3], v[10:11], -v[12:13]
	ds_load_b128 v[2:5], v1 offset:864
	scratch_load_b128 v[10:13], off, off offset:384
	v_add_f64 v[183:184], v[165:166], v[167:168]
	v_add_f64 v[169:170], v[175:176], v[169:170]
	ds_load_b128 v[165:168], v1 offset:880
	s_waitcnt vmcnt(8) lgkmcnt(1)
	v_mul_f64 v[175:176], v[2:3], v[20:21]
	v_mul_f64 v[20:21], v[4:5], v[20:21]
	v_fma_f64 v[173:174], v[173:174], v[14:15], v[177:178]
	v_fma_f64 v[171:172], v[171:172], v[14:15], -v[16:17]
	scratch_load_b128 v[14:17], off, off offset:400
	v_add_f64 v[177:178], v[183:184], v[181:182]
	v_add_f64 v[169:170], v[169:170], v[179:180]
	s_waitcnt vmcnt(8) lgkmcnt(0)
	v_mul_f64 v[179:180], v[165:166], v[24:25]
	v_mul_f64 v[24:25], v[167:168], v[24:25]
	v_fma_f64 v[175:176], v[4:5], v[18:19], v[175:176]
	v_fma_f64 v[181:182], v[2:3], v[18:19], -v[20:21]
	ds_load_b128 v[2:5], v1 offset:896
	scratch_load_b128 v[18:21], off, off offset:416
	v_add_f64 v[177:178], v[177:178], v[171:172]
	v_add_f64 v[173:174], v[169:170], v[173:174]
	ds_load_b128 v[169:172], v1 offset:912
	s_waitcnt vmcnt(8) lgkmcnt(1)
	v_mul_f64 v[183:184], v[2:3], v[28:29]
	v_mul_f64 v[28:29], v[4:5], v[28:29]
	v_fma_f64 v[167:168], v[167:168], v[22:23], v[179:180]
	v_fma_f64 v[165:166], v[165:166], v[22:23], -v[24:25]
	scratch_load_b128 v[22:25], off, off offset:432
	;; [unrolled: 18-line block ×4, first 2 shown]
	s_waitcnt vmcnt(8) lgkmcnt(0)
	v_mul_f64 v[177:178], v[169:170], v[8:9]
	v_mul_f64 v[8:9], v[171:172], v[8:9]
	v_add_f64 v[175:176], v[175:176], v[181:182]
	v_add_f64 v[173:174], v[173:174], v[179:180]
	v_fma_f64 v[179:180], v[4:5], v[42:43], v[183:184]
	v_fma_f64 v[181:182], v[2:3], v[42:43], -v[44:45]
	ds_load_b128 v[2:5], v1 offset:992
	scratch_load_b128 v[42:45], off, off offset:512
	v_fma_f64 v[171:172], v[171:172], v[6:7], v[177:178]
	v_fma_f64 v[169:170], v[169:170], v[6:7], -v[8:9]
	scratch_load_b128 v[6:9], off, off offset:528
	v_add_f64 v[175:176], v[175:176], v[165:166]
	v_add_f64 v[173:174], v[173:174], v[167:168]
	ds_load_b128 v[165:168], v1 offset:1008
	s_waitcnt vmcnt(9) lgkmcnt(1)
	v_mul_f64 v[183:184], v[2:3], v[12:13]
	v_mul_f64 v[12:13], v[4:5], v[12:13]
	s_waitcnt vmcnt(8) lgkmcnt(0)
	v_mul_f64 v[177:178], v[165:166], v[16:17]
	v_mul_f64 v[16:17], v[167:168], v[16:17]
	v_add_f64 v[175:176], v[175:176], v[181:182]
	v_add_f64 v[173:174], v[173:174], v[179:180]
	v_fma_f64 v[179:180], v[4:5], v[10:11], v[183:184]
	v_fma_f64 v[181:182], v[2:3], v[10:11], -v[12:13]
	ds_load_b128 v[2:5], v1 offset:1024
	scratch_load_b128 v[10:13], off, off offset:544
	v_fma_f64 v[167:168], v[167:168], v[14:15], v[177:178]
	v_fma_f64 v[165:166], v[165:166], v[14:15], -v[16:17]
	scratch_load_b128 v[14:17], off, off offset:560
	v_add_f64 v[175:176], v[175:176], v[169:170]
	v_add_f64 v[173:174], v[173:174], v[171:172]
	ds_load_b128 v[169:172], v1 offset:1040
	s_waitcnt vmcnt(9) lgkmcnt(1)
	v_mul_f64 v[183:184], v[2:3], v[20:21]
	v_mul_f64 v[20:21], v[4:5], v[20:21]
	;; [unrolled: 18-line block ×3, first 2 shown]
	s_waitcnt vmcnt(8) lgkmcnt(0)
	v_mul_f64 v[177:178], v[165:166], v[32:33]
	v_mul_f64 v[32:33], v[167:168], v[32:33]
	v_add_f64 v[175:176], v[175:176], v[181:182]
	v_add_f64 v[173:174], v[173:174], v[179:180]
	v_fma_f64 v[179:180], v[4:5], v[26:27], v[183:184]
	v_fma_f64 v[181:182], v[2:3], v[26:27], -v[28:29]
	ds_load_b128 v[2:5], v1 offset:1088
	ds_load_b128 v[26:29], v1 offset:1104
	v_fma_f64 v[167:168], v[167:168], v[30:31], v[177:178]
	v_fma_f64 v[30:31], v[165:166], v[30:31], -v[32:33]
	v_add_f64 v[169:170], v[175:176], v[169:170]
	v_add_f64 v[171:172], v[173:174], v[171:172]
	s_waitcnt vmcnt(7) lgkmcnt(1)
	v_mul_f64 v[173:174], v[2:3], v[36:37]
	v_mul_f64 v[36:37], v[4:5], v[36:37]
	s_delay_alu instid0(VALU_DEP_4) | instskip(NEXT) | instid1(VALU_DEP_4)
	v_add_f64 v[32:33], v[169:170], v[181:182]
	v_add_f64 v[165:166], v[171:172], v[179:180]
	s_waitcnt vmcnt(6) lgkmcnt(0)
	v_mul_f64 v[169:170], v[26:27], v[40:41]
	v_mul_f64 v[40:41], v[28:29], v[40:41]
	v_fma_f64 v[171:172], v[4:5], v[34:35], v[173:174]
	v_fma_f64 v[34:35], v[2:3], v[34:35], -v[36:37]
	v_add_f64 v[36:37], v[32:33], v[30:31]
	v_add_f64 v[165:166], v[165:166], v[167:168]
	ds_load_b128 v[2:5], v1 offset:1120
	ds_load_b128 v[30:33], v1 offset:1136
	v_fma_f64 v[28:29], v[28:29], v[38:39], v[169:170]
	v_fma_f64 v[26:27], v[26:27], v[38:39], -v[40:41]
	s_waitcnt vmcnt(5) lgkmcnt(1)
	v_mul_f64 v[167:168], v[2:3], v[44:45]
	v_mul_f64 v[44:45], v[4:5], v[44:45]
	s_waitcnt vmcnt(4) lgkmcnt(0)
	v_mul_f64 v[38:39], v[30:31], v[8:9]
	v_mul_f64 v[8:9], v[32:33], v[8:9]
	v_add_f64 v[34:35], v[36:37], v[34:35]
	v_add_f64 v[36:37], v[165:166], v[171:172]
	v_fma_f64 v[40:41], v[4:5], v[42:43], v[167:168]
	v_fma_f64 v[42:43], v[2:3], v[42:43], -v[44:45]
	v_fma_f64 v[32:33], v[32:33], v[6:7], v[38:39]
	v_fma_f64 v[6:7], v[30:31], v[6:7], -v[8:9]
	v_add_f64 v[34:35], v[34:35], v[26:27]
	v_add_f64 v[36:37], v[36:37], v[28:29]
	ds_load_b128 v[2:5], v1 offset:1152
	ds_load_b128 v[26:29], v1 offset:1168
	s_waitcnt vmcnt(3) lgkmcnt(1)
	v_mul_f64 v[44:45], v[2:3], v[12:13]
	v_mul_f64 v[12:13], v[4:5], v[12:13]
	v_add_f64 v[8:9], v[34:35], v[42:43]
	v_add_f64 v[30:31], v[36:37], v[40:41]
	s_waitcnt vmcnt(2) lgkmcnt(0)
	v_mul_f64 v[34:35], v[26:27], v[16:17]
	v_mul_f64 v[16:17], v[28:29], v[16:17]
	v_fma_f64 v[36:37], v[4:5], v[10:11], v[44:45]
	v_fma_f64 v[10:11], v[2:3], v[10:11], -v[12:13]
	v_add_f64 v[12:13], v[8:9], v[6:7]
	v_add_f64 v[30:31], v[30:31], v[32:33]
	ds_load_b128 v[2:5], v1 offset:1184
	ds_load_b128 v[6:9], v1 offset:1200
	v_fma_f64 v[28:29], v[28:29], v[14:15], v[34:35]
	v_fma_f64 v[14:15], v[26:27], v[14:15], -v[16:17]
	s_waitcnt vmcnt(1) lgkmcnt(1)
	v_mul_f64 v[32:33], v[2:3], v[20:21]
	v_mul_f64 v[20:21], v[4:5], v[20:21]
	s_waitcnt vmcnt(0) lgkmcnt(0)
	v_mul_f64 v[16:17], v[6:7], v[24:25]
	v_mul_f64 v[24:25], v[8:9], v[24:25]
	v_add_f64 v[10:11], v[12:13], v[10:11]
	v_add_f64 v[12:13], v[30:31], v[36:37]
	v_fma_f64 v[4:5], v[4:5], v[18:19], v[32:33]
	v_fma_f64 v[1:2], v[2:3], v[18:19], -v[20:21]
	v_fma_f64 v[8:9], v[8:9], v[22:23], v[16:17]
	v_fma_f64 v[6:7], v[6:7], v[22:23], -v[24:25]
	v_add_f64 v[10:11], v[10:11], v[14:15]
	v_add_f64 v[12:13], v[12:13], v[28:29]
	s_delay_alu instid0(VALU_DEP_2) | instskip(NEXT) | instid1(VALU_DEP_2)
	v_add_f64 v[1:2], v[10:11], v[1:2]
	v_add_f64 v[3:4], v[12:13], v[4:5]
	s_delay_alu instid0(VALU_DEP_2) | instskip(NEXT) | instid1(VALU_DEP_2)
	;; [unrolled: 3-line block ×3, first 2 shown]
	v_add_f64 v[1:2], v[161:162], -v[1:2]
	v_add_f64 v[3:4], v[163:164], -v[3:4]
	scratch_store_b128 off, v[1:4], off offset:16
	v_cmpx_ne_u32_e32 0, v122
	s_cbranch_execz .LBB101_241
; %bb.240:
	scratch_load_b128 v[1:4], off, off
	v_mov_b32_e32 v5, 0
	s_delay_alu instid0(VALU_DEP_1)
	v_mov_b32_e32 v6, v5
	v_mov_b32_e32 v7, v5
	;; [unrolled: 1-line block ×3, first 2 shown]
	scratch_store_b128 off, v[5:8], off
	s_waitcnt vmcnt(0)
	ds_store_b128 v160, v[1:4]
.LBB101_241:
	s_or_b32 exec_lo, exec_lo, s2
	s_waitcnt lgkmcnt(0)
	s_waitcnt_vscnt null, 0x0
	s_barrier
	buffer_gl0_inv
	s_clause 0x7
	scratch_load_b128 v[1:4], off, off offset:16
	scratch_load_b128 v[5:8], off, off offset:32
	;; [unrolled: 1-line block ×8, first 2 shown]
	v_mov_b32_e32 v41, 0
	s_and_b32 vcc_lo, exec_lo, s16
	ds_load_b128 v[37:40], v41 offset:624
	s_clause 0x1
	scratch_load_b128 v[33:36], off, off offset:144
	scratch_load_b128 v[42:45], off, off
	ds_load_b128 v[160:163], v41 offset:640
	scratch_load_b128 v[164:167], off, off offset:160
	s_waitcnt vmcnt(10) lgkmcnt(1)
	v_mul_f64 v[168:169], v[39:40], v[3:4]
	v_mul_f64 v[3:4], v[37:38], v[3:4]
	s_delay_alu instid0(VALU_DEP_2) | instskip(NEXT) | instid1(VALU_DEP_2)
	v_fma_f64 v[174:175], v[37:38], v[1:2], -v[168:169]
	v_fma_f64 v[176:177], v[39:40], v[1:2], v[3:4]
	scratch_load_b128 v[37:40], off, off offset:176
	ds_load_b128 v[1:4], v41 offset:656
	s_waitcnt vmcnt(10) lgkmcnt(1)
	v_mul_f64 v[172:173], v[160:161], v[7:8]
	v_mul_f64 v[7:8], v[162:163], v[7:8]
	ds_load_b128 v[168:171], v41 offset:672
	s_waitcnt vmcnt(9) lgkmcnt(1)
	v_mul_f64 v[178:179], v[1:2], v[11:12]
	v_mul_f64 v[11:12], v[3:4], v[11:12]
	v_fma_f64 v[162:163], v[162:163], v[5:6], v[172:173]
	v_fma_f64 v[160:161], v[160:161], v[5:6], -v[7:8]
	v_add_f64 v[172:173], v[174:175], 0
	v_add_f64 v[174:175], v[176:177], 0
	scratch_load_b128 v[5:8], off, off offset:192
	v_fma_f64 v[178:179], v[3:4], v[9:10], v[178:179]
	v_fma_f64 v[180:181], v[1:2], v[9:10], -v[11:12]
	scratch_load_b128 v[9:12], off, off offset:208
	ds_load_b128 v[1:4], v41 offset:688
	s_waitcnt vmcnt(10) lgkmcnt(1)
	v_mul_f64 v[176:177], v[168:169], v[15:16]
	v_mul_f64 v[15:16], v[170:171], v[15:16]
	v_add_f64 v[172:173], v[172:173], v[160:161]
	v_add_f64 v[174:175], v[174:175], v[162:163]
	s_waitcnt vmcnt(9) lgkmcnt(0)
	v_mul_f64 v[182:183], v[1:2], v[19:20]
	v_mul_f64 v[19:20], v[3:4], v[19:20]
	ds_load_b128 v[160:163], v41 offset:704
	v_fma_f64 v[170:171], v[170:171], v[13:14], v[176:177]
	v_fma_f64 v[168:169], v[168:169], v[13:14], -v[15:16]
	scratch_load_b128 v[13:16], off, off offset:224
	v_add_f64 v[172:173], v[172:173], v[180:181]
	v_add_f64 v[174:175], v[174:175], v[178:179]
	v_fma_f64 v[178:179], v[3:4], v[17:18], v[182:183]
	v_fma_f64 v[180:181], v[1:2], v[17:18], -v[19:20]
	scratch_load_b128 v[17:20], off, off offset:240
	ds_load_b128 v[1:4], v41 offset:720
	s_waitcnt vmcnt(10) lgkmcnt(1)
	v_mul_f64 v[176:177], v[160:161], v[23:24]
	v_mul_f64 v[23:24], v[162:163], v[23:24]
	s_waitcnt vmcnt(9) lgkmcnt(0)
	v_mul_f64 v[182:183], v[1:2], v[27:28]
	v_mul_f64 v[27:28], v[3:4], v[27:28]
	v_add_f64 v[172:173], v[172:173], v[168:169]
	v_add_f64 v[174:175], v[174:175], v[170:171]
	ds_load_b128 v[168:171], v41 offset:736
	v_fma_f64 v[162:163], v[162:163], v[21:22], v[176:177]
	v_fma_f64 v[160:161], v[160:161], v[21:22], -v[23:24]
	scratch_load_b128 v[21:24], off, off offset:256
	v_add_f64 v[172:173], v[172:173], v[180:181]
	v_add_f64 v[174:175], v[174:175], v[178:179]
	v_fma_f64 v[178:179], v[3:4], v[25:26], v[182:183]
	v_fma_f64 v[180:181], v[1:2], v[25:26], -v[27:28]
	scratch_load_b128 v[25:28], off, off offset:272
	ds_load_b128 v[1:4], v41 offset:752
	s_waitcnt vmcnt(10) lgkmcnt(1)
	v_mul_f64 v[176:177], v[168:169], v[31:32]
	v_mul_f64 v[31:32], v[170:171], v[31:32]
	s_waitcnt vmcnt(9) lgkmcnt(0)
	v_mul_f64 v[182:183], v[1:2], v[35:36]
	v_mul_f64 v[35:36], v[3:4], v[35:36]
	v_add_f64 v[172:173], v[172:173], v[160:161]
	v_add_f64 v[174:175], v[174:175], v[162:163]
	ds_load_b128 v[160:163], v41 offset:768
	v_fma_f64 v[170:171], v[170:171], v[29:30], v[176:177]
	v_fma_f64 v[168:169], v[168:169], v[29:30], -v[31:32]
	scratch_load_b128 v[29:32], off, off offset:288
	v_add_f64 v[172:173], v[172:173], v[180:181]
	v_add_f64 v[174:175], v[174:175], v[178:179]
	v_fma_f64 v[180:181], v[3:4], v[33:34], v[182:183]
	v_fma_f64 v[182:183], v[1:2], v[33:34], -v[35:36]
	scratch_load_b128 v[33:36], off, off offset:304
	ds_load_b128 v[1:4], v41 offset:784
	s_waitcnt vmcnt(9) lgkmcnt(1)
	v_mul_f64 v[176:177], v[160:161], v[166:167]
	v_mul_f64 v[178:179], v[162:163], v[166:167]
	v_add_f64 v[172:173], v[172:173], v[168:169]
	v_add_f64 v[170:171], v[174:175], v[170:171]
	ds_load_b128 v[166:169], v41 offset:800
	v_fma_f64 v[176:177], v[162:163], v[164:165], v[176:177]
	v_fma_f64 v[164:165], v[160:161], v[164:165], -v[178:179]
	scratch_load_b128 v[160:163], off, off offset:320
	s_waitcnt vmcnt(9) lgkmcnt(1)
	v_mul_f64 v[174:175], v[1:2], v[39:40]
	v_mul_f64 v[39:40], v[3:4], v[39:40]
	v_add_f64 v[172:173], v[172:173], v[182:183]
	v_add_f64 v[170:171], v[170:171], v[180:181]
	s_delay_alu instid0(VALU_DEP_4) | instskip(NEXT) | instid1(VALU_DEP_4)
	v_fma_f64 v[174:175], v[3:4], v[37:38], v[174:175]
	v_fma_f64 v[180:181], v[1:2], v[37:38], -v[39:40]
	scratch_load_b128 v[37:40], off, off offset:336
	ds_load_b128 v[1:4], v41 offset:816
	s_waitcnt vmcnt(9) lgkmcnt(1)
	v_mul_f64 v[178:179], v[166:167], v[7:8]
	v_mul_f64 v[7:8], v[168:169], v[7:8]
	s_waitcnt vmcnt(8) lgkmcnt(0)
	v_mul_f64 v[182:183], v[1:2], v[11:12]
	v_mul_f64 v[11:12], v[3:4], v[11:12]
	v_add_f64 v[164:165], v[172:173], v[164:165]
	v_add_f64 v[176:177], v[170:171], v[176:177]
	ds_load_b128 v[170:173], v41 offset:832
	v_fma_f64 v[168:169], v[168:169], v[5:6], v[178:179]
	v_fma_f64 v[166:167], v[166:167], v[5:6], -v[7:8]
	scratch_load_b128 v[5:8], off, off offset:352
	v_fma_f64 v[178:179], v[3:4], v[9:10], v[182:183]
	v_add_f64 v[164:165], v[164:165], v[180:181]
	v_add_f64 v[174:175], v[176:177], v[174:175]
	v_fma_f64 v[180:181], v[1:2], v[9:10], -v[11:12]
	scratch_load_b128 v[9:12], off, off offset:368
	ds_load_b128 v[1:4], v41 offset:848
	s_waitcnt vmcnt(9) lgkmcnt(1)
	v_mul_f64 v[176:177], v[170:171], v[15:16]
	v_mul_f64 v[15:16], v[172:173], v[15:16]
	v_add_f64 v[182:183], v[164:165], v[166:167]
	v_add_f64 v[168:169], v[174:175], v[168:169]
	s_waitcnt vmcnt(8) lgkmcnt(0)
	v_mul_f64 v[174:175], v[1:2], v[19:20]
	v_mul_f64 v[19:20], v[3:4], v[19:20]
	ds_load_b128 v[164:167], v41 offset:864
	v_fma_f64 v[172:173], v[172:173], v[13:14], v[176:177]
	v_fma_f64 v[170:171], v[170:171], v[13:14], -v[15:16]
	scratch_load_b128 v[13:16], off, off offset:384
	v_add_f64 v[176:177], v[182:183], v[180:181]
	v_add_f64 v[168:169], v[168:169], v[178:179]
	v_fma_f64 v[174:175], v[3:4], v[17:18], v[174:175]
	v_fma_f64 v[180:181], v[1:2], v[17:18], -v[19:20]
	scratch_load_b128 v[17:20], off, off offset:400
	ds_load_b128 v[1:4], v41 offset:880
	s_waitcnt vmcnt(9) lgkmcnt(1)
	v_mul_f64 v[178:179], v[164:165], v[23:24]
	v_mul_f64 v[23:24], v[166:167], v[23:24]
	s_waitcnt vmcnt(8) lgkmcnt(0)
	v_mul_f64 v[182:183], v[1:2], v[27:28]
	v_mul_f64 v[27:28], v[3:4], v[27:28]
	v_add_f64 v[176:177], v[176:177], v[170:171]
	v_add_f64 v[172:173], v[168:169], v[172:173]
	ds_load_b128 v[168:171], v41 offset:896
	v_fma_f64 v[166:167], v[166:167], v[21:22], v[178:179]
	v_fma_f64 v[164:165], v[164:165], v[21:22], -v[23:24]
	scratch_load_b128 v[21:24], off, off offset:416
	v_fma_f64 v[178:179], v[3:4], v[25:26], v[182:183]
	v_add_f64 v[176:177], v[176:177], v[180:181]
	v_add_f64 v[172:173], v[172:173], v[174:175]
	v_fma_f64 v[180:181], v[1:2], v[25:26], -v[27:28]
	scratch_load_b128 v[25:28], off, off offset:432
	ds_load_b128 v[1:4], v41 offset:912
	s_waitcnt vmcnt(9) lgkmcnt(1)
	v_mul_f64 v[174:175], v[168:169], v[31:32]
	v_mul_f64 v[31:32], v[170:171], v[31:32]
	s_waitcnt vmcnt(8) lgkmcnt(0)
	v_mul_f64 v[182:183], v[1:2], v[35:36]
	v_mul_f64 v[35:36], v[3:4], v[35:36]
	v_add_f64 v[176:177], v[176:177], v[164:165]
	v_add_f64 v[172:173], v[172:173], v[166:167]
	ds_load_b128 v[164:167], v41 offset:928
	v_fma_f64 v[170:171], v[170:171], v[29:30], v[174:175]
	v_fma_f64 v[168:169], v[168:169], v[29:30], -v[31:32]
	scratch_load_b128 v[29:32], off, off offset:448
	v_add_f64 v[174:175], v[176:177], v[180:181]
	v_add_f64 v[172:173], v[172:173], v[178:179]
	v_fma_f64 v[178:179], v[3:4], v[33:34], v[182:183]
	v_fma_f64 v[180:181], v[1:2], v[33:34], -v[35:36]
	scratch_load_b128 v[33:36], off, off offset:464
	ds_load_b128 v[1:4], v41 offset:944
	s_waitcnt vmcnt(9) lgkmcnt(1)
	v_mul_f64 v[176:177], v[164:165], v[162:163]
	v_mul_f64 v[162:163], v[166:167], v[162:163]
	s_waitcnt vmcnt(8) lgkmcnt(0)
	v_mul_f64 v[182:183], v[1:2], v[39:40]
	v_mul_f64 v[39:40], v[3:4], v[39:40]
	v_add_f64 v[174:175], v[174:175], v[168:169]
	v_add_f64 v[172:173], v[172:173], v[170:171]
	ds_load_b128 v[168:171], v41 offset:960
	v_fma_f64 v[166:167], v[166:167], v[160:161], v[176:177]
	v_fma_f64 v[164:165], v[164:165], v[160:161], -v[162:163]
	scratch_load_b128 v[160:163], off, off offset:480
	v_add_f64 v[174:175], v[174:175], v[180:181]
	v_add_f64 v[172:173], v[172:173], v[178:179]
	v_fma_f64 v[178:179], v[3:4], v[37:38], v[182:183]
	;; [unrolled: 18-line block ×5, first 2 shown]
	v_fma_f64 v[180:181], v[1:2], v[25:26], -v[27:28]
	scratch_load_b128 v[25:28], off, off offset:592
	ds_load_b128 v[1:4], v41 offset:1072
	s_waitcnt vmcnt(9) lgkmcnt(1)
	v_mul_f64 v[176:177], v[164:165], v[31:32]
	v_mul_f64 v[31:32], v[166:167], v[31:32]
	s_waitcnt vmcnt(8) lgkmcnt(0)
	v_mul_f64 v[182:183], v[1:2], v[35:36]
	v_mul_f64 v[35:36], v[3:4], v[35:36]
	v_add_f64 v[174:175], v[174:175], v[168:169]
	v_add_f64 v[172:173], v[172:173], v[170:171]
	ds_load_b128 v[168:171], v41 offset:1088
	v_fma_f64 v[166:167], v[166:167], v[29:30], v[176:177]
	v_fma_f64 v[29:30], v[164:165], v[29:30], -v[31:32]
	v_add_f64 v[31:32], v[174:175], v[180:181]
	v_add_f64 v[164:165], v[172:173], v[178:179]
	s_waitcnt vmcnt(7) lgkmcnt(0)
	v_mul_f64 v[172:173], v[168:169], v[162:163]
	v_mul_f64 v[162:163], v[170:171], v[162:163]
	v_fma_f64 v[174:175], v[3:4], v[33:34], v[182:183]
	v_fma_f64 v[33:34], v[1:2], v[33:34], -v[35:36]
	v_add_f64 v[35:36], v[31:32], v[29:30]
	v_add_f64 v[164:165], v[164:165], v[166:167]
	ds_load_b128 v[1:4], v41 offset:1104
	ds_load_b128 v[29:32], v41 offset:1120
	v_fma_f64 v[170:171], v[170:171], v[160:161], v[172:173]
	v_fma_f64 v[160:161], v[168:169], v[160:161], -v[162:163]
	s_waitcnt vmcnt(6) lgkmcnt(1)
	v_mul_f64 v[166:167], v[1:2], v[39:40]
	v_mul_f64 v[39:40], v[3:4], v[39:40]
	s_waitcnt vmcnt(5) lgkmcnt(0)
	v_mul_f64 v[162:163], v[29:30], v[7:8]
	v_mul_f64 v[7:8], v[31:32], v[7:8]
	v_add_f64 v[33:34], v[35:36], v[33:34]
	v_add_f64 v[35:36], v[164:165], v[174:175]
	v_fma_f64 v[164:165], v[3:4], v[37:38], v[166:167]
	v_fma_f64 v[37:38], v[1:2], v[37:38], -v[39:40]
	v_fma_f64 v[31:32], v[31:32], v[5:6], v[162:163]
	v_fma_f64 v[5:6], v[29:30], v[5:6], -v[7:8]
	v_add_f64 v[39:40], v[33:34], v[160:161]
	v_add_f64 v[160:161], v[35:36], v[170:171]
	ds_load_b128 v[1:4], v41 offset:1136
	ds_load_b128 v[33:36], v41 offset:1152
	s_waitcnt vmcnt(4) lgkmcnt(1)
	v_mul_f64 v[166:167], v[1:2], v[11:12]
	v_mul_f64 v[11:12], v[3:4], v[11:12]
	v_add_f64 v[7:8], v[39:40], v[37:38]
	v_add_f64 v[29:30], v[160:161], v[164:165]
	s_waitcnt vmcnt(3) lgkmcnt(0)
	v_mul_f64 v[37:38], v[33:34], v[15:16]
	v_mul_f64 v[15:16], v[35:36], v[15:16]
	v_fma_f64 v[39:40], v[3:4], v[9:10], v[166:167]
	v_fma_f64 v[9:10], v[1:2], v[9:10], -v[11:12]
	v_add_f64 v[11:12], v[7:8], v[5:6]
	v_add_f64 v[29:30], v[29:30], v[31:32]
	ds_load_b128 v[1:4], v41 offset:1168
	ds_load_b128 v[5:8], v41 offset:1184
	v_fma_f64 v[35:36], v[35:36], v[13:14], v[37:38]
	v_fma_f64 v[13:14], v[33:34], v[13:14], -v[15:16]
	s_waitcnt vmcnt(2) lgkmcnt(1)
	v_mul_f64 v[31:32], v[1:2], v[19:20]
	v_mul_f64 v[19:20], v[3:4], v[19:20]
	s_waitcnt vmcnt(1) lgkmcnt(0)
	v_mul_f64 v[15:16], v[5:6], v[23:24]
	v_mul_f64 v[23:24], v[7:8], v[23:24]
	v_add_f64 v[9:10], v[11:12], v[9:10]
	v_add_f64 v[11:12], v[29:30], v[39:40]
	v_fma_f64 v[29:30], v[3:4], v[17:18], v[31:32]
	v_fma_f64 v[17:18], v[1:2], v[17:18], -v[19:20]
	ds_load_b128 v[1:4], v41 offset:1200
	v_fma_f64 v[7:8], v[7:8], v[21:22], v[15:16]
	v_fma_f64 v[5:6], v[5:6], v[21:22], -v[23:24]
	v_add_f64 v[9:10], v[9:10], v[13:14]
	v_add_f64 v[11:12], v[11:12], v[35:36]
	s_waitcnt vmcnt(0) lgkmcnt(0)
	v_mul_f64 v[13:14], v[1:2], v[27:28]
	v_mul_f64 v[19:20], v[3:4], v[27:28]
	s_delay_alu instid0(VALU_DEP_4) | instskip(NEXT) | instid1(VALU_DEP_4)
	v_add_f64 v[9:10], v[9:10], v[17:18]
	v_add_f64 v[11:12], v[11:12], v[29:30]
	s_delay_alu instid0(VALU_DEP_4) | instskip(NEXT) | instid1(VALU_DEP_4)
	v_fma_f64 v[3:4], v[3:4], v[25:26], v[13:14]
	v_fma_f64 v[1:2], v[1:2], v[25:26], -v[19:20]
	s_delay_alu instid0(VALU_DEP_4) | instskip(NEXT) | instid1(VALU_DEP_4)
	v_add_f64 v[5:6], v[9:10], v[5:6]
	v_add_f64 v[7:8], v[11:12], v[7:8]
	s_delay_alu instid0(VALU_DEP_2) | instskip(NEXT) | instid1(VALU_DEP_2)
	v_add_f64 v[1:2], v[5:6], v[1:2]
	v_add_f64 v[3:4], v[7:8], v[3:4]
	s_delay_alu instid0(VALU_DEP_2) | instskip(NEXT) | instid1(VALU_DEP_2)
	v_add_f64 v[1:2], v[42:43], -v[1:2]
	v_add_f64 v[3:4], v[44:45], -v[3:4]
	scratch_store_b128 off, v[1:4], off
	s_cbranch_vccz .LBB101_317
; %bb.242:
	v_dual_mov_b32 v1, s8 :: v_dual_mov_b32 v2, s9
	s_load_b64 s[0:1], s[0:1], 0x4
	flat_load_b32 v1, v[1:2] offset:144
	v_bfe_u32 v2, v0, 10, 10
	v_bfe_u32 v0, v0, 20, 10
	s_waitcnt lgkmcnt(0)
	s_lshr_b32 s0, s0, 16
	s_delay_alu instid0(VALU_DEP_2) | instskip(SKIP_1) | instid1(SALU_CYCLE_1)
	v_mul_u32_u24_e32 v2, s1, v2
	s_mul_i32 s0, s0, s1
	v_mul_u32_u24_e32 v3, s0, v122
	s_mov_b32 s0, exec_lo
	s_delay_alu instid0(VALU_DEP_1) | instskip(NEXT) | instid1(VALU_DEP_1)
	v_add3_u32 v0, v3, v2, v0
	v_lshl_add_u32 v0, v0, 4, 0x4c8
	s_waitcnt vmcnt(0)
	v_cmpx_ne_u32_e32 37, v1
	s_cbranch_execz .LBB101_244
; %bb.243:
	v_lshl_add_u32 v9, v1, 4, 0
	s_clause 0x1
	scratch_load_b128 v[1:4], v135, off
	scratch_load_b128 v[5:8], v9, off offset:-16
	s_waitcnt vmcnt(1)
	ds_store_2addr_b64 v0, v[1:2], v[3:4] offset1:1
	s_waitcnt vmcnt(0)
	s_clause 0x1
	scratch_store_b128 v135, v[5:8], off
	scratch_store_b128 v9, v[1:4], off offset:-16
.LBB101_244:
	s_or_b32 exec_lo, exec_lo, s0
	v_dual_mov_b32 v1, s8 :: v_dual_mov_b32 v2, s9
	s_mov_b32 s0, exec_lo
	flat_load_b32 v1, v[1:2] offset:140
	s_waitcnt vmcnt(0) lgkmcnt(0)
	v_cmpx_ne_u32_e32 36, v1
	s_cbranch_execz .LBB101_246
; %bb.245:
	v_lshl_add_u32 v9, v1, 4, 0
	s_clause 0x1
	scratch_load_b128 v[1:4], v138, off
	scratch_load_b128 v[5:8], v9, off offset:-16
	s_waitcnt vmcnt(1)
	ds_store_2addr_b64 v0, v[1:2], v[3:4] offset1:1
	s_waitcnt vmcnt(0)
	s_clause 0x1
	scratch_store_b128 v138, v[5:8], off
	scratch_store_b128 v9, v[1:4], off offset:-16
.LBB101_246:
	s_or_b32 exec_lo, exec_lo, s0
	v_dual_mov_b32 v1, s8 :: v_dual_mov_b32 v2, s9
	s_mov_b32 s0, exec_lo
	flat_load_b32 v1, v[1:2] offset:136
	s_waitcnt vmcnt(0) lgkmcnt(0)
	;; [unrolled: 19-line block ×35, first 2 shown]
	v_cmpx_ne_u32_e32 2, v1
	s_cbranch_execz .LBB101_314
; %bb.313:
	v_lshl_add_u32 v9, v1, 4, 0
	s_clause 0x1
	scratch_load_b128 v[1:4], v126, off
	scratch_load_b128 v[5:8], v9, off offset:-16
	s_waitcnt vmcnt(1)
	ds_store_2addr_b64 v0, v[1:2], v[3:4] offset1:1
	s_waitcnt vmcnt(0)
	s_clause 0x1
	scratch_store_b128 v126, v[5:8], off
	scratch_store_b128 v9, v[1:4], off offset:-16
.LBB101_314:
	s_or_b32 exec_lo, exec_lo, s0
	v_dual_mov_b32 v1, s8 :: v_dual_mov_b32 v2, s9
	s_mov_b32 s0, exec_lo
	flat_load_b32 v1, v[1:2]
	s_waitcnt vmcnt(0) lgkmcnt(0)
	v_cmpx_ne_u32_e32 1, v1
	s_cbranch_execz .LBB101_316
; %bb.315:
	v_lshl_add_u32 v9, v1, 4, 0
	scratch_load_b128 v[1:4], off, off
	scratch_load_b128 v[5:8], v9, off offset:-16
	s_waitcnt vmcnt(1)
	ds_store_2addr_b64 v0, v[1:2], v[3:4] offset1:1
	s_waitcnt vmcnt(0)
	scratch_store_b128 off, v[5:8], off
	scratch_store_b128 v9, v[1:4], off offset:-16
.LBB101_316:
	s_or_b32 exec_lo, exec_lo, s0
.LBB101_317:
	scratch_load_b128 v[0:3], off, off
	s_clause 0x16
	scratch_load_b128 v[4:7], v126, off
	scratch_load_b128 v[8:11], v124, off
	scratch_load_b128 v[12:15], v125, off
	scratch_load_b128 v[16:19], v123, off
	scratch_load_b128 v[20:23], v159, off
	scratch_load_b128 v[24:27], v157, off
	scratch_load_b128 v[28:31], v158, off
	scratch_load_b128 v[32:35], v156, off
	scratch_load_b128 v[36:39], v155, off
	scratch_load_b128 v[40:43], v153, off
	scratch_load_b128 v[122:125], v154, off
	scratch_load_b128 v[152:155], v152, off
	scratch_load_b128 v[156:159], v150, off
	scratch_load_b128 v[160:163], v148, off
	scratch_load_b128 v[164:167], v149, off
	scratch_load_b128 v[147:150], v147, off
	scratch_load_b128 v[168:171], v145, off
	scratch_load_b128 v[172:175], v143, off
	scratch_load_b128 v[176:179], v142, off
	scratch_load_b128 v[180:183], v141, off
	scratch_load_b128 v[184:187], v139, off
	scratch_load_b128 v[188:191], v137, off
	scratch_load_b128 v[192:195], v136, off
	s_waitcnt vmcnt(23)
	global_store_b128 v[46:47], v[0:3], off
	s_clause 0x1
	scratch_load_b128 v[0:3], v134, off
	scratch_load_b128 v[44:47], v132, off
	s_waitcnt vmcnt(24)
	global_store_b128 v[50:51], v[4:7], off
	s_clause 0x1
	scratch_load_b128 v[4:7], v131, off
	scratch_load_b128 v[196:199], v130, off
	;; [unrolled: 5-line block ×7, first 2 shown]
	s_waitcnt vmcnt(30)
	global_store_b128 v[60:61], v[28:31], off
	s_waitcnt vmcnt(29)
	global_store_b128 v[62:63], v[32:35], off
	s_waitcnt vmcnt(28)
	global_store_b128 v[64:65], v[36:39], off
	s_waitcnt vmcnt(27)
	global_store_b128 v[66:67], v[40:43], off
	s_waitcnt vmcnt(26)
	global_store_b128 v[68:69], v[122:125], off
	s_waitcnt vmcnt(25)
	global_store_b128 v[70:71], v[152:155], off
	s_waitcnt vmcnt(24)
	global_store_b128 v[72:73], v[156:159], off
	s_waitcnt vmcnt(23)
	global_store_b128 v[74:75], v[160:163], off
	s_waitcnt vmcnt(22)
	global_store_b128 v[76:77], v[164:167], off
	s_waitcnt vmcnt(21)
	global_store_b128 v[78:79], v[147:150], off
	s_waitcnt vmcnt(20)
	global_store_b128 v[80:81], v[168:171], off
	s_waitcnt vmcnt(19)
	global_store_b128 v[82:83], v[172:175], off
	s_waitcnt vmcnt(18)
	global_store_b128 v[84:85], v[176:179], off
	s_waitcnt vmcnt(17)
	global_store_b128 v[86:87], v[180:183], off
	s_waitcnt vmcnt(16)
	global_store_b128 v[88:89], v[184:187], off
	s_waitcnt vmcnt(15)
	global_store_b128 v[90:91], v[188:191], off
	s_waitcnt vmcnt(14)
	global_store_b128 v[92:93], v[192:195], off
	s_waitcnt vmcnt(13)
	global_store_b128 v[94:95], v[0:3], off
	s_waitcnt vmcnt(12)
	global_store_b128 v[98:99], v[44:47], off
	s_waitcnt vmcnt(11)
	global_store_b128 v[100:101], v[4:7], off
	s_waitcnt vmcnt(10)
	global_store_b128 v[102:103], v[196:199], off
	s_waitcnt vmcnt(9)
	global_store_b128 v[104:105], v[8:11], off
	s_waitcnt vmcnt(8)
	global_store_b128 v[106:107], v[48:51], off
	s_waitcnt vmcnt(7)
	global_store_b128 v[108:109], v[12:15], off
	s_waitcnt vmcnt(6)
	global_store_b128 v[110:111], v[126:129], off
	s_waitcnt vmcnt(5)
	global_store_b128 v[112:113], v[16:19], off
	s_waitcnt vmcnt(4)
	global_store_b128 v[114:115], v[52:55], off
	s_waitcnt vmcnt(3)
	global_store_b128 v[116:117], v[20:23], off
	s_waitcnt vmcnt(2)
	global_store_b128 v[118:119], v[136:139], off
	s_waitcnt vmcnt(1)
	global_store_b128 v[120:121], v[24:27], off
	s_waitcnt vmcnt(0)
	global_store_b128 v[96:97], v[56:59], off
	s_endpgm
	.section	.rodata,"a",@progbits
	.p2align	6, 0x0
	.amdhsa_kernel _ZN9rocsolver6v33100L18getri_kernel_smallILi38E19rocblas_complex_numIdEPKPS3_EEvT1_iilPiilS8_bb
		.amdhsa_group_segment_fixed_size 2248
		.amdhsa_private_segment_fixed_size 624
		.amdhsa_kernarg_size 60
		.amdhsa_user_sgpr_count 15
		.amdhsa_user_sgpr_dispatch_ptr 1
		.amdhsa_user_sgpr_queue_ptr 0
		.amdhsa_user_sgpr_kernarg_segment_ptr 1
		.amdhsa_user_sgpr_dispatch_id 0
		.amdhsa_user_sgpr_private_segment_size 0
		.amdhsa_wavefront_size32 1
		.amdhsa_uses_dynamic_stack 0
		.amdhsa_enable_private_segment 1
		.amdhsa_system_sgpr_workgroup_id_x 1
		.amdhsa_system_sgpr_workgroup_id_y 0
		.amdhsa_system_sgpr_workgroup_id_z 0
		.amdhsa_system_sgpr_workgroup_info 0
		.amdhsa_system_vgpr_workitem_id 2
		.amdhsa_next_free_vgpr 208
		.amdhsa_next_free_sgpr 44
		.amdhsa_reserve_vcc 1
		.amdhsa_float_round_mode_32 0
		.amdhsa_float_round_mode_16_64 0
		.amdhsa_float_denorm_mode_32 3
		.amdhsa_float_denorm_mode_16_64 3
		.amdhsa_dx10_clamp 1
		.amdhsa_ieee_mode 1
		.amdhsa_fp16_overflow 0
		.amdhsa_workgroup_processor_mode 1
		.amdhsa_memory_ordered 1
		.amdhsa_forward_progress 0
		.amdhsa_shared_vgpr_count 0
		.amdhsa_exception_fp_ieee_invalid_op 0
		.amdhsa_exception_fp_denorm_src 0
		.amdhsa_exception_fp_ieee_div_zero 0
		.amdhsa_exception_fp_ieee_overflow 0
		.amdhsa_exception_fp_ieee_underflow 0
		.amdhsa_exception_fp_ieee_inexact 0
		.amdhsa_exception_int_div_zero 0
	.end_amdhsa_kernel
	.section	.text._ZN9rocsolver6v33100L18getri_kernel_smallILi38E19rocblas_complex_numIdEPKPS3_EEvT1_iilPiilS8_bb,"axG",@progbits,_ZN9rocsolver6v33100L18getri_kernel_smallILi38E19rocblas_complex_numIdEPKPS3_EEvT1_iilPiilS8_bb,comdat
.Lfunc_end101:
	.size	_ZN9rocsolver6v33100L18getri_kernel_smallILi38E19rocblas_complex_numIdEPKPS3_EEvT1_iilPiilS8_bb, .Lfunc_end101-_ZN9rocsolver6v33100L18getri_kernel_smallILi38E19rocblas_complex_numIdEPKPS3_EEvT1_iilPiilS8_bb
                                        ; -- End function
	.section	.AMDGPU.csdata,"",@progbits
; Kernel info:
; codeLenInByte = 71544
; NumSgprs: 46
; NumVgprs: 208
; ScratchSize: 624
; MemoryBound: 0
; FloatMode: 240
; IeeeMode: 1
; LDSByteSize: 2248 bytes/workgroup (compile time only)
; SGPRBlocks: 5
; VGPRBlocks: 25
; NumSGPRsForWavesPerEU: 46
; NumVGPRsForWavesPerEU: 208
; Occupancy: 7
; WaveLimiterHint : 1
; COMPUTE_PGM_RSRC2:SCRATCH_EN: 1
; COMPUTE_PGM_RSRC2:USER_SGPR: 15
; COMPUTE_PGM_RSRC2:TRAP_HANDLER: 0
; COMPUTE_PGM_RSRC2:TGID_X_EN: 1
; COMPUTE_PGM_RSRC2:TGID_Y_EN: 0
; COMPUTE_PGM_RSRC2:TGID_Z_EN: 0
; COMPUTE_PGM_RSRC2:TIDIG_COMP_CNT: 2
	.section	.text._ZN9rocsolver6v33100L18getri_kernel_smallILi39E19rocblas_complex_numIdEPKPS3_EEvT1_iilPiilS8_bb,"axG",@progbits,_ZN9rocsolver6v33100L18getri_kernel_smallILi39E19rocblas_complex_numIdEPKPS3_EEvT1_iilPiilS8_bb,comdat
	.globl	_ZN9rocsolver6v33100L18getri_kernel_smallILi39E19rocblas_complex_numIdEPKPS3_EEvT1_iilPiilS8_bb ; -- Begin function _ZN9rocsolver6v33100L18getri_kernel_smallILi39E19rocblas_complex_numIdEPKPS3_EEvT1_iilPiilS8_bb
	.p2align	8
	.type	_ZN9rocsolver6v33100L18getri_kernel_smallILi39E19rocblas_complex_numIdEPKPS3_EEvT1_iilPiilS8_bb,@function
_ZN9rocsolver6v33100L18getri_kernel_smallILi39E19rocblas_complex_numIdEPKPS3_EEvT1_iilPiilS8_bb: ; @_ZN9rocsolver6v33100L18getri_kernel_smallILi39E19rocblas_complex_numIdEPKPS3_EEvT1_iilPiilS8_bb
; %bb.0:
	v_and_b32_e32 v124, 0x3ff, v0
	s_mov_b32 s4, exec_lo
	s_delay_alu instid0(VALU_DEP_1)
	v_cmpx_gt_u32_e32 39, v124
	s_cbranch_execz .LBB102_170
; %bb.1:
	s_mov_b32 s10, s15
	s_clause 0x2
	s_load_b32 s15, s[2:3], 0x38
	s_load_b64 s[8:9], s[2:3], 0x0
	s_load_b128 s[4:7], s[2:3], 0x28
	s_waitcnt lgkmcnt(0)
	s_bitcmp1_b32 s15, 8
	s_cselect_b32 s14, -1, 0
	s_ashr_i32 s11, s10, 31
	s_delay_alu instid0(SALU_CYCLE_1) | instskip(NEXT) | instid1(SALU_CYCLE_1)
	s_lshl_b64 s[12:13], s[10:11], 3
	s_add_u32 s8, s8, s12
	s_addc_u32 s9, s9, s13
	s_load_b64 s[12:13], s[8:9], 0x0
	s_bfe_u32 s8, s15, 0x10008
	s_delay_alu instid0(SALU_CYCLE_1)
	s_cmp_eq_u32 s8, 0
                                        ; implicit-def: $sgpr8_sgpr9
	s_cbranch_scc1 .LBB102_3
; %bb.2:
	s_clause 0x1
	s_load_b32 s8, s[2:3], 0x20
	s_load_b64 s[16:17], s[2:3], 0x18
	s_mul_i32 s5, s10, s5
	s_mul_hi_u32 s9, s10, s4
	s_mul_i32 s18, s11, s4
	s_add_i32 s5, s9, s5
	s_mul_i32 s4, s10, s4
	s_add_i32 s5, s5, s18
	s_delay_alu instid0(SALU_CYCLE_1)
	s_lshl_b64 s[4:5], s[4:5], 2
	s_waitcnt lgkmcnt(0)
	s_ashr_i32 s9, s8, 31
	s_add_u32 s16, s16, s4
	s_addc_u32 s17, s17, s5
	s_lshl_b64 s[4:5], s[8:9], 2
	s_delay_alu instid0(SALU_CYCLE_1)
	s_add_u32 s8, s16, s4
	s_addc_u32 s9, s17, s5
.LBB102_3:
	s_load_b64 s[2:3], s[2:3], 0x8
	v_lshlrev_b32_e32 v13, 4, v124
	s_movk_i32 s18, 0xc0
	s_movk_i32 s19, 0xd0
	;; [unrolled: 1-line block ×18, first 2 shown]
	s_waitcnt lgkmcnt(0)
	v_add3_u32 v5, s3, s3, v124
	s_ashr_i32 s5, s2, 31
	s_mov_b32 s4, s2
	s_mov_b32 s16, s3
	s_lshl_b64 s[4:5], s[4:5], 4
	v_add_nc_u32_e32 v7, s3, v5
	v_ashrrev_i32_e32 v6, 31, v5
	s_add_u32 s4, s12, s4
	s_addc_u32 s5, s13, s5
	v_add_co_u32 v46, s2, s4, v13
	v_add_nc_u32_e32 v9, s3, v7
	s_ashr_i32 s17, s3, 31
	v_add_co_ci_u32_e64 v47, null, s5, 0, s2
	v_lshlrev_b64 v[5:6], 4, v[5:6]
	v_ashrrev_i32_e32 v8, 31, v7
	s_lshl_b64 s[12:13], s[16:17], 4
	v_ashrrev_i32_e32 v10, 31, v9
	v_add_co_u32 v48, vcc_lo, v46, s12
	v_add_nc_u32_e32 v11, s3, v9
	v_add_co_ci_u32_e32 v49, vcc_lo, s13, v47, vcc_lo
	v_lshlrev_b64 v[7:8], 4, v[7:8]
	v_add_co_u32 v50, vcc_lo, s4, v5
	v_add_co_ci_u32_e32 v51, vcc_lo, s5, v6, vcc_lo
	v_lshlrev_b64 v[5:6], 4, v[9:10]
	v_ashrrev_i32_e32 v12, 31, v11
	v_add_nc_u32_e32 v9, s3, v11
	v_add_co_u32 v52, vcc_lo, s4, v7
	v_add_co_ci_u32_e32 v53, vcc_lo, s5, v8, vcc_lo
	s_delay_alu instid0(VALU_DEP_4) | instskip(NEXT) | instid1(VALU_DEP_4)
	v_lshlrev_b64 v[7:8], 4, v[11:12]
	v_ashrrev_i32_e32 v10, 31, v9
	v_add_nc_u32_e32 v11, s3, v9
	v_add_co_u32 v54, vcc_lo, s4, v5
	v_add_co_ci_u32_e32 v55, vcc_lo, s5, v6, vcc_lo
	s_delay_alu instid0(VALU_DEP_4) | instskip(NEXT) | instid1(VALU_DEP_4)
	;; [unrolled: 6-line block ×3, first 2 shown]
	v_lshlrev_b64 v[7:8], 4, v[11:12]
	v_add_nc_u32_e32 v11, s3, v9
	v_ashrrev_i32_e32 v10, 31, v9
	v_add_co_u32 v58, vcc_lo, s4, v5
	v_add_co_ci_u32_e32 v59, vcc_lo, s5, v6, vcc_lo
	s_delay_alu instid0(VALU_DEP_4) | instskip(SKIP_3) | instid1(VALU_DEP_4)
	v_add_nc_u32_e32 v20, s3, v11
	v_ashrrev_i32_e32 v12, 31, v11
	v_lshlrev_b64 v[18:19], 4, v[9:10]
	v_add_co_u32 v60, vcc_lo, s4, v7
	v_add_nc_u32_e32 v70, s3, v20
	s_delay_alu instid0(VALU_DEP_4)
	v_lshlrev_b64 v[38:39], 4, v[11:12]
	v_ashrrev_i32_e32 v21, 31, v20
	v_add_co_ci_u32_e32 v61, vcc_lo, s5, v8, vcc_lo
	v_add_co_u32 v62, vcc_lo, s4, v18
	v_ashrrev_i32_e32 v71, 31, v70
	v_add_co_ci_u32_e32 v63, vcc_lo, s5, v19, vcc_lo
	v_lshlrev_b64 v[40:41], 4, v[20:21]
	v_add_co_u32 v64, vcc_lo, s4, v38
	v_add_co_ci_u32_e32 v65, vcc_lo, s5, v39, vcc_lo
	v_lshlrev_b64 v[38:39], 4, v[70:71]
	s_delay_alu instid0(VALU_DEP_4)
	v_add_co_u32 v66, vcc_lo, s4, v40
	v_add_co_ci_u32_e32 v67, vcc_lo, s5, v41, vcc_lo
	global_load_b128 v[1:4], v13, s[4:5]
	v_add_co_u32 v68, vcc_lo, s4, v38
	s_clause 0x2
	global_load_b128 v[5:8], v[48:49], off
	global_load_b128 v[9:12], v[50:51], off
	;; [unrolled: 1-line block ×3, first 2 shown]
	v_add_co_ci_u32_e32 v69, vcc_lo, s5, v39, vcc_lo
	s_clause 0x7
	global_load_b128 v[18:21], v[54:55], off
	global_load_b128 v[22:25], v[56:57], off
	;; [unrolled: 1-line block ×8, first 2 shown]
	v_add_nc_u32_e32 v70, s3, v70
	s_movk_i32 s2, 0x50
	s_movk_i32 s12, 0x80
	;; [unrolled: 1-line block ×4, first 2 shown]
	v_add_nc_u32_e32 v72, s3, v70
	v_ashrrev_i32_e32 v71, 31, v70
	s_movk_i32 s17, 0xb0
	s_movk_i32 s37, 0x1e0
	;; [unrolled: 1-line block ×3, first 2 shown]
	v_add_nc_u32_e32 v74, s3, v72
	v_ashrrev_i32_e32 v73, 31, v72
	v_lshlrev_b64 v[70:71], 4, v[70:71]
	s_movk_i32 s39, 0x200
	s_movk_i32 s40, 0x210
	v_add_nc_u32_e32 v76, s3, v74
	v_ashrrev_i32_e32 v75, 31, v74
	v_lshlrev_b64 v[72:73], 4, v[72:73]
	v_add_co_u32 v70, vcc_lo, s4, v70
	s_delay_alu instid0(VALU_DEP_4) | instskip(SKIP_3) | instid1(VALU_DEP_4)
	v_add_nc_u32_e32 v78, s3, v76
	v_ashrrev_i32_e32 v77, 31, v76
	v_lshlrev_b64 v[74:75], 4, v[74:75]
	v_add_co_ci_u32_e32 v71, vcc_lo, s5, v71, vcc_lo
	v_add_nc_u32_e32 v80, s3, v78
	v_ashrrev_i32_e32 v79, 31, v78
	v_add_co_u32 v72, vcc_lo, s4, v72
	v_lshlrev_b64 v[76:77], 4, v[76:77]
	s_delay_alu instid0(VALU_DEP_4) | instskip(SKIP_3) | instid1(VALU_DEP_4)
	v_add_nc_u32_e32 v82, s3, v80
	v_ashrrev_i32_e32 v81, 31, v80
	v_add_co_ci_u32_e32 v73, vcc_lo, s5, v73, vcc_lo
	v_add_co_u32 v74, vcc_lo, s4, v74
	v_add_nc_u32_e32 v84, s3, v82
	v_lshlrev_b64 v[78:79], 4, v[78:79]
	v_ashrrev_i32_e32 v83, 31, v82
	v_add_co_ci_u32_e32 v75, vcc_lo, s5, v75, vcc_lo
	s_delay_alu instid0(VALU_DEP_4) | instskip(SKIP_3) | instid1(VALU_DEP_4)
	v_add_nc_u32_e32 v86, s3, v84
	v_add_co_u32 v76, vcc_lo, s4, v76
	v_lshlrev_b64 v[80:81], 4, v[80:81]
	v_ashrrev_i32_e32 v85, 31, v84
	v_add_nc_u32_e32 v88, s3, v86
	v_add_co_ci_u32_e32 v77, vcc_lo, s5, v77, vcc_lo
	v_add_co_u32 v78, vcc_lo, s4, v78
	s_delay_alu instid0(VALU_DEP_3) | instskip(SKIP_3) | instid1(VALU_DEP_4)
	v_add_nc_u32_e32 v90, s3, v88
	v_lshlrev_b64 v[82:83], 4, v[82:83]
	v_ashrrev_i32_e32 v87, 31, v86
	v_add_co_ci_u32_e32 v79, vcc_lo, s5, v79, vcc_lo
	v_add_nc_u32_e32 v92, s3, v90
	v_add_co_u32 v80, vcc_lo, s4, v80
	v_lshlrev_b64 v[84:85], 4, v[84:85]
	v_ashrrev_i32_e32 v89, 31, v88
	s_delay_alu instid0(VALU_DEP_4) | instskip(SKIP_2) | instid1(VALU_DEP_3)
	v_add_nc_u32_e32 v94, s3, v92
	v_add_co_ci_u32_e32 v81, vcc_lo, s5, v81, vcc_lo
	v_add_co_u32 v82, vcc_lo, s4, v82
	v_add_nc_u32_e32 v96, s3, v94
	v_lshlrev_b64 v[86:87], 4, v[86:87]
	v_ashrrev_i32_e32 v91, 31, v90
	v_add_co_ci_u32_e32 v83, vcc_lo, s5, v83, vcc_lo
	s_delay_alu instid0(VALU_DEP_4) | instskip(SKIP_3) | instid1(VALU_DEP_4)
	v_add_nc_u32_e32 v98, s3, v96
	v_add_co_u32 v84, vcc_lo, s4, v84
	v_lshlrev_b64 v[88:89], 4, v[88:89]
	v_ashrrev_i32_e32 v93, 31, v92
	v_add_nc_u32_e32 v100, s3, v98
	v_add_co_ci_u32_e32 v85, vcc_lo, s5, v85, vcc_lo
	v_add_co_u32 v86, vcc_lo, s4, v86
	s_delay_alu instid0(VALU_DEP_3) | instskip(SKIP_3) | instid1(VALU_DEP_4)
	v_add_nc_u32_e32 v102, s3, v100
	v_lshlrev_b64 v[90:91], 4, v[90:91]
	v_ashrrev_i32_e32 v95, 31, v94
	v_add_co_ci_u32_e32 v87, vcc_lo, s5, v87, vcc_lo
	v_add_nc_u32_e32 v104, s3, v102
	v_add_co_u32 v88, vcc_lo, s4, v88
	v_lshlrev_b64 v[92:93], 4, v[92:93]
	v_ashrrev_i32_e32 v97, 31, v96
	s_delay_alu instid0(VALU_DEP_4) | instskip(SKIP_2) | instid1(VALU_DEP_3)
	v_add_nc_u32_e32 v106, s3, v104
	v_add_co_ci_u32_e32 v89, vcc_lo, s5, v89, vcc_lo
	v_add_co_u32 v90, vcc_lo, s4, v90
	v_add_nc_u32_e32 v108, s3, v106
	v_lshlrev_b64 v[94:95], 4, v[94:95]
	v_ashrrev_i32_e32 v99, 31, v98
	v_add_co_ci_u32_e32 v91, vcc_lo, s5, v91, vcc_lo
	s_delay_alu instid0(VALU_DEP_4)
	v_add_nc_u32_e32 v110, s3, v108
	v_add_co_u32 v92, vcc_lo, s4, v92
	v_lshlrev_b64 v[96:97], 4, v[96:97]
	v_ashrrev_i32_e32 v101, 31, v100
	v_add_co_ci_u32_e32 v93, vcc_lo, s5, v93, vcc_lo
	v_add_co_u32 v94, vcc_lo, s4, v94
	v_lshlrev_b64 v[98:99], 4, v[98:99]
	v_ashrrev_i32_e32 v103, 31, v102
	v_add_nc_u32_e32 v112, s3, v110
	v_add_co_ci_u32_e32 v95, vcc_lo, s5, v95, vcc_lo
	v_add_co_u32 v96, vcc_lo, s4, v96
	v_lshlrev_b64 v[100:101], 4, v[100:101]
	v_ashrrev_i32_e32 v105, 31, v104
	v_add_co_ci_u32_e32 v97, vcc_lo, s5, v97, vcc_lo
	v_add_co_u32 v98, vcc_lo, s4, v98
	v_lshlrev_b64 v[102:103], 4, v[102:103]
	v_add_nc_u32_e32 v114, s3, v112
	v_ashrrev_i32_e32 v107, 31, v106
	v_add_co_ci_u32_e32 v99, vcc_lo, s5, v99, vcc_lo
	v_add_co_u32 v100, vcc_lo, s4, v100
	v_lshlrev_b64 v[104:105], 4, v[104:105]
	v_ashrrev_i32_e32 v109, 31, v108
	v_add_co_ci_u32_e32 v101, vcc_lo, s5, v101, vcc_lo
	v_add_nc_u32_e32 v116, s3, v114
	v_add_co_u32 v102, vcc_lo, s4, v102
	v_lshlrev_b64 v[106:107], 4, v[106:107]
	v_ashrrev_i32_e32 v111, 31, v110
	v_add_co_ci_u32_e32 v103, vcc_lo, s5, v103, vcc_lo
	v_add_co_u32 v104, vcc_lo, s4, v104
	v_lshlrev_b64 v[108:109], 4, v[108:109]
	v_ashrrev_i32_e32 v113, 31, v112
	v_add_nc_u32_e32 v118, s3, v116
	v_add_co_ci_u32_e32 v105, vcc_lo, s5, v105, vcc_lo
	v_add_co_u32 v106, vcc_lo, s4, v106
	v_lshlrev_b64 v[110:111], 4, v[110:111]
	v_ashrrev_i32_e32 v115, 31, v114
	v_add_co_ci_u32_e32 v107, vcc_lo, s5, v107, vcc_lo
	v_add_co_u32 v108, vcc_lo, s4, v108
	v_lshlrev_b64 v[112:113], 4, v[112:113]
	v_add_nc_u32_e32 v120, s3, v118
	v_ashrrev_i32_e32 v117, 31, v116
	v_add_co_ci_u32_e32 v109, vcc_lo, s5, v109, vcc_lo
	v_add_co_u32 v110, vcc_lo, s4, v110
	v_lshlrev_b64 v[114:115], 4, v[114:115]
	v_ashrrev_i32_e32 v119, 31, v118
	v_add_co_ci_u32_e32 v111, vcc_lo, s5, v111, vcc_lo
	v_add_nc_u32_e32 v122, s3, v120
	v_add_co_u32 v112, vcc_lo, s4, v112
	v_lshlrev_b64 v[116:117], 4, v[116:117]
	v_ashrrev_i32_e32 v121, 31, v120
	v_add_co_ci_u32_e32 v113, vcc_lo, s5, v113, vcc_lo
	v_add_co_u32 v114, vcc_lo, s4, v114
	v_lshlrev_b64 v[118:119], 4, v[118:119]
	v_ashrrev_i32_e32 v123, 31, v122
	v_add_co_ci_u32_e32 v115, vcc_lo, s5, v115, vcc_lo
	v_add_co_u32 v116, vcc_lo, s4, v116
	v_lshlrev_b64 v[120:121], 4, v[120:121]
	v_add_co_ci_u32_e32 v117, vcc_lo, s5, v117, vcc_lo
	v_add_co_u32 v118, vcc_lo, s4, v118
	v_lshlrev_b64 v[122:123], 4, v[122:123]
	v_add_co_ci_u32_e32 v119, vcc_lo, s5, v119, vcc_lo
	v_add_co_u32 v120, vcc_lo, s4, v120
	v_add_co_ci_u32_e32 v121, vcc_lo, s5, v121, vcc_lo
	s_delay_alu instid0(VALU_DEP_4)
	v_add_co_u32 v122, vcc_lo, s4, v122
	s_clause 0xe
	global_load_b128 v[129:132], v[70:71], off
	global_load_b128 v[133:136], v[72:73], off
	;; [unrolled: 1-line block ×15, first 2 shown]
	v_add_co_ci_u32_e32 v123, vcc_lo, s5, v123, vcc_lo
	s_movk_i32 s4, 0x60
	s_movk_i32 s5, 0x70
	;; [unrolled: 1-line block ×7, first 2 shown]
	v_add_nc_u32_e64 v162, s2, 0
	v_add_nc_u32_e64 v161, s4, 0
	;; [unrolled: 1-line block ×18, first 2 shown]
	s_mov_b32 s3, -1
	s_bitcmp0_b32 s15, 0
	s_waitcnt vmcnt(26)
	scratch_store_b128 off, v[1:4], off
	s_waitcnt vmcnt(25)
	scratch_store_b128 off, v[5:8], off offset:16
	s_clause 0x1
	global_load_b128 v[1:4], v[100:101], off
	global_load_b128 v[5:8], v[102:103], off
	s_waitcnt vmcnt(26)
	scratch_store_b128 off, v[9:12], off offset:32
	s_waitcnt vmcnt(25)
	scratch_store_b128 off, v[14:17], off offset:48
	s_clause 0x1
	global_load_b128 v[9:12], v[104:105], off
	global_load_b128 v[14:17], v[106:107], off
	s_waitcnt vmcnt(26)
	scratch_store_b128 off, v[18:21], off offset:64
	s_waitcnt vmcnt(25)
	scratch_store_b128 off, v[22:25], off offset:80
	s_clause 0x1
	global_load_b128 v[18:21], v[108:109], off
	global_load_b128 v[22:25], v[110:111], off
	s_waitcnt vmcnt(26)
	scratch_store_b128 off, v[26:29], off offset:96
	s_waitcnt vmcnt(25)
	scratch_store_b128 off, v[30:33], off offset:112
	s_clause 0x1
	global_load_b128 v[26:29], v[112:113], off
	global_load_b128 v[30:33], v[114:115], off
	s_waitcnt vmcnt(26)
	scratch_store_b128 off, v[34:37], off offset:128
	s_waitcnt vmcnt(25)
	scratch_store_b128 off, v[38:41], off offset:144
	s_clause 0x1
	global_load_b128 v[34:37], v[116:117], off
	global_load_b128 v[38:41], v[118:119], off
	s_waitcnt vmcnt(26)
	scratch_store_b128 off, v[42:45], off offset:160
	s_waitcnt vmcnt(25)
	scratch_store_b128 off, v[125:128], off offset:176
	s_clause 0x1
	global_load_b128 v[42:45], v[120:121], off
	global_load_b128 v[207:210], v[122:123], off
	v_add_nc_u32_e64 v128, 0, 16
	v_add_nc_u32_e64 v127, 0, 32
	;; [unrolled: 1-line block ×4, first 2 shown]
	s_waitcnt vmcnt(26)
	scratch_store_b128 off, v[129:132], off offset:192
	s_waitcnt vmcnt(25)
	scratch_store_b128 off, v[133:136], off offset:208
	;; [unrolled: 2-line block ×4, first 2 shown]
	v_add_nc_u32_e64 v144, s24, 0
	v_add_nc_u32_e64 v142, s25, 0
	;; [unrolled: 1-line block ×16, first 2 shown]
	s_waitcnt vmcnt(22)
	scratch_store_b128 off, v[163:166], off offset:256
	s_waitcnt vmcnt(21)
	scratch_store_b128 off, v[167:170], off offset:272
	;; [unrolled: 2-line block ×23, first 2 shown]
	s_cbranch_scc1 .LBB102_168
; %bb.4:
	v_cmp_eq_u32_e64 s2, 0, v124
	s_delay_alu instid0(VALU_DEP_1)
	s_and_saveexec_b32 s3, s2
	s_cbranch_execz .LBB102_6
; %bb.5:
	v_mov_b32_e32 v1, 0
	ds_store_b32 v1, v1 offset:1248
.LBB102_6:
	s_or_b32 exec_lo, exec_lo, s3
	s_waitcnt lgkmcnt(0)
	s_waitcnt_vscnt null, 0x0
	s_barrier
	buffer_gl0_inv
	scratch_load_b128 v[1:4], v13, off
	s_waitcnt vmcnt(0)
	v_cmp_eq_f64_e32 vcc_lo, 0, v[1:2]
	v_cmp_eq_f64_e64 s3, 0, v[3:4]
	s_delay_alu instid0(VALU_DEP_1) | instskip(NEXT) | instid1(SALU_CYCLE_1)
	s_and_b32 s3, vcc_lo, s3
	s_and_saveexec_b32 s4, s3
	s_cbranch_execz .LBB102_10
; %bb.7:
	v_mov_b32_e32 v1, 0
	s_mov_b32 s5, 0
	ds_load_b32 v2, v1 offset:1248
	s_waitcnt lgkmcnt(0)
	v_readfirstlane_b32 s3, v2
	v_add_nc_u32_e32 v2, 1, v124
	s_delay_alu instid0(VALU_DEP_2) | instskip(NEXT) | instid1(VALU_DEP_1)
	s_cmp_eq_u32 s3, 0
	v_cmp_gt_i32_e32 vcc_lo, s3, v2
	s_cselect_b32 s12, -1, 0
	s_delay_alu instid0(SALU_CYCLE_1) | instskip(NEXT) | instid1(SALU_CYCLE_1)
	s_or_b32 s12, s12, vcc_lo
	s_and_b32 exec_lo, exec_lo, s12
	s_cbranch_execz .LBB102_10
; %bb.8:
	v_mov_b32_e32 v3, s3
.LBB102_9:                              ; =>This Inner Loop Header: Depth=1
	ds_cmpstore_rtn_b32 v3, v1, v2, v3 offset:1248
	s_waitcnt lgkmcnt(0)
	v_cmp_ne_u32_e32 vcc_lo, 0, v3
	v_cmp_le_i32_e64 s3, v3, v2
	s_delay_alu instid0(VALU_DEP_1) | instskip(NEXT) | instid1(SALU_CYCLE_1)
	s_and_b32 s3, vcc_lo, s3
	s_and_b32 s3, exec_lo, s3
	s_delay_alu instid0(SALU_CYCLE_1) | instskip(NEXT) | instid1(SALU_CYCLE_1)
	s_or_b32 s5, s3, s5
	s_and_not1_b32 exec_lo, exec_lo, s5
	s_cbranch_execnz .LBB102_9
.LBB102_10:
	s_or_b32 exec_lo, exec_lo, s4
	v_mov_b32_e32 v1, 0
	s_barrier
	buffer_gl0_inv
	ds_load_b32 v2, v1 offset:1248
	s_and_saveexec_b32 s3, s2
	s_cbranch_execz .LBB102_12
; %bb.11:
	s_lshl_b64 s[4:5], s[10:11], 2
	s_delay_alu instid0(SALU_CYCLE_1)
	s_add_u32 s4, s6, s4
	s_addc_u32 s5, s7, s5
	s_waitcnt lgkmcnt(0)
	global_store_b32 v1, v2, s[4:5]
.LBB102_12:
	s_or_b32 exec_lo, exec_lo, s3
	s_waitcnt lgkmcnt(0)
	v_cmp_ne_u32_e32 vcc_lo, 0, v2
	s_mov_b32 s3, 0
	s_cbranch_vccnz .LBB102_168
; %bb.13:
	v_add_nc_u32_e32 v14, 0, v13
                                        ; implicit-def: $vgpr9_vgpr10
	scratch_load_b128 v[1:4], v14, off
	s_waitcnt vmcnt(0)
	v_mov_b32_e32 v5, v1
	v_cmp_gt_f64_e32 vcc_lo, 0, v[1:2]
	v_xor_b32_e32 v6, 0x80000000, v2
	v_xor_b32_e32 v7, 0x80000000, v4
	s_delay_alu instid0(VALU_DEP_2) | instskip(SKIP_1) | instid1(VALU_DEP_3)
	v_cndmask_b32_e32 v6, v2, v6, vcc_lo
	v_cmp_gt_f64_e32 vcc_lo, 0, v[3:4]
	v_dual_cndmask_b32 v8, v4, v7 :: v_dual_mov_b32 v7, v3
	s_delay_alu instid0(VALU_DEP_1) | instskip(SKIP_1) | instid1(SALU_CYCLE_1)
	v_cmp_ngt_f64_e32 vcc_lo, v[5:6], v[7:8]
                                        ; implicit-def: $vgpr5_vgpr6
	s_and_saveexec_b32 s3, vcc_lo
	s_xor_b32 s3, exec_lo, s3
	s_cbranch_execz .LBB102_15
; %bb.14:
	v_div_scale_f64 v[5:6], null, v[3:4], v[3:4], v[1:2]
	v_div_scale_f64 v[11:12], vcc_lo, v[1:2], v[3:4], v[1:2]
	s_delay_alu instid0(VALU_DEP_2) | instskip(SKIP_2) | instid1(VALU_DEP_1)
	v_rcp_f64_e32 v[7:8], v[5:6]
	s_waitcnt_depctr 0xfff
	v_fma_f64 v[9:10], -v[5:6], v[7:8], 1.0
	v_fma_f64 v[7:8], v[7:8], v[9:10], v[7:8]
	s_delay_alu instid0(VALU_DEP_1) | instskip(NEXT) | instid1(VALU_DEP_1)
	v_fma_f64 v[9:10], -v[5:6], v[7:8], 1.0
	v_fma_f64 v[7:8], v[7:8], v[9:10], v[7:8]
	s_delay_alu instid0(VALU_DEP_1) | instskip(NEXT) | instid1(VALU_DEP_1)
	v_mul_f64 v[9:10], v[11:12], v[7:8]
	v_fma_f64 v[5:6], -v[5:6], v[9:10], v[11:12]
	s_delay_alu instid0(VALU_DEP_1) | instskip(NEXT) | instid1(VALU_DEP_1)
	v_div_fmas_f64 v[5:6], v[5:6], v[7:8], v[9:10]
	v_div_fixup_f64 v[5:6], v[5:6], v[3:4], v[1:2]
	s_delay_alu instid0(VALU_DEP_1) | instskip(NEXT) | instid1(VALU_DEP_1)
	v_fma_f64 v[1:2], v[1:2], v[5:6], v[3:4]
	v_div_scale_f64 v[3:4], null, v[1:2], v[1:2], 1.0
	v_div_scale_f64 v[11:12], vcc_lo, 1.0, v[1:2], 1.0
	s_delay_alu instid0(VALU_DEP_2) | instskip(SKIP_2) | instid1(VALU_DEP_1)
	v_rcp_f64_e32 v[7:8], v[3:4]
	s_waitcnt_depctr 0xfff
	v_fma_f64 v[9:10], -v[3:4], v[7:8], 1.0
	v_fma_f64 v[7:8], v[7:8], v[9:10], v[7:8]
	s_delay_alu instid0(VALU_DEP_1) | instskip(NEXT) | instid1(VALU_DEP_1)
	v_fma_f64 v[9:10], -v[3:4], v[7:8], 1.0
	v_fma_f64 v[7:8], v[7:8], v[9:10], v[7:8]
	s_delay_alu instid0(VALU_DEP_1) | instskip(NEXT) | instid1(VALU_DEP_1)
	v_mul_f64 v[9:10], v[11:12], v[7:8]
	v_fma_f64 v[3:4], -v[3:4], v[9:10], v[11:12]
	s_delay_alu instid0(VALU_DEP_1) | instskip(NEXT) | instid1(VALU_DEP_1)
	v_div_fmas_f64 v[3:4], v[3:4], v[7:8], v[9:10]
	v_div_fixup_f64 v[7:8], v[3:4], v[1:2], 1.0
                                        ; implicit-def: $vgpr1_vgpr2
	s_delay_alu instid0(VALU_DEP_1) | instskip(SKIP_1) | instid1(VALU_DEP_2)
	v_mul_f64 v[5:6], v[5:6], v[7:8]
	v_xor_b32_e32 v8, 0x80000000, v8
	v_xor_b32_e32 v10, 0x80000000, v6
	s_delay_alu instid0(VALU_DEP_3)
	v_mov_b32_e32 v9, v5
.LBB102_15:
	s_and_not1_saveexec_b32 s3, s3
	s_cbranch_execz .LBB102_17
; %bb.16:
	v_div_scale_f64 v[5:6], null, v[1:2], v[1:2], v[3:4]
	v_div_scale_f64 v[11:12], vcc_lo, v[3:4], v[1:2], v[3:4]
	s_delay_alu instid0(VALU_DEP_2) | instskip(SKIP_2) | instid1(VALU_DEP_1)
	v_rcp_f64_e32 v[7:8], v[5:6]
	s_waitcnt_depctr 0xfff
	v_fma_f64 v[9:10], -v[5:6], v[7:8], 1.0
	v_fma_f64 v[7:8], v[7:8], v[9:10], v[7:8]
	s_delay_alu instid0(VALU_DEP_1) | instskip(NEXT) | instid1(VALU_DEP_1)
	v_fma_f64 v[9:10], -v[5:6], v[7:8], 1.0
	v_fma_f64 v[7:8], v[7:8], v[9:10], v[7:8]
	s_delay_alu instid0(VALU_DEP_1) | instskip(NEXT) | instid1(VALU_DEP_1)
	v_mul_f64 v[9:10], v[11:12], v[7:8]
	v_fma_f64 v[5:6], -v[5:6], v[9:10], v[11:12]
	s_delay_alu instid0(VALU_DEP_1) | instskip(NEXT) | instid1(VALU_DEP_1)
	v_div_fmas_f64 v[5:6], v[5:6], v[7:8], v[9:10]
	v_div_fixup_f64 v[7:8], v[5:6], v[1:2], v[3:4]
	s_delay_alu instid0(VALU_DEP_1) | instskip(NEXT) | instid1(VALU_DEP_1)
	v_fma_f64 v[1:2], v[3:4], v[7:8], v[1:2]
	v_div_scale_f64 v[3:4], null, v[1:2], v[1:2], 1.0
	s_delay_alu instid0(VALU_DEP_1) | instskip(SKIP_2) | instid1(VALU_DEP_1)
	v_rcp_f64_e32 v[5:6], v[3:4]
	s_waitcnt_depctr 0xfff
	v_fma_f64 v[9:10], -v[3:4], v[5:6], 1.0
	v_fma_f64 v[5:6], v[5:6], v[9:10], v[5:6]
	s_delay_alu instid0(VALU_DEP_1) | instskip(NEXT) | instid1(VALU_DEP_1)
	v_fma_f64 v[9:10], -v[3:4], v[5:6], 1.0
	v_fma_f64 v[5:6], v[5:6], v[9:10], v[5:6]
	v_div_scale_f64 v[9:10], vcc_lo, 1.0, v[1:2], 1.0
	s_delay_alu instid0(VALU_DEP_1) | instskip(NEXT) | instid1(VALU_DEP_1)
	v_mul_f64 v[11:12], v[9:10], v[5:6]
	v_fma_f64 v[3:4], -v[3:4], v[11:12], v[9:10]
	s_delay_alu instid0(VALU_DEP_1) | instskip(NEXT) | instid1(VALU_DEP_1)
	v_div_fmas_f64 v[3:4], v[3:4], v[5:6], v[11:12]
	v_div_fixup_f64 v[5:6], v[3:4], v[1:2], 1.0
	s_delay_alu instid0(VALU_DEP_1)
	v_mul_f64 v[7:8], v[7:8], -v[5:6]
	v_xor_b32_e32 v10, 0x80000000, v6
	v_mov_b32_e32 v9, v5
.LBB102_17:
	s_or_b32 exec_lo, exec_lo, s3
	scratch_store_b128 v14, v[5:8], off
	scratch_load_b128 v[1:4], v128, off
	v_xor_b32_e32 v12, 0x80000000, v8
	v_mov_b32_e32 v11, v7
	v_add_nc_u32_e32 v5, 0x270, v13
	ds_store_b128 v13, v[9:12]
	s_waitcnt vmcnt(0)
	ds_store_b128 v13, v[1:4] offset:624
	s_waitcnt lgkmcnt(0)
	s_waitcnt_vscnt null, 0x0
	s_barrier
	buffer_gl0_inv
	s_and_saveexec_b32 s3, s2
	s_cbranch_execz .LBB102_19
; %bb.18:
	scratch_load_b128 v[1:4], v14, off
	ds_load_b128 v[6:9], v5
	v_mov_b32_e32 v10, 0
	ds_load_b128 v[15:18], v10 offset:16
	s_waitcnt vmcnt(0) lgkmcnt(1)
	v_mul_f64 v[10:11], v[6:7], v[3:4]
	v_mul_f64 v[3:4], v[8:9], v[3:4]
	s_delay_alu instid0(VALU_DEP_2) | instskip(NEXT) | instid1(VALU_DEP_2)
	v_fma_f64 v[8:9], v[8:9], v[1:2], v[10:11]
	v_fma_f64 v[1:2], v[6:7], v[1:2], -v[3:4]
	s_delay_alu instid0(VALU_DEP_2) | instskip(NEXT) | instid1(VALU_DEP_2)
	v_add_f64 v[3:4], v[8:9], 0
	v_add_f64 v[1:2], v[1:2], 0
	s_waitcnt lgkmcnt(0)
	s_delay_alu instid0(VALU_DEP_2) | instskip(NEXT) | instid1(VALU_DEP_2)
	v_mul_f64 v[6:7], v[3:4], v[17:18]
	v_mul_f64 v[8:9], v[1:2], v[17:18]
	s_delay_alu instid0(VALU_DEP_2) | instskip(NEXT) | instid1(VALU_DEP_2)
	v_fma_f64 v[1:2], v[1:2], v[15:16], -v[6:7]
	v_fma_f64 v[3:4], v[3:4], v[15:16], v[8:9]
	scratch_store_b128 off, v[1:4], off offset:16
.LBB102_19:
	s_or_b32 exec_lo, exec_lo, s3
	s_waitcnt_vscnt null, 0x0
	s_barrier
	buffer_gl0_inv
	scratch_load_b128 v[1:4], v127, off
	s_mov_b32 s3, exec_lo
	s_waitcnt vmcnt(0)
	ds_store_b128 v5, v[1:4]
	s_waitcnt lgkmcnt(0)
	s_barrier
	buffer_gl0_inv
	v_cmpx_gt_u32_e32 2, v124
	s_cbranch_execz .LBB102_23
; %bb.20:
	scratch_load_b128 v[1:4], v14, off
	ds_load_b128 v[6:9], v5
	s_waitcnt vmcnt(0) lgkmcnt(0)
	v_mul_f64 v[10:11], v[8:9], v[3:4]
	v_mul_f64 v[3:4], v[6:7], v[3:4]
	s_delay_alu instid0(VALU_DEP_2) | instskip(NEXT) | instid1(VALU_DEP_2)
	v_fma_f64 v[6:7], v[6:7], v[1:2], -v[10:11]
	v_fma_f64 v[3:4], v[8:9], v[1:2], v[3:4]
	s_delay_alu instid0(VALU_DEP_2) | instskip(NEXT) | instid1(VALU_DEP_2)
	v_add_f64 v[1:2], v[6:7], 0
	v_add_f64 v[3:4], v[3:4], 0
	s_and_saveexec_b32 s4, s2
	s_cbranch_execz .LBB102_22
; %bb.21:
	scratch_load_b128 v[6:9], off, off offset:16
	v_mov_b32_e32 v10, 0
	ds_load_b128 v[15:18], v10 offset:640
	s_waitcnt vmcnt(0) lgkmcnt(0)
	v_mul_f64 v[10:11], v[15:16], v[8:9]
	v_mul_f64 v[8:9], v[17:18], v[8:9]
	s_delay_alu instid0(VALU_DEP_2) | instskip(NEXT) | instid1(VALU_DEP_2)
	v_fma_f64 v[10:11], v[17:18], v[6:7], v[10:11]
	v_fma_f64 v[6:7], v[15:16], v[6:7], -v[8:9]
	s_delay_alu instid0(VALU_DEP_2) | instskip(NEXT) | instid1(VALU_DEP_2)
	v_add_f64 v[3:4], v[3:4], v[10:11]
	v_add_f64 v[1:2], v[1:2], v[6:7]
.LBB102_22:
	s_or_b32 exec_lo, exec_lo, s4
	v_mov_b32_e32 v6, 0
	ds_load_b128 v[6:9], v6 offset:32
	s_waitcnt lgkmcnt(0)
	v_mul_f64 v[10:11], v[3:4], v[8:9]
	v_mul_f64 v[8:9], v[1:2], v[8:9]
	s_delay_alu instid0(VALU_DEP_2) | instskip(NEXT) | instid1(VALU_DEP_2)
	v_fma_f64 v[1:2], v[1:2], v[6:7], -v[10:11]
	v_fma_f64 v[3:4], v[3:4], v[6:7], v[8:9]
	scratch_store_b128 off, v[1:4], off offset:32
.LBB102_23:
	s_or_b32 exec_lo, exec_lo, s3
	s_waitcnt_vscnt null, 0x0
	s_barrier
	buffer_gl0_inv
	scratch_load_b128 v[1:4], v126, off
	v_add_nc_u32_e32 v6, -1, v124
	s_mov_b32 s2, exec_lo
	s_waitcnt vmcnt(0)
	ds_store_b128 v5, v[1:4]
	s_waitcnt lgkmcnt(0)
	s_barrier
	buffer_gl0_inv
	v_cmpx_gt_u32_e32 3, v124
	s_cbranch_execz .LBB102_27
; %bb.24:
	v_dual_mov_b32 v1, 0 :: v_dual_add_nc_u32 v8, 0x270, v13
	v_dual_mov_b32 v2, 0 :: v_dual_add_nc_u32 v7, -1, v124
	v_or_b32_e32 v9, 8, v14
	s_mov_b32 s3, 0
	s_delay_alu instid0(VALU_DEP_2)
	v_dual_mov_b32 v4, v2 :: v_dual_mov_b32 v3, v1
	.p2align	6
.LBB102_25:                             ; =>This Inner Loop Header: Depth=1
	scratch_load_b128 v[15:18], v9, off offset:-8
	ds_load_b128 v[19:22], v8
	v_add_nc_u32_e32 v7, 1, v7
	v_add_nc_u32_e32 v8, 16, v8
	;; [unrolled: 1-line block ×3, first 2 shown]
	s_delay_alu instid0(VALU_DEP_3) | instskip(SKIP_4) | instid1(VALU_DEP_2)
	v_cmp_lt_u32_e32 vcc_lo, 1, v7
	s_or_b32 s3, vcc_lo, s3
	s_waitcnt vmcnt(0) lgkmcnt(0)
	v_mul_f64 v[10:11], v[21:22], v[17:18]
	v_mul_f64 v[17:18], v[19:20], v[17:18]
	v_fma_f64 v[10:11], v[19:20], v[15:16], -v[10:11]
	s_delay_alu instid0(VALU_DEP_2) | instskip(NEXT) | instid1(VALU_DEP_2)
	v_fma_f64 v[15:16], v[21:22], v[15:16], v[17:18]
	v_add_f64 v[3:4], v[3:4], v[10:11]
	s_delay_alu instid0(VALU_DEP_2)
	v_add_f64 v[1:2], v[1:2], v[15:16]
	s_and_not1_b32 exec_lo, exec_lo, s3
	s_cbranch_execnz .LBB102_25
; %bb.26:
	s_or_b32 exec_lo, exec_lo, s3
	v_mov_b32_e32 v7, 0
	ds_load_b128 v[7:10], v7 offset:48
	s_waitcnt lgkmcnt(0)
	v_mul_f64 v[11:12], v[1:2], v[9:10]
	v_mul_f64 v[15:16], v[3:4], v[9:10]
	s_delay_alu instid0(VALU_DEP_2) | instskip(NEXT) | instid1(VALU_DEP_2)
	v_fma_f64 v[9:10], v[3:4], v[7:8], -v[11:12]
	v_fma_f64 v[11:12], v[1:2], v[7:8], v[15:16]
	scratch_store_b128 off, v[9:12], off offset:48
.LBB102_27:
	s_or_b32 exec_lo, exec_lo, s2
	s_waitcnt_vscnt null, 0x0
	s_barrier
	buffer_gl0_inv
	scratch_load_b128 v[1:4], v125, off
	s_mov_b32 s2, exec_lo
	s_waitcnt vmcnt(0)
	ds_store_b128 v5, v[1:4]
	s_waitcnt lgkmcnt(0)
	s_barrier
	buffer_gl0_inv
	v_cmpx_gt_u32_e32 4, v124
	s_cbranch_execz .LBB102_31
; %bb.28:
	v_dual_mov_b32 v1, 0 :: v_dual_add_nc_u32 v8, 0x270, v13
	v_dual_mov_b32 v2, 0 :: v_dual_add_nc_u32 v7, -1, v124
	v_or_b32_e32 v9, 8, v14
	s_mov_b32 s3, 0
	s_delay_alu instid0(VALU_DEP_2)
	v_dual_mov_b32 v4, v2 :: v_dual_mov_b32 v3, v1
	.p2align	6
.LBB102_29:                             ; =>This Inner Loop Header: Depth=1
	scratch_load_b128 v[15:18], v9, off offset:-8
	ds_load_b128 v[19:22], v8
	v_add_nc_u32_e32 v7, 1, v7
	v_add_nc_u32_e32 v8, 16, v8
	;; [unrolled: 1-line block ×3, first 2 shown]
	s_delay_alu instid0(VALU_DEP_3) | instskip(SKIP_4) | instid1(VALU_DEP_2)
	v_cmp_lt_u32_e32 vcc_lo, 2, v7
	s_or_b32 s3, vcc_lo, s3
	s_waitcnt vmcnt(0) lgkmcnt(0)
	v_mul_f64 v[10:11], v[21:22], v[17:18]
	v_mul_f64 v[17:18], v[19:20], v[17:18]
	v_fma_f64 v[10:11], v[19:20], v[15:16], -v[10:11]
	s_delay_alu instid0(VALU_DEP_2) | instskip(NEXT) | instid1(VALU_DEP_2)
	v_fma_f64 v[15:16], v[21:22], v[15:16], v[17:18]
	v_add_f64 v[3:4], v[3:4], v[10:11]
	s_delay_alu instid0(VALU_DEP_2)
	v_add_f64 v[1:2], v[1:2], v[15:16]
	s_and_not1_b32 exec_lo, exec_lo, s3
	s_cbranch_execnz .LBB102_29
; %bb.30:
	s_or_b32 exec_lo, exec_lo, s3
	v_mov_b32_e32 v7, 0
	ds_load_b128 v[7:10], v7 offset:64
	s_waitcnt lgkmcnt(0)
	v_mul_f64 v[11:12], v[1:2], v[9:10]
	v_mul_f64 v[15:16], v[3:4], v[9:10]
	s_delay_alu instid0(VALU_DEP_2) | instskip(NEXT) | instid1(VALU_DEP_2)
	v_fma_f64 v[9:10], v[3:4], v[7:8], -v[11:12]
	v_fma_f64 v[11:12], v[1:2], v[7:8], v[15:16]
	scratch_store_b128 off, v[9:12], off offset:64
.LBB102_31:
	s_or_b32 exec_lo, exec_lo, s2
	s_waitcnt_vscnt null, 0x0
	s_barrier
	buffer_gl0_inv
	scratch_load_b128 v[1:4], v162, off
	s_mov_b32 s2, exec_lo
	s_waitcnt vmcnt(0)
	ds_store_b128 v5, v[1:4]
	s_waitcnt lgkmcnt(0)
	s_barrier
	buffer_gl0_inv
	v_cmpx_gt_u32_e32 5, v124
	s_cbranch_execz .LBB102_35
; %bb.32:
	v_dual_mov_b32 v1, 0 :: v_dual_add_nc_u32 v8, 0x270, v13
	v_dual_mov_b32 v2, 0 :: v_dual_add_nc_u32 v7, -1, v124
	v_or_b32_e32 v9, 8, v14
	s_mov_b32 s3, 0
	s_delay_alu instid0(VALU_DEP_2)
	v_dual_mov_b32 v4, v2 :: v_dual_mov_b32 v3, v1
	.p2align	6
.LBB102_33:                             ; =>This Inner Loop Header: Depth=1
	scratch_load_b128 v[15:18], v9, off offset:-8
	ds_load_b128 v[19:22], v8
	v_add_nc_u32_e32 v7, 1, v7
	v_add_nc_u32_e32 v8, 16, v8
	;; [unrolled: 1-line block ×3, first 2 shown]
	s_delay_alu instid0(VALU_DEP_3) | instskip(SKIP_4) | instid1(VALU_DEP_2)
	v_cmp_lt_u32_e32 vcc_lo, 3, v7
	s_or_b32 s3, vcc_lo, s3
	s_waitcnt vmcnt(0) lgkmcnt(0)
	v_mul_f64 v[10:11], v[21:22], v[17:18]
	v_mul_f64 v[17:18], v[19:20], v[17:18]
	v_fma_f64 v[10:11], v[19:20], v[15:16], -v[10:11]
	s_delay_alu instid0(VALU_DEP_2) | instskip(NEXT) | instid1(VALU_DEP_2)
	v_fma_f64 v[15:16], v[21:22], v[15:16], v[17:18]
	v_add_f64 v[3:4], v[3:4], v[10:11]
	s_delay_alu instid0(VALU_DEP_2)
	v_add_f64 v[1:2], v[1:2], v[15:16]
	s_and_not1_b32 exec_lo, exec_lo, s3
	s_cbranch_execnz .LBB102_33
; %bb.34:
	s_or_b32 exec_lo, exec_lo, s3
	v_mov_b32_e32 v7, 0
	ds_load_b128 v[7:10], v7 offset:80
	s_waitcnt lgkmcnt(0)
	v_mul_f64 v[11:12], v[1:2], v[9:10]
	v_mul_f64 v[15:16], v[3:4], v[9:10]
	s_delay_alu instid0(VALU_DEP_2) | instskip(NEXT) | instid1(VALU_DEP_2)
	v_fma_f64 v[9:10], v[3:4], v[7:8], -v[11:12]
	v_fma_f64 v[11:12], v[1:2], v[7:8], v[15:16]
	scratch_store_b128 off, v[9:12], off offset:80
.LBB102_35:
	s_or_b32 exec_lo, exec_lo, s2
	s_waitcnt_vscnt null, 0x0
	s_barrier
	buffer_gl0_inv
	scratch_load_b128 v[1:4], v161, off
	s_mov_b32 s2, exec_lo
	s_waitcnt vmcnt(0)
	ds_store_b128 v5, v[1:4]
	s_waitcnt lgkmcnt(0)
	s_barrier
	buffer_gl0_inv
	v_cmpx_gt_u32_e32 6, v124
	s_cbranch_execz .LBB102_39
; %bb.36:
	v_dual_mov_b32 v1, 0 :: v_dual_add_nc_u32 v8, 0x270, v13
	v_dual_mov_b32 v2, 0 :: v_dual_add_nc_u32 v7, -1, v124
	v_or_b32_e32 v9, 8, v14
	s_mov_b32 s3, 0
	s_delay_alu instid0(VALU_DEP_2)
	v_dual_mov_b32 v4, v2 :: v_dual_mov_b32 v3, v1
	.p2align	6
.LBB102_37:                             ; =>This Inner Loop Header: Depth=1
	scratch_load_b128 v[15:18], v9, off offset:-8
	ds_load_b128 v[19:22], v8
	v_add_nc_u32_e32 v7, 1, v7
	v_add_nc_u32_e32 v8, 16, v8
	;; [unrolled: 1-line block ×3, first 2 shown]
	s_delay_alu instid0(VALU_DEP_3) | instskip(SKIP_4) | instid1(VALU_DEP_2)
	v_cmp_lt_u32_e32 vcc_lo, 4, v7
	s_or_b32 s3, vcc_lo, s3
	s_waitcnt vmcnt(0) lgkmcnt(0)
	v_mul_f64 v[10:11], v[21:22], v[17:18]
	v_mul_f64 v[17:18], v[19:20], v[17:18]
	v_fma_f64 v[10:11], v[19:20], v[15:16], -v[10:11]
	s_delay_alu instid0(VALU_DEP_2) | instskip(NEXT) | instid1(VALU_DEP_2)
	v_fma_f64 v[15:16], v[21:22], v[15:16], v[17:18]
	v_add_f64 v[3:4], v[3:4], v[10:11]
	s_delay_alu instid0(VALU_DEP_2)
	v_add_f64 v[1:2], v[1:2], v[15:16]
	s_and_not1_b32 exec_lo, exec_lo, s3
	s_cbranch_execnz .LBB102_37
; %bb.38:
	s_or_b32 exec_lo, exec_lo, s3
	v_mov_b32_e32 v7, 0
	ds_load_b128 v[7:10], v7 offset:96
	s_waitcnt lgkmcnt(0)
	v_mul_f64 v[11:12], v[1:2], v[9:10]
	v_mul_f64 v[15:16], v[3:4], v[9:10]
	s_delay_alu instid0(VALU_DEP_2) | instskip(NEXT) | instid1(VALU_DEP_2)
	v_fma_f64 v[9:10], v[3:4], v[7:8], -v[11:12]
	v_fma_f64 v[11:12], v[1:2], v[7:8], v[15:16]
	scratch_store_b128 off, v[9:12], off offset:96
.LBB102_39:
	s_or_b32 exec_lo, exec_lo, s2
	s_waitcnt_vscnt null, 0x0
	s_barrier
	buffer_gl0_inv
	scratch_load_b128 v[1:4], v159, off
	s_mov_b32 s2, exec_lo
	s_waitcnt vmcnt(0)
	ds_store_b128 v5, v[1:4]
	s_waitcnt lgkmcnt(0)
	s_barrier
	buffer_gl0_inv
	v_cmpx_gt_u32_e32 7, v124
	s_cbranch_execz .LBB102_43
; %bb.40:
	v_dual_mov_b32 v1, 0 :: v_dual_add_nc_u32 v8, 0x270, v13
	v_dual_mov_b32 v2, 0 :: v_dual_add_nc_u32 v7, -1, v124
	v_or_b32_e32 v9, 8, v14
	s_mov_b32 s3, 0
	s_delay_alu instid0(VALU_DEP_2)
	v_dual_mov_b32 v4, v2 :: v_dual_mov_b32 v3, v1
	.p2align	6
.LBB102_41:                             ; =>This Inner Loop Header: Depth=1
	scratch_load_b128 v[15:18], v9, off offset:-8
	ds_load_b128 v[19:22], v8
	v_add_nc_u32_e32 v7, 1, v7
	v_add_nc_u32_e32 v8, 16, v8
	;; [unrolled: 1-line block ×3, first 2 shown]
	s_delay_alu instid0(VALU_DEP_3) | instskip(SKIP_4) | instid1(VALU_DEP_2)
	v_cmp_lt_u32_e32 vcc_lo, 5, v7
	s_or_b32 s3, vcc_lo, s3
	s_waitcnt vmcnt(0) lgkmcnt(0)
	v_mul_f64 v[10:11], v[21:22], v[17:18]
	v_mul_f64 v[17:18], v[19:20], v[17:18]
	v_fma_f64 v[10:11], v[19:20], v[15:16], -v[10:11]
	s_delay_alu instid0(VALU_DEP_2) | instskip(NEXT) | instid1(VALU_DEP_2)
	v_fma_f64 v[15:16], v[21:22], v[15:16], v[17:18]
	v_add_f64 v[3:4], v[3:4], v[10:11]
	s_delay_alu instid0(VALU_DEP_2)
	v_add_f64 v[1:2], v[1:2], v[15:16]
	s_and_not1_b32 exec_lo, exec_lo, s3
	s_cbranch_execnz .LBB102_41
; %bb.42:
	s_or_b32 exec_lo, exec_lo, s3
	v_mov_b32_e32 v7, 0
	ds_load_b128 v[7:10], v7 offset:112
	s_waitcnt lgkmcnt(0)
	v_mul_f64 v[11:12], v[1:2], v[9:10]
	v_mul_f64 v[15:16], v[3:4], v[9:10]
	s_delay_alu instid0(VALU_DEP_2) | instskip(NEXT) | instid1(VALU_DEP_2)
	v_fma_f64 v[9:10], v[3:4], v[7:8], -v[11:12]
	v_fma_f64 v[11:12], v[1:2], v[7:8], v[15:16]
	scratch_store_b128 off, v[9:12], off offset:112
.LBB102_43:
	s_or_b32 exec_lo, exec_lo, s2
	s_waitcnt_vscnt null, 0x0
	s_barrier
	buffer_gl0_inv
	scratch_load_b128 v[1:4], v156, off
	s_mov_b32 s2, exec_lo
	s_waitcnt vmcnt(0)
	ds_store_b128 v5, v[1:4]
	s_waitcnt lgkmcnt(0)
	s_barrier
	buffer_gl0_inv
	v_cmpx_gt_u32_e32 8, v124
	s_cbranch_execz .LBB102_47
; %bb.44:
	v_dual_mov_b32 v1, 0 :: v_dual_add_nc_u32 v8, 0x270, v13
	v_dual_mov_b32 v2, 0 :: v_dual_add_nc_u32 v7, -1, v124
	v_or_b32_e32 v9, 8, v14
	s_mov_b32 s3, 0
	s_delay_alu instid0(VALU_DEP_2)
	v_dual_mov_b32 v4, v2 :: v_dual_mov_b32 v3, v1
	.p2align	6
.LBB102_45:                             ; =>This Inner Loop Header: Depth=1
	scratch_load_b128 v[15:18], v9, off offset:-8
	ds_load_b128 v[19:22], v8
	v_add_nc_u32_e32 v7, 1, v7
	v_add_nc_u32_e32 v8, 16, v8
	;; [unrolled: 1-line block ×3, first 2 shown]
	s_delay_alu instid0(VALU_DEP_3) | instskip(SKIP_4) | instid1(VALU_DEP_2)
	v_cmp_lt_u32_e32 vcc_lo, 6, v7
	s_or_b32 s3, vcc_lo, s3
	s_waitcnt vmcnt(0) lgkmcnt(0)
	v_mul_f64 v[10:11], v[21:22], v[17:18]
	v_mul_f64 v[17:18], v[19:20], v[17:18]
	v_fma_f64 v[10:11], v[19:20], v[15:16], -v[10:11]
	s_delay_alu instid0(VALU_DEP_2) | instskip(NEXT) | instid1(VALU_DEP_2)
	v_fma_f64 v[15:16], v[21:22], v[15:16], v[17:18]
	v_add_f64 v[3:4], v[3:4], v[10:11]
	s_delay_alu instid0(VALU_DEP_2)
	v_add_f64 v[1:2], v[1:2], v[15:16]
	s_and_not1_b32 exec_lo, exec_lo, s3
	s_cbranch_execnz .LBB102_45
; %bb.46:
	s_or_b32 exec_lo, exec_lo, s3
	v_mov_b32_e32 v7, 0
	ds_load_b128 v[7:10], v7 offset:128
	s_waitcnt lgkmcnt(0)
	v_mul_f64 v[11:12], v[1:2], v[9:10]
	v_mul_f64 v[15:16], v[3:4], v[9:10]
	s_delay_alu instid0(VALU_DEP_2) | instskip(NEXT) | instid1(VALU_DEP_2)
	v_fma_f64 v[9:10], v[3:4], v[7:8], -v[11:12]
	v_fma_f64 v[11:12], v[1:2], v[7:8], v[15:16]
	scratch_store_b128 off, v[9:12], off offset:128
.LBB102_47:
	s_or_b32 exec_lo, exec_lo, s2
	s_waitcnt_vscnt null, 0x0
	s_barrier
	buffer_gl0_inv
	scratch_load_b128 v[1:4], v158, off
	s_mov_b32 s2, exec_lo
	s_waitcnt vmcnt(0)
	ds_store_b128 v5, v[1:4]
	s_waitcnt lgkmcnt(0)
	s_barrier
	buffer_gl0_inv
	v_cmpx_gt_u32_e32 9, v124
	s_cbranch_execz .LBB102_51
; %bb.48:
	v_dual_mov_b32 v1, 0 :: v_dual_add_nc_u32 v8, 0x270, v13
	v_dual_mov_b32 v2, 0 :: v_dual_add_nc_u32 v7, -1, v124
	v_or_b32_e32 v9, 8, v14
	s_mov_b32 s3, 0
	s_delay_alu instid0(VALU_DEP_2)
	v_dual_mov_b32 v4, v2 :: v_dual_mov_b32 v3, v1
	.p2align	6
.LBB102_49:                             ; =>This Inner Loop Header: Depth=1
	scratch_load_b128 v[15:18], v9, off offset:-8
	ds_load_b128 v[19:22], v8
	v_add_nc_u32_e32 v7, 1, v7
	v_add_nc_u32_e32 v8, 16, v8
	;; [unrolled: 1-line block ×3, first 2 shown]
	s_delay_alu instid0(VALU_DEP_3) | instskip(SKIP_4) | instid1(VALU_DEP_2)
	v_cmp_lt_u32_e32 vcc_lo, 7, v7
	s_or_b32 s3, vcc_lo, s3
	s_waitcnt vmcnt(0) lgkmcnt(0)
	v_mul_f64 v[10:11], v[21:22], v[17:18]
	v_mul_f64 v[17:18], v[19:20], v[17:18]
	v_fma_f64 v[10:11], v[19:20], v[15:16], -v[10:11]
	s_delay_alu instid0(VALU_DEP_2) | instskip(NEXT) | instid1(VALU_DEP_2)
	v_fma_f64 v[15:16], v[21:22], v[15:16], v[17:18]
	v_add_f64 v[3:4], v[3:4], v[10:11]
	s_delay_alu instid0(VALU_DEP_2)
	v_add_f64 v[1:2], v[1:2], v[15:16]
	s_and_not1_b32 exec_lo, exec_lo, s3
	s_cbranch_execnz .LBB102_49
; %bb.50:
	s_or_b32 exec_lo, exec_lo, s3
	v_mov_b32_e32 v7, 0
	ds_load_b128 v[7:10], v7 offset:144
	s_waitcnt lgkmcnt(0)
	v_mul_f64 v[11:12], v[1:2], v[9:10]
	v_mul_f64 v[15:16], v[3:4], v[9:10]
	s_delay_alu instid0(VALU_DEP_2) | instskip(NEXT) | instid1(VALU_DEP_2)
	v_fma_f64 v[9:10], v[3:4], v[7:8], -v[11:12]
	v_fma_f64 v[11:12], v[1:2], v[7:8], v[15:16]
	scratch_store_b128 off, v[9:12], off offset:144
.LBB102_51:
	s_or_b32 exec_lo, exec_lo, s2
	s_waitcnt_vscnt null, 0x0
	s_barrier
	buffer_gl0_inv
	scratch_load_b128 v[1:4], v155, off
	s_mov_b32 s2, exec_lo
	s_waitcnt vmcnt(0)
	ds_store_b128 v5, v[1:4]
	s_waitcnt lgkmcnt(0)
	s_barrier
	buffer_gl0_inv
	v_cmpx_gt_u32_e32 10, v124
	s_cbranch_execz .LBB102_55
; %bb.52:
	v_dual_mov_b32 v1, 0 :: v_dual_add_nc_u32 v8, 0x270, v13
	v_dual_mov_b32 v2, 0 :: v_dual_add_nc_u32 v7, -1, v124
	v_or_b32_e32 v9, 8, v14
	s_mov_b32 s3, 0
	s_delay_alu instid0(VALU_DEP_2)
	v_dual_mov_b32 v4, v2 :: v_dual_mov_b32 v3, v1
	.p2align	6
.LBB102_53:                             ; =>This Inner Loop Header: Depth=1
	scratch_load_b128 v[15:18], v9, off offset:-8
	ds_load_b128 v[19:22], v8
	v_add_nc_u32_e32 v7, 1, v7
	v_add_nc_u32_e32 v8, 16, v8
	;; [unrolled: 1-line block ×3, first 2 shown]
	s_delay_alu instid0(VALU_DEP_3) | instskip(SKIP_4) | instid1(VALU_DEP_2)
	v_cmp_lt_u32_e32 vcc_lo, 8, v7
	s_or_b32 s3, vcc_lo, s3
	s_waitcnt vmcnt(0) lgkmcnt(0)
	v_mul_f64 v[10:11], v[21:22], v[17:18]
	v_mul_f64 v[17:18], v[19:20], v[17:18]
	v_fma_f64 v[10:11], v[19:20], v[15:16], -v[10:11]
	s_delay_alu instid0(VALU_DEP_2) | instskip(NEXT) | instid1(VALU_DEP_2)
	v_fma_f64 v[15:16], v[21:22], v[15:16], v[17:18]
	v_add_f64 v[3:4], v[3:4], v[10:11]
	s_delay_alu instid0(VALU_DEP_2)
	v_add_f64 v[1:2], v[1:2], v[15:16]
	s_and_not1_b32 exec_lo, exec_lo, s3
	s_cbranch_execnz .LBB102_53
; %bb.54:
	s_or_b32 exec_lo, exec_lo, s3
	v_mov_b32_e32 v7, 0
	ds_load_b128 v[7:10], v7 offset:160
	s_waitcnt lgkmcnt(0)
	v_mul_f64 v[11:12], v[1:2], v[9:10]
	v_mul_f64 v[15:16], v[3:4], v[9:10]
	s_delay_alu instid0(VALU_DEP_2) | instskip(NEXT) | instid1(VALU_DEP_2)
	v_fma_f64 v[9:10], v[3:4], v[7:8], -v[11:12]
	v_fma_f64 v[11:12], v[1:2], v[7:8], v[15:16]
	scratch_store_b128 off, v[9:12], off offset:160
.LBB102_55:
	s_or_b32 exec_lo, exec_lo, s2
	s_waitcnt_vscnt null, 0x0
	s_barrier
	buffer_gl0_inv
	scratch_load_b128 v[1:4], v154, off
	s_mov_b32 s2, exec_lo
	s_waitcnt vmcnt(0)
	ds_store_b128 v5, v[1:4]
	s_waitcnt lgkmcnt(0)
	s_barrier
	buffer_gl0_inv
	v_cmpx_gt_u32_e32 11, v124
	s_cbranch_execz .LBB102_59
; %bb.56:
	v_dual_mov_b32 v1, 0 :: v_dual_add_nc_u32 v8, 0x270, v13
	v_dual_mov_b32 v2, 0 :: v_dual_add_nc_u32 v7, -1, v124
	v_or_b32_e32 v9, 8, v14
	s_mov_b32 s3, 0
	s_delay_alu instid0(VALU_DEP_2)
	v_dual_mov_b32 v4, v2 :: v_dual_mov_b32 v3, v1
	.p2align	6
.LBB102_57:                             ; =>This Inner Loop Header: Depth=1
	scratch_load_b128 v[15:18], v9, off offset:-8
	ds_load_b128 v[19:22], v8
	v_add_nc_u32_e32 v7, 1, v7
	v_add_nc_u32_e32 v8, 16, v8
	;; [unrolled: 1-line block ×3, first 2 shown]
	s_delay_alu instid0(VALU_DEP_3) | instskip(SKIP_4) | instid1(VALU_DEP_2)
	v_cmp_lt_u32_e32 vcc_lo, 9, v7
	s_or_b32 s3, vcc_lo, s3
	s_waitcnt vmcnt(0) lgkmcnt(0)
	v_mul_f64 v[10:11], v[21:22], v[17:18]
	v_mul_f64 v[17:18], v[19:20], v[17:18]
	v_fma_f64 v[10:11], v[19:20], v[15:16], -v[10:11]
	s_delay_alu instid0(VALU_DEP_2) | instskip(NEXT) | instid1(VALU_DEP_2)
	v_fma_f64 v[15:16], v[21:22], v[15:16], v[17:18]
	v_add_f64 v[3:4], v[3:4], v[10:11]
	s_delay_alu instid0(VALU_DEP_2)
	v_add_f64 v[1:2], v[1:2], v[15:16]
	s_and_not1_b32 exec_lo, exec_lo, s3
	s_cbranch_execnz .LBB102_57
; %bb.58:
	s_or_b32 exec_lo, exec_lo, s3
	v_mov_b32_e32 v7, 0
	ds_load_b128 v[7:10], v7 offset:176
	s_waitcnt lgkmcnt(0)
	v_mul_f64 v[11:12], v[1:2], v[9:10]
	v_mul_f64 v[15:16], v[3:4], v[9:10]
	s_delay_alu instid0(VALU_DEP_2) | instskip(NEXT) | instid1(VALU_DEP_2)
	v_fma_f64 v[9:10], v[3:4], v[7:8], -v[11:12]
	v_fma_f64 v[11:12], v[1:2], v[7:8], v[15:16]
	scratch_store_b128 off, v[9:12], off offset:176
.LBB102_59:
	s_or_b32 exec_lo, exec_lo, s2
	s_waitcnt_vscnt null, 0x0
	s_barrier
	buffer_gl0_inv
	scratch_load_b128 v[1:4], v151, off
	s_mov_b32 s2, exec_lo
	s_waitcnt vmcnt(0)
	ds_store_b128 v5, v[1:4]
	s_waitcnt lgkmcnt(0)
	s_barrier
	buffer_gl0_inv
	v_cmpx_gt_u32_e32 12, v124
	s_cbranch_execz .LBB102_63
; %bb.60:
	v_dual_mov_b32 v1, 0 :: v_dual_add_nc_u32 v8, 0x270, v13
	v_dual_mov_b32 v2, 0 :: v_dual_add_nc_u32 v7, -1, v124
	v_or_b32_e32 v9, 8, v14
	s_mov_b32 s3, 0
	s_delay_alu instid0(VALU_DEP_2)
	v_dual_mov_b32 v4, v2 :: v_dual_mov_b32 v3, v1
	.p2align	6
.LBB102_61:                             ; =>This Inner Loop Header: Depth=1
	scratch_load_b128 v[15:18], v9, off offset:-8
	ds_load_b128 v[19:22], v8
	v_add_nc_u32_e32 v7, 1, v7
	v_add_nc_u32_e32 v8, 16, v8
	;; [unrolled: 1-line block ×3, first 2 shown]
	s_delay_alu instid0(VALU_DEP_3) | instskip(SKIP_4) | instid1(VALU_DEP_2)
	v_cmp_lt_u32_e32 vcc_lo, 10, v7
	s_or_b32 s3, vcc_lo, s3
	s_waitcnt vmcnt(0) lgkmcnt(0)
	v_mul_f64 v[10:11], v[21:22], v[17:18]
	v_mul_f64 v[17:18], v[19:20], v[17:18]
	v_fma_f64 v[10:11], v[19:20], v[15:16], -v[10:11]
	s_delay_alu instid0(VALU_DEP_2) | instskip(NEXT) | instid1(VALU_DEP_2)
	v_fma_f64 v[15:16], v[21:22], v[15:16], v[17:18]
	v_add_f64 v[3:4], v[3:4], v[10:11]
	s_delay_alu instid0(VALU_DEP_2)
	v_add_f64 v[1:2], v[1:2], v[15:16]
	s_and_not1_b32 exec_lo, exec_lo, s3
	s_cbranch_execnz .LBB102_61
; %bb.62:
	s_or_b32 exec_lo, exec_lo, s3
	v_mov_b32_e32 v7, 0
	ds_load_b128 v[7:10], v7 offset:192
	s_waitcnt lgkmcnt(0)
	v_mul_f64 v[11:12], v[1:2], v[9:10]
	v_mul_f64 v[15:16], v[3:4], v[9:10]
	s_delay_alu instid0(VALU_DEP_2) | instskip(NEXT) | instid1(VALU_DEP_2)
	v_fma_f64 v[9:10], v[3:4], v[7:8], -v[11:12]
	v_fma_f64 v[11:12], v[1:2], v[7:8], v[15:16]
	scratch_store_b128 off, v[9:12], off offset:192
.LBB102_63:
	s_or_b32 exec_lo, exec_lo, s2
	s_waitcnt_vscnt null, 0x0
	s_barrier
	buffer_gl0_inv
	scratch_load_b128 v[1:4], v153, off
	s_mov_b32 s2, exec_lo
	s_waitcnt vmcnt(0)
	ds_store_b128 v5, v[1:4]
	s_waitcnt lgkmcnt(0)
	s_barrier
	buffer_gl0_inv
	v_cmpx_gt_u32_e32 13, v124
	s_cbranch_execz .LBB102_67
; %bb.64:
	v_dual_mov_b32 v1, 0 :: v_dual_add_nc_u32 v8, 0x270, v13
	v_dual_mov_b32 v2, 0 :: v_dual_add_nc_u32 v7, -1, v124
	v_or_b32_e32 v9, 8, v14
	s_mov_b32 s3, 0
	s_delay_alu instid0(VALU_DEP_2)
	v_dual_mov_b32 v4, v2 :: v_dual_mov_b32 v3, v1
	.p2align	6
.LBB102_65:                             ; =>This Inner Loop Header: Depth=1
	scratch_load_b128 v[15:18], v9, off offset:-8
	ds_load_b128 v[19:22], v8
	v_add_nc_u32_e32 v7, 1, v7
	v_add_nc_u32_e32 v8, 16, v8
	;; [unrolled: 1-line block ×3, first 2 shown]
	s_delay_alu instid0(VALU_DEP_3) | instskip(SKIP_4) | instid1(VALU_DEP_2)
	v_cmp_lt_u32_e32 vcc_lo, 11, v7
	s_or_b32 s3, vcc_lo, s3
	s_waitcnt vmcnt(0) lgkmcnt(0)
	v_mul_f64 v[10:11], v[21:22], v[17:18]
	v_mul_f64 v[17:18], v[19:20], v[17:18]
	v_fma_f64 v[10:11], v[19:20], v[15:16], -v[10:11]
	s_delay_alu instid0(VALU_DEP_2) | instskip(NEXT) | instid1(VALU_DEP_2)
	v_fma_f64 v[15:16], v[21:22], v[15:16], v[17:18]
	v_add_f64 v[3:4], v[3:4], v[10:11]
	s_delay_alu instid0(VALU_DEP_2)
	v_add_f64 v[1:2], v[1:2], v[15:16]
	s_and_not1_b32 exec_lo, exec_lo, s3
	s_cbranch_execnz .LBB102_65
; %bb.66:
	s_or_b32 exec_lo, exec_lo, s3
	v_mov_b32_e32 v7, 0
	ds_load_b128 v[7:10], v7 offset:208
	s_waitcnt lgkmcnt(0)
	v_mul_f64 v[11:12], v[1:2], v[9:10]
	v_mul_f64 v[15:16], v[3:4], v[9:10]
	s_delay_alu instid0(VALU_DEP_2) | instskip(NEXT) | instid1(VALU_DEP_2)
	v_fma_f64 v[9:10], v[3:4], v[7:8], -v[11:12]
	v_fma_f64 v[11:12], v[1:2], v[7:8], v[15:16]
	scratch_store_b128 off, v[9:12], off offset:208
.LBB102_67:
	s_or_b32 exec_lo, exec_lo, s2
	s_waitcnt_vscnt null, 0x0
	s_barrier
	buffer_gl0_inv
	scratch_load_b128 v[1:4], v150, off
	s_mov_b32 s2, exec_lo
	s_waitcnt vmcnt(0)
	ds_store_b128 v5, v[1:4]
	s_waitcnt lgkmcnt(0)
	s_barrier
	buffer_gl0_inv
	v_cmpx_gt_u32_e32 14, v124
	s_cbranch_execz .LBB102_71
; %bb.68:
	v_dual_mov_b32 v1, 0 :: v_dual_add_nc_u32 v8, 0x270, v13
	v_dual_mov_b32 v2, 0 :: v_dual_add_nc_u32 v7, -1, v124
	v_or_b32_e32 v9, 8, v14
	s_mov_b32 s3, 0
	s_delay_alu instid0(VALU_DEP_2)
	v_dual_mov_b32 v4, v2 :: v_dual_mov_b32 v3, v1
	.p2align	6
.LBB102_69:                             ; =>This Inner Loop Header: Depth=1
	scratch_load_b128 v[15:18], v9, off offset:-8
	ds_load_b128 v[19:22], v8
	v_add_nc_u32_e32 v7, 1, v7
	v_add_nc_u32_e32 v8, 16, v8
	;; [unrolled: 1-line block ×3, first 2 shown]
	s_delay_alu instid0(VALU_DEP_3) | instskip(SKIP_4) | instid1(VALU_DEP_2)
	v_cmp_lt_u32_e32 vcc_lo, 12, v7
	s_or_b32 s3, vcc_lo, s3
	s_waitcnt vmcnt(0) lgkmcnt(0)
	v_mul_f64 v[10:11], v[21:22], v[17:18]
	v_mul_f64 v[17:18], v[19:20], v[17:18]
	v_fma_f64 v[10:11], v[19:20], v[15:16], -v[10:11]
	s_delay_alu instid0(VALU_DEP_2) | instskip(NEXT) | instid1(VALU_DEP_2)
	v_fma_f64 v[15:16], v[21:22], v[15:16], v[17:18]
	v_add_f64 v[3:4], v[3:4], v[10:11]
	s_delay_alu instid0(VALU_DEP_2)
	v_add_f64 v[1:2], v[1:2], v[15:16]
	s_and_not1_b32 exec_lo, exec_lo, s3
	s_cbranch_execnz .LBB102_69
; %bb.70:
	s_or_b32 exec_lo, exec_lo, s3
	v_mov_b32_e32 v7, 0
	ds_load_b128 v[7:10], v7 offset:224
	s_waitcnt lgkmcnt(0)
	v_mul_f64 v[11:12], v[1:2], v[9:10]
	v_mul_f64 v[15:16], v[3:4], v[9:10]
	s_delay_alu instid0(VALU_DEP_2) | instskip(NEXT) | instid1(VALU_DEP_2)
	v_fma_f64 v[9:10], v[3:4], v[7:8], -v[11:12]
	v_fma_f64 v[11:12], v[1:2], v[7:8], v[15:16]
	scratch_store_b128 off, v[9:12], off offset:224
.LBB102_71:
	s_or_b32 exec_lo, exec_lo, s2
	s_waitcnt_vscnt null, 0x0
	s_barrier
	buffer_gl0_inv
	scratch_load_b128 v[1:4], v148, off
	s_mov_b32 s2, exec_lo
	s_waitcnt vmcnt(0)
	ds_store_b128 v5, v[1:4]
	s_waitcnt lgkmcnt(0)
	s_barrier
	buffer_gl0_inv
	v_cmpx_gt_u32_e32 15, v124
	s_cbranch_execz .LBB102_75
; %bb.72:
	v_dual_mov_b32 v1, 0 :: v_dual_add_nc_u32 v8, 0x270, v13
	v_dual_mov_b32 v2, 0 :: v_dual_add_nc_u32 v7, -1, v124
	v_or_b32_e32 v9, 8, v14
	s_mov_b32 s3, 0
	s_delay_alu instid0(VALU_DEP_2)
	v_dual_mov_b32 v4, v2 :: v_dual_mov_b32 v3, v1
	.p2align	6
.LBB102_73:                             ; =>This Inner Loop Header: Depth=1
	scratch_load_b128 v[15:18], v9, off offset:-8
	ds_load_b128 v[19:22], v8
	v_add_nc_u32_e32 v7, 1, v7
	v_add_nc_u32_e32 v8, 16, v8
	;; [unrolled: 1-line block ×3, first 2 shown]
	s_delay_alu instid0(VALU_DEP_3) | instskip(SKIP_4) | instid1(VALU_DEP_2)
	v_cmp_lt_u32_e32 vcc_lo, 13, v7
	s_or_b32 s3, vcc_lo, s3
	s_waitcnt vmcnt(0) lgkmcnt(0)
	v_mul_f64 v[10:11], v[21:22], v[17:18]
	v_mul_f64 v[17:18], v[19:20], v[17:18]
	v_fma_f64 v[10:11], v[19:20], v[15:16], -v[10:11]
	s_delay_alu instid0(VALU_DEP_2) | instskip(NEXT) | instid1(VALU_DEP_2)
	v_fma_f64 v[15:16], v[21:22], v[15:16], v[17:18]
	v_add_f64 v[3:4], v[3:4], v[10:11]
	s_delay_alu instid0(VALU_DEP_2)
	v_add_f64 v[1:2], v[1:2], v[15:16]
	s_and_not1_b32 exec_lo, exec_lo, s3
	s_cbranch_execnz .LBB102_73
; %bb.74:
	s_or_b32 exec_lo, exec_lo, s3
	v_mov_b32_e32 v7, 0
	ds_load_b128 v[7:10], v7 offset:240
	s_waitcnt lgkmcnt(0)
	v_mul_f64 v[11:12], v[1:2], v[9:10]
	v_mul_f64 v[15:16], v[3:4], v[9:10]
	s_delay_alu instid0(VALU_DEP_2) | instskip(NEXT) | instid1(VALU_DEP_2)
	v_fma_f64 v[9:10], v[3:4], v[7:8], -v[11:12]
	v_fma_f64 v[11:12], v[1:2], v[7:8], v[15:16]
	scratch_store_b128 off, v[9:12], off offset:240
.LBB102_75:
	s_or_b32 exec_lo, exec_lo, s2
	s_waitcnt_vscnt null, 0x0
	s_barrier
	buffer_gl0_inv
	scratch_load_b128 v[1:4], v147, off
	s_mov_b32 s2, exec_lo
	s_waitcnt vmcnt(0)
	ds_store_b128 v5, v[1:4]
	s_waitcnt lgkmcnt(0)
	s_barrier
	buffer_gl0_inv
	v_cmpx_gt_u32_e32 16, v124
	s_cbranch_execz .LBB102_79
; %bb.76:
	v_dual_mov_b32 v1, 0 :: v_dual_add_nc_u32 v8, 0x270, v13
	v_dual_mov_b32 v2, 0 :: v_dual_add_nc_u32 v7, -1, v124
	v_or_b32_e32 v9, 8, v14
	s_mov_b32 s3, 0
	s_delay_alu instid0(VALU_DEP_2)
	v_dual_mov_b32 v4, v2 :: v_dual_mov_b32 v3, v1
	.p2align	6
.LBB102_77:                             ; =>This Inner Loop Header: Depth=1
	scratch_load_b128 v[15:18], v9, off offset:-8
	ds_load_b128 v[19:22], v8
	v_add_nc_u32_e32 v7, 1, v7
	v_add_nc_u32_e32 v8, 16, v8
	;; [unrolled: 1-line block ×3, first 2 shown]
	s_delay_alu instid0(VALU_DEP_3) | instskip(SKIP_4) | instid1(VALU_DEP_2)
	v_cmp_lt_u32_e32 vcc_lo, 14, v7
	s_or_b32 s3, vcc_lo, s3
	s_waitcnt vmcnt(0) lgkmcnt(0)
	v_mul_f64 v[10:11], v[21:22], v[17:18]
	v_mul_f64 v[17:18], v[19:20], v[17:18]
	v_fma_f64 v[10:11], v[19:20], v[15:16], -v[10:11]
	s_delay_alu instid0(VALU_DEP_2) | instskip(NEXT) | instid1(VALU_DEP_2)
	v_fma_f64 v[15:16], v[21:22], v[15:16], v[17:18]
	v_add_f64 v[3:4], v[3:4], v[10:11]
	s_delay_alu instid0(VALU_DEP_2)
	v_add_f64 v[1:2], v[1:2], v[15:16]
	s_and_not1_b32 exec_lo, exec_lo, s3
	s_cbranch_execnz .LBB102_77
; %bb.78:
	s_or_b32 exec_lo, exec_lo, s3
	v_mov_b32_e32 v7, 0
	ds_load_b128 v[7:10], v7 offset:256
	s_waitcnt lgkmcnt(0)
	v_mul_f64 v[11:12], v[1:2], v[9:10]
	v_mul_f64 v[15:16], v[3:4], v[9:10]
	s_delay_alu instid0(VALU_DEP_2) | instskip(NEXT) | instid1(VALU_DEP_2)
	v_fma_f64 v[9:10], v[3:4], v[7:8], -v[11:12]
	v_fma_f64 v[11:12], v[1:2], v[7:8], v[15:16]
	scratch_store_b128 off, v[9:12], off offset:256
.LBB102_79:
	s_or_b32 exec_lo, exec_lo, s2
	s_waitcnt_vscnt null, 0x0
	s_barrier
	buffer_gl0_inv
	scratch_load_b128 v[1:4], v146, off
	s_mov_b32 s2, exec_lo
	s_waitcnt vmcnt(0)
	ds_store_b128 v5, v[1:4]
	s_waitcnt lgkmcnt(0)
	s_barrier
	buffer_gl0_inv
	v_cmpx_gt_u32_e32 17, v124
	s_cbranch_execz .LBB102_83
; %bb.80:
	v_dual_mov_b32 v1, 0 :: v_dual_add_nc_u32 v8, 0x270, v13
	v_dual_mov_b32 v2, 0 :: v_dual_add_nc_u32 v7, -1, v124
	v_or_b32_e32 v9, 8, v14
	s_mov_b32 s3, 0
	s_delay_alu instid0(VALU_DEP_2)
	v_dual_mov_b32 v4, v2 :: v_dual_mov_b32 v3, v1
	.p2align	6
.LBB102_81:                             ; =>This Inner Loop Header: Depth=1
	scratch_load_b128 v[15:18], v9, off offset:-8
	ds_load_b128 v[19:22], v8
	v_add_nc_u32_e32 v7, 1, v7
	v_add_nc_u32_e32 v8, 16, v8
	;; [unrolled: 1-line block ×3, first 2 shown]
	s_delay_alu instid0(VALU_DEP_3) | instskip(SKIP_4) | instid1(VALU_DEP_2)
	v_cmp_lt_u32_e32 vcc_lo, 15, v7
	s_or_b32 s3, vcc_lo, s3
	s_waitcnt vmcnt(0) lgkmcnt(0)
	v_mul_f64 v[10:11], v[21:22], v[17:18]
	v_mul_f64 v[17:18], v[19:20], v[17:18]
	v_fma_f64 v[10:11], v[19:20], v[15:16], -v[10:11]
	s_delay_alu instid0(VALU_DEP_2) | instskip(NEXT) | instid1(VALU_DEP_2)
	v_fma_f64 v[15:16], v[21:22], v[15:16], v[17:18]
	v_add_f64 v[3:4], v[3:4], v[10:11]
	s_delay_alu instid0(VALU_DEP_2)
	v_add_f64 v[1:2], v[1:2], v[15:16]
	s_and_not1_b32 exec_lo, exec_lo, s3
	s_cbranch_execnz .LBB102_81
; %bb.82:
	s_or_b32 exec_lo, exec_lo, s3
	v_mov_b32_e32 v7, 0
	ds_load_b128 v[7:10], v7 offset:272
	s_waitcnt lgkmcnt(0)
	v_mul_f64 v[11:12], v[1:2], v[9:10]
	v_mul_f64 v[15:16], v[3:4], v[9:10]
	s_delay_alu instid0(VALU_DEP_2) | instskip(NEXT) | instid1(VALU_DEP_2)
	v_fma_f64 v[9:10], v[3:4], v[7:8], -v[11:12]
	v_fma_f64 v[11:12], v[1:2], v[7:8], v[15:16]
	scratch_store_b128 off, v[9:12], off offset:272
.LBB102_83:
	s_or_b32 exec_lo, exec_lo, s2
	s_waitcnt_vscnt null, 0x0
	s_barrier
	buffer_gl0_inv
	scratch_load_b128 v[1:4], v144, off
	s_mov_b32 s2, exec_lo
	s_waitcnt vmcnt(0)
	ds_store_b128 v5, v[1:4]
	s_waitcnt lgkmcnt(0)
	s_barrier
	buffer_gl0_inv
	v_cmpx_gt_u32_e32 18, v124
	s_cbranch_execz .LBB102_87
; %bb.84:
	v_dual_mov_b32 v1, 0 :: v_dual_add_nc_u32 v8, 0x270, v13
	v_dual_mov_b32 v2, 0 :: v_dual_add_nc_u32 v7, -1, v124
	v_or_b32_e32 v9, 8, v14
	s_mov_b32 s3, 0
	s_delay_alu instid0(VALU_DEP_2)
	v_dual_mov_b32 v4, v2 :: v_dual_mov_b32 v3, v1
	.p2align	6
.LBB102_85:                             ; =>This Inner Loop Header: Depth=1
	scratch_load_b128 v[15:18], v9, off offset:-8
	ds_load_b128 v[19:22], v8
	v_add_nc_u32_e32 v7, 1, v7
	v_add_nc_u32_e32 v8, 16, v8
	;; [unrolled: 1-line block ×3, first 2 shown]
	s_delay_alu instid0(VALU_DEP_3) | instskip(SKIP_4) | instid1(VALU_DEP_2)
	v_cmp_lt_u32_e32 vcc_lo, 16, v7
	s_or_b32 s3, vcc_lo, s3
	s_waitcnt vmcnt(0) lgkmcnt(0)
	v_mul_f64 v[10:11], v[21:22], v[17:18]
	v_mul_f64 v[17:18], v[19:20], v[17:18]
	v_fma_f64 v[10:11], v[19:20], v[15:16], -v[10:11]
	s_delay_alu instid0(VALU_DEP_2) | instskip(NEXT) | instid1(VALU_DEP_2)
	v_fma_f64 v[15:16], v[21:22], v[15:16], v[17:18]
	v_add_f64 v[3:4], v[3:4], v[10:11]
	s_delay_alu instid0(VALU_DEP_2)
	v_add_f64 v[1:2], v[1:2], v[15:16]
	s_and_not1_b32 exec_lo, exec_lo, s3
	s_cbranch_execnz .LBB102_85
; %bb.86:
	s_or_b32 exec_lo, exec_lo, s3
	v_mov_b32_e32 v7, 0
	ds_load_b128 v[7:10], v7 offset:288
	s_waitcnt lgkmcnt(0)
	v_mul_f64 v[11:12], v[1:2], v[9:10]
	v_mul_f64 v[15:16], v[3:4], v[9:10]
	s_delay_alu instid0(VALU_DEP_2) | instskip(NEXT) | instid1(VALU_DEP_2)
	v_fma_f64 v[9:10], v[3:4], v[7:8], -v[11:12]
	v_fma_f64 v[11:12], v[1:2], v[7:8], v[15:16]
	scratch_store_b128 off, v[9:12], off offset:288
.LBB102_87:
	s_or_b32 exec_lo, exec_lo, s2
	s_waitcnt_vscnt null, 0x0
	s_barrier
	buffer_gl0_inv
	scratch_load_b128 v[1:4], v142, off
	s_mov_b32 s2, exec_lo
	s_waitcnt vmcnt(0)
	ds_store_b128 v5, v[1:4]
	s_waitcnt lgkmcnt(0)
	s_barrier
	buffer_gl0_inv
	v_cmpx_gt_u32_e32 19, v124
	s_cbranch_execz .LBB102_91
; %bb.88:
	v_dual_mov_b32 v1, 0 :: v_dual_add_nc_u32 v8, 0x270, v13
	v_dual_mov_b32 v2, 0 :: v_dual_add_nc_u32 v7, -1, v124
	v_or_b32_e32 v9, 8, v14
	s_mov_b32 s3, 0
	s_delay_alu instid0(VALU_DEP_2)
	v_dual_mov_b32 v4, v2 :: v_dual_mov_b32 v3, v1
	.p2align	6
.LBB102_89:                             ; =>This Inner Loop Header: Depth=1
	scratch_load_b128 v[15:18], v9, off offset:-8
	ds_load_b128 v[19:22], v8
	v_add_nc_u32_e32 v7, 1, v7
	v_add_nc_u32_e32 v8, 16, v8
	;; [unrolled: 1-line block ×3, first 2 shown]
	s_delay_alu instid0(VALU_DEP_3) | instskip(SKIP_4) | instid1(VALU_DEP_2)
	v_cmp_lt_u32_e32 vcc_lo, 17, v7
	s_or_b32 s3, vcc_lo, s3
	s_waitcnt vmcnt(0) lgkmcnt(0)
	v_mul_f64 v[10:11], v[21:22], v[17:18]
	v_mul_f64 v[17:18], v[19:20], v[17:18]
	v_fma_f64 v[10:11], v[19:20], v[15:16], -v[10:11]
	s_delay_alu instid0(VALU_DEP_2) | instskip(NEXT) | instid1(VALU_DEP_2)
	v_fma_f64 v[15:16], v[21:22], v[15:16], v[17:18]
	v_add_f64 v[3:4], v[3:4], v[10:11]
	s_delay_alu instid0(VALU_DEP_2)
	v_add_f64 v[1:2], v[1:2], v[15:16]
	s_and_not1_b32 exec_lo, exec_lo, s3
	s_cbranch_execnz .LBB102_89
; %bb.90:
	s_or_b32 exec_lo, exec_lo, s3
	v_mov_b32_e32 v7, 0
	ds_load_b128 v[7:10], v7 offset:304
	s_waitcnt lgkmcnt(0)
	v_mul_f64 v[11:12], v[1:2], v[9:10]
	v_mul_f64 v[15:16], v[3:4], v[9:10]
	s_delay_alu instid0(VALU_DEP_2) | instskip(NEXT) | instid1(VALU_DEP_2)
	v_fma_f64 v[9:10], v[3:4], v[7:8], -v[11:12]
	v_fma_f64 v[11:12], v[1:2], v[7:8], v[15:16]
	scratch_store_b128 off, v[9:12], off offset:304
.LBB102_91:
	s_or_b32 exec_lo, exec_lo, s2
	s_waitcnt_vscnt null, 0x0
	s_barrier
	buffer_gl0_inv
	scratch_load_b128 v[1:4], v141, off
	s_mov_b32 s2, exec_lo
	s_waitcnt vmcnt(0)
	ds_store_b128 v5, v[1:4]
	s_waitcnt lgkmcnt(0)
	s_barrier
	buffer_gl0_inv
	v_cmpx_gt_u32_e32 20, v124
	s_cbranch_execz .LBB102_95
; %bb.92:
	v_dual_mov_b32 v1, 0 :: v_dual_add_nc_u32 v8, 0x270, v13
	v_dual_mov_b32 v2, 0 :: v_dual_add_nc_u32 v7, -1, v124
	v_or_b32_e32 v9, 8, v14
	s_mov_b32 s3, 0
	s_delay_alu instid0(VALU_DEP_2)
	v_dual_mov_b32 v4, v2 :: v_dual_mov_b32 v3, v1
	.p2align	6
.LBB102_93:                             ; =>This Inner Loop Header: Depth=1
	scratch_load_b128 v[15:18], v9, off offset:-8
	ds_load_b128 v[19:22], v8
	v_add_nc_u32_e32 v7, 1, v7
	v_add_nc_u32_e32 v8, 16, v8
	;; [unrolled: 1-line block ×3, first 2 shown]
	s_delay_alu instid0(VALU_DEP_3) | instskip(SKIP_4) | instid1(VALU_DEP_2)
	v_cmp_lt_u32_e32 vcc_lo, 18, v7
	s_or_b32 s3, vcc_lo, s3
	s_waitcnt vmcnt(0) lgkmcnt(0)
	v_mul_f64 v[10:11], v[21:22], v[17:18]
	v_mul_f64 v[17:18], v[19:20], v[17:18]
	v_fma_f64 v[10:11], v[19:20], v[15:16], -v[10:11]
	s_delay_alu instid0(VALU_DEP_2) | instskip(NEXT) | instid1(VALU_DEP_2)
	v_fma_f64 v[15:16], v[21:22], v[15:16], v[17:18]
	v_add_f64 v[3:4], v[3:4], v[10:11]
	s_delay_alu instid0(VALU_DEP_2)
	v_add_f64 v[1:2], v[1:2], v[15:16]
	s_and_not1_b32 exec_lo, exec_lo, s3
	s_cbranch_execnz .LBB102_93
; %bb.94:
	s_or_b32 exec_lo, exec_lo, s3
	v_mov_b32_e32 v7, 0
	ds_load_b128 v[7:10], v7 offset:320
	s_waitcnt lgkmcnt(0)
	v_mul_f64 v[11:12], v[1:2], v[9:10]
	v_mul_f64 v[15:16], v[3:4], v[9:10]
	s_delay_alu instid0(VALU_DEP_2) | instskip(NEXT) | instid1(VALU_DEP_2)
	v_fma_f64 v[9:10], v[3:4], v[7:8], -v[11:12]
	v_fma_f64 v[11:12], v[1:2], v[7:8], v[15:16]
	scratch_store_b128 off, v[9:12], off offset:320
.LBB102_95:
	s_or_b32 exec_lo, exec_lo, s2
	s_waitcnt_vscnt null, 0x0
	s_barrier
	buffer_gl0_inv
	scratch_load_b128 v[1:4], v140, off
	s_mov_b32 s2, exec_lo
	s_waitcnt vmcnt(0)
	ds_store_b128 v5, v[1:4]
	s_waitcnt lgkmcnt(0)
	s_barrier
	buffer_gl0_inv
	v_cmpx_gt_u32_e32 21, v124
	s_cbranch_execz .LBB102_99
; %bb.96:
	v_dual_mov_b32 v1, 0 :: v_dual_add_nc_u32 v8, 0x270, v13
	v_dual_mov_b32 v2, 0 :: v_dual_add_nc_u32 v7, -1, v124
	v_or_b32_e32 v9, 8, v14
	s_mov_b32 s3, 0
	s_delay_alu instid0(VALU_DEP_2)
	v_dual_mov_b32 v4, v2 :: v_dual_mov_b32 v3, v1
	.p2align	6
.LBB102_97:                             ; =>This Inner Loop Header: Depth=1
	scratch_load_b128 v[15:18], v9, off offset:-8
	ds_load_b128 v[19:22], v8
	v_add_nc_u32_e32 v7, 1, v7
	v_add_nc_u32_e32 v8, 16, v8
	;; [unrolled: 1-line block ×3, first 2 shown]
	s_delay_alu instid0(VALU_DEP_3) | instskip(SKIP_4) | instid1(VALU_DEP_2)
	v_cmp_lt_u32_e32 vcc_lo, 19, v7
	s_or_b32 s3, vcc_lo, s3
	s_waitcnt vmcnt(0) lgkmcnt(0)
	v_mul_f64 v[10:11], v[21:22], v[17:18]
	v_mul_f64 v[17:18], v[19:20], v[17:18]
	v_fma_f64 v[10:11], v[19:20], v[15:16], -v[10:11]
	s_delay_alu instid0(VALU_DEP_2) | instskip(NEXT) | instid1(VALU_DEP_2)
	v_fma_f64 v[15:16], v[21:22], v[15:16], v[17:18]
	v_add_f64 v[3:4], v[3:4], v[10:11]
	s_delay_alu instid0(VALU_DEP_2)
	v_add_f64 v[1:2], v[1:2], v[15:16]
	s_and_not1_b32 exec_lo, exec_lo, s3
	s_cbranch_execnz .LBB102_97
; %bb.98:
	s_or_b32 exec_lo, exec_lo, s3
	v_mov_b32_e32 v7, 0
	ds_load_b128 v[7:10], v7 offset:336
	s_waitcnt lgkmcnt(0)
	v_mul_f64 v[11:12], v[1:2], v[9:10]
	v_mul_f64 v[15:16], v[3:4], v[9:10]
	s_delay_alu instid0(VALU_DEP_2) | instskip(NEXT) | instid1(VALU_DEP_2)
	v_fma_f64 v[9:10], v[3:4], v[7:8], -v[11:12]
	v_fma_f64 v[11:12], v[1:2], v[7:8], v[15:16]
	scratch_store_b128 off, v[9:12], off offset:336
.LBB102_99:
	s_or_b32 exec_lo, exec_lo, s2
	s_waitcnt_vscnt null, 0x0
	s_barrier
	buffer_gl0_inv
	scratch_load_b128 v[1:4], v138, off
	s_mov_b32 s2, exec_lo
	s_waitcnt vmcnt(0)
	ds_store_b128 v5, v[1:4]
	s_waitcnt lgkmcnt(0)
	s_barrier
	buffer_gl0_inv
	v_cmpx_gt_u32_e32 22, v124
	s_cbranch_execz .LBB102_103
; %bb.100:
	v_dual_mov_b32 v1, 0 :: v_dual_add_nc_u32 v8, 0x270, v13
	v_dual_mov_b32 v2, 0 :: v_dual_add_nc_u32 v7, -1, v124
	v_or_b32_e32 v9, 8, v14
	s_mov_b32 s3, 0
	s_delay_alu instid0(VALU_DEP_2)
	v_dual_mov_b32 v4, v2 :: v_dual_mov_b32 v3, v1
	.p2align	6
.LBB102_101:                            ; =>This Inner Loop Header: Depth=1
	scratch_load_b128 v[15:18], v9, off offset:-8
	ds_load_b128 v[19:22], v8
	v_add_nc_u32_e32 v7, 1, v7
	v_add_nc_u32_e32 v8, 16, v8
	;; [unrolled: 1-line block ×3, first 2 shown]
	s_delay_alu instid0(VALU_DEP_3) | instskip(SKIP_4) | instid1(VALU_DEP_2)
	v_cmp_lt_u32_e32 vcc_lo, 20, v7
	s_or_b32 s3, vcc_lo, s3
	s_waitcnt vmcnt(0) lgkmcnt(0)
	v_mul_f64 v[10:11], v[21:22], v[17:18]
	v_mul_f64 v[17:18], v[19:20], v[17:18]
	v_fma_f64 v[10:11], v[19:20], v[15:16], -v[10:11]
	s_delay_alu instid0(VALU_DEP_2) | instskip(NEXT) | instid1(VALU_DEP_2)
	v_fma_f64 v[15:16], v[21:22], v[15:16], v[17:18]
	v_add_f64 v[3:4], v[3:4], v[10:11]
	s_delay_alu instid0(VALU_DEP_2)
	v_add_f64 v[1:2], v[1:2], v[15:16]
	s_and_not1_b32 exec_lo, exec_lo, s3
	s_cbranch_execnz .LBB102_101
; %bb.102:
	s_or_b32 exec_lo, exec_lo, s3
	v_mov_b32_e32 v7, 0
	ds_load_b128 v[7:10], v7 offset:352
	s_waitcnt lgkmcnt(0)
	v_mul_f64 v[11:12], v[1:2], v[9:10]
	v_mul_f64 v[15:16], v[3:4], v[9:10]
	s_delay_alu instid0(VALU_DEP_2) | instskip(NEXT) | instid1(VALU_DEP_2)
	v_fma_f64 v[9:10], v[3:4], v[7:8], -v[11:12]
	v_fma_f64 v[11:12], v[1:2], v[7:8], v[15:16]
	scratch_store_b128 off, v[9:12], off offset:352
.LBB102_103:
	s_or_b32 exec_lo, exec_lo, s2
	s_waitcnt_vscnt null, 0x0
	s_barrier
	buffer_gl0_inv
	scratch_load_b128 v[1:4], v136, off
	s_mov_b32 s2, exec_lo
	s_waitcnt vmcnt(0)
	ds_store_b128 v5, v[1:4]
	s_waitcnt lgkmcnt(0)
	s_barrier
	buffer_gl0_inv
	v_cmpx_gt_u32_e32 23, v124
	s_cbranch_execz .LBB102_107
; %bb.104:
	v_dual_mov_b32 v1, 0 :: v_dual_add_nc_u32 v8, 0x270, v13
	v_dual_mov_b32 v2, 0 :: v_dual_add_nc_u32 v7, -1, v124
	v_or_b32_e32 v9, 8, v14
	s_mov_b32 s3, 0
	s_delay_alu instid0(VALU_DEP_2)
	v_dual_mov_b32 v4, v2 :: v_dual_mov_b32 v3, v1
	.p2align	6
.LBB102_105:                            ; =>This Inner Loop Header: Depth=1
	scratch_load_b128 v[15:18], v9, off offset:-8
	ds_load_b128 v[19:22], v8
	v_add_nc_u32_e32 v7, 1, v7
	v_add_nc_u32_e32 v8, 16, v8
	v_add_nc_u32_e32 v9, 16, v9
	s_delay_alu instid0(VALU_DEP_3) | instskip(SKIP_4) | instid1(VALU_DEP_2)
	v_cmp_lt_u32_e32 vcc_lo, 21, v7
	s_or_b32 s3, vcc_lo, s3
	s_waitcnt vmcnt(0) lgkmcnt(0)
	v_mul_f64 v[10:11], v[21:22], v[17:18]
	v_mul_f64 v[17:18], v[19:20], v[17:18]
	v_fma_f64 v[10:11], v[19:20], v[15:16], -v[10:11]
	s_delay_alu instid0(VALU_DEP_2) | instskip(NEXT) | instid1(VALU_DEP_2)
	v_fma_f64 v[15:16], v[21:22], v[15:16], v[17:18]
	v_add_f64 v[3:4], v[3:4], v[10:11]
	s_delay_alu instid0(VALU_DEP_2)
	v_add_f64 v[1:2], v[1:2], v[15:16]
	s_and_not1_b32 exec_lo, exec_lo, s3
	s_cbranch_execnz .LBB102_105
; %bb.106:
	s_or_b32 exec_lo, exec_lo, s3
	v_mov_b32_e32 v7, 0
	ds_load_b128 v[7:10], v7 offset:368
	s_waitcnt lgkmcnt(0)
	v_mul_f64 v[11:12], v[1:2], v[9:10]
	v_mul_f64 v[15:16], v[3:4], v[9:10]
	s_delay_alu instid0(VALU_DEP_2) | instskip(NEXT) | instid1(VALU_DEP_2)
	v_fma_f64 v[9:10], v[3:4], v[7:8], -v[11:12]
	v_fma_f64 v[11:12], v[1:2], v[7:8], v[15:16]
	scratch_store_b128 off, v[9:12], off offset:368
.LBB102_107:
	s_or_b32 exec_lo, exec_lo, s2
	s_waitcnt_vscnt null, 0x0
	s_barrier
	buffer_gl0_inv
	scratch_load_b128 v[1:4], v134, off
	s_mov_b32 s2, exec_lo
	s_waitcnt vmcnt(0)
	ds_store_b128 v5, v[1:4]
	s_waitcnt lgkmcnt(0)
	s_barrier
	buffer_gl0_inv
	v_cmpx_gt_u32_e32 24, v124
	s_cbranch_execz .LBB102_111
; %bb.108:
	v_dual_mov_b32 v1, 0 :: v_dual_add_nc_u32 v8, 0x270, v13
	v_dual_mov_b32 v2, 0 :: v_dual_add_nc_u32 v7, -1, v124
	v_or_b32_e32 v9, 8, v14
	s_mov_b32 s3, 0
	s_delay_alu instid0(VALU_DEP_2)
	v_dual_mov_b32 v4, v2 :: v_dual_mov_b32 v3, v1
	.p2align	6
.LBB102_109:                            ; =>This Inner Loop Header: Depth=1
	scratch_load_b128 v[15:18], v9, off offset:-8
	ds_load_b128 v[19:22], v8
	v_add_nc_u32_e32 v7, 1, v7
	v_add_nc_u32_e32 v8, 16, v8
	;; [unrolled: 1-line block ×3, first 2 shown]
	s_delay_alu instid0(VALU_DEP_3) | instskip(SKIP_4) | instid1(VALU_DEP_2)
	v_cmp_lt_u32_e32 vcc_lo, 22, v7
	s_or_b32 s3, vcc_lo, s3
	s_waitcnt vmcnt(0) lgkmcnt(0)
	v_mul_f64 v[10:11], v[21:22], v[17:18]
	v_mul_f64 v[17:18], v[19:20], v[17:18]
	v_fma_f64 v[10:11], v[19:20], v[15:16], -v[10:11]
	s_delay_alu instid0(VALU_DEP_2) | instskip(NEXT) | instid1(VALU_DEP_2)
	v_fma_f64 v[15:16], v[21:22], v[15:16], v[17:18]
	v_add_f64 v[3:4], v[3:4], v[10:11]
	s_delay_alu instid0(VALU_DEP_2)
	v_add_f64 v[1:2], v[1:2], v[15:16]
	s_and_not1_b32 exec_lo, exec_lo, s3
	s_cbranch_execnz .LBB102_109
; %bb.110:
	s_or_b32 exec_lo, exec_lo, s3
	v_mov_b32_e32 v7, 0
	ds_load_b128 v[7:10], v7 offset:384
	s_waitcnt lgkmcnt(0)
	v_mul_f64 v[11:12], v[1:2], v[9:10]
	v_mul_f64 v[15:16], v[3:4], v[9:10]
	s_delay_alu instid0(VALU_DEP_2) | instskip(NEXT) | instid1(VALU_DEP_2)
	v_fma_f64 v[9:10], v[3:4], v[7:8], -v[11:12]
	v_fma_f64 v[11:12], v[1:2], v[7:8], v[15:16]
	scratch_store_b128 off, v[9:12], off offset:384
.LBB102_111:
	s_or_b32 exec_lo, exec_lo, s2
	s_waitcnt_vscnt null, 0x0
	s_barrier
	buffer_gl0_inv
	scratch_load_b128 v[1:4], v132, off
	s_mov_b32 s2, exec_lo
	s_waitcnt vmcnt(0)
	ds_store_b128 v5, v[1:4]
	s_waitcnt lgkmcnt(0)
	s_barrier
	buffer_gl0_inv
	v_cmpx_gt_u32_e32 25, v124
	s_cbranch_execz .LBB102_115
; %bb.112:
	v_dual_mov_b32 v1, 0 :: v_dual_add_nc_u32 v8, 0x270, v13
	v_dual_mov_b32 v2, 0 :: v_dual_add_nc_u32 v7, -1, v124
	v_or_b32_e32 v9, 8, v14
	s_mov_b32 s3, 0
	s_delay_alu instid0(VALU_DEP_2)
	v_dual_mov_b32 v4, v2 :: v_dual_mov_b32 v3, v1
	.p2align	6
.LBB102_113:                            ; =>This Inner Loop Header: Depth=1
	scratch_load_b128 v[15:18], v9, off offset:-8
	ds_load_b128 v[19:22], v8
	v_add_nc_u32_e32 v7, 1, v7
	v_add_nc_u32_e32 v8, 16, v8
	;; [unrolled: 1-line block ×3, first 2 shown]
	s_delay_alu instid0(VALU_DEP_3) | instskip(SKIP_4) | instid1(VALU_DEP_2)
	v_cmp_lt_u32_e32 vcc_lo, 23, v7
	s_or_b32 s3, vcc_lo, s3
	s_waitcnt vmcnt(0) lgkmcnt(0)
	v_mul_f64 v[10:11], v[21:22], v[17:18]
	v_mul_f64 v[17:18], v[19:20], v[17:18]
	v_fma_f64 v[10:11], v[19:20], v[15:16], -v[10:11]
	s_delay_alu instid0(VALU_DEP_2) | instskip(NEXT) | instid1(VALU_DEP_2)
	v_fma_f64 v[15:16], v[21:22], v[15:16], v[17:18]
	v_add_f64 v[3:4], v[3:4], v[10:11]
	s_delay_alu instid0(VALU_DEP_2)
	v_add_f64 v[1:2], v[1:2], v[15:16]
	s_and_not1_b32 exec_lo, exec_lo, s3
	s_cbranch_execnz .LBB102_113
; %bb.114:
	s_or_b32 exec_lo, exec_lo, s3
	v_mov_b32_e32 v7, 0
	ds_load_b128 v[7:10], v7 offset:400
	s_waitcnt lgkmcnt(0)
	v_mul_f64 v[11:12], v[1:2], v[9:10]
	v_mul_f64 v[15:16], v[3:4], v[9:10]
	s_delay_alu instid0(VALU_DEP_2) | instskip(NEXT) | instid1(VALU_DEP_2)
	v_fma_f64 v[9:10], v[3:4], v[7:8], -v[11:12]
	v_fma_f64 v[11:12], v[1:2], v[7:8], v[15:16]
	scratch_store_b128 off, v[9:12], off offset:400
.LBB102_115:
	s_or_b32 exec_lo, exec_lo, s2
	s_waitcnt_vscnt null, 0x0
	s_barrier
	buffer_gl0_inv
	scratch_load_b128 v[1:4], v131, off
	s_mov_b32 s2, exec_lo
	s_waitcnt vmcnt(0)
	ds_store_b128 v5, v[1:4]
	s_waitcnt lgkmcnt(0)
	s_barrier
	buffer_gl0_inv
	v_cmpx_gt_u32_e32 26, v124
	s_cbranch_execz .LBB102_119
; %bb.116:
	v_dual_mov_b32 v1, 0 :: v_dual_add_nc_u32 v8, 0x270, v13
	v_dual_mov_b32 v2, 0 :: v_dual_add_nc_u32 v7, -1, v124
	v_or_b32_e32 v9, 8, v14
	s_mov_b32 s3, 0
	s_delay_alu instid0(VALU_DEP_2)
	v_dual_mov_b32 v4, v2 :: v_dual_mov_b32 v3, v1
	.p2align	6
.LBB102_117:                            ; =>This Inner Loop Header: Depth=1
	scratch_load_b128 v[15:18], v9, off offset:-8
	ds_load_b128 v[19:22], v8
	v_add_nc_u32_e32 v7, 1, v7
	v_add_nc_u32_e32 v8, 16, v8
	;; [unrolled: 1-line block ×3, first 2 shown]
	s_delay_alu instid0(VALU_DEP_3) | instskip(SKIP_4) | instid1(VALU_DEP_2)
	v_cmp_lt_u32_e32 vcc_lo, 24, v7
	s_or_b32 s3, vcc_lo, s3
	s_waitcnt vmcnt(0) lgkmcnt(0)
	v_mul_f64 v[10:11], v[21:22], v[17:18]
	v_mul_f64 v[17:18], v[19:20], v[17:18]
	v_fma_f64 v[10:11], v[19:20], v[15:16], -v[10:11]
	s_delay_alu instid0(VALU_DEP_2) | instskip(NEXT) | instid1(VALU_DEP_2)
	v_fma_f64 v[15:16], v[21:22], v[15:16], v[17:18]
	v_add_f64 v[3:4], v[3:4], v[10:11]
	s_delay_alu instid0(VALU_DEP_2)
	v_add_f64 v[1:2], v[1:2], v[15:16]
	s_and_not1_b32 exec_lo, exec_lo, s3
	s_cbranch_execnz .LBB102_117
; %bb.118:
	s_or_b32 exec_lo, exec_lo, s3
	v_mov_b32_e32 v7, 0
	ds_load_b128 v[7:10], v7 offset:416
	s_waitcnt lgkmcnt(0)
	v_mul_f64 v[11:12], v[1:2], v[9:10]
	v_mul_f64 v[15:16], v[3:4], v[9:10]
	s_delay_alu instid0(VALU_DEP_2) | instskip(NEXT) | instid1(VALU_DEP_2)
	v_fma_f64 v[9:10], v[3:4], v[7:8], -v[11:12]
	v_fma_f64 v[11:12], v[1:2], v[7:8], v[15:16]
	scratch_store_b128 off, v[9:12], off offset:416
.LBB102_119:
	s_or_b32 exec_lo, exec_lo, s2
	s_waitcnt_vscnt null, 0x0
	s_barrier
	buffer_gl0_inv
	scratch_load_b128 v[1:4], v160, off
	s_mov_b32 s2, exec_lo
	s_waitcnt vmcnt(0)
	ds_store_b128 v5, v[1:4]
	s_waitcnt lgkmcnt(0)
	s_barrier
	buffer_gl0_inv
	v_cmpx_gt_u32_e32 27, v124
	s_cbranch_execz .LBB102_123
; %bb.120:
	v_dual_mov_b32 v1, 0 :: v_dual_add_nc_u32 v8, 0x270, v13
	v_dual_mov_b32 v2, 0 :: v_dual_add_nc_u32 v7, -1, v124
	v_or_b32_e32 v9, 8, v14
	s_mov_b32 s3, 0
	s_delay_alu instid0(VALU_DEP_2)
	v_dual_mov_b32 v4, v2 :: v_dual_mov_b32 v3, v1
	.p2align	6
.LBB102_121:                            ; =>This Inner Loop Header: Depth=1
	scratch_load_b128 v[15:18], v9, off offset:-8
	ds_load_b128 v[19:22], v8
	v_add_nc_u32_e32 v7, 1, v7
	v_add_nc_u32_e32 v8, 16, v8
	;; [unrolled: 1-line block ×3, first 2 shown]
	s_delay_alu instid0(VALU_DEP_3) | instskip(SKIP_4) | instid1(VALU_DEP_2)
	v_cmp_lt_u32_e32 vcc_lo, 25, v7
	s_or_b32 s3, vcc_lo, s3
	s_waitcnt vmcnt(0) lgkmcnt(0)
	v_mul_f64 v[10:11], v[21:22], v[17:18]
	v_mul_f64 v[17:18], v[19:20], v[17:18]
	v_fma_f64 v[10:11], v[19:20], v[15:16], -v[10:11]
	s_delay_alu instid0(VALU_DEP_2) | instskip(NEXT) | instid1(VALU_DEP_2)
	v_fma_f64 v[15:16], v[21:22], v[15:16], v[17:18]
	v_add_f64 v[3:4], v[3:4], v[10:11]
	s_delay_alu instid0(VALU_DEP_2)
	v_add_f64 v[1:2], v[1:2], v[15:16]
	s_and_not1_b32 exec_lo, exec_lo, s3
	s_cbranch_execnz .LBB102_121
; %bb.122:
	s_or_b32 exec_lo, exec_lo, s3
	v_mov_b32_e32 v7, 0
	ds_load_b128 v[7:10], v7 offset:432
	s_waitcnt lgkmcnt(0)
	v_mul_f64 v[11:12], v[1:2], v[9:10]
	v_mul_f64 v[15:16], v[3:4], v[9:10]
	s_delay_alu instid0(VALU_DEP_2) | instskip(NEXT) | instid1(VALU_DEP_2)
	v_fma_f64 v[9:10], v[3:4], v[7:8], -v[11:12]
	v_fma_f64 v[11:12], v[1:2], v[7:8], v[15:16]
	scratch_store_b128 off, v[9:12], off offset:432
.LBB102_123:
	s_or_b32 exec_lo, exec_lo, s2
	s_waitcnt_vscnt null, 0x0
	s_barrier
	buffer_gl0_inv
	scratch_load_b128 v[1:4], v157, off
	s_mov_b32 s2, exec_lo
	s_waitcnt vmcnt(0)
	ds_store_b128 v5, v[1:4]
	s_waitcnt lgkmcnt(0)
	s_barrier
	buffer_gl0_inv
	v_cmpx_gt_u32_e32 28, v124
	s_cbranch_execz .LBB102_127
; %bb.124:
	v_dual_mov_b32 v1, 0 :: v_dual_add_nc_u32 v8, 0x270, v13
	v_dual_mov_b32 v2, 0 :: v_dual_add_nc_u32 v7, -1, v124
	v_or_b32_e32 v9, 8, v14
	s_mov_b32 s3, 0
	s_delay_alu instid0(VALU_DEP_2)
	v_dual_mov_b32 v4, v2 :: v_dual_mov_b32 v3, v1
	.p2align	6
.LBB102_125:                            ; =>This Inner Loop Header: Depth=1
	scratch_load_b128 v[15:18], v9, off offset:-8
	ds_load_b128 v[19:22], v8
	v_add_nc_u32_e32 v7, 1, v7
	v_add_nc_u32_e32 v8, 16, v8
	;; [unrolled: 1-line block ×3, first 2 shown]
	s_delay_alu instid0(VALU_DEP_3) | instskip(SKIP_4) | instid1(VALU_DEP_2)
	v_cmp_lt_u32_e32 vcc_lo, 26, v7
	s_or_b32 s3, vcc_lo, s3
	s_waitcnt vmcnt(0) lgkmcnt(0)
	v_mul_f64 v[10:11], v[21:22], v[17:18]
	v_mul_f64 v[17:18], v[19:20], v[17:18]
	v_fma_f64 v[10:11], v[19:20], v[15:16], -v[10:11]
	s_delay_alu instid0(VALU_DEP_2) | instskip(NEXT) | instid1(VALU_DEP_2)
	v_fma_f64 v[15:16], v[21:22], v[15:16], v[17:18]
	v_add_f64 v[3:4], v[3:4], v[10:11]
	s_delay_alu instid0(VALU_DEP_2)
	v_add_f64 v[1:2], v[1:2], v[15:16]
	s_and_not1_b32 exec_lo, exec_lo, s3
	s_cbranch_execnz .LBB102_125
; %bb.126:
	s_or_b32 exec_lo, exec_lo, s3
	v_mov_b32_e32 v7, 0
	ds_load_b128 v[7:10], v7 offset:448
	s_waitcnt lgkmcnt(0)
	v_mul_f64 v[11:12], v[1:2], v[9:10]
	v_mul_f64 v[15:16], v[3:4], v[9:10]
	s_delay_alu instid0(VALU_DEP_2) | instskip(NEXT) | instid1(VALU_DEP_2)
	v_fma_f64 v[9:10], v[3:4], v[7:8], -v[11:12]
	v_fma_f64 v[11:12], v[1:2], v[7:8], v[15:16]
	scratch_store_b128 off, v[9:12], off offset:448
.LBB102_127:
	s_or_b32 exec_lo, exec_lo, s2
	s_waitcnt_vscnt null, 0x0
	s_barrier
	buffer_gl0_inv
	scratch_load_b128 v[1:4], v152, off
	s_mov_b32 s2, exec_lo
	s_waitcnt vmcnt(0)
	ds_store_b128 v5, v[1:4]
	s_waitcnt lgkmcnt(0)
	s_barrier
	buffer_gl0_inv
	v_cmpx_gt_u32_e32 29, v124
	s_cbranch_execz .LBB102_131
; %bb.128:
	v_dual_mov_b32 v1, 0 :: v_dual_add_nc_u32 v8, 0x270, v13
	v_dual_mov_b32 v2, 0 :: v_dual_add_nc_u32 v7, -1, v124
	v_or_b32_e32 v9, 8, v14
	s_mov_b32 s3, 0
	s_delay_alu instid0(VALU_DEP_2)
	v_dual_mov_b32 v4, v2 :: v_dual_mov_b32 v3, v1
	.p2align	6
.LBB102_129:                            ; =>This Inner Loop Header: Depth=1
	scratch_load_b128 v[15:18], v9, off offset:-8
	ds_load_b128 v[19:22], v8
	v_add_nc_u32_e32 v7, 1, v7
	v_add_nc_u32_e32 v8, 16, v8
	;; [unrolled: 1-line block ×3, first 2 shown]
	s_delay_alu instid0(VALU_DEP_3) | instskip(SKIP_4) | instid1(VALU_DEP_2)
	v_cmp_lt_u32_e32 vcc_lo, 27, v7
	s_or_b32 s3, vcc_lo, s3
	s_waitcnt vmcnt(0) lgkmcnt(0)
	v_mul_f64 v[10:11], v[21:22], v[17:18]
	v_mul_f64 v[17:18], v[19:20], v[17:18]
	v_fma_f64 v[10:11], v[19:20], v[15:16], -v[10:11]
	s_delay_alu instid0(VALU_DEP_2) | instskip(NEXT) | instid1(VALU_DEP_2)
	v_fma_f64 v[15:16], v[21:22], v[15:16], v[17:18]
	v_add_f64 v[3:4], v[3:4], v[10:11]
	s_delay_alu instid0(VALU_DEP_2)
	v_add_f64 v[1:2], v[1:2], v[15:16]
	s_and_not1_b32 exec_lo, exec_lo, s3
	s_cbranch_execnz .LBB102_129
; %bb.130:
	s_or_b32 exec_lo, exec_lo, s3
	v_mov_b32_e32 v7, 0
	ds_load_b128 v[7:10], v7 offset:464
	s_waitcnt lgkmcnt(0)
	v_mul_f64 v[11:12], v[1:2], v[9:10]
	v_mul_f64 v[15:16], v[3:4], v[9:10]
	s_delay_alu instid0(VALU_DEP_2) | instskip(NEXT) | instid1(VALU_DEP_2)
	v_fma_f64 v[9:10], v[3:4], v[7:8], -v[11:12]
	v_fma_f64 v[11:12], v[1:2], v[7:8], v[15:16]
	scratch_store_b128 off, v[9:12], off offset:464
.LBB102_131:
	s_or_b32 exec_lo, exec_lo, s2
	s_waitcnt_vscnt null, 0x0
	s_barrier
	buffer_gl0_inv
	scratch_load_b128 v[1:4], v149, off
	s_mov_b32 s2, exec_lo
	s_waitcnt vmcnt(0)
	ds_store_b128 v5, v[1:4]
	s_waitcnt lgkmcnt(0)
	s_barrier
	buffer_gl0_inv
	v_cmpx_gt_u32_e32 30, v124
	s_cbranch_execz .LBB102_135
; %bb.132:
	v_dual_mov_b32 v1, 0 :: v_dual_add_nc_u32 v8, 0x270, v13
	v_dual_mov_b32 v2, 0 :: v_dual_add_nc_u32 v7, -1, v124
	v_or_b32_e32 v9, 8, v14
	s_mov_b32 s3, 0
	s_delay_alu instid0(VALU_DEP_2)
	v_dual_mov_b32 v4, v2 :: v_dual_mov_b32 v3, v1
	.p2align	6
.LBB102_133:                            ; =>This Inner Loop Header: Depth=1
	scratch_load_b128 v[15:18], v9, off offset:-8
	ds_load_b128 v[19:22], v8
	v_add_nc_u32_e32 v7, 1, v7
	v_add_nc_u32_e32 v8, 16, v8
	;; [unrolled: 1-line block ×3, first 2 shown]
	s_delay_alu instid0(VALU_DEP_3) | instskip(SKIP_4) | instid1(VALU_DEP_2)
	v_cmp_lt_u32_e32 vcc_lo, 28, v7
	s_or_b32 s3, vcc_lo, s3
	s_waitcnt vmcnt(0) lgkmcnt(0)
	v_mul_f64 v[10:11], v[21:22], v[17:18]
	v_mul_f64 v[17:18], v[19:20], v[17:18]
	v_fma_f64 v[10:11], v[19:20], v[15:16], -v[10:11]
	s_delay_alu instid0(VALU_DEP_2) | instskip(NEXT) | instid1(VALU_DEP_2)
	v_fma_f64 v[15:16], v[21:22], v[15:16], v[17:18]
	v_add_f64 v[3:4], v[3:4], v[10:11]
	s_delay_alu instid0(VALU_DEP_2)
	v_add_f64 v[1:2], v[1:2], v[15:16]
	s_and_not1_b32 exec_lo, exec_lo, s3
	s_cbranch_execnz .LBB102_133
; %bb.134:
	s_or_b32 exec_lo, exec_lo, s3
	v_mov_b32_e32 v7, 0
	ds_load_b128 v[7:10], v7 offset:480
	s_waitcnt lgkmcnt(0)
	v_mul_f64 v[11:12], v[1:2], v[9:10]
	v_mul_f64 v[15:16], v[3:4], v[9:10]
	s_delay_alu instid0(VALU_DEP_2) | instskip(NEXT) | instid1(VALU_DEP_2)
	v_fma_f64 v[9:10], v[3:4], v[7:8], -v[11:12]
	v_fma_f64 v[11:12], v[1:2], v[7:8], v[15:16]
	scratch_store_b128 off, v[9:12], off offset:480
.LBB102_135:
	s_or_b32 exec_lo, exec_lo, s2
	s_waitcnt_vscnt null, 0x0
	s_barrier
	buffer_gl0_inv
	scratch_load_b128 v[1:4], v145, off
	s_mov_b32 s2, exec_lo
	s_waitcnt vmcnt(0)
	ds_store_b128 v5, v[1:4]
	s_waitcnt lgkmcnt(0)
	s_barrier
	buffer_gl0_inv
	v_cmpx_gt_u32_e32 31, v124
	s_cbranch_execz .LBB102_139
; %bb.136:
	v_dual_mov_b32 v1, 0 :: v_dual_add_nc_u32 v8, 0x270, v13
	v_dual_mov_b32 v2, 0 :: v_dual_add_nc_u32 v7, -1, v124
	v_or_b32_e32 v9, 8, v14
	s_mov_b32 s3, 0
	s_delay_alu instid0(VALU_DEP_2)
	v_dual_mov_b32 v4, v2 :: v_dual_mov_b32 v3, v1
	.p2align	6
.LBB102_137:                            ; =>This Inner Loop Header: Depth=1
	scratch_load_b128 v[15:18], v9, off offset:-8
	ds_load_b128 v[19:22], v8
	v_add_nc_u32_e32 v7, 1, v7
	v_add_nc_u32_e32 v8, 16, v8
	;; [unrolled: 1-line block ×3, first 2 shown]
	s_delay_alu instid0(VALU_DEP_3) | instskip(SKIP_4) | instid1(VALU_DEP_2)
	v_cmp_lt_u32_e32 vcc_lo, 29, v7
	s_or_b32 s3, vcc_lo, s3
	s_waitcnt vmcnt(0) lgkmcnt(0)
	v_mul_f64 v[10:11], v[21:22], v[17:18]
	v_mul_f64 v[17:18], v[19:20], v[17:18]
	v_fma_f64 v[10:11], v[19:20], v[15:16], -v[10:11]
	s_delay_alu instid0(VALU_DEP_2) | instskip(NEXT) | instid1(VALU_DEP_2)
	v_fma_f64 v[15:16], v[21:22], v[15:16], v[17:18]
	v_add_f64 v[3:4], v[3:4], v[10:11]
	s_delay_alu instid0(VALU_DEP_2)
	v_add_f64 v[1:2], v[1:2], v[15:16]
	s_and_not1_b32 exec_lo, exec_lo, s3
	s_cbranch_execnz .LBB102_137
; %bb.138:
	s_or_b32 exec_lo, exec_lo, s3
	v_mov_b32_e32 v7, 0
	ds_load_b128 v[7:10], v7 offset:496
	s_waitcnt lgkmcnt(0)
	v_mul_f64 v[11:12], v[1:2], v[9:10]
	v_mul_f64 v[15:16], v[3:4], v[9:10]
	s_delay_alu instid0(VALU_DEP_2) | instskip(NEXT) | instid1(VALU_DEP_2)
	v_fma_f64 v[9:10], v[3:4], v[7:8], -v[11:12]
	v_fma_f64 v[11:12], v[1:2], v[7:8], v[15:16]
	scratch_store_b128 off, v[9:12], off offset:496
.LBB102_139:
	s_or_b32 exec_lo, exec_lo, s2
	s_waitcnt_vscnt null, 0x0
	s_barrier
	buffer_gl0_inv
	scratch_load_b128 v[1:4], v143, off
	s_mov_b32 s2, exec_lo
	s_waitcnt vmcnt(0)
	ds_store_b128 v5, v[1:4]
	s_waitcnt lgkmcnt(0)
	s_barrier
	buffer_gl0_inv
	v_cmpx_gt_u32_e32 32, v124
	s_cbranch_execz .LBB102_143
; %bb.140:
	v_dual_mov_b32 v1, 0 :: v_dual_add_nc_u32 v8, 0x270, v13
	v_dual_mov_b32 v2, 0 :: v_dual_add_nc_u32 v7, -1, v124
	v_or_b32_e32 v9, 8, v14
	s_mov_b32 s3, 0
	s_delay_alu instid0(VALU_DEP_2)
	v_dual_mov_b32 v4, v2 :: v_dual_mov_b32 v3, v1
	.p2align	6
.LBB102_141:                            ; =>This Inner Loop Header: Depth=1
	scratch_load_b128 v[15:18], v9, off offset:-8
	ds_load_b128 v[19:22], v8
	v_add_nc_u32_e32 v7, 1, v7
	v_add_nc_u32_e32 v8, 16, v8
	v_add_nc_u32_e32 v9, 16, v9
	s_delay_alu instid0(VALU_DEP_3) | instskip(SKIP_4) | instid1(VALU_DEP_2)
	v_cmp_lt_u32_e32 vcc_lo, 30, v7
	s_or_b32 s3, vcc_lo, s3
	s_waitcnt vmcnt(0) lgkmcnt(0)
	v_mul_f64 v[10:11], v[21:22], v[17:18]
	v_mul_f64 v[17:18], v[19:20], v[17:18]
	v_fma_f64 v[10:11], v[19:20], v[15:16], -v[10:11]
	s_delay_alu instid0(VALU_DEP_2) | instskip(NEXT) | instid1(VALU_DEP_2)
	v_fma_f64 v[15:16], v[21:22], v[15:16], v[17:18]
	v_add_f64 v[3:4], v[3:4], v[10:11]
	s_delay_alu instid0(VALU_DEP_2)
	v_add_f64 v[1:2], v[1:2], v[15:16]
	s_and_not1_b32 exec_lo, exec_lo, s3
	s_cbranch_execnz .LBB102_141
; %bb.142:
	s_or_b32 exec_lo, exec_lo, s3
	v_mov_b32_e32 v7, 0
	ds_load_b128 v[7:10], v7 offset:512
	s_waitcnt lgkmcnt(0)
	v_mul_f64 v[11:12], v[1:2], v[9:10]
	v_mul_f64 v[15:16], v[3:4], v[9:10]
	s_delay_alu instid0(VALU_DEP_2) | instskip(NEXT) | instid1(VALU_DEP_2)
	v_fma_f64 v[9:10], v[3:4], v[7:8], -v[11:12]
	v_fma_f64 v[11:12], v[1:2], v[7:8], v[15:16]
	scratch_store_b128 off, v[9:12], off offset:512
.LBB102_143:
	s_or_b32 exec_lo, exec_lo, s2
	s_waitcnt_vscnt null, 0x0
	s_barrier
	buffer_gl0_inv
	scratch_load_b128 v[1:4], v139, off
	s_mov_b32 s2, exec_lo
	s_waitcnt vmcnt(0)
	ds_store_b128 v5, v[1:4]
	s_waitcnt lgkmcnt(0)
	s_barrier
	buffer_gl0_inv
	v_cmpx_gt_u32_e32 33, v124
	s_cbranch_execz .LBB102_147
; %bb.144:
	v_dual_mov_b32 v1, 0 :: v_dual_add_nc_u32 v8, 0x270, v13
	v_dual_mov_b32 v2, 0 :: v_dual_add_nc_u32 v7, -1, v124
	v_or_b32_e32 v9, 8, v14
	s_mov_b32 s3, 0
	s_delay_alu instid0(VALU_DEP_2)
	v_dual_mov_b32 v4, v2 :: v_dual_mov_b32 v3, v1
	.p2align	6
.LBB102_145:                            ; =>This Inner Loop Header: Depth=1
	scratch_load_b128 v[15:18], v9, off offset:-8
	ds_load_b128 v[19:22], v8
	v_add_nc_u32_e32 v7, 1, v7
	v_add_nc_u32_e32 v8, 16, v8
	;; [unrolled: 1-line block ×3, first 2 shown]
	s_delay_alu instid0(VALU_DEP_3) | instskip(SKIP_4) | instid1(VALU_DEP_2)
	v_cmp_lt_u32_e32 vcc_lo, 31, v7
	s_or_b32 s3, vcc_lo, s3
	s_waitcnt vmcnt(0) lgkmcnt(0)
	v_mul_f64 v[10:11], v[21:22], v[17:18]
	v_mul_f64 v[17:18], v[19:20], v[17:18]
	v_fma_f64 v[10:11], v[19:20], v[15:16], -v[10:11]
	s_delay_alu instid0(VALU_DEP_2) | instskip(NEXT) | instid1(VALU_DEP_2)
	v_fma_f64 v[15:16], v[21:22], v[15:16], v[17:18]
	v_add_f64 v[3:4], v[3:4], v[10:11]
	s_delay_alu instid0(VALU_DEP_2)
	v_add_f64 v[1:2], v[1:2], v[15:16]
	s_and_not1_b32 exec_lo, exec_lo, s3
	s_cbranch_execnz .LBB102_145
; %bb.146:
	s_or_b32 exec_lo, exec_lo, s3
	v_mov_b32_e32 v7, 0
	ds_load_b128 v[7:10], v7 offset:528
	s_waitcnt lgkmcnt(0)
	v_mul_f64 v[11:12], v[1:2], v[9:10]
	v_mul_f64 v[15:16], v[3:4], v[9:10]
	s_delay_alu instid0(VALU_DEP_2) | instskip(NEXT) | instid1(VALU_DEP_2)
	v_fma_f64 v[9:10], v[3:4], v[7:8], -v[11:12]
	v_fma_f64 v[11:12], v[1:2], v[7:8], v[15:16]
	scratch_store_b128 off, v[9:12], off offset:528
.LBB102_147:
	s_or_b32 exec_lo, exec_lo, s2
	s_waitcnt_vscnt null, 0x0
	s_barrier
	buffer_gl0_inv
	scratch_load_b128 v[1:4], v137, off
	s_mov_b32 s2, exec_lo
	s_waitcnt vmcnt(0)
	ds_store_b128 v5, v[1:4]
	s_waitcnt lgkmcnt(0)
	s_barrier
	buffer_gl0_inv
	v_cmpx_gt_u32_e32 34, v124
	s_cbranch_execz .LBB102_151
; %bb.148:
	v_dual_mov_b32 v1, 0 :: v_dual_add_nc_u32 v8, 0x270, v13
	v_dual_mov_b32 v2, 0 :: v_dual_add_nc_u32 v7, -1, v124
	v_or_b32_e32 v9, 8, v14
	s_mov_b32 s3, 0
	s_delay_alu instid0(VALU_DEP_2)
	v_dual_mov_b32 v4, v2 :: v_dual_mov_b32 v3, v1
	.p2align	6
.LBB102_149:                            ; =>This Inner Loop Header: Depth=1
	scratch_load_b128 v[15:18], v9, off offset:-8
	ds_load_b128 v[19:22], v8
	v_add_nc_u32_e32 v7, 1, v7
	v_add_nc_u32_e32 v8, 16, v8
	;; [unrolled: 1-line block ×3, first 2 shown]
	s_delay_alu instid0(VALU_DEP_3) | instskip(SKIP_4) | instid1(VALU_DEP_2)
	v_cmp_lt_u32_e32 vcc_lo, 32, v7
	s_or_b32 s3, vcc_lo, s3
	s_waitcnt vmcnt(0) lgkmcnt(0)
	v_mul_f64 v[10:11], v[21:22], v[17:18]
	v_mul_f64 v[17:18], v[19:20], v[17:18]
	v_fma_f64 v[10:11], v[19:20], v[15:16], -v[10:11]
	s_delay_alu instid0(VALU_DEP_2) | instskip(NEXT) | instid1(VALU_DEP_2)
	v_fma_f64 v[15:16], v[21:22], v[15:16], v[17:18]
	v_add_f64 v[3:4], v[3:4], v[10:11]
	s_delay_alu instid0(VALU_DEP_2)
	v_add_f64 v[1:2], v[1:2], v[15:16]
	s_and_not1_b32 exec_lo, exec_lo, s3
	s_cbranch_execnz .LBB102_149
; %bb.150:
	s_or_b32 exec_lo, exec_lo, s3
	v_mov_b32_e32 v7, 0
	ds_load_b128 v[7:10], v7 offset:544
	s_waitcnt lgkmcnt(0)
	v_mul_f64 v[11:12], v[1:2], v[9:10]
	v_mul_f64 v[15:16], v[3:4], v[9:10]
	s_delay_alu instid0(VALU_DEP_2) | instskip(NEXT) | instid1(VALU_DEP_2)
	v_fma_f64 v[9:10], v[3:4], v[7:8], -v[11:12]
	v_fma_f64 v[11:12], v[1:2], v[7:8], v[15:16]
	scratch_store_b128 off, v[9:12], off offset:544
.LBB102_151:
	s_or_b32 exec_lo, exec_lo, s2
	s_waitcnt_vscnt null, 0x0
	s_barrier
	buffer_gl0_inv
	scratch_load_b128 v[1:4], v135, off
	s_mov_b32 s2, exec_lo
	s_waitcnt vmcnt(0)
	ds_store_b128 v5, v[1:4]
	s_waitcnt lgkmcnt(0)
	s_barrier
	buffer_gl0_inv
	v_cmpx_gt_u32_e32 35, v124
	s_cbranch_execz .LBB102_155
; %bb.152:
	v_dual_mov_b32 v1, 0 :: v_dual_add_nc_u32 v8, 0x270, v13
	v_dual_mov_b32 v2, 0 :: v_dual_add_nc_u32 v7, -1, v124
	v_or_b32_e32 v9, 8, v14
	s_mov_b32 s3, 0
	s_delay_alu instid0(VALU_DEP_2)
	v_dual_mov_b32 v4, v2 :: v_dual_mov_b32 v3, v1
	.p2align	6
.LBB102_153:                            ; =>This Inner Loop Header: Depth=1
	scratch_load_b128 v[15:18], v9, off offset:-8
	ds_load_b128 v[19:22], v8
	v_add_nc_u32_e32 v7, 1, v7
	v_add_nc_u32_e32 v8, 16, v8
	;; [unrolled: 1-line block ×3, first 2 shown]
	s_delay_alu instid0(VALU_DEP_3) | instskip(SKIP_4) | instid1(VALU_DEP_2)
	v_cmp_lt_u32_e32 vcc_lo, 33, v7
	s_or_b32 s3, vcc_lo, s3
	s_waitcnt vmcnt(0) lgkmcnt(0)
	v_mul_f64 v[10:11], v[21:22], v[17:18]
	v_mul_f64 v[17:18], v[19:20], v[17:18]
	v_fma_f64 v[10:11], v[19:20], v[15:16], -v[10:11]
	s_delay_alu instid0(VALU_DEP_2) | instskip(NEXT) | instid1(VALU_DEP_2)
	v_fma_f64 v[15:16], v[21:22], v[15:16], v[17:18]
	v_add_f64 v[3:4], v[3:4], v[10:11]
	s_delay_alu instid0(VALU_DEP_2)
	v_add_f64 v[1:2], v[1:2], v[15:16]
	s_and_not1_b32 exec_lo, exec_lo, s3
	s_cbranch_execnz .LBB102_153
; %bb.154:
	s_or_b32 exec_lo, exec_lo, s3
	v_mov_b32_e32 v7, 0
	ds_load_b128 v[7:10], v7 offset:560
	s_waitcnt lgkmcnt(0)
	v_mul_f64 v[11:12], v[1:2], v[9:10]
	v_mul_f64 v[15:16], v[3:4], v[9:10]
	s_delay_alu instid0(VALU_DEP_2) | instskip(NEXT) | instid1(VALU_DEP_2)
	v_fma_f64 v[9:10], v[3:4], v[7:8], -v[11:12]
	v_fma_f64 v[11:12], v[1:2], v[7:8], v[15:16]
	scratch_store_b128 off, v[9:12], off offset:560
.LBB102_155:
	s_or_b32 exec_lo, exec_lo, s2
	s_waitcnt_vscnt null, 0x0
	s_barrier
	buffer_gl0_inv
	scratch_load_b128 v[1:4], v133, off
	s_mov_b32 s2, exec_lo
	s_waitcnt vmcnt(0)
	ds_store_b128 v5, v[1:4]
	s_waitcnt lgkmcnt(0)
	s_barrier
	buffer_gl0_inv
	v_cmpx_gt_u32_e32 36, v124
	s_cbranch_execz .LBB102_159
; %bb.156:
	v_dual_mov_b32 v1, 0 :: v_dual_add_nc_u32 v8, 0x270, v13
	v_dual_mov_b32 v2, 0 :: v_dual_add_nc_u32 v7, -1, v124
	v_or_b32_e32 v9, 8, v14
	s_mov_b32 s3, 0
	s_delay_alu instid0(VALU_DEP_2)
	v_dual_mov_b32 v4, v2 :: v_dual_mov_b32 v3, v1
	.p2align	6
.LBB102_157:                            ; =>This Inner Loop Header: Depth=1
	scratch_load_b128 v[15:18], v9, off offset:-8
	ds_load_b128 v[19:22], v8
	v_add_nc_u32_e32 v7, 1, v7
	v_add_nc_u32_e32 v8, 16, v8
	;; [unrolled: 1-line block ×3, first 2 shown]
	s_delay_alu instid0(VALU_DEP_3) | instskip(SKIP_4) | instid1(VALU_DEP_2)
	v_cmp_lt_u32_e32 vcc_lo, 34, v7
	s_or_b32 s3, vcc_lo, s3
	s_waitcnt vmcnt(0) lgkmcnt(0)
	v_mul_f64 v[10:11], v[21:22], v[17:18]
	v_mul_f64 v[17:18], v[19:20], v[17:18]
	v_fma_f64 v[10:11], v[19:20], v[15:16], -v[10:11]
	s_delay_alu instid0(VALU_DEP_2) | instskip(NEXT) | instid1(VALU_DEP_2)
	v_fma_f64 v[15:16], v[21:22], v[15:16], v[17:18]
	v_add_f64 v[3:4], v[3:4], v[10:11]
	s_delay_alu instid0(VALU_DEP_2)
	v_add_f64 v[1:2], v[1:2], v[15:16]
	s_and_not1_b32 exec_lo, exec_lo, s3
	s_cbranch_execnz .LBB102_157
; %bb.158:
	s_or_b32 exec_lo, exec_lo, s3
	v_mov_b32_e32 v7, 0
	ds_load_b128 v[7:10], v7 offset:576
	s_waitcnt lgkmcnt(0)
	v_mul_f64 v[11:12], v[1:2], v[9:10]
	v_mul_f64 v[15:16], v[3:4], v[9:10]
	s_delay_alu instid0(VALU_DEP_2) | instskip(NEXT) | instid1(VALU_DEP_2)
	v_fma_f64 v[9:10], v[3:4], v[7:8], -v[11:12]
	v_fma_f64 v[11:12], v[1:2], v[7:8], v[15:16]
	scratch_store_b128 off, v[9:12], off offset:576
.LBB102_159:
	s_or_b32 exec_lo, exec_lo, s2
	s_waitcnt_vscnt null, 0x0
	s_barrier
	buffer_gl0_inv
	scratch_load_b128 v[1:4], v130, off
	s_mov_b32 s2, exec_lo
	s_waitcnt vmcnt(0)
	ds_store_b128 v5, v[1:4]
	s_waitcnt lgkmcnt(0)
	s_barrier
	buffer_gl0_inv
	v_cmpx_gt_u32_e32 37, v124
	s_cbranch_execz .LBB102_163
; %bb.160:
	v_dual_mov_b32 v1, 0 :: v_dual_add_nc_u32 v8, 0x270, v13
	v_dual_mov_b32 v2, 0 :: v_dual_add_nc_u32 v7, -1, v124
	v_or_b32_e32 v9, 8, v14
	s_mov_b32 s3, 0
	s_delay_alu instid0(VALU_DEP_2)
	v_dual_mov_b32 v4, v2 :: v_dual_mov_b32 v3, v1
	.p2align	6
.LBB102_161:                            ; =>This Inner Loop Header: Depth=1
	scratch_load_b128 v[10:13], v9, off offset:-8
	ds_load_b128 v[15:18], v8
	v_add_nc_u32_e32 v7, 1, v7
	v_add_nc_u32_e32 v8, 16, v8
	;; [unrolled: 1-line block ×3, first 2 shown]
	s_delay_alu instid0(VALU_DEP_3) | instskip(SKIP_4) | instid1(VALU_DEP_2)
	v_cmp_lt_u32_e32 vcc_lo, 35, v7
	s_or_b32 s3, vcc_lo, s3
	s_waitcnt vmcnt(0) lgkmcnt(0)
	v_mul_f64 v[19:20], v[17:18], v[12:13]
	v_mul_f64 v[12:13], v[15:16], v[12:13]
	v_fma_f64 v[15:16], v[15:16], v[10:11], -v[19:20]
	s_delay_alu instid0(VALU_DEP_2) | instskip(NEXT) | instid1(VALU_DEP_2)
	v_fma_f64 v[10:11], v[17:18], v[10:11], v[12:13]
	v_add_f64 v[3:4], v[3:4], v[15:16]
	s_delay_alu instid0(VALU_DEP_2)
	v_add_f64 v[1:2], v[1:2], v[10:11]
	s_and_not1_b32 exec_lo, exec_lo, s3
	s_cbranch_execnz .LBB102_161
; %bb.162:
	s_or_b32 exec_lo, exec_lo, s3
	v_mov_b32_e32 v7, 0
	ds_load_b128 v[7:10], v7 offset:592
	s_waitcnt lgkmcnt(0)
	v_mul_f64 v[11:12], v[1:2], v[9:10]
	v_mul_f64 v[15:16], v[3:4], v[9:10]
	s_delay_alu instid0(VALU_DEP_2) | instskip(NEXT) | instid1(VALU_DEP_2)
	v_fma_f64 v[9:10], v[3:4], v[7:8], -v[11:12]
	v_fma_f64 v[11:12], v[1:2], v[7:8], v[15:16]
	scratch_store_b128 off, v[9:12], off offset:592
.LBB102_163:
	s_or_b32 exec_lo, exec_lo, s2
	s_waitcnt_vscnt null, 0x0
	s_barrier
	buffer_gl0_inv
	scratch_load_b128 v[1:4], v129, off
	s_mov_b32 s2, exec_lo
	s_waitcnt vmcnt(0)
	ds_store_b128 v5, v[1:4]
	s_waitcnt lgkmcnt(0)
	s_barrier
	buffer_gl0_inv
	v_cmpx_ne_u32_e32 38, v124
	s_cbranch_execz .LBB102_167
; %bb.164:
	v_mov_b32_e32 v1, 0
	v_mov_b32_e32 v2, 0
	v_or_b32_e32 v7, 8, v14
	s_mov_b32 s3, 0
	s_delay_alu instid0(VALU_DEP_2)
	v_dual_mov_b32 v4, v2 :: v_dual_mov_b32 v3, v1
	.p2align	6
.LBB102_165:                            ; =>This Inner Loop Header: Depth=1
	scratch_load_b128 v[8:11], v7, off offset:-8
	ds_load_b128 v[12:15], v5
	v_add_nc_u32_e32 v6, 1, v6
	v_add_nc_u32_e32 v5, 16, v5
	;; [unrolled: 1-line block ×3, first 2 shown]
	s_delay_alu instid0(VALU_DEP_3) | instskip(SKIP_4) | instid1(VALU_DEP_2)
	v_cmp_lt_u32_e32 vcc_lo, 36, v6
	s_or_b32 s3, vcc_lo, s3
	s_waitcnt vmcnt(0) lgkmcnt(0)
	v_mul_f64 v[16:17], v[14:15], v[10:11]
	v_mul_f64 v[10:11], v[12:13], v[10:11]
	v_fma_f64 v[12:13], v[12:13], v[8:9], -v[16:17]
	s_delay_alu instid0(VALU_DEP_2) | instskip(NEXT) | instid1(VALU_DEP_2)
	v_fma_f64 v[8:9], v[14:15], v[8:9], v[10:11]
	v_add_f64 v[3:4], v[3:4], v[12:13]
	s_delay_alu instid0(VALU_DEP_2)
	v_add_f64 v[1:2], v[1:2], v[8:9]
	s_and_not1_b32 exec_lo, exec_lo, s3
	s_cbranch_execnz .LBB102_165
; %bb.166:
	s_or_b32 exec_lo, exec_lo, s3
	v_mov_b32_e32 v5, 0
	ds_load_b128 v[5:8], v5 offset:608
	s_waitcnt lgkmcnt(0)
	v_mul_f64 v[9:10], v[1:2], v[7:8]
	v_mul_f64 v[7:8], v[3:4], v[7:8]
	s_delay_alu instid0(VALU_DEP_2) | instskip(NEXT) | instid1(VALU_DEP_2)
	v_fma_f64 v[3:4], v[3:4], v[5:6], -v[9:10]
	v_fma_f64 v[5:6], v[1:2], v[5:6], v[7:8]
	scratch_store_b128 off, v[3:6], off offset:608
.LBB102_167:
	s_or_b32 exec_lo, exec_lo, s2
	s_mov_b32 s3, -1
	s_waitcnt_vscnt null, 0x0
	s_barrier
	buffer_gl0_inv
.LBB102_168:
	s_and_b32 vcc_lo, exec_lo, s3
	s_cbranch_vccz .LBB102_170
; %bb.169:
	s_lshl_b64 s[2:3], s[10:11], 2
	v_mov_b32_e32 v1, 0
	s_add_u32 s2, s6, s2
	s_addc_u32 s3, s7, s3
	global_load_b32 v1, v1, s[2:3]
	s_waitcnt vmcnt(0)
	v_cmp_ne_u32_e32 vcc_lo, 0, v1
	s_cbranch_vccz .LBB102_171
.LBB102_170:
	s_endpgm
.LBB102_171:
	v_lshl_add_u32 v163, v124, 4, 0x270
	s_mov_b32 s2, exec_lo
	v_cmpx_eq_u32_e32 38, v124
	s_cbranch_execz .LBB102_173
; %bb.172:
	scratch_load_b128 v[1:4], v130, off
	v_mov_b32_e32 v5, 0
	s_delay_alu instid0(VALU_DEP_1)
	v_mov_b32_e32 v6, v5
	v_mov_b32_e32 v7, v5
	;; [unrolled: 1-line block ×3, first 2 shown]
	scratch_store_b128 off, v[5:8], off offset:592
	s_waitcnt vmcnt(0)
	ds_store_b128 v163, v[1:4]
.LBB102_173:
	s_or_b32 exec_lo, exec_lo, s2
	s_waitcnt lgkmcnt(0)
	s_waitcnt_vscnt null, 0x0
	s_barrier
	buffer_gl0_inv
	s_clause 0x1
	scratch_load_b128 v[2:5], off, off offset:608
	scratch_load_b128 v[6:9], off, off offset:592
	v_mov_b32_e32 v1, 0
	s_mov_b32 s2, exec_lo
	ds_load_b128 v[10:13], v1 offset:1232
	s_waitcnt vmcnt(1) lgkmcnt(0)
	v_mul_f64 v[14:15], v[12:13], v[4:5]
	v_mul_f64 v[4:5], v[10:11], v[4:5]
	s_delay_alu instid0(VALU_DEP_2) | instskip(NEXT) | instid1(VALU_DEP_2)
	v_fma_f64 v[10:11], v[10:11], v[2:3], -v[14:15]
	v_fma_f64 v[2:3], v[12:13], v[2:3], v[4:5]
	s_delay_alu instid0(VALU_DEP_2) | instskip(NEXT) | instid1(VALU_DEP_2)
	v_add_f64 v[4:5], v[10:11], 0
	v_add_f64 v[10:11], v[2:3], 0
	s_waitcnt vmcnt(0)
	s_delay_alu instid0(VALU_DEP_2) | instskip(NEXT) | instid1(VALU_DEP_2)
	v_add_f64 v[2:3], v[6:7], -v[4:5]
	v_add_f64 v[4:5], v[8:9], -v[10:11]
	scratch_store_b128 off, v[2:5], off offset:592
	v_cmpx_lt_u32_e32 36, v124
	s_cbranch_execz .LBB102_175
; %bb.174:
	scratch_load_b128 v[5:8], v133, off
	v_mov_b32_e32 v2, v1
	v_mov_b32_e32 v3, v1
	;; [unrolled: 1-line block ×3, first 2 shown]
	scratch_store_b128 off, v[1:4], off offset:576
	s_waitcnt vmcnt(0)
	ds_store_b128 v163, v[5:8]
.LBB102_175:
	s_or_b32 exec_lo, exec_lo, s2
	s_waitcnt lgkmcnt(0)
	s_waitcnt_vscnt null, 0x0
	s_barrier
	buffer_gl0_inv
	s_clause 0x2
	scratch_load_b128 v[2:5], off, off offset:592
	scratch_load_b128 v[6:9], off, off offset:608
	;; [unrolled: 1-line block ×3, first 2 shown]
	ds_load_b128 v[14:17], v1 offset:1216
	ds_load_b128 v[18:21], v1 offset:1232
	s_mov_b32 s2, exec_lo
	s_waitcnt vmcnt(2) lgkmcnt(1)
	v_mul_f64 v[22:23], v[16:17], v[4:5]
	v_mul_f64 v[4:5], v[14:15], v[4:5]
	s_waitcnt vmcnt(1) lgkmcnt(0)
	v_mul_f64 v[24:25], v[18:19], v[8:9]
	v_mul_f64 v[8:9], v[20:21], v[8:9]
	s_delay_alu instid0(VALU_DEP_4) | instskip(NEXT) | instid1(VALU_DEP_4)
	v_fma_f64 v[14:15], v[14:15], v[2:3], -v[22:23]
	v_fma_f64 v[1:2], v[16:17], v[2:3], v[4:5]
	s_delay_alu instid0(VALU_DEP_4) | instskip(NEXT) | instid1(VALU_DEP_4)
	v_fma_f64 v[3:4], v[20:21], v[6:7], v[24:25]
	v_fma_f64 v[5:6], v[18:19], v[6:7], -v[8:9]
	s_delay_alu instid0(VALU_DEP_4) | instskip(NEXT) | instid1(VALU_DEP_4)
	v_add_f64 v[7:8], v[14:15], 0
	v_add_f64 v[1:2], v[1:2], 0
	s_delay_alu instid0(VALU_DEP_2) | instskip(NEXT) | instid1(VALU_DEP_2)
	v_add_f64 v[5:6], v[7:8], v[5:6]
	v_add_f64 v[3:4], v[1:2], v[3:4]
	s_waitcnt vmcnt(0)
	s_delay_alu instid0(VALU_DEP_2) | instskip(NEXT) | instid1(VALU_DEP_2)
	v_add_f64 v[1:2], v[10:11], -v[5:6]
	v_add_f64 v[3:4], v[12:13], -v[3:4]
	scratch_store_b128 off, v[1:4], off offset:576
	v_cmpx_lt_u32_e32 35, v124
	s_cbranch_execz .LBB102_177
; %bb.176:
	scratch_load_b128 v[1:4], v135, off
	v_mov_b32_e32 v5, 0
	s_delay_alu instid0(VALU_DEP_1)
	v_mov_b32_e32 v6, v5
	v_mov_b32_e32 v7, v5
	;; [unrolled: 1-line block ×3, first 2 shown]
	scratch_store_b128 off, v[5:8], off offset:560
	s_waitcnt vmcnt(0)
	ds_store_b128 v163, v[1:4]
.LBB102_177:
	s_or_b32 exec_lo, exec_lo, s2
	s_waitcnt lgkmcnt(0)
	s_waitcnt_vscnt null, 0x0
	s_barrier
	buffer_gl0_inv
	s_clause 0x3
	scratch_load_b128 v[2:5], off, off offset:576
	scratch_load_b128 v[6:9], off, off offset:592
	;; [unrolled: 1-line block ×4, first 2 shown]
	v_mov_b32_e32 v1, 0
	ds_load_b128 v[18:21], v1 offset:1200
	ds_load_b128 v[22:25], v1 offset:1216
	s_mov_b32 s2, exec_lo
	s_waitcnt vmcnt(3) lgkmcnt(1)
	v_mul_f64 v[26:27], v[20:21], v[4:5]
	v_mul_f64 v[4:5], v[18:19], v[4:5]
	s_waitcnt vmcnt(2) lgkmcnt(0)
	v_mul_f64 v[28:29], v[22:23], v[8:9]
	v_mul_f64 v[8:9], v[24:25], v[8:9]
	s_delay_alu instid0(VALU_DEP_4) | instskip(NEXT) | instid1(VALU_DEP_4)
	v_fma_f64 v[18:19], v[18:19], v[2:3], -v[26:27]
	v_fma_f64 v[20:21], v[20:21], v[2:3], v[4:5]
	ds_load_b128 v[2:5], v1 offset:1232
	v_fma_f64 v[24:25], v[24:25], v[6:7], v[28:29]
	v_fma_f64 v[6:7], v[22:23], v[6:7], -v[8:9]
	s_waitcnt vmcnt(1) lgkmcnt(0)
	v_mul_f64 v[26:27], v[2:3], v[12:13]
	v_mul_f64 v[12:13], v[4:5], v[12:13]
	v_add_f64 v[8:9], v[18:19], 0
	v_add_f64 v[18:19], v[20:21], 0
	s_delay_alu instid0(VALU_DEP_4) | instskip(NEXT) | instid1(VALU_DEP_4)
	v_fma_f64 v[4:5], v[4:5], v[10:11], v[26:27]
	v_fma_f64 v[2:3], v[2:3], v[10:11], -v[12:13]
	s_delay_alu instid0(VALU_DEP_4) | instskip(NEXT) | instid1(VALU_DEP_4)
	v_add_f64 v[6:7], v[8:9], v[6:7]
	v_add_f64 v[8:9], v[18:19], v[24:25]
	s_delay_alu instid0(VALU_DEP_2) | instskip(NEXT) | instid1(VALU_DEP_2)
	v_add_f64 v[2:3], v[6:7], v[2:3]
	v_add_f64 v[4:5], v[8:9], v[4:5]
	s_waitcnt vmcnt(0)
	s_delay_alu instid0(VALU_DEP_2) | instskip(NEXT) | instid1(VALU_DEP_2)
	v_add_f64 v[2:3], v[14:15], -v[2:3]
	v_add_f64 v[4:5], v[16:17], -v[4:5]
	scratch_store_b128 off, v[2:5], off offset:560
	v_cmpx_lt_u32_e32 34, v124
	s_cbranch_execz .LBB102_179
; %bb.178:
	scratch_load_b128 v[5:8], v137, off
	v_mov_b32_e32 v2, v1
	v_mov_b32_e32 v3, v1
	v_mov_b32_e32 v4, v1
	scratch_store_b128 off, v[1:4], off offset:544
	s_waitcnt vmcnt(0)
	ds_store_b128 v163, v[5:8]
.LBB102_179:
	s_or_b32 exec_lo, exec_lo, s2
	s_waitcnt lgkmcnt(0)
	s_waitcnt_vscnt null, 0x0
	s_barrier
	buffer_gl0_inv
	s_clause 0x4
	scratch_load_b128 v[2:5], off, off offset:560
	scratch_load_b128 v[6:9], off, off offset:576
	;; [unrolled: 1-line block ×5, first 2 shown]
	ds_load_b128 v[22:25], v1 offset:1184
	ds_load_b128 v[26:29], v1 offset:1200
	s_mov_b32 s2, exec_lo
	s_waitcnt vmcnt(4) lgkmcnt(1)
	v_mul_f64 v[30:31], v[24:25], v[4:5]
	v_mul_f64 v[4:5], v[22:23], v[4:5]
	s_waitcnt vmcnt(3) lgkmcnt(0)
	v_mul_f64 v[32:33], v[26:27], v[8:9]
	v_mul_f64 v[8:9], v[28:29], v[8:9]
	s_delay_alu instid0(VALU_DEP_4) | instskip(NEXT) | instid1(VALU_DEP_4)
	v_fma_f64 v[30:31], v[22:23], v[2:3], -v[30:31]
	v_fma_f64 v[34:35], v[24:25], v[2:3], v[4:5]
	ds_load_b128 v[2:5], v1 offset:1216
	ds_load_b128 v[22:25], v1 offset:1232
	v_fma_f64 v[28:29], v[28:29], v[6:7], v[32:33]
	v_fma_f64 v[6:7], v[26:27], v[6:7], -v[8:9]
	s_waitcnt vmcnt(2) lgkmcnt(1)
	v_mul_f64 v[36:37], v[2:3], v[12:13]
	v_mul_f64 v[12:13], v[4:5], v[12:13]
	v_add_f64 v[8:9], v[30:31], 0
	v_add_f64 v[26:27], v[34:35], 0
	s_waitcnt vmcnt(1) lgkmcnt(0)
	v_mul_f64 v[30:31], v[22:23], v[16:17]
	v_mul_f64 v[16:17], v[24:25], v[16:17]
	v_fma_f64 v[4:5], v[4:5], v[10:11], v[36:37]
	v_fma_f64 v[1:2], v[2:3], v[10:11], -v[12:13]
	v_add_f64 v[6:7], v[8:9], v[6:7]
	v_add_f64 v[8:9], v[26:27], v[28:29]
	v_fma_f64 v[10:11], v[24:25], v[14:15], v[30:31]
	v_fma_f64 v[12:13], v[22:23], v[14:15], -v[16:17]
	s_delay_alu instid0(VALU_DEP_4) | instskip(NEXT) | instid1(VALU_DEP_4)
	v_add_f64 v[1:2], v[6:7], v[1:2]
	v_add_f64 v[3:4], v[8:9], v[4:5]
	s_delay_alu instid0(VALU_DEP_2) | instskip(NEXT) | instid1(VALU_DEP_2)
	v_add_f64 v[1:2], v[1:2], v[12:13]
	v_add_f64 v[3:4], v[3:4], v[10:11]
	s_waitcnt vmcnt(0)
	s_delay_alu instid0(VALU_DEP_2) | instskip(NEXT) | instid1(VALU_DEP_2)
	v_add_f64 v[1:2], v[18:19], -v[1:2]
	v_add_f64 v[3:4], v[20:21], -v[3:4]
	scratch_store_b128 off, v[1:4], off offset:544
	v_cmpx_lt_u32_e32 33, v124
	s_cbranch_execz .LBB102_181
; %bb.180:
	scratch_load_b128 v[1:4], v139, off
	v_mov_b32_e32 v5, 0
	s_delay_alu instid0(VALU_DEP_1)
	v_mov_b32_e32 v6, v5
	v_mov_b32_e32 v7, v5
	;; [unrolled: 1-line block ×3, first 2 shown]
	scratch_store_b128 off, v[5:8], off offset:528
	s_waitcnt vmcnt(0)
	ds_store_b128 v163, v[1:4]
.LBB102_181:
	s_or_b32 exec_lo, exec_lo, s2
	s_waitcnt lgkmcnt(0)
	s_waitcnt_vscnt null, 0x0
	s_barrier
	buffer_gl0_inv
	s_clause 0x5
	scratch_load_b128 v[2:5], off, off offset:544
	scratch_load_b128 v[6:9], off, off offset:560
	;; [unrolled: 1-line block ×6, first 2 shown]
	v_mov_b32_e32 v1, 0
	ds_load_b128 v[26:29], v1 offset:1168
	ds_load_b128 v[30:33], v1 offset:1184
	s_mov_b32 s2, exec_lo
	s_waitcnt vmcnt(5) lgkmcnt(1)
	v_mul_f64 v[34:35], v[28:29], v[4:5]
	v_mul_f64 v[4:5], v[26:27], v[4:5]
	s_waitcnt vmcnt(4) lgkmcnt(0)
	v_mul_f64 v[36:37], v[30:31], v[8:9]
	v_mul_f64 v[8:9], v[32:33], v[8:9]
	s_delay_alu instid0(VALU_DEP_4) | instskip(NEXT) | instid1(VALU_DEP_4)
	v_fma_f64 v[34:35], v[26:27], v[2:3], -v[34:35]
	v_fma_f64 v[38:39], v[28:29], v[2:3], v[4:5]
	ds_load_b128 v[2:5], v1 offset:1200
	ds_load_b128 v[26:29], v1 offset:1216
	v_fma_f64 v[32:33], v[32:33], v[6:7], v[36:37]
	v_fma_f64 v[6:7], v[30:31], v[6:7], -v[8:9]
	s_waitcnt vmcnt(3) lgkmcnt(1)
	v_mul_f64 v[40:41], v[2:3], v[12:13]
	v_mul_f64 v[12:13], v[4:5], v[12:13]
	v_add_f64 v[8:9], v[34:35], 0
	v_add_f64 v[30:31], v[38:39], 0
	s_waitcnt vmcnt(2) lgkmcnt(0)
	v_mul_f64 v[34:35], v[26:27], v[16:17]
	v_mul_f64 v[16:17], v[28:29], v[16:17]
	v_fma_f64 v[36:37], v[4:5], v[10:11], v[40:41]
	v_fma_f64 v[10:11], v[2:3], v[10:11], -v[12:13]
	ds_load_b128 v[2:5], v1 offset:1232
	v_add_f64 v[6:7], v[8:9], v[6:7]
	v_add_f64 v[8:9], v[30:31], v[32:33]
	v_fma_f64 v[28:29], v[28:29], v[14:15], v[34:35]
	v_fma_f64 v[14:15], v[26:27], v[14:15], -v[16:17]
	s_waitcnt vmcnt(1) lgkmcnt(0)
	v_mul_f64 v[12:13], v[2:3], v[20:21]
	v_mul_f64 v[20:21], v[4:5], v[20:21]
	v_add_f64 v[6:7], v[6:7], v[10:11]
	v_add_f64 v[8:9], v[8:9], v[36:37]
	s_delay_alu instid0(VALU_DEP_4) | instskip(NEXT) | instid1(VALU_DEP_4)
	v_fma_f64 v[4:5], v[4:5], v[18:19], v[12:13]
	v_fma_f64 v[2:3], v[2:3], v[18:19], -v[20:21]
	s_delay_alu instid0(VALU_DEP_4) | instskip(NEXT) | instid1(VALU_DEP_4)
	v_add_f64 v[6:7], v[6:7], v[14:15]
	v_add_f64 v[8:9], v[8:9], v[28:29]
	s_delay_alu instid0(VALU_DEP_2) | instskip(NEXT) | instid1(VALU_DEP_2)
	v_add_f64 v[2:3], v[6:7], v[2:3]
	v_add_f64 v[4:5], v[8:9], v[4:5]
	s_waitcnt vmcnt(0)
	s_delay_alu instid0(VALU_DEP_2) | instskip(NEXT) | instid1(VALU_DEP_2)
	v_add_f64 v[2:3], v[22:23], -v[2:3]
	v_add_f64 v[4:5], v[24:25], -v[4:5]
	scratch_store_b128 off, v[2:5], off offset:528
	v_cmpx_lt_u32_e32 32, v124
	s_cbranch_execz .LBB102_183
; %bb.182:
	scratch_load_b128 v[5:8], v143, off
	v_mov_b32_e32 v2, v1
	v_mov_b32_e32 v3, v1
	;; [unrolled: 1-line block ×3, first 2 shown]
	scratch_store_b128 off, v[1:4], off offset:512
	s_waitcnt vmcnt(0)
	ds_store_b128 v163, v[5:8]
.LBB102_183:
	s_or_b32 exec_lo, exec_lo, s2
	s_waitcnt lgkmcnt(0)
	s_waitcnt_vscnt null, 0x0
	s_barrier
	buffer_gl0_inv
	s_clause 0x5
	scratch_load_b128 v[2:5], off, off offset:528
	scratch_load_b128 v[6:9], off, off offset:544
	;; [unrolled: 1-line block ×6, first 2 shown]
	ds_load_b128 v[26:29], v1 offset:1152
	ds_load_b128 v[34:37], v1 offset:1168
	scratch_load_b128 v[30:33], off, off offset:512
	s_mov_b32 s2, exec_lo
	s_waitcnt vmcnt(6) lgkmcnt(1)
	v_mul_f64 v[38:39], v[28:29], v[4:5]
	v_mul_f64 v[4:5], v[26:27], v[4:5]
	s_waitcnt vmcnt(5) lgkmcnt(0)
	v_mul_f64 v[40:41], v[34:35], v[8:9]
	v_mul_f64 v[8:9], v[36:37], v[8:9]
	s_delay_alu instid0(VALU_DEP_4) | instskip(NEXT) | instid1(VALU_DEP_4)
	v_fma_f64 v[38:39], v[26:27], v[2:3], -v[38:39]
	v_fma_f64 v[42:43], v[28:29], v[2:3], v[4:5]
	ds_load_b128 v[2:5], v1 offset:1184
	ds_load_b128 v[26:29], v1 offset:1200
	v_fma_f64 v[36:37], v[36:37], v[6:7], v[40:41]
	v_fma_f64 v[6:7], v[34:35], v[6:7], -v[8:9]
	s_waitcnt vmcnt(4) lgkmcnt(1)
	v_mul_f64 v[44:45], v[2:3], v[12:13]
	v_mul_f64 v[12:13], v[4:5], v[12:13]
	v_add_f64 v[8:9], v[38:39], 0
	v_add_f64 v[34:35], v[42:43], 0
	s_waitcnt vmcnt(3) lgkmcnt(0)
	v_mul_f64 v[38:39], v[26:27], v[16:17]
	v_mul_f64 v[16:17], v[28:29], v[16:17]
	v_fma_f64 v[40:41], v[4:5], v[10:11], v[44:45]
	v_fma_f64 v[10:11], v[2:3], v[10:11], -v[12:13]
	v_add_f64 v[12:13], v[8:9], v[6:7]
	v_add_f64 v[34:35], v[34:35], v[36:37]
	ds_load_b128 v[2:5], v1 offset:1216
	ds_load_b128 v[6:9], v1 offset:1232
	v_fma_f64 v[28:29], v[28:29], v[14:15], v[38:39]
	v_fma_f64 v[14:15], v[26:27], v[14:15], -v[16:17]
	s_waitcnt vmcnt(2) lgkmcnt(1)
	v_mul_f64 v[36:37], v[2:3], v[20:21]
	v_mul_f64 v[20:21], v[4:5], v[20:21]
	s_waitcnt vmcnt(1) lgkmcnt(0)
	v_mul_f64 v[16:17], v[6:7], v[24:25]
	v_mul_f64 v[24:25], v[8:9], v[24:25]
	v_add_f64 v[10:11], v[12:13], v[10:11]
	v_add_f64 v[12:13], v[34:35], v[40:41]
	v_fma_f64 v[4:5], v[4:5], v[18:19], v[36:37]
	v_fma_f64 v[1:2], v[2:3], v[18:19], -v[20:21]
	v_fma_f64 v[8:9], v[8:9], v[22:23], v[16:17]
	v_fma_f64 v[6:7], v[6:7], v[22:23], -v[24:25]
	v_add_f64 v[10:11], v[10:11], v[14:15]
	v_add_f64 v[12:13], v[12:13], v[28:29]
	s_delay_alu instid0(VALU_DEP_2) | instskip(NEXT) | instid1(VALU_DEP_2)
	v_add_f64 v[1:2], v[10:11], v[1:2]
	v_add_f64 v[3:4], v[12:13], v[4:5]
	s_delay_alu instid0(VALU_DEP_2) | instskip(NEXT) | instid1(VALU_DEP_2)
	v_add_f64 v[1:2], v[1:2], v[6:7]
	v_add_f64 v[3:4], v[3:4], v[8:9]
	s_waitcnt vmcnt(0)
	s_delay_alu instid0(VALU_DEP_2) | instskip(NEXT) | instid1(VALU_DEP_2)
	v_add_f64 v[1:2], v[30:31], -v[1:2]
	v_add_f64 v[3:4], v[32:33], -v[3:4]
	scratch_store_b128 off, v[1:4], off offset:512
	v_cmpx_lt_u32_e32 31, v124
	s_cbranch_execz .LBB102_185
; %bb.184:
	scratch_load_b128 v[1:4], v145, off
	v_mov_b32_e32 v5, 0
	s_delay_alu instid0(VALU_DEP_1)
	v_mov_b32_e32 v6, v5
	v_mov_b32_e32 v7, v5
	;; [unrolled: 1-line block ×3, first 2 shown]
	scratch_store_b128 off, v[5:8], off offset:496
	s_waitcnt vmcnt(0)
	ds_store_b128 v163, v[1:4]
.LBB102_185:
	s_or_b32 exec_lo, exec_lo, s2
	s_waitcnt lgkmcnt(0)
	s_waitcnt_vscnt null, 0x0
	s_barrier
	buffer_gl0_inv
	s_clause 0x6
	scratch_load_b128 v[2:5], off, off offset:512
	scratch_load_b128 v[6:9], off, off offset:528
	;; [unrolled: 1-line block ×7, first 2 shown]
	v_mov_b32_e32 v1, 0
	scratch_load_b128 v[38:41], off, off offset:496
	s_mov_b32 s2, exec_lo
	ds_load_b128 v[30:33], v1 offset:1136
	ds_load_b128 v[34:37], v1 offset:1152
	s_waitcnt vmcnt(7) lgkmcnt(1)
	v_mul_f64 v[42:43], v[32:33], v[4:5]
	v_mul_f64 v[4:5], v[30:31], v[4:5]
	s_waitcnt vmcnt(6) lgkmcnt(0)
	v_mul_f64 v[44:45], v[34:35], v[8:9]
	v_mul_f64 v[8:9], v[36:37], v[8:9]
	s_delay_alu instid0(VALU_DEP_4) | instskip(NEXT) | instid1(VALU_DEP_4)
	v_fma_f64 v[30:31], v[30:31], v[2:3], -v[42:43]
	v_fma_f64 v[32:33], v[32:33], v[2:3], v[4:5]
	ds_load_b128 v[2:5], v1 offset:1168
	v_fma_f64 v[36:37], v[36:37], v[6:7], v[44:45]
	v_fma_f64 v[34:35], v[34:35], v[6:7], -v[8:9]
	ds_load_b128 v[6:9], v1 offset:1184
	s_waitcnt vmcnt(5) lgkmcnt(1)
	v_mul_f64 v[42:43], v[2:3], v[12:13]
	v_mul_f64 v[12:13], v[4:5], v[12:13]
	s_waitcnt vmcnt(4) lgkmcnt(0)
	v_mul_f64 v[44:45], v[6:7], v[16:17]
	v_mul_f64 v[16:17], v[8:9], v[16:17]
	v_add_f64 v[30:31], v[30:31], 0
	v_add_f64 v[32:33], v[32:33], 0
	v_fma_f64 v[42:43], v[4:5], v[10:11], v[42:43]
	v_fma_f64 v[10:11], v[2:3], v[10:11], -v[12:13]
	ds_load_b128 v[2:5], v1 offset:1200
	v_add_f64 v[12:13], v[30:31], v[34:35]
	v_add_f64 v[30:31], v[32:33], v[36:37]
	v_fma_f64 v[34:35], v[8:9], v[14:15], v[44:45]
	v_fma_f64 v[14:15], v[6:7], v[14:15], -v[16:17]
	ds_load_b128 v[6:9], v1 offset:1216
	s_waitcnt vmcnt(3) lgkmcnt(1)
	v_mul_f64 v[32:33], v[2:3], v[20:21]
	v_mul_f64 v[20:21], v[4:5], v[20:21]
	s_waitcnt vmcnt(2) lgkmcnt(0)
	v_mul_f64 v[16:17], v[6:7], v[24:25]
	v_mul_f64 v[24:25], v[8:9], v[24:25]
	v_add_f64 v[10:11], v[12:13], v[10:11]
	v_add_f64 v[12:13], v[30:31], v[42:43]
	v_fma_f64 v[30:31], v[4:5], v[18:19], v[32:33]
	v_fma_f64 v[18:19], v[2:3], v[18:19], -v[20:21]
	ds_load_b128 v[2:5], v1 offset:1232
	v_fma_f64 v[8:9], v[8:9], v[22:23], v[16:17]
	v_fma_f64 v[6:7], v[6:7], v[22:23], -v[24:25]
	s_waitcnt vmcnt(1) lgkmcnt(0)
	v_mul_f64 v[20:21], v[4:5], v[28:29]
	v_add_f64 v[10:11], v[10:11], v[14:15]
	v_add_f64 v[12:13], v[12:13], v[34:35]
	v_mul_f64 v[14:15], v[2:3], v[28:29]
	s_delay_alu instid0(VALU_DEP_4) | instskip(NEXT) | instid1(VALU_DEP_4)
	v_fma_f64 v[2:3], v[2:3], v[26:27], -v[20:21]
	v_add_f64 v[10:11], v[10:11], v[18:19]
	s_delay_alu instid0(VALU_DEP_4) | instskip(NEXT) | instid1(VALU_DEP_4)
	v_add_f64 v[12:13], v[12:13], v[30:31]
	v_fma_f64 v[4:5], v[4:5], v[26:27], v[14:15]
	s_delay_alu instid0(VALU_DEP_3) | instskip(NEXT) | instid1(VALU_DEP_3)
	v_add_f64 v[6:7], v[10:11], v[6:7]
	v_add_f64 v[8:9], v[12:13], v[8:9]
	s_delay_alu instid0(VALU_DEP_2) | instskip(NEXT) | instid1(VALU_DEP_2)
	v_add_f64 v[2:3], v[6:7], v[2:3]
	v_add_f64 v[4:5], v[8:9], v[4:5]
	s_waitcnt vmcnt(0)
	s_delay_alu instid0(VALU_DEP_2) | instskip(NEXT) | instid1(VALU_DEP_2)
	v_add_f64 v[2:3], v[38:39], -v[2:3]
	v_add_f64 v[4:5], v[40:41], -v[4:5]
	scratch_store_b128 off, v[2:5], off offset:496
	v_cmpx_lt_u32_e32 30, v124
	s_cbranch_execz .LBB102_187
; %bb.186:
	scratch_load_b128 v[5:8], v149, off
	v_mov_b32_e32 v2, v1
	v_mov_b32_e32 v3, v1
	;; [unrolled: 1-line block ×3, first 2 shown]
	scratch_store_b128 off, v[1:4], off offset:480
	s_waitcnt vmcnt(0)
	ds_store_b128 v163, v[5:8]
.LBB102_187:
	s_or_b32 exec_lo, exec_lo, s2
	s_waitcnt lgkmcnt(0)
	s_waitcnt_vscnt null, 0x0
	s_barrier
	buffer_gl0_inv
	s_clause 0x7
	scratch_load_b128 v[2:5], off, off offset:496
	scratch_load_b128 v[6:9], off, off offset:512
	;; [unrolled: 1-line block ×8, first 2 shown]
	ds_load_b128 v[34:37], v1 offset:1120
	ds_load_b128 v[38:41], v1 offset:1136
	s_mov_b32 s2, exec_lo
	s_waitcnt vmcnt(7) lgkmcnt(1)
	v_mul_f64 v[42:43], v[36:37], v[4:5]
	v_mul_f64 v[4:5], v[34:35], v[4:5]
	s_waitcnt vmcnt(6) lgkmcnt(0)
	v_mul_f64 v[44:45], v[38:39], v[8:9]
	v_mul_f64 v[8:9], v[40:41], v[8:9]
	s_delay_alu instid0(VALU_DEP_4) | instskip(NEXT) | instid1(VALU_DEP_4)
	v_fma_f64 v[42:43], v[34:35], v[2:3], -v[42:43]
	v_fma_f64 v[164:165], v[36:37], v[2:3], v[4:5]
	ds_load_b128 v[2:5], v1 offset:1152
	scratch_load_b128 v[34:37], off, off offset:480
	v_fma_f64 v[40:41], v[40:41], v[6:7], v[44:45]
	v_fma_f64 v[38:39], v[38:39], v[6:7], -v[8:9]
	ds_load_b128 v[6:9], v1 offset:1168
	s_waitcnt vmcnt(6) lgkmcnt(1)
	v_mul_f64 v[166:167], v[2:3], v[12:13]
	v_mul_f64 v[12:13], v[4:5], v[12:13]
	v_add_f64 v[42:43], v[42:43], 0
	v_add_f64 v[44:45], v[164:165], 0
	s_waitcnt vmcnt(5) lgkmcnt(0)
	v_mul_f64 v[164:165], v[6:7], v[16:17]
	v_mul_f64 v[16:17], v[8:9], v[16:17]
	v_fma_f64 v[166:167], v[4:5], v[10:11], v[166:167]
	v_fma_f64 v[10:11], v[2:3], v[10:11], -v[12:13]
	ds_load_b128 v[2:5], v1 offset:1184
	v_add_f64 v[12:13], v[42:43], v[38:39]
	v_add_f64 v[38:39], v[44:45], v[40:41]
	v_fma_f64 v[42:43], v[8:9], v[14:15], v[164:165]
	v_fma_f64 v[14:15], v[6:7], v[14:15], -v[16:17]
	ds_load_b128 v[6:9], v1 offset:1200
	s_waitcnt vmcnt(4) lgkmcnt(1)
	v_mul_f64 v[40:41], v[2:3], v[20:21]
	v_mul_f64 v[20:21], v[4:5], v[20:21]
	s_waitcnt vmcnt(3) lgkmcnt(0)
	v_mul_f64 v[16:17], v[6:7], v[24:25]
	v_mul_f64 v[24:25], v[8:9], v[24:25]
	v_add_f64 v[10:11], v[12:13], v[10:11]
	v_add_f64 v[12:13], v[38:39], v[166:167]
	v_fma_f64 v[38:39], v[4:5], v[18:19], v[40:41]
	v_fma_f64 v[18:19], v[2:3], v[18:19], -v[20:21]
	ds_load_b128 v[2:5], v1 offset:1216
	v_fma_f64 v[16:17], v[8:9], v[22:23], v[16:17]
	v_fma_f64 v[22:23], v[6:7], v[22:23], -v[24:25]
	ds_load_b128 v[6:9], v1 offset:1232
	s_waitcnt vmcnt(2) lgkmcnt(1)
	v_mul_f64 v[20:21], v[4:5], v[28:29]
	v_add_f64 v[10:11], v[10:11], v[14:15]
	v_add_f64 v[12:13], v[12:13], v[42:43]
	v_mul_f64 v[14:15], v[2:3], v[28:29]
	s_waitcnt vmcnt(1) lgkmcnt(0)
	v_mul_f64 v[24:25], v[8:9], v[32:33]
	v_fma_f64 v[1:2], v[2:3], v[26:27], -v[20:21]
	v_add_f64 v[10:11], v[10:11], v[18:19]
	v_add_f64 v[12:13], v[12:13], v[38:39]
	v_mul_f64 v[18:19], v[6:7], v[32:33]
	v_fma_f64 v[4:5], v[4:5], v[26:27], v[14:15]
	v_fma_f64 v[6:7], v[6:7], v[30:31], -v[24:25]
	v_add_f64 v[10:11], v[10:11], v[22:23]
	v_add_f64 v[12:13], v[12:13], v[16:17]
	v_fma_f64 v[8:9], v[8:9], v[30:31], v[18:19]
	s_delay_alu instid0(VALU_DEP_3) | instskip(NEXT) | instid1(VALU_DEP_3)
	v_add_f64 v[1:2], v[10:11], v[1:2]
	v_add_f64 v[3:4], v[12:13], v[4:5]
	s_delay_alu instid0(VALU_DEP_2) | instskip(NEXT) | instid1(VALU_DEP_2)
	v_add_f64 v[1:2], v[1:2], v[6:7]
	v_add_f64 v[3:4], v[3:4], v[8:9]
	s_waitcnt vmcnt(0)
	s_delay_alu instid0(VALU_DEP_2) | instskip(NEXT) | instid1(VALU_DEP_2)
	v_add_f64 v[1:2], v[34:35], -v[1:2]
	v_add_f64 v[3:4], v[36:37], -v[3:4]
	scratch_store_b128 off, v[1:4], off offset:480
	v_cmpx_lt_u32_e32 29, v124
	s_cbranch_execz .LBB102_189
; %bb.188:
	scratch_load_b128 v[1:4], v152, off
	v_mov_b32_e32 v5, 0
	s_delay_alu instid0(VALU_DEP_1)
	v_mov_b32_e32 v6, v5
	v_mov_b32_e32 v7, v5
	;; [unrolled: 1-line block ×3, first 2 shown]
	scratch_store_b128 off, v[5:8], off offset:464
	s_waitcnt vmcnt(0)
	ds_store_b128 v163, v[1:4]
.LBB102_189:
	s_or_b32 exec_lo, exec_lo, s2
	s_waitcnt lgkmcnt(0)
	s_waitcnt_vscnt null, 0x0
	s_barrier
	buffer_gl0_inv
	s_clause 0x7
	scratch_load_b128 v[2:5], off, off offset:480
	scratch_load_b128 v[6:9], off, off offset:496
	;; [unrolled: 1-line block ×8, first 2 shown]
	v_mov_b32_e32 v1, 0
	s_mov_b32 s2, exec_lo
	ds_load_b128 v[34:37], v1 offset:1104
	s_clause 0x1
	scratch_load_b128 v[38:41], off, off offset:608
	scratch_load_b128 v[42:45], off, off offset:464
	ds_load_b128 v[164:167], v1 offset:1120
	s_waitcnt vmcnt(9) lgkmcnt(1)
	v_mul_f64 v[168:169], v[36:37], v[4:5]
	v_mul_f64 v[4:5], v[34:35], v[4:5]
	s_waitcnt vmcnt(8) lgkmcnt(0)
	v_mul_f64 v[170:171], v[164:165], v[8:9]
	v_mul_f64 v[8:9], v[166:167], v[8:9]
	s_delay_alu instid0(VALU_DEP_4) | instskip(NEXT) | instid1(VALU_DEP_4)
	v_fma_f64 v[168:169], v[34:35], v[2:3], -v[168:169]
	v_fma_f64 v[172:173], v[36:37], v[2:3], v[4:5]
	ds_load_b128 v[2:5], v1 offset:1136
	ds_load_b128 v[34:37], v1 offset:1152
	v_fma_f64 v[166:167], v[166:167], v[6:7], v[170:171]
	v_fma_f64 v[6:7], v[164:165], v[6:7], -v[8:9]
	s_waitcnt vmcnt(7) lgkmcnt(1)
	v_mul_f64 v[174:175], v[2:3], v[12:13]
	v_mul_f64 v[12:13], v[4:5], v[12:13]
	v_add_f64 v[8:9], v[168:169], 0
	v_add_f64 v[164:165], v[172:173], 0
	s_waitcnt vmcnt(6) lgkmcnt(0)
	v_mul_f64 v[168:169], v[34:35], v[16:17]
	v_mul_f64 v[16:17], v[36:37], v[16:17]
	v_fma_f64 v[170:171], v[4:5], v[10:11], v[174:175]
	v_fma_f64 v[10:11], v[2:3], v[10:11], -v[12:13]
	v_add_f64 v[12:13], v[8:9], v[6:7]
	v_add_f64 v[164:165], v[164:165], v[166:167]
	ds_load_b128 v[2:5], v1 offset:1168
	ds_load_b128 v[6:9], v1 offset:1184
	v_fma_f64 v[36:37], v[36:37], v[14:15], v[168:169]
	v_fma_f64 v[14:15], v[34:35], v[14:15], -v[16:17]
	s_waitcnt vmcnt(5) lgkmcnt(1)
	v_mul_f64 v[166:167], v[2:3], v[20:21]
	v_mul_f64 v[20:21], v[4:5], v[20:21]
	s_waitcnt vmcnt(4) lgkmcnt(0)
	v_mul_f64 v[16:17], v[6:7], v[24:25]
	v_mul_f64 v[24:25], v[8:9], v[24:25]
	v_add_f64 v[10:11], v[12:13], v[10:11]
	v_add_f64 v[12:13], v[164:165], v[170:171]
	v_fma_f64 v[34:35], v[4:5], v[18:19], v[166:167]
	v_fma_f64 v[18:19], v[2:3], v[18:19], -v[20:21]
	v_fma_f64 v[8:9], v[8:9], v[22:23], v[16:17]
	v_fma_f64 v[6:7], v[6:7], v[22:23], -v[24:25]
	v_add_f64 v[14:15], v[10:11], v[14:15]
	v_add_f64 v[20:21], v[12:13], v[36:37]
	ds_load_b128 v[2:5], v1 offset:1200
	ds_load_b128 v[10:13], v1 offset:1216
	s_waitcnt vmcnt(3) lgkmcnt(1)
	v_mul_f64 v[36:37], v[2:3], v[28:29]
	v_mul_f64 v[28:29], v[4:5], v[28:29]
	v_add_f64 v[14:15], v[14:15], v[18:19]
	v_add_f64 v[16:17], v[20:21], v[34:35]
	s_waitcnt vmcnt(2) lgkmcnt(0)
	v_mul_f64 v[18:19], v[10:11], v[32:33]
	v_mul_f64 v[20:21], v[12:13], v[32:33]
	v_fma_f64 v[22:23], v[4:5], v[26:27], v[36:37]
	v_fma_f64 v[24:25], v[2:3], v[26:27], -v[28:29]
	ds_load_b128 v[2:5], v1 offset:1232
	v_add_f64 v[6:7], v[14:15], v[6:7]
	v_add_f64 v[8:9], v[16:17], v[8:9]
	v_fma_f64 v[12:13], v[12:13], v[30:31], v[18:19]
	v_fma_f64 v[10:11], v[10:11], v[30:31], -v[20:21]
	s_waitcnt vmcnt(1) lgkmcnt(0)
	v_mul_f64 v[14:15], v[2:3], v[40:41]
	v_mul_f64 v[16:17], v[4:5], v[40:41]
	v_add_f64 v[6:7], v[6:7], v[24:25]
	v_add_f64 v[8:9], v[8:9], v[22:23]
	s_delay_alu instid0(VALU_DEP_4) | instskip(NEXT) | instid1(VALU_DEP_4)
	v_fma_f64 v[4:5], v[4:5], v[38:39], v[14:15]
	v_fma_f64 v[2:3], v[2:3], v[38:39], -v[16:17]
	s_delay_alu instid0(VALU_DEP_4) | instskip(NEXT) | instid1(VALU_DEP_4)
	v_add_f64 v[6:7], v[6:7], v[10:11]
	v_add_f64 v[8:9], v[8:9], v[12:13]
	s_delay_alu instid0(VALU_DEP_2) | instskip(NEXT) | instid1(VALU_DEP_2)
	v_add_f64 v[2:3], v[6:7], v[2:3]
	v_add_f64 v[4:5], v[8:9], v[4:5]
	s_waitcnt vmcnt(0)
	s_delay_alu instid0(VALU_DEP_2) | instskip(NEXT) | instid1(VALU_DEP_2)
	v_add_f64 v[2:3], v[42:43], -v[2:3]
	v_add_f64 v[4:5], v[44:45], -v[4:5]
	scratch_store_b128 off, v[2:5], off offset:464
	v_cmpx_lt_u32_e32 28, v124
	s_cbranch_execz .LBB102_191
; %bb.190:
	scratch_load_b128 v[5:8], v157, off
	v_mov_b32_e32 v2, v1
	v_mov_b32_e32 v3, v1
	;; [unrolled: 1-line block ×3, first 2 shown]
	scratch_store_b128 off, v[1:4], off offset:448
	s_waitcnt vmcnt(0)
	ds_store_b128 v163, v[5:8]
.LBB102_191:
	s_or_b32 exec_lo, exec_lo, s2
	s_waitcnt lgkmcnt(0)
	s_waitcnt_vscnt null, 0x0
	s_barrier
	buffer_gl0_inv
	s_clause 0x8
	scratch_load_b128 v[2:5], off, off offset:464
	scratch_load_b128 v[6:9], off, off offset:480
	;; [unrolled: 1-line block ×9, first 2 shown]
	ds_load_b128 v[38:41], v1 offset:1088
	ds_load_b128 v[42:45], v1 offset:1104
	s_clause 0x1
	scratch_load_b128 v[164:167], off, off offset:448
	scratch_load_b128 v[168:171], off, off offset:608
	s_mov_b32 s2, exec_lo
	s_waitcnt vmcnt(10) lgkmcnt(1)
	v_mul_f64 v[172:173], v[40:41], v[4:5]
	v_mul_f64 v[4:5], v[38:39], v[4:5]
	s_waitcnt vmcnt(9) lgkmcnt(0)
	v_mul_f64 v[174:175], v[42:43], v[8:9]
	v_mul_f64 v[8:9], v[44:45], v[8:9]
	s_delay_alu instid0(VALU_DEP_4) | instskip(NEXT) | instid1(VALU_DEP_4)
	v_fma_f64 v[172:173], v[38:39], v[2:3], -v[172:173]
	v_fma_f64 v[176:177], v[40:41], v[2:3], v[4:5]
	ds_load_b128 v[2:5], v1 offset:1120
	ds_load_b128 v[38:41], v1 offset:1136
	v_fma_f64 v[44:45], v[44:45], v[6:7], v[174:175]
	v_fma_f64 v[6:7], v[42:43], v[6:7], -v[8:9]
	s_waitcnt vmcnt(8) lgkmcnt(1)
	v_mul_f64 v[178:179], v[2:3], v[12:13]
	v_mul_f64 v[12:13], v[4:5], v[12:13]
	v_add_f64 v[8:9], v[172:173], 0
	v_add_f64 v[42:43], v[176:177], 0
	s_waitcnt vmcnt(7) lgkmcnt(0)
	v_mul_f64 v[172:173], v[38:39], v[16:17]
	v_mul_f64 v[16:17], v[40:41], v[16:17]
	v_fma_f64 v[174:175], v[4:5], v[10:11], v[178:179]
	v_fma_f64 v[10:11], v[2:3], v[10:11], -v[12:13]
	v_add_f64 v[12:13], v[8:9], v[6:7]
	v_add_f64 v[42:43], v[42:43], v[44:45]
	ds_load_b128 v[2:5], v1 offset:1152
	ds_load_b128 v[6:9], v1 offset:1168
	v_fma_f64 v[40:41], v[40:41], v[14:15], v[172:173]
	v_fma_f64 v[14:15], v[38:39], v[14:15], -v[16:17]
	s_waitcnt vmcnt(6) lgkmcnt(1)
	v_mul_f64 v[44:45], v[2:3], v[20:21]
	v_mul_f64 v[20:21], v[4:5], v[20:21]
	s_waitcnt vmcnt(5) lgkmcnt(0)
	v_mul_f64 v[16:17], v[6:7], v[24:25]
	v_mul_f64 v[24:25], v[8:9], v[24:25]
	v_add_f64 v[10:11], v[12:13], v[10:11]
	v_add_f64 v[12:13], v[42:43], v[174:175]
	v_fma_f64 v[38:39], v[4:5], v[18:19], v[44:45]
	v_fma_f64 v[18:19], v[2:3], v[18:19], -v[20:21]
	v_fma_f64 v[8:9], v[8:9], v[22:23], v[16:17]
	v_fma_f64 v[6:7], v[6:7], v[22:23], -v[24:25]
	v_add_f64 v[14:15], v[10:11], v[14:15]
	v_add_f64 v[20:21], v[12:13], v[40:41]
	ds_load_b128 v[2:5], v1 offset:1184
	ds_load_b128 v[10:13], v1 offset:1200
	s_waitcnt vmcnt(4) lgkmcnt(1)
	v_mul_f64 v[40:41], v[2:3], v[28:29]
	v_mul_f64 v[28:29], v[4:5], v[28:29]
	v_add_f64 v[14:15], v[14:15], v[18:19]
	v_add_f64 v[16:17], v[20:21], v[38:39]
	s_waitcnt vmcnt(3) lgkmcnt(0)
	v_mul_f64 v[18:19], v[10:11], v[32:33]
	v_mul_f64 v[20:21], v[12:13], v[32:33]
	v_fma_f64 v[22:23], v[4:5], v[26:27], v[40:41]
	v_fma_f64 v[24:25], v[2:3], v[26:27], -v[28:29]
	v_add_f64 v[14:15], v[14:15], v[6:7]
	v_add_f64 v[16:17], v[16:17], v[8:9]
	ds_load_b128 v[2:5], v1 offset:1216
	ds_load_b128 v[6:9], v1 offset:1232
	v_fma_f64 v[12:13], v[12:13], v[30:31], v[18:19]
	v_fma_f64 v[10:11], v[10:11], v[30:31], -v[20:21]
	s_waitcnt vmcnt(2) lgkmcnt(1)
	v_mul_f64 v[26:27], v[2:3], v[36:37]
	v_mul_f64 v[28:29], v[4:5], v[36:37]
	s_waitcnt vmcnt(0) lgkmcnt(0)
	v_mul_f64 v[18:19], v[6:7], v[170:171]
	v_mul_f64 v[20:21], v[8:9], v[170:171]
	v_add_f64 v[14:15], v[14:15], v[24:25]
	v_add_f64 v[16:17], v[16:17], v[22:23]
	v_fma_f64 v[4:5], v[4:5], v[34:35], v[26:27]
	v_fma_f64 v[1:2], v[2:3], v[34:35], -v[28:29]
	v_fma_f64 v[8:9], v[8:9], v[168:169], v[18:19]
	v_fma_f64 v[6:7], v[6:7], v[168:169], -v[20:21]
	v_add_f64 v[10:11], v[14:15], v[10:11]
	v_add_f64 v[12:13], v[16:17], v[12:13]
	s_delay_alu instid0(VALU_DEP_2) | instskip(NEXT) | instid1(VALU_DEP_2)
	v_add_f64 v[1:2], v[10:11], v[1:2]
	v_add_f64 v[3:4], v[12:13], v[4:5]
	s_delay_alu instid0(VALU_DEP_2) | instskip(NEXT) | instid1(VALU_DEP_2)
	;; [unrolled: 3-line block ×3, first 2 shown]
	v_add_f64 v[1:2], v[164:165], -v[1:2]
	v_add_f64 v[3:4], v[166:167], -v[3:4]
	scratch_store_b128 off, v[1:4], off offset:448
	v_cmpx_lt_u32_e32 27, v124
	s_cbranch_execz .LBB102_193
; %bb.192:
	scratch_load_b128 v[1:4], v160, off
	v_mov_b32_e32 v5, 0
	s_delay_alu instid0(VALU_DEP_1)
	v_mov_b32_e32 v6, v5
	v_mov_b32_e32 v7, v5
	;; [unrolled: 1-line block ×3, first 2 shown]
	scratch_store_b128 off, v[5:8], off offset:432
	s_waitcnt vmcnt(0)
	ds_store_b128 v163, v[1:4]
.LBB102_193:
	s_or_b32 exec_lo, exec_lo, s2
	s_waitcnt lgkmcnt(0)
	s_waitcnt_vscnt null, 0x0
	s_barrier
	buffer_gl0_inv
	s_clause 0x7
	scratch_load_b128 v[2:5], off, off offset:448
	scratch_load_b128 v[6:9], off, off offset:464
	scratch_load_b128 v[10:13], off, off offset:480
	scratch_load_b128 v[14:17], off, off offset:496
	scratch_load_b128 v[18:21], off, off offset:512
	scratch_load_b128 v[22:25], off, off offset:528
	scratch_load_b128 v[26:29], off, off offset:544
	scratch_load_b128 v[30:33], off, off offset:560
	v_mov_b32_e32 v1, 0
	s_mov_b32 s2, exec_lo
	ds_load_b128 v[34:37], v1 offset:1072
	s_clause 0x1
	scratch_load_b128 v[38:41], off, off offset:576
	scratch_load_b128 v[42:45], off, off offset:432
	ds_load_b128 v[164:167], v1 offset:1088
	scratch_load_b128 v[168:171], off, off offset:592
	s_waitcnt vmcnt(10) lgkmcnt(1)
	v_mul_f64 v[172:173], v[36:37], v[4:5]
	v_mul_f64 v[4:5], v[34:35], v[4:5]
	s_delay_alu instid0(VALU_DEP_2) | instskip(NEXT) | instid1(VALU_DEP_2)
	v_fma_f64 v[178:179], v[34:35], v[2:3], -v[172:173]
	v_fma_f64 v[180:181], v[36:37], v[2:3], v[4:5]
	scratch_load_b128 v[34:37], off, off offset:608
	ds_load_b128 v[2:5], v1 offset:1104
	s_waitcnt vmcnt(10) lgkmcnt(1)
	v_mul_f64 v[176:177], v[164:165], v[8:9]
	v_mul_f64 v[8:9], v[166:167], v[8:9]
	ds_load_b128 v[172:175], v1 offset:1120
	s_waitcnt vmcnt(9) lgkmcnt(1)
	v_mul_f64 v[182:183], v[2:3], v[12:13]
	v_mul_f64 v[12:13], v[4:5], v[12:13]
	v_fma_f64 v[166:167], v[166:167], v[6:7], v[176:177]
	v_fma_f64 v[6:7], v[164:165], v[6:7], -v[8:9]
	v_add_f64 v[8:9], v[178:179], 0
	v_add_f64 v[164:165], v[180:181], 0
	s_waitcnt vmcnt(8) lgkmcnt(0)
	v_mul_f64 v[176:177], v[172:173], v[16:17]
	v_mul_f64 v[16:17], v[174:175], v[16:17]
	v_fma_f64 v[178:179], v[4:5], v[10:11], v[182:183]
	v_fma_f64 v[10:11], v[2:3], v[10:11], -v[12:13]
	v_add_f64 v[12:13], v[8:9], v[6:7]
	v_add_f64 v[164:165], v[164:165], v[166:167]
	ds_load_b128 v[2:5], v1 offset:1136
	ds_load_b128 v[6:9], v1 offset:1152
	v_fma_f64 v[174:175], v[174:175], v[14:15], v[176:177]
	v_fma_f64 v[14:15], v[172:173], v[14:15], -v[16:17]
	s_waitcnt vmcnt(7) lgkmcnt(1)
	v_mul_f64 v[166:167], v[2:3], v[20:21]
	v_mul_f64 v[20:21], v[4:5], v[20:21]
	s_waitcnt vmcnt(6) lgkmcnt(0)
	v_mul_f64 v[16:17], v[6:7], v[24:25]
	v_mul_f64 v[24:25], v[8:9], v[24:25]
	v_add_f64 v[10:11], v[12:13], v[10:11]
	v_add_f64 v[12:13], v[164:165], v[178:179]
	v_fma_f64 v[164:165], v[4:5], v[18:19], v[166:167]
	v_fma_f64 v[18:19], v[2:3], v[18:19], -v[20:21]
	v_fma_f64 v[8:9], v[8:9], v[22:23], v[16:17]
	v_fma_f64 v[6:7], v[6:7], v[22:23], -v[24:25]
	v_add_f64 v[14:15], v[10:11], v[14:15]
	v_add_f64 v[20:21], v[12:13], v[174:175]
	ds_load_b128 v[2:5], v1 offset:1168
	ds_load_b128 v[10:13], v1 offset:1184
	s_waitcnt vmcnt(5) lgkmcnt(1)
	v_mul_f64 v[166:167], v[2:3], v[28:29]
	v_mul_f64 v[28:29], v[4:5], v[28:29]
	v_add_f64 v[14:15], v[14:15], v[18:19]
	v_add_f64 v[16:17], v[20:21], v[164:165]
	s_waitcnt vmcnt(4) lgkmcnt(0)
	v_mul_f64 v[18:19], v[10:11], v[32:33]
	v_mul_f64 v[20:21], v[12:13], v[32:33]
	v_fma_f64 v[22:23], v[4:5], v[26:27], v[166:167]
	v_fma_f64 v[24:25], v[2:3], v[26:27], -v[28:29]
	v_add_f64 v[14:15], v[14:15], v[6:7]
	v_add_f64 v[16:17], v[16:17], v[8:9]
	ds_load_b128 v[2:5], v1 offset:1200
	ds_load_b128 v[6:9], v1 offset:1216
	v_fma_f64 v[12:13], v[12:13], v[30:31], v[18:19]
	v_fma_f64 v[10:11], v[10:11], v[30:31], -v[20:21]
	s_waitcnt vmcnt(3) lgkmcnt(1)
	v_mul_f64 v[26:27], v[2:3], v[40:41]
	v_mul_f64 v[28:29], v[4:5], v[40:41]
	s_waitcnt vmcnt(1) lgkmcnt(0)
	v_mul_f64 v[18:19], v[6:7], v[170:171]
	v_mul_f64 v[20:21], v[8:9], v[170:171]
	v_add_f64 v[14:15], v[14:15], v[24:25]
	v_add_f64 v[16:17], v[16:17], v[22:23]
	v_fma_f64 v[22:23], v[4:5], v[38:39], v[26:27]
	v_fma_f64 v[24:25], v[2:3], v[38:39], -v[28:29]
	ds_load_b128 v[2:5], v1 offset:1232
	v_fma_f64 v[8:9], v[8:9], v[168:169], v[18:19]
	v_fma_f64 v[6:7], v[6:7], v[168:169], -v[20:21]
	v_add_f64 v[10:11], v[14:15], v[10:11]
	v_add_f64 v[12:13], v[16:17], v[12:13]
	s_waitcnt vmcnt(0) lgkmcnt(0)
	v_mul_f64 v[14:15], v[2:3], v[36:37]
	v_mul_f64 v[16:17], v[4:5], v[36:37]
	s_delay_alu instid0(VALU_DEP_4) | instskip(NEXT) | instid1(VALU_DEP_4)
	v_add_f64 v[10:11], v[10:11], v[24:25]
	v_add_f64 v[12:13], v[12:13], v[22:23]
	s_delay_alu instid0(VALU_DEP_4) | instskip(NEXT) | instid1(VALU_DEP_4)
	v_fma_f64 v[4:5], v[4:5], v[34:35], v[14:15]
	v_fma_f64 v[2:3], v[2:3], v[34:35], -v[16:17]
	s_delay_alu instid0(VALU_DEP_4) | instskip(NEXT) | instid1(VALU_DEP_4)
	v_add_f64 v[6:7], v[10:11], v[6:7]
	v_add_f64 v[8:9], v[12:13], v[8:9]
	s_delay_alu instid0(VALU_DEP_2) | instskip(NEXT) | instid1(VALU_DEP_2)
	v_add_f64 v[2:3], v[6:7], v[2:3]
	v_add_f64 v[4:5], v[8:9], v[4:5]
	s_delay_alu instid0(VALU_DEP_2) | instskip(NEXT) | instid1(VALU_DEP_2)
	v_add_f64 v[2:3], v[42:43], -v[2:3]
	v_add_f64 v[4:5], v[44:45], -v[4:5]
	scratch_store_b128 off, v[2:5], off offset:432
	v_cmpx_lt_u32_e32 26, v124
	s_cbranch_execz .LBB102_195
; %bb.194:
	scratch_load_b128 v[5:8], v131, off
	v_mov_b32_e32 v2, v1
	v_mov_b32_e32 v3, v1
	;; [unrolled: 1-line block ×3, first 2 shown]
	scratch_store_b128 off, v[1:4], off offset:416
	s_waitcnt vmcnt(0)
	ds_store_b128 v163, v[5:8]
.LBB102_195:
	s_or_b32 exec_lo, exec_lo, s2
	s_waitcnt lgkmcnt(0)
	s_waitcnt_vscnt null, 0x0
	s_barrier
	buffer_gl0_inv
	s_clause 0x8
	scratch_load_b128 v[2:5], off, off offset:432
	scratch_load_b128 v[6:9], off, off offset:448
	;; [unrolled: 1-line block ×9, first 2 shown]
	ds_load_b128 v[38:41], v1 offset:1056
	ds_load_b128 v[42:45], v1 offset:1072
	s_clause 0x1
	scratch_load_b128 v[164:167], off, off offset:416
	scratch_load_b128 v[168:171], off, off offset:576
	s_mov_b32 s2, exec_lo
	s_waitcnt vmcnt(10) lgkmcnt(1)
	v_mul_f64 v[172:173], v[40:41], v[4:5]
	v_mul_f64 v[4:5], v[38:39], v[4:5]
	s_waitcnt vmcnt(9) lgkmcnt(0)
	v_mul_f64 v[176:177], v[42:43], v[8:9]
	v_mul_f64 v[8:9], v[44:45], v[8:9]
	s_delay_alu instid0(VALU_DEP_4) | instskip(NEXT) | instid1(VALU_DEP_4)
	v_fma_f64 v[178:179], v[38:39], v[2:3], -v[172:173]
	v_fma_f64 v[180:181], v[40:41], v[2:3], v[4:5]
	ds_load_b128 v[2:5], v1 offset:1088
	ds_load_b128 v[172:175], v1 offset:1104
	scratch_load_b128 v[38:41], off, off offset:592
	v_fma_f64 v[44:45], v[44:45], v[6:7], v[176:177]
	v_fma_f64 v[42:43], v[42:43], v[6:7], -v[8:9]
	scratch_load_b128 v[6:9], off, off offset:608
	s_waitcnt vmcnt(10) lgkmcnt(1)
	v_mul_f64 v[182:183], v[2:3], v[12:13]
	v_mul_f64 v[12:13], v[4:5], v[12:13]
	v_add_f64 v[176:177], v[178:179], 0
	v_add_f64 v[178:179], v[180:181], 0
	s_waitcnt vmcnt(9) lgkmcnt(0)
	v_mul_f64 v[180:181], v[172:173], v[16:17]
	v_mul_f64 v[16:17], v[174:175], v[16:17]
	v_fma_f64 v[182:183], v[4:5], v[10:11], v[182:183]
	v_fma_f64 v[184:185], v[2:3], v[10:11], -v[12:13]
	ds_load_b128 v[2:5], v1 offset:1120
	ds_load_b128 v[10:13], v1 offset:1136
	v_add_f64 v[42:43], v[176:177], v[42:43]
	v_add_f64 v[44:45], v[178:179], v[44:45]
	v_fma_f64 v[174:175], v[174:175], v[14:15], v[180:181]
	v_fma_f64 v[14:15], v[172:173], v[14:15], -v[16:17]
	s_waitcnt vmcnt(8) lgkmcnt(1)
	v_mul_f64 v[176:177], v[2:3], v[20:21]
	v_mul_f64 v[20:21], v[4:5], v[20:21]
	v_add_f64 v[16:17], v[42:43], v[184:185]
	v_add_f64 v[42:43], v[44:45], v[182:183]
	s_waitcnt vmcnt(7) lgkmcnt(0)
	v_mul_f64 v[44:45], v[10:11], v[24:25]
	v_mul_f64 v[24:25], v[12:13], v[24:25]
	v_fma_f64 v[172:173], v[4:5], v[18:19], v[176:177]
	v_fma_f64 v[18:19], v[2:3], v[18:19], -v[20:21]
	v_add_f64 v[20:21], v[16:17], v[14:15]
	v_add_f64 v[42:43], v[42:43], v[174:175]
	ds_load_b128 v[2:5], v1 offset:1152
	ds_load_b128 v[14:17], v1 offset:1168
	v_fma_f64 v[12:13], v[12:13], v[22:23], v[44:45]
	v_fma_f64 v[10:11], v[10:11], v[22:23], -v[24:25]
	s_waitcnt vmcnt(6) lgkmcnt(1)
	v_mul_f64 v[174:175], v[2:3], v[28:29]
	v_mul_f64 v[28:29], v[4:5], v[28:29]
	s_waitcnt vmcnt(5) lgkmcnt(0)
	v_mul_f64 v[22:23], v[14:15], v[32:33]
	v_mul_f64 v[24:25], v[16:17], v[32:33]
	v_add_f64 v[18:19], v[20:21], v[18:19]
	v_add_f64 v[20:21], v[42:43], v[172:173]
	v_fma_f64 v[32:33], v[4:5], v[26:27], v[174:175]
	v_fma_f64 v[26:27], v[2:3], v[26:27], -v[28:29]
	v_fma_f64 v[16:17], v[16:17], v[30:31], v[22:23]
	v_fma_f64 v[14:15], v[14:15], v[30:31], -v[24:25]
	v_add_f64 v[18:19], v[18:19], v[10:11]
	v_add_f64 v[20:21], v[20:21], v[12:13]
	ds_load_b128 v[2:5], v1 offset:1184
	ds_load_b128 v[10:13], v1 offset:1200
	s_waitcnt vmcnt(4) lgkmcnt(1)
	v_mul_f64 v[28:29], v[2:3], v[36:37]
	v_mul_f64 v[36:37], v[4:5], v[36:37]
	s_waitcnt vmcnt(2) lgkmcnt(0)
	v_mul_f64 v[22:23], v[10:11], v[170:171]
	v_mul_f64 v[24:25], v[12:13], v[170:171]
	v_add_f64 v[18:19], v[18:19], v[26:27]
	v_add_f64 v[20:21], v[20:21], v[32:33]
	v_fma_f64 v[26:27], v[4:5], v[34:35], v[28:29]
	v_fma_f64 v[28:29], v[2:3], v[34:35], -v[36:37]
	v_fma_f64 v[12:13], v[12:13], v[168:169], v[22:23]
	v_fma_f64 v[10:11], v[10:11], v[168:169], -v[24:25]
	v_add_f64 v[18:19], v[18:19], v[14:15]
	v_add_f64 v[20:21], v[20:21], v[16:17]
	ds_load_b128 v[2:5], v1 offset:1216
	ds_load_b128 v[14:17], v1 offset:1232
	s_waitcnt vmcnt(1) lgkmcnt(1)
	v_mul_f64 v[30:31], v[2:3], v[40:41]
	v_mul_f64 v[32:33], v[4:5], v[40:41]
	s_waitcnt vmcnt(0) lgkmcnt(0)
	v_mul_f64 v[22:23], v[14:15], v[8:9]
	v_mul_f64 v[8:9], v[16:17], v[8:9]
	v_add_f64 v[18:19], v[18:19], v[28:29]
	v_add_f64 v[20:21], v[20:21], v[26:27]
	v_fma_f64 v[4:5], v[4:5], v[38:39], v[30:31]
	v_fma_f64 v[1:2], v[2:3], v[38:39], -v[32:33]
	v_fma_f64 v[16:17], v[16:17], v[6:7], v[22:23]
	v_fma_f64 v[6:7], v[14:15], v[6:7], -v[8:9]
	v_add_f64 v[10:11], v[18:19], v[10:11]
	v_add_f64 v[12:13], v[20:21], v[12:13]
	s_delay_alu instid0(VALU_DEP_2) | instskip(NEXT) | instid1(VALU_DEP_2)
	v_add_f64 v[1:2], v[10:11], v[1:2]
	v_add_f64 v[3:4], v[12:13], v[4:5]
	s_delay_alu instid0(VALU_DEP_2) | instskip(NEXT) | instid1(VALU_DEP_2)
	;; [unrolled: 3-line block ×3, first 2 shown]
	v_add_f64 v[1:2], v[164:165], -v[1:2]
	v_add_f64 v[3:4], v[166:167], -v[3:4]
	scratch_store_b128 off, v[1:4], off offset:416
	v_cmpx_lt_u32_e32 25, v124
	s_cbranch_execz .LBB102_197
; %bb.196:
	scratch_load_b128 v[1:4], v132, off
	v_mov_b32_e32 v5, 0
	s_delay_alu instid0(VALU_DEP_1)
	v_mov_b32_e32 v6, v5
	v_mov_b32_e32 v7, v5
	;; [unrolled: 1-line block ×3, first 2 shown]
	scratch_store_b128 off, v[5:8], off offset:400
	s_waitcnt vmcnt(0)
	ds_store_b128 v163, v[1:4]
.LBB102_197:
	s_or_b32 exec_lo, exec_lo, s2
	s_waitcnt lgkmcnt(0)
	s_waitcnt_vscnt null, 0x0
	s_barrier
	buffer_gl0_inv
	s_clause 0x7
	scratch_load_b128 v[2:5], off, off offset:416
	scratch_load_b128 v[6:9], off, off offset:432
	;; [unrolled: 1-line block ×8, first 2 shown]
	v_mov_b32_e32 v1, 0
	s_mov_b32 s2, exec_lo
	ds_load_b128 v[34:37], v1 offset:1040
	s_clause 0x1
	scratch_load_b128 v[38:41], off, off offset:544
	scratch_load_b128 v[42:45], off, off offset:400
	ds_load_b128 v[164:167], v1 offset:1056
	scratch_load_b128 v[168:171], off, off offset:560
	s_waitcnt vmcnt(10) lgkmcnt(1)
	v_mul_f64 v[172:173], v[36:37], v[4:5]
	v_mul_f64 v[4:5], v[34:35], v[4:5]
	s_delay_alu instid0(VALU_DEP_2) | instskip(NEXT) | instid1(VALU_DEP_2)
	v_fma_f64 v[178:179], v[34:35], v[2:3], -v[172:173]
	v_fma_f64 v[180:181], v[36:37], v[2:3], v[4:5]
	scratch_load_b128 v[34:37], off, off offset:576
	ds_load_b128 v[2:5], v1 offset:1072
	s_waitcnt vmcnt(10) lgkmcnt(1)
	v_mul_f64 v[176:177], v[164:165], v[8:9]
	v_mul_f64 v[8:9], v[166:167], v[8:9]
	ds_load_b128 v[172:175], v1 offset:1088
	s_waitcnt vmcnt(9) lgkmcnt(1)
	v_mul_f64 v[182:183], v[2:3], v[12:13]
	v_mul_f64 v[12:13], v[4:5], v[12:13]
	v_fma_f64 v[166:167], v[166:167], v[6:7], v[176:177]
	v_fma_f64 v[164:165], v[164:165], v[6:7], -v[8:9]
	v_add_f64 v[176:177], v[178:179], 0
	v_add_f64 v[178:179], v[180:181], 0
	scratch_load_b128 v[6:9], off, off offset:592
	v_fma_f64 v[182:183], v[4:5], v[10:11], v[182:183]
	v_fma_f64 v[184:185], v[2:3], v[10:11], -v[12:13]
	scratch_load_b128 v[10:13], off, off offset:608
	ds_load_b128 v[2:5], v1 offset:1104
	s_waitcnt vmcnt(10) lgkmcnt(1)
	v_mul_f64 v[180:181], v[172:173], v[16:17]
	v_mul_f64 v[16:17], v[174:175], v[16:17]
	v_add_f64 v[176:177], v[176:177], v[164:165]
	v_add_f64 v[178:179], v[178:179], v[166:167]
	s_waitcnt vmcnt(9) lgkmcnt(0)
	v_mul_f64 v[186:187], v[2:3], v[20:21]
	v_mul_f64 v[20:21], v[4:5], v[20:21]
	ds_load_b128 v[164:167], v1 offset:1120
	v_fma_f64 v[174:175], v[174:175], v[14:15], v[180:181]
	v_fma_f64 v[14:15], v[172:173], v[14:15], -v[16:17]
	v_add_f64 v[16:17], v[176:177], v[184:185]
	v_add_f64 v[172:173], v[178:179], v[182:183]
	s_waitcnt vmcnt(8) lgkmcnt(0)
	v_mul_f64 v[176:177], v[164:165], v[24:25]
	v_mul_f64 v[24:25], v[166:167], v[24:25]
	v_fma_f64 v[178:179], v[4:5], v[18:19], v[186:187]
	v_fma_f64 v[18:19], v[2:3], v[18:19], -v[20:21]
	v_add_f64 v[20:21], v[16:17], v[14:15]
	v_add_f64 v[172:173], v[172:173], v[174:175]
	ds_load_b128 v[2:5], v1 offset:1136
	ds_load_b128 v[14:17], v1 offset:1152
	v_fma_f64 v[166:167], v[166:167], v[22:23], v[176:177]
	v_fma_f64 v[22:23], v[164:165], v[22:23], -v[24:25]
	s_waitcnt vmcnt(7) lgkmcnt(1)
	v_mul_f64 v[174:175], v[2:3], v[28:29]
	v_mul_f64 v[28:29], v[4:5], v[28:29]
	s_waitcnt vmcnt(6) lgkmcnt(0)
	v_mul_f64 v[24:25], v[14:15], v[32:33]
	v_mul_f64 v[32:33], v[16:17], v[32:33]
	v_add_f64 v[18:19], v[20:21], v[18:19]
	v_add_f64 v[20:21], v[172:173], v[178:179]
	v_fma_f64 v[164:165], v[4:5], v[26:27], v[174:175]
	v_fma_f64 v[26:27], v[2:3], v[26:27], -v[28:29]
	v_fma_f64 v[16:17], v[16:17], v[30:31], v[24:25]
	v_fma_f64 v[14:15], v[14:15], v[30:31], -v[32:33]
	v_add_f64 v[22:23], v[18:19], v[22:23]
	v_add_f64 v[28:29], v[20:21], v[166:167]
	ds_load_b128 v[2:5], v1 offset:1168
	ds_load_b128 v[18:21], v1 offset:1184
	s_waitcnt vmcnt(5) lgkmcnt(1)
	v_mul_f64 v[166:167], v[2:3], v[40:41]
	v_mul_f64 v[40:41], v[4:5], v[40:41]
	v_add_f64 v[22:23], v[22:23], v[26:27]
	v_add_f64 v[24:25], v[28:29], v[164:165]
	s_waitcnt vmcnt(3) lgkmcnt(0)
	v_mul_f64 v[26:27], v[18:19], v[170:171]
	v_mul_f64 v[28:29], v[20:21], v[170:171]
	v_fma_f64 v[30:31], v[4:5], v[38:39], v[166:167]
	v_fma_f64 v[32:33], v[2:3], v[38:39], -v[40:41]
	v_add_f64 v[22:23], v[22:23], v[14:15]
	v_add_f64 v[24:25], v[24:25], v[16:17]
	ds_load_b128 v[2:5], v1 offset:1200
	ds_load_b128 v[14:17], v1 offset:1216
	v_fma_f64 v[20:21], v[20:21], v[168:169], v[26:27]
	v_fma_f64 v[18:19], v[18:19], v[168:169], -v[28:29]
	s_waitcnt vmcnt(2) lgkmcnt(1)
	v_mul_f64 v[38:39], v[2:3], v[36:37]
	v_mul_f64 v[36:37], v[4:5], v[36:37]
	v_add_f64 v[22:23], v[22:23], v[32:33]
	v_add_f64 v[24:25], v[24:25], v[30:31]
	s_waitcnt vmcnt(1) lgkmcnt(0)
	v_mul_f64 v[26:27], v[14:15], v[8:9]
	v_mul_f64 v[8:9], v[16:17], v[8:9]
	v_fma_f64 v[28:29], v[4:5], v[34:35], v[38:39]
	v_fma_f64 v[30:31], v[2:3], v[34:35], -v[36:37]
	ds_load_b128 v[2:5], v1 offset:1232
	v_add_f64 v[18:19], v[22:23], v[18:19]
	v_add_f64 v[20:21], v[24:25], v[20:21]
	s_waitcnt vmcnt(0) lgkmcnt(0)
	v_mul_f64 v[22:23], v[2:3], v[12:13]
	v_mul_f64 v[12:13], v[4:5], v[12:13]
	v_fma_f64 v[16:17], v[16:17], v[6:7], v[26:27]
	v_fma_f64 v[6:7], v[14:15], v[6:7], -v[8:9]
	v_add_f64 v[8:9], v[18:19], v[30:31]
	v_add_f64 v[14:15], v[20:21], v[28:29]
	v_fma_f64 v[4:5], v[4:5], v[10:11], v[22:23]
	v_fma_f64 v[2:3], v[2:3], v[10:11], -v[12:13]
	s_delay_alu instid0(VALU_DEP_4) | instskip(NEXT) | instid1(VALU_DEP_4)
	v_add_f64 v[6:7], v[8:9], v[6:7]
	v_add_f64 v[8:9], v[14:15], v[16:17]
	s_delay_alu instid0(VALU_DEP_2) | instskip(NEXT) | instid1(VALU_DEP_2)
	v_add_f64 v[2:3], v[6:7], v[2:3]
	v_add_f64 v[4:5], v[8:9], v[4:5]
	s_delay_alu instid0(VALU_DEP_2) | instskip(NEXT) | instid1(VALU_DEP_2)
	v_add_f64 v[2:3], v[42:43], -v[2:3]
	v_add_f64 v[4:5], v[44:45], -v[4:5]
	scratch_store_b128 off, v[2:5], off offset:400
	v_cmpx_lt_u32_e32 24, v124
	s_cbranch_execz .LBB102_199
; %bb.198:
	scratch_load_b128 v[5:8], v134, off
	v_mov_b32_e32 v2, v1
	v_mov_b32_e32 v3, v1
	;; [unrolled: 1-line block ×3, first 2 shown]
	scratch_store_b128 off, v[1:4], off offset:384
	s_waitcnt vmcnt(0)
	ds_store_b128 v163, v[5:8]
.LBB102_199:
	s_or_b32 exec_lo, exec_lo, s2
	s_waitcnt lgkmcnt(0)
	s_waitcnt_vscnt null, 0x0
	s_barrier
	buffer_gl0_inv
	s_clause 0x8
	scratch_load_b128 v[2:5], off, off offset:400
	scratch_load_b128 v[6:9], off, off offset:416
	;; [unrolled: 1-line block ×9, first 2 shown]
	ds_load_b128 v[38:41], v1 offset:1024
	ds_load_b128 v[42:45], v1 offset:1040
	s_clause 0x1
	scratch_load_b128 v[164:167], off, off offset:384
	scratch_load_b128 v[168:171], off, off offset:544
	s_mov_b32 s2, exec_lo
	s_waitcnt vmcnt(10) lgkmcnt(1)
	v_mul_f64 v[172:173], v[40:41], v[4:5]
	v_mul_f64 v[4:5], v[38:39], v[4:5]
	s_waitcnt vmcnt(9) lgkmcnt(0)
	v_mul_f64 v[176:177], v[42:43], v[8:9]
	v_mul_f64 v[8:9], v[44:45], v[8:9]
	s_delay_alu instid0(VALU_DEP_4) | instskip(NEXT) | instid1(VALU_DEP_4)
	v_fma_f64 v[178:179], v[38:39], v[2:3], -v[172:173]
	v_fma_f64 v[180:181], v[40:41], v[2:3], v[4:5]
	ds_load_b128 v[2:5], v1 offset:1056
	ds_load_b128 v[172:175], v1 offset:1072
	scratch_load_b128 v[38:41], off, off offset:560
	v_fma_f64 v[44:45], v[44:45], v[6:7], v[176:177]
	v_fma_f64 v[42:43], v[42:43], v[6:7], -v[8:9]
	scratch_load_b128 v[6:9], off, off offset:576
	s_waitcnt vmcnt(10) lgkmcnt(1)
	v_mul_f64 v[182:183], v[2:3], v[12:13]
	v_mul_f64 v[12:13], v[4:5], v[12:13]
	v_add_f64 v[176:177], v[178:179], 0
	v_add_f64 v[178:179], v[180:181], 0
	s_waitcnt vmcnt(9) lgkmcnt(0)
	v_mul_f64 v[180:181], v[172:173], v[16:17]
	v_mul_f64 v[16:17], v[174:175], v[16:17]
	v_fma_f64 v[182:183], v[4:5], v[10:11], v[182:183]
	v_fma_f64 v[184:185], v[2:3], v[10:11], -v[12:13]
	ds_load_b128 v[2:5], v1 offset:1088
	scratch_load_b128 v[10:13], off, off offset:592
	v_add_f64 v[176:177], v[176:177], v[42:43]
	v_add_f64 v[178:179], v[178:179], v[44:45]
	ds_load_b128 v[42:45], v1 offset:1104
	v_fma_f64 v[174:175], v[174:175], v[14:15], v[180:181]
	v_fma_f64 v[172:173], v[172:173], v[14:15], -v[16:17]
	scratch_load_b128 v[14:17], off, off offset:608
	s_waitcnt vmcnt(10) lgkmcnt(1)
	v_mul_f64 v[186:187], v[2:3], v[20:21]
	v_mul_f64 v[20:21], v[4:5], v[20:21]
	s_waitcnt vmcnt(9) lgkmcnt(0)
	v_mul_f64 v[180:181], v[42:43], v[24:25]
	v_mul_f64 v[24:25], v[44:45], v[24:25]
	v_add_f64 v[176:177], v[176:177], v[184:185]
	v_add_f64 v[178:179], v[178:179], v[182:183]
	v_fma_f64 v[182:183], v[4:5], v[18:19], v[186:187]
	v_fma_f64 v[184:185], v[2:3], v[18:19], -v[20:21]
	ds_load_b128 v[2:5], v1 offset:1120
	ds_load_b128 v[18:21], v1 offset:1136
	v_fma_f64 v[44:45], v[44:45], v[22:23], v[180:181]
	v_fma_f64 v[22:23], v[42:43], v[22:23], -v[24:25]
	v_add_f64 v[172:173], v[176:177], v[172:173]
	v_add_f64 v[174:175], v[178:179], v[174:175]
	s_waitcnt vmcnt(8) lgkmcnt(1)
	v_mul_f64 v[176:177], v[2:3], v[28:29]
	v_mul_f64 v[28:29], v[4:5], v[28:29]
	s_delay_alu instid0(VALU_DEP_4) | instskip(NEXT) | instid1(VALU_DEP_4)
	v_add_f64 v[24:25], v[172:173], v[184:185]
	v_add_f64 v[42:43], v[174:175], v[182:183]
	s_waitcnt vmcnt(7) lgkmcnt(0)
	v_mul_f64 v[172:173], v[18:19], v[32:33]
	v_mul_f64 v[32:33], v[20:21], v[32:33]
	v_fma_f64 v[174:175], v[4:5], v[26:27], v[176:177]
	v_fma_f64 v[26:27], v[2:3], v[26:27], -v[28:29]
	v_add_f64 v[28:29], v[24:25], v[22:23]
	v_add_f64 v[42:43], v[42:43], v[44:45]
	ds_load_b128 v[2:5], v1 offset:1152
	ds_load_b128 v[22:25], v1 offset:1168
	v_fma_f64 v[20:21], v[20:21], v[30:31], v[172:173]
	v_fma_f64 v[18:19], v[18:19], v[30:31], -v[32:33]
	s_waitcnt vmcnt(6) lgkmcnt(1)
	v_mul_f64 v[44:45], v[2:3], v[36:37]
	v_mul_f64 v[36:37], v[4:5], v[36:37]
	s_waitcnt vmcnt(4) lgkmcnt(0)
	v_mul_f64 v[30:31], v[22:23], v[170:171]
	v_mul_f64 v[32:33], v[24:25], v[170:171]
	v_add_f64 v[26:27], v[28:29], v[26:27]
	v_add_f64 v[28:29], v[42:43], v[174:175]
	v_fma_f64 v[42:43], v[4:5], v[34:35], v[44:45]
	v_fma_f64 v[34:35], v[2:3], v[34:35], -v[36:37]
	v_fma_f64 v[24:25], v[24:25], v[168:169], v[30:31]
	v_fma_f64 v[22:23], v[22:23], v[168:169], -v[32:33]
	v_add_f64 v[26:27], v[26:27], v[18:19]
	v_add_f64 v[28:29], v[28:29], v[20:21]
	ds_load_b128 v[2:5], v1 offset:1184
	ds_load_b128 v[18:21], v1 offset:1200
	s_waitcnt vmcnt(3) lgkmcnt(1)
	v_mul_f64 v[36:37], v[2:3], v[40:41]
	v_mul_f64 v[40:41], v[4:5], v[40:41]
	s_waitcnt vmcnt(2) lgkmcnt(0)
	v_mul_f64 v[30:31], v[18:19], v[8:9]
	v_mul_f64 v[8:9], v[20:21], v[8:9]
	v_add_f64 v[26:27], v[26:27], v[34:35]
	v_add_f64 v[28:29], v[28:29], v[42:43]
	v_fma_f64 v[32:33], v[4:5], v[38:39], v[36:37]
	v_fma_f64 v[34:35], v[2:3], v[38:39], -v[40:41]
	v_fma_f64 v[20:21], v[20:21], v[6:7], v[30:31]
	v_fma_f64 v[6:7], v[18:19], v[6:7], -v[8:9]
	v_add_f64 v[26:27], v[26:27], v[22:23]
	v_add_f64 v[28:29], v[28:29], v[24:25]
	ds_load_b128 v[2:5], v1 offset:1216
	ds_load_b128 v[22:25], v1 offset:1232
	s_waitcnt vmcnt(1) lgkmcnt(1)
	v_mul_f64 v[36:37], v[2:3], v[12:13]
	v_mul_f64 v[12:13], v[4:5], v[12:13]
	v_add_f64 v[8:9], v[26:27], v[34:35]
	v_add_f64 v[18:19], v[28:29], v[32:33]
	s_waitcnt vmcnt(0) lgkmcnt(0)
	v_mul_f64 v[26:27], v[22:23], v[16:17]
	v_mul_f64 v[16:17], v[24:25], v[16:17]
	v_fma_f64 v[4:5], v[4:5], v[10:11], v[36:37]
	v_fma_f64 v[1:2], v[2:3], v[10:11], -v[12:13]
	v_add_f64 v[6:7], v[8:9], v[6:7]
	v_add_f64 v[8:9], v[18:19], v[20:21]
	v_fma_f64 v[10:11], v[24:25], v[14:15], v[26:27]
	v_fma_f64 v[12:13], v[22:23], v[14:15], -v[16:17]
	s_delay_alu instid0(VALU_DEP_4) | instskip(NEXT) | instid1(VALU_DEP_4)
	v_add_f64 v[1:2], v[6:7], v[1:2]
	v_add_f64 v[3:4], v[8:9], v[4:5]
	s_delay_alu instid0(VALU_DEP_2) | instskip(NEXT) | instid1(VALU_DEP_2)
	v_add_f64 v[1:2], v[1:2], v[12:13]
	v_add_f64 v[3:4], v[3:4], v[10:11]
	s_delay_alu instid0(VALU_DEP_2) | instskip(NEXT) | instid1(VALU_DEP_2)
	v_add_f64 v[1:2], v[164:165], -v[1:2]
	v_add_f64 v[3:4], v[166:167], -v[3:4]
	scratch_store_b128 off, v[1:4], off offset:384
	v_cmpx_lt_u32_e32 23, v124
	s_cbranch_execz .LBB102_201
; %bb.200:
	scratch_load_b128 v[1:4], v136, off
	v_mov_b32_e32 v5, 0
	s_delay_alu instid0(VALU_DEP_1)
	v_mov_b32_e32 v6, v5
	v_mov_b32_e32 v7, v5
	;; [unrolled: 1-line block ×3, first 2 shown]
	scratch_store_b128 off, v[5:8], off offset:368
	s_waitcnt vmcnt(0)
	ds_store_b128 v163, v[1:4]
.LBB102_201:
	s_or_b32 exec_lo, exec_lo, s2
	s_waitcnt lgkmcnt(0)
	s_waitcnt_vscnt null, 0x0
	s_barrier
	buffer_gl0_inv
	s_clause 0x7
	scratch_load_b128 v[2:5], off, off offset:384
	scratch_load_b128 v[6:9], off, off offset:400
	;; [unrolled: 1-line block ×8, first 2 shown]
	v_mov_b32_e32 v1, 0
	s_mov_b32 s2, exec_lo
	ds_load_b128 v[34:37], v1 offset:1008
	s_clause 0x1
	scratch_load_b128 v[38:41], off, off offset:512
	scratch_load_b128 v[42:45], off, off offset:368
	ds_load_b128 v[164:167], v1 offset:1024
	scratch_load_b128 v[168:171], off, off offset:528
	s_waitcnt vmcnt(10) lgkmcnt(1)
	v_mul_f64 v[172:173], v[36:37], v[4:5]
	v_mul_f64 v[4:5], v[34:35], v[4:5]
	s_delay_alu instid0(VALU_DEP_2) | instskip(NEXT) | instid1(VALU_DEP_2)
	v_fma_f64 v[178:179], v[34:35], v[2:3], -v[172:173]
	v_fma_f64 v[180:181], v[36:37], v[2:3], v[4:5]
	scratch_load_b128 v[34:37], off, off offset:544
	ds_load_b128 v[2:5], v1 offset:1040
	s_waitcnt vmcnt(10) lgkmcnt(1)
	v_mul_f64 v[176:177], v[164:165], v[8:9]
	v_mul_f64 v[8:9], v[166:167], v[8:9]
	ds_load_b128 v[172:175], v1 offset:1056
	s_waitcnt vmcnt(9) lgkmcnt(1)
	v_mul_f64 v[182:183], v[2:3], v[12:13]
	v_mul_f64 v[12:13], v[4:5], v[12:13]
	v_fma_f64 v[166:167], v[166:167], v[6:7], v[176:177]
	v_fma_f64 v[164:165], v[164:165], v[6:7], -v[8:9]
	v_add_f64 v[176:177], v[178:179], 0
	v_add_f64 v[178:179], v[180:181], 0
	scratch_load_b128 v[6:9], off, off offset:560
	v_fma_f64 v[182:183], v[4:5], v[10:11], v[182:183]
	v_fma_f64 v[184:185], v[2:3], v[10:11], -v[12:13]
	scratch_load_b128 v[10:13], off, off offset:576
	ds_load_b128 v[2:5], v1 offset:1072
	s_waitcnt vmcnt(10) lgkmcnt(1)
	v_mul_f64 v[180:181], v[172:173], v[16:17]
	v_mul_f64 v[16:17], v[174:175], v[16:17]
	v_add_f64 v[176:177], v[176:177], v[164:165]
	v_add_f64 v[178:179], v[178:179], v[166:167]
	s_waitcnt vmcnt(9) lgkmcnt(0)
	v_mul_f64 v[186:187], v[2:3], v[20:21]
	v_mul_f64 v[20:21], v[4:5], v[20:21]
	ds_load_b128 v[164:167], v1 offset:1088
	v_fma_f64 v[174:175], v[174:175], v[14:15], v[180:181]
	v_fma_f64 v[172:173], v[172:173], v[14:15], -v[16:17]
	scratch_load_b128 v[14:17], off, off offset:592
	v_add_f64 v[176:177], v[176:177], v[184:185]
	v_add_f64 v[178:179], v[178:179], v[182:183]
	v_fma_f64 v[182:183], v[4:5], v[18:19], v[186:187]
	v_fma_f64 v[184:185], v[2:3], v[18:19], -v[20:21]
	scratch_load_b128 v[18:21], off, off offset:608
	ds_load_b128 v[2:5], v1 offset:1104
	s_waitcnt vmcnt(10) lgkmcnt(1)
	v_mul_f64 v[180:181], v[164:165], v[24:25]
	v_mul_f64 v[24:25], v[166:167], v[24:25]
	s_waitcnt vmcnt(9) lgkmcnt(0)
	v_mul_f64 v[186:187], v[2:3], v[28:29]
	v_mul_f64 v[28:29], v[4:5], v[28:29]
	v_add_f64 v[176:177], v[176:177], v[172:173]
	v_add_f64 v[178:179], v[178:179], v[174:175]
	ds_load_b128 v[172:175], v1 offset:1120
	v_fma_f64 v[166:167], v[166:167], v[22:23], v[180:181]
	v_fma_f64 v[22:23], v[164:165], v[22:23], -v[24:25]
	v_add_f64 v[24:25], v[176:177], v[184:185]
	v_add_f64 v[164:165], v[178:179], v[182:183]
	s_waitcnt vmcnt(8) lgkmcnt(0)
	v_mul_f64 v[176:177], v[172:173], v[32:33]
	v_mul_f64 v[32:33], v[174:175], v[32:33]
	v_fma_f64 v[178:179], v[4:5], v[26:27], v[186:187]
	v_fma_f64 v[26:27], v[2:3], v[26:27], -v[28:29]
	v_add_f64 v[28:29], v[24:25], v[22:23]
	v_add_f64 v[164:165], v[164:165], v[166:167]
	ds_load_b128 v[2:5], v1 offset:1136
	ds_load_b128 v[22:25], v1 offset:1152
	v_fma_f64 v[174:175], v[174:175], v[30:31], v[176:177]
	v_fma_f64 v[30:31], v[172:173], v[30:31], -v[32:33]
	s_waitcnt vmcnt(7) lgkmcnt(1)
	v_mul_f64 v[166:167], v[2:3], v[40:41]
	v_mul_f64 v[40:41], v[4:5], v[40:41]
	s_waitcnt vmcnt(5) lgkmcnt(0)
	v_mul_f64 v[32:33], v[22:23], v[170:171]
	v_add_f64 v[26:27], v[28:29], v[26:27]
	v_add_f64 v[28:29], v[164:165], v[178:179]
	v_mul_f64 v[164:165], v[24:25], v[170:171]
	v_fma_f64 v[166:167], v[4:5], v[38:39], v[166:167]
	v_fma_f64 v[38:39], v[2:3], v[38:39], -v[40:41]
	v_fma_f64 v[24:25], v[24:25], v[168:169], v[32:33]
	v_add_f64 v[30:31], v[26:27], v[30:31]
	v_add_f64 v[40:41], v[28:29], v[174:175]
	ds_load_b128 v[2:5], v1 offset:1168
	ds_load_b128 v[26:29], v1 offset:1184
	v_fma_f64 v[22:23], v[22:23], v[168:169], -v[164:165]
	s_waitcnt vmcnt(4) lgkmcnt(1)
	v_mul_f64 v[170:171], v[2:3], v[36:37]
	v_mul_f64 v[36:37], v[4:5], v[36:37]
	v_add_f64 v[30:31], v[30:31], v[38:39]
	v_add_f64 v[32:33], v[40:41], v[166:167]
	s_waitcnt vmcnt(3) lgkmcnt(0)
	v_mul_f64 v[38:39], v[26:27], v[8:9]
	v_mul_f64 v[8:9], v[28:29], v[8:9]
	v_fma_f64 v[40:41], v[4:5], v[34:35], v[170:171]
	v_fma_f64 v[34:35], v[2:3], v[34:35], -v[36:37]
	v_add_f64 v[30:31], v[30:31], v[22:23]
	v_add_f64 v[32:33], v[32:33], v[24:25]
	ds_load_b128 v[2:5], v1 offset:1200
	ds_load_b128 v[22:25], v1 offset:1216
	v_fma_f64 v[28:29], v[28:29], v[6:7], v[38:39]
	v_fma_f64 v[6:7], v[26:27], v[6:7], -v[8:9]
	s_waitcnt vmcnt(2) lgkmcnt(1)
	v_mul_f64 v[36:37], v[2:3], v[12:13]
	v_mul_f64 v[12:13], v[4:5], v[12:13]
	v_add_f64 v[8:9], v[30:31], v[34:35]
	v_add_f64 v[26:27], v[32:33], v[40:41]
	s_waitcnt vmcnt(1) lgkmcnt(0)
	v_mul_f64 v[30:31], v[22:23], v[16:17]
	v_mul_f64 v[16:17], v[24:25], v[16:17]
	v_fma_f64 v[32:33], v[4:5], v[10:11], v[36:37]
	v_fma_f64 v[10:11], v[2:3], v[10:11], -v[12:13]
	ds_load_b128 v[2:5], v1 offset:1232
	v_add_f64 v[6:7], v[8:9], v[6:7]
	v_add_f64 v[8:9], v[26:27], v[28:29]
	v_fma_f64 v[24:25], v[24:25], v[14:15], v[30:31]
	v_fma_f64 v[14:15], v[22:23], v[14:15], -v[16:17]
	s_waitcnt vmcnt(0) lgkmcnt(0)
	v_mul_f64 v[12:13], v[2:3], v[20:21]
	v_mul_f64 v[20:21], v[4:5], v[20:21]
	v_add_f64 v[6:7], v[6:7], v[10:11]
	v_add_f64 v[8:9], v[8:9], v[32:33]
	s_delay_alu instid0(VALU_DEP_4) | instskip(NEXT) | instid1(VALU_DEP_4)
	v_fma_f64 v[4:5], v[4:5], v[18:19], v[12:13]
	v_fma_f64 v[2:3], v[2:3], v[18:19], -v[20:21]
	s_delay_alu instid0(VALU_DEP_4) | instskip(NEXT) | instid1(VALU_DEP_4)
	v_add_f64 v[6:7], v[6:7], v[14:15]
	v_add_f64 v[8:9], v[8:9], v[24:25]
	s_delay_alu instid0(VALU_DEP_2) | instskip(NEXT) | instid1(VALU_DEP_2)
	v_add_f64 v[2:3], v[6:7], v[2:3]
	v_add_f64 v[4:5], v[8:9], v[4:5]
	s_delay_alu instid0(VALU_DEP_2) | instskip(NEXT) | instid1(VALU_DEP_2)
	v_add_f64 v[2:3], v[42:43], -v[2:3]
	v_add_f64 v[4:5], v[44:45], -v[4:5]
	scratch_store_b128 off, v[2:5], off offset:368
	v_cmpx_lt_u32_e32 22, v124
	s_cbranch_execz .LBB102_203
; %bb.202:
	scratch_load_b128 v[5:8], v138, off
	v_mov_b32_e32 v2, v1
	v_mov_b32_e32 v3, v1
	;; [unrolled: 1-line block ×3, first 2 shown]
	scratch_store_b128 off, v[1:4], off offset:352
	s_waitcnt vmcnt(0)
	ds_store_b128 v163, v[5:8]
.LBB102_203:
	s_or_b32 exec_lo, exec_lo, s2
	s_waitcnt lgkmcnt(0)
	s_waitcnt_vscnt null, 0x0
	s_barrier
	buffer_gl0_inv
	s_clause 0x8
	scratch_load_b128 v[2:5], off, off offset:368
	scratch_load_b128 v[6:9], off, off offset:384
	;; [unrolled: 1-line block ×9, first 2 shown]
	ds_load_b128 v[38:41], v1 offset:992
	ds_load_b128 v[42:45], v1 offset:1008
	s_clause 0x1
	scratch_load_b128 v[164:167], off, off offset:352
	scratch_load_b128 v[168:171], off, off offset:512
	s_mov_b32 s2, exec_lo
	s_waitcnt vmcnt(10) lgkmcnt(1)
	v_mul_f64 v[172:173], v[40:41], v[4:5]
	v_mul_f64 v[4:5], v[38:39], v[4:5]
	s_waitcnt vmcnt(9) lgkmcnt(0)
	v_mul_f64 v[176:177], v[42:43], v[8:9]
	v_mul_f64 v[8:9], v[44:45], v[8:9]
	s_delay_alu instid0(VALU_DEP_4) | instskip(NEXT) | instid1(VALU_DEP_4)
	v_fma_f64 v[178:179], v[38:39], v[2:3], -v[172:173]
	v_fma_f64 v[180:181], v[40:41], v[2:3], v[4:5]
	ds_load_b128 v[2:5], v1 offset:1024
	ds_load_b128 v[172:175], v1 offset:1040
	scratch_load_b128 v[38:41], off, off offset:528
	v_fma_f64 v[44:45], v[44:45], v[6:7], v[176:177]
	v_fma_f64 v[42:43], v[42:43], v[6:7], -v[8:9]
	scratch_load_b128 v[6:9], off, off offset:544
	s_waitcnt vmcnt(10) lgkmcnt(1)
	v_mul_f64 v[182:183], v[2:3], v[12:13]
	v_mul_f64 v[12:13], v[4:5], v[12:13]
	v_add_f64 v[176:177], v[178:179], 0
	v_add_f64 v[178:179], v[180:181], 0
	s_waitcnt vmcnt(9) lgkmcnt(0)
	v_mul_f64 v[180:181], v[172:173], v[16:17]
	v_mul_f64 v[16:17], v[174:175], v[16:17]
	v_fma_f64 v[182:183], v[4:5], v[10:11], v[182:183]
	v_fma_f64 v[184:185], v[2:3], v[10:11], -v[12:13]
	ds_load_b128 v[2:5], v1 offset:1056
	scratch_load_b128 v[10:13], off, off offset:560
	v_add_f64 v[176:177], v[176:177], v[42:43]
	v_add_f64 v[178:179], v[178:179], v[44:45]
	ds_load_b128 v[42:45], v1 offset:1072
	v_fma_f64 v[174:175], v[174:175], v[14:15], v[180:181]
	v_fma_f64 v[172:173], v[172:173], v[14:15], -v[16:17]
	scratch_load_b128 v[14:17], off, off offset:576
	s_waitcnt vmcnt(10) lgkmcnt(1)
	v_mul_f64 v[186:187], v[2:3], v[20:21]
	v_mul_f64 v[20:21], v[4:5], v[20:21]
	s_waitcnt vmcnt(9) lgkmcnt(0)
	v_mul_f64 v[180:181], v[42:43], v[24:25]
	v_mul_f64 v[24:25], v[44:45], v[24:25]
	v_add_f64 v[176:177], v[176:177], v[184:185]
	v_add_f64 v[178:179], v[178:179], v[182:183]
	v_fma_f64 v[182:183], v[4:5], v[18:19], v[186:187]
	v_fma_f64 v[184:185], v[2:3], v[18:19], -v[20:21]
	ds_load_b128 v[2:5], v1 offset:1088
	scratch_load_b128 v[18:21], off, off offset:592
	v_fma_f64 v[44:45], v[44:45], v[22:23], v[180:181]
	v_fma_f64 v[42:43], v[42:43], v[22:23], -v[24:25]
	scratch_load_b128 v[22:25], off, off offset:608
	v_add_f64 v[176:177], v[176:177], v[172:173]
	v_add_f64 v[178:179], v[178:179], v[174:175]
	ds_load_b128 v[172:175], v1 offset:1104
	s_waitcnt vmcnt(10) lgkmcnt(1)
	v_mul_f64 v[186:187], v[2:3], v[28:29]
	v_mul_f64 v[28:29], v[4:5], v[28:29]
	s_waitcnt vmcnt(9) lgkmcnt(0)
	v_mul_f64 v[180:181], v[172:173], v[32:33]
	v_mul_f64 v[32:33], v[174:175], v[32:33]
	v_add_f64 v[176:177], v[176:177], v[184:185]
	v_add_f64 v[178:179], v[178:179], v[182:183]
	v_fma_f64 v[182:183], v[4:5], v[26:27], v[186:187]
	v_fma_f64 v[184:185], v[2:3], v[26:27], -v[28:29]
	ds_load_b128 v[2:5], v1 offset:1120
	ds_load_b128 v[26:29], v1 offset:1136
	v_fma_f64 v[174:175], v[174:175], v[30:31], v[180:181]
	v_fma_f64 v[30:31], v[172:173], v[30:31], -v[32:33]
	v_add_f64 v[42:43], v[176:177], v[42:43]
	v_add_f64 v[44:45], v[178:179], v[44:45]
	s_waitcnt vmcnt(8) lgkmcnt(1)
	v_mul_f64 v[176:177], v[2:3], v[36:37]
	v_mul_f64 v[36:37], v[4:5], v[36:37]
	s_delay_alu instid0(VALU_DEP_4) | instskip(NEXT) | instid1(VALU_DEP_4)
	v_add_f64 v[32:33], v[42:43], v[184:185]
	v_add_f64 v[42:43], v[44:45], v[182:183]
	s_waitcnt vmcnt(6) lgkmcnt(0)
	v_mul_f64 v[44:45], v[26:27], v[170:171]
	v_mul_f64 v[170:171], v[28:29], v[170:171]
	v_fma_f64 v[172:173], v[4:5], v[34:35], v[176:177]
	v_fma_f64 v[34:35], v[2:3], v[34:35], -v[36:37]
	v_add_f64 v[36:37], v[32:33], v[30:31]
	v_add_f64 v[42:43], v[42:43], v[174:175]
	ds_load_b128 v[2:5], v1 offset:1152
	ds_load_b128 v[30:33], v1 offset:1168
	v_fma_f64 v[28:29], v[28:29], v[168:169], v[44:45]
	v_fma_f64 v[26:27], v[26:27], v[168:169], -v[170:171]
	s_waitcnt vmcnt(5) lgkmcnt(1)
	v_mul_f64 v[174:175], v[2:3], v[40:41]
	v_mul_f64 v[40:41], v[4:5], v[40:41]
	v_add_f64 v[34:35], v[36:37], v[34:35]
	v_add_f64 v[36:37], v[42:43], v[172:173]
	s_waitcnt vmcnt(4) lgkmcnt(0)
	v_mul_f64 v[42:43], v[30:31], v[8:9]
	v_mul_f64 v[8:9], v[32:33], v[8:9]
	v_fma_f64 v[44:45], v[4:5], v[38:39], v[174:175]
	v_fma_f64 v[38:39], v[2:3], v[38:39], -v[40:41]
	v_add_f64 v[34:35], v[34:35], v[26:27]
	v_add_f64 v[36:37], v[36:37], v[28:29]
	ds_load_b128 v[2:5], v1 offset:1184
	ds_load_b128 v[26:29], v1 offset:1200
	v_fma_f64 v[32:33], v[32:33], v[6:7], v[42:43]
	v_fma_f64 v[6:7], v[30:31], v[6:7], -v[8:9]
	s_waitcnt vmcnt(3) lgkmcnt(1)
	v_mul_f64 v[40:41], v[2:3], v[12:13]
	v_mul_f64 v[12:13], v[4:5], v[12:13]
	;; [unrolled: 16-line block ×3, first 2 shown]
	s_waitcnt vmcnt(0) lgkmcnt(0)
	v_mul_f64 v[16:17], v[6:7], v[24:25]
	v_mul_f64 v[24:25], v[8:9], v[24:25]
	v_add_f64 v[10:11], v[12:13], v[10:11]
	v_add_f64 v[12:13], v[30:31], v[36:37]
	v_fma_f64 v[4:5], v[4:5], v[18:19], v[32:33]
	v_fma_f64 v[1:2], v[2:3], v[18:19], -v[20:21]
	v_fma_f64 v[8:9], v[8:9], v[22:23], v[16:17]
	v_fma_f64 v[6:7], v[6:7], v[22:23], -v[24:25]
	v_add_f64 v[10:11], v[10:11], v[14:15]
	v_add_f64 v[12:13], v[12:13], v[28:29]
	s_delay_alu instid0(VALU_DEP_2) | instskip(NEXT) | instid1(VALU_DEP_2)
	v_add_f64 v[1:2], v[10:11], v[1:2]
	v_add_f64 v[3:4], v[12:13], v[4:5]
	s_delay_alu instid0(VALU_DEP_2) | instskip(NEXT) | instid1(VALU_DEP_2)
	;; [unrolled: 3-line block ×3, first 2 shown]
	v_add_f64 v[1:2], v[164:165], -v[1:2]
	v_add_f64 v[3:4], v[166:167], -v[3:4]
	scratch_store_b128 off, v[1:4], off offset:352
	v_cmpx_lt_u32_e32 21, v124
	s_cbranch_execz .LBB102_205
; %bb.204:
	scratch_load_b128 v[1:4], v140, off
	v_mov_b32_e32 v5, 0
	s_delay_alu instid0(VALU_DEP_1)
	v_mov_b32_e32 v6, v5
	v_mov_b32_e32 v7, v5
	;; [unrolled: 1-line block ×3, first 2 shown]
	scratch_store_b128 off, v[5:8], off offset:336
	s_waitcnt vmcnt(0)
	ds_store_b128 v163, v[1:4]
.LBB102_205:
	s_or_b32 exec_lo, exec_lo, s2
	s_waitcnt lgkmcnt(0)
	s_waitcnt_vscnt null, 0x0
	s_barrier
	buffer_gl0_inv
	s_clause 0x7
	scratch_load_b128 v[2:5], off, off offset:352
	scratch_load_b128 v[6:9], off, off offset:368
	;; [unrolled: 1-line block ×8, first 2 shown]
	v_mov_b32_e32 v1, 0
	s_mov_b32 s2, exec_lo
	ds_load_b128 v[34:37], v1 offset:976
	s_clause 0x1
	scratch_load_b128 v[38:41], off, off offset:480
	scratch_load_b128 v[42:45], off, off offset:336
	ds_load_b128 v[164:167], v1 offset:992
	scratch_load_b128 v[168:171], off, off offset:496
	s_waitcnt vmcnt(10) lgkmcnt(1)
	v_mul_f64 v[172:173], v[36:37], v[4:5]
	v_mul_f64 v[4:5], v[34:35], v[4:5]
	s_delay_alu instid0(VALU_DEP_2) | instskip(NEXT) | instid1(VALU_DEP_2)
	v_fma_f64 v[178:179], v[34:35], v[2:3], -v[172:173]
	v_fma_f64 v[180:181], v[36:37], v[2:3], v[4:5]
	scratch_load_b128 v[34:37], off, off offset:512
	ds_load_b128 v[2:5], v1 offset:1008
	s_waitcnt vmcnt(10) lgkmcnt(1)
	v_mul_f64 v[176:177], v[164:165], v[8:9]
	v_mul_f64 v[8:9], v[166:167], v[8:9]
	ds_load_b128 v[172:175], v1 offset:1024
	s_waitcnt vmcnt(9) lgkmcnt(1)
	v_mul_f64 v[182:183], v[2:3], v[12:13]
	v_mul_f64 v[12:13], v[4:5], v[12:13]
	v_fma_f64 v[166:167], v[166:167], v[6:7], v[176:177]
	v_fma_f64 v[164:165], v[164:165], v[6:7], -v[8:9]
	v_add_f64 v[176:177], v[178:179], 0
	v_add_f64 v[178:179], v[180:181], 0
	scratch_load_b128 v[6:9], off, off offset:528
	v_fma_f64 v[182:183], v[4:5], v[10:11], v[182:183]
	v_fma_f64 v[184:185], v[2:3], v[10:11], -v[12:13]
	scratch_load_b128 v[10:13], off, off offset:544
	ds_load_b128 v[2:5], v1 offset:1040
	s_waitcnt vmcnt(10) lgkmcnt(1)
	v_mul_f64 v[180:181], v[172:173], v[16:17]
	v_mul_f64 v[16:17], v[174:175], v[16:17]
	v_add_f64 v[176:177], v[176:177], v[164:165]
	v_add_f64 v[178:179], v[178:179], v[166:167]
	s_waitcnt vmcnt(9) lgkmcnt(0)
	v_mul_f64 v[186:187], v[2:3], v[20:21]
	v_mul_f64 v[20:21], v[4:5], v[20:21]
	ds_load_b128 v[164:167], v1 offset:1056
	v_fma_f64 v[174:175], v[174:175], v[14:15], v[180:181]
	v_fma_f64 v[172:173], v[172:173], v[14:15], -v[16:17]
	scratch_load_b128 v[14:17], off, off offset:560
	v_add_f64 v[176:177], v[176:177], v[184:185]
	v_add_f64 v[178:179], v[178:179], v[182:183]
	v_fma_f64 v[182:183], v[4:5], v[18:19], v[186:187]
	v_fma_f64 v[184:185], v[2:3], v[18:19], -v[20:21]
	scratch_load_b128 v[18:21], off, off offset:576
	ds_load_b128 v[2:5], v1 offset:1072
	s_waitcnt vmcnt(10) lgkmcnt(1)
	v_mul_f64 v[180:181], v[164:165], v[24:25]
	v_mul_f64 v[24:25], v[166:167], v[24:25]
	s_waitcnt vmcnt(9) lgkmcnt(0)
	v_mul_f64 v[186:187], v[2:3], v[28:29]
	v_mul_f64 v[28:29], v[4:5], v[28:29]
	v_add_f64 v[176:177], v[176:177], v[172:173]
	v_add_f64 v[178:179], v[178:179], v[174:175]
	ds_load_b128 v[172:175], v1 offset:1088
	v_fma_f64 v[166:167], v[166:167], v[22:23], v[180:181]
	v_fma_f64 v[164:165], v[164:165], v[22:23], -v[24:25]
	scratch_load_b128 v[22:25], off, off offset:592
	v_add_f64 v[176:177], v[176:177], v[184:185]
	v_add_f64 v[178:179], v[178:179], v[182:183]
	v_fma_f64 v[182:183], v[4:5], v[26:27], v[186:187]
	v_fma_f64 v[184:185], v[2:3], v[26:27], -v[28:29]
	scratch_load_b128 v[26:29], off, off offset:608
	ds_load_b128 v[2:5], v1 offset:1104
	s_waitcnt vmcnt(10) lgkmcnt(1)
	v_mul_f64 v[180:181], v[172:173], v[32:33]
	v_mul_f64 v[32:33], v[174:175], v[32:33]
	s_waitcnt vmcnt(9) lgkmcnt(0)
	v_mul_f64 v[186:187], v[2:3], v[40:41]
	v_mul_f64 v[40:41], v[4:5], v[40:41]
	v_add_f64 v[176:177], v[176:177], v[164:165]
	v_add_f64 v[178:179], v[178:179], v[166:167]
	ds_load_b128 v[164:167], v1 offset:1120
	v_fma_f64 v[174:175], v[174:175], v[30:31], v[180:181]
	v_fma_f64 v[30:31], v[172:173], v[30:31], -v[32:33]
	v_add_f64 v[32:33], v[176:177], v[184:185]
	v_add_f64 v[172:173], v[178:179], v[182:183]
	s_waitcnt vmcnt(7) lgkmcnt(0)
	v_mul_f64 v[176:177], v[164:165], v[170:171]
	v_mul_f64 v[170:171], v[166:167], v[170:171]
	v_fma_f64 v[178:179], v[4:5], v[38:39], v[186:187]
	v_fma_f64 v[38:39], v[2:3], v[38:39], -v[40:41]
	v_add_f64 v[40:41], v[32:33], v[30:31]
	v_add_f64 v[172:173], v[172:173], v[174:175]
	ds_load_b128 v[2:5], v1 offset:1136
	ds_load_b128 v[30:33], v1 offset:1152
	v_fma_f64 v[166:167], v[166:167], v[168:169], v[176:177]
	v_fma_f64 v[164:165], v[164:165], v[168:169], -v[170:171]
	s_waitcnt vmcnt(6) lgkmcnt(1)
	v_mul_f64 v[174:175], v[2:3], v[36:37]
	v_mul_f64 v[36:37], v[4:5], v[36:37]
	v_add_f64 v[38:39], v[40:41], v[38:39]
	v_add_f64 v[40:41], v[172:173], v[178:179]
	s_waitcnt vmcnt(5) lgkmcnt(0)
	v_mul_f64 v[168:169], v[30:31], v[8:9]
	v_mul_f64 v[8:9], v[32:33], v[8:9]
	v_fma_f64 v[170:171], v[4:5], v[34:35], v[174:175]
	v_fma_f64 v[172:173], v[2:3], v[34:35], -v[36:37]
	ds_load_b128 v[2:5], v1 offset:1168
	ds_load_b128 v[34:37], v1 offset:1184
	v_add_f64 v[38:39], v[38:39], v[164:165]
	v_add_f64 v[40:41], v[40:41], v[166:167]
	s_waitcnt vmcnt(4) lgkmcnt(1)
	v_mul_f64 v[164:165], v[2:3], v[12:13]
	v_mul_f64 v[12:13], v[4:5], v[12:13]
	v_fma_f64 v[32:33], v[32:33], v[6:7], v[168:169]
	v_fma_f64 v[6:7], v[30:31], v[6:7], -v[8:9]
	v_add_f64 v[8:9], v[38:39], v[172:173]
	v_add_f64 v[30:31], v[40:41], v[170:171]
	s_waitcnt vmcnt(3) lgkmcnt(0)
	v_mul_f64 v[38:39], v[34:35], v[16:17]
	v_mul_f64 v[16:17], v[36:37], v[16:17]
	v_fma_f64 v[40:41], v[4:5], v[10:11], v[164:165]
	v_fma_f64 v[10:11], v[2:3], v[10:11], -v[12:13]
	v_add_f64 v[12:13], v[8:9], v[6:7]
	v_add_f64 v[30:31], v[30:31], v[32:33]
	ds_load_b128 v[2:5], v1 offset:1200
	ds_load_b128 v[6:9], v1 offset:1216
	v_fma_f64 v[36:37], v[36:37], v[14:15], v[38:39]
	v_fma_f64 v[14:15], v[34:35], v[14:15], -v[16:17]
	s_waitcnt vmcnt(2) lgkmcnt(1)
	v_mul_f64 v[32:33], v[2:3], v[20:21]
	v_mul_f64 v[20:21], v[4:5], v[20:21]
	s_waitcnt vmcnt(1) lgkmcnt(0)
	v_mul_f64 v[16:17], v[6:7], v[24:25]
	v_mul_f64 v[24:25], v[8:9], v[24:25]
	v_add_f64 v[10:11], v[12:13], v[10:11]
	v_add_f64 v[12:13], v[30:31], v[40:41]
	v_fma_f64 v[30:31], v[4:5], v[18:19], v[32:33]
	v_fma_f64 v[18:19], v[2:3], v[18:19], -v[20:21]
	ds_load_b128 v[2:5], v1 offset:1232
	v_fma_f64 v[8:9], v[8:9], v[22:23], v[16:17]
	v_fma_f64 v[6:7], v[6:7], v[22:23], -v[24:25]
	v_add_f64 v[10:11], v[10:11], v[14:15]
	v_add_f64 v[12:13], v[12:13], v[36:37]
	s_waitcnt vmcnt(0) lgkmcnt(0)
	v_mul_f64 v[14:15], v[2:3], v[28:29]
	v_mul_f64 v[20:21], v[4:5], v[28:29]
	s_delay_alu instid0(VALU_DEP_4) | instskip(NEXT) | instid1(VALU_DEP_4)
	v_add_f64 v[10:11], v[10:11], v[18:19]
	v_add_f64 v[12:13], v[12:13], v[30:31]
	s_delay_alu instid0(VALU_DEP_4) | instskip(NEXT) | instid1(VALU_DEP_4)
	v_fma_f64 v[4:5], v[4:5], v[26:27], v[14:15]
	v_fma_f64 v[2:3], v[2:3], v[26:27], -v[20:21]
	s_delay_alu instid0(VALU_DEP_4) | instskip(NEXT) | instid1(VALU_DEP_4)
	v_add_f64 v[6:7], v[10:11], v[6:7]
	v_add_f64 v[8:9], v[12:13], v[8:9]
	s_delay_alu instid0(VALU_DEP_2) | instskip(NEXT) | instid1(VALU_DEP_2)
	v_add_f64 v[2:3], v[6:7], v[2:3]
	v_add_f64 v[4:5], v[8:9], v[4:5]
	s_delay_alu instid0(VALU_DEP_2) | instskip(NEXT) | instid1(VALU_DEP_2)
	v_add_f64 v[2:3], v[42:43], -v[2:3]
	v_add_f64 v[4:5], v[44:45], -v[4:5]
	scratch_store_b128 off, v[2:5], off offset:336
	v_cmpx_lt_u32_e32 20, v124
	s_cbranch_execz .LBB102_207
; %bb.206:
	scratch_load_b128 v[5:8], v141, off
	v_mov_b32_e32 v2, v1
	v_mov_b32_e32 v3, v1
	;; [unrolled: 1-line block ×3, first 2 shown]
	scratch_store_b128 off, v[1:4], off offset:320
	s_waitcnt vmcnt(0)
	ds_store_b128 v163, v[5:8]
.LBB102_207:
	s_or_b32 exec_lo, exec_lo, s2
	s_waitcnt lgkmcnt(0)
	s_waitcnt_vscnt null, 0x0
	s_barrier
	buffer_gl0_inv
	s_clause 0x8
	scratch_load_b128 v[2:5], off, off offset:336
	scratch_load_b128 v[6:9], off, off offset:352
	;; [unrolled: 1-line block ×9, first 2 shown]
	ds_load_b128 v[38:41], v1 offset:960
	ds_load_b128 v[42:45], v1 offset:976
	s_clause 0x1
	scratch_load_b128 v[164:167], off, off offset:320
	scratch_load_b128 v[168:171], off, off offset:480
	s_mov_b32 s2, exec_lo
	s_waitcnt vmcnt(10) lgkmcnt(1)
	v_mul_f64 v[172:173], v[40:41], v[4:5]
	v_mul_f64 v[4:5], v[38:39], v[4:5]
	s_waitcnt vmcnt(9) lgkmcnt(0)
	v_mul_f64 v[176:177], v[42:43], v[8:9]
	v_mul_f64 v[8:9], v[44:45], v[8:9]
	s_delay_alu instid0(VALU_DEP_4) | instskip(NEXT) | instid1(VALU_DEP_4)
	v_fma_f64 v[178:179], v[38:39], v[2:3], -v[172:173]
	v_fma_f64 v[180:181], v[40:41], v[2:3], v[4:5]
	ds_load_b128 v[2:5], v1 offset:992
	ds_load_b128 v[172:175], v1 offset:1008
	scratch_load_b128 v[38:41], off, off offset:496
	v_fma_f64 v[44:45], v[44:45], v[6:7], v[176:177]
	v_fma_f64 v[42:43], v[42:43], v[6:7], -v[8:9]
	scratch_load_b128 v[6:9], off, off offset:512
	s_waitcnt vmcnt(10) lgkmcnt(1)
	v_mul_f64 v[182:183], v[2:3], v[12:13]
	v_mul_f64 v[12:13], v[4:5], v[12:13]
	v_add_f64 v[176:177], v[178:179], 0
	v_add_f64 v[178:179], v[180:181], 0
	s_waitcnt vmcnt(9) lgkmcnt(0)
	v_mul_f64 v[180:181], v[172:173], v[16:17]
	v_mul_f64 v[16:17], v[174:175], v[16:17]
	v_fma_f64 v[182:183], v[4:5], v[10:11], v[182:183]
	v_fma_f64 v[184:185], v[2:3], v[10:11], -v[12:13]
	ds_load_b128 v[2:5], v1 offset:1024
	scratch_load_b128 v[10:13], off, off offset:528
	v_add_f64 v[176:177], v[176:177], v[42:43]
	v_add_f64 v[178:179], v[178:179], v[44:45]
	ds_load_b128 v[42:45], v1 offset:1040
	v_fma_f64 v[174:175], v[174:175], v[14:15], v[180:181]
	v_fma_f64 v[172:173], v[172:173], v[14:15], -v[16:17]
	scratch_load_b128 v[14:17], off, off offset:544
	s_waitcnt vmcnt(10) lgkmcnt(1)
	v_mul_f64 v[186:187], v[2:3], v[20:21]
	v_mul_f64 v[20:21], v[4:5], v[20:21]
	s_waitcnt vmcnt(9) lgkmcnt(0)
	v_mul_f64 v[180:181], v[42:43], v[24:25]
	v_mul_f64 v[24:25], v[44:45], v[24:25]
	v_add_f64 v[176:177], v[176:177], v[184:185]
	v_add_f64 v[178:179], v[178:179], v[182:183]
	v_fma_f64 v[182:183], v[4:5], v[18:19], v[186:187]
	v_fma_f64 v[184:185], v[2:3], v[18:19], -v[20:21]
	ds_load_b128 v[2:5], v1 offset:1056
	scratch_load_b128 v[18:21], off, off offset:560
	v_fma_f64 v[44:45], v[44:45], v[22:23], v[180:181]
	v_fma_f64 v[42:43], v[42:43], v[22:23], -v[24:25]
	scratch_load_b128 v[22:25], off, off offset:576
	v_add_f64 v[176:177], v[176:177], v[172:173]
	v_add_f64 v[178:179], v[178:179], v[174:175]
	ds_load_b128 v[172:175], v1 offset:1072
	s_waitcnt vmcnt(10) lgkmcnt(1)
	v_mul_f64 v[186:187], v[2:3], v[28:29]
	v_mul_f64 v[28:29], v[4:5], v[28:29]
	s_waitcnt vmcnt(9) lgkmcnt(0)
	v_mul_f64 v[180:181], v[172:173], v[32:33]
	v_mul_f64 v[32:33], v[174:175], v[32:33]
	v_add_f64 v[176:177], v[176:177], v[184:185]
	v_add_f64 v[178:179], v[178:179], v[182:183]
	v_fma_f64 v[182:183], v[4:5], v[26:27], v[186:187]
	v_fma_f64 v[184:185], v[2:3], v[26:27], -v[28:29]
	ds_load_b128 v[2:5], v1 offset:1088
	scratch_load_b128 v[26:29], off, off offset:592
	v_fma_f64 v[174:175], v[174:175], v[30:31], v[180:181]
	v_fma_f64 v[172:173], v[172:173], v[30:31], -v[32:33]
	scratch_load_b128 v[30:33], off, off offset:608
	v_add_f64 v[176:177], v[176:177], v[42:43]
	v_add_f64 v[178:179], v[178:179], v[44:45]
	ds_load_b128 v[42:45], v1 offset:1104
	s_waitcnt vmcnt(10) lgkmcnt(1)
	v_mul_f64 v[186:187], v[2:3], v[36:37]
	v_mul_f64 v[36:37], v[4:5], v[36:37]
	s_waitcnt vmcnt(8) lgkmcnt(0)
	v_mul_f64 v[180:181], v[42:43], v[170:171]
	v_mul_f64 v[170:171], v[44:45], v[170:171]
	v_add_f64 v[176:177], v[176:177], v[184:185]
	v_add_f64 v[178:179], v[178:179], v[182:183]
	v_fma_f64 v[182:183], v[4:5], v[34:35], v[186:187]
	v_fma_f64 v[184:185], v[2:3], v[34:35], -v[36:37]
	ds_load_b128 v[2:5], v1 offset:1120
	ds_load_b128 v[34:37], v1 offset:1136
	v_fma_f64 v[44:45], v[44:45], v[168:169], v[180:181]
	v_fma_f64 v[42:43], v[42:43], v[168:169], -v[170:171]
	v_add_f64 v[172:173], v[176:177], v[172:173]
	v_add_f64 v[174:175], v[178:179], v[174:175]
	s_waitcnt vmcnt(7) lgkmcnt(1)
	v_mul_f64 v[176:177], v[2:3], v[40:41]
	v_mul_f64 v[40:41], v[4:5], v[40:41]
	s_delay_alu instid0(VALU_DEP_4) | instskip(NEXT) | instid1(VALU_DEP_4)
	v_add_f64 v[168:169], v[172:173], v[184:185]
	v_add_f64 v[170:171], v[174:175], v[182:183]
	s_waitcnt vmcnt(6) lgkmcnt(0)
	v_mul_f64 v[172:173], v[34:35], v[8:9]
	v_mul_f64 v[8:9], v[36:37], v[8:9]
	v_fma_f64 v[174:175], v[4:5], v[38:39], v[176:177]
	v_fma_f64 v[176:177], v[2:3], v[38:39], -v[40:41]
	ds_load_b128 v[2:5], v1 offset:1152
	ds_load_b128 v[38:41], v1 offset:1168
	v_add_f64 v[42:43], v[168:169], v[42:43]
	v_add_f64 v[44:45], v[170:171], v[44:45]
	v_fma_f64 v[36:37], v[36:37], v[6:7], v[172:173]
	s_waitcnt vmcnt(5) lgkmcnt(1)
	v_mul_f64 v[168:169], v[2:3], v[12:13]
	v_mul_f64 v[12:13], v[4:5], v[12:13]
	v_fma_f64 v[6:7], v[34:35], v[6:7], -v[8:9]
	v_add_f64 v[8:9], v[42:43], v[176:177]
	v_add_f64 v[34:35], v[44:45], v[174:175]
	s_waitcnt vmcnt(4) lgkmcnt(0)
	v_mul_f64 v[42:43], v[38:39], v[16:17]
	v_mul_f64 v[16:17], v[40:41], v[16:17]
	v_fma_f64 v[44:45], v[4:5], v[10:11], v[168:169]
	v_fma_f64 v[10:11], v[2:3], v[10:11], -v[12:13]
	v_add_f64 v[12:13], v[8:9], v[6:7]
	v_add_f64 v[34:35], v[34:35], v[36:37]
	ds_load_b128 v[2:5], v1 offset:1184
	ds_load_b128 v[6:9], v1 offset:1200
	v_fma_f64 v[40:41], v[40:41], v[14:15], v[42:43]
	v_fma_f64 v[14:15], v[38:39], v[14:15], -v[16:17]
	s_waitcnt vmcnt(3) lgkmcnt(1)
	v_mul_f64 v[36:37], v[2:3], v[20:21]
	v_mul_f64 v[20:21], v[4:5], v[20:21]
	s_waitcnt vmcnt(2) lgkmcnt(0)
	v_mul_f64 v[16:17], v[6:7], v[24:25]
	v_mul_f64 v[24:25], v[8:9], v[24:25]
	v_add_f64 v[10:11], v[12:13], v[10:11]
	v_add_f64 v[12:13], v[34:35], v[44:45]
	v_fma_f64 v[34:35], v[4:5], v[18:19], v[36:37]
	v_fma_f64 v[18:19], v[2:3], v[18:19], -v[20:21]
	v_fma_f64 v[8:9], v[8:9], v[22:23], v[16:17]
	v_fma_f64 v[6:7], v[6:7], v[22:23], -v[24:25]
	v_add_f64 v[14:15], v[10:11], v[14:15]
	v_add_f64 v[20:21], v[12:13], v[40:41]
	ds_load_b128 v[2:5], v1 offset:1216
	ds_load_b128 v[10:13], v1 offset:1232
	s_waitcnt vmcnt(1) lgkmcnt(1)
	v_mul_f64 v[36:37], v[2:3], v[28:29]
	v_mul_f64 v[28:29], v[4:5], v[28:29]
	v_add_f64 v[14:15], v[14:15], v[18:19]
	v_add_f64 v[16:17], v[20:21], v[34:35]
	s_waitcnt vmcnt(0) lgkmcnt(0)
	v_mul_f64 v[18:19], v[10:11], v[32:33]
	v_mul_f64 v[20:21], v[12:13], v[32:33]
	v_fma_f64 v[4:5], v[4:5], v[26:27], v[36:37]
	v_fma_f64 v[1:2], v[2:3], v[26:27], -v[28:29]
	v_add_f64 v[6:7], v[14:15], v[6:7]
	v_add_f64 v[8:9], v[16:17], v[8:9]
	v_fma_f64 v[12:13], v[12:13], v[30:31], v[18:19]
	v_fma_f64 v[10:11], v[10:11], v[30:31], -v[20:21]
	s_delay_alu instid0(VALU_DEP_4) | instskip(NEXT) | instid1(VALU_DEP_4)
	v_add_f64 v[1:2], v[6:7], v[1:2]
	v_add_f64 v[3:4], v[8:9], v[4:5]
	s_delay_alu instid0(VALU_DEP_2) | instskip(NEXT) | instid1(VALU_DEP_2)
	v_add_f64 v[1:2], v[1:2], v[10:11]
	v_add_f64 v[3:4], v[3:4], v[12:13]
	s_delay_alu instid0(VALU_DEP_2) | instskip(NEXT) | instid1(VALU_DEP_2)
	v_add_f64 v[1:2], v[164:165], -v[1:2]
	v_add_f64 v[3:4], v[166:167], -v[3:4]
	scratch_store_b128 off, v[1:4], off offset:320
	v_cmpx_lt_u32_e32 19, v124
	s_cbranch_execz .LBB102_209
; %bb.208:
	scratch_load_b128 v[1:4], v142, off
	v_mov_b32_e32 v5, 0
	s_delay_alu instid0(VALU_DEP_1)
	v_mov_b32_e32 v6, v5
	v_mov_b32_e32 v7, v5
	v_mov_b32_e32 v8, v5
	scratch_store_b128 off, v[5:8], off offset:304
	s_waitcnt vmcnt(0)
	ds_store_b128 v163, v[1:4]
.LBB102_209:
	s_or_b32 exec_lo, exec_lo, s2
	s_waitcnt lgkmcnt(0)
	s_waitcnt_vscnt null, 0x0
	s_barrier
	buffer_gl0_inv
	s_clause 0x7
	scratch_load_b128 v[2:5], off, off offset:320
	scratch_load_b128 v[6:9], off, off offset:336
	;; [unrolled: 1-line block ×8, first 2 shown]
	v_mov_b32_e32 v1, 0
	s_mov_b32 s2, exec_lo
	ds_load_b128 v[34:37], v1 offset:944
	s_clause 0x1
	scratch_load_b128 v[38:41], off, off offset:448
	scratch_load_b128 v[42:45], off, off offset:304
	ds_load_b128 v[164:167], v1 offset:960
	scratch_load_b128 v[168:171], off, off offset:464
	s_waitcnt vmcnt(10) lgkmcnt(1)
	v_mul_f64 v[172:173], v[36:37], v[4:5]
	v_mul_f64 v[4:5], v[34:35], v[4:5]
	s_delay_alu instid0(VALU_DEP_2) | instskip(NEXT) | instid1(VALU_DEP_2)
	v_fma_f64 v[178:179], v[34:35], v[2:3], -v[172:173]
	v_fma_f64 v[180:181], v[36:37], v[2:3], v[4:5]
	scratch_load_b128 v[34:37], off, off offset:480
	ds_load_b128 v[2:5], v1 offset:976
	s_waitcnt vmcnt(10) lgkmcnt(1)
	v_mul_f64 v[176:177], v[164:165], v[8:9]
	v_mul_f64 v[8:9], v[166:167], v[8:9]
	ds_load_b128 v[172:175], v1 offset:992
	s_waitcnt vmcnt(9) lgkmcnt(1)
	v_mul_f64 v[182:183], v[2:3], v[12:13]
	v_mul_f64 v[12:13], v[4:5], v[12:13]
	v_fma_f64 v[166:167], v[166:167], v[6:7], v[176:177]
	v_fma_f64 v[164:165], v[164:165], v[6:7], -v[8:9]
	v_add_f64 v[176:177], v[178:179], 0
	v_add_f64 v[178:179], v[180:181], 0
	scratch_load_b128 v[6:9], off, off offset:496
	v_fma_f64 v[182:183], v[4:5], v[10:11], v[182:183]
	v_fma_f64 v[184:185], v[2:3], v[10:11], -v[12:13]
	scratch_load_b128 v[10:13], off, off offset:512
	ds_load_b128 v[2:5], v1 offset:1008
	s_waitcnt vmcnt(10) lgkmcnt(1)
	v_mul_f64 v[180:181], v[172:173], v[16:17]
	v_mul_f64 v[16:17], v[174:175], v[16:17]
	v_add_f64 v[176:177], v[176:177], v[164:165]
	v_add_f64 v[178:179], v[178:179], v[166:167]
	s_waitcnt vmcnt(9) lgkmcnt(0)
	v_mul_f64 v[186:187], v[2:3], v[20:21]
	v_mul_f64 v[20:21], v[4:5], v[20:21]
	ds_load_b128 v[164:167], v1 offset:1024
	v_fma_f64 v[174:175], v[174:175], v[14:15], v[180:181]
	v_fma_f64 v[172:173], v[172:173], v[14:15], -v[16:17]
	scratch_load_b128 v[14:17], off, off offset:528
	v_add_f64 v[176:177], v[176:177], v[184:185]
	v_add_f64 v[178:179], v[178:179], v[182:183]
	v_fma_f64 v[182:183], v[4:5], v[18:19], v[186:187]
	v_fma_f64 v[184:185], v[2:3], v[18:19], -v[20:21]
	scratch_load_b128 v[18:21], off, off offset:544
	ds_load_b128 v[2:5], v1 offset:1040
	s_waitcnt vmcnt(10) lgkmcnt(1)
	v_mul_f64 v[180:181], v[164:165], v[24:25]
	v_mul_f64 v[24:25], v[166:167], v[24:25]
	s_waitcnt vmcnt(9) lgkmcnt(0)
	v_mul_f64 v[186:187], v[2:3], v[28:29]
	v_mul_f64 v[28:29], v[4:5], v[28:29]
	v_add_f64 v[176:177], v[176:177], v[172:173]
	v_add_f64 v[178:179], v[178:179], v[174:175]
	ds_load_b128 v[172:175], v1 offset:1056
	v_fma_f64 v[166:167], v[166:167], v[22:23], v[180:181]
	v_fma_f64 v[164:165], v[164:165], v[22:23], -v[24:25]
	scratch_load_b128 v[22:25], off, off offset:560
	v_add_f64 v[176:177], v[176:177], v[184:185]
	v_add_f64 v[178:179], v[178:179], v[182:183]
	v_fma_f64 v[182:183], v[4:5], v[26:27], v[186:187]
	v_fma_f64 v[184:185], v[2:3], v[26:27], -v[28:29]
	scratch_load_b128 v[26:29], off, off offset:576
	ds_load_b128 v[2:5], v1 offset:1072
	s_waitcnt vmcnt(10) lgkmcnt(1)
	v_mul_f64 v[180:181], v[172:173], v[32:33]
	v_mul_f64 v[32:33], v[174:175], v[32:33]
	s_waitcnt vmcnt(9) lgkmcnt(0)
	v_mul_f64 v[186:187], v[2:3], v[40:41]
	v_mul_f64 v[40:41], v[4:5], v[40:41]
	v_add_f64 v[176:177], v[176:177], v[164:165]
	v_add_f64 v[178:179], v[178:179], v[166:167]
	ds_load_b128 v[164:167], v1 offset:1088
	v_fma_f64 v[174:175], v[174:175], v[30:31], v[180:181]
	v_fma_f64 v[172:173], v[172:173], v[30:31], -v[32:33]
	scratch_load_b128 v[30:33], off, off offset:592
	v_add_f64 v[176:177], v[176:177], v[184:185]
	v_add_f64 v[178:179], v[178:179], v[182:183]
	v_fma_f64 v[184:185], v[4:5], v[38:39], v[186:187]
	v_fma_f64 v[186:187], v[2:3], v[38:39], -v[40:41]
	scratch_load_b128 v[38:41], off, off offset:608
	ds_load_b128 v[2:5], v1 offset:1104
	s_waitcnt vmcnt(9) lgkmcnt(1)
	v_mul_f64 v[180:181], v[164:165], v[170:171]
	v_mul_f64 v[182:183], v[166:167], v[170:171]
	v_add_f64 v[176:177], v[176:177], v[172:173]
	v_add_f64 v[174:175], v[178:179], v[174:175]
	ds_load_b128 v[170:173], v1 offset:1120
	v_fma_f64 v[166:167], v[166:167], v[168:169], v[180:181]
	v_fma_f64 v[164:165], v[164:165], v[168:169], -v[182:183]
	s_waitcnt vmcnt(8) lgkmcnt(1)
	v_mul_f64 v[178:179], v[2:3], v[36:37]
	v_mul_f64 v[36:37], v[4:5], v[36:37]
	v_add_f64 v[168:169], v[176:177], v[186:187]
	v_add_f64 v[174:175], v[174:175], v[184:185]
	s_delay_alu instid0(VALU_DEP_4) | instskip(NEXT) | instid1(VALU_DEP_4)
	v_fma_f64 v[178:179], v[4:5], v[34:35], v[178:179]
	v_fma_f64 v[180:181], v[2:3], v[34:35], -v[36:37]
	ds_load_b128 v[2:5], v1 offset:1136
	ds_load_b128 v[34:37], v1 offset:1152
	s_waitcnt vmcnt(7) lgkmcnt(2)
	v_mul_f64 v[176:177], v[170:171], v[8:9]
	v_mul_f64 v[8:9], v[172:173], v[8:9]
	v_add_f64 v[164:165], v[168:169], v[164:165]
	v_add_f64 v[166:167], v[174:175], v[166:167]
	s_waitcnt vmcnt(6) lgkmcnt(1)
	v_mul_f64 v[168:169], v[2:3], v[12:13]
	v_mul_f64 v[12:13], v[4:5], v[12:13]
	v_fma_f64 v[172:173], v[172:173], v[6:7], v[176:177]
	v_fma_f64 v[6:7], v[170:171], v[6:7], -v[8:9]
	v_add_f64 v[8:9], v[164:165], v[180:181]
	v_add_f64 v[164:165], v[166:167], v[178:179]
	s_waitcnt vmcnt(5) lgkmcnt(0)
	v_mul_f64 v[166:167], v[34:35], v[16:17]
	v_mul_f64 v[16:17], v[36:37], v[16:17]
	v_fma_f64 v[168:169], v[4:5], v[10:11], v[168:169]
	v_fma_f64 v[10:11], v[2:3], v[10:11], -v[12:13]
	v_add_f64 v[12:13], v[8:9], v[6:7]
	v_add_f64 v[164:165], v[164:165], v[172:173]
	ds_load_b128 v[2:5], v1 offset:1168
	ds_load_b128 v[6:9], v1 offset:1184
	v_fma_f64 v[36:37], v[36:37], v[14:15], v[166:167]
	v_fma_f64 v[14:15], v[34:35], v[14:15], -v[16:17]
	s_waitcnt vmcnt(4) lgkmcnt(1)
	v_mul_f64 v[170:171], v[2:3], v[20:21]
	v_mul_f64 v[20:21], v[4:5], v[20:21]
	s_waitcnt vmcnt(3) lgkmcnt(0)
	v_mul_f64 v[16:17], v[6:7], v[24:25]
	v_mul_f64 v[24:25], v[8:9], v[24:25]
	v_add_f64 v[10:11], v[12:13], v[10:11]
	v_add_f64 v[12:13], v[164:165], v[168:169]
	v_fma_f64 v[34:35], v[4:5], v[18:19], v[170:171]
	v_fma_f64 v[18:19], v[2:3], v[18:19], -v[20:21]
	v_fma_f64 v[8:9], v[8:9], v[22:23], v[16:17]
	v_fma_f64 v[6:7], v[6:7], v[22:23], -v[24:25]
	v_add_f64 v[14:15], v[10:11], v[14:15]
	v_add_f64 v[20:21], v[12:13], v[36:37]
	ds_load_b128 v[2:5], v1 offset:1200
	ds_load_b128 v[10:13], v1 offset:1216
	s_waitcnt vmcnt(2) lgkmcnt(1)
	v_mul_f64 v[36:37], v[2:3], v[28:29]
	v_mul_f64 v[28:29], v[4:5], v[28:29]
	v_add_f64 v[14:15], v[14:15], v[18:19]
	v_add_f64 v[16:17], v[20:21], v[34:35]
	s_waitcnt vmcnt(1) lgkmcnt(0)
	v_mul_f64 v[18:19], v[10:11], v[32:33]
	v_mul_f64 v[20:21], v[12:13], v[32:33]
	v_fma_f64 v[22:23], v[4:5], v[26:27], v[36:37]
	v_fma_f64 v[24:25], v[2:3], v[26:27], -v[28:29]
	ds_load_b128 v[2:5], v1 offset:1232
	v_add_f64 v[6:7], v[14:15], v[6:7]
	v_add_f64 v[8:9], v[16:17], v[8:9]
	v_fma_f64 v[12:13], v[12:13], v[30:31], v[18:19]
	v_fma_f64 v[10:11], v[10:11], v[30:31], -v[20:21]
	s_waitcnt vmcnt(0) lgkmcnt(0)
	v_mul_f64 v[14:15], v[2:3], v[40:41]
	v_mul_f64 v[16:17], v[4:5], v[40:41]
	v_add_f64 v[6:7], v[6:7], v[24:25]
	v_add_f64 v[8:9], v[8:9], v[22:23]
	s_delay_alu instid0(VALU_DEP_4) | instskip(NEXT) | instid1(VALU_DEP_4)
	v_fma_f64 v[4:5], v[4:5], v[38:39], v[14:15]
	v_fma_f64 v[2:3], v[2:3], v[38:39], -v[16:17]
	s_delay_alu instid0(VALU_DEP_4) | instskip(NEXT) | instid1(VALU_DEP_4)
	v_add_f64 v[6:7], v[6:7], v[10:11]
	v_add_f64 v[8:9], v[8:9], v[12:13]
	s_delay_alu instid0(VALU_DEP_2) | instskip(NEXT) | instid1(VALU_DEP_2)
	v_add_f64 v[2:3], v[6:7], v[2:3]
	v_add_f64 v[4:5], v[8:9], v[4:5]
	s_delay_alu instid0(VALU_DEP_2) | instskip(NEXT) | instid1(VALU_DEP_2)
	v_add_f64 v[2:3], v[42:43], -v[2:3]
	v_add_f64 v[4:5], v[44:45], -v[4:5]
	scratch_store_b128 off, v[2:5], off offset:304
	v_cmpx_lt_u32_e32 18, v124
	s_cbranch_execz .LBB102_211
; %bb.210:
	scratch_load_b128 v[5:8], v144, off
	v_mov_b32_e32 v2, v1
	v_mov_b32_e32 v3, v1
	;; [unrolled: 1-line block ×3, first 2 shown]
	scratch_store_b128 off, v[1:4], off offset:288
	s_waitcnt vmcnt(0)
	ds_store_b128 v163, v[5:8]
.LBB102_211:
	s_or_b32 exec_lo, exec_lo, s2
	s_waitcnt lgkmcnt(0)
	s_waitcnt_vscnt null, 0x0
	s_barrier
	buffer_gl0_inv
	s_clause 0x8
	scratch_load_b128 v[2:5], off, off offset:304
	scratch_load_b128 v[6:9], off, off offset:320
	;; [unrolled: 1-line block ×9, first 2 shown]
	ds_load_b128 v[38:41], v1 offset:928
	ds_load_b128 v[42:45], v1 offset:944
	s_clause 0x1
	scratch_load_b128 v[164:167], off, off offset:288
	scratch_load_b128 v[168:171], off, off offset:448
	s_mov_b32 s2, exec_lo
	s_waitcnt vmcnt(10) lgkmcnt(1)
	v_mul_f64 v[172:173], v[40:41], v[4:5]
	v_mul_f64 v[4:5], v[38:39], v[4:5]
	s_waitcnt vmcnt(9) lgkmcnt(0)
	v_mul_f64 v[176:177], v[42:43], v[8:9]
	v_mul_f64 v[8:9], v[44:45], v[8:9]
	s_delay_alu instid0(VALU_DEP_4) | instskip(NEXT) | instid1(VALU_DEP_4)
	v_fma_f64 v[178:179], v[38:39], v[2:3], -v[172:173]
	v_fma_f64 v[180:181], v[40:41], v[2:3], v[4:5]
	ds_load_b128 v[2:5], v1 offset:960
	ds_load_b128 v[172:175], v1 offset:976
	scratch_load_b128 v[38:41], off, off offset:464
	v_fma_f64 v[44:45], v[44:45], v[6:7], v[176:177]
	v_fma_f64 v[42:43], v[42:43], v[6:7], -v[8:9]
	scratch_load_b128 v[6:9], off, off offset:480
	s_waitcnt vmcnt(10) lgkmcnt(1)
	v_mul_f64 v[182:183], v[2:3], v[12:13]
	v_mul_f64 v[12:13], v[4:5], v[12:13]
	v_add_f64 v[176:177], v[178:179], 0
	v_add_f64 v[178:179], v[180:181], 0
	s_waitcnt vmcnt(9) lgkmcnt(0)
	v_mul_f64 v[180:181], v[172:173], v[16:17]
	v_mul_f64 v[16:17], v[174:175], v[16:17]
	v_fma_f64 v[182:183], v[4:5], v[10:11], v[182:183]
	v_fma_f64 v[184:185], v[2:3], v[10:11], -v[12:13]
	ds_load_b128 v[2:5], v1 offset:992
	scratch_load_b128 v[10:13], off, off offset:496
	v_add_f64 v[176:177], v[176:177], v[42:43]
	v_add_f64 v[178:179], v[178:179], v[44:45]
	ds_load_b128 v[42:45], v1 offset:1008
	v_fma_f64 v[174:175], v[174:175], v[14:15], v[180:181]
	v_fma_f64 v[172:173], v[172:173], v[14:15], -v[16:17]
	scratch_load_b128 v[14:17], off, off offset:512
	s_waitcnt vmcnt(10) lgkmcnt(1)
	v_mul_f64 v[186:187], v[2:3], v[20:21]
	v_mul_f64 v[20:21], v[4:5], v[20:21]
	s_waitcnt vmcnt(9) lgkmcnt(0)
	v_mul_f64 v[180:181], v[42:43], v[24:25]
	v_mul_f64 v[24:25], v[44:45], v[24:25]
	v_add_f64 v[176:177], v[176:177], v[184:185]
	v_add_f64 v[178:179], v[178:179], v[182:183]
	v_fma_f64 v[182:183], v[4:5], v[18:19], v[186:187]
	v_fma_f64 v[184:185], v[2:3], v[18:19], -v[20:21]
	ds_load_b128 v[2:5], v1 offset:1024
	scratch_load_b128 v[18:21], off, off offset:528
	v_fma_f64 v[44:45], v[44:45], v[22:23], v[180:181]
	v_fma_f64 v[42:43], v[42:43], v[22:23], -v[24:25]
	scratch_load_b128 v[22:25], off, off offset:544
	v_add_f64 v[176:177], v[176:177], v[172:173]
	v_add_f64 v[178:179], v[178:179], v[174:175]
	ds_load_b128 v[172:175], v1 offset:1040
	s_waitcnt vmcnt(10) lgkmcnt(1)
	v_mul_f64 v[186:187], v[2:3], v[28:29]
	v_mul_f64 v[28:29], v[4:5], v[28:29]
	s_waitcnt vmcnt(9) lgkmcnt(0)
	v_mul_f64 v[180:181], v[172:173], v[32:33]
	v_mul_f64 v[32:33], v[174:175], v[32:33]
	v_add_f64 v[176:177], v[176:177], v[184:185]
	v_add_f64 v[178:179], v[178:179], v[182:183]
	v_fma_f64 v[182:183], v[4:5], v[26:27], v[186:187]
	v_fma_f64 v[184:185], v[2:3], v[26:27], -v[28:29]
	ds_load_b128 v[2:5], v1 offset:1056
	scratch_load_b128 v[26:29], off, off offset:560
	v_fma_f64 v[174:175], v[174:175], v[30:31], v[180:181]
	v_fma_f64 v[172:173], v[172:173], v[30:31], -v[32:33]
	scratch_load_b128 v[30:33], off, off offset:576
	v_add_f64 v[176:177], v[176:177], v[42:43]
	v_add_f64 v[178:179], v[178:179], v[44:45]
	ds_load_b128 v[42:45], v1 offset:1072
	s_waitcnt vmcnt(10) lgkmcnt(1)
	v_mul_f64 v[186:187], v[2:3], v[36:37]
	v_mul_f64 v[36:37], v[4:5], v[36:37]
	s_waitcnt vmcnt(8) lgkmcnt(0)
	v_mul_f64 v[180:181], v[42:43], v[170:171]
	v_add_f64 v[176:177], v[176:177], v[184:185]
	v_add_f64 v[178:179], v[178:179], v[182:183]
	v_mul_f64 v[182:183], v[44:45], v[170:171]
	v_fma_f64 v[184:185], v[4:5], v[34:35], v[186:187]
	v_fma_f64 v[186:187], v[2:3], v[34:35], -v[36:37]
	ds_load_b128 v[2:5], v1 offset:1088
	scratch_load_b128 v[34:37], off, off offset:592
	v_fma_f64 v[44:45], v[44:45], v[168:169], v[180:181]
	v_add_f64 v[176:177], v[176:177], v[172:173]
	v_add_f64 v[174:175], v[178:179], v[174:175]
	ds_load_b128 v[170:173], v1 offset:1104
	v_fma_f64 v[168:169], v[42:43], v[168:169], -v[182:183]
	s_waitcnt vmcnt(8) lgkmcnt(1)
	v_mul_f64 v[178:179], v[2:3], v[40:41]
	v_mul_f64 v[188:189], v[4:5], v[40:41]
	scratch_load_b128 v[40:43], off, off offset:608
	s_waitcnt vmcnt(8) lgkmcnt(0)
	v_mul_f64 v[180:181], v[170:171], v[8:9]
	v_mul_f64 v[8:9], v[172:173], v[8:9]
	v_add_f64 v[176:177], v[176:177], v[186:187]
	v_add_f64 v[174:175], v[174:175], v[184:185]
	v_fma_f64 v[178:179], v[4:5], v[38:39], v[178:179]
	v_fma_f64 v[38:39], v[2:3], v[38:39], -v[188:189]
	v_fma_f64 v[172:173], v[172:173], v[6:7], v[180:181]
	v_fma_f64 v[6:7], v[170:171], v[6:7], -v[8:9]
	v_add_f64 v[168:169], v[176:177], v[168:169]
	v_add_f64 v[44:45], v[174:175], v[44:45]
	ds_load_b128 v[2:5], v1 offset:1120
	ds_load_b128 v[174:177], v1 offset:1136
	s_waitcnt vmcnt(7) lgkmcnt(1)
	v_mul_f64 v[182:183], v[2:3], v[12:13]
	v_mul_f64 v[12:13], v[4:5], v[12:13]
	v_add_f64 v[8:9], v[168:169], v[38:39]
	v_add_f64 v[38:39], v[44:45], v[178:179]
	s_waitcnt vmcnt(6) lgkmcnt(0)
	v_mul_f64 v[44:45], v[174:175], v[16:17]
	v_mul_f64 v[16:17], v[176:177], v[16:17]
	v_fma_f64 v[168:169], v[4:5], v[10:11], v[182:183]
	v_fma_f64 v[10:11], v[2:3], v[10:11], -v[12:13]
	v_add_f64 v[12:13], v[8:9], v[6:7]
	v_add_f64 v[38:39], v[38:39], v[172:173]
	ds_load_b128 v[2:5], v1 offset:1152
	ds_load_b128 v[6:9], v1 offset:1168
	v_fma_f64 v[44:45], v[176:177], v[14:15], v[44:45]
	v_fma_f64 v[14:15], v[174:175], v[14:15], -v[16:17]
	s_waitcnt vmcnt(5) lgkmcnt(1)
	v_mul_f64 v[170:171], v[2:3], v[20:21]
	v_mul_f64 v[20:21], v[4:5], v[20:21]
	s_waitcnt vmcnt(4) lgkmcnt(0)
	v_mul_f64 v[16:17], v[6:7], v[24:25]
	v_mul_f64 v[24:25], v[8:9], v[24:25]
	v_add_f64 v[10:11], v[12:13], v[10:11]
	v_add_f64 v[12:13], v[38:39], v[168:169]
	v_fma_f64 v[38:39], v[4:5], v[18:19], v[170:171]
	v_fma_f64 v[18:19], v[2:3], v[18:19], -v[20:21]
	v_fma_f64 v[8:9], v[8:9], v[22:23], v[16:17]
	v_fma_f64 v[6:7], v[6:7], v[22:23], -v[24:25]
	v_add_f64 v[14:15], v[10:11], v[14:15]
	v_add_f64 v[20:21], v[12:13], v[44:45]
	ds_load_b128 v[2:5], v1 offset:1184
	ds_load_b128 v[10:13], v1 offset:1200
	s_waitcnt vmcnt(3) lgkmcnt(1)
	v_mul_f64 v[44:45], v[2:3], v[28:29]
	v_mul_f64 v[28:29], v[4:5], v[28:29]
	v_add_f64 v[14:15], v[14:15], v[18:19]
	v_add_f64 v[16:17], v[20:21], v[38:39]
	s_waitcnt vmcnt(2) lgkmcnt(0)
	v_mul_f64 v[18:19], v[10:11], v[32:33]
	v_mul_f64 v[20:21], v[12:13], v[32:33]
	v_fma_f64 v[22:23], v[4:5], v[26:27], v[44:45]
	v_fma_f64 v[24:25], v[2:3], v[26:27], -v[28:29]
	v_add_f64 v[14:15], v[14:15], v[6:7]
	v_add_f64 v[16:17], v[16:17], v[8:9]
	ds_load_b128 v[2:5], v1 offset:1216
	ds_load_b128 v[6:9], v1 offset:1232
	v_fma_f64 v[12:13], v[12:13], v[30:31], v[18:19]
	v_fma_f64 v[10:11], v[10:11], v[30:31], -v[20:21]
	s_waitcnt vmcnt(1) lgkmcnt(1)
	v_mul_f64 v[26:27], v[2:3], v[36:37]
	v_mul_f64 v[28:29], v[4:5], v[36:37]
	s_waitcnt vmcnt(0) lgkmcnt(0)
	v_mul_f64 v[18:19], v[6:7], v[42:43]
	v_add_f64 v[14:15], v[14:15], v[24:25]
	v_add_f64 v[16:17], v[16:17], v[22:23]
	v_mul_f64 v[20:21], v[8:9], v[42:43]
	v_fma_f64 v[4:5], v[4:5], v[34:35], v[26:27]
	v_fma_f64 v[1:2], v[2:3], v[34:35], -v[28:29]
	v_fma_f64 v[8:9], v[8:9], v[40:41], v[18:19]
	v_add_f64 v[10:11], v[14:15], v[10:11]
	v_add_f64 v[12:13], v[16:17], v[12:13]
	v_fma_f64 v[6:7], v[6:7], v[40:41], -v[20:21]
	s_delay_alu instid0(VALU_DEP_3) | instskip(NEXT) | instid1(VALU_DEP_3)
	v_add_f64 v[1:2], v[10:11], v[1:2]
	v_add_f64 v[3:4], v[12:13], v[4:5]
	s_delay_alu instid0(VALU_DEP_2) | instskip(NEXT) | instid1(VALU_DEP_2)
	v_add_f64 v[1:2], v[1:2], v[6:7]
	v_add_f64 v[3:4], v[3:4], v[8:9]
	s_delay_alu instid0(VALU_DEP_2) | instskip(NEXT) | instid1(VALU_DEP_2)
	v_add_f64 v[1:2], v[164:165], -v[1:2]
	v_add_f64 v[3:4], v[166:167], -v[3:4]
	scratch_store_b128 off, v[1:4], off offset:288
	v_cmpx_lt_u32_e32 17, v124
	s_cbranch_execz .LBB102_213
; %bb.212:
	scratch_load_b128 v[1:4], v146, off
	v_mov_b32_e32 v5, 0
	s_delay_alu instid0(VALU_DEP_1)
	v_mov_b32_e32 v6, v5
	v_mov_b32_e32 v7, v5
	;; [unrolled: 1-line block ×3, first 2 shown]
	scratch_store_b128 off, v[5:8], off offset:272
	s_waitcnt vmcnt(0)
	ds_store_b128 v163, v[1:4]
.LBB102_213:
	s_or_b32 exec_lo, exec_lo, s2
	s_waitcnt lgkmcnt(0)
	s_waitcnt_vscnt null, 0x0
	s_barrier
	buffer_gl0_inv
	s_clause 0x7
	scratch_load_b128 v[2:5], off, off offset:288
	scratch_load_b128 v[6:9], off, off offset:304
	;; [unrolled: 1-line block ×8, first 2 shown]
	v_mov_b32_e32 v1, 0
	s_mov_b32 s2, exec_lo
	ds_load_b128 v[34:37], v1 offset:912
	s_clause 0x1
	scratch_load_b128 v[38:41], off, off offset:416
	scratch_load_b128 v[42:45], off, off offset:272
	ds_load_b128 v[164:167], v1 offset:928
	scratch_load_b128 v[168:171], off, off offset:432
	s_waitcnt vmcnt(10) lgkmcnt(1)
	v_mul_f64 v[172:173], v[36:37], v[4:5]
	v_mul_f64 v[4:5], v[34:35], v[4:5]
	s_delay_alu instid0(VALU_DEP_2) | instskip(NEXT) | instid1(VALU_DEP_2)
	v_fma_f64 v[178:179], v[34:35], v[2:3], -v[172:173]
	v_fma_f64 v[180:181], v[36:37], v[2:3], v[4:5]
	scratch_load_b128 v[34:37], off, off offset:448
	ds_load_b128 v[2:5], v1 offset:944
	s_waitcnt vmcnt(10) lgkmcnt(1)
	v_mul_f64 v[176:177], v[164:165], v[8:9]
	v_mul_f64 v[8:9], v[166:167], v[8:9]
	ds_load_b128 v[172:175], v1 offset:960
	s_waitcnt vmcnt(9) lgkmcnt(1)
	v_mul_f64 v[182:183], v[2:3], v[12:13]
	v_mul_f64 v[12:13], v[4:5], v[12:13]
	v_fma_f64 v[166:167], v[166:167], v[6:7], v[176:177]
	v_fma_f64 v[164:165], v[164:165], v[6:7], -v[8:9]
	v_add_f64 v[176:177], v[178:179], 0
	v_add_f64 v[178:179], v[180:181], 0
	scratch_load_b128 v[6:9], off, off offset:464
	v_fma_f64 v[182:183], v[4:5], v[10:11], v[182:183]
	v_fma_f64 v[184:185], v[2:3], v[10:11], -v[12:13]
	scratch_load_b128 v[10:13], off, off offset:480
	ds_load_b128 v[2:5], v1 offset:976
	s_waitcnt vmcnt(10) lgkmcnt(1)
	v_mul_f64 v[180:181], v[172:173], v[16:17]
	v_mul_f64 v[16:17], v[174:175], v[16:17]
	v_add_f64 v[176:177], v[176:177], v[164:165]
	v_add_f64 v[178:179], v[178:179], v[166:167]
	s_waitcnt vmcnt(9) lgkmcnt(0)
	v_mul_f64 v[186:187], v[2:3], v[20:21]
	v_mul_f64 v[20:21], v[4:5], v[20:21]
	ds_load_b128 v[164:167], v1 offset:992
	v_fma_f64 v[174:175], v[174:175], v[14:15], v[180:181]
	v_fma_f64 v[172:173], v[172:173], v[14:15], -v[16:17]
	scratch_load_b128 v[14:17], off, off offset:496
	v_add_f64 v[176:177], v[176:177], v[184:185]
	v_add_f64 v[178:179], v[178:179], v[182:183]
	v_fma_f64 v[182:183], v[4:5], v[18:19], v[186:187]
	v_fma_f64 v[184:185], v[2:3], v[18:19], -v[20:21]
	scratch_load_b128 v[18:21], off, off offset:512
	ds_load_b128 v[2:5], v1 offset:1008
	s_waitcnt vmcnt(10) lgkmcnt(1)
	v_mul_f64 v[180:181], v[164:165], v[24:25]
	v_mul_f64 v[24:25], v[166:167], v[24:25]
	s_waitcnt vmcnt(9) lgkmcnt(0)
	v_mul_f64 v[186:187], v[2:3], v[28:29]
	v_mul_f64 v[28:29], v[4:5], v[28:29]
	v_add_f64 v[176:177], v[176:177], v[172:173]
	v_add_f64 v[178:179], v[178:179], v[174:175]
	ds_load_b128 v[172:175], v1 offset:1024
	v_fma_f64 v[166:167], v[166:167], v[22:23], v[180:181]
	v_fma_f64 v[164:165], v[164:165], v[22:23], -v[24:25]
	scratch_load_b128 v[22:25], off, off offset:528
	v_add_f64 v[176:177], v[176:177], v[184:185]
	v_add_f64 v[178:179], v[178:179], v[182:183]
	v_fma_f64 v[182:183], v[4:5], v[26:27], v[186:187]
	v_fma_f64 v[184:185], v[2:3], v[26:27], -v[28:29]
	scratch_load_b128 v[26:29], off, off offset:544
	ds_load_b128 v[2:5], v1 offset:1040
	s_waitcnt vmcnt(10) lgkmcnt(1)
	v_mul_f64 v[180:181], v[172:173], v[32:33]
	v_mul_f64 v[32:33], v[174:175], v[32:33]
	s_waitcnt vmcnt(9) lgkmcnt(0)
	v_mul_f64 v[186:187], v[2:3], v[40:41]
	v_mul_f64 v[40:41], v[4:5], v[40:41]
	v_add_f64 v[176:177], v[176:177], v[164:165]
	v_add_f64 v[178:179], v[178:179], v[166:167]
	ds_load_b128 v[164:167], v1 offset:1056
	v_fma_f64 v[174:175], v[174:175], v[30:31], v[180:181]
	v_fma_f64 v[172:173], v[172:173], v[30:31], -v[32:33]
	scratch_load_b128 v[30:33], off, off offset:560
	v_add_f64 v[176:177], v[176:177], v[184:185]
	v_add_f64 v[178:179], v[178:179], v[182:183]
	v_fma_f64 v[184:185], v[4:5], v[38:39], v[186:187]
	v_fma_f64 v[186:187], v[2:3], v[38:39], -v[40:41]
	scratch_load_b128 v[38:41], off, off offset:576
	ds_load_b128 v[2:5], v1 offset:1072
	s_waitcnt vmcnt(9) lgkmcnt(1)
	v_mul_f64 v[180:181], v[164:165], v[170:171]
	v_mul_f64 v[182:183], v[166:167], v[170:171]
	v_add_f64 v[176:177], v[176:177], v[172:173]
	v_add_f64 v[174:175], v[178:179], v[174:175]
	ds_load_b128 v[170:173], v1 offset:1088
	v_fma_f64 v[180:181], v[166:167], v[168:169], v[180:181]
	v_fma_f64 v[168:169], v[164:165], v[168:169], -v[182:183]
	scratch_load_b128 v[164:167], off, off offset:592
	s_waitcnt vmcnt(9) lgkmcnt(1)
	v_mul_f64 v[178:179], v[2:3], v[36:37]
	v_mul_f64 v[36:37], v[4:5], v[36:37]
	v_add_f64 v[176:177], v[176:177], v[186:187]
	v_add_f64 v[174:175], v[174:175], v[184:185]
	s_delay_alu instid0(VALU_DEP_4) | instskip(NEXT) | instid1(VALU_DEP_4)
	v_fma_f64 v[178:179], v[4:5], v[34:35], v[178:179]
	v_fma_f64 v[184:185], v[2:3], v[34:35], -v[36:37]
	scratch_load_b128 v[34:37], off, off offset:608
	ds_load_b128 v[2:5], v1 offset:1104
	s_waitcnt vmcnt(9) lgkmcnt(1)
	v_mul_f64 v[182:183], v[170:171], v[8:9]
	v_mul_f64 v[8:9], v[172:173], v[8:9]
	s_waitcnt vmcnt(8) lgkmcnt(0)
	v_mul_f64 v[186:187], v[2:3], v[12:13]
	v_mul_f64 v[12:13], v[4:5], v[12:13]
	v_add_f64 v[168:169], v[176:177], v[168:169]
	v_add_f64 v[180:181], v[174:175], v[180:181]
	ds_load_b128 v[174:177], v1 offset:1120
	v_fma_f64 v[172:173], v[172:173], v[6:7], v[182:183]
	v_fma_f64 v[6:7], v[170:171], v[6:7], -v[8:9]
	v_add_f64 v[8:9], v[168:169], v[184:185]
	v_add_f64 v[168:169], v[180:181], v[178:179]
	s_waitcnt vmcnt(7) lgkmcnt(0)
	v_mul_f64 v[170:171], v[174:175], v[16:17]
	v_mul_f64 v[16:17], v[176:177], v[16:17]
	v_fma_f64 v[178:179], v[4:5], v[10:11], v[186:187]
	v_fma_f64 v[10:11], v[2:3], v[10:11], -v[12:13]
	v_add_f64 v[12:13], v[8:9], v[6:7]
	v_add_f64 v[168:169], v[168:169], v[172:173]
	ds_load_b128 v[2:5], v1 offset:1136
	ds_load_b128 v[6:9], v1 offset:1152
	v_fma_f64 v[170:171], v[176:177], v[14:15], v[170:171]
	v_fma_f64 v[14:15], v[174:175], v[14:15], -v[16:17]
	s_waitcnt vmcnt(6) lgkmcnt(1)
	v_mul_f64 v[172:173], v[2:3], v[20:21]
	v_mul_f64 v[20:21], v[4:5], v[20:21]
	s_waitcnt vmcnt(5) lgkmcnt(0)
	v_mul_f64 v[16:17], v[6:7], v[24:25]
	v_mul_f64 v[24:25], v[8:9], v[24:25]
	v_add_f64 v[10:11], v[12:13], v[10:11]
	v_add_f64 v[12:13], v[168:169], v[178:179]
	v_fma_f64 v[168:169], v[4:5], v[18:19], v[172:173]
	v_fma_f64 v[18:19], v[2:3], v[18:19], -v[20:21]
	v_fma_f64 v[8:9], v[8:9], v[22:23], v[16:17]
	v_fma_f64 v[6:7], v[6:7], v[22:23], -v[24:25]
	v_add_f64 v[14:15], v[10:11], v[14:15]
	v_add_f64 v[20:21], v[12:13], v[170:171]
	ds_load_b128 v[2:5], v1 offset:1168
	ds_load_b128 v[10:13], v1 offset:1184
	s_waitcnt vmcnt(4) lgkmcnt(1)
	v_mul_f64 v[170:171], v[2:3], v[28:29]
	v_mul_f64 v[28:29], v[4:5], v[28:29]
	v_add_f64 v[14:15], v[14:15], v[18:19]
	v_add_f64 v[16:17], v[20:21], v[168:169]
	s_waitcnt vmcnt(3) lgkmcnt(0)
	v_mul_f64 v[18:19], v[10:11], v[32:33]
	v_mul_f64 v[20:21], v[12:13], v[32:33]
	v_fma_f64 v[22:23], v[4:5], v[26:27], v[170:171]
	v_fma_f64 v[24:25], v[2:3], v[26:27], -v[28:29]
	v_add_f64 v[14:15], v[14:15], v[6:7]
	v_add_f64 v[16:17], v[16:17], v[8:9]
	ds_load_b128 v[2:5], v1 offset:1200
	ds_load_b128 v[6:9], v1 offset:1216
	v_fma_f64 v[12:13], v[12:13], v[30:31], v[18:19]
	v_fma_f64 v[10:11], v[10:11], v[30:31], -v[20:21]
	s_waitcnt vmcnt(2) lgkmcnt(1)
	v_mul_f64 v[26:27], v[2:3], v[40:41]
	v_mul_f64 v[28:29], v[4:5], v[40:41]
	s_waitcnt vmcnt(1) lgkmcnt(0)
	v_mul_f64 v[18:19], v[6:7], v[166:167]
	v_mul_f64 v[20:21], v[8:9], v[166:167]
	v_add_f64 v[14:15], v[14:15], v[24:25]
	v_add_f64 v[16:17], v[16:17], v[22:23]
	v_fma_f64 v[22:23], v[4:5], v[38:39], v[26:27]
	v_fma_f64 v[24:25], v[2:3], v[38:39], -v[28:29]
	ds_load_b128 v[2:5], v1 offset:1232
	v_fma_f64 v[8:9], v[8:9], v[164:165], v[18:19]
	v_fma_f64 v[6:7], v[6:7], v[164:165], -v[20:21]
	v_add_f64 v[10:11], v[14:15], v[10:11]
	v_add_f64 v[12:13], v[16:17], v[12:13]
	s_waitcnt vmcnt(0) lgkmcnt(0)
	v_mul_f64 v[14:15], v[2:3], v[36:37]
	v_mul_f64 v[16:17], v[4:5], v[36:37]
	s_delay_alu instid0(VALU_DEP_4) | instskip(NEXT) | instid1(VALU_DEP_4)
	v_add_f64 v[10:11], v[10:11], v[24:25]
	v_add_f64 v[12:13], v[12:13], v[22:23]
	s_delay_alu instid0(VALU_DEP_4) | instskip(NEXT) | instid1(VALU_DEP_4)
	v_fma_f64 v[4:5], v[4:5], v[34:35], v[14:15]
	v_fma_f64 v[2:3], v[2:3], v[34:35], -v[16:17]
	s_delay_alu instid0(VALU_DEP_4) | instskip(NEXT) | instid1(VALU_DEP_4)
	v_add_f64 v[6:7], v[10:11], v[6:7]
	v_add_f64 v[8:9], v[12:13], v[8:9]
	s_delay_alu instid0(VALU_DEP_2) | instskip(NEXT) | instid1(VALU_DEP_2)
	v_add_f64 v[2:3], v[6:7], v[2:3]
	v_add_f64 v[4:5], v[8:9], v[4:5]
	s_delay_alu instid0(VALU_DEP_2) | instskip(NEXT) | instid1(VALU_DEP_2)
	v_add_f64 v[2:3], v[42:43], -v[2:3]
	v_add_f64 v[4:5], v[44:45], -v[4:5]
	scratch_store_b128 off, v[2:5], off offset:272
	v_cmpx_lt_u32_e32 16, v124
	s_cbranch_execz .LBB102_215
; %bb.214:
	scratch_load_b128 v[5:8], v147, off
	v_mov_b32_e32 v2, v1
	v_mov_b32_e32 v3, v1
	;; [unrolled: 1-line block ×3, first 2 shown]
	scratch_store_b128 off, v[1:4], off offset:256
	s_waitcnt vmcnt(0)
	ds_store_b128 v163, v[5:8]
.LBB102_215:
	s_or_b32 exec_lo, exec_lo, s2
	s_waitcnt lgkmcnt(0)
	s_waitcnt_vscnt null, 0x0
	s_barrier
	buffer_gl0_inv
	s_clause 0x8
	scratch_load_b128 v[2:5], off, off offset:272
	scratch_load_b128 v[6:9], off, off offset:288
	;; [unrolled: 1-line block ×9, first 2 shown]
	ds_load_b128 v[38:41], v1 offset:896
	ds_load_b128 v[42:45], v1 offset:912
	s_clause 0x1
	scratch_load_b128 v[164:167], off, off offset:256
	scratch_load_b128 v[168:171], off, off offset:416
	s_mov_b32 s2, exec_lo
	s_waitcnt vmcnt(10) lgkmcnt(1)
	v_mul_f64 v[172:173], v[40:41], v[4:5]
	v_mul_f64 v[4:5], v[38:39], v[4:5]
	s_waitcnt vmcnt(9) lgkmcnt(0)
	v_mul_f64 v[176:177], v[42:43], v[8:9]
	v_mul_f64 v[8:9], v[44:45], v[8:9]
	s_delay_alu instid0(VALU_DEP_4) | instskip(NEXT) | instid1(VALU_DEP_4)
	v_fma_f64 v[178:179], v[38:39], v[2:3], -v[172:173]
	v_fma_f64 v[180:181], v[40:41], v[2:3], v[4:5]
	ds_load_b128 v[2:5], v1 offset:928
	ds_load_b128 v[172:175], v1 offset:944
	scratch_load_b128 v[38:41], off, off offset:432
	v_fma_f64 v[44:45], v[44:45], v[6:7], v[176:177]
	v_fma_f64 v[42:43], v[42:43], v[6:7], -v[8:9]
	scratch_load_b128 v[6:9], off, off offset:448
	s_waitcnt vmcnt(10) lgkmcnt(1)
	v_mul_f64 v[182:183], v[2:3], v[12:13]
	v_mul_f64 v[12:13], v[4:5], v[12:13]
	v_add_f64 v[176:177], v[178:179], 0
	v_add_f64 v[178:179], v[180:181], 0
	s_waitcnt vmcnt(9) lgkmcnt(0)
	v_mul_f64 v[180:181], v[172:173], v[16:17]
	v_mul_f64 v[16:17], v[174:175], v[16:17]
	v_fma_f64 v[182:183], v[4:5], v[10:11], v[182:183]
	v_fma_f64 v[184:185], v[2:3], v[10:11], -v[12:13]
	ds_load_b128 v[2:5], v1 offset:960
	scratch_load_b128 v[10:13], off, off offset:464
	v_add_f64 v[176:177], v[176:177], v[42:43]
	v_add_f64 v[178:179], v[178:179], v[44:45]
	ds_load_b128 v[42:45], v1 offset:976
	v_fma_f64 v[174:175], v[174:175], v[14:15], v[180:181]
	v_fma_f64 v[172:173], v[172:173], v[14:15], -v[16:17]
	scratch_load_b128 v[14:17], off, off offset:480
	s_waitcnt vmcnt(10) lgkmcnt(1)
	v_mul_f64 v[186:187], v[2:3], v[20:21]
	v_mul_f64 v[20:21], v[4:5], v[20:21]
	s_waitcnt vmcnt(9) lgkmcnt(0)
	v_mul_f64 v[180:181], v[42:43], v[24:25]
	v_mul_f64 v[24:25], v[44:45], v[24:25]
	v_add_f64 v[176:177], v[176:177], v[184:185]
	v_add_f64 v[178:179], v[178:179], v[182:183]
	v_fma_f64 v[182:183], v[4:5], v[18:19], v[186:187]
	v_fma_f64 v[184:185], v[2:3], v[18:19], -v[20:21]
	ds_load_b128 v[2:5], v1 offset:992
	scratch_load_b128 v[18:21], off, off offset:496
	v_fma_f64 v[44:45], v[44:45], v[22:23], v[180:181]
	v_fma_f64 v[42:43], v[42:43], v[22:23], -v[24:25]
	scratch_load_b128 v[22:25], off, off offset:512
	v_add_f64 v[176:177], v[176:177], v[172:173]
	v_add_f64 v[178:179], v[178:179], v[174:175]
	ds_load_b128 v[172:175], v1 offset:1008
	s_waitcnt vmcnt(10) lgkmcnt(1)
	v_mul_f64 v[186:187], v[2:3], v[28:29]
	v_mul_f64 v[28:29], v[4:5], v[28:29]
	s_waitcnt vmcnt(9) lgkmcnt(0)
	v_mul_f64 v[180:181], v[172:173], v[32:33]
	v_mul_f64 v[32:33], v[174:175], v[32:33]
	v_add_f64 v[176:177], v[176:177], v[184:185]
	v_add_f64 v[178:179], v[178:179], v[182:183]
	v_fma_f64 v[182:183], v[4:5], v[26:27], v[186:187]
	v_fma_f64 v[184:185], v[2:3], v[26:27], -v[28:29]
	ds_load_b128 v[2:5], v1 offset:1024
	scratch_load_b128 v[26:29], off, off offset:528
	v_fma_f64 v[174:175], v[174:175], v[30:31], v[180:181]
	v_fma_f64 v[172:173], v[172:173], v[30:31], -v[32:33]
	scratch_load_b128 v[30:33], off, off offset:544
	v_add_f64 v[176:177], v[176:177], v[42:43]
	v_add_f64 v[178:179], v[178:179], v[44:45]
	ds_load_b128 v[42:45], v1 offset:1040
	s_waitcnt vmcnt(10) lgkmcnt(1)
	v_mul_f64 v[186:187], v[2:3], v[36:37]
	v_mul_f64 v[36:37], v[4:5], v[36:37]
	s_waitcnt vmcnt(8) lgkmcnt(0)
	v_mul_f64 v[180:181], v[42:43], v[170:171]
	v_add_f64 v[176:177], v[176:177], v[184:185]
	v_add_f64 v[178:179], v[178:179], v[182:183]
	v_mul_f64 v[182:183], v[44:45], v[170:171]
	v_fma_f64 v[184:185], v[4:5], v[34:35], v[186:187]
	v_fma_f64 v[186:187], v[2:3], v[34:35], -v[36:37]
	ds_load_b128 v[2:5], v1 offset:1056
	scratch_load_b128 v[34:37], off, off offset:560
	v_fma_f64 v[44:45], v[44:45], v[168:169], v[180:181]
	v_add_f64 v[176:177], v[176:177], v[172:173]
	v_add_f64 v[174:175], v[178:179], v[174:175]
	ds_load_b128 v[170:173], v1 offset:1072
	v_fma_f64 v[168:169], v[42:43], v[168:169], -v[182:183]
	s_waitcnt vmcnt(8) lgkmcnt(1)
	v_mul_f64 v[178:179], v[2:3], v[40:41]
	v_mul_f64 v[188:189], v[4:5], v[40:41]
	scratch_load_b128 v[40:43], off, off offset:576
	s_waitcnt vmcnt(8) lgkmcnt(0)
	v_mul_f64 v[182:183], v[170:171], v[8:9]
	v_mul_f64 v[8:9], v[172:173], v[8:9]
	v_add_f64 v[176:177], v[176:177], v[186:187]
	v_add_f64 v[174:175], v[174:175], v[184:185]
	v_fma_f64 v[184:185], v[4:5], v[38:39], v[178:179]
	v_fma_f64 v[38:39], v[2:3], v[38:39], -v[188:189]
	ds_load_b128 v[2:5], v1 offset:1088
	ds_load_b128 v[178:181], v1 offset:1104
	v_fma_f64 v[172:173], v[172:173], v[6:7], v[182:183]
	v_fma_f64 v[170:171], v[170:171], v[6:7], -v[8:9]
	scratch_load_b128 v[6:9], off, off offset:608
	v_add_f64 v[168:169], v[176:177], v[168:169]
	v_add_f64 v[44:45], v[174:175], v[44:45]
	scratch_load_b128 v[174:177], off, off offset:592
	s_waitcnt vmcnt(9) lgkmcnt(1)
	v_mul_f64 v[186:187], v[2:3], v[12:13]
	v_mul_f64 v[12:13], v[4:5], v[12:13]
	v_add_f64 v[38:39], v[168:169], v[38:39]
	v_add_f64 v[44:45], v[44:45], v[184:185]
	s_waitcnt vmcnt(8) lgkmcnt(0)
	v_mul_f64 v[168:169], v[178:179], v[16:17]
	v_mul_f64 v[16:17], v[180:181], v[16:17]
	v_fma_f64 v[182:183], v[4:5], v[10:11], v[186:187]
	v_fma_f64 v[184:185], v[2:3], v[10:11], -v[12:13]
	ds_load_b128 v[2:5], v1 offset:1120
	ds_load_b128 v[10:13], v1 offset:1136
	v_add_f64 v[38:39], v[38:39], v[170:171]
	v_add_f64 v[44:45], v[44:45], v[172:173]
	s_waitcnt vmcnt(7) lgkmcnt(1)
	v_mul_f64 v[170:171], v[2:3], v[20:21]
	v_mul_f64 v[20:21], v[4:5], v[20:21]
	v_fma_f64 v[168:169], v[180:181], v[14:15], v[168:169]
	v_fma_f64 v[14:15], v[178:179], v[14:15], -v[16:17]
	v_add_f64 v[16:17], v[38:39], v[184:185]
	v_add_f64 v[38:39], v[44:45], v[182:183]
	s_waitcnt vmcnt(6) lgkmcnt(0)
	v_mul_f64 v[44:45], v[10:11], v[24:25]
	v_mul_f64 v[24:25], v[12:13], v[24:25]
	v_fma_f64 v[170:171], v[4:5], v[18:19], v[170:171]
	v_fma_f64 v[18:19], v[2:3], v[18:19], -v[20:21]
	v_add_f64 v[20:21], v[16:17], v[14:15]
	v_add_f64 v[38:39], v[38:39], v[168:169]
	ds_load_b128 v[2:5], v1 offset:1152
	ds_load_b128 v[14:17], v1 offset:1168
	v_fma_f64 v[12:13], v[12:13], v[22:23], v[44:45]
	v_fma_f64 v[10:11], v[10:11], v[22:23], -v[24:25]
	s_waitcnt vmcnt(5) lgkmcnt(1)
	v_mul_f64 v[168:169], v[2:3], v[28:29]
	v_mul_f64 v[28:29], v[4:5], v[28:29]
	s_waitcnt vmcnt(4) lgkmcnt(0)
	v_mul_f64 v[22:23], v[14:15], v[32:33]
	v_mul_f64 v[24:25], v[16:17], v[32:33]
	v_add_f64 v[18:19], v[20:21], v[18:19]
	v_add_f64 v[20:21], v[38:39], v[170:171]
	v_fma_f64 v[32:33], v[4:5], v[26:27], v[168:169]
	v_fma_f64 v[26:27], v[2:3], v[26:27], -v[28:29]
	v_fma_f64 v[16:17], v[16:17], v[30:31], v[22:23]
	v_fma_f64 v[14:15], v[14:15], v[30:31], -v[24:25]
	v_add_f64 v[18:19], v[18:19], v[10:11]
	v_add_f64 v[20:21], v[20:21], v[12:13]
	ds_load_b128 v[2:5], v1 offset:1184
	ds_load_b128 v[10:13], v1 offset:1200
	s_waitcnt vmcnt(3) lgkmcnt(1)
	v_mul_f64 v[28:29], v[2:3], v[36:37]
	v_mul_f64 v[36:37], v[4:5], v[36:37]
	s_waitcnt vmcnt(2) lgkmcnt(0)
	v_mul_f64 v[22:23], v[10:11], v[42:43]
	v_add_f64 v[18:19], v[18:19], v[26:27]
	v_add_f64 v[20:21], v[20:21], v[32:33]
	v_mul_f64 v[24:25], v[12:13], v[42:43]
	v_fma_f64 v[26:27], v[4:5], v[34:35], v[28:29]
	v_fma_f64 v[28:29], v[2:3], v[34:35], -v[36:37]
	v_fma_f64 v[12:13], v[12:13], v[40:41], v[22:23]
	v_add_f64 v[18:19], v[18:19], v[14:15]
	v_add_f64 v[20:21], v[20:21], v[16:17]
	ds_load_b128 v[2:5], v1 offset:1216
	ds_load_b128 v[14:17], v1 offset:1232
	v_fma_f64 v[10:11], v[10:11], v[40:41], -v[24:25]
	s_waitcnt vmcnt(0) lgkmcnt(1)
	v_mul_f64 v[30:31], v[2:3], v[176:177]
	v_mul_f64 v[32:33], v[4:5], v[176:177]
	s_waitcnt lgkmcnt(0)
	v_mul_f64 v[22:23], v[14:15], v[8:9]
	v_mul_f64 v[8:9], v[16:17], v[8:9]
	v_add_f64 v[18:19], v[18:19], v[28:29]
	v_add_f64 v[20:21], v[20:21], v[26:27]
	v_fma_f64 v[4:5], v[4:5], v[174:175], v[30:31]
	v_fma_f64 v[1:2], v[2:3], v[174:175], -v[32:33]
	v_fma_f64 v[16:17], v[16:17], v[6:7], v[22:23]
	v_fma_f64 v[6:7], v[14:15], v[6:7], -v[8:9]
	v_add_f64 v[10:11], v[18:19], v[10:11]
	v_add_f64 v[12:13], v[20:21], v[12:13]
	s_delay_alu instid0(VALU_DEP_2) | instskip(NEXT) | instid1(VALU_DEP_2)
	v_add_f64 v[1:2], v[10:11], v[1:2]
	v_add_f64 v[3:4], v[12:13], v[4:5]
	s_delay_alu instid0(VALU_DEP_2) | instskip(NEXT) | instid1(VALU_DEP_2)
	;; [unrolled: 3-line block ×3, first 2 shown]
	v_add_f64 v[1:2], v[164:165], -v[1:2]
	v_add_f64 v[3:4], v[166:167], -v[3:4]
	scratch_store_b128 off, v[1:4], off offset:256
	v_cmpx_lt_u32_e32 15, v124
	s_cbranch_execz .LBB102_217
; %bb.216:
	scratch_load_b128 v[1:4], v148, off
	v_mov_b32_e32 v5, 0
	s_delay_alu instid0(VALU_DEP_1)
	v_mov_b32_e32 v6, v5
	v_mov_b32_e32 v7, v5
	;; [unrolled: 1-line block ×3, first 2 shown]
	scratch_store_b128 off, v[5:8], off offset:240
	s_waitcnt vmcnt(0)
	ds_store_b128 v163, v[1:4]
.LBB102_217:
	s_or_b32 exec_lo, exec_lo, s2
	s_waitcnt lgkmcnt(0)
	s_waitcnt_vscnt null, 0x0
	s_barrier
	buffer_gl0_inv
	s_clause 0x7
	scratch_load_b128 v[2:5], off, off offset:256
	scratch_load_b128 v[6:9], off, off offset:272
	;; [unrolled: 1-line block ×8, first 2 shown]
	v_mov_b32_e32 v1, 0
	s_mov_b32 s2, exec_lo
	ds_load_b128 v[34:37], v1 offset:880
	s_clause 0x1
	scratch_load_b128 v[38:41], off, off offset:384
	scratch_load_b128 v[42:45], off, off offset:240
	ds_load_b128 v[164:167], v1 offset:896
	scratch_load_b128 v[168:171], off, off offset:400
	s_waitcnt vmcnt(10) lgkmcnt(1)
	v_mul_f64 v[172:173], v[36:37], v[4:5]
	v_mul_f64 v[4:5], v[34:35], v[4:5]
	s_delay_alu instid0(VALU_DEP_2) | instskip(NEXT) | instid1(VALU_DEP_2)
	v_fma_f64 v[178:179], v[34:35], v[2:3], -v[172:173]
	v_fma_f64 v[180:181], v[36:37], v[2:3], v[4:5]
	scratch_load_b128 v[34:37], off, off offset:416
	ds_load_b128 v[2:5], v1 offset:912
	s_waitcnt vmcnt(10) lgkmcnt(1)
	v_mul_f64 v[176:177], v[164:165], v[8:9]
	v_mul_f64 v[8:9], v[166:167], v[8:9]
	ds_load_b128 v[172:175], v1 offset:928
	s_waitcnt vmcnt(9) lgkmcnt(1)
	v_mul_f64 v[182:183], v[2:3], v[12:13]
	v_mul_f64 v[12:13], v[4:5], v[12:13]
	v_fma_f64 v[166:167], v[166:167], v[6:7], v[176:177]
	v_fma_f64 v[164:165], v[164:165], v[6:7], -v[8:9]
	v_add_f64 v[176:177], v[178:179], 0
	v_add_f64 v[178:179], v[180:181], 0
	scratch_load_b128 v[6:9], off, off offset:432
	v_fma_f64 v[182:183], v[4:5], v[10:11], v[182:183]
	v_fma_f64 v[184:185], v[2:3], v[10:11], -v[12:13]
	scratch_load_b128 v[10:13], off, off offset:448
	ds_load_b128 v[2:5], v1 offset:944
	s_waitcnt vmcnt(10) lgkmcnt(1)
	v_mul_f64 v[180:181], v[172:173], v[16:17]
	v_mul_f64 v[16:17], v[174:175], v[16:17]
	v_add_f64 v[176:177], v[176:177], v[164:165]
	v_add_f64 v[178:179], v[178:179], v[166:167]
	s_waitcnt vmcnt(9) lgkmcnt(0)
	v_mul_f64 v[186:187], v[2:3], v[20:21]
	v_mul_f64 v[20:21], v[4:5], v[20:21]
	ds_load_b128 v[164:167], v1 offset:960
	v_fma_f64 v[174:175], v[174:175], v[14:15], v[180:181]
	v_fma_f64 v[172:173], v[172:173], v[14:15], -v[16:17]
	scratch_load_b128 v[14:17], off, off offset:464
	v_add_f64 v[176:177], v[176:177], v[184:185]
	v_add_f64 v[178:179], v[178:179], v[182:183]
	v_fma_f64 v[182:183], v[4:5], v[18:19], v[186:187]
	v_fma_f64 v[184:185], v[2:3], v[18:19], -v[20:21]
	scratch_load_b128 v[18:21], off, off offset:480
	ds_load_b128 v[2:5], v1 offset:976
	s_waitcnt vmcnt(10) lgkmcnt(1)
	v_mul_f64 v[180:181], v[164:165], v[24:25]
	v_mul_f64 v[24:25], v[166:167], v[24:25]
	s_waitcnt vmcnt(9) lgkmcnt(0)
	v_mul_f64 v[186:187], v[2:3], v[28:29]
	v_mul_f64 v[28:29], v[4:5], v[28:29]
	v_add_f64 v[176:177], v[176:177], v[172:173]
	v_add_f64 v[178:179], v[178:179], v[174:175]
	ds_load_b128 v[172:175], v1 offset:992
	v_fma_f64 v[166:167], v[166:167], v[22:23], v[180:181]
	v_fma_f64 v[164:165], v[164:165], v[22:23], -v[24:25]
	scratch_load_b128 v[22:25], off, off offset:496
	v_add_f64 v[176:177], v[176:177], v[184:185]
	v_add_f64 v[178:179], v[178:179], v[182:183]
	v_fma_f64 v[182:183], v[4:5], v[26:27], v[186:187]
	v_fma_f64 v[184:185], v[2:3], v[26:27], -v[28:29]
	scratch_load_b128 v[26:29], off, off offset:512
	ds_load_b128 v[2:5], v1 offset:1008
	s_waitcnt vmcnt(10) lgkmcnt(1)
	v_mul_f64 v[180:181], v[172:173], v[32:33]
	v_mul_f64 v[32:33], v[174:175], v[32:33]
	s_waitcnt vmcnt(9) lgkmcnt(0)
	v_mul_f64 v[186:187], v[2:3], v[40:41]
	v_mul_f64 v[40:41], v[4:5], v[40:41]
	v_add_f64 v[176:177], v[176:177], v[164:165]
	v_add_f64 v[178:179], v[178:179], v[166:167]
	ds_load_b128 v[164:167], v1 offset:1024
	v_fma_f64 v[174:175], v[174:175], v[30:31], v[180:181]
	v_fma_f64 v[172:173], v[172:173], v[30:31], -v[32:33]
	scratch_load_b128 v[30:33], off, off offset:528
	v_add_f64 v[176:177], v[176:177], v[184:185]
	v_add_f64 v[178:179], v[178:179], v[182:183]
	v_fma_f64 v[184:185], v[4:5], v[38:39], v[186:187]
	v_fma_f64 v[186:187], v[2:3], v[38:39], -v[40:41]
	scratch_load_b128 v[38:41], off, off offset:544
	ds_load_b128 v[2:5], v1 offset:1040
	s_waitcnt vmcnt(9) lgkmcnt(1)
	v_mul_f64 v[180:181], v[164:165], v[170:171]
	v_mul_f64 v[182:183], v[166:167], v[170:171]
	v_add_f64 v[176:177], v[176:177], v[172:173]
	v_add_f64 v[174:175], v[178:179], v[174:175]
	ds_load_b128 v[170:173], v1 offset:1056
	v_fma_f64 v[180:181], v[166:167], v[168:169], v[180:181]
	v_fma_f64 v[168:169], v[164:165], v[168:169], -v[182:183]
	scratch_load_b128 v[164:167], off, off offset:560
	s_waitcnt vmcnt(9) lgkmcnt(1)
	v_mul_f64 v[178:179], v[2:3], v[36:37]
	v_mul_f64 v[36:37], v[4:5], v[36:37]
	v_add_f64 v[176:177], v[176:177], v[186:187]
	v_add_f64 v[174:175], v[174:175], v[184:185]
	s_delay_alu instid0(VALU_DEP_4) | instskip(NEXT) | instid1(VALU_DEP_4)
	v_fma_f64 v[178:179], v[4:5], v[34:35], v[178:179]
	v_fma_f64 v[184:185], v[2:3], v[34:35], -v[36:37]
	scratch_load_b128 v[34:37], off, off offset:576
	ds_load_b128 v[2:5], v1 offset:1072
	s_waitcnt vmcnt(9) lgkmcnt(1)
	v_mul_f64 v[182:183], v[170:171], v[8:9]
	v_mul_f64 v[8:9], v[172:173], v[8:9]
	s_waitcnt vmcnt(8) lgkmcnt(0)
	v_mul_f64 v[186:187], v[2:3], v[12:13]
	v_mul_f64 v[12:13], v[4:5], v[12:13]
	v_add_f64 v[168:169], v[176:177], v[168:169]
	v_add_f64 v[180:181], v[174:175], v[180:181]
	ds_load_b128 v[174:177], v1 offset:1088
	v_fma_f64 v[172:173], v[172:173], v[6:7], v[182:183]
	v_fma_f64 v[170:171], v[170:171], v[6:7], -v[8:9]
	scratch_load_b128 v[6:9], off, off offset:592
	v_fma_f64 v[182:183], v[4:5], v[10:11], v[186:187]
	v_add_f64 v[168:169], v[168:169], v[184:185]
	v_add_f64 v[178:179], v[180:181], v[178:179]
	v_fma_f64 v[184:185], v[2:3], v[10:11], -v[12:13]
	scratch_load_b128 v[10:13], off, off offset:608
	ds_load_b128 v[2:5], v1 offset:1104
	s_waitcnt vmcnt(9) lgkmcnt(1)
	v_mul_f64 v[180:181], v[174:175], v[16:17]
	v_mul_f64 v[16:17], v[176:177], v[16:17]
	v_add_f64 v[186:187], v[168:169], v[170:171]
	v_add_f64 v[172:173], v[178:179], v[172:173]
	s_waitcnt vmcnt(8) lgkmcnt(0)
	v_mul_f64 v[178:179], v[2:3], v[20:21]
	v_mul_f64 v[20:21], v[4:5], v[20:21]
	ds_load_b128 v[168:171], v1 offset:1120
	v_fma_f64 v[176:177], v[176:177], v[14:15], v[180:181]
	v_fma_f64 v[14:15], v[174:175], v[14:15], -v[16:17]
	s_waitcnt vmcnt(7) lgkmcnt(0)
	v_mul_f64 v[174:175], v[168:169], v[24:25]
	v_mul_f64 v[24:25], v[170:171], v[24:25]
	v_add_f64 v[16:17], v[186:187], v[184:185]
	v_add_f64 v[172:173], v[172:173], v[182:183]
	v_fma_f64 v[178:179], v[4:5], v[18:19], v[178:179]
	v_fma_f64 v[18:19], v[2:3], v[18:19], -v[20:21]
	v_fma_f64 v[170:171], v[170:171], v[22:23], v[174:175]
	v_fma_f64 v[22:23], v[168:169], v[22:23], -v[24:25]
	v_add_f64 v[20:21], v[16:17], v[14:15]
	v_add_f64 v[172:173], v[172:173], v[176:177]
	ds_load_b128 v[2:5], v1 offset:1136
	ds_load_b128 v[14:17], v1 offset:1152
	s_waitcnt vmcnt(6) lgkmcnt(1)
	v_mul_f64 v[176:177], v[2:3], v[28:29]
	v_mul_f64 v[28:29], v[4:5], v[28:29]
	s_waitcnt vmcnt(5) lgkmcnt(0)
	v_mul_f64 v[24:25], v[14:15], v[32:33]
	v_mul_f64 v[32:33], v[16:17], v[32:33]
	v_add_f64 v[18:19], v[20:21], v[18:19]
	v_add_f64 v[20:21], v[172:173], v[178:179]
	v_fma_f64 v[168:169], v[4:5], v[26:27], v[176:177]
	v_fma_f64 v[26:27], v[2:3], v[26:27], -v[28:29]
	v_fma_f64 v[16:17], v[16:17], v[30:31], v[24:25]
	v_fma_f64 v[14:15], v[14:15], v[30:31], -v[32:33]
	v_add_f64 v[22:23], v[18:19], v[22:23]
	v_add_f64 v[28:29], v[20:21], v[170:171]
	ds_load_b128 v[2:5], v1 offset:1168
	ds_load_b128 v[18:21], v1 offset:1184
	s_waitcnt vmcnt(4) lgkmcnt(1)
	v_mul_f64 v[170:171], v[2:3], v[40:41]
	v_mul_f64 v[40:41], v[4:5], v[40:41]
	v_add_f64 v[22:23], v[22:23], v[26:27]
	v_add_f64 v[24:25], v[28:29], v[168:169]
	s_waitcnt vmcnt(3) lgkmcnt(0)
	v_mul_f64 v[26:27], v[18:19], v[166:167]
	v_mul_f64 v[28:29], v[20:21], v[166:167]
	v_fma_f64 v[30:31], v[4:5], v[38:39], v[170:171]
	v_fma_f64 v[32:33], v[2:3], v[38:39], -v[40:41]
	v_add_f64 v[22:23], v[22:23], v[14:15]
	v_add_f64 v[24:25], v[24:25], v[16:17]
	ds_load_b128 v[2:5], v1 offset:1200
	ds_load_b128 v[14:17], v1 offset:1216
	v_fma_f64 v[20:21], v[20:21], v[164:165], v[26:27]
	v_fma_f64 v[18:19], v[18:19], v[164:165], -v[28:29]
	s_waitcnt vmcnt(2) lgkmcnt(1)
	v_mul_f64 v[38:39], v[2:3], v[36:37]
	v_mul_f64 v[36:37], v[4:5], v[36:37]
	s_waitcnt vmcnt(1) lgkmcnt(0)
	v_mul_f64 v[26:27], v[14:15], v[8:9]
	v_mul_f64 v[8:9], v[16:17], v[8:9]
	v_add_f64 v[22:23], v[22:23], v[32:33]
	v_add_f64 v[24:25], v[24:25], v[30:31]
	v_fma_f64 v[28:29], v[4:5], v[34:35], v[38:39]
	v_fma_f64 v[30:31], v[2:3], v[34:35], -v[36:37]
	ds_load_b128 v[2:5], v1 offset:1232
	v_fma_f64 v[16:17], v[16:17], v[6:7], v[26:27]
	v_fma_f64 v[6:7], v[14:15], v[6:7], -v[8:9]
	v_add_f64 v[18:19], v[22:23], v[18:19]
	v_add_f64 v[20:21], v[24:25], v[20:21]
	s_waitcnt vmcnt(0) lgkmcnt(0)
	v_mul_f64 v[22:23], v[2:3], v[12:13]
	v_mul_f64 v[12:13], v[4:5], v[12:13]
	s_delay_alu instid0(VALU_DEP_4) | instskip(NEXT) | instid1(VALU_DEP_4)
	v_add_f64 v[8:9], v[18:19], v[30:31]
	v_add_f64 v[14:15], v[20:21], v[28:29]
	s_delay_alu instid0(VALU_DEP_4) | instskip(NEXT) | instid1(VALU_DEP_4)
	v_fma_f64 v[4:5], v[4:5], v[10:11], v[22:23]
	v_fma_f64 v[2:3], v[2:3], v[10:11], -v[12:13]
	s_delay_alu instid0(VALU_DEP_4) | instskip(NEXT) | instid1(VALU_DEP_4)
	v_add_f64 v[6:7], v[8:9], v[6:7]
	v_add_f64 v[8:9], v[14:15], v[16:17]
	s_delay_alu instid0(VALU_DEP_2) | instskip(NEXT) | instid1(VALU_DEP_2)
	v_add_f64 v[2:3], v[6:7], v[2:3]
	v_add_f64 v[4:5], v[8:9], v[4:5]
	s_delay_alu instid0(VALU_DEP_2) | instskip(NEXT) | instid1(VALU_DEP_2)
	v_add_f64 v[2:3], v[42:43], -v[2:3]
	v_add_f64 v[4:5], v[44:45], -v[4:5]
	scratch_store_b128 off, v[2:5], off offset:240
	v_cmpx_lt_u32_e32 14, v124
	s_cbranch_execz .LBB102_219
; %bb.218:
	scratch_load_b128 v[5:8], v150, off
	v_mov_b32_e32 v2, v1
	v_mov_b32_e32 v3, v1
	;; [unrolled: 1-line block ×3, first 2 shown]
	scratch_store_b128 off, v[1:4], off offset:224
	s_waitcnt vmcnt(0)
	ds_store_b128 v163, v[5:8]
.LBB102_219:
	s_or_b32 exec_lo, exec_lo, s2
	s_waitcnt lgkmcnt(0)
	s_waitcnt_vscnt null, 0x0
	s_barrier
	buffer_gl0_inv
	s_clause 0x8
	scratch_load_b128 v[2:5], off, off offset:240
	scratch_load_b128 v[6:9], off, off offset:256
	;; [unrolled: 1-line block ×9, first 2 shown]
	ds_load_b128 v[38:41], v1 offset:864
	ds_load_b128 v[42:45], v1 offset:880
	s_clause 0x1
	scratch_load_b128 v[164:167], off, off offset:224
	scratch_load_b128 v[168:171], off, off offset:384
	s_mov_b32 s2, exec_lo
	s_waitcnt vmcnt(10) lgkmcnt(1)
	v_mul_f64 v[172:173], v[40:41], v[4:5]
	v_mul_f64 v[4:5], v[38:39], v[4:5]
	s_waitcnt vmcnt(9) lgkmcnt(0)
	v_mul_f64 v[176:177], v[42:43], v[8:9]
	v_mul_f64 v[8:9], v[44:45], v[8:9]
	s_delay_alu instid0(VALU_DEP_4) | instskip(NEXT) | instid1(VALU_DEP_4)
	v_fma_f64 v[178:179], v[38:39], v[2:3], -v[172:173]
	v_fma_f64 v[180:181], v[40:41], v[2:3], v[4:5]
	ds_load_b128 v[2:5], v1 offset:896
	ds_load_b128 v[172:175], v1 offset:912
	scratch_load_b128 v[38:41], off, off offset:400
	v_fma_f64 v[44:45], v[44:45], v[6:7], v[176:177]
	v_fma_f64 v[42:43], v[42:43], v[6:7], -v[8:9]
	scratch_load_b128 v[6:9], off, off offset:416
	s_waitcnt vmcnt(10) lgkmcnt(1)
	v_mul_f64 v[182:183], v[2:3], v[12:13]
	v_mul_f64 v[12:13], v[4:5], v[12:13]
	v_add_f64 v[176:177], v[178:179], 0
	v_add_f64 v[178:179], v[180:181], 0
	s_waitcnt vmcnt(9) lgkmcnt(0)
	v_mul_f64 v[180:181], v[172:173], v[16:17]
	v_mul_f64 v[16:17], v[174:175], v[16:17]
	v_fma_f64 v[182:183], v[4:5], v[10:11], v[182:183]
	v_fma_f64 v[184:185], v[2:3], v[10:11], -v[12:13]
	ds_load_b128 v[2:5], v1 offset:928
	scratch_load_b128 v[10:13], off, off offset:432
	v_add_f64 v[176:177], v[176:177], v[42:43]
	v_add_f64 v[178:179], v[178:179], v[44:45]
	ds_load_b128 v[42:45], v1 offset:944
	v_fma_f64 v[174:175], v[174:175], v[14:15], v[180:181]
	v_fma_f64 v[172:173], v[172:173], v[14:15], -v[16:17]
	scratch_load_b128 v[14:17], off, off offset:448
	s_waitcnt vmcnt(10) lgkmcnt(1)
	v_mul_f64 v[186:187], v[2:3], v[20:21]
	v_mul_f64 v[20:21], v[4:5], v[20:21]
	s_waitcnt vmcnt(9) lgkmcnt(0)
	v_mul_f64 v[180:181], v[42:43], v[24:25]
	v_mul_f64 v[24:25], v[44:45], v[24:25]
	v_add_f64 v[176:177], v[176:177], v[184:185]
	v_add_f64 v[178:179], v[178:179], v[182:183]
	v_fma_f64 v[182:183], v[4:5], v[18:19], v[186:187]
	v_fma_f64 v[184:185], v[2:3], v[18:19], -v[20:21]
	ds_load_b128 v[2:5], v1 offset:960
	scratch_load_b128 v[18:21], off, off offset:464
	v_fma_f64 v[44:45], v[44:45], v[22:23], v[180:181]
	v_fma_f64 v[42:43], v[42:43], v[22:23], -v[24:25]
	scratch_load_b128 v[22:25], off, off offset:480
	v_add_f64 v[176:177], v[176:177], v[172:173]
	v_add_f64 v[178:179], v[178:179], v[174:175]
	ds_load_b128 v[172:175], v1 offset:976
	s_waitcnt vmcnt(10) lgkmcnt(1)
	v_mul_f64 v[186:187], v[2:3], v[28:29]
	v_mul_f64 v[28:29], v[4:5], v[28:29]
	s_waitcnt vmcnt(9) lgkmcnt(0)
	v_mul_f64 v[180:181], v[172:173], v[32:33]
	v_mul_f64 v[32:33], v[174:175], v[32:33]
	v_add_f64 v[176:177], v[176:177], v[184:185]
	v_add_f64 v[178:179], v[178:179], v[182:183]
	v_fma_f64 v[182:183], v[4:5], v[26:27], v[186:187]
	v_fma_f64 v[184:185], v[2:3], v[26:27], -v[28:29]
	ds_load_b128 v[2:5], v1 offset:992
	scratch_load_b128 v[26:29], off, off offset:496
	v_fma_f64 v[174:175], v[174:175], v[30:31], v[180:181]
	v_fma_f64 v[172:173], v[172:173], v[30:31], -v[32:33]
	scratch_load_b128 v[30:33], off, off offset:512
	v_add_f64 v[176:177], v[176:177], v[42:43]
	v_add_f64 v[178:179], v[178:179], v[44:45]
	ds_load_b128 v[42:45], v1 offset:1008
	s_waitcnt vmcnt(10) lgkmcnt(1)
	v_mul_f64 v[186:187], v[2:3], v[36:37]
	v_mul_f64 v[36:37], v[4:5], v[36:37]
	s_waitcnt vmcnt(8) lgkmcnt(0)
	v_mul_f64 v[180:181], v[42:43], v[170:171]
	v_add_f64 v[176:177], v[176:177], v[184:185]
	v_add_f64 v[178:179], v[178:179], v[182:183]
	v_mul_f64 v[182:183], v[44:45], v[170:171]
	v_fma_f64 v[184:185], v[4:5], v[34:35], v[186:187]
	v_fma_f64 v[186:187], v[2:3], v[34:35], -v[36:37]
	ds_load_b128 v[2:5], v1 offset:1024
	scratch_load_b128 v[34:37], off, off offset:528
	v_fma_f64 v[44:45], v[44:45], v[168:169], v[180:181]
	v_add_f64 v[176:177], v[176:177], v[172:173]
	v_add_f64 v[174:175], v[178:179], v[174:175]
	ds_load_b128 v[170:173], v1 offset:1040
	v_fma_f64 v[168:169], v[42:43], v[168:169], -v[182:183]
	s_waitcnt vmcnt(8) lgkmcnt(1)
	v_mul_f64 v[178:179], v[2:3], v[40:41]
	v_mul_f64 v[188:189], v[4:5], v[40:41]
	scratch_load_b128 v[40:43], off, off offset:544
	s_waitcnt vmcnt(8) lgkmcnt(0)
	v_mul_f64 v[182:183], v[170:171], v[8:9]
	v_mul_f64 v[8:9], v[172:173], v[8:9]
	v_add_f64 v[176:177], v[176:177], v[186:187]
	v_add_f64 v[174:175], v[174:175], v[184:185]
	v_fma_f64 v[184:185], v[4:5], v[38:39], v[178:179]
	v_fma_f64 v[38:39], v[2:3], v[38:39], -v[188:189]
	ds_load_b128 v[2:5], v1 offset:1056
	ds_load_b128 v[178:181], v1 offset:1072
	v_fma_f64 v[172:173], v[172:173], v[6:7], v[182:183]
	v_fma_f64 v[170:171], v[170:171], v[6:7], -v[8:9]
	scratch_load_b128 v[6:9], off, off offset:576
	v_add_f64 v[168:169], v[176:177], v[168:169]
	v_add_f64 v[44:45], v[174:175], v[44:45]
	scratch_load_b128 v[174:177], off, off offset:560
	s_waitcnt vmcnt(9) lgkmcnt(1)
	v_mul_f64 v[186:187], v[2:3], v[12:13]
	v_mul_f64 v[12:13], v[4:5], v[12:13]
	s_waitcnt vmcnt(8) lgkmcnt(0)
	v_mul_f64 v[182:183], v[178:179], v[16:17]
	v_mul_f64 v[16:17], v[180:181], v[16:17]
	v_add_f64 v[38:39], v[168:169], v[38:39]
	v_add_f64 v[44:45], v[44:45], v[184:185]
	v_fma_f64 v[184:185], v[4:5], v[10:11], v[186:187]
	v_fma_f64 v[186:187], v[2:3], v[10:11], -v[12:13]
	ds_load_b128 v[2:5], v1 offset:1088
	scratch_load_b128 v[10:13], off, off offset:592
	v_fma_f64 v[180:181], v[180:181], v[14:15], v[182:183]
	v_fma_f64 v[178:179], v[178:179], v[14:15], -v[16:17]
	scratch_load_b128 v[14:17], off, off offset:608
	v_add_f64 v[38:39], v[38:39], v[170:171]
	v_add_f64 v[44:45], v[44:45], v[172:173]
	ds_load_b128 v[168:171], v1 offset:1104
	s_waitcnt vmcnt(9) lgkmcnt(1)
	v_mul_f64 v[172:173], v[2:3], v[20:21]
	v_mul_f64 v[20:21], v[4:5], v[20:21]
	s_waitcnt vmcnt(8) lgkmcnt(0)
	v_mul_f64 v[182:183], v[168:169], v[24:25]
	v_mul_f64 v[24:25], v[170:171], v[24:25]
	v_add_f64 v[38:39], v[38:39], v[186:187]
	v_add_f64 v[44:45], v[44:45], v[184:185]
	v_fma_f64 v[172:173], v[4:5], v[18:19], v[172:173]
	v_fma_f64 v[184:185], v[2:3], v[18:19], -v[20:21]
	ds_load_b128 v[2:5], v1 offset:1120
	ds_load_b128 v[18:21], v1 offset:1136
	v_fma_f64 v[170:171], v[170:171], v[22:23], v[182:183]
	v_fma_f64 v[22:23], v[168:169], v[22:23], -v[24:25]
	v_add_f64 v[38:39], v[38:39], v[178:179]
	v_add_f64 v[44:45], v[44:45], v[180:181]
	s_waitcnt vmcnt(7) lgkmcnt(1)
	v_mul_f64 v[178:179], v[2:3], v[28:29]
	v_mul_f64 v[28:29], v[4:5], v[28:29]
	s_delay_alu instid0(VALU_DEP_4) | instskip(NEXT) | instid1(VALU_DEP_4)
	v_add_f64 v[24:25], v[38:39], v[184:185]
	v_add_f64 v[38:39], v[44:45], v[172:173]
	s_waitcnt vmcnt(6) lgkmcnt(0)
	v_mul_f64 v[44:45], v[18:19], v[32:33]
	v_mul_f64 v[32:33], v[20:21], v[32:33]
	v_fma_f64 v[168:169], v[4:5], v[26:27], v[178:179]
	v_fma_f64 v[26:27], v[2:3], v[26:27], -v[28:29]
	v_add_f64 v[28:29], v[24:25], v[22:23]
	v_add_f64 v[38:39], v[38:39], v[170:171]
	ds_load_b128 v[2:5], v1 offset:1152
	ds_load_b128 v[22:25], v1 offset:1168
	v_fma_f64 v[20:21], v[20:21], v[30:31], v[44:45]
	v_fma_f64 v[18:19], v[18:19], v[30:31], -v[32:33]
	s_waitcnt vmcnt(5) lgkmcnt(1)
	v_mul_f64 v[170:171], v[2:3], v[36:37]
	v_mul_f64 v[36:37], v[4:5], v[36:37]
	s_waitcnt vmcnt(4) lgkmcnt(0)
	v_mul_f64 v[30:31], v[22:23], v[42:43]
	v_add_f64 v[26:27], v[28:29], v[26:27]
	v_add_f64 v[28:29], v[38:39], v[168:169]
	v_mul_f64 v[32:33], v[24:25], v[42:43]
	v_fma_f64 v[38:39], v[4:5], v[34:35], v[170:171]
	v_fma_f64 v[34:35], v[2:3], v[34:35], -v[36:37]
	v_fma_f64 v[24:25], v[24:25], v[40:41], v[30:31]
	v_add_f64 v[26:27], v[26:27], v[18:19]
	v_add_f64 v[28:29], v[28:29], v[20:21]
	ds_load_b128 v[2:5], v1 offset:1184
	ds_load_b128 v[18:21], v1 offset:1200
	v_fma_f64 v[22:23], v[22:23], v[40:41], -v[32:33]
	s_waitcnt vmcnt(2) lgkmcnt(1)
	v_mul_f64 v[36:37], v[2:3], v[176:177]
	v_mul_f64 v[42:43], v[4:5], v[176:177]
	s_waitcnt lgkmcnt(0)
	v_mul_f64 v[30:31], v[18:19], v[8:9]
	v_mul_f64 v[8:9], v[20:21], v[8:9]
	v_add_f64 v[26:27], v[26:27], v[34:35]
	v_add_f64 v[28:29], v[28:29], v[38:39]
	v_fma_f64 v[32:33], v[4:5], v[174:175], v[36:37]
	v_fma_f64 v[34:35], v[2:3], v[174:175], -v[42:43]
	v_fma_f64 v[20:21], v[20:21], v[6:7], v[30:31]
	v_fma_f64 v[6:7], v[18:19], v[6:7], -v[8:9]
	v_add_f64 v[26:27], v[26:27], v[22:23]
	v_add_f64 v[28:29], v[28:29], v[24:25]
	ds_load_b128 v[2:5], v1 offset:1216
	ds_load_b128 v[22:25], v1 offset:1232
	s_waitcnt vmcnt(1) lgkmcnt(1)
	v_mul_f64 v[36:37], v[2:3], v[12:13]
	v_mul_f64 v[12:13], v[4:5], v[12:13]
	v_add_f64 v[8:9], v[26:27], v[34:35]
	v_add_f64 v[18:19], v[28:29], v[32:33]
	s_waitcnt vmcnt(0) lgkmcnt(0)
	v_mul_f64 v[26:27], v[22:23], v[16:17]
	v_mul_f64 v[16:17], v[24:25], v[16:17]
	v_fma_f64 v[4:5], v[4:5], v[10:11], v[36:37]
	v_fma_f64 v[1:2], v[2:3], v[10:11], -v[12:13]
	v_add_f64 v[6:7], v[8:9], v[6:7]
	v_add_f64 v[8:9], v[18:19], v[20:21]
	v_fma_f64 v[10:11], v[24:25], v[14:15], v[26:27]
	v_fma_f64 v[12:13], v[22:23], v[14:15], -v[16:17]
	s_delay_alu instid0(VALU_DEP_4) | instskip(NEXT) | instid1(VALU_DEP_4)
	v_add_f64 v[1:2], v[6:7], v[1:2]
	v_add_f64 v[3:4], v[8:9], v[4:5]
	s_delay_alu instid0(VALU_DEP_2) | instskip(NEXT) | instid1(VALU_DEP_2)
	v_add_f64 v[1:2], v[1:2], v[12:13]
	v_add_f64 v[3:4], v[3:4], v[10:11]
	s_delay_alu instid0(VALU_DEP_2) | instskip(NEXT) | instid1(VALU_DEP_2)
	v_add_f64 v[1:2], v[164:165], -v[1:2]
	v_add_f64 v[3:4], v[166:167], -v[3:4]
	scratch_store_b128 off, v[1:4], off offset:224
	v_cmpx_lt_u32_e32 13, v124
	s_cbranch_execz .LBB102_221
; %bb.220:
	scratch_load_b128 v[1:4], v153, off
	v_mov_b32_e32 v5, 0
	s_delay_alu instid0(VALU_DEP_1)
	v_mov_b32_e32 v6, v5
	v_mov_b32_e32 v7, v5
	;; [unrolled: 1-line block ×3, first 2 shown]
	scratch_store_b128 off, v[5:8], off offset:208
	s_waitcnt vmcnt(0)
	ds_store_b128 v163, v[1:4]
.LBB102_221:
	s_or_b32 exec_lo, exec_lo, s2
	s_waitcnt lgkmcnt(0)
	s_waitcnt_vscnt null, 0x0
	s_barrier
	buffer_gl0_inv
	s_clause 0x7
	scratch_load_b128 v[2:5], off, off offset:224
	scratch_load_b128 v[6:9], off, off offset:240
	;; [unrolled: 1-line block ×8, first 2 shown]
	v_mov_b32_e32 v1, 0
	s_mov_b32 s2, exec_lo
	ds_load_b128 v[34:37], v1 offset:848
	s_clause 0x1
	scratch_load_b128 v[38:41], off, off offset:352
	scratch_load_b128 v[42:45], off, off offset:208
	ds_load_b128 v[164:167], v1 offset:864
	scratch_load_b128 v[168:171], off, off offset:368
	s_waitcnt vmcnt(10) lgkmcnt(1)
	v_mul_f64 v[172:173], v[36:37], v[4:5]
	v_mul_f64 v[4:5], v[34:35], v[4:5]
	s_delay_alu instid0(VALU_DEP_2) | instskip(NEXT) | instid1(VALU_DEP_2)
	v_fma_f64 v[178:179], v[34:35], v[2:3], -v[172:173]
	v_fma_f64 v[180:181], v[36:37], v[2:3], v[4:5]
	scratch_load_b128 v[34:37], off, off offset:384
	ds_load_b128 v[2:5], v1 offset:880
	s_waitcnt vmcnt(10) lgkmcnt(1)
	v_mul_f64 v[176:177], v[164:165], v[8:9]
	v_mul_f64 v[8:9], v[166:167], v[8:9]
	ds_load_b128 v[172:175], v1 offset:896
	s_waitcnt vmcnt(9) lgkmcnt(1)
	v_mul_f64 v[182:183], v[2:3], v[12:13]
	v_mul_f64 v[12:13], v[4:5], v[12:13]
	v_fma_f64 v[166:167], v[166:167], v[6:7], v[176:177]
	v_fma_f64 v[164:165], v[164:165], v[6:7], -v[8:9]
	v_add_f64 v[176:177], v[178:179], 0
	v_add_f64 v[178:179], v[180:181], 0
	scratch_load_b128 v[6:9], off, off offset:400
	v_fma_f64 v[182:183], v[4:5], v[10:11], v[182:183]
	v_fma_f64 v[184:185], v[2:3], v[10:11], -v[12:13]
	scratch_load_b128 v[10:13], off, off offset:416
	ds_load_b128 v[2:5], v1 offset:912
	s_waitcnt vmcnt(10) lgkmcnt(1)
	v_mul_f64 v[180:181], v[172:173], v[16:17]
	v_mul_f64 v[16:17], v[174:175], v[16:17]
	v_add_f64 v[176:177], v[176:177], v[164:165]
	v_add_f64 v[178:179], v[178:179], v[166:167]
	s_waitcnt vmcnt(9) lgkmcnt(0)
	v_mul_f64 v[186:187], v[2:3], v[20:21]
	v_mul_f64 v[20:21], v[4:5], v[20:21]
	ds_load_b128 v[164:167], v1 offset:928
	v_fma_f64 v[174:175], v[174:175], v[14:15], v[180:181]
	v_fma_f64 v[172:173], v[172:173], v[14:15], -v[16:17]
	scratch_load_b128 v[14:17], off, off offset:432
	v_add_f64 v[176:177], v[176:177], v[184:185]
	v_add_f64 v[178:179], v[178:179], v[182:183]
	v_fma_f64 v[182:183], v[4:5], v[18:19], v[186:187]
	v_fma_f64 v[184:185], v[2:3], v[18:19], -v[20:21]
	scratch_load_b128 v[18:21], off, off offset:448
	ds_load_b128 v[2:5], v1 offset:944
	s_waitcnt vmcnt(10) lgkmcnt(1)
	v_mul_f64 v[180:181], v[164:165], v[24:25]
	v_mul_f64 v[24:25], v[166:167], v[24:25]
	s_waitcnt vmcnt(9) lgkmcnt(0)
	v_mul_f64 v[186:187], v[2:3], v[28:29]
	v_mul_f64 v[28:29], v[4:5], v[28:29]
	v_add_f64 v[176:177], v[176:177], v[172:173]
	v_add_f64 v[178:179], v[178:179], v[174:175]
	ds_load_b128 v[172:175], v1 offset:960
	v_fma_f64 v[166:167], v[166:167], v[22:23], v[180:181]
	v_fma_f64 v[164:165], v[164:165], v[22:23], -v[24:25]
	scratch_load_b128 v[22:25], off, off offset:464
	v_add_f64 v[176:177], v[176:177], v[184:185]
	v_add_f64 v[178:179], v[178:179], v[182:183]
	v_fma_f64 v[182:183], v[4:5], v[26:27], v[186:187]
	v_fma_f64 v[184:185], v[2:3], v[26:27], -v[28:29]
	scratch_load_b128 v[26:29], off, off offset:480
	ds_load_b128 v[2:5], v1 offset:976
	s_waitcnt vmcnt(10) lgkmcnt(1)
	v_mul_f64 v[180:181], v[172:173], v[32:33]
	v_mul_f64 v[32:33], v[174:175], v[32:33]
	s_waitcnt vmcnt(9) lgkmcnt(0)
	v_mul_f64 v[186:187], v[2:3], v[40:41]
	v_mul_f64 v[40:41], v[4:5], v[40:41]
	v_add_f64 v[176:177], v[176:177], v[164:165]
	v_add_f64 v[178:179], v[178:179], v[166:167]
	ds_load_b128 v[164:167], v1 offset:992
	v_fma_f64 v[174:175], v[174:175], v[30:31], v[180:181]
	v_fma_f64 v[172:173], v[172:173], v[30:31], -v[32:33]
	scratch_load_b128 v[30:33], off, off offset:496
	v_add_f64 v[176:177], v[176:177], v[184:185]
	v_add_f64 v[178:179], v[178:179], v[182:183]
	v_fma_f64 v[184:185], v[4:5], v[38:39], v[186:187]
	v_fma_f64 v[186:187], v[2:3], v[38:39], -v[40:41]
	scratch_load_b128 v[38:41], off, off offset:512
	ds_load_b128 v[2:5], v1 offset:1008
	s_waitcnt vmcnt(9) lgkmcnt(1)
	v_mul_f64 v[180:181], v[164:165], v[170:171]
	v_mul_f64 v[182:183], v[166:167], v[170:171]
	v_add_f64 v[176:177], v[176:177], v[172:173]
	v_add_f64 v[174:175], v[178:179], v[174:175]
	ds_load_b128 v[170:173], v1 offset:1024
	v_fma_f64 v[180:181], v[166:167], v[168:169], v[180:181]
	v_fma_f64 v[168:169], v[164:165], v[168:169], -v[182:183]
	scratch_load_b128 v[164:167], off, off offset:528
	s_waitcnt vmcnt(9) lgkmcnt(1)
	v_mul_f64 v[178:179], v[2:3], v[36:37]
	v_mul_f64 v[36:37], v[4:5], v[36:37]
	v_add_f64 v[176:177], v[176:177], v[186:187]
	v_add_f64 v[174:175], v[174:175], v[184:185]
	s_delay_alu instid0(VALU_DEP_4) | instskip(NEXT) | instid1(VALU_DEP_4)
	v_fma_f64 v[178:179], v[4:5], v[34:35], v[178:179]
	v_fma_f64 v[184:185], v[2:3], v[34:35], -v[36:37]
	scratch_load_b128 v[34:37], off, off offset:544
	ds_load_b128 v[2:5], v1 offset:1040
	s_waitcnt vmcnt(9) lgkmcnt(1)
	v_mul_f64 v[182:183], v[170:171], v[8:9]
	v_mul_f64 v[8:9], v[172:173], v[8:9]
	s_waitcnt vmcnt(8) lgkmcnt(0)
	v_mul_f64 v[186:187], v[2:3], v[12:13]
	v_mul_f64 v[12:13], v[4:5], v[12:13]
	v_add_f64 v[168:169], v[176:177], v[168:169]
	v_add_f64 v[180:181], v[174:175], v[180:181]
	ds_load_b128 v[174:177], v1 offset:1056
	v_fma_f64 v[172:173], v[172:173], v[6:7], v[182:183]
	v_fma_f64 v[170:171], v[170:171], v[6:7], -v[8:9]
	scratch_load_b128 v[6:9], off, off offset:560
	v_fma_f64 v[182:183], v[4:5], v[10:11], v[186:187]
	v_add_f64 v[168:169], v[168:169], v[184:185]
	v_add_f64 v[178:179], v[180:181], v[178:179]
	v_fma_f64 v[184:185], v[2:3], v[10:11], -v[12:13]
	scratch_load_b128 v[10:13], off, off offset:576
	ds_load_b128 v[2:5], v1 offset:1072
	s_waitcnt vmcnt(9) lgkmcnt(1)
	v_mul_f64 v[180:181], v[174:175], v[16:17]
	v_mul_f64 v[16:17], v[176:177], v[16:17]
	v_add_f64 v[186:187], v[168:169], v[170:171]
	v_add_f64 v[172:173], v[178:179], v[172:173]
	s_waitcnt vmcnt(8) lgkmcnt(0)
	v_mul_f64 v[178:179], v[2:3], v[20:21]
	v_mul_f64 v[20:21], v[4:5], v[20:21]
	ds_load_b128 v[168:171], v1 offset:1088
	v_fma_f64 v[176:177], v[176:177], v[14:15], v[180:181]
	v_fma_f64 v[174:175], v[174:175], v[14:15], -v[16:17]
	scratch_load_b128 v[14:17], off, off offset:592
	v_add_f64 v[180:181], v[186:187], v[184:185]
	v_add_f64 v[172:173], v[172:173], v[182:183]
	v_fma_f64 v[178:179], v[4:5], v[18:19], v[178:179]
	v_fma_f64 v[184:185], v[2:3], v[18:19], -v[20:21]
	scratch_load_b128 v[18:21], off, off offset:608
	ds_load_b128 v[2:5], v1 offset:1104
	s_waitcnt vmcnt(9) lgkmcnt(1)
	v_mul_f64 v[182:183], v[168:169], v[24:25]
	v_mul_f64 v[24:25], v[170:171], v[24:25]
	s_waitcnt vmcnt(8) lgkmcnt(0)
	v_mul_f64 v[186:187], v[2:3], v[28:29]
	v_mul_f64 v[28:29], v[4:5], v[28:29]
	v_add_f64 v[180:181], v[180:181], v[174:175]
	v_add_f64 v[176:177], v[172:173], v[176:177]
	ds_load_b128 v[172:175], v1 offset:1120
	v_fma_f64 v[170:171], v[170:171], v[22:23], v[182:183]
	v_fma_f64 v[22:23], v[168:169], v[22:23], -v[24:25]
	v_add_f64 v[24:25], v[180:181], v[184:185]
	v_add_f64 v[168:169], v[176:177], v[178:179]
	s_waitcnt vmcnt(7) lgkmcnt(0)
	v_mul_f64 v[176:177], v[172:173], v[32:33]
	v_mul_f64 v[32:33], v[174:175], v[32:33]
	v_fma_f64 v[178:179], v[4:5], v[26:27], v[186:187]
	v_fma_f64 v[26:27], v[2:3], v[26:27], -v[28:29]
	v_add_f64 v[28:29], v[24:25], v[22:23]
	v_add_f64 v[168:169], v[168:169], v[170:171]
	ds_load_b128 v[2:5], v1 offset:1136
	ds_load_b128 v[22:25], v1 offset:1152
	v_fma_f64 v[174:175], v[174:175], v[30:31], v[176:177]
	v_fma_f64 v[30:31], v[172:173], v[30:31], -v[32:33]
	s_waitcnt vmcnt(6) lgkmcnt(1)
	v_mul_f64 v[170:171], v[2:3], v[40:41]
	v_mul_f64 v[40:41], v[4:5], v[40:41]
	s_waitcnt vmcnt(5) lgkmcnt(0)
	v_mul_f64 v[32:33], v[22:23], v[166:167]
	v_mul_f64 v[166:167], v[24:25], v[166:167]
	v_add_f64 v[26:27], v[28:29], v[26:27]
	v_add_f64 v[28:29], v[168:169], v[178:179]
	v_fma_f64 v[168:169], v[4:5], v[38:39], v[170:171]
	v_fma_f64 v[38:39], v[2:3], v[38:39], -v[40:41]
	v_fma_f64 v[24:25], v[24:25], v[164:165], v[32:33]
	v_fma_f64 v[22:23], v[22:23], v[164:165], -v[166:167]
	v_add_f64 v[30:31], v[26:27], v[30:31]
	v_add_f64 v[40:41], v[28:29], v[174:175]
	ds_load_b128 v[2:5], v1 offset:1168
	ds_load_b128 v[26:29], v1 offset:1184
	s_waitcnt vmcnt(4) lgkmcnt(1)
	v_mul_f64 v[170:171], v[2:3], v[36:37]
	v_mul_f64 v[36:37], v[4:5], v[36:37]
	v_add_f64 v[30:31], v[30:31], v[38:39]
	v_add_f64 v[32:33], v[40:41], v[168:169]
	s_waitcnt vmcnt(3) lgkmcnt(0)
	v_mul_f64 v[38:39], v[26:27], v[8:9]
	v_mul_f64 v[8:9], v[28:29], v[8:9]
	v_fma_f64 v[40:41], v[4:5], v[34:35], v[170:171]
	v_fma_f64 v[34:35], v[2:3], v[34:35], -v[36:37]
	v_add_f64 v[30:31], v[30:31], v[22:23]
	v_add_f64 v[32:33], v[32:33], v[24:25]
	ds_load_b128 v[2:5], v1 offset:1200
	ds_load_b128 v[22:25], v1 offset:1216
	v_fma_f64 v[28:29], v[28:29], v[6:7], v[38:39]
	v_fma_f64 v[6:7], v[26:27], v[6:7], -v[8:9]
	s_waitcnt vmcnt(2) lgkmcnt(1)
	v_mul_f64 v[36:37], v[2:3], v[12:13]
	v_mul_f64 v[12:13], v[4:5], v[12:13]
	v_add_f64 v[8:9], v[30:31], v[34:35]
	v_add_f64 v[26:27], v[32:33], v[40:41]
	s_waitcnt vmcnt(1) lgkmcnt(0)
	v_mul_f64 v[30:31], v[22:23], v[16:17]
	v_mul_f64 v[16:17], v[24:25], v[16:17]
	v_fma_f64 v[32:33], v[4:5], v[10:11], v[36:37]
	v_fma_f64 v[10:11], v[2:3], v[10:11], -v[12:13]
	ds_load_b128 v[2:5], v1 offset:1232
	v_add_f64 v[6:7], v[8:9], v[6:7]
	v_add_f64 v[8:9], v[26:27], v[28:29]
	v_fma_f64 v[24:25], v[24:25], v[14:15], v[30:31]
	v_fma_f64 v[14:15], v[22:23], v[14:15], -v[16:17]
	s_waitcnt vmcnt(0) lgkmcnt(0)
	v_mul_f64 v[12:13], v[2:3], v[20:21]
	v_mul_f64 v[20:21], v[4:5], v[20:21]
	v_add_f64 v[6:7], v[6:7], v[10:11]
	v_add_f64 v[8:9], v[8:9], v[32:33]
	s_delay_alu instid0(VALU_DEP_4) | instskip(NEXT) | instid1(VALU_DEP_4)
	v_fma_f64 v[4:5], v[4:5], v[18:19], v[12:13]
	v_fma_f64 v[2:3], v[2:3], v[18:19], -v[20:21]
	s_delay_alu instid0(VALU_DEP_4) | instskip(NEXT) | instid1(VALU_DEP_4)
	v_add_f64 v[6:7], v[6:7], v[14:15]
	v_add_f64 v[8:9], v[8:9], v[24:25]
	s_delay_alu instid0(VALU_DEP_2) | instskip(NEXT) | instid1(VALU_DEP_2)
	v_add_f64 v[2:3], v[6:7], v[2:3]
	v_add_f64 v[4:5], v[8:9], v[4:5]
	s_delay_alu instid0(VALU_DEP_2) | instskip(NEXT) | instid1(VALU_DEP_2)
	v_add_f64 v[2:3], v[42:43], -v[2:3]
	v_add_f64 v[4:5], v[44:45], -v[4:5]
	scratch_store_b128 off, v[2:5], off offset:208
	v_cmpx_lt_u32_e32 12, v124
	s_cbranch_execz .LBB102_223
; %bb.222:
	scratch_load_b128 v[5:8], v151, off
	v_mov_b32_e32 v2, v1
	v_mov_b32_e32 v3, v1
	;; [unrolled: 1-line block ×3, first 2 shown]
	scratch_store_b128 off, v[1:4], off offset:192
	s_waitcnt vmcnt(0)
	ds_store_b128 v163, v[5:8]
.LBB102_223:
	s_or_b32 exec_lo, exec_lo, s2
	s_waitcnt lgkmcnt(0)
	s_waitcnt_vscnt null, 0x0
	s_barrier
	buffer_gl0_inv
	s_clause 0x8
	scratch_load_b128 v[2:5], off, off offset:208
	scratch_load_b128 v[6:9], off, off offset:224
	scratch_load_b128 v[10:13], off, off offset:240
	scratch_load_b128 v[14:17], off, off offset:256
	scratch_load_b128 v[18:21], off, off offset:272
	scratch_load_b128 v[22:25], off, off offset:288
	scratch_load_b128 v[26:29], off, off offset:304
	scratch_load_b128 v[30:33], off, off offset:320
	scratch_load_b128 v[34:37], off, off offset:336
	ds_load_b128 v[38:41], v1 offset:832
	ds_load_b128 v[42:45], v1 offset:848
	s_clause 0x1
	scratch_load_b128 v[164:167], off, off offset:192
	scratch_load_b128 v[168:171], off, off offset:352
	s_mov_b32 s2, exec_lo
	s_waitcnt vmcnt(10) lgkmcnt(1)
	v_mul_f64 v[172:173], v[40:41], v[4:5]
	v_mul_f64 v[4:5], v[38:39], v[4:5]
	s_waitcnt vmcnt(9) lgkmcnt(0)
	v_mul_f64 v[176:177], v[42:43], v[8:9]
	v_mul_f64 v[8:9], v[44:45], v[8:9]
	s_delay_alu instid0(VALU_DEP_4) | instskip(NEXT) | instid1(VALU_DEP_4)
	v_fma_f64 v[178:179], v[38:39], v[2:3], -v[172:173]
	v_fma_f64 v[180:181], v[40:41], v[2:3], v[4:5]
	ds_load_b128 v[2:5], v1 offset:864
	ds_load_b128 v[172:175], v1 offset:880
	scratch_load_b128 v[38:41], off, off offset:368
	v_fma_f64 v[44:45], v[44:45], v[6:7], v[176:177]
	v_fma_f64 v[42:43], v[42:43], v[6:7], -v[8:9]
	scratch_load_b128 v[6:9], off, off offset:384
	s_waitcnt vmcnt(10) lgkmcnt(1)
	v_mul_f64 v[182:183], v[2:3], v[12:13]
	v_mul_f64 v[12:13], v[4:5], v[12:13]
	v_add_f64 v[176:177], v[178:179], 0
	v_add_f64 v[178:179], v[180:181], 0
	s_waitcnt vmcnt(9) lgkmcnt(0)
	v_mul_f64 v[180:181], v[172:173], v[16:17]
	v_mul_f64 v[16:17], v[174:175], v[16:17]
	v_fma_f64 v[182:183], v[4:5], v[10:11], v[182:183]
	v_fma_f64 v[184:185], v[2:3], v[10:11], -v[12:13]
	ds_load_b128 v[2:5], v1 offset:896
	scratch_load_b128 v[10:13], off, off offset:400
	v_add_f64 v[176:177], v[176:177], v[42:43]
	v_add_f64 v[178:179], v[178:179], v[44:45]
	ds_load_b128 v[42:45], v1 offset:912
	v_fma_f64 v[174:175], v[174:175], v[14:15], v[180:181]
	v_fma_f64 v[172:173], v[172:173], v[14:15], -v[16:17]
	scratch_load_b128 v[14:17], off, off offset:416
	s_waitcnt vmcnt(10) lgkmcnt(1)
	v_mul_f64 v[186:187], v[2:3], v[20:21]
	v_mul_f64 v[20:21], v[4:5], v[20:21]
	s_waitcnt vmcnt(9) lgkmcnt(0)
	v_mul_f64 v[180:181], v[42:43], v[24:25]
	v_mul_f64 v[24:25], v[44:45], v[24:25]
	v_add_f64 v[176:177], v[176:177], v[184:185]
	v_add_f64 v[178:179], v[178:179], v[182:183]
	v_fma_f64 v[182:183], v[4:5], v[18:19], v[186:187]
	v_fma_f64 v[184:185], v[2:3], v[18:19], -v[20:21]
	ds_load_b128 v[2:5], v1 offset:928
	scratch_load_b128 v[18:21], off, off offset:432
	v_fma_f64 v[44:45], v[44:45], v[22:23], v[180:181]
	v_fma_f64 v[42:43], v[42:43], v[22:23], -v[24:25]
	scratch_load_b128 v[22:25], off, off offset:448
	v_add_f64 v[176:177], v[176:177], v[172:173]
	v_add_f64 v[178:179], v[178:179], v[174:175]
	ds_load_b128 v[172:175], v1 offset:944
	s_waitcnt vmcnt(10) lgkmcnt(1)
	v_mul_f64 v[186:187], v[2:3], v[28:29]
	v_mul_f64 v[28:29], v[4:5], v[28:29]
	s_waitcnt vmcnt(9) lgkmcnt(0)
	v_mul_f64 v[180:181], v[172:173], v[32:33]
	v_mul_f64 v[32:33], v[174:175], v[32:33]
	v_add_f64 v[176:177], v[176:177], v[184:185]
	v_add_f64 v[178:179], v[178:179], v[182:183]
	v_fma_f64 v[182:183], v[4:5], v[26:27], v[186:187]
	v_fma_f64 v[184:185], v[2:3], v[26:27], -v[28:29]
	ds_load_b128 v[2:5], v1 offset:960
	scratch_load_b128 v[26:29], off, off offset:464
	v_fma_f64 v[174:175], v[174:175], v[30:31], v[180:181]
	v_fma_f64 v[172:173], v[172:173], v[30:31], -v[32:33]
	scratch_load_b128 v[30:33], off, off offset:480
	v_add_f64 v[176:177], v[176:177], v[42:43]
	v_add_f64 v[178:179], v[178:179], v[44:45]
	ds_load_b128 v[42:45], v1 offset:976
	s_waitcnt vmcnt(10) lgkmcnt(1)
	v_mul_f64 v[186:187], v[2:3], v[36:37]
	v_mul_f64 v[36:37], v[4:5], v[36:37]
	s_waitcnt vmcnt(8) lgkmcnt(0)
	v_mul_f64 v[180:181], v[42:43], v[170:171]
	v_add_f64 v[176:177], v[176:177], v[184:185]
	v_add_f64 v[178:179], v[178:179], v[182:183]
	v_mul_f64 v[182:183], v[44:45], v[170:171]
	v_fma_f64 v[184:185], v[4:5], v[34:35], v[186:187]
	v_fma_f64 v[186:187], v[2:3], v[34:35], -v[36:37]
	ds_load_b128 v[2:5], v1 offset:992
	scratch_load_b128 v[34:37], off, off offset:496
	v_fma_f64 v[44:45], v[44:45], v[168:169], v[180:181]
	v_add_f64 v[176:177], v[176:177], v[172:173]
	v_add_f64 v[174:175], v[178:179], v[174:175]
	ds_load_b128 v[170:173], v1 offset:1008
	v_fma_f64 v[168:169], v[42:43], v[168:169], -v[182:183]
	s_waitcnt vmcnt(8) lgkmcnt(1)
	v_mul_f64 v[178:179], v[2:3], v[40:41]
	v_mul_f64 v[188:189], v[4:5], v[40:41]
	scratch_load_b128 v[40:43], off, off offset:512
	s_waitcnt vmcnt(8) lgkmcnt(0)
	v_mul_f64 v[182:183], v[170:171], v[8:9]
	v_mul_f64 v[8:9], v[172:173], v[8:9]
	v_add_f64 v[176:177], v[176:177], v[186:187]
	v_add_f64 v[174:175], v[174:175], v[184:185]
	v_fma_f64 v[184:185], v[4:5], v[38:39], v[178:179]
	v_fma_f64 v[38:39], v[2:3], v[38:39], -v[188:189]
	ds_load_b128 v[2:5], v1 offset:1024
	ds_load_b128 v[178:181], v1 offset:1040
	v_fma_f64 v[172:173], v[172:173], v[6:7], v[182:183]
	v_fma_f64 v[170:171], v[170:171], v[6:7], -v[8:9]
	scratch_load_b128 v[6:9], off, off offset:544
	v_add_f64 v[168:169], v[176:177], v[168:169]
	v_add_f64 v[44:45], v[174:175], v[44:45]
	scratch_load_b128 v[174:177], off, off offset:528
	s_waitcnt vmcnt(9) lgkmcnt(1)
	v_mul_f64 v[186:187], v[2:3], v[12:13]
	v_mul_f64 v[12:13], v[4:5], v[12:13]
	s_waitcnt vmcnt(8) lgkmcnt(0)
	v_mul_f64 v[182:183], v[178:179], v[16:17]
	v_mul_f64 v[16:17], v[180:181], v[16:17]
	v_add_f64 v[38:39], v[168:169], v[38:39]
	v_add_f64 v[44:45], v[44:45], v[184:185]
	v_fma_f64 v[184:185], v[4:5], v[10:11], v[186:187]
	v_fma_f64 v[186:187], v[2:3], v[10:11], -v[12:13]
	ds_load_b128 v[2:5], v1 offset:1056
	scratch_load_b128 v[10:13], off, off offset:560
	v_fma_f64 v[180:181], v[180:181], v[14:15], v[182:183]
	v_fma_f64 v[178:179], v[178:179], v[14:15], -v[16:17]
	scratch_load_b128 v[14:17], off, off offset:576
	v_add_f64 v[38:39], v[38:39], v[170:171]
	v_add_f64 v[44:45], v[44:45], v[172:173]
	ds_load_b128 v[168:171], v1 offset:1072
	s_waitcnt vmcnt(9) lgkmcnt(1)
	v_mul_f64 v[172:173], v[2:3], v[20:21]
	v_mul_f64 v[20:21], v[4:5], v[20:21]
	s_waitcnt vmcnt(8) lgkmcnt(0)
	v_mul_f64 v[182:183], v[168:169], v[24:25]
	v_mul_f64 v[24:25], v[170:171], v[24:25]
	v_add_f64 v[38:39], v[38:39], v[186:187]
	v_add_f64 v[44:45], v[44:45], v[184:185]
	v_fma_f64 v[172:173], v[4:5], v[18:19], v[172:173]
	v_fma_f64 v[184:185], v[2:3], v[18:19], -v[20:21]
	ds_load_b128 v[2:5], v1 offset:1088
	scratch_load_b128 v[18:21], off, off offset:592
	v_fma_f64 v[170:171], v[170:171], v[22:23], v[182:183]
	v_fma_f64 v[168:169], v[168:169], v[22:23], -v[24:25]
	scratch_load_b128 v[22:25], off, off offset:608
	v_add_f64 v[38:39], v[38:39], v[178:179]
	v_add_f64 v[44:45], v[44:45], v[180:181]
	ds_load_b128 v[178:181], v1 offset:1104
	s_waitcnt vmcnt(9) lgkmcnt(1)
	v_mul_f64 v[186:187], v[2:3], v[28:29]
	v_mul_f64 v[28:29], v[4:5], v[28:29]
	v_add_f64 v[38:39], v[38:39], v[184:185]
	v_add_f64 v[44:45], v[44:45], v[172:173]
	s_waitcnt vmcnt(8) lgkmcnt(0)
	v_mul_f64 v[172:173], v[178:179], v[32:33]
	v_mul_f64 v[32:33], v[180:181], v[32:33]
	v_fma_f64 v[182:183], v[4:5], v[26:27], v[186:187]
	v_fma_f64 v[184:185], v[2:3], v[26:27], -v[28:29]
	ds_load_b128 v[2:5], v1 offset:1120
	ds_load_b128 v[26:29], v1 offset:1136
	v_add_f64 v[38:39], v[38:39], v[168:169]
	v_add_f64 v[44:45], v[44:45], v[170:171]
	s_waitcnt vmcnt(7) lgkmcnt(1)
	v_mul_f64 v[168:169], v[2:3], v[36:37]
	v_mul_f64 v[36:37], v[4:5], v[36:37]
	v_fma_f64 v[170:171], v[180:181], v[30:31], v[172:173]
	v_fma_f64 v[30:31], v[178:179], v[30:31], -v[32:33]
	v_add_f64 v[32:33], v[38:39], v[184:185]
	v_add_f64 v[38:39], v[44:45], v[182:183]
	s_waitcnt vmcnt(6) lgkmcnt(0)
	v_mul_f64 v[44:45], v[26:27], v[42:43]
	v_mul_f64 v[42:43], v[28:29], v[42:43]
	v_fma_f64 v[168:169], v[4:5], v[34:35], v[168:169]
	v_fma_f64 v[34:35], v[2:3], v[34:35], -v[36:37]
	v_add_f64 v[36:37], v[32:33], v[30:31]
	v_add_f64 v[38:39], v[38:39], v[170:171]
	ds_load_b128 v[2:5], v1 offset:1152
	ds_load_b128 v[30:33], v1 offset:1168
	v_fma_f64 v[28:29], v[28:29], v[40:41], v[44:45]
	v_fma_f64 v[26:27], v[26:27], v[40:41], -v[42:43]
	s_waitcnt vmcnt(4) lgkmcnt(1)
	v_mul_f64 v[170:171], v[2:3], v[176:177]
	v_mul_f64 v[172:173], v[4:5], v[176:177]
	v_add_f64 v[34:35], v[36:37], v[34:35]
	v_add_f64 v[36:37], v[38:39], v[168:169]
	s_waitcnt lgkmcnt(0)
	v_mul_f64 v[38:39], v[30:31], v[8:9]
	v_mul_f64 v[8:9], v[32:33], v[8:9]
	v_fma_f64 v[40:41], v[4:5], v[174:175], v[170:171]
	v_fma_f64 v[42:43], v[2:3], v[174:175], -v[172:173]
	v_add_f64 v[34:35], v[34:35], v[26:27]
	v_add_f64 v[36:37], v[36:37], v[28:29]
	ds_load_b128 v[2:5], v1 offset:1184
	ds_load_b128 v[26:29], v1 offset:1200
	v_fma_f64 v[32:33], v[32:33], v[6:7], v[38:39]
	v_fma_f64 v[6:7], v[30:31], v[6:7], -v[8:9]
	s_waitcnt vmcnt(3) lgkmcnt(1)
	v_mul_f64 v[44:45], v[2:3], v[12:13]
	v_mul_f64 v[12:13], v[4:5], v[12:13]
	v_add_f64 v[8:9], v[34:35], v[42:43]
	v_add_f64 v[30:31], v[36:37], v[40:41]
	s_waitcnt vmcnt(2) lgkmcnt(0)
	v_mul_f64 v[34:35], v[26:27], v[16:17]
	v_mul_f64 v[16:17], v[28:29], v[16:17]
	v_fma_f64 v[36:37], v[4:5], v[10:11], v[44:45]
	v_fma_f64 v[10:11], v[2:3], v[10:11], -v[12:13]
	v_add_f64 v[12:13], v[8:9], v[6:7]
	v_add_f64 v[30:31], v[30:31], v[32:33]
	ds_load_b128 v[2:5], v1 offset:1216
	ds_load_b128 v[6:9], v1 offset:1232
	v_fma_f64 v[28:29], v[28:29], v[14:15], v[34:35]
	v_fma_f64 v[14:15], v[26:27], v[14:15], -v[16:17]
	s_waitcnt vmcnt(1) lgkmcnt(1)
	v_mul_f64 v[32:33], v[2:3], v[20:21]
	v_mul_f64 v[20:21], v[4:5], v[20:21]
	s_waitcnt vmcnt(0) lgkmcnt(0)
	v_mul_f64 v[16:17], v[6:7], v[24:25]
	v_mul_f64 v[24:25], v[8:9], v[24:25]
	v_add_f64 v[10:11], v[12:13], v[10:11]
	v_add_f64 v[12:13], v[30:31], v[36:37]
	v_fma_f64 v[4:5], v[4:5], v[18:19], v[32:33]
	v_fma_f64 v[1:2], v[2:3], v[18:19], -v[20:21]
	v_fma_f64 v[8:9], v[8:9], v[22:23], v[16:17]
	v_fma_f64 v[6:7], v[6:7], v[22:23], -v[24:25]
	v_add_f64 v[10:11], v[10:11], v[14:15]
	v_add_f64 v[12:13], v[12:13], v[28:29]
	s_delay_alu instid0(VALU_DEP_2) | instskip(NEXT) | instid1(VALU_DEP_2)
	v_add_f64 v[1:2], v[10:11], v[1:2]
	v_add_f64 v[3:4], v[12:13], v[4:5]
	s_delay_alu instid0(VALU_DEP_2) | instskip(NEXT) | instid1(VALU_DEP_2)
	;; [unrolled: 3-line block ×3, first 2 shown]
	v_add_f64 v[1:2], v[164:165], -v[1:2]
	v_add_f64 v[3:4], v[166:167], -v[3:4]
	scratch_store_b128 off, v[1:4], off offset:192
	v_cmpx_lt_u32_e32 11, v124
	s_cbranch_execz .LBB102_225
; %bb.224:
	scratch_load_b128 v[1:4], v154, off
	v_mov_b32_e32 v5, 0
	s_delay_alu instid0(VALU_DEP_1)
	v_mov_b32_e32 v6, v5
	v_mov_b32_e32 v7, v5
	;; [unrolled: 1-line block ×3, first 2 shown]
	scratch_store_b128 off, v[5:8], off offset:176
	s_waitcnt vmcnt(0)
	ds_store_b128 v163, v[1:4]
.LBB102_225:
	s_or_b32 exec_lo, exec_lo, s2
	s_waitcnt lgkmcnt(0)
	s_waitcnt_vscnt null, 0x0
	s_barrier
	buffer_gl0_inv
	s_clause 0x7
	scratch_load_b128 v[2:5], off, off offset:192
	scratch_load_b128 v[6:9], off, off offset:208
	;; [unrolled: 1-line block ×8, first 2 shown]
	v_mov_b32_e32 v1, 0
	s_mov_b32 s2, exec_lo
	ds_load_b128 v[38:41], v1 offset:816
	s_clause 0x1
	scratch_load_b128 v[34:37], off, off offset:320
	scratch_load_b128 v[42:45], off, off offset:176
	ds_load_b128 v[164:167], v1 offset:832
	scratch_load_b128 v[168:171], off, off offset:336
	s_waitcnt vmcnt(10) lgkmcnt(1)
	v_mul_f64 v[172:173], v[40:41], v[4:5]
	v_mul_f64 v[4:5], v[38:39], v[4:5]
	s_delay_alu instid0(VALU_DEP_2) | instskip(NEXT) | instid1(VALU_DEP_2)
	v_fma_f64 v[178:179], v[38:39], v[2:3], -v[172:173]
	v_fma_f64 v[180:181], v[40:41], v[2:3], v[4:5]
	scratch_load_b128 v[38:41], off, off offset:352
	ds_load_b128 v[2:5], v1 offset:848
	s_waitcnt vmcnt(10) lgkmcnt(1)
	v_mul_f64 v[176:177], v[164:165], v[8:9]
	v_mul_f64 v[8:9], v[166:167], v[8:9]
	ds_load_b128 v[172:175], v1 offset:864
	s_waitcnt vmcnt(9) lgkmcnt(1)
	v_mul_f64 v[182:183], v[2:3], v[12:13]
	v_mul_f64 v[12:13], v[4:5], v[12:13]
	v_fma_f64 v[166:167], v[166:167], v[6:7], v[176:177]
	v_fma_f64 v[164:165], v[164:165], v[6:7], -v[8:9]
	v_add_f64 v[176:177], v[178:179], 0
	v_add_f64 v[178:179], v[180:181], 0
	scratch_load_b128 v[6:9], off, off offset:368
	v_fma_f64 v[182:183], v[4:5], v[10:11], v[182:183]
	v_fma_f64 v[184:185], v[2:3], v[10:11], -v[12:13]
	scratch_load_b128 v[10:13], off, off offset:384
	ds_load_b128 v[2:5], v1 offset:880
	s_waitcnt vmcnt(10) lgkmcnt(1)
	v_mul_f64 v[180:181], v[172:173], v[16:17]
	v_mul_f64 v[16:17], v[174:175], v[16:17]
	v_add_f64 v[176:177], v[176:177], v[164:165]
	v_add_f64 v[178:179], v[178:179], v[166:167]
	s_waitcnt vmcnt(9) lgkmcnt(0)
	v_mul_f64 v[186:187], v[2:3], v[20:21]
	v_mul_f64 v[20:21], v[4:5], v[20:21]
	ds_load_b128 v[164:167], v1 offset:896
	v_fma_f64 v[174:175], v[174:175], v[14:15], v[180:181]
	v_fma_f64 v[172:173], v[172:173], v[14:15], -v[16:17]
	scratch_load_b128 v[14:17], off, off offset:400
	v_add_f64 v[176:177], v[176:177], v[184:185]
	v_add_f64 v[178:179], v[178:179], v[182:183]
	v_fma_f64 v[182:183], v[4:5], v[18:19], v[186:187]
	v_fma_f64 v[184:185], v[2:3], v[18:19], -v[20:21]
	scratch_load_b128 v[18:21], off, off offset:416
	ds_load_b128 v[2:5], v1 offset:912
	s_waitcnt vmcnt(10) lgkmcnt(1)
	v_mul_f64 v[180:181], v[164:165], v[24:25]
	v_mul_f64 v[24:25], v[166:167], v[24:25]
	s_waitcnt vmcnt(9) lgkmcnt(0)
	v_mul_f64 v[186:187], v[2:3], v[28:29]
	v_mul_f64 v[28:29], v[4:5], v[28:29]
	v_add_f64 v[176:177], v[176:177], v[172:173]
	v_add_f64 v[178:179], v[178:179], v[174:175]
	ds_load_b128 v[172:175], v1 offset:928
	v_fma_f64 v[166:167], v[166:167], v[22:23], v[180:181]
	v_fma_f64 v[164:165], v[164:165], v[22:23], -v[24:25]
	scratch_load_b128 v[22:25], off, off offset:432
	v_add_f64 v[176:177], v[176:177], v[184:185]
	v_add_f64 v[178:179], v[178:179], v[182:183]
	v_fma_f64 v[182:183], v[4:5], v[26:27], v[186:187]
	v_fma_f64 v[184:185], v[2:3], v[26:27], -v[28:29]
	scratch_load_b128 v[26:29], off, off offset:448
	ds_load_b128 v[2:5], v1 offset:944
	s_waitcnt vmcnt(10) lgkmcnt(1)
	v_mul_f64 v[180:181], v[172:173], v[32:33]
	v_mul_f64 v[32:33], v[174:175], v[32:33]
	s_waitcnt vmcnt(9) lgkmcnt(0)
	v_mul_f64 v[186:187], v[2:3], v[36:37]
	v_mul_f64 v[36:37], v[4:5], v[36:37]
	v_add_f64 v[176:177], v[176:177], v[164:165]
	v_add_f64 v[178:179], v[178:179], v[166:167]
	ds_load_b128 v[164:167], v1 offset:960
	v_fma_f64 v[174:175], v[174:175], v[30:31], v[180:181]
	v_fma_f64 v[172:173], v[172:173], v[30:31], -v[32:33]
	scratch_load_b128 v[30:33], off, off offset:464
	v_add_f64 v[176:177], v[176:177], v[184:185]
	v_add_f64 v[178:179], v[178:179], v[182:183]
	v_fma_f64 v[184:185], v[4:5], v[34:35], v[186:187]
	v_fma_f64 v[186:187], v[2:3], v[34:35], -v[36:37]
	scratch_load_b128 v[34:37], off, off offset:480
	ds_load_b128 v[2:5], v1 offset:976
	s_waitcnt vmcnt(9) lgkmcnt(1)
	v_mul_f64 v[180:181], v[164:165], v[170:171]
	v_mul_f64 v[182:183], v[166:167], v[170:171]
	v_add_f64 v[176:177], v[176:177], v[172:173]
	v_add_f64 v[174:175], v[178:179], v[174:175]
	ds_load_b128 v[170:173], v1 offset:992
	v_fma_f64 v[180:181], v[166:167], v[168:169], v[180:181]
	v_fma_f64 v[168:169], v[164:165], v[168:169], -v[182:183]
	scratch_load_b128 v[164:167], off, off offset:496
	s_waitcnt vmcnt(9) lgkmcnt(1)
	v_mul_f64 v[178:179], v[2:3], v[40:41]
	v_mul_f64 v[40:41], v[4:5], v[40:41]
	v_add_f64 v[176:177], v[176:177], v[186:187]
	v_add_f64 v[174:175], v[174:175], v[184:185]
	s_delay_alu instid0(VALU_DEP_4) | instskip(NEXT) | instid1(VALU_DEP_4)
	v_fma_f64 v[178:179], v[4:5], v[38:39], v[178:179]
	v_fma_f64 v[184:185], v[2:3], v[38:39], -v[40:41]
	scratch_load_b128 v[38:41], off, off offset:512
	ds_load_b128 v[2:5], v1 offset:1008
	s_waitcnt vmcnt(9) lgkmcnt(1)
	v_mul_f64 v[182:183], v[170:171], v[8:9]
	v_mul_f64 v[8:9], v[172:173], v[8:9]
	s_waitcnt vmcnt(8) lgkmcnt(0)
	v_mul_f64 v[186:187], v[2:3], v[12:13]
	v_mul_f64 v[12:13], v[4:5], v[12:13]
	v_add_f64 v[168:169], v[176:177], v[168:169]
	v_add_f64 v[180:181], v[174:175], v[180:181]
	ds_load_b128 v[174:177], v1 offset:1024
	v_fma_f64 v[172:173], v[172:173], v[6:7], v[182:183]
	v_fma_f64 v[170:171], v[170:171], v[6:7], -v[8:9]
	scratch_load_b128 v[6:9], off, off offset:528
	v_fma_f64 v[182:183], v[4:5], v[10:11], v[186:187]
	v_add_f64 v[168:169], v[168:169], v[184:185]
	v_add_f64 v[178:179], v[180:181], v[178:179]
	v_fma_f64 v[184:185], v[2:3], v[10:11], -v[12:13]
	scratch_load_b128 v[10:13], off, off offset:544
	ds_load_b128 v[2:5], v1 offset:1040
	s_waitcnt vmcnt(9) lgkmcnt(1)
	v_mul_f64 v[180:181], v[174:175], v[16:17]
	v_mul_f64 v[16:17], v[176:177], v[16:17]
	v_add_f64 v[186:187], v[168:169], v[170:171]
	v_add_f64 v[172:173], v[178:179], v[172:173]
	s_waitcnt vmcnt(8) lgkmcnt(0)
	v_mul_f64 v[178:179], v[2:3], v[20:21]
	v_mul_f64 v[20:21], v[4:5], v[20:21]
	ds_load_b128 v[168:171], v1 offset:1056
	v_fma_f64 v[176:177], v[176:177], v[14:15], v[180:181]
	v_fma_f64 v[174:175], v[174:175], v[14:15], -v[16:17]
	scratch_load_b128 v[14:17], off, off offset:560
	v_add_f64 v[180:181], v[186:187], v[184:185]
	v_add_f64 v[172:173], v[172:173], v[182:183]
	v_fma_f64 v[178:179], v[4:5], v[18:19], v[178:179]
	v_fma_f64 v[184:185], v[2:3], v[18:19], -v[20:21]
	scratch_load_b128 v[18:21], off, off offset:576
	ds_load_b128 v[2:5], v1 offset:1072
	s_waitcnt vmcnt(9) lgkmcnt(1)
	v_mul_f64 v[182:183], v[168:169], v[24:25]
	v_mul_f64 v[24:25], v[170:171], v[24:25]
	s_waitcnt vmcnt(8) lgkmcnt(0)
	v_mul_f64 v[186:187], v[2:3], v[28:29]
	v_mul_f64 v[28:29], v[4:5], v[28:29]
	v_add_f64 v[180:181], v[180:181], v[174:175]
	v_add_f64 v[176:177], v[172:173], v[176:177]
	ds_load_b128 v[172:175], v1 offset:1088
	v_fma_f64 v[170:171], v[170:171], v[22:23], v[182:183]
	v_fma_f64 v[168:169], v[168:169], v[22:23], -v[24:25]
	scratch_load_b128 v[22:25], off, off offset:592
	v_fma_f64 v[182:183], v[4:5], v[26:27], v[186:187]
	v_add_f64 v[180:181], v[180:181], v[184:185]
	v_add_f64 v[176:177], v[176:177], v[178:179]
	v_fma_f64 v[184:185], v[2:3], v[26:27], -v[28:29]
	scratch_load_b128 v[26:29], off, off offset:608
	ds_load_b128 v[2:5], v1 offset:1104
	s_waitcnt vmcnt(9) lgkmcnt(1)
	v_mul_f64 v[178:179], v[172:173], v[32:33]
	v_mul_f64 v[32:33], v[174:175], v[32:33]
	s_waitcnt vmcnt(8) lgkmcnt(0)
	v_mul_f64 v[186:187], v[2:3], v[36:37]
	v_mul_f64 v[36:37], v[4:5], v[36:37]
	v_add_f64 v[180:181], v[180:181], v[168:169]
	v_add_f64 v[176:177], v[176:177], v[170:171]
	ds_load_b128 v[168:171], v1 offset:1120
	v_fma_f64 v[174:175], v[174:175], v[30:31], v[178:179]
	v_fma_f64 v[30:31], v[172:173], v[30:31], -v[32:33]
	v_fma_f64 v[178:179], v[4:5], v[34:35], v[186:187]
	v_fma_f64 v[34:35], v[2:3], v[34:35], -v[36:37]
	v_add_f64 v[32:33], v[180:181], v[184:185]
	v_add_f64 v[172:173], v[176:177], v[182:183]
	s_waitcnt vmcnt(7) lgkmcnt(0)
	v_mul_f64 v[176:177], v[168:169], v[166:167]
	v_mul_f64 v[166:167], v[170:171], v[166:167]
	s_delay_alu instid0(VALU_DEP_4) | instskip(NEXT) | instid1(VALU_DEP_4)
	v_add_f64 v[36:37], v[32:33], v[30:31]
	v_add_f64 v[172:173], v[172:173], v[174:175]
	ds_load_b128 v[2:5], v1 offset:1136
	ds_load_b128 v[30:33], v1 offset:1152
	v_fma_f64 v[170:171], v[170:171], v[164:165], v[176:177]
	v_fma_f64 v[164:165], v[168:169], v[164:165], -v[166:167]
	s_waitcnt vmcnt(6) lgkmcnt(1)
	v_mul_f64 v[174:175], v[2:3], v[40:41]
	v_mul_f64 v[40:41], v[4:5], v[40:41]
	s_waitcnt vmcnt(5) lgkmcnt(0)
	v_mul_f64 v[166:167], v[30:31], v[8:9]
	v_mul_f64 v[8:9], v[32:33], v[8:9]
	v_add_f64 v[34:35], v[36:37], v[34:35]
	v_add_f64 v[36:37], v[172:173], v[178:179]
	v_fma_f64 v[168:169], v[4:5], v[38:39], v[174:175]
	v_fma_f64 v[38:39], v[2:3], v[38:39], -v[40:41]
	v_fma_f64 v[32:33], v[32:33], v[6:7], v[166:167]
	v_fma_f64 v[6:7], v[30:31], v[6:7], -v[8:9]
	v_add_f64 v[40:41], v[34:35], v[164:165]
	v_add_f64 v[164:165], v[36:37], v[170:171]
	ds_load_b128 v[2:5], v1 offset:1168
	ds_load_b128 v[34:37], v1 offset:1184
	s_waitcnt vmcnt(4) lgkmcnt(1)
	v_mul_f64 v[170:171], v[2:3], v[12:13]
	v_mul_f64 v[12:13], v[4:5], v[12:13]
	v_add_f64 v[8:9], v[40:41], v[38:39]
	v_add_f64 v[30:31], v[164:165], v[168:169]
	s_waitcnt vmcnt(3) lgkmcnt(0)
	v_mul_f64 v[38:39], v[34:35], v[16:17]
	v_mul_f64 v[16:17], v[36:37], v[16:17]
	v_fma_f64 v[40:41], v[4:5], v[10:11], v[170:171]
	v_fma_f64 v[10:11], v[2:3], v[10:11], -v[12:13]
	v_add_f64 v[12:13], v[8:9], v[6:7]
	v_add_f64 v[30:31], v[30:31], v[32:33]
	ds_load_b128 v[2:5], v1 offset:1200
	ds_load_b128 v[6:9], v1 offset:1216
	v_fma_f64 v[36:37], v[36:37], v[14:15], v[38:39]
	v_fma_f64 v[14:15], v[34:35], v[14:15], -v[16:17]
	s_waitcnt vmcnt(2) lgkmcnt(1)
	v_mul_f64 v[32:33], v[2:3], v[20:21]
	v_mul_f64 v[20:21], v[4:5], v[20:21]
	s_waitcnt vmcnt(1) lgkmcnt(0)
	v_mul_f64 v[16:17], v[6:7], v[24:25]
	v_mul_f64 v[24:25], v[8:9], v[24:25]
	v_add_f64 v[10:11], v[12:13], v[10:11]
	v_add_f64 v[12:13], v[30:31], v[40:41]
	v_fma_f64 v[30:31], v[4:5], v[18:19], v[32:33]
	v_fma_f64 v[18:19], v[2:3], v[18:19], -v[20:21]
	ds_load_b128 v[2:5], v1 offset:1232
	v_fma_f64 v[8:9], v[8:9], v[22:23], v[16:17]
	v_fma_f64 v[6:7], v[6:7], v[22:23], -v[24:25]
	v_add_f64 v[10:11], v[10:11], v[14:15]
	v_add_f64 v[12:13], v[12:13], v[36:37]
	s_waitcnt vmcnt(0) lgkmcnt(0)
	v_mul_f64 v[14:15], v[2:3], v[28:29]
	v_mul_f64 v[20:21], v[4:5], v[28:29]
	s_delay_alu instid0(VALU_DEP_4) | instskip(NEXT) | instid1(VALU_DEP_4)
	v_add_f64 v[10:11], v[10:11], v[18:19]
	v_add_f64 v[12:13], v[12:13], v[30:31]
	s_delay_alu instid0(VALU_DEP_4) | instskip(NEXT) | instid1(VALU_DEP_4)
	v_fma_f64 v[4:5], v[4:5], v[26:27], v[14:15]
	v_fma_f64 v[2:3], v[2:3], v[26:27], -v[20:21]
	s_delay_alu instid0(VALU_DEP_4) | instskip(NEXT) | instid1(VALU_DEP_4)
	v_add_f64 v[6:7], v[10:11], v[6:7]
	v_add_f64 v[8:9], v[12:13], v[8:9]
	s_delay_alu instid0(VALU_DEP_2) | instskip(NEXT) | instid1(VALU_DEP_2)
	v_add_f64 v[2:3], v[6:7], v[2:3]
	v_add_f64 v[4:5], v[8:9], v[4:5]
	s_delay_alu instid0(VALU_DEP_2) | instskip(NEXT) | instid1(VALU_DEP_2)
	v_add_f64 v[2:3], v[42:43], -v[2:3]
	v_add_f64 v[4:5], v[44:45], -v[4:5]
	scratch_store_b128 off, v[2:5], off offset:176
	v_cmpx_lt_u32_e32 10, v124
	s_cbranch_execz .LBB102_227
; %bb.226:
	scratch_load_b128 v[5:8], v155, off
	v_mov_b32_e32 v2, v1
	v_mov_b32_e32 v3, v1
	;; [unrolled: 1-line block ×3, first 2 shown]
	scratch_store_b128 off, v[1:4], off offset:160
	s_waitcnt vmcnt(0)
	ds_store_b128 v163, v[5:8]
.LBB102_227:
	s_or_b32 exec_lo, exec_lo, s2
	s_waitcnt lgkmcnt(0)
	s_waitcnt_vscnt null, 0x0
	s_barrier
	buffer_gl0_inv
	s_clause 0x8
	scratch_load_b128 v[2:5], off, off offset:176
	scratch_load_b128 v[6:9], off, off offset:192
	;; [unrolled: 1-line block ×9, first 2 shown]
	ds_load_b128 v[42:45], v1 offset:800
	ds_load_b128 v[38:41], v1 offset:816
	s_clause 0x1
	scratch_load_b128 v[164:167], off, off offset:160
	scratch_load_b128 v[168:171], off, off offset:320
	s_mov_b32 s2, exec_lo
	s_waitcnt vmcnt(10) lgkmcnt(1)
	v_mul_f64 v[172:173], v[44:45], v[4:5]
	v_mul_f64 v[4:5], v[42:43], v[4:5]
	s_waitcnt vmcnt(9) lgkmcnt(0)
	v_mul_f64 v[176:177], v[38:39], v[8:9]
	v_mul_f64 v[8:9], v[40:41], v[8:9]
	s_delay_alu instid0(VALU_DEP_4) | instskip(NEXT) | instid1(VALU_DEP_4)
	v_fma_f64 v[178:179], v[42:43], v[2:3], -v[172:173]
	v_fma_f64 v[180:181], v[44:45], v[2:3], v[4:5]
	ds_load_b128 v[2:5], v1 offset:832
	ds_load_b128 v[172:175], v1 offset:848
	scratch_load_b128 v[42:45], off, off offset:336
	v_fma_f64 v[40:41], v[40:41], v[6:7], v[176:177]
	v_fma_f64 v[38:39], v[38:39], v[6:7], -v[8:9]
	scratch_load_b128 v[6:9], off, off offset:352
	s_waitcnt vmcnt(10) lgkmcnt(1)
	v_mul_f64 v[182:183], v[2:3], v[12:13]
	v_mul_f64 v[12:13], v[4:5], v[12:13]
	v_add_f64 v[176:177], v[178:179], 0
	v_add_f64 v[178:179], v[180:181], 0
	s_waitcnt vmcnt(9) lgkmcnt(0)
	v_mul_f64 v[180:181], v[172:173], v[16:17]
	v_mul_f64 v[16:17], v[174:175], v[16:17]
	v_fma_f64 v[182:183], v[4:5], v[10:11], v[182:183]
	v_fma_f64 v[184:185], v[2:3], v[10:11], -v[12:13]
	ds_load_b128 v[2:5], v1 offset:864
	scratch_load_b128 v[10:13], off, off offset:368
	v_add_f64 v[176:177], v[176:177], v[38:39]
	v_add_f64 v[178:179], v[178:179], v[40:41]
	ds_load_b128 v[38:41], v1 offset:880
	v_fma_f64 v[174:175], v[174:175], v[14:15], v[180:181]
	v_fma_f64 v[172:173], v[172:173], v[14:15], -v[16:17]
	scratch_load_b128 v[14:17], off, off offset:384
	s_waitcnt vmcnt(10) lgkmcnt(1)
	v_mul_f64 v[186:187], v[2:3], v[20:21]
	v_mul_f64 v[20:21], v[4:5], v[20:21]
	s_waitcnt vmcnt(9) lgkmcnt(0)
	v_mul_f64 v[180:181], v[38:39], v[24:25]
	v_mul_f64 v[24:25], v[40:41], v[24:25]
	v_add_f64 v[176:177], v[176:177], v[184:185]
	v_add_f64 v[178:179], v[178:179], v[182:183]
	v_fma_f64 v[182:183], v[4:5], v[18:19], v[186:187]
	v_fma_f64 v[184:185], v[2:3], v[18:19], -v[20:21]
	ds_load_b128 v[2:5], v1 offset:896
	scratch_load_b128 v[18:21], off, off offset:400
	v_fma_f64 v[40:41], v[40:41], v[22:23], v[180:181]
	v_fma_f64 v[38:39], v[38:39], v[22:23], -v[24:25]
	scratch_load_b128 v[22:25], off, off offset:416
	v_add_f64 v[176:177], v[176:177], v[172:173]
	v_add_f64 v[178:179], v[178:179], v[174:175]
	ds_load_b128 v[172:175], v1 offset:912
	s_waitcnt vmcnt(10) lgkmcnt(1)
	v_mul_f64 v[186:187], v[2:3], v[28:29]
	v_mul_f64 v[28:29], v[4:5], v[28:29]
	s_waitcnt vmcnt(9) lgkmcnt(0)
	v_mul_f64 v[180:181], v[172:173], v[32:33]
	v_mul_f64 v[32:33], v[174:175], v[32:33]
	v_add_f64 v[176:177], v[176:177], v[184:185]
	v_add_f64 v[178:179], v[178:179], v[182:183]
	v_fma_f64 v[182:183], v[4:5], v[26:27], v[186:187]
	v_fma_f64 v[184:185], v[2:3], v[26:27], -v[28:29]
	ds_load_b128 v[2:5], v1 offset:928
	scratch_load_b128 v[26:29], off, off offset:432
	v_fma_f64 v[174:175], v[174:175], v[30:31], v[180:181]
	v_fma_f64 v[172:173], v[172:173], v[30:31], -v[32:33]
	scratch_load_b128 v[30:33], off, off offset:448
	v_add_f64 v[176:177], v[176:177], v[38:39]
	v_add_f64 v[178:179], v[178:179], v[40:41]
	ds_load_b128 v[38:41], v1 offset:944
	s_waitcnt vmcnt(10) lgkmcnt(1)
	v_mul_f64 v[186:187], v[2:3], v[36:37]
	v_mul_f64 v[36:37], v[4:5], v[36:37]
	s_waitcnt vmcnt(8) lgkmcnt(0)
	v_mul_f64 v[180:181], v[38:39], v[170:171]
	v_add_f64 v[176:177], v[176:177], v[184:185]
	v_add_f64 v[178:179], v[178:179], v[182:183]
	v_mul_f64 v[182:183], v[40:41], v[170:171]
	v_fma_f64 v[184:185], v[4:5], v[34:35], v[186:187]
	v_fma_f64 v[186:187], v[2:3], v[34:35], -v[36:37]
	ds_load_b128 v[2:5], v1 offset:960
	scratch_load_b128 v[34:37], off, off offset:464
	v_fma_f64 v[180:181], v[40:41], v[168:169], v[180:181]
	v_add_f64 v[176:177], v[176:177], v[172:173]
	v_add_f64 v[174:175], v[178:179], v[174:175]
	ds_load_b128 v[170:173], v1 offset:976
	v_fma_f64 v[168:169], v[38:39], v[168:169], -v[182:183]
	scratch_load_b128 v[38:41], off, off offset:480
	s_waitcnt vmcnt(9) lgkmcnt(1)
	v_mul_f64 v[178:179], v[2:3], v[44:45]
	v_mul_f64 v[44:45], v[4:5], v[44:45]
	s_waitcnt vmcnt(8) lgkmcnt(0)
	v_mul_f64 v[182:183], v[170:171], v[8:9]
	v_mul_f64 v[8:9], v[172:173], v[8:9]
	v_add_f64 v[176:177], v[176:177], v[186:187]
	v_add_f64 v[174:175], v[174:175], v[184:185]
	v_fma_f64 v[178:179], v[4:5], v[42:43], v[178:179]
	v_fma_f64 v[184:185], v[2:3], v[42:43], -v[44:45]
	ds_load_b128 v[2:5], v1 offset:992
	scratch_load_b128 v[42:45], off, off offset:496
	v_fma_f64 v[172:173], v[172:173], v[6:7], v[182:183]
	v_fma_f64 v[170:171], v[170:171], v[6:7], -v[8:9]
	scratch_load_b128 v[6:9], off, off offset:512
	v_add_f64 v[168:169], v[176:177], v[168:169]
	v_add_f64 v[180:181], v[174:175], v[180:181]
	ds_load_b128 v[174:177], v1 offset:1008
	s_waitcnt vmcnt(9) lgkmcnt(1)
	v_mul_f64 v[186:187], v[2:3], v[12:13]
	v_mul_f64 v[12:13], v[4:5], v[12:13]
	v_add_f64 v[168:169], v[168:169], v[184:185]
	v_add_f64 v[178:179], v[180:181], v[178:179]
	s_waitcnt vmcnt(8) lgkmcnt(0)
	v_mul_f64 v[180:181], v[174:175], v[16:17]
	v_mul_f64 v[16:17], v[176:177], v[16:17]
	v_fma_f64 v[182:183], v[4:5], v[10:11], v[186:187]
	v_fma_f64 v[184:185], v[2:3], v[10:11], -v[12:13]
	ds_load_b128 v[2:5], v1 offset:1024
	scratch_load_b128 v[10:13], off, off offset:528
	v_add_f64 v[186:187], v[168:169], v[170:171]
	v_add_f64 v[172:173], v[178:179], v[172:173]
	ds_load_b128 v[168:171], v1 offset:1040
	s_waitcnt vmcnt(8) lgkmcnt(1)
	v_mul_f64 v[178:179], v[2:3], v[20:21]
	v_mul_f64 v[20:21], v[4:5], v[20:21]
	v_fma_f64 v[176:177], v[176:177], v[14:15], v[180:181]
	v_fma_f64 v[174:175], v[174:175], v[14:15], -v[16:17]
	scratch_load_b128 v[14:17], off, off offset:544
	v_add_f64 v[180:181], v[186:187], v[184:185]
	v_add_f64 v[172:173], v[172:173], v[182:183]
	s_waitcnt vmcnt(8) lgkmcnt(0)
	v_mul_f64 v[182:183], v[168:169], v[24:25]
	v_mul_f64 v[24:25], v[170:171], v[24:25]
	v_fma_f64 v[178:179], v[4:5], v[18:19], v[178:179]
	v_fma_f64 v[184:185], v[2:3], v[18:19], -v[20:21]
	ds_load_b128 v[2:5], v1 offset:1056
	scratch_load_b128 v[18:21], off, off offset:560
	v_add_f64 v[180:181], v[180:181], v[174:175]
	v_add_f64 v[176:177], v[172:173], v[176:177]
	ds_load_b128 v[172:175], v1 offset:1072
	s_waitcnt vmcnt(8) lgkmcnt(1)
	v_mul_f64 v[186:187], v[2:3], v[28:29]
	v_mul_f64 v[28:29], v[4:5], v[28:29]
	v_fma_f64 v[170:171], v[170:171], v[22:23], v[182:183]
	v_fma_f64 v[168:169], v[168:169], v[22:23], -v[24:25]
	scratch_load_b128 v[22:25], off, off offset:576
	;; [unrolled: 18-line block ×3, first 2 shown]
	v_add_f64 v[178:179], v[180:181], v[184:185]
	v_add_f64 v[176:177], v[176:177], v[182:183]
	s_waitcnt vmcnt(8) lgkmcnt(0)
	v_mul_f64 v[180:181], v[168:169], v[40:41]
	v_mul_f64 v[40:41], v[170:171], v[40:41]
	v_fma_f64 v[182:183], v[4:5], v[34:35], v[186:187]
	v_fma_f64 v[184:185], v[2:3], v[34:35], -v[36:37]
	ds_load_b128 v[2:5], v1 offset:1120
	ds_load_b128 v[34:37], v1 offset:1136
	v_add_f64 v[172:173], v[178:179], v[172:173]
	v_add_f64 v[174:175], v[176:177], v[174:175]
	s_waitcnt vmcnt(7) lgkmcnt(1)
	v_mul_f64 v[176:177], v[2:3], v[44:45]
	v_mul_f64 v[44:45], v[4:5], v[44:45]
	v_fma_f64 v[170:171], v[170:171], v[38:39], v[180:181]
	v_fma_f64 v[38:39], v[168:169], v[38:39], -v[40:41]
	v_add_f64 v[40:41], v[172:173], v[184:185]
	v_add_f64 v[168:169], v[174:175], v[182:183]
	s_waitcnt vmcnt(6) lgkmcnt(0)
	v_mul_f64 v[172:173], v[34:35], v[8:9]
	v_mul_f64 v[8:9], v[36:37], v[8:9]
	v_fma_f64 v[174:175], v[4:5], v[42:43], v[176:177]
	v_fma_f64 v[42:43], v[2:3], v[42:43], -v[44:45]
	v_add_f64 v[44:45], v[40:41], v[38:39]
	v_add_f64 v[168:169], v[168:169], v[170:171]
	ds_load_b128 v[2:5], v1 offset:1152
	ds_load_b128 v[38:41], v1 offset:1168
	v_fma_f64 v[36:37], v[36:37], v[6:7], v[172:173]
	v_fma_f64 v[6:7], v[34:35], v[6:7], -v[8:9]
	s_waitcnt vmcnt(5) lgkmcnt(1)
	v_mul_f64 v[170:171], v[2:3], v[12:13]
	v_mul_f64 v[12:13], v[4:5], v[12:13]
	v_add_f64 v[8:9], v[44:45], v[42:43]
	v_add_f64 v[34:35], v[168:169], v[174:175]
	s_waitcnt vmcnt(4) lgkmcnt(0)
	v_mul_f64 v[42:43], v[38:39], v[16:17]
	v_mul_f64 v[16:17], v[40:41], v[16:17]
	v_fma_f64 v[44:45], v[4:5], v[10:11], v[170:171]
	v_fma_f64 v[10:11], v[2:3], v[10:11], -v[12:13]
	v_add_f64 v[12:13], v[8:9], v[6:7]
	v_add_f64 v[34:35], v[34:35], v[36:37]
	ds_load_b128 v[2:5], v1 offset:1184
	ds_load_b128 v[6:9], v1 offset:1200
	v_fma_f64 v[40:41], v[40:41], v[14:15], v[42:43]
	v_fma_f64 v[14:15], v[38:39], v[14:15], -v[16:17]
	s_waitcnt vmcnt(3) lgkmcnt(1)
	v_mul_f64 v[36:37], v[2:3], v[20:21]
	v_mul_f64 v[20:21], v[4:5], v[20:21]
	s_waitcnt vmcnt(2) lgkmcnt(0)
	v_mul_f64 v[16:17], v[6:7], v[24:25]
	v_mul_f64 v[24:25], v[8:9], v[24:25]
	v_add_f64 v[10:11], v[12:13], v[10:11]
	v_add_f64 v[12:13], v[34:35], v[44:45]
	v_fma_f64 v[34:35], v[4:5], v[18:19], v[36:37]
	v_fma_f64 v[18:19], v[2:3], v[18:19], -v[20:21]
	v_fma_f64 v[8:9], v[8:9], v[22:23], v[16:17]
	v_fma_f64 v[6:7], v[6:7], v[22:23], -v[24:25]
	v_add_f64 v[14:15], v[10:11], v[14:15]
	v_add_f64 v[20:21], v[12:13], v[40:41]
	ds_load_b128 v[2:5], v1 offset:1216
	ds_load_b128 v[10:13], v1 offset:1232
	s_waitcnt vmcnt(1) lgkmcnt(1)
	v_mul_f64 v[36:37], v[2:3], v[28:29]
	v_mul_f64 v[28:29], v[4:5], v[28:29]
	v_add_f64 v[14:15], v[14:15], v[18:19]
	v_add_f64 v[16:17], v[20:21], v[34:35]
	s_waitcnt vmcnt(0) lgkmcnt(0)
	v_mul_f64 v[18:19], v[10:11], v[32:33]
	v_mul_f64 v[20:21], v[12:13], v[32:33]
	v_fma_f64 v[4:5], v[4:5], v[26:27], v[36:37]
	v_fma_f64 v[1:2], v[2:3], v[26:27], -v[28:29]
	v_add_f64 v[6:7], v[14:15], v[6:7]
	v_add_f64 v[8:9], v[16:17], v[8:9]
	v_fma_f64 v[12:13], v[12:13], v[30:31], v[18:19]
	v_fma_f64 v[10:11], v[10:11], v[30:31], -v[20:21]
	s_delay_alu instid0(VALU_DEP_4) | instskip(NEXT) | instid1(VALU_DEP_4)
	v_add_f64 v[1:2], v[6:7], v[1:2]
	v_add_f64 v[3:4], v[8:9], v[4:5]
	s_delay_alu instid0(VALU_DEP_2) | instskip(NEXT) | instid1(VALU_DEP_2)
	v_add_f64 v[1:2], v[1:2], v[10:11]
	v_add_f64 v[3:4], v[3:4], v[12:13]
	s_delay_alu instid0(VALU_DEP_2) | instskip(NEXT) | instid1(VALU_DEP_2)
	v_add_f64 v[1:2], v[164:165], -v[1:2]
	v_add_f64 v[3:4], v[166:167], -v[3:4]
	scratch_store_b128 off, v[1:4], off offset:160
	v_cmpx_lt_u32_e32 9, v124
	s_cbranch_execz .LBB102_229
; %bb.228:
	scratch_load_b128 v[1:4], v158, off
	v_mov_b32_e32 v5, 0
	s_delay_alu instid0(VALU_DEP_1)
	v_mov_b32_e32 v6, v5
	v_mov_b32_e32 v7, v5
	;; [unrolled: 1-line block ×3, first 2 shown]
	scratch_store_b128 off, v[5:8], off offset:144
	s_waitcnt vmcnt(0)
	ds_store_b128 v163, v[1:4]
.LBB102_229:
	s_or_b32 exec_lo, exec_lo, s2
	s_waitcnt lgkmcnt(0)
	s_waitcnt_vscnt null, 0x0
	s_barrier
	buffer_gl0_inv
	s_clause 0x7
	scratch_load_b128 v[2:5], off, off offset:160
	scratch_load_b128 v[6:9], off, off offset:176
	;; [unrolled: 1-line block ×8, first 2 shown]
	v_mov_b32_e32 v1, 0
	s_mov_b32 s2, exec_lo
	ds_load_b128 v[38:41], v1 offset:784
	s_clause 0x1
	scratch_load_b128 v[34:37], off, off offset:288
	scratch_load_b128 v[42:45], off, off offset:144
	ds_load_b128 v[164:167], v1 offset:800
	scratch_load_b128 v[168:171], off, off offset:304
	s_waitcnt vmcnt(10) lgkmcnt(1)
	v_mul_f64 v[172:173], v[40:41], v[4:5]
	v_mul_f64 v[4:5], v[38:39], v[4:5]
	s_delay_alu instid0(VALU_DEP_2) | instskip(NEXT) | instid1(VALU_DEP_2)
	v_fma_f64 v[178:179], v[38:39], v[2:3], -v[172:173]
	v_fma_f64 v[180:181], v[40:41], v[2:3], v[4:5]
	scratch_load_b128 v[38:41], off, off offset:320
	ds_load_b128 v[2:5], v1 offset:816
	s_waitcnt vmcnt(10) lgkmcnt(1)
	v_mul_f64 v[176:177], v[164:165], v[8:9]
	v_mul_f64 v[8:9], v[166:167], v[8:9]
	ds_load_b128 v[172:175], v1 offset:832
	s_waitcnt vmcnt(9) lgkmcnt(1)
	v_mul_f64 v[182:183], v[2:3], v[12:13]
	v_mul_f64 v[12:13], v[4:5], v[12:13]
	v_fma_f64 v[166:167], v[166:167], v[6:7], v[176:177]
	v_fma_f64 v[164:165], v[164:165], v[6:7], -v[8:9]
	v_add_f64 v[176:177], v[178:179], 0
	v_add_f64 v[178:179], v[180:181], 0
	scratch_load_b128 v[6:9], off, off offset:336
	v_fma_f64 v[182:183], v[4:5], v[10:11], v[182:183]
	v_fma_f64 v[184:185], v[2:3], v[10:11], -v[12:13]
	scratch_load_b128 v[10:13], off, off offset:352
	ds_load_b128 v[2:5], v1 offset:848
	s_waitcnt vmcnt(10) lgkmcnt(1)
	v_mul_f64 v[180:181], v[172:173], v[16:17]
	v_mul_f64 v[16:17], v[174:175], v[16:17]
	v_add_f64 v[176:177], v[176:177], v[164:165]
	v_add_f64 v[178:179], v[178:179], v[166:167]
	s_waitcnt vmcnt(9) lgkmcnt(0)
	v_mul_f64 v[186:187], v[2:3], v[20:21]
	v_mul_f64 v[20:21], v[4:5], v[20:21]
	ds_load_b128 v[164:167], v1 offset:864
	v_fma_f64 v[174:175], v[174:175], v[14:15], v[180:181]
	v_fma_f64 v[172:173], v[172:173], v[14:15], -v[16:17]
	scratch_load_b128 v[14:17], off, off offset:368
	v_add_f64 v[176:177], v[176:177], v[184:185]
	v_add_f64 v[178:179], v[178:179], v[182:183]
	v_fma_f64 v[182:183], v[4:5], v[18:19], v[186:187]
	v_fma_f64 v[184:185], v[2:3], v[18:19], -v[20:21]
	scratch_load_b128 v[18:21], off, off offset:384
	ds_load_b128 v[2:5], v1 offset:880
	s_waitcnt vmcnt(10) lgkmcnt(1)
	v_mul_f64 v[180:181], v[164:165], v[24:25]
	v_mul_f64 v[24:25], v[166:167], v[24:25]
	s_waitcnt vmcnt(9) lgkmcnt(0)
	v_mul_f64 v[186:187], v[2:3], v[28:29]
	v_mul_f64 v[28:29], v[4:5], v[28:29]
	v_add_f64 v[176:177], v[176:177], v[172:173]
	v_add_f64 v[178:179], v[178:179], v[174:175]
	ds_load_b128 v[172:175], v1 offset:896
	v_fma_f64 v[166:167], v[166:167], v[22:23], v[180:181]
	v_fma_f64 v[164:165], v[164:165], v[22:23], -v[24:25]
	scratch_load_b128 v[22:25], off, off offset:400
	v_add_f64 v[176:177], v[176:177], v[184:185]
	v_add_f64 v[178:179], v[178:179], v[182:183]
	v_fma_f64 v[182:183], v[4:5], v[26:27], v[186:187]
	v_fma_f64 v[184:185], v[2:3], v[26:27], -v[28:29]
	scratch_load_b128 v[26:29], off, off offset:416
	ds_load_b128 v[2:5], v1 offset:912
	s_waitcnt vmcnt(10) lgkmcnt(1)
	v_mul_f64 v[180:181], v[172:173], v[32:33]
	v_mul_f64 v[32:33], v[174:175], v[32:33]
	s_waitcnt vmcnt(9) lgkmcnt(0)
	v_mul_f64 v[186:187], v[2:3], v[36:37]
	v_mul_f64 v[36:37], v[4:5], v[36:37]
	v_add_f64 v[176:177], v[176:177], v[164:165]
	v_add_f64 v[178:179], v[178:179], v[166:167]
	ds_load_b128 v[164:167], v1 offset:928
	v_fma_f64 v[174:175], v[174:175], v[30:31], v[180:181]
	v_fma_f64 v[172:173], v[172:173], v[30:31], -v[32:33]
	scratch_load_b128 v[30:33], off, off offset:432
	v_add_f64 v[176:177], v[176:177], v[184:185]
	v_add_f64 v[178:179], v[178:179], v[182:183]
	v_fma_f64 v[184:185], v[4:5], v[34:35], v[186:187]
	v_fma_f64 v[186:187], v[2:3], v[34:35], -v[36:37]
	scratch_load_b128 v[34:37], off, off offset:448
	ds_load_b128 v[2:5], v1 offset:944
	s_waitcnt vmcnt(9) lgkmcnt(1)
	v_mul_f64 v[180:181], v[164:165], v[170:171]
	v_mul_f64 v[182:183], v[166:167], v[170:171]
	v_add_f64 v[176:177], v[176:177], v[172:173]
	v_add_f64 v[174:175], v[178:179], v[174:175]
	ds_load_b128 v[170:173], v1 offset:960
	v_fma_f64 v[180:181], v[166:167], v[168:169], v[180:181]
	v_fma_f64 v[168:169], v[164:165], v[168:169], -v[182:183]
	scratch_load_b128 v[164:167], off, off offset:464
	s_waitcnt vmcnt(9) lgkmcnt(1)
	v_mul_f64 v[178:179], v[2:3], v[40:41]
	v_mul_f64 v[40:41], v[4:5], v[40:41]
	v_add_f64 v[176:177], v[176:177], v[186:187]
	v_add_f64 v[174:175], v[174:175], v[184:185]
	s_delay_alu instid0(VALU_DEP_4) | instskip(NEXT) | instid1(VALU_DEP_4)
	v_fma_f64 v[178:179], v[4:5], v[38:39], v[178:179]
	v_fma_f64 v[184:185], v[2:3], v[38:39], -v[40:41]
	scratch_load_b128 v[38:41], off, off offset:480
	ds_load_b128 v[2:5], v1 offset:976
	s_waitcnt vmcnt(9) lgkmcnt(1)
	v_mul_f64 v[182:183], v[170:171], v[8:9]
	v_mul_f64 v[8:9], v[172:173], v[8:9]
	s_waitcnt vmcnt(8) lgkmcnt(0)
	v_mul_f64 v[186:187], v[2:3], v[12:13]
	v_mul_f64 v[12:13], v[4:5], v[12:13]
	v_add_f64 v[168:169], v[176:177], v[168:169]
	v_add_f64 v[180:181], v[174:175], v[180:181]
	ds_load_b128 v[174:177], v1 offset:992
	v_fma_f64 v[172:173], v[172:173], v[6:7], v[182:183]
	v_fma_f64 v[170:171], v[170:171], v[6:7], -v[8:9]
	scratch_load_b128 v[6:9], off, off offset:496
	v_fma_f64 v[182:183], v[4:5], v[10:11], v[186:187]
	v_add_f64 v[168:169], v[168:169], v[184:185]
	v_add_f64 v[178:179], v[180:181], v[178:179]
	v_fma_f64 v[184:185], v[2:3], v[10:11], -v[12:13]
	scratch_load_b128 v[10:13], off, off offset:512
	ds_load_b128 v[2:5], v1 offset:1008
	s_waitcnt vmcnt(9) lgkmcnt(1)
	v_mul_f64 v[180:181], v[174:175], v[16:17]
	v_mul_f64 v[16:17], v[176:177], v[16:17]
	v_add_f64 v[186:187], v[168:169], v[170:171]
	v_add_f64 v[172:173], v[178:179], v[172:173]
	s_waitcnt vmcnt(8) lgkmcnt(0)
	v_mul_f64 v[178:179], v[2:3], v[20:21]
	v_mul_f64 v[20:21], v[4:5], v[20:21]
	ds_load_b128 v[168:171], v1 offset:1024
	v_fma_f64 v[176:177], v[176:177], v[14:15], v[180:181]
	v_fma_f64 v[174:175], v[174:175], v[14:15], -v[16:17]
	scratch_load_b128 v[14:17], off, off offset:528
	v_add_f64 v[180:181], v[186:187], v[184:185]
	v_add_f64 v[172:173], v[172:173], v[182:183]
	v_fma_f64 v[178:179], v[4:5], v[18:19], v[178:179]
	v_fma_f64 v[184:185], v[2:3], v[18:19], -v[20:21]
	scratch_load_b128 v[18:21], off, off offset:544
	ds_load_b128 v[2:5], v1 offset:1040
	s_waitcnt vmcnt(9) lgkmcnt(1)
	v_mul_f64 v[182:183], v[168:169], v[24:25]
	v_mul_f64 v[24:25], v[170:171], v[24:25]
	s_waitcnt vmcnt(8) lgkmcnt(0)
	v_mul_f64 v[186:187], v[2:3], v[28:29]
	v_mul_f64 v[28:29], v[4:5], v[28:29]
	v_add_f64 v[180:181], v[180:181], v[174:175]
	v_add_f64 v[176:177], v[172:173], v[176:177]
	ds_load_b128 v[172:175], v1 offset:1056
	v_fma_f64 v[170:171], v[170:171], v[22:23], v[182:183]
	v_fma_f64 v[168:169], v[168:169], v[22:23], -v[24:25]
	scratch_load_b128 v[22:25], off, off offset:560
	v_fma_f64 v[182:183], v[4:5], v[26:27], v[186:187]
	v_add_f64 v[180:181], v[180:181], v[184:185]
	v_add_f64 v[176:177], v[176:177], v[178:179]
	v_fma_f64 v[184:185], v[2:3], v[26:27], -v[28:29]
	scratch_load_b128 v[26:29], off, off offset:576
	ds_load_b128 v[2:5], v1 offset:1072
	s_waitcnt vmcnt(9) lgkmcnt(1)
	v_mul_f64 v[178:179], v[172:173], v[32:33]
	v_mul_f64 v[32:33], v[174:175], v[32:33]
	s_waitcnt vmcnt(8) lgkmcnt(0)
	v_mul_f64 v[186:187], v[2:3], v[36:37]
	v_mul_f64 v[36:37], v[4:5], v[36:37]
	v_add_f64 v[180:181], v[180:181], v[168:169]
	v_add_f64 v[176:177], v[176:177], v[170:171]
	ds_load_b128 v[168:171], v1 offset:1088
	v_fma_f64 v[174:175], v[174:175], v[30:31], v[178:179]
	v_fma_f64 v[172:173], v[172:173], v[30:31], -v[32:33]
	scratch_load_b128 v[30:33], off, off offset:592
	v_add_f64 v[178:179], v[180:181], v[184:185]
	v_add_f64 v[176:177], v[176:177], v[182:183]
	v_fma_f64 v[182:183], v[4:5], v[34:35], v[186:187]
	v_fma_f64 v[184:185], v[2:3], v[34:35], -v[36:37]
	scratch_load_b128 v[34:37], off, off offset:608
	ds_load_b128 v[2:5], v1 offset:1104
	s_waitcnt vmcnt(9) lgkmcnt(1)
	v_mul_f64 v[180:181], v[168:169], v[166:167]
	v_mul_f64 v[166:167], v[170:171], v[166:167]
	s_waitcnt vmcnt(8) lgkmcnt(0)
	v_mul_f64 v[186:187], v[2:3], v[40:41]
	v_mul_f64 v[40:41], v[4:5], v[40:41]
	v_add_f64 v[178:179], v[178:179], v[172:173]
	v_add_f64 v[176:177], v[176:177], v[174:175]
	ds_load_b128 v[172:175], v1 offset:1120
	v_fma_f64 v[170:171], v[170:171], v[164:165], v[180:181]
	v_fma_f64 v[164:165], v[168:169], v[164:165], -v[166:167]
	v_fma_f64 v[180:181], v[2:3], v[38:39], -v[40:41]
	v_add_f64 v[166:167], v[178:179], v[184:185]
	v_add_f64 v[168:169], v[176:177], v[182:183]
	s_waitcnt vmcnt(7) lgkmcnt(0)
	v_mul_f64 v[176:177], v[172:173], v[8:9]
	v_mul_f64 v[8:9], v[174:175], v[8:9]
	v_fma_f64 v[178:179], v[4:5], v[38:39], v[186:187]
	ds_load_b128 v[2:5], v1 offset:1136
	ds_load_b128 v[38:41], v1 offset:1152
	v_add_f64 v[164:165], v[166:167], v[164:165]
	v_add_f64 v[166:167], v[168:169], v[170:171]
	s_waitcnt vmcnt(6) lgkmcnt(1)
	v_mul_f64 v[168:169], v[2:3], v[12:13]
	v_mul_f64 v[12:13], v[4:5], v[12:13]
	v_fma_f64 v[170:171], v[174:175], v[6:7], v[176:177]
	v_fma_f64 v[6:7], v[172:173], v[6:7], -v[8:9]
	v_add_f64 v[8:9], v[164:165], v[180:181]
	v_add_f64 v[164:165], v[166:167], v[178:179]
	s_waitcnt vmcnt(5) lgkmcnt(0)
	v_mul_f64 v[166:167], v[38:39], v[16:17]
	v_mul_f64 v[16:17], v[40:41], v[16:17]
	v_fma_f64 v[168:169], v[4:5], v[10:11], v[168:169]
	v_fma_f64 v[10:11], v[2:3], v[10:11], -v[12:13]
	v_add_f64 v[12:13], v[8:9], v[6:7]
	v_add_f64 v[164:165], v[164:165], v[170:171]
	ds_load_b128 v[2:5], v1 offset:1168
	ds_load_b128 v[6:9], v1 offset:1184
	v_fma_f64 v[40:41], v[40:41], v[14:15], v[166:167]
	v_fma_f64 v[14:15], v[38:39], v[14:15], -v[16:17]
	s_waitcnt vmcnt(4) lgkmcnt(1)
	v_mul_f64 v[170:171], v[2:3], v[20:21]
	v_mul_f64 v[20:21], v[4:5], v[20:21]
	s_waitcnt vmcnt(3) lgkmcnt(0)
	v_mul_f64 v[16:17], v[6:7], v[24:25]
	v_mul_f64 v[24:25], v[8:9], v[24:25]
	v_add_f64 v[10:11], v[12:13], v[10:11]
	v_add_f64 v[12:13], v[164:165], v[168:169]
	v_fma_f64 v[38:39], v[4:5], v[18:19], v[170:171]
	v_fma_f64 v[18:19], v[2:3], v[18:19], -v[20:21]
	v_fma_f64 v[8:9], v[8:9], v[22:23], v[16:17]
	v_fma_f64 v[6:7], v[6:7], v[22:23], -v[24:25]
	v_add_f64 v[14:15], v[10:11], v[14:15]
	v_add_f64 v[20:21], v[12:13], v[40:41]
	ds_load_b128 v[2:5], v1 offset:1200
	ds_load_b128 v[10:13], v1 offset:1216
	s_waitcnt vmcnt(2) lgkmcnt(1)
	v_mul_f64 v[40:41], v[2:3], v[28:29]
	v_mul_f64 v[28:29], v[4:5], v[28:29]
	v_add_f64 v[14:15], v[14:15], v[18:19]
	v_add_f64 v[16:17], v[20:21], v[38:39]
	s_waitcnt vmcnt(1) lgkmcnt(0)
	v_mul_f64 v[18:19], v[10:11], v[32:33]
	v_mul_f64 v[20:21], v[12:13], v[32:33]
	v_fma_f64 v[22:23], v[4:5], v[26:27], v[40:41]
	v_fma_f64 v[24:25], v[2:3], v[26:27], -v[28:29]
	ds_load_b128 v[2:5], v1 offset:1232
	v_add_f64 v[6:7], v[14:15], v[6:7]
	v_add_f64 v[8:9], v[16:17], v[8:9]
	v_fma_f64 v[12:13], v[12:13], v[30:31], v[18:19]
	v_fma_f64 v[10:11], v[10:11], v[30:31], -v[20:21]
	s_waitcnt vmcnt(0) lgkmcnt(0)
	v_mul_f64 v[14:15], v[2:3], v[36:37]
	v_mul_f64 v[16:17], v[4:5], v[36:37]
	v_add_f64 v[6:7], v[6:7], v[24:25]
	v_add_f64 v[8:9], v[8:9], v[22:23]
	s_delay_alu instid0(VALU_DEP_4) | instskip(NEXT) | instid1(VALU_DEP_4)
	v_fma_f64 v[4:5], v[4:5], v[34:35], v[14:15]
	v_fma_f64 v[2:3], v[2:3], v[34:35], -v[16:17]
	s_delay_alu instid0(VALU_DEP_4) | instskip(NEXT) | instid1(VALU_DEP_4)
	v_add_f64 v[6:7], v[6:7], v[10:11]
	v_add_f64 v[8:9], v[8:9], v[12:13]
	s_delay_alu instid0(VALU_DEP_2) | instskip(NEXT) | instid1(VALU_DEP_2)
	v_add_f64 v[2:3], v[6:7], v[2:3]
	v_add_f64 v[4:5], v[8:9], v[4:5]
	s_delay_alu instid0(VALU_DEP_2) | instskip(NEXT) | instid1(VALU_DEP_2)
	v_add_f64 v[2:3], v[42:43], -v[2:3]
	v_add_f64 v[4:5], v[44:45], -v[4:5]
	scratch_store_b128 off, v[2:5], off offset:144
	v_cmpx_lt_u32_e32 8, v124
	s_cbranch_execz .LBB102_231
; %bb.230:
	scratch_load_b128 v[5:8], v156, off
	v_mov_b32_e32 v2, v1
	v_mov_b32_e32 v3, v1
	;; [unrolled: 1-line block ×3, first 2 shown]
	scratch_store_b128 off, v[1:4], off offset:128
	s_waitcnt vmcnt(0)
	ds_store_b128 v163, v[5:8]
.LBB102_231:
	s_or_b32 exec_lo, exec_lo, s2
	s_waitcnt lgkmcnt(0)
	s_waitcnt_vscnt null, 0x0
	s_barrier
	buffer_gl0_inv
	s_clause 0x8
	scratch_load_b128 v[2:5], off, off offset:144
	scratch_load_b128 v[6:9], off, off offset:160
	;; [unrolled: 1-line block ×9, first 2 shown]
	ds_load_b128 v[42:45], v1 offset:768
	ds_load_b128 v[38:41], v1 offset:784
	s_clause 0x1
	scratch_load_b128 v[164:167], off, off offset:128
	scratch_load_b128 v[168:171], off, off offset:288
	s_mov_b32 s2, exec_lo
	s_waitcnt vmcnt(10) lgkmcnt(1)
	v_mul_f64 v[172:173], v[44:45], v[4:5]
	v_mul_f64 v[4:5], v[42:43], v[4:5]
	s_waitcnt vmcnt(9) lgkmcnt(0)
	v_mul_f64 v[176:177], v[38:39], v[8:9]
	v_mul_f64 v[8:9], v[40:41], v[8:9]
	s_delay_alu instid0(VALU_DEP_4) | instskip(NEXT) | instid1(VALU_DEP_4)
	v_fma_f64 v[178:179], v[42:43], v[2:3], -v[172:173]
	v_fma_f64 v[180:181], v[44:45], v[2:3], v[4:5]
	ds_load_b128 v[2:5], v1 offset:800
	ds_load_b128 v[172:175], v1 offset:816
	scratch_load_b128 v[42:45], off, off offset:304
	v_fma_f64 v[40:41], v[40:41], v[6:7], v[176:177]
	v_fma_f64 v[38:39], v[38:39], v[6:7], -v[8:9]
	scratch_load_b128 v[6:9], off, off offset:320
	s_waitcnt vmcnt(10) lgkmcnt(1)
	v_mul_f64 v[182:183], v[2:3], v[12:13]
	v_mul_f64 v[12:13], v[4:5], v[12:13]
	v_add_f64 v[176:177], v[178:179], 0
	v_add_f64 v[178:179], v[180:181], 0
	s_waitcnt vmcnt(9) lgkmcnt(0)
	v_mul_f64 v[180:181], v[172:173], v[16:17]
	v_mul_f64 v[16:17], v[174:175], v[16:17]
	v_fma_f64 v[182:183], v[4:5], v[10:11], v[182:183]
	v_fma_f64 v[184:185], v[2:3], v[10:11], -v[12:13]
	ds_load_b128 v[2:5], v1 offset:832
	scratch_load_b128 v[10:13], off, off offset:336
	v_add_f64 v[176:177], v[176:177], v[38:39]
	v_add_f64 v[178:179], v[178:179], v[40:41]
	ds_load_b128 v[38:41], v1 offset:848
	v_fma_f64 v[174:175], v[174:175], v[14:15], v[180:181]
	v_fma_f64 v[172:173], v[172:173], v[14:15], -v[16:17]
	scratch_load_b128 v[14:17], off, off offset:352
	s_waitcnt vmcnt(10) lgkmcnt(1)
	v_mul_f64 v[186:187], v[2:3], v[20:21]
	v_mul_f64 v[20:21], v[4:5], v[20:21]
	s_waitcnt vmcnt(9) lgkmcnt(0)
	v_mul_f64 v[180:181], v[38:39], v[24:25]
	v_mul_f64 v[24:25], v[40:41], v[24:25]
	v_add_f64 v[176:177], v[176:177], v[184:185]
	v_add_f64 v[178:179], v[178:179], v[182:183]
	v_fma_f64 v[182:183], v[4:5], v[18:19], v[186:187]
	v_fma_f64 v[184:185], v[2:3], v[18:19], -v[20:21]
	ds_load_b128 v[2:5], v1 offset:864
	scratch_load_b128 v[18:21], off, off offset:368
	v_fma_f64 v[40:41], v[40:41], v[22:23], v[180:181]
	v_fma_f64 v[38:39], v[38:39], v[22:23], -v[24:25]
	scratch_load_b128 v[22:25], off, off offset:384
	v_add_f64 v[176:177], v[176:177], v[172:173]
	v_add_f64 v[178:179], v[178:179], v[174:175]
	ds_load_b128 v[172:175], v1 offset:880
	s_waitcnt vmcnt(10) lgkmcnt(1)
	v_mul_f64 v[186:187], v[2:3], v[28:29]
	v_mul_f64 v[28:29], v[4:5], v[28:29]
	s_waitcnt vmcnt(9) lgkmcnt(0)
	v_mul_f64 v[180:181], v[172:173], v[32:33]
	v_mul_f64 v[32:33], v[174:175], v[32:33]
	v_add_f64 v[176:177], v[176:177], v[184:185]
	v_add_f64 v[178:179], v[178:179], v[182:183]
	v_fma_f64 v[182:183], v[4:5], v[26:27], v[186:187]
	v_fma_f64 v[184:185], v[2:3], v[26:27], -v[28:29]
	ds_load_b128 v[2:5], v1 offset:896
	scratch_load_b128 v[26:29], off, off offset:400
	v_fma_f64 v[174:175], v[174:175], v[30:31], v[180:181]
	v_fma_f64 v[172:173], v[172:173], v[30:31], -v[32:33]
	scratch_load_b128 v[30:33], off, off offset:416
	v_add_f64 v[176:177], v[176:177], v[38:39]
	v_add_f64 v[178:179], v[178:179], v[40:41]
	ds_load_b128 v[38:41], v1 offset:912
	s_waitcnt vmcnt(10) lgkmcnt(1)
	v_mul_f64 v[186:187], v[2:3], v[36:37]
	v_mul_f64 v[36:37], v[4:5], v[36:37]
	s_waitcnt vmcnt(8) lgkmcnt(0)
	v_mul_f64 v[180:181], v[38:39], v[170:171]
	v_add_f64 v[176:177], v[176:177], v[184:185]
	v_add_f64 v[178:179], v[178:179], v[182:183]
	v_mul_f64 v[182:183], v[40:41], v[170:171]
	v_fma_f64 v[184:185], v[4:5], v[34:35], v[186:187]
	v_fma_f64 v[186:187], v[2:3], v[34:35], -v[36:37]
	ds_load_b128 v[2:5], v1 offset:928
	scratch_load_b128 v[34:37], off, off offset:432
	v_fma_f64 v[180:181], v[40:41], v[168:169], v[180:181]
	v_add_f64 v[176:177], v[176:177], v[172:173]
	v_add_f64 v[174:175], v[178:179], v[174:175]
	ds_load_b128 v[170:173], v1 offset:944
	v_fma_f64 v[168:169], v[38:39], v[168:169], -v[182:183]
	scratch_load_b128 v[38:41], off, off offset:448
	s_waitcnt vmcnt(9) lgkmcnt(1)
	v_mul_f64 v[178:179], v[2:3], v[44:45]
	v_mul_f64 v[44:45], v[4:5], v[44:45]
	s_waitcnt vmcnt(8) lgkmcnt(0)
	v_mul_f64 v[182:183], v[170:171], v[8:9]
	v_mul_f64 v[8:9], v[172:173], v[8:9]
	v_add_f64 v[176:177], v[176:177], v[186:187]
	v_add_f64 v[174:175], v[174:175], v[184:185]
	v_fma_f64 v[178:179], v[4:5], v[42:43], v[178:179]
	v_fma_f64 v[184:185], v[2:3], v[42:43], -v[44:45]
	ds_load_b128 v[2:5], v1 offset:960
	scratch_load_b128 v[42:45], off, off offset:464
	v_fma_f64 v[172:173], v[172:173], v[6:7], v[182:183]
	v_fma_f64 v[170:171], v[170:171], v[6:7], -v[8:9]
	scratch_load_b128 v[6:9], off, off offset:480
	v_add_f64 v[168:169], v[176:177], v[168:169]
	v_add_f64 v[180:181], v[174:175], v[180:181]
	ds_load_b128 v[174:177], v1 offset:976
	s_waitcnt vmcnt(9) lgkmcnt(1)
	v_mul_f64 v[186:187], v[2:3], v[12:13]
	v_mul_f64 v[12:13], v[4:5], v[12:13]
	v_add_f64 v[168:169], v[168:169], v[184:185]
	v_add_f64 v[178:179], v[180:181], v[178:179]
	s_waitcnt vmcnt(8) lgkmcnt(0)
	v_mul_f64 v[180:181], v[174:175], v[16:17]
	v_mul_f64 v[16:17], v[176:177], v[16:17]
	v_fma_f64 v[182:183], v[4:5], v[10:11], v[186:187]
	v_fma_f64 v[184:185], v[2:3], v[10:11], -v[12:13]
	ds_load_b128 v[2:5], v1 offset:992
	scratch_load_b128 v[10:13], off, off offset:496
	v_add_f64 v[186:187], v[168:169], v[170:171]
	v_add_f64 v[172:173], v[178:179], v[172:173]
	ds_load_b128 v[168:171], v1 offset:1008
	s_waitcnt vmcnt(8) lgkmcnt(1)
	v_mul_f64 v[178:179], v[2:3], v[20:21]
	v_mul_f64 v[20:21], v[4:5], v[20:21]
	v_fma_f64 v[176:177], v[176:177], v[14:15], v[180:181]
	v_fma_f64 v[174:175], v[174:175], v[14:15], -v[16:17]
	scratch_load_b128 v[14:17], off, off offset:512
	v_add_f64 v[180:181], v[186:187], v[184:185]
	v_add_f64 v[172:173], v[172:173], v[182:183]
	s_waitcnt vmcnt(8) lgkmcnt(0)
	v_mul_f64 v[182:183], v[168:169], v[24:25]
	v_mul_f64 v[24:25], v[170:171], v[24:25]
	v_fma_f64 v[178:179], v[4:5], v[18:19], v[178:179]
	v_fma_f64 v[184:185], v[2:3], v[18:19], -v[20:21]
	ds_load_b128 v[2:5], v1 offset:1024
	scratch_load_b128 v[18:21], off, off offset:528
	v_add_f64 v[180:181], v[180:181], v[174:175]
	v_add_f64 v[176:177], v[172:173], v[176:177]
	ds_load_b128 v[172:175], v1 offset:1040
	s_waitcnt vmcnt(8) lgkmcnt(1)
	v_mul_f64 v[186:187], v[2:3], v[28:29]
	v_mul_f64 v[28:29], v[4:5], v[28:29]
	v_fma_f64 v[170:171], v[170:171], v[22:23], v[182:183]
	v_fma_f64 v[168:169], v[168:169], v[22:23], -v[24:25]
	scratch_load_b128 v[22:25], off, off offset:544
	;; [unrolled: 18-line block ×4, first 2 shown]
	s_waitcnt vmcnt(8) lgkmcnt(0)
	v_mul_f64 v[180:181], v[172:173], v[8:9]
	v_mul_f64 v[8:9], v[174:175], v[8:9]
	v_add_f64 v[178:179], v[178:179], v[184:185]
	v_add_f64 v[176:177], v[176:177], v[182:183]
	v_fma_f64 v[182:183], v[4:5], v[42:43], v[186:187]
	v_fma_f64 v[184:185], v[2:3], v[42:43], -v[44:45]
	ds_load_b128 v[2:5], v1 offset:1120
	ds_load_b128 v[42:45], v1 offset:1136
	v_fma_f64 v[174:175], v[174:175], v[6:7], v[180:181]
	v_fma_f64 v[6:7], v[172:173], v[6:7], -v[8:9]
	v_add_f64 v[168:169], v[178:179], v[168:169]
	v_add_f64 v[170:171], v[176:177], v[170:171]
	s_waitcnt vmcnt(7) lgkmcnt(1)
	v_mul_f64 v[176:177], v[2:3], v[12:13]
	v_mul_f64 v[12:13], v[4:5], v[12:13]
	s_delay_alu instid0(VALU_DEP_4) | instskip(NEXT) | instid1(VALU_DEP_4)
	v_add_f64 v[8:9], v[168:169], v[184:185]
	v_add_f64 v[168:169], v[170:171], v[182:183]
	s_waitcnt vmcnt(6) lgkmcnt(0)
	v_mul_f64 v[170:171], v[42:43], v[16:17]
	v_mul_f64 v[16:17], v[44:45], v[16:17]
	v_fma_f64 v[172:173], v[4:5], v[10:11], v[176:177]
	v_fma_f64 v[10:11], v[2:3], v[10:11], -v[12:13]
	v_add_f64 v[12:13], v[8:9], v[6:7]
	v_add_f64 v[168:169], v[168:169], v[174:175]
	ds_load_b128 v[2:5], v1 offset:1152
	ds_load_b128 v[6:9], v1 offset:1168
	v_fma_f64 v[44:45], v[44:45], v[14:15], v[170:171]
	v_fma_f64 v[14:15], v[42:43], v[14:15], -v[16:17]
	s_waitcnt vmcnt(5) lgkmcnt(1)
	v_mul_f64 v[174:175], v[2:3], v[20:21]
	v_mul_f64 v[20:21], v[4:5], v[20:21]
	s_waitcnt vmcnt(4) lgkmcnt(0)
	v_mul_f64 v[16:17], v[6:7], v[24:25]
	v_mul_f64 v[24:25], v[8:9], v[24:25]
	v_add_f64 v[10:11], v[12:13], v[10:11]
	v_add_f64 v[12:13], v[168:169], v[172:173]
	v_fma_f64 v[42:43], v[4:5], v[18:19], v[174:175]
	v_fma_f64 v[18:19], v[2:3], v[18:19], -v[20:21]
	v_fma_f64 v[8:9], v[8:9], v[22:23], v[16:17]
	v_fma_f64 v[6:7], v[6:7], v[22:23], -v[24:25]
	v_add_f64 v[14:15], v[10:11], v[14:15]
	v_add_f64 v[20:21], v[12:13], v[44:45]
	ds_load_b128 v[2:5], v1 offset:1184
	ds_load_b128 v[10:13], v1 offset:1200
	s_waitcnt vmcnt(3) lgkmcnt(1)
	v_mul_f64 v[44:45], v[2:3], v[28:29]
	v_mul_f64 v[28:29], v[4:5], v[28:29]
	v_add_f64 v[14:15], v[14:15], v[18:19]
	v_add_f64 v[16:17], v[20:21], v[42:43]
	s_waitcnt vmcnt(2) lgkmcnt(0)
	v_mul_f64 v[18:19], v[10:11], v[32:33]
	v_mul_f64 v[20:21], v[12:13], v[32:33]
	v_fma_f64 v[22:23], v[4:5], v[26:27], v[44:45]
	v_fma_f64 v[24:25], v[2:3], v[26:27], -v[28:29]
	v_add_f64 v[14:15], v[14:15], v[6:7]
	v_add_f64 v[16:17], v[16:17], v[8:9]
	ds_load_b128 v[2:5], v1 offset:1216
	ds_load_b128 v[6:9], v1 offset:1232
	v_fma_f64 v[12:13], v[12:13], v[30:31], v[18:19]
	v_fma_f64 v[10:11], v[10:11], v[30:31], -v[20:21]
	s_waitcnt vmcnt(1) lgkmcnt(1)
	v_mul_f64 v[26:27], v[2:3], v[36:37]
	v_mul_f64 v[28:29], v[4:5], v[36:37]
	s_waitcnt vmcnt(0) lgkmcnt(0)
	v_mul_f64 v[18:19], v[6:7], v[40:41]
	v_mul_f64 v[20:21], v[8:9], v[40:41]
	v_add_f64 v[14:15], v[14:15], v[24:25]
	v_add_f64 v[16:17], v[16:17], v[22:23]
	v_fma_f64 v[4:5], v[4:5], v[34:35], v[26:27]
	v_fma_f64 v[1:2], v[2:3], v[34:35], -v[28:29]
	v_fma_f64 v[8:9], v[8:9], v[38:39], v[18:19]
	v_fma_f64 v[6:7], v[6:7], v[38:39], -v[20:21]
	v_add_f64 v[10:11], v[14:15], v[10:11]
	v_add_f64 v[12:13], v[16:17], v[12:13]
	s_delay_alu instid0(VALU_DEP_2) | instskip(NEXT) | instid1(VALU_DEP_2)
	v_add_f64 v[1:2], v[10:11], v[1:2]
	v_add_f64 v[3:4], v[12:13], v[4:5]
	s_delay_alu instid0(VALU_DEP_2) | instskip(NEXT) | instid1(VALU_DEP_2)
	;; [unrolled: 3-line block ×3, first 2 shown]
	v_add_f64 v[1:2], v[164:165], -v[1:2]
	v_add_f64 v[3:4], v[166:167], -v[3:4]
	scratch_store_b128 off, v[1:4], off offset:128
	v_cmpx_lt_u32_e32 7, v124
	s_cbranch_execz .LBB102_233
; %bb.232:
	scratch_load_b128 v[1:4], v159, off
	v_mov_b32_e32 v5, 0
	s_delay_alu instid0(VALU_DEP_1)
	v_mov_b32_e32 v6, v5
	v_mov_b32_e32 v7, v5
	;; [unrolled: 1-line block ×3, first 2 shown]
	scratch_store_b128 off, v[5:8], off offset:112
	s_waitcnt vmcnt(0)
	ds_store_b128 v163, v[1:4]
.LBB102_233:
	s_or_b32 exec_lo, exec_lo, s2
	s_waitcnt lgkmcnt(0)
	s_waitcnt_vscnt null, 0x0
	s_barrier
	buffer_gl0_inv
	s_clause 0x7
	scratch_load_b128 v[2:5], off, off offset:128
	scratch_load_b128 v[6:9], off, off offset:144
	;; [unrolled: 1-line block ×8, first 2 shown]
	v_mov_b32_e32 v1, 0
	s_mov_b32 s2, exec_lo
	ds_load_b128 v[38:41], v1 offset:752
	s_clause 0x1
	scratch_load_b128 v[34:37], off, off offset:256
	scratch_load_b128 v[42:45], off, off offset:112
	ds_load_b128 v[164:167], v1 offset:768
	scratch_load_b128 v[168:171], off, off offset:272
	s_waitcnt vmcnt(10) lgkmcnt(1)
	v_mul_f64 v[172:173], v[40:41], v[4:5]
	v_mul_f64 v[4:5], v[38:39], v[4:5]
	s_delay_alu instid0(VALU_DEP_2) | instskip(NEXT) | instid1(VALU_DEP_2)
	v_fma_f64 v[178:179], v[38:39], v[2:3], -v[172:173]
	v_fma_f64 v[180:181], v[40:41], v[2:3], v[4:5]
	scratch_load_b128 v[38:41], off, off offset:288
	ds_load_b128 v[2:5], v1 offset:784
	s_waitcnt vmcnt(10) lgkmcnt(1)
	v_mul_f64 v[176:177], v[164:165], v[8:9]
	v_mul_f64 v[8:9], v[166:167], v[8:9]
	ds_load_b128 v[172:175], v1 offset:800
	s_waitcnt vmcnt(9) lgkmcnt(1)
	v_mul_f64 v[182:183], v[2:3], v[12:13]
	v_mul_f64 v[12:13], v[4:5], v[12:13]
	v_fma_f64 v[166:167], v[166:167], v[6:7], v[176:177]
	v_fma_f64 v[164:165], v[164:165], v[6:7], -v[8:9]
	v_add_f64 v[176:177], v[178:179], 0
	v_add_f64 v[178:179], v[180:181], 0
	scratch_load_b128 v[6:9], off, off offset:304
	v_fma_f64 v[182:183], v[4:5], v[10:11], v[182:183]
	v_fma_f64 v[184:185], v[2:3], v[10:11], -v[12:13]
	scratch_load_b128 v[10:13], off, off offset:320
	ds_load_b128 v[2:5], v1 offset:816
	s_waitcnt vmcnt(10) lgkmcnt(1)
	v_mul_f64 v[180:181], v[172:173], v[16:17]
	v_mul_f64 v[16:17], v[174:175], v[16:17]
	v_add_f64 v[176:177], v[176:177], v[164:165]
	v_add_f64 v[178:179], v[178:179], v[166:167]
	s_waitcnt vmcnt(9) lgkmcnt(0)
	v_mul_f64 v[186:187], v[2:3], v[20:21]
	v_mul_f64 v[20:21], v[4:5], v[20:21]
	ds_load_b128 v[164:167], v1 offset:832
	v_fma_f64 v[174:175], v[174:175], v[14:15], v[180:181]
	v_fma_f64 v[172:173], v[172:173], v[14:15], -v[16:17]
	scratch_load_b128 v[14:17], off, off offset:336
	v_add_f64 v[176:177], v[176:177], v[184:185]
	v_add_f64 v[178:179], v[178:179], v[182:183]
	v_fma_f64 v[182:183], v[4:5], v[18:19], v[186:187]
	v_fma_f64 v[184:185], v[2:3], v[18:19], -v[20:21]
	scratch_load_b128 v[18:21], off, off offset:352
	ds_load_b128 v[2:5], v1 offset:848
	s_waitcnt vmcnt(10) lgkmcnt(1)
	v_mul_f64 v[180:181], v[164:165], v[24:25]
	v_mul_f64 v[24:25], v[166:167], v[24:25]
	s_waitcnt vmcnt(9) lgkmcnt(0)
	v_mul_f64 v[186:187], v[2:3], v[28:29]
	v_mul_f64 v[28:29], v[4:5], v[28:29]
	v_add_f64 v[176:177], v[176:177], v[172:173]
	v_add_f64 v[178:179], v[178:179], v[174:175]
	ds_load_b128 v[172:175], v1 offset:864
	v_fma_f64 v[166:167], v[166:167], v[22:23], v[180:181]
	v_fma_f64 v[164:165], v[164:165], v[22:23], -v[24:25]
	scratch_load_b128 v[22:25], off, off offset:368
	v_add_f64 v[176:177], v[176:177], v[184:185]
	v_add_f64 v[178:179], v[178:179], v[182:183]
	v_fma_f64 v[182:183], v[4:5], v[26:27], v[186:187]
	v_fma_f64 v[184:185], v[2:3], v[26:27], -v[28:29]
	scratch_load_b128 v[26:29], off, off offset:384
	ds_load_b128 v[2:5], v1 offset:880
	s_waitcnt vmcnt(10) lgkmcnt(1)
	v_mul_f64 v[180:181], v[172:173], v[32:33]
	v_mul_f64 v[32:33], v[174:175], v[32:33]
	s_waitcnt vmcnt(9) lgkmcnt(0)
	v_mul_f64 v[186:187], v[2:3], v[36:37]
	v_mul_f64 v[36:37], v[4:5], v[36:37]
	v_add_f64 v[176:177], v[176:177], v[164:165]
	v_add_f64 v[178:179], v[178:179], v[166:167]
	ds_load_b128 v[164:167], v1 offset:896
	v_fma_f64 v[174:175], v[174:175], v[30:31], v[180:181]
	v_fma_f64 v[172:173], v[172:173], v[30:31], -v[32:33]
	scratch_load_b128 v[30:33], off, off offset:400
	v_add_f64 v[176:177], v[176:177], v[184:185]
	v_add_f64 v[178:179], v[178:179], v[182:183]
	v_fma_f64 v[184:185], v[4:5], v[34:35], v[186:187]
	v_fma_f64 v[186:187], v[2:3], v[34:35], -v[36:37]
	scratch_load_b128 v[34:37], off, off offset:416
	ds_load_b128 v[2:5], v1 offset:912
	s_waitcnt vmcnt(9) lgkmcnt(1)
	v_mul_f64 v[180:181], v[164:165], v[170:171]
	v_mul_f64 v[182:183], v[166:167], v[170:171]
	v_add_f64 v[176:177], v[176:177], v[172:173]
	v_add_f64 v[174:175], v[178:179], v[174:175]
	ds_load_b128 v[170:173], v1 offset:928
	v_fma_f64 v[180:181], v[166:167], v[168:169], v[180:181]
	v_fma_f64 v[168:169], v[164:165], v[168:169], -v[182:183]
	scratch_load_b128 v[164:167], off, off offset:432
	s_waitcnt vmcnt(9) lgkmcnt(1)
	v_mul_f64 v[178:179], v[2:3], v[40:41]
	v_mul_f64 v[40:41], v[4:5], v[40:41]
	v_add_f64 v[176:177], v[176:177], v[186:187]
	v_add_f64 v[174:175], v[174:175], v[184:185]
	s_delay_alu instid0(VALU_DEP_4) | instskip(NEXT) | instid1(VALU_DEP_4)
	v_fma_f64 v[178:179], v[4:5], v[38:39], v[178:179]
	v_fma_f64 v[184:185], v[2:3], v[38:39], -v[40:41]
	scratch_load_b128 v[38:41], off, off offset:448
	ds_load_b128 v[2:5], v1 offset:944
	s_waitcnt vmcnt(9) lgkmcnt(1)
	v_mul_f64 v[182:183], v[170:171], v[8:9]
	v_mul_f64 v[8:9], v[172:173], v[8:9]
	s_waitcnt vmcnt(8) lgkmcnt(0)
	v_mul_f64 v[186:187], v[2:3], v[12:13]
	v_mul_f64 v[12:13], v[4:5], v[12:13]
	v_add_f64 v[168:169], v[176:177], v[168:169]
	v_add_f64 v[180:181], v[174:175], v[180:181]
	ds_load_b128 v[174:177], v1 offset:960
	v_fma_f64 v[172:173], v[172:173], v[6:7], v[182:183]
	v_fma_f64 v[170:171], v[170:171], v[6:7], -v[8:9]
	scratch_load_b128 v[6:9], off, off offset:464
	v_fma_f64 v[182:183], v[4:5], v[10:11], v[186:187]
	v_add_f64 v[168:169], v[168:169], v[184:185]
	v_add_f64 v[178:179], v[180:181], v[178:179]
	v_fma_f64 v[184:185], v[2:3], v[10:11], -v[12:13]
	scratch_load_b128 v[10:13], off, off offset:480
	ds_load_b128 v[2:5], v1 offset:976
	s_waitcnt vmcnt(9) lgkmcnt(1)
	v_mul_f64 v[180:181], v[174:175], v[16:17]
	v_mul_f64 v[16:17], v[176:177], v[16:17]
	v_add_f64 v[186:187], v[168:169], v[170:171]
	v_add_f64 v[172:173], v[178:179], v[172:173]
	s_waitcnt vmcnt(8) lgkmcnt(0)
	v_mul_f64 v[178:179], v[2:3], v[20:21]
	v_mul_f64 v[20:21], v[4:5], v[20:21]
	ds_load_b128 v[168:171], v1 offset:992
	v_fma_f64 v[176:177], v[176:177], v[14:15], v[180:181]
	v_fma_f64 v[174:175], v[174:175], v[14:15], -v[16:17]
	scratch_load_b128 v[14:17], off, off offset:496
	v_add_f64 v[180:181], v[186:187], v[184:185]
	v_add_f64 v[172:173], v[172:173], v[182:183]
	v_fma_f64 v[178:179], v[4:5], v[18:19], v[178:179]
	v_fma_f64 v[184:185], v[2:3], v[18:19], -v[20:21]
	scratch_load_b128 v[18:21], off, off offset:512
	ds_load_b128 v[2:5], v1 offset:1008
	s_waitcnt vmcnt(9) lgkmcnt(1)
	v_mul_f64 v[182:183], v[168:169], v[24:25]
	v_mul_f64 v[24:25], v[170:171], v[24:25]
	s_waitcnt vmcnt(8) lgkmcnt(0)
	v_mul_f64 v[186:187], v[2:3], v[28:29]
	v_mul_f64 v[28:29], v[4:5], v[28:29]
	v_add_f64 v[180:181], v[180:181], v[174:175]
	v_add_f64 v[176:177], v[172:173], v[176:177]
	ds_load_b128 v[172:175], v1 offset:1024
	v_fma_f64 v[170:171], v[170:171], v[22:23], v[182:183]
	v_fma_f64 v[168:169], v[168:169], v[22:23], -v[24:25]
	scratch_load_b128 v[22:25], off, off offset:528
	v_fma_f64 v[182:183], v[4:5], v[26:27], v[186:187]
	v_add_f64 v[180:181], v[180:181], v[184:185]
	v_add_f64 v[176:177], v[176:177], v[178:179]
	v_fma_f64 v[184:185], v[2:3], v[26:27], -v[28:29]
	scratch_load_b128 v[26:29], off, off offset:544
	ds_load_b128 v[2:5], v1 offset:1040
	s_waitcnt vmcnt(9) lgkmcnt(1)
	v_mul_f64 v[178:179], v[172:173], v[32:33]
	v_mul_f64 v[32:33], v[174:175], v[32:33]
	s_waitcnt vmcnt(8) lgkmcnt(0)
	v_mul_f64 v[186:187], v[2:3], v[36:37]
	v_mul_f64 v[36:37], v[4:5], v[36:37]
	v_add_f64 v[180:181], v[180:181], v[168:169]
	v_add_f64 v[176:177], v[176:177], v[170:171]
	ds_load_b128 v[168:171], v1 offset:1056
	v_fma_f64 v[174:175], v[174:175], v[30:31], v[178:179]
	v_fma_f64 v[172:173], v[172:173], v[30:31], -v[32:33]
	scratch_load_b128 v[30:33], off, off offset:560
	v_add_f64 v[178:179], v[180:181], v[184:185]
	v_add_f64 v[176:177], v[176:177], v[182:183]
	v_fma_f64 v[182:183], v[4:5], v[34:35], v[186:187]
	v_fma_f64 v[184:185], v[2:3], v[34:35], -v[36:37]
	scratch_load_b128 v[34:37], off, off offset:576
	ds_load_b128 v[2:5], v1 offset:1072
	s_waitcnt vmcnt(9) lgkmcnt(1)
	v_mul_f64 v[180:181], v[168:169], v[166:167]
	v_mul_f64 v[166:167], v[170:171], v[166:167]
	s_waitcnt vmcnt(8) lgkmcnt(0)
	v_mul_f64 v[186:187], v[2:3], v[40:41]
	v_mul_f64 v[40:41], v[4:5], v[40:41]
	v_add_f64 v[178:179], v[178:179], v[172:173]
	v_add_f64 v[176:177], v[176:177], v[174:175]
	ds_load_b128 v[172:175], v1 offset:1088
	v_fma_f64 v[170:171], v[170:171], v[164:165], v[180:181]
	v_fma_f64 v[168:169], v[168:169], v[164:165], -v[166:167]
	scratch_load_b128 v[164:167], off, off offset:592
	v_add_f64 v[178:179], v[178:179], v[184:185]
	v_add_f64 v[176:177], v[176:177], v[182:183]
	v_fma_f64 v[182:183], v[4:5], v[38:39], v[186:187]
	v_fma_f64 v[184:185], v[2:3], v[38:39], -v[40:41]
	scratch_load_b128 v[38:41], off, off offset:608
	ds_load_b128 v[2:5], v1 offset:1104
	s_waitcnt vmcnt(9) lgkmcnt(1)
	v_mul_f64 v[180:181], v[172:173], v[8:9]
	v_mul_f64 v[8:9], v[174:175], v[8:9]
	s_waitcnt vmcnt(8) lgkmcnt(0)
	v_mul_f64 v[186:187], v[2:3], v[12:13]
	v_mul_f64 v[12:13], v[4:5], v[12:13]
	v_add_f64 v[178:179], v[178:179], v[168:169]
	v_add_f64 v[176:177], v[176:177], v[170:171]
	ds_load_b128 v[168:171], v1 offset:1120
	v_fma_f64 v[174:175], v[174:175], v[6:7], v[180:181]
	v_fma_f64 v[6:7], v[172:173], v[6:7], -v[8:9]
	v_add_f64 v[8:9], v[178:179], v[184:185]
	v_add_f64 v[172:173], v[176:177], v[182:183]
	s_waitcnt vmcnt(7) lgkmcnt(0)
	v_mul_f64 v[176:177], v[168:169], v[16:17]
	v_mul_f64 v[16:17], v[170:171], v[16:17]
	v_fma_f64 v[178:179], v[4:5], v[10:11], v[186:187]
	v_fma_f64 v[10:11], v[2:3], v[10:11], -v[12:13]
	v_add_f64 v[12:13], v[8:9], v[6:7]
	v_add_f64 v[172:173], v[172:173], v[174:175]
	ds_load_b128 v[2:5], v1 offset:1136
	ds_load_b128 v[6:9], v1 offset:1152
	v_fma_f64 v[170:171], v[170:171], v[14:15], v[176:177]
	v_fma_f64 v[14:15], v[168:169], v[14:15], -v[16:17]
	s_waitcnt vmcnt(6) lgkmcnt(1)
	v_mul_f64 v[174:175], v[2:3], v[20:21]
	v_mul_f64 v[20:21], v[4:5], v[20:21]
	s_waitcnt vmcnt(5) lgkmcnt(0)
	v_mul_f64 v[16:17], v[6:7], v[24:25]
	v_mul_f64 v[24:25], v[8:9], v[24:25]
	v_add_f64 v[10:11], v[12:13], v[10:11]
	v_add_f64 v[12:13], v[172:173], v[178:179]
	v_fma_f64 v[168:169], v[4:5], v[18:19], v[174:175]
	v_fma_f64 v[18:19], v[2:3], v[18:19], -v[20:21]
	v_fma_f64 v[8:9], v[8:9], v[22:23], v[16:17]
	v_fma_f64 v[6:7], v[6:7], v[22:23], -v[24:25]
	v_add_f64 v[14:15], v[10:11], v[14:15]
	v_add_f64 v[20:21], v[12:13], v[170:171]
	ds_load_b128 v[2:5], v1 offset:1168
	ds_load_b128 v[10:13], v1 offset:1184
	s_waitcnt vmcnt(4) lgkmcnt(1)
	v_mul_f64 v[170:171], v[2:3], v[28:29]
	v_mul_f64 v[28:29], v[4:5], v[28:29]
	v_add_f64 v[14:15], v[14:15], v[18:19]
	v_add_f64 v[16:17], v[20:21], v[168:169]
	s_waitcnt vmcnt(3) lgkmcnt(0)
	v_mul_f64 v[18:19], v[10:11], v[32:33]
	v_mul_f64 v[20:21], v[12:13], v[32:33]
	v_fma_f64 v[22:23], v[4:5], v[26:27], v[170:171]
	v_fma_f64 v[24:25], v[2:3], v[26:27], -v[28:29]
	v_add_f64 v[14:15], v[14:15], v[6:7]
	v_add_f64 v[16:17], v[16:17], v[8:9]
	ds_load_b128 v[2:5], v1 offset:1200
	ds_load_b128 v[6:9], v1 offset:1216
	v_fma_f64 v[12:13], v[12:13], v[30:31], v[18:19]
	v_fma_f64 v[10:11], v[10:11], v[30:31], -v[20:21]
	s_waitcnt vmcnt(2) lgkmcnt(1)
	v_mul_f64 v[26:27], v[2:3], v[36:37]
	v_mul_f64 v[28:29], v[4:5], v[36:37]
	s_waitcnt vmcnt(1) lgkmcnt(0)
	v_mul_f64 v[18:19], v[6:7], v[166:167]
	v_mul_f64 v[20:21], v[8:9], v[166:167]
	v_add_f64 v[14:15], v[14:15], v[24:25]
	v_add_f64 v[16:17], v[16:17], v[22:23]
	v_fma_f64 v[22:23], v[4:5], v[34:35], v[26:27]
	v_fma_f64 v[24:25], v[2:3], v[34:35], -v[28:29]
	ds_load_b128 v[2:5], v1 offset:1232
	v_fma_f64 v[8:9], v[8:9], v[164:165], v[18:19]
	v_fma_f64 v[6:7], v[6:7], v[164:165], -v[20:21]
	v_add_f64 v[10:11], v[14:15], v[10:11]
	v_add_f64 v[12:13], v[16:17], v[12:13]
	s_waitcnt vmcnt(0) lgkmcnt(0)
	v_mul_f64 v[14:15], v[2:3], v[40:41]
	v_mul_f64 v[16:17], v[4:5], v[40:41]
	s_delay_alu instid0(VALU_DEP_4) | instskip(NEXT) | instid1(VALU_DEP_4)
	v_add_f64 v[10:11], v[10:11], v[24:25]
	v_add_f64 v[12:13], v[12:13], v[22:23]
	s_delay_alu instid0(VALU_DEP_4) | instskip(NEXT) | instid1(VALU_DEP_4)
	v_fma_f64 v[4:5], v[4:5], v[38:39], v[14:15]
	v_fma_f64 v[2:3], v[2:3], v[38:39], -v[16:17]
	s_delay_alu instid0(VALU_DEP_4) | instskip(NEXT) | instid1(VALU_DEP_4)
	v_add_f64 v[6:7], v[10:11], v[6:7]
	v_add_f64 v[8:9], v[12:13], v[8:9]
	s_delay_alu instid0(VALU_DEP_2) | instskip(NEXT) | instid1(VALU_DEP_2)
	v_add_f64 v[2:3], v[6:7], v[2:3]
	v_add_f64 v[4:5], v[8:9], v[4:5]
	s_delay_alu instid0(VALU_DEP_2) | instskip(NEXT) | instid1(VALU_DEP_2)
	v_add_f64 v[2:3], v[42:43], -v[2:3]
	v_add_f64 v[4:5], v[44:45], -v[4:5]
	scratch_store_b128 off, v[2:5], off offset:112
	v_cmpx_lt_u32_e32 6, v124
	s_cbranch_execz .LBB102_235
; %bb.234:
	scratch_load_b128 v[5:8], v161, off
	v_mov_b32_e32 v2, v1
	v_mov_b32_e32 v3, v1
	;; [unrolled: 1-line block ×3, first 2 shown]
	scratch_store_b128 off, v[1:4], off offset:96
	s_waitcnt vmcnt(0)
	ds_store_b128 v163, v[5:8]
.LBB102_235:
	s_or_b32 exec_lo, exec_lo, s2
	s_waitcnt lgkmcnt(0)
	s_waitcnt_vscnt null, 0x0
	s_barrier
	buffer_gl0_inv
	s_clause 0x8
	scratch_load_b128 v[2:5], off, off offset:112
	scratch_load_b128 v[6:9], off, off offset:128
	;; [unrolled: 1-line block ×9, first 2 shown]
	ds_load_b128 v[42:45], v1 offset:736
	ds_load_b128 v[38:41], v1 offset:752
	s_clause 0x1
	scratch_load_b128 v[164:167], off, off offset:96
	scratch_load_b128 v[168:171], off, off offset:256
	s_mov_b32 s2, exec_lo
	s_waitcnt vmcnt(10) lgkmcnt(1)
	v_mul_f64 v[172:173], v[44:45], v[4:5]
	v_mul_f64 v[4:5], v[42:43], v[4:5]
	s_waitcnt vmcnt(9) lgkmcnt(0)
	v_mul_f64 v[176:177], v[38:39], v[8:9]
	v_mul_f64 v[8:9], v[40:41], v[8:9]
	s_delay_alu instid0(VALU_DEP_4) | instskip(NEXT) | instid1(VALU_DEP_4)
	v_fma_f64 v[178:179], v[42:43], v[2:3], -v[172:173]
	v_fma_f64 v[180:181], v[44:45], v[2:3], v[4:5]
	ds_load_b128 v[2:5], v1 offset:768
	ds_load_b128 v[172:175], v1 offset:784
	scratch_load_b128 v[42:45], off, off offset:272
	v_fma_f64 v[40:41], v[40:41], v[6:7], v[176:177]
	v_fma_f64 v[38:39], v[38:39], v[6:7], -v[8:9]
	scratch_load_b128 v[6:9], off, off offset:288
	s_waitcnt vmcnt(10) lgkmcnt(1)
	v_mul_f64 v[182:183], v[2:3], v[12:13]
	v_mul_f64 v[12:13], v[4:5], v[12:13]
	v_add_f64 v[176:177], v[178:179], 0
	v_add_f64 v[178:179], v[180:181], 0
	s_waitcnt vmcnt(9) lgkmcnt(0)
	v_mul_f64 v[180:181], v[172:173], v[16:17]
	v_mul_f64 v[16:17], v[174:175], v[16:17]
	v_fma_f64 v[182:183], v[4:5], v[10:11], v[182:183]
	v_fma_f64 v[184:185], v[2:3], v[10:11], -v[12:13]
	ds_load_b128 v[2:5], v1 offset:800
	scratch_load_b128 v[10:13], off, off offset:304
	v_add_f64 v[176:177], v[176:177], v[38:39]
	v_add_f64 v[178:179], v[178:179], v[40:41]
	ds_load_b128 v[38:41], v1 offset:816
	v_fma_f64 v[174:175], v[174:175], v[14:15], v[180:181]
	v_fma_f64 v[172:173], v[172:173], v[14:15], -v[16:17]
	scratch_load_b128 v[14:17], off, off offset:320
	s_waitcnt vmcnt(10) lgkmcnt(1)
	v_mul_f64 v[186:187], v[2:3], v[20:21]
	v_mul_f64 v[20:21], v[4:5], v[20:21]
	s_waitcnt vmcnt(9) lgkmcnt(0)
	v_mul_f64 v[180:181], v[38:39], v[24:25]
	v_mul_f64 v[24:25], v[40:41], v[24:25]
	v_add_f64 v[176:177], v[176:177], v[184:185]
	v_add_f64 v[178:179], v[178:179], v[182:183]
	v_fma_f64 v[182:183], v[4:5], v[18:19], v[186:187]
	v_fma_f64 v[184:185], v[2:3], v[18:19], -v[20:21]
	ds_load_b128 v[2:5], v1 offset:832
	scratch_load_b128 v[18:21], off, off offset:336
	v_fma_f64 v[40:41], v[40:41], v[22:23], v[180:181]
	v_fma_f64 v[38:39], v[38:39], v[22:23], -v[24:25]
	scratch_load_b128 v[22:25], off, off offset:352
	v_add_f64 v[176:177], v[176:177], v[172:173]
	v_add_f64 v[178:179], v[178:179], v[174:175]
	ds_load_b128 v[172:175], v1 offset:848
	s_waitcnt vmcnt(10) lgkmcnt(1)
	v_mul_f64 v[186:187], v[2:3], v[28:29]
	v_mul_f64 v[28:29], v[4:5], v[28:29]
	s_waitcnt vmcnt(9) lgkmcnt(0)
	v_mul_f64 v[180:181], v[172:173], v[32:33]
	v_mul_f64 v[32:33], v[174:175], v[32:33]
	v_add_f64 v[176:177], v[176:177], v[184:185]
	v_add_f64 v[178:179], v[178:179], v[182:183]
	v_fma_f64 v[182:183], v[4:5], v[26:27], v[186:187]
	v_fma_f64 v[184:185], v[2:3], v[26:27], -v[28:29]
	ds_load_b128 v[2:5], v1 offset:864
	scratch_load_b128 v[26:29], off, off offset:368
	v_fma_f64 v[174:175], v[174:175], v[30:31], v[180:181]
	v_fma_f64 v[172:173], v[172:173], v[30:31], -v[32:33]
	scratch_load_b128 v[30:33], off, off offset:384
	v_add_f64 v[176:177], v[176:177], v[38:39]
	v_add_f64 v[178:179], v[178:179], v[40:41]
	ds_load_b128 v[38:41], v1 offset:880
	s_waitcnt vmcnt(10) lgkmcnt(1)
	v_mul_f64 v[186:187], v[2:3], v[36:37]
	v_mul_f64 v[36:37], v[4:5], v[36:37]
	s_waitcnt vmcnt(8) lgkmcnt(0)
	v_mul_f64 v[180:181], v[38:39], v[170:171]
	v_add_f64 v[176:177], v[176:177], v[184:185]
	v_add_f64 v[178:179], v[178:179], v[182:183]
	v_mul_f64 v[182:183], v[40:41], v[170:171]
	v_fma_f64 v[184:185], v[4:5], v[34:35], v[186:187]
	v_fma_f64 v[186:187], v[2:3], v[34:35], -v[36:37]
	ds_load_b128 v[2:5], v1 offset:896
	scratch_load_b128 v[34:37], off, off offset:400
	v_fma_f64 v[180:181], v[40:41], v[168:169], v[180:181]
	v_add_f64 v[176:177], v[176:177], v[172:173]
	v_add_f64 v[174:175], v[178:179], v[174:175]
	ds_load_b128 v[170:173], v1 offset:912
	v_fma_f64 v[168:169], v[38:39], v[168:169], -v[182:183]
	scratch_load_b128 v[38:41], off, off offset:416
	s_waitcnt vmcnt(9) lgkmcnt(1)
	v_mul_f64 v[178:179], v[2:3], v[44:45]
	v_mul_f64 v[44:45], v[4:5], v[44:45]
	s_waitcnt vmcnt(8) lgkmcnt(0)
	v_mul_f64 v[182:183], v[170:171], v[8:9]
	v_mul_f64 v[8:9], v[172:173], v[8:9]
	v_add_f64 v[176:177], v[176:177], v[186:187]
	v_add_f64 v[174:175], v[174:175], v[184:185]
	v_fma_f64 v[178:179], v[4:5], v[42:43], v[178:179]
	v_fma_f64 v[184:185], v[2:3], v[42:43], -v[44:45]
	ds_load_b128 v[2:5], v1 offset:928
	scratch_load_b128 v[42:45], off, off offset:432
	v_fma_f64 v[172:173], v[172:173], v[6:7], v[182:183]
	v_fma_f64 v[170:171], v[170:171], v[6:7], -v[8:9]
	scratch_load_b128 v[6:9], off, off offset:448
	v_add_f64 v[168:169], v[176:177], v[168:169]
	v_add_f64 v[180:181], v[174:175], v[180:181]
	ds_load_b128 v[174:177], v1 offset:944
	s_waitcnt vmcnt(9) lgkmcnt(1)
	v_mul_f64 v[186:187], v[2:3], v[12:13]
	v_mul_f64 v[12:13], v[4:5], v[12:13]
	v_add_f64 v[168:169], v[168:169], v[184:185]
	v_add_f64 v[178:179], v[180:181], v[178:179]
	s_waitcnt vmcnt(8) lgkmcnt(0)
	v_mul_f64 v[180:181], v[174:175], v[16:17]
	v_mul_f64 v[16:17], v[176:177], v[16:17]
	v_fma_f64 v[182:183], v[4:5], v[10:11], v[186:187]
	v_fma_f64 v[184:185], v[2:3], v[10:11], -v[12:13]
	ds_load_b128 v[2:5], v1 offset:960
	scratch_load_b128 v[10:13], off, off offset:464
	v_add_f64 v[186:187], v[168:169], v[170:171]
	v_add_f64 v[172:173], v[178:179], v[172:173]
	ds_load_b128 v[168:171], v1 offset:976
	s_waitcnt vmcnt(8) lgkmcnt(1)
	v_mul_f64 v[178:179], v[2:3], v[20:21]
	v_mul_f64 v[20:21], v[4:5], v[20:21]
	v_fma_f64 v[176:177], v[176:177], v[14:15], v[180:181]
	v_fma_f64 v[174:175], v[174:175], v[14:15], -v[16:17]
	scratch_load_b128 v[14:17], off, off offset:480
	v_add_f64 v[180:181], v[186:187], v[184:185]
	v_add_f64 v[172:173], v[172:173], v[182:183]
	s_waitcnt vmcnt(8) lgkmcnt(0)
	v_mul_f64 v[182:183], v[168:169], v[24:25]
	v_mul_f64 v[24:25], v[170:171], v[24:25]
	v_fma_f64 v[178:179], v[4:5], v[18:19], v[178:179]
	v_fma_f64 v[184:185], v[2:3], v[18:19], -v[20:21]
	ds_load_b128 v[2:5], v1 offset:992
	scratch_load_b128 v[18:21], off, off offset:496
	v_add_f64 v[180:181], v[180:181], v[174:175]
	v_add_f64 v[176:177], v[172:173], v[176:177]
	ds_load_b128 v[172:175], v1 offset:1008
	s_waitcnt vmcnt(8) lgkmcnt(1)
	v_mul_f64 v[186:187], v[2:3], v[28:29]
	v_mul_f64 v[28:29], v[4:5], v[28:29]
	v_fma_f64 v[170:171], v[170:171], v[22:23], v[182:183]
	v_fma_f64 v[168:169], v[168:169], v[22:23], -v[24:25]
	scratch_load_b128 v[22:25], off, off offset:512
	;; [unrolled: 18-line block ×4, first 2 shown]
	s_waitcnt vmcnt(8) lgkmcnt(0)
	v_mul_f64 v[180:181], v[172:173], v[8:9]
	v_mul_f64 v[8:9], v[174:175], v[8:9]
	v_add_f64 v[178:179], v[178:179], v[184:185]
	v_add_f64 v[176:177], v[176:177], v[182:183]
	v_fma_f64 v[182:183], v[4:5], v[42:43], v[186:187]
	v_fma_f64 v[184:185], v[2:3], v[42:43], -v[44:45]
	ds_load_b128 v[2:5], v1 offset:1088
	scratch_load_b128 v[42:45], off, off offset:592
	v_fma_f64 v[174:175], v[174:175], v[6:7], v[180:181]
	v_fma_f64 v[172:173], v[172:173], v[6:7], -v[8:9]
	scratch_load_b128 v[6:9], off, off offset:608
	v_add_f64 v[178:179], v[178:179], v[168:169]
	v_add_f64 v[176:177], v[176:177], v[170:171]
	ds_load_b128 v[168:171], v1 offset:1104
	s_waitcnt vmcnt(9) lgkmcnt(1)
	v_mul_f64 v[186:187], v[2:3], v[12:13]
	v_mul_f64 v[12:13], v[4:5], v[12:13]
	s_waitcnt vmcnt(8) lgkmcnt(0)
	v_mul_f64 v[180:181], v[168:169], v[16:17]
	v_mul_f64 v[16:17], v[170:171], v[16:17]
	v_add_f64 v[178:179], v[178:179], v[184:185]
	v_add_f64 v[176:177], v[176:177], v[182:183]
	v_fma_f64 v[182:183], v[4:5], v[10:11], v[186:187]
	v_fma_f64 v[184:185], v[2:3], v[10:11], -v[12:13]
	ds_load_b128 v[2:5], v1 offset:1120
	ds_load_b128 v[10:13], v1 offset:1136
	v_fma_f64 v[170:171], v[170:171], v[14:15], v[180:181]
	v_fma_f64 v[14:15], v[168:169], v[14:15], -v[16:17]
	v_add_f64 v[172:173], v[178:179], v[172:173]
	v_add_f64 v[174:175], v[176:177], v[174:175]
	s_waitcnt vmcnt(7) lgkmcnt(1)
	v_mul_f64 v[176:177], v[2:3], v[20:21]
	v_mul_f64 v[20:21], v[4:5], v[20:21]
	s_delay_alu instid0(VALU_DEP_4) | instskip(NEXT) | instid1(VALU_DEP_4)
	v_add_f64 v[16:17], v[172:173], v[184:185]
	v_add_f64 v[168:169], v[174:175], v[182:183]
	s_waitcnt vmcnt(6) lgkmcnt(0)
	v_mul_f64 v[172:173], v[10:11], v[24:25]
	v_mul_f64 v[24:25], v[12:13], v[24:25]
	v_fma_f64 v[174:175], v[4:5], v[18:19], v[176:177]
	v_fma_f64 v[18:19], v[2:3], v[18:19], -v[20:21]
	v_add_f64 v[20:21], v[16:17], v[14:15]
	v_add_f64 v[168:169], v[168:169], v[170:171]
	ds_load_b128 v[2:5], v1 offset:1152
	ds_load_b128 v[14:17], v1 offset:1168
	v_fma_f64 v[12:13], v[12:13], v[22:23], v[172:173]
	v_fma_f64 v[10:11], v[10:11], v[22:23], -v[24:25]
	s_waitcnt vmcnt(5) lgkmcnt(1)
	v_mul_f64 v[170:171], v[2:3], v[28:29]
	v_mul_f64 v[28:29], v[4:5], v[28:29]
	s_waitcnt vmcnt(4) lgkmcnt(0)
	v_mul_f64 v[22:23], v[14:15], v[32:33]
	v_mul_f64 v[24:25], v[16:17], v[32:33]
	v_add_f64 v[18:19], v[20:21], v[18:19]
	v_add_f64 v[20:21], v[168:169], v[174:175]
	v_fma_f64 v[32:33], v[4:5], v[26:27], v[170:171]
	v_fma_f64 v[26:27], v[2:3], v[26:27], -v[28:29]
	v_fma_f64 v[16:17], v[16:17], v[30:31], v[22:23]
	v_fma_f64 v[14:15], v[14:15], v[30:31], -v[24:25]
	v_add_f64 v[18:19], v[18:19], v[10:11]
	v_add_f64 v[20:21], v[20:21], v[12:13]
	ds_load_b128 v[2:5], v1 offset:1184
	ds_load_b128 v[10:13], v1 offset:1200
	s_waitcnt vmcnt(3) lgkmcnt(1)
	v_mul_f64 v[28:29], v[2:3], v[36:37]
	v_mul_f64 v[36:37], v[4:5], v[36:37]
	s_waitcnt vmcnt(2) lgkmcnt(0)
	v_mul_f64 v[22:23], v[10:11], v[40:41]
	v_mul_f64 v[24:25], v[12:13], v[40:41]
	v_add_f64 v[18:19], v[18:19], v[26:27]
	v_add_f64 v[20:21], v[20:21], v[32:33]
	v_fma_f64 v[26:27], v[4:5], v[34:35], v[28:29]
	v_fma_f64 v[28:29], v[2:3], v[34:35], -v[36:37]
	v_fma_f64 v[12:13], v[12:13], v[38:39], v[22:23]
	v_fma_f64 v[10:11], v[10:11], v[38:39], -v[24:25]
	v_add_f64 v[18:19], v[18:19], v[14:15]
	v_add_f64 v[20:21], v[20:21], v[16:17]
	ds_load_b128 v[2:5], v1 offset:1216
	ds_load_b128 v[14:17], v1 offset:1232
	s_waitcnt vmcnt(1) lgkmcnt(1)
	v_mul_f64 v[30:31], v[2:3], v[44:45]
	v_mul_f64 v[32:33], v[4:5], v[44:45]
	s_waitcnt vmcnt(0) lgkmcnt(0)
	v_mul_f64 v[22:23], v[14:15], v[8:9]
	v_mul_f64 v[8:9], v[16:17], v[8:9]
	v_add_f64 v[18:19], v[18:19], v[28:29]
	v_add_f64 v[20:21], v[20:21], v[26:27]
	v_fma_f64 v[4:5], v[4:5], v[42:43], v[30:31]
	v_fma_f64 v[1:2], v[2:3], v[42:43], -v[32:33]
	v_fma_f64 v[16:17], v[16:17], v[6:7], v[22:23]
	v_fma_f64 v[6:7], v[14:15], v[6:7], -v[8:9]
	v_add_f64 v[10:11], v[18:19], v[10:11]
	v_add_f64 v[12:13], v[20:21], v[12:13]
	s_delay_alu instid0(VALU_DEP_2) | instskip(NEXT) | instid1(VALU_DEP_2)
	v_add_f64 v[1:2], v[10:11], v[1:2]
	v_add_f64 v[3:4], v[12:13], v[4:5]
	s_delay_alu instid0(VALU_DEP_2) | instskip(NEXT) | instid1(VALU_DEP_2)
	;; [unrolled: 3-line block ×3, first 2 shown]
	v_add_f64 v[1:2], v[164:165], -v[1:2]
	v_add_f64 v[3:4], v[166:167], -v[3:4]
	scratch_store_b128 off, v[1:4], off offset:96
	v_cmpx_lt_u32_e32 5, v124
	s_cbranch_execz .LBB102_237
; %bb.236:
	scratch_load_b128 v[1:4], v162, off
	v_mov_b32_e32 v5, 0
	s_delay_alu instid0(VALU_DEP_1)
	v_mov_b32_e32 v6, v5
	v_mov_b32_e32 v7, v5
	;; [unrolled: 1-line block ×3, first 2 shown]
	scratch_store_b128 off, v[5:8], off offset:80
	s_waitcnt vmcnt(0)
	ds_store_b128 v163, v[1:4]
.LBB102_237:
	s_or_b32 exec_lo, exec_lo, s2
	s_waitcnt lgkmcnt(0)
	s_waitcnt_vscnt null, 0x0
	s_barrier
	buffer_gl0_inv
	s_clause 0x7
	scratch_load_b128 v[2:5], off, off offset:96
	scratch_load_b128 v[6:9], off, off offset:112
	;; [unrolled: 1-line block ×8, first 2 shown]
	v_mov_b32_e32 v1, 0
	s_mov_b32 s2, exec_lo
	ds_load_b128 v[38:41], v1 offset:720
	s_clause 0x1
	scratch_load_b128 v[34:37], off, off offset:224
	scratch_load_b128 v[42:45], off, off offset:80
	ds_load_b128 v[164:167], v1 offset:736
	scratch_load_b128 v[168:171], off, off offset:240
	s_waitcnt vmcnt(10) lgkmcnt(1)
	v_mul_f64 v[172:173], v[40:41], v[4:5]
	v_mul_f64 v[4:5], v[38:39], v[4:5]
	s_delay_alu instid0(VALU_DEP_2) | instskip(NEXT) | instid1(VALU_DEP_2)
	v_fma_f64 v[178:179], v[38:39], v[2:3], -v[172:173]
	v_fma_f64 v[180:181], v[40:41], v[2:3], v[4:5]
	scratch_load_b128 v[38:41], off, off offset:256
	ds_load_b128 v[2:5], v1 offset:752
	s_waitcnt vmcnt(10) lgkmcnt(1)
	v_mul_f64 v[176:177], v[164:165], v[8:9]
	v_mul_f64 v[8:9], v[166:167], v[8:9]
	ds_load_b128 v[172:175], v1 offset:768
	s_waitcnt vmcnt(9) lgkmcnt(1)
	v_mul_f64 v[182:183], v[2:3], v[12:13]
	v_mul_f64 v[12:13], v[4:5], v[12:13]
	v_fma_f64 v[166:167], v[166:167], v[6:7], v[176:177]
	v_fma_f64 v[164:165], v[164:165], v[6:7], -v[8:9]
	v_add_f64 v[176:177], v[178:179], 0
	v_add_f64 v[178:179], v[180:181], 0
	scratch_load_b128 v[6:9], off, off offset:272
	v_fma_f64 v[182:183], v[4:5], v[10:11], v[182:183]
	v_fma_f64 v[184:185], v[2:3], v[10:11], -v[12:13]
	scratch_load_b128 v[10:13], off, off offset:288
	ds_load_b128 v[2:5], v1 offset:784
	s_waitcnt vmcnt(10) lgkmcnt(1)
	v_mul_f64 v[180:181], v[172:173], v[16:17]
	v_mul_f64 v[16:17], v[174:175], v[16:17]
	v_add_f64 v[176:177], v[176:177], v[164:165]
	v_add_f64 v[178:179], v[178:179], v[166:167]
	s_waitcnt vmcnt(9) lgkmcnt(0)
	v_mul_f64 v[186:187], v[2:3], v[20:21]
	v_mul_f64 v[20:21], v[4:5], v[20:21]
	ds_load_b128 v[164:167], v1 offset:800
	v_fma_f64 v[174:175], v[174:175], v[14:15], v[180:181]
	v_fma_f64 v[172:173], v[172:173], v[14:15], -v[16:17]
	scratch_load_b128 v[14:17], off, off offset:304
	v_add_f64 v[176:177], v[176:177], v[184:185]
	v_add_f64 v[178:179], v[178:179], v[182:183]
	v_fma_f64 v[182:183], v[4:5], v[18:19], v[186:187]
	v_fma_f64 v[184:185], v[2:3], v[18:19], -v[20:21]
	scratch_load_b128 v[18:21], off, off offset:320
	ds_load_b128 v[2:5], v1 offset:816
	s_waitcnt vmcnt(10) lgkmcnt(1)
	v_mul_f64 v[180:181], v[164:165], v[24:25]
	v_mul_f64 v[24:25], v[166:167], v[24:25]
	s_waitcnt vmcnt(9) lgkmcnt(0)
	v_mul_f64 v[186:187], v[2:3], v[28:29]
	v_mul_f64 v[28:29], v[4:5], v[28:29]
	v_add_f64 v[176:177], v[176:177], v[172:173]
	v_add_f64 v[178:179], v[178:179], v[174:175]
	ds_load_b128 v[172:175], v1 offset:832
	v_fma_f64 v[166:167], v[166:167], v[22:23], v[180:181]
	v_fma_f64 v[164:165], v[164:165], v[22:23], -v[24:25]
	scratch_load_b128 v[22:25], off, off offset:336
	v_add_f64 v[176:177], v[176:177], v[184:185]
	v_add_f64 v[178:179], v[178:179], v[182:183]
	v_fma_f64 v[182:183], v[4:5], v[26:27], v[186:187]
	v_fma_f64 v[184:185], v[2:3], v[26:27], -v[28:29]
	scratch_load_b128 v[26:29], off, off offset:352
	ds_load_b128 v[2:5], v1 offset:848
	s_waitcnt vmcnt(10) lgkmcnt(1)
	v_mul_f64 v[180:181], v[172:173], v[32:33]
	v_mul_f64 v[32:33], v[174:175], v[32:33]
	s_waitcnt vmcnt(9) lgkmcnt(0)
	v_mul_f64 v[186:187], v[2:3], v[36:37]
	v_mul_f64 v[36:37], v[4:5], v[36:37]
	v_add_f64 v[176:177], v[176:177], v[164:165]
	v_add_f64 v[178:179], v[178:179], v[166:167]
	ds_load_b128 v[164:167], v1 offset:864
	v_fma_f64 v[174:175], v[174:175], v[30:31], v[180:181]
	v_fma_f64 v[172:173], v[172:173], v[30:31], -v[32:33]
	scratch_load_b128 v[30:33], off, off offset:368
	v_add_f64 v[176:177], v[176:177], v[184:185]
	v_add_f64 v[178:179], v[178:179], v[182:183]
	v_fma_f64 v[184:185], v[4:5], v[34:35], v[186:187]
	v_fma_f64 v[186:187], v[2:3], v[34:35], -v[36:37]
	scratch_load_b128 v[34:37], off, off offset:384
	ds_load_b128 v[2:5], v1 offset:880
	s_waitcnt vmcnt(9) lgkmcnt(1)
	v_mul_f64 v[180:181], v[164:165], v[170:171]
	v_mul_f64 v[182:183], v[166:167], v[170:171]
	v_add_f64 v[176:177], v[176:177], v[172:173]
	v_add_f64 v[174:175], v[178:179], v[174:175]
	ds_load_b128 v[170:173], v1 offset:896
	v_fma_f64 v[180:181], v[166:167], v[168:169], v[180:181]
	v_fma_f64 v[168:169], v[164:165], v[168:169], -v[182:183]
	scratch_load_b128 v[164:167], off, off offset:400
	s_waitcnt vmcnt(9) lgkmcnt(1)
	v_mul_f64 v[178:179], v[2:3], v[40:41]
	v_mul_f64 v[40:41], v[4:5], v[40:41]
	v_add_f64 v[176:177], v[176:177], v[186:187]
	v_add_f64 v[174:175], v[174:175], v[184:185]
	s_delay_alu instid0(VALU_DEP_4) | instskip(NEXT) | instid1(VALU_DEP_4)
	v_fma_f64 v[178:179], v[4:5], v[38:39], v[178:179]
	v_fma_f64 v[184:185], v[2:3], v[38:39], -v[40:41]
	scratch_load_b128 v[38:41], off, off offset:416
	ds_load_b128 v[2:5], v1 offset:912
	s_waitcnt vmcnt(9) lgkmcnt(1)
	v_mul_f64 v[182:183], v[170:171], v[8:9]
	v_mul_f64 v[8:9], v[172:173], v[8:9]
	s_waitcnt vmcnt(8) lgkmcnt(0)
	v_mul_f64 v[186:187], v[2:3], v[12:13]
	v_mul_f64 v[12:13], v[4:5], v[12:13]
	v_add_f64 v[168:169], v[176:177], v[168:169]
	v_add_f64 v[180:181], v[174:175], v[180:181]
	ds_load_b128 v[174:177], v1 offset:928
	v_fma_f64 v[172:173], v[172:173], v[6:7], v[182:183]
	v_fma_f64 v[170:171], v[170:171], v[6:7], -v[8:9]
	scratch_load_b128 v[6:9], off, off offset:432
	v_fma_f64 v[182:183], v[4:5], v[10:11], v[186:187]
	v_add_f64 v[168:169], v[168:169], v[184:185]
	v_add_f64 v[178:179], v[180:181], v[178:179]
	v_fma_f64 v[184:185], v[2:3], v[10:11], -v[12:13]
	scratch_load_b128 v[10:13], off, off offset:448
	ds_load_b128 v[2:5], v1 offset:944
	s_waitcnt vmcnt(9) lgkmcnt(1)
	v_mul_f64 v[180:181], v[174:175], v[16:17]
	v_mul_f64 v[16:17], v[176:177], v[16:17]
	v_add_f64 v[186:187], v[168:169], v[170:171]
	v_add_f64 v[172:173], v[178:179], v[172:173]
	s_waitcnt vmcnt(8) lgkmcnt(0)
	v_mul_f64 v[178:179], v[2:3], v[20:21]
	v_mul_f64 v[20:21], v[4:5], v[20:21]
	ds_load_b128 v[168:171], v1 offset:960
	v_fma_f64 v[176:177], v[176:177], v[14:15], v[180:181]
	v_fma_f64 v[174:175], v[174:175], v[14:15], -v[16:17]
	scratch_load_b128 v[14:17], off, off offset:464
	v_add_f64 v[180:181], v[186:187], v[184:185]
	v_add_f64 v[172:173], v[172:173], v[182:183]
	v_fma_f64 v[178:179], v[4:5], v[18:19], v[178:179]
	v_fma_f64 v[184:185], v[2:3], v[18:19], -v[20:21]
	scratch_load_b128 v[18:21], off, off offset:480
	ds_load_b128 v[2:5], v1 offset:976
	s_waitcnt vmcnt(9) lgkmcnt(1)
	v_mul_f64 v[182:183], v[168:169], v[24:25]
	v_mul_f64 v[24:25], v[170:171], v[24:25]
	s_waitcnt vmcnt(8) lgkmcnt(0)
	v_mul_f64 v[186:187], v[2:3], v[28:29]
	v_mul_f64 v[28:29], v[4:5], v[28:29]
	v_add_f64 v[180:181], v[180:181], v[174:175]
	v_add_f64 v[176:177], v[172:173], v[176:177]
	ds_load_b128 v[172:175], v1 offset:992
	v_fma_f64 v[170:171], v[170:171], v[22:23], v[182:183]
	v_fma_f64 v[168:169], v[168:169], v[22:23], -v[24:25]
	scratch_load_b128 v[22:25], off, off offset:496
	v_fma_f64 v[182:183], v[4:5], v[26:27], v[186:187]
	v_add_f64 v[180:181], v[180:181], v[184:185]
	v_add_f64 v[176:177], v[176:177], v[178:179]
	v_fma_f64 v[184:185], v[2:3], v[26:27], -v[28:29]
	scratch_load_b128 v[26:29], off, off offset:512
	ds_load_b128 v[2:5], v1 offset:1008
	s_waitcnt vmcnt(9) lgkmcnt(1)
	v_mul_f64 v[178:179], v[172:173], v[32:33]
	v_mul_f64 v[32:33], v[174:175], v[32:33]
	s_waitcnt vmcnt(8) lgkmcnt(0)
	v_mul_f64 v[186:187], v[2:3], v[36:37]
	v_mul_f64 v[36:37], v[4:5], v[36:37]
	v_add_f64 v[180:181], v[180:181], v[168:169]
	v_add_f64 v[176:177], v[176:177], v[170:171]
	ds_load_b128 v[168:171], v1 offset:1024
	v_fma_f64 v[174:175], v[174:175], v[30:31], v[178:179]
	v_fma_f64 v[172:173], v[172:173], v[30:31], -v[32:33]
	scratch_load_b128 v[30:33], off, off offset:528
	v_add_f64 v[178:179], v[180:181], v[184:185]
	v_add_f64 v[176:177], v[176:177], v[182:183]
	v_fma_f64 v[182:183], v[4:5], v[34:35], v[186:187]
	v_fma_f64 v[184:185], v[2:3], v[34:35], -v[36:37]
	scratch_load_b128 v[34:37], off, off offset:544
	ds_load_b128 v[2:5], v1 offset:1040
	s_waitcnt vmcnt(9) lgkmcnt(1)
	v_mul_f64 v[180:181], v[168:169], v[166:167]
	v_mul_f64 v[166:167], v[170:171], v[166:167]
	s_waitcnt vmcnt(8) lgkmcnt(0)
	v_mul_f64 v[186:187], v[2:3], v[40:41]
	v_mul_f64 v[40:41], v[4:5], v[40:41]
	v_add_f64 v[178:179], v[178:179], v[172:173]
	v_add_f64 v[176:177], v[176:177], v[174:175]
	ds_load_b128 v[172:175], v1 offset:1056
	v_fma_f64 v[170:171], v[170:171], v[164:165], v[180:181]
	v_fma_f64 v[168:169], v[168:169], v[164:165], -v[166:167]
	scratch_load_b128 v[164:167], off, off offset:560
	v_add_f64 v[178:179], v[178:179], v[184:185]
	v_add_f64 v[176:177], v[176:177], v[182:183]
	v_fma_f64 v[182:183], v[4:5], v[38:39], v[186:187]
	;; [unrolled: 18-line block ×3, first 2 shown]
	v_fma_f64 v[184:185], v[2:3], v[10:11], -v[12:13]
	scratch_load_b128 v[10:13], off, off offset:608
	ds_load_b128 v[2:5], v1 offset:1104
	s_waitcnt vmcnt(9) lgkmcnt(1)
	v_mul_f64 v[180:181], v[168:169], v[16:17]
	v_mul_f64 v[16:17], v[170:171], v[16:17]
	s_waitcnt vmcnt(8) lgkmcnt(0)
	v_mul_f64 v[186:187], v[2:3], v[20:21]
	v_mul_f64 v[20:21], v[4:5], v[20:21]
	v_add_f64 v[178:179], v[178:179], v[172:173]
	v_add_f64 v[176:177], v[176:177], v[174:175]
	ds_load_b128 v[172:175], v1 offset:1120
	v_fma_f64 v[170:171], v[170:171], v[14:15], v[180:181]
	v_fma_f64 v[14:15], v[168:169], v[14:15], -v[16:17]
	v_add_f64 v[16:17], v[178:179], v[184:185]
	v_add_f64 v[168:169], v[176:177], v[182:183]
	s_waitcnt vmcnt(7) lgkmcnt(0)
	v_mul_f64 v[176:177], v[172:173], v[24:25]
	v_mul_f64 v[24:25], v[174:175], v[24:25]
	v_fma_f64 v[178:179], v[4:5], v[18:19], v[186:187]
	v_fma_f64 v[18:19], v[2:3], v[18:19], -v[20:21]
	v_add_f64 v[20:21], v[16:17], v[14:15]
	v_add_f64 v[168:169], v[168:169], v[170:171]
	ds_load_b128 v[2:5], v1 offset:1136
	ds_load_b128 v[14:17], v1 offset:1152
	v_fma_f64 v[174:175], v[174:175], v[22:23], v[176:177]
	v_fma_f64 v[22:23], v[172:173], v[22:23], -v[24:25]
	s_waitcnt vmcnt(6) lgkmcnt(1)
	v_mul_f64 v[170:171], v[2:3], v[28:29]
	v_mul_f64 v[28:29], v[4:5], v[28:29]
	s_waitcnt vmcnt(5) lgkmcnt(0)
	v_mul_f64 v[24:25], v[14:15], v[32:33]
	v_mul_f64 v[32:33], v[16:17], v[32:33]
	v_add_f64 v[18:19], v[20:21], v[18:19]
	v_add_f64 v[20:21], v[168:169], v[178:179]
	v_fma_f64 v[168:169], v[4:5], v[26:27], v[170:171]
	v_fma_f64 v[26:27], v[2:3], v[26:27], -v[28:29]
	v_fma_f64 v[16:17], v[16:17], v[30:31], v[24:25]
	v_fma_f64 v[14:15], v[14:15], v[30:31], -v[32:33]
	v_add_f64 v[22:23], v[18:19], v[22:23]
	v_add_f64 v[28:29], v[20:21], v[174:175]
	ds_load_b128 v[2:5], v1 offset:1168
	ds_load_b128 v[18:21], v1 offset:1184
	s_waitcnt vmcnt(4) lgkmcnt(1)
	v_mul_f64 v[170:171], v[2:3], v[36:37]
	v_mul_f64 v[36:37], v[4:5], v[36:37]
	v_add_f64 v[22:23], v[22:23], v[26:27]
	v_add_f64 v[24:25], v[28:29], v[168:169]
	s_waitcnt vmcnt(3) lgkmcnt(0)
	v_mul_f64 v[26:27], v[18:19], v[166:167]
	v_mul_f64 v[28:29], v[20:21], v[166:167]
	v_fma_f64 v[30:31], v[4:5], v[34:35], v[170:171]
	v_fma_f64 v[32:33], v[2:3], v[34:35], -v[36:37]
	v_add_f64 v[22:23], v[22:23], v[14:15]
	v_add_f64 v[24:25], v[24:25], v[16:17]
	ds_load_b128 v[2:5], v1 offset:1200
	ds_load_b128 v[14:17], v1 offset:1216
	v_fma_f64 v[20:21], v[20:21], v[164:165], v[26:27]
	v_fma_f64 v[18:19], v[18:19], v[164:165], -v[28:29]
	s_waitcnt vmcnt(2) lgkmcnt(1)
	v_mul_f64 v[34:35], v[2:3], v[40:41]
	v_mul_f64 v[36:37], v[4:5], v[40:41]
	s_waitcnt vmcnt(1) lgkmcnt(0)
	v_mul_f64 v[26:27], v[14:15], v[8:9]
	v_mul_f64 v[8:9], v[16:17], v[8:9]
	v_add_f64 v[22:23], v[22:23], v[32:33]
	v_add_f64 v[24:25], v[24:25], v[30:31]
	v_fma_f64 v[28:29], v[4:5], v[38:39], v[34:35]
	v_fma_f64 v[30:31], v[2:3], v[38:39], -v[36:37]
	ds_load_b128 v[2:5], v1 offset:1232
	v_fma_f64 v[16:17], v[16:17], v[6:7], v[26:27]
	v_fma_f64 v[6:7], v[14:15], v[6:7], -v[8:9]
	v_add_f64 v[18:19], v[22:23], v[18:19]
	v_add_f64 v[20:21], v[24:25], v[20:21]
	s_waitcnt vmcnt(0) lgkmcnt(0)
	v_mul_f64 v[22:23], v[2:3], v[12:13]
	v_mul_f64 v[12:13], v[4:5], v[12:13]
	s_delay_alu instid0(VALU_DEP_4) | instskip(NEXT) | instid1(VALU_DEP_4)
	v_add_f64 v[8:9], v[18:19], v[30:31]
	v_add_f64 v[14:15], v[20:21], v[28:29]
	s_delay_alu instid0(VALU_DEP_4) | instskip(NEXT) | instid1(VALU_DEP_4)
	v_fma_f64 v[4:5], v[4:5], v[10:11], v[22:23]
	v_fma_f64 v[2:3], v[2:3], v[10:11], -v[12:13]
	s_delay_alu instid0(VALU_DEP_4) | instskip(NEXT) | instid1(VALU_DEP_4)
	v_add_f64 v[6:7], v[8:9], v[6:7]
	v_add_f64 v[8:9], v[14:15], v[16:17]
	s_delay_alu instid0(VALU_DEP_2) | instskip(NEXT) | instid1(VALU_DEP_2)
	v_add_f64 v[2:3], v[6:7], v[2:3]
	v_add_f64 v[4:5], v[8:9], v[4:5]
	s_delay_alu instid0(VALU_DEP_2) | instskip(NEXT) | instid1(VALU_DEP_2)
	v_add_f64 v[2:3], v[42:43], -v[2:3]
	v_add_f64 v[4:5], v[44:45], -v[4:5]
	scratch_store_b128 off, v[2:5], off offset:80
	v_cmpx_lt_u32_e32 4, v124
	s_cbranch_execz .LBB102_239
; %bb.238:
	scratch_load_b128 v[5:8], v125, off
	v_mov_b32_e32 v2, v1
	v_mov_b32_e32 v3, v1
	v_mov_b32_e32 v4, v1
	scratch_store_b128 off, v[1:4], off offset:64
	s_waitcnt vmcnt(0)
	ds_store_b128 v163, v[5:8]
.LBB102_239:
	s_or_b32 exec_lo, exec_lo, s2
	s_waitcnt lgkmcnt(0)
	s_waitcnt_vscnt null, 0x0
	s_barrier
	buffer_gl0_inv
	s_clause 0x8
	scratch_load_b128 v[2:5], off, off offset:80
	scratch_load_b128 v[6:9], off, off offset:96
	;; [unrolled: 1-line block ×9, first 2 shown]
	ds_load_b128 v[42:45], v1 offset:704
	ds_load_b128 v[38:41], v1 offset:720
	s_clause 0x1
	scratch_load_b128 v[164:167], off, off offset:64
	scratch_load_b128 v[168:171], off, off offset:224
	s_mov_b32 s2, exec_lo
	s_waitcnt vmcnt(10) lgkmcnt(1)
	v_mul_f64 v[172:173], v[44:45], v[4:5]
	v_mul_f64 v[4:5], v[42:43], v[4:5]
	s_waitcnt vmcnt(9) lgkmcnt(0)
	v_mul_f64 v[176:177], v[38:39], v[8:9]
	v_mul_f64 v[8:9], v[40:41], v[8:9]
	s_delay_alu instid0(VALU_DEP_4) | instskip(NEXT) | instid1(VALU_DEP_4)
	v_fma_f64 v[178:179], v[42:43], v[2:3], -v[172:173]
	v_fma_f64 v[180:181], v[44:45], v[2:3], v[4:5]
	ds_load_b128 v[2:5], v1 offset:736
	ds_load_b128 v[172:175], v1 offset:752
	scratch_load_b128 v[42:45], off, off offset:240
	v_fma_f64 v[40:41], v[40:41], v[6:7], v[176:177]
	v_fma_f64 v[38:39], v[38:39], v[6:7], -v[8:9]
	scratch_load_b128 v[6:9], off, off offset:256
	s_waitcnt vmcnt(10) lgkmcnt(1)
	v_mul_f64 v[182:183], v[2:3], v[12:13]
	v_mul_f64 v[12:13], v[4:5], v[12:13]
	v_add_f64 v[176:177], v[178:179], 0
	v_add_f64 v[178:179], v[180:181], 0
	s_waitcnt vmcnt(9) lgkmcnt(0)
	v_mul_f64 v[180:181], v[172:173], v[16:17]
	v_mul_f64 v[16:17], v[174:175], v[16:17]
	v_fma_f64 v[182:183], v[4:5], v[10:11], v[182:183]
	v_fma_f64 v[184:185], v[2:3], v[10:11], -v[12:13]
	ds_load_b128 v[2:5], v1 offset:768
	scratch_load_b128 v[10:13], off, off offset:272
	v_add_f64 v[176:177], v[176:177], v[38:39]
	v_add_f64 v[178:179], v[178:179], v[40:41]
	ds_load_b128 v[38:41], v1 offset:784
	v_fma_f64 v[174:175], v[174:175], v[14:15], v[180:181]
	v_fma_f64 v[172:173], v[172:173], v[14:15], -v[16:17]
	scratch_load_b128 v[14:17], off, off offset:288
	s_waitcnt vmcnt(10) lgkmcnt(1)
	v_mul_f64 v[186:187], v[2:3], v[20:21]
	v_mul_f64 v[20:21], v[4:5], v[20:21]
	s_waitcnt vmcnt(9) lgkmcnt(0)
	v_mul_f64 v[180:181], v[38:39], v[24:25]
	v_mul_f64 v[24:25], v[40:41], v[24:25]
	v_add_f64 v[176:177], v[176:177], v[184:185]
	v_add_f64 v[178:179], v[178:179], v[182:183]
	v_fma_f64 v[182:183], v[4:5], v[18:19], v[186:187]
	v_fma_f64 v[184:185], v[2:3], v[18:19], -v[20:21]
	ds_load_b128 v[2:5], v1 offset:800
	scratch_load_b128 v[18:21], off, off offset:304
	v_fma_f64 v[40:41], v[40:41], v[22:23], v[180:181]
	v_fma_f64 v[38:39], v[38:39], v[22:23], -v[24:25]
	scratch_load_b128 v[22:25], off, off offset:320
	v_add_f64 v[176:177], v[176:177], v[172:173]
	v_add_f64 v[178:179], v[178:179], v[174:175]
	ds_load_b128 v[172:175], v1 offset:816
	s_waitcnt vmcnt(10) lgkmcnt(1)
	v_mul_f64 v[186:187], v[2:3], v[28:29]
	v_mul_f64 v[28:29], v[4:5], v[28:29]
	s_waitcnt vmcnt(9) lgkmcnt(0)
	v_mul_f64 v[180:181], v[172:173], v[32:33]
	v_mul_f64 v[32:33], v[174:175], v[32:33]
	v_add_f64 v[176:177], v[176:177], v[184:185]
	v_add_f64 v[178:179], v[178:179], v[182:183]
	v_fma_f64 v[182:183], v[4:5], v[26:27], v[186:187]
	v_fma_f64 v[184:185], v[2:3], v[26:27], -v[28:29]
	ds_load_b128 v[2:5], v1 offset:832
	scratch_load_b128 v[26:29], off, off offset:336
	v_fma_f64 v[174:175], v[174:175], v[30:31], v[180:181]
	v_fma_f64 v[172:173], v[172:173], v[30:31], -v[32:33]
	scratch_load_b128 v[30:33], off, off offset:352
	v_add_f64 v[176:177], v[176:177], v[38:39]
	v_add_f64 v[178:179], v[178:179], v[40:41]
	ds_load_b128 v[38:41], v1 offset:848
	s_waitcnt vmcnt(10) lgkmcnt(1)
	v_mul_f64 v[186:187], v[2:3], v[36:37]
	v_mul_f64 v[36:37], v[4:5], v[36:37]
	s_waitcnt vmcnt(8) lgkmcnt(0)
	v_mul_f64 v[180:181], v[38:39], v[170:171]
	v_add_f64 v[176:177], v[176:177], v[184:185]
	v_add_f64 v[178:179], v[178:179], v[182:183]
	v_mul_f64 v[182:183], v[40:41], v[170:171]
	v_fma_f64 v[184:185], v[4:5], v[34:35], v[186:187]
	v_fma_f64 v[186:187], v[2:3], v[34:35], -v[36:37]
	ds_load_b128 v[2:5], v1 offset:864
	scratch_load_b128 v[34:37], off, off offset:368
	v_fma_f64 v[180:181], v[40:41], v[168:169], v[180:181]
	v_add_f64 v[176:177], v[176:177], v[172:173]
	v_add_f64 v[174:175], v[178:179], v[174:175]
	ds_load_b128 v[170:173], v1 offset:880
	v_fma_f64 v[168:169], v[38:39], v[168:169], -v[182:183]
	scratch_load_b128 v[38:41], off, off offset:384
	s_waitcnt vmcnt(9) lgkmcnt(1)
	v_mul_f64 v[178:179], v[2:3], v[44:45]
	v_mul_f64 v[44:45], v[4:5], v[44:45]
	s_waitcnt vmcnt(8) lgkmcnt(0)
	v_mul_f64 v[182:183], v[170:171], v[8:9]
	v_mul_f64 v[8:9], v[172:173], v[8:9]
	v_add_f64 v[176:177], v[176:177], v[186:187]
	v_add_f64 v[174:175], v[174:175], v[184:185]
	v_fma_f64 v[178:179], v[4:5], v[42:43], v[178:179]
	v_fma_f64 v[184:185], v[2:3], v[42:43], -v[44:45]
	ds_load_b128 v[2:5], v1 offset:896
	scratch_load_b128 v[42:45], off, off offset:400
	v_fma_f64 v[172:173], v[172:173], v[6:7], v[182:183]
	v_fma_f64 v[170:171], v[170:171], v[6:7], -v[8:9]
	scratch_load_b128 v[6:9], off, off offset:416
	v_add_f64 v[168:169], v[176:177], v[168:169]
	v_add_f64 v[180:181], v[174:175], v[180:181]
	ds_load_b128 v[174:177], v1 offset:912
	s_waitcnt vmcnt(9) lgkmcnt(1)
	v_mul_f64 v[186:187], v[2:3], v[12:13]
	v_mul_f64 v[12:13], v[4:5], v[12:13]
	v_add_f64 v[168:169], v[168:169], v[184:185]
	v_add_f64 v[178:179], v[180:181], v[178:179]
	s_waitcnt vmcnt(8) lgkmcnt(0)
	v_mul_f64 v[180:181], v[174:175], v[16:17]
	v_mul_f64 v[16:17], v[176:177], v[16:17]
	v_fma_f64 v[182:183], v[4:5], v[10:11], v[186:187]
	v_fma_f64 v[184:185], v[2:3], v[10:11], -v[12:13]
	ds_load_b128 v[2:5], v1 offset:928
	scratch_load_b128 v[10:13], off, off offset:432
	v_add_f64 v[186:187], v[168:169], v[170:171]
	v_add_f64 v[172:173], v[178:179], v[172:173]
	ds_load_b128 v[168:171], v1 offset:944
	s_waitcnt vmcnt(8) lgkmcnt(1)
	v_mul_f64 v[178:179], v[2:3], v[20:21]
	v_mul_f64 v[20:21], v[4:5], v[20:21]
	v_fma_f64 v[176:177], v[176:177], v[14:15], v[180:181]
	v_fma_f64 v[174:175], v[174:175], v[14:15], -v[16:17]
	scratch_load_b128 v[14:17], off, off offset:448
	v_add_f64 v[180:181], v[186:187], v[184:185]
	v_add_f64 v[172:173], v[172:173], v[182:183]
	s_waitcnt vmcnt(8) lgkmcnt(0)
	v_mul_f64 v[182:183], v[168:169], v[24:25]
	v_mul_f64 v[24:25], v[170:171], v[24:25]
	v_fma_f64 v[178:179], v[4:5], v[18:19], v[178:179]
	v_fma_f64 v[184:185], v[2:3], v[18:19], -v[20:21]
	ds_load_b128 v[2:5], v1 offset:960
	scratch_load_b128 v[18:21], off, off offset:464
	v_add_f64 v[180:181], v[180:181], v[174:175]
	v_add_f64 v[176:177], v[172:173], v[176:177]
	ds_load_b128 v[172:175], v1 offset:976
	s_waitcnt vmcnt(8) lgkmcnt(1)
	v_mul_f64 v[186:187], v[2:3], v[28:29]
	v_mul_f64 v[28:29], v[4:5], v[28:29]
	v_fma_f64 v[170:171], v[170:171], v[22:23], v[182:183]
	v_fma_f64 v[168:169], v[168:169], v[22:23], -v[24:25]
	scratch_load_b128 v[22:25], off, off offset:480
	;; [unrolled: 18-line block ×4, first 2 shown]
	s_waitcnt vmcnt(8) lgkmcnt(0)
	v_mul_f64 v[180:181], v[172:173], v[8:9]
	v_mul_f64 v[8:9], v[174:175], v[8:9]
	v_add_f64 v[178:179], v[178:179], v[184:185]
	v_add_f64 v[176:177], v[176:177], v[182:183]
	v_fma_f64 v[182:183], v[4:5], v[42:43], v[186:187]
	v_fma_f64 v[184:185], v[2:3], v[42:43], -v[44:45]
	ds_load_b128 v[2:5], v1 offset:1056
	scratch_load_b128 v[42:45], off, off offset:560
	v_fma_f64 v[174:175], v[174:175], v[6:7], v[180:181]
	v_fma_f64 v[172:173], v[172:173], v[6:7], -v[8:9]
	scratch_load_b128 v[6:9], off, off offset:576
	v_add_f64 v[178:179], v[178:179], v[168:169]
	v_add_f64 v[176:177], v[176:177], v[170:171]
	ds_load_b128 v[168:171], v1 offset:1072
	s_waitcnt vmcnt(9) lgkmcnt(1)
	v_mul_f64 v[186:187], v[2:3], v[12:13]
	v_mul_f64 v[12:13], v[4:5], v[12:13]
	s_waitcnt vmcnt(8) lgkmcnt(0)
	v_mul_f64 v[180:181], v[168:169], v[16:17]
	v_mul_f64 v[16:17], v[170:171], v[16:17]
	v_add_f64 v[178:179], v[178:179], v[184:185]
	v_add_f64 v[176:177], v[176:177], v[182:183]
	v_fma_f64 v[182:183], v[4:5], v[10:11], v[186:187]
	v_fma_f64 v[184:185], v[2:3], v[10:11], -v[12:13]
	ds_load_b128 v[2:5], v1 offset:1088
	scratch_load_b128 v[10:13], off, off offset:592
	v_fma_f64 v[170:171], v[170:171], v[14:15], v[180:181]
	v_fma_f64 v[168:169], v[168:169], v[14:15], -v[16:17]
	scratch_load_b128 v[14:17], off, off offset:608
	v_add_f64 v[178:179], v[178:179], v[172:173]
	v_add_f64 v[176:177], v[176:177], v[174:175]
	ds_load_b128 v[172:175], v1 offset:1104
	s_waitcnt vmcnt(9) lgkmcnt(1)
	v_mul_f64 v[186:187], v[2:3], v[20:21]
	v_mul_f64 v[20:21], v[4:5], v[20:21]
	s_waitcnt vmcnt(8) lgkmcnt(0)
	v_mul_f64 v[180:181], v[172:173], v[24:25]
	v_mul_f64 v[24:25], v[174:175], v[24:25]
	v_add_f64 v[178:179], v[178:179], v[184:185]
	v_add_f64 v[176:177], v[176:177], v[182:183]
	v_fma_f64 v[182:183], v[4:5], v[18:19], v[186:187]
	v_fma_f64 v[184:185], v[2:3], v[18:19], -v[20:21]
	ds_load_b128 v[2:5], v1 offset:1120
	ds_load_b128 v[18:21], v1 offset:1136
	v_fma_f64 v[174:175], v[174:175], v[22:23], v[180:181]
	v_fma_f64 v[22:23], v[172:173], v[22:23], -v[24:25]
	v_add_f64 v[168:169], v[178:179], v[168:169]
	v_add_f64 v[170:171], v[176:177], v[170:171]
	s_waitcnt vmcnt(7) lgkmcnt(1)
	v_mul_f64 v[176:177], v[2:3], v[28:29]
	v_mul_f64 v[28:29], v[4:5], v[28:29]
	s_delay_alu instid0(VALU_DEP_4) | instskip(NEXT) | instid1(VALU_DEP_4)
	v_add_f64 v[24:25], v[168:169], v[184:185]
	v_add_f64 v[168:169], v[170:171], v[182:183]
	s_waitcnt vmcnt(6) lgkmcnt(0)
	v_mul_f64 v[170:171], v[18:19], v[32:33]
	v_mul_f64 v[32:33], v[20:21], v[32:33]
	v_fma_f64 v[172:173], v[4:5], v[26:27], v[176:177]
	v_fma_f64 v[26:27], v[2:3], v[26:27], -v[28:29]
	v_add_f64 v[28:29], v[24:25], v[22:23]
	v_add_f64 v[168:169], v[168:169], v[174:175]
	ds_load_b128 v[2:5], v1 offset:1152
	ds_load_b128 v[22:25], v1 offset:1168
	v_fma_f64 v[20:21], v[20:21], v[30:31], v[170:171]
	v_fma_f64 v[18:19], v[18:19], v[30:31], -v[32:33]
	s_waitcnt vmcnt(5) lgkmcnt(1)
	v_mul_f64 v[174:175], v[2:3], v[36:37]
	v_mul_f64 v[36:37], v[4:5], v[36:37]
	s_waitcnt vmcnt(4) lgkmcnt(0)
	v_mul_f64 v[30:31], v[22:23], v[40:41]
	v_mul_f64 v[32:33], v[24:25], v[40:41]
	v_add_f64 v[26:27], v[28:29], v[26:27]
	v_add_f64 v[28:29], v[168:169], v[172:173]
	v_fma_f64 v[40:41], v[4:5], v[34:35], v[174:175]
	v_fma_f64 v[34:35], v[2:3], v[34:35], -v[36:37]
	v_fma_f64 v[24:25], v[24:25], v[38:39], v[30:31]
	v_fma_f64 v[22:23], v[22:23], v[38:39], -v[32:33]
	v_add_f64 v[26:27], v[26:27], v[18:19]
	v_add_f64 v[28:29], v[28:29], v[20:21]
	ds_load_b128 v[2:5], v1 offset:1184
	ds_load_b128 v[18:21], v1 offset:1200
	s_waitcnt vmcnt(3) lgkmcnt(1)
	v_mul_f64 v[36:37], v[2:3], v[44:45]
	v_mul_f64 v[44:45], v[4:5], v[44:45]
	s_waitcnt vmcnt(2) lgkmcnt(0)
	v_mul_f64 v[30:31], v[18:19], v[8:9]
	v_mul_f64 v[8:9], v[20:21], v[8:9]
	v_add_f64 v[26:27], v[26:27], v[34:35]
	v_add_f64 v[28:29], v[28:29], v[40:41]
	v_fma_f64 v[32:33], v[4:5], v[42:43], v[36:37]
	v_fma_f64 v[34:35], v[2:3], v[42:43], -v[44:45]
	v_fma_f64 v[20:21], v[20:21], v[6:7], v[30:31]
	v_fma_f64 v[6:7], v[18:19], v[6:7], -v[8:9]
	v_add_f64 v[26:27], v[26:27], v[22:23]
	v_add_f64 v[28:29], v[28:29], v[24:25]
	ds_load_b128 v[2:5], v1 offset:1216
	ds_load_b128 v[22:25], v1 offset:1232
	s_waitcnt vmcnt(1) lgkmcnt(1)
	v_mul_f64 v[36:37], v[2:3], v[12:13]
	v_mul_f64 v[12:13], v[4:5], v[12:13]
	v_add_f64 v[8:9], v[26:27], v[34:35]
	v_add_f64 v[18:19], v[28:29], v[32:33]
	s_waitcnt vmcnt(0) lgkmcnt(0)
	v_mul_f64 v[26:27], v[22:23], v[16:17]
	v_mul_f64 v[16:17], v[24:25], v[16:17]
	v_fma_f64 v[4:5], v[4:5], v[10:11], v[36:37]
	v_fma_f64 v[1:2], v[2:3], v[10:11], -v[12:13]
	v_add_f64 v[6:7], v[8:9], v[6:7]
	v_add_f64 v[8:9], v[18:19], v[20:21]
	v_fma_f64 v[10:11], v[24:25], v[14:15], v[26:27]
	v_fma_f64 v[12:13], v[22:23], v[14:15], -v[16:17]
	s_delay_alu instid0(VALU_DEP_4) | instskip(NEXT) | instid1(VALU_DEP_4)
	v_add_f64 v[1:2], v[6:7], v[1:2]
	v_add_f64 v[3:4], v[8:9], v[4:5]
	s_delay_alu instid0(VALU_DEP_2) | instskip(NEXT) | instid1(VALU_DEP_2)
	v_add_f64 v[1:2], v[1:2], v[12:13]
	v_add_f64 v[3:4], v[3:4], v[10:11]
	s_delay_alu instid0(VALU_DEP_2) | instskip(NEXT) | instid1(VALU_DEP_2)
	v_add_f64 v[1:2], v[164:165], -v[1:2]
	v_add_f64 v[3:4], v[166:167], -v[3:4]
	scratch_store_b128 off, v[1:4], off offset:64
	v_cmpx_lt_u32_e32 3, v124
	s_cbranch_execz .LBB102_241
; %bb.240:
	scratch_load_b128 v[1:4], v126, off
	v_mov_b32_e32 v5, 0
	s_delay_alu instid0(VALU_DEP_1)
	v_mov_b32_e32 v6, v5
	v_mov_b32_e32 v7, v5
	;; [unrolled: 1-line block ×3, first 2 shown]
	scratch_store_b128 off, v[5:8], off offset:48
	s_waitcnt vmcnt(0)
	ds_store_b128 v163, v[1:4]
.LBB102_241:
	s_or_b32 exec_lo, exec_lo, s2
	s_waitcnt lgkmcnt(0)
	s_waitcnt_vscnt null, 0x0
	s_barrier
	buffer_gl0_inv
	s_clause 0x7
	scratch_load_b128 v[2:5], off, off offset:64
	scratch_load_b128 v[6:9], off, off offset:80
	scratch_load_b128 v[10:13], off, off offset:96
	scratch_load_b128 v[14:17], off, off offset:112
	scratch_load_b128 v[18:21], off, off offset:128
	scratch_load_b128 v[22:25], off, off offset:144
	scratch_load_b128 v[26:29], off, off offset:160
	scratch_load_b128 v[30:33], off, off offset:176
	v_mov_b32_e32 v1, 0
	s_mov_b32 s2, exec_lo
	ds_load_b128 v[38:41], v1 offset:688
	s_clause 0x1
	scratch_load_b128 v[34:37], off, off offset:192
	scratch_load_b128 v[42:45], off, off offset:48
	ds_load_b128 v[164:167], v1 offset:704
	scratch_load_b128 v[168:171], off, off offset:208
	s_waitcnt vmcnt(10) lgkmcnt(1)
	v_mul_f64 v[172:173], v[40:41], v[4:5]
	v_mul_f64 v[4:5], v[38:39], v[4:5]
	s_delay_alu instid0(VALU_DEP_2) | instskip(NEXT) | instid1(VALU_DEP_2)
	v_fma_f64 v[178:179], v[38:39], v[2:3], -v[172:173]
	v_fma_f64 v[180:181], v[40:41], v[2:3], v[4:5]
	scratch_load_b128 v[38:41], off, off offset:224
	ds_load_b128 v[2:5], v1 offset:720
	s_waitcnt vmcnt(10) lgkmcnt(1)
	v_mul_f64 v[176:177], v[164:165], v[8:9]
	v_mul_f64 v[8:9], v[166:167], v[8:9]
	ds_load_b128 v[172:175], v1 offset:736
	s_waitcnt vmcnt(9) lgkmcnt(1)
	v_mul_f64 v[182:183], v[2:3], v[12:13]
	v_mul_f64 v[12:13], v[4:5], v[12:13]
	v_fma_f64 v[166:167], v[166:167], v[6:7], v[176:177]
	v_fma_f64 v[164:165], v[164:165], v[6:7], -v[8:9]
	v_add_f64 v[176:177], v[178:179], 0
	v_add_f64 v[178:179], v[180:181], 0
	scratch_load_b128 v[6:9], off, off offset:240
	v_fma_f64 v[182:183], v[4:5], v[10:11], v[182:183]
	v_fma_f64 v[184:185], v[2:3], v[10:11], -v[12:13]
	scratch_load_b128 v[10:13], off, off offset:256
	ds_load_b128 v[2:5], v1 offset:752
	s_waitcnt vmcnt(10) lgkmcnt(1)
	v_mul_f64 v[180:181], v[172:173], v[16:17]
	v_mul_f64 v[16:17], v[174:175], v[16:17]
	v_add_f64 v[176:177], v[176:177], v[164:165]
	v_add_f64 v[178:179], v[178:179], v[166:167]
	s_waitcnt vmcnt(9) lgkmcnt(0)
	v_mul_f64 v[186:187], v[2:3], v[20:21]
	v_mul_f64 v[20:21], v[4:5], v[20:21]
	ds_load_b128 v[164:167], v1 offset:768
	v_fma_f64 v[174:175], v[174:175], v[14:15], v[180:181]
	v_fma_f64 v[172:173], v[172:173], v[14:15], -v[16:17]
	scratch_load_b128 v[14:17], off, off offset:272
	v_add_f64 v[176:177], v[176:177], v[184:185]
	v_add_f64 v[178:179], v[178:179], v[182:183]
	v_fma_f64 v[182:183], v[4:5], v[18:19], v[186:187]
	v_fma_f64 v[184:185], v[2:3], v[18:19], -v[20:21]
	scratch_load_b128 v[18:21], off, off offset:288
	ds_load_b128 v[2:5], v1 offset:784
	s_waitcnt vmcnt(10) lgkmcnt(1)
	v_mul_f64 v[180:181], v[164:165], v[24:25]
	v_mul_f64 v[24:25], v[166:167], v[24:25]
	s_waitcnt vmcnt(9) lgkmcnt(0)
	v_mul_f64 v[186:187], v[2:3], v[28:29]
	v_mul_f64 v[28:29], v[4:5], v[28:29]
	v_add_f64 v[176:177], v[176:177], v[172:173]
	v_add_f64 v[178:179], v[178:179], v[174:175]
	ds_load_b128 v[172:175], v1 offset:800
	v_fma_f64 v[166:167], v[166:167], v[22:23], v[180:181]
	v_fma_f64 v[164:165], v[164:165], v[22:23], -v[24:25]
	scratch_load_b128 v[22:25], off, off offset:304
	v_add_f64 v[176:177], v[176:177], v[184:185]
	v_add_f64 v[178:179], v[178:179], v[182:183]
	v_fma_f64 v[182:183], v[4:5], v[26:27], v[186:187]
	v_fma_f64 v[184:185], v[2:3], v[26:27], -v[28:29]
	scratch_load_b128 v[26:29], off, off offset:320
	ds_load_b128 v[2:5], v1 offset:816
	s_waitcnt vmcnt(10) lgkmcnt(1)
	v_mul_f64 v[180:181], v[172:173], v[32:33]
	v_mul_f64 v[32:33], v[174:175], v[32:33]
	s_waitcnt vmcnt(9) lgkmcnt(0)
	v_mul_f64 v[186:187], v[2:3], v[36:37]
	v_mul_f64 v[36:37], v[4:5], v[36:37]
	v_add_f64 v[176:177], v[176:177], v[164:165]
	v_add_f64 v[178:179], v[178:179], v[166:167]
	ds_load_b128 v[164:167], v1 offset:832
	v_fma_f64 v[174:175], v[174:175], v[30:31], v[180:181]
	v_fma_f64 v[172:173], v[172:173], v[30:31], -v[32:33]
	scratch_load_b128 v[30:33], off, off offset:336
	v_add_f64 v[176:177], v[176:177], v[184:185]
	v_add_f64 v[178:179], v[178:179], v[182:183]
	v_fma_f64 v[184:185], v[4:5], v[34:35], v[186:187]
	v_fma_f64 v[186:187], v[2:3], v[34:35], -v[36:37]
	scratch_load_b128 v[34:37], off, off offset:352
	ds_load_b128 v[2:5], v1 offset:848
	s_waitcnt vmcnt(9) lgkmcnt(1)
	v_mul_f64 v[180:181], v[164:165], v[170:171]
	v_mul_f64 v[182:183], v[166:167], v[170:171]
	v_add_f64 v[176:177], v[176:177], v[172:173]
	v_add_f64 v[174:175], v[178:179], v[174:175]
	ds_load_b128 v[170:173], v1 offset:864
	v_fma_f64 v[180:181], v[166:167], v[168:169], v[180:181]
	v_fma_f64 v[168:169], v[164:165], v[168:169], -v[182:183]
	scratch_load_b128 v[164:167], off, off offset:368
	s_waitcnt vmcnt(9) lgkmcnt(1)
	v_mul_f64 v[178:179], v[2:3], v[40:41]
	v_mul_f64 v[40:41], v[4:5], v[40:41]
	v_add_f64 v[176:177], v[176:177], v[186:187]
	v_add_f64 v[174:175], v[174:175], v[184:185]
	s_delay_alu instid0(VALU_DEP_4) | instskip(NEXT) | instid1(VALU_DEP_4)
	v_fma_f64 v[178:179], v[4:5], v[38:39], v[178:179]
	v_fma_f64 v[184:185], v[2:3], v[38:39], -v[40:41]
	scratch_load_b128 v[38:41], off, off offset:384
	ds_load_b128 v[2:5], v1 offset:880
	s_waitcnt vmcnt(9) lgkmcnt(1)
	v_mul_f64 v[182:183], v[170:171], v[8:9]
	v_mul_f64 v[8:9], v[172:173], v[8:9]
	s_waitcnt vmcnt(8) lgkmcnt(0)
	v_mul_f64 v[186:187], v[2:3], v[12:13]
	v_mul_f64 v[12:13], v[4:5], v[12:13]
	v_add_f64 v[168:169], v[176:177], v[168:169]
	v_add_f64 v[180:181], v[174:175], v[180:181]
	ds_load_b128 v[174:177], v1 offset:896
	v_fma_f64 v[172:173], v[172:173], v[6:7], v[182:183]
	v_fma_f64 v[170:171], v[170:171], v[6:7], -v[8:9]
	scratch_load_b128 v[6:9], off, off offset:400
	v_fma_f64 v[182:183], v[4:5], v[10:11], v[186:187]
	v_add_f64 v[168:169], v[168:169], v[184:185]
	v_add_f64 v[178:179], v[180:181], v[178:179]
	v_fma_f64 v[184:185], v[2:3], v[10:11], -v[12:13]
	scratch_load_b128 v[10:13], off, off offset:416
	ds_load_b128 v[2:5], v1 offset:912
	s_waitcnt vmcnt(9) lgkmcnt(1)
	v_mul_f64 v[180:181], v[174:175], v[16:17]
	v_mul_f64 v[16:17], v[176:177], v[16:17]
	v_add_f64 v[186:187], v[168:169], v[170:171]
	v_add_f64 v[172:173], v[178:179], v[172:173]
	s_waitcnt vmcnt(8) lgkmcnt(0)
	v_mul_f64 v[178:179], v[2:3], v[20:21]
	v_mul_f64 v[20:21], v[4:5], v[20:21]
	ds_load_b128 v[168:171], v1 offset:928
	v_fma_f64 v[176:177], v[176:177], v[14:15], v[180:181]
	v_fma_f64 v[174:175], v[174:175], v[14:15], -v[16:17]
	scratch_load_b128 v[14:17], off, off offset:432
	v_add_f64 v[180:181], v[186:187], v[184:185]
	v_add_f64 v[172:173], v[172:173], v[182:183]
	v_fma_f64 v[178:179], v[4:5], v[18:19], v[178:179]
	v_fma_f64 v[184:185], v[2:3], v[18:19], -v[20:21]
	scratch_load_b128 v[18:21], off, off offset:448
	ds_load_b128 v[2:5], v1 offset:944
	s_waitcnt vmcnt(9) lgkmcnt(1)
	v_mul_f64 v[182:183], v[168:169], v[24:25]
	v_mul_f64 v[24:25], v[170:171], v[24:25]
	s_waitcnt vmcnt(8) lgkmcnt(0)
	v_mul_f64 v[186:187], v[2:3], v[28:29]
	v_mul_f64 v[28:29], v[4:5], v[28:29]
	v_add_f64 v[180:181], v[180:181], v[174:175]
	v_add_f64 v[176:177], v[172:173], v[176:177]
	ds_load_b128 v[172:175], v1 offset:960
	v_fma_f64 v[170:171], v[170:171], v[22:23], v[182:183]
	v_fma_f64 v[168:169], v[168:169], v[22:23], -v[24:25]
	scratch_load_b128 v[22:25], off, off offset:464
	v_fma_f64 v[182:183], v[4:5], v[26:27], v[186:187]
	v_add_f64 v[180:181], v[180:181], v[184:185]
	v_add_f64 v[176:177], v[176:177], v[178:179]
	v_fma_f64 v[184:185], v[2:3], v[26:27], -v[28:29]
	scratch_load_b128 v[26:29], off, off offset:480
	ds_load_b128 v[2:5], v1 offset:976
	s_waitcnt vmcnt(9) lgkmcnt(1)
	v_mul_f64 v[178:179], v[172:173], v[32:33]
	v_mul_f64 v[32:33], v[174:175], v[32:33]
	s_waitcnt vmcnt(8) lgkmcnt(0)
	v_mul_f64 v[186:187], v[2:3], v[36:37]
	v_mul_f64 v[36:37], v[4:5], v[36:37]
	v_add_f64 v[180:181], v[180:181], v[168:169]
	v_add_f64 v[176:177], v[176:177], v[170:171]
	ds_load_b128 v[168:171], v1 offset:992
	v_fma_f64 v[174:175], v[174:175], v[30:31], v[178:179]
	v_fma_f64 v[172:173], v[172:173], v[30:31], -v[32:33]
	scratch_load_b128 v[30:33], off, off offset:496
	v_add_f64 v[178:179], v[180:181], v[184:185]
	v_add_f64 v[176:177], v[176:177], v[182:183]
	v_fma_f64 v[182:183], v[4:5], v[34:35], v[186:187]
	v_fma_f64 v[184:185], v[2:3], v[34:35], -v[36:37]
	scratch_load_b128 v[34:37], off, off offset:512
	ds_load_b128 v[2:5], v1 offset:1008
	s_waitcnt vmcnt(9) lgkmcnt(1)
	v_mul_f64 v[180:181], v[168:169], v[166:167]
	v_mul_f64 v[166:167], v[170:171], v[166:167]
	s_waitcnt vmcnt(8) lgkmcnt(0)
	v_mul_f64 v[186:187], v[2:3], v[40:41]
	v_mul_f64 v[40:41], v[4:5], v[40:41]
	v_add_f64 v[178:179], v[178:179], v[172:173]
	v_add_f64 v[176:177], v[176:177], v[174:175]
	ds_load_b128 v[172:175], v1 offset:1024
	v_fma_f64 v[170:171], v[170:171], v[164:165], v[180:181]
	v_fma_f64 v[168:169], v[168:169], v[164:165], -v[166:167]
	scratch_load_b128 v[164:167], off, off offset:528
	v_add_f64 v[178:179], v[178:179], v[184:185]
	v_add_f64 v[176:177], v[176:177], v[182:183]
	v_fma_f64 v[182:183], v[4:5], v[38:39], v[186:187]
	;; [unrolled: 18-line block ×4, first 2 shown]
	v_fma_f64 v[184:185], v[2:3], v[18:19], -v[20:21]
	scratch_load_b128 v[18:21], off, off offset:608
	ds_load_b128 v[2:5], v1 offset:1104
	s_waitcnt vmcnt(9) lgkmcnt(1)
	v_mul_f64 v[180:181], v[172:173], v[24:25]
	v_mul_f64 v[24:25], v[174:175], v[24:25]
	s_waitcnt vmcnt(8) lgkmcnt(0)
	v_mul_f64 v[186:187], v[2:3], v[28:29]
	v_mul_f64 v[28:29], v[4:5], v[28:29]
	v_add_f64 v[178:179], v[178:179], v[168:169]
	v_add_f64 v[176:177], v[176:177], v[170:171]
	ds_load_b128 v[168:171], v1 offset:1120
	v_fma_f64 v[174:175], v[174:175], v[22:23], v[180:181]
	v_fma_f64 v[22:23], v[172:173], v[22:23], -v[24:25]
	v_add_f64 v[24:25], v[178:179], v[184:185]
	v_add_f64 v[172:173], v[176:177], v[182:183]
	s_waitcnt vmcnt(7) lgkmcnt(0)
	v_mul_f64 v[176:177], v[168:169], v[32:33]
	v_mul_f64 v[32:33], v[170:171], v[32:33]
	v_fma_f64 v[178:179], v[4:5], v[26:27], v[186:187]
	v_fma_f64 v[26:27], v[2:3], v[26:27], -v[28:29]
	v_add_f64 v[28:29], v[24:25], v[22:23]
	v_add_f64 v[172:173], v[172:173], v[174:175]
	ds_load_b128 v[2:5], v1 offset:1136
	ds_load_b128 v[22:25], v1 offset:1152
	v_fma_f64 v[170:171], v[170:171], v[30:31], v[176:177]
	v_fma_f64 v[30:31], v[168:169], v[30:31], -v[32:33]
	s_waitcnt vmcnt(6) lgkmcnt(1)
	v_mul_f64 v[174:175], v[2:3], v[36:37]
	v_mul_f64 v[36:37], v[4:5], v[36:37]
	s_waitcnt vmcnt(5) lgkmcnt(0)
	v_mul_f64 v[32:33], v[22:23], v[166:167]
	v_mul_f64 v[166:167], v[24:25], v[166:167]
	v_add_f64 v[26:27], v[28:29], v[26:27]
	v_add_f64 v[28:29], v[172:173], v[178:179]
	v_fma_f64 v[168:169], v[4:5], v[34:35], v[174:175]
	v_fma_f64 v[34:35], v[2:3], v[34:35], -v[36:37]
	v_fma_f64 v[24:25], v[24:25], v[164:165], v[32:33]
	v_fma_f64 v[22:23], v[22:23], v[164:165], -v[166:167]
	v_add_f64 v[30:31], v[26:27], v[30:31]
	v_add_f64 v[36:37], v[28:29], v[170:171]
	ds_load_b128 v[2:5], v1 offset:1168
	ds_load_b128 v[26:29], v1 offset:1184
	s_waitcnt vmcnt(4) lgkmcnt(1)
	v_mul_f64 v[170:171], v[2:3], v[40:41]
	v_mul_f64 v[40:41], v[4:5], v[40:41]
	v_add_f64 v[30:31], v[30:31], v[34:35]
	v_add_f64 v[32:33], v[36:37], v[168:169]
	s_waitcnt vmcnt(3) lgkmcnt(0)
	v_mul_f64 v[34:35], v[26:27], v[8:9]
	v_mul_f64 v[8:9], v[28:29], v[8:9]
	v_fma_f64 v[36:37], v[4:5], v[38:39], v[170:171]
	v_fma_f64 v[38:39], v[2:3], v[38:39], -v[40:41]
	v_add_f64 v[30:31], v[30:31], v[22:23]
	v_add_f64 v[32:33], v[32:33], v[24:25]
	ds_load_b128 v[2:5], v1 offset:1200
	ds_load_b128 v[22:25], v1 offset:1216
	v_fma_f64 v[28:29], v[28:29], v[6:7], v[34:35]
	v_fma_f64 v[6:7], v[26:27], v[6:7], -v[8:9]
	s_waitcnt vmcnt(2) lgkmcnt(1)
	v_mul_f64 v[40:41], v[2:3], v[12:13]
	v_mul_f64 v[12:13], v[4:5], v[12:13]
	v_add_f64 v[8:9], v[30:31], v[38:39]
	v_add_f64 v[26:27], v[32:33], v[36:37]
	s_waitcnt vmcnt(1) lgkmcnt(0)
	v_mul_f64 v[30:31], v[22:23], v[16:17]
	v_mul_f64 v[16:17], v[24:25], v[16:17]
	v_fma_f64 v[32:33], v[4:5], v[10:11], v[40:41]
	v_fma_f64 v[10:11], v[2:3], v[10:11], -v[12:13]
	ds_load_b128 v[2:5], v1 offset:1232
	v_add_f64 v[6:7], v[8:9], v[6:7]
	v_add_f64 v[8:9], v[26:27], v[28:29]
	v_fma_f64 v[24:25], v[24:25], v[14:15], v[30:31]
	v_fma_f64 v[14:15], v[22:23], v[14:15], -v[16:17]
	s_waitcnt vmcnt(0) lgkmcnt(0)
	v_mul_f64 v[12:13], v[2:3], v[20:21]
	v_mul_f64 v[20:21], v[4:5], v[20:21]
	v_add_f64 v[6:7], v[6:7], v[10:11]
	v_add_f64 v[8:9], v[8:9], v[32:33]
	s_delay_alu instid0(VALU_DEP_4) | instskip(NEXT) | instid1(VALU_DEP_4)
	v_fma_f64 v[4:5], v[4:5], v[18:19], v[12:13]
	v_fma_f64 v[2:3], v[2:3], v[18:19], -v[20:21]
	s_delay_alu instid0(VALU_DEP_4) | instskip(NEXT) | instid1(VALU_DEP_4)
	v_add_f64 v[6:7], v[6:7], v[14:15]
	v_add_f64 v[8:9], v[8:9], v[24:25]
	s_delay_alu instid0(VALU_DEP_2) | instskip(NEXT) | instid1(VALU_DEP_2)
	v_add_f64 v[2:3], v[6:7], v[2:3]
	v_add_f64 v[4:5], v[8:9], v[4:5]
	s_delay_alu instid0(VALU_DEP_2) | instskip(NEXT) | instid1(VALU_DEP_2)
	v_add_f64 v[2:3], v[42:43], -v[2:3]
	v_add_f64 v[4:5], v[44:45], -v[4:5]
	scratch_store_b128 off, v[2:5], off offset:48
	v_cmpx_lt_u32_e32 2, v124
	s_cbranch_execz .LBB102_243
; %bb.242:
	scratch_load_b128 v[5:8], v127, off
	v_mov_b32_e32 v2, v1
	v_mov_b32_e32 v3, v1
	;; [unrolled: 1-line block ×3, first 2 shown]
	scratch_store_b128 off, v[1:4], off offset:32
	s_waitcnt vmcnt(0)
	ds_store_b128 v163, v[5:8]
.LBB102_243:
	s_or_b32 exec_lo, exec_lo, s2
	s_waitcnt lgkmcnt(0)
	s_waitcnt_vscnt null, 0x0
	s_barrier
	buffer_gl0_inv
	s_clause 0x8
	scratch_load_b128 v[2:5], off, off offset:48
	scratch_load_b128 v[6:9], off, off offset:64
	;; [unrolled: 1-line block ×9, first 2 shown]
	ds_load_b128 v[42:45], v1 offset:672
	ds_load_b128 v[38:41], v1 offset:688
	s_clause 0x1
	scratch_load_b128 v[164:167], off, off offset:32
	scratch_load_b128 v[168:171], off, off offset:192
	s_mov_b32 s2, exec_lo
	s_waitcnt vmcnt(10) lgkmcnt(1)
	v_mul_f64 v[172:173], v[44:45], v[4:5]
	v_mul_f64 v[4:5], v[42:43], v[4:5]
	s_waitcnt vmcnt(9) lgkmcnt(0)
	v_mul_f64 v[176:177], v[38:39], v[8:9]
	v_mul_f64 v[8:9], v[40:41], v[8:9]
	s_delay_alu instid0(VALU_DEP_4) | instskip(NEXT) | instid1(VALU_DEP_4)
	v_fma_f64 v[178:179], v[42:43], v[2:3], -v[172:173]
	v_fma_f64 v[180:181], v[44:45], v[2:3], v[4:5]
	ds_load_b128 v[2:5], v1 offset:704
	ds_load_b128 v[172:175], v1 offset:720
	scratch_load_b128 v[42:45], off, off offset:208
	v_fma_f64 v[40:41], v[40:41], v[6:7], v[176:177]
	v_fma_f64 v[38:39], v[38:39], v[6:7], -v[8:9]
	scratch_load_b128 v[6:9], off, off offset:224
	s_waitcnt vmcnt(10) lgkmcnt(1)
	v_mul_f64 v[182:183], v[2:3], v[12:13]
	v_mul_f64 v[12:13], v[4:5], v[12:13]
	v_add_f64 v[176:177], v[178:179], 0
	v_add_f64 v[178:179], v[180:181], 0
	s_waitcnt vmcnt(9) lgkmcnt(0)
	v_mul_f64 v[180:181], v[172:173], v[16:17]
	v_mul_f64 v[16:17], v[174:175], v[16:17]
	v_fma_f64 v[182:183], v[4:5], v[10:11], v[182:183]
	v_fma_f64 v[184:185], v[2:3], v[10:11], -v[12:13]
	ds_load_b128 v[2:5], v1 offset:736
	scratch_load_b128 v[10:13], off, off offset:240
	v_add_f64 v[176:177], v[176:177], v[38:39]
	v_add_f64 v[178:179], v[178:179], v[40:41]
	ds_load_b128 v[38:41], v1 offset:752
	v_fma_f64 v[174:175], v[174:175], v[14:15], v[180:181]
	v_fma_f64 v[172:173], v[172:173], v[14:15], -v[16:17]
	scratch_load_b128 v[14:17], off, off offset:256
	s_waitcnt vmcnt(10) lgkmcnt(1)
	v_mul_f64 v[186:187], v[2:3], v[20:21]
	v_mul_f64 v[20:21], v[4:5], v[20:21]
	s_waitcnt vmcnt(9) lgkmcnt(0)
	v_mul_f64 v[180:181], v[38:39], v[24:25]
	v_mul_f64 v[24:25], v[40:41], v[24:25]
	v_add_f64 v[176:177], v[176:177], v[184:185]
	v_add_f64 v[178:179], v[178:179], v[182:183]
	v_fma_f64 v[182:183], v[4:5], v[18:19], v[186:187]
	v_fma_f64 v[184:185], v[2:3], v[18:19], -v[20:21]
	ds_load_b128 v[2:5], v1 offset:768
	scratch_load_b128 v[18:21], off, off offset:272
	v_fma_f64 v[40:41], v[40:41], v[22:23], v[180:181]
	v_fma_f64 v[38:39], v[38:39], v[22:23], -v[24:25]
	scratch_load_b128 v[22:25], off, off offset:288
	v_add_f64 v[176:177], v[176:177], v[172:173]
	v_add_f64 v[178:179], v[178:179], v[174:175]
	ds_load_b128 v[172:175], v1 offset:784
	s_waitcnt vmcnt(10) lgkmcnt(1)
	v_mul_f64 v[186:187], v[2:3], v[28:29]
	v_mul_f64 v[28:29], v[4:5], v[28:29]
	s_waitcnt vmcnt(9) lgkmcnt(0)
	v_mul_f64 v[180:181], v[172:173], v[32:33]
	v_mul_f64 v[32:33], v[174:175], v[32:33]
	v_add_f64 v[176:177], v[176:177], v[184:185]
	v_add_f64 v[178:179], v[178:179], v[182:183]
	v_fma_f64 v[182:183], v[4:5], v[26:27], v[186:187]
	v_fma_f64 v[184:185], v[2:3], v[26:27], -v[28:29]
	ds_load_b128 v[2:5], v1 offset:800
	scratch_load_b128 v[26:29], off, off offset:304
	v_fma_f64 v[174:175], v[174:175], v[30:31], v[180:181]
	v_fma_f64 v[172:173], v[172:173], v[30:31], -v[32:33]
	scratch_load_b128 v[30:33], off, off offset:320
	v_add_f64 v[176:177], v[176:177], v[38:39]
	v_add_f64 v[178:179], v[178:179], v[40:41]
	ds_load_b128 v[38:41], v1 offset:816
	s_waitcnt vmcnt(10) lgkmcnt(1)
	v_mul_f64 v[186:187], v[2:3], v[36:37]
	v_mul_f64 v[36:37], v[4:5], v[36:37]
	s_waitcnt vmcnt(8) lgkmcnt(0)
	v_mul_f64 v[180:181], v[38:39], v[170:171]
	v_add_f64 v[176:177], v[176:177], v[184:185]
	v_add_f64 v[178:179], v[178:179], v[182:183]
	v_mul_f64 v[182:183], v[40:41], v[170:171]
	v_fma_f64 v[184:185], v[4:5], v[34:35], v[186:187]
	v_fma_f64 v[186:187], v[2:3], v[34:35], -v[36:37]
	ds_load_b128 v[2:5], v1 offset:832
	scratch_load_b128 v[34:37], off, off offset:336
	v_fma_f64 v[180:181], v[40:41], v[168:169], v[180:181]
	v_add_f64 v[176:177], v[176:177], v[172:173]
	v_add_f64 v[174:175], v[178:179], v[174:175]
	ds_load_b128 v[170:173], v1 offset:848
	v_fma_f64 v[168:169], v[38:39], v[168:169], -v[182:183]
	scratch_load_b128 v[38:41], off, off offset:352
	s_waitcnt vmcnt(9) lgkmcnt(1)
	v_mul_f64 v[178:179], v[2:3], v[44:45]
	v_mul_f64 v[44:45], v[4:5], v[44:45]
	s_waitcnt vmcnt(8) lgkmcnt(0)
	v_mul_f64 v[182:183], v[170:171], v[8:9]
	v_mul_f64 v[8:9], v[172:173], v[8:9]
	v_add_f64 v[176:177], v[176:177], v[186:187]
	v_add_f64 v[174:175], v[174:175], v[184:185]
	v_fma_f64 v[178:179], v[4:5], v[42:43], v[178:179]
	v_fma_f64 v[184:185], v[2:3], v[42:43], -v[44:45]
	ds_load_b128 v[2:5], v1 offset:864
	scratch_load_b128 v[42:45], off, off offset:368
	v_fma_f64 v[172:173], v[172:173], v[6:7], v[182:183]
	v_fma_f64 v[170:171], v[170:171], v[6:7], -v[8:9]
	scratch_load_b128 v[6:9], off, off offset:384
	v_add_f64 v[168:169], v[176:177], v[168:169]
	v_add_f64 v[180:181], v[174:175], v[180:181]
	ds_load_b128 v[174:177], v1 offset:880
	s_waitcnt vmcnt(9) lgkmcnt(1)
	v_mul_f64 v[186:187], v[2:3], v[12:13]
	v_mul_f64 v[12:13], v[4:5], v[12:13]
	v_add_f64 v[168:169], v[168:169], v[184:185]
	v_add_f64 v[178:179], v[180:181], v[178:179]
	s_waitcnt vmcnt(8) lgkmcnt(0)
	v_mul_f64 v[180:181], v[174:175], v[16:17]
	v_mul_f64 v[16:17], v[176:177], v[16:17]
	v_fma_f64 v[182:183], v[4:5], v[10:11], v[186:187]
	v_fma_f64 v[184:185], v[2:3], v[10:11], -v[12:13]
	ds_load_b128 v[2:5], v1 offset:896
	scratch_load_b128 v[10:13], off, off offset:400
	v_add_f64 v[186:187], v[168:169], v[170:171]
	v_add_f64 v[172:173], v[178:179], v[172:173]
	ds_load_b128 v[168:171], v1 offset:912
	s_waitcnt vmcnt(8) lgkmcnt(1)
	v_mul_f64 v[178:179], v[2:3], v[20:21]
	v_mul_f64 v[20:21], v[4:5], v[20:21]
	v_fma_f64 v[176:177], v[176:177], v[14:15], v[180:181]
	v_fma_f64 v[174:175], v[174:175], v[14:15], -v[16:17]
	scratch_load_b128 v[14:17], off, off offset:416
	v_add_f64 v[180:181], v[186:187], v[184:185]
	v_add_f64 v[172:173], v[172:173], v[182:183]
	s_waitcnt vmcnt(8) lgkmcnt(0)
	v_mul_f64 v[182:183], v[168:169], v[24:25]
	v_mul_f64 v[24:25], v[170:171], v[24:25]
	v_fma_f64 v[178:179], v[4:5], v[18:19], v[178:179]
	v_fma_f64 v[184:185], v[2:3], v[18:19], -v[20:21]
	ds_load_b128 v[2:5], v1 offset:928
	scratch_load_b128 v[18:21], off, off offset:432
	v_add_f64 v[180:181], v[180:181], v[174:175]
	v_add_f64 v[176:177], v[172:173], v[176:177]
	ds_load_b128 v[172:175], v1 offset:944
	s_waitcnt vmcnt(8) lgkmcnt(1)
	v_mul_f64 v[186:187], v[2:3], v[28:29]
	v_mul_f64 v[28:29], v[4:5], v[28:29]
	v_fma_f64 v[170:171], v[170:171], v[22:23], v[182:183]
	v_fma_f64 v[168:169], v[168:169], v[22:23], -v[24:25]
	scratch_load_b128 v[22:25], off, off offset:448
	;; [unrolled: 18-line block ×4, first 2 shown]
	s_waitcnt vmcnt(8) lgkmcnt(0)
	v_mul_f64 v[180:181], v[172:173], v[8:9]
	v_mul_f64 v[8:9], v[174:175], v[8:9]
	v_add_f64 v[178:179], v[178:179], v[184:185]
	v_add_f64 v[176:177], v[176:177], v[182:183]
	v_fma_f64 v[182:183], v[4:5], v[42:43], v[186:187]
	v_fma_f64 v[184:185], v[2:3], v[42:43], -v[44:45]
	ds_load_b128 v[2:5], v1 offset:1024
	scratch_load_b128 v[42:45], off, off offset:528
	v_fma_f64 v[174:175], v[174:175], v[6:7], v[180:181]
	v_fma_f64 v[172:173], v[172:173], v[6:7], -v[8:9]
	scratch_load_b128 v[6:9], off, off offset:544
	v_add_f64 v[178:179], v[178:179], v[168:169]
	v_add_f64 v[176:177], v[176:177], v[170:171]
	ds_load_b128 v[168:171], v1 offset:1040
	s_waitcnt vmcnt(9) lgkmcnt(1)
	v_mul_f64 v[186:187], v[2:3], v[12:13]
	v_mul_f64 v[12:13], v[4:5], v[12:13]
	s_waitcnt vmcnt(8) lgkmcnt(0)
	v_mul_f64 v[180:181], v[168:169], v[16:17]
	v_mul_f64 v[16:17], v[170:171], v[16:17]
	v_add_f64 v[178:179], v[178:179], v[184:185]
	v_add_f64 v[176:177], v[176:177], v[182:183]
	v_fma_f64 v[182:183], v[4:5], v[10:11], v[186:187]
	v_fma_f64 v[184:185], v[2:3], v[10:11], -v[12:13]
	ds_load_b128 v[2:5], v1 offset:1056
	scratch_load_b128 v[10:13], off, off offset:560
	v_fma_f64 v[170:171], v[170:171], v[14:15], v[180:181]
	v_fma_f64 v[168:169], v[168:169], v[14:15], -v[16:17]
	scratch_load_b128 v[14:17], off, off offset:576
	v_add_f64 v[178:179], v[178:179], v[172:173]
	v_add_f64 v[176:177], v[176:177], v[174:175]
	ds_load_b128 v[172:175], v1 offset:1072
	s_waitcnt vmcnt(9) lgkmcnt(1)
	v_mul_f64 v[186:187], v[2:3], v[20:21]
	v_mul_f64 v[20:21], v[4:5], v[20:21]
	;; [unrolled: 18-line block ×3, first 2 shown]
	s_waitcnt vmcnt(8) lgkmcnt(0)
	v_mul_f64 v[180:181], v[168:169], v[32:33]
	v_mul_f64 v[32:33], v[170:171], v[32:33]
	v_add_f64 v[178:179], v[178:179], v[184:185]
	v_add_f64 v[176:177], v[176:177], v[182:183]
	v_fma_f64 v[182:183], v[4:5], v[26:27], v[186:187]
	v_fma_f64 v[184:185], v[2:3], v[26:27], -v[28:29]
	ds_load_b128 v[2:5], v1 offset:1120
	ds_load_b128 v[26:29], v1 offset:1136
	v_fma_f64 v[170:171], v[170:171], v[30:31], v[180:181]
	v_fma_f64 v[30:31], v[168:169], v[30:31], -v[32:33]
	v_add_f64 v[172:173], v[178:179], v[172:173]
	v_add_f64 v[174:175], v[176:177], v[174:175]
	s_waitcnt vmcnt(7) lgkmcnt(1)
	v_mul_f64 v[176:177], v[2:3], v[36:37]
	v_mul_f64 v[36:37], v[4:5], v[36:37]
	s_delay_alu instid0(VALU_DEP_4) | instskip(NEXT) | instid1(VALU_DEP_4)
	v_add_f64 v[32:33], v[172:173], v[184:185]
	v_add_f64 v[168:169], v[174:175], v[182:183]
	s_waitcnt vmcnt(6) lgkmcnt(0)
	v_mul_f64 v[172:173], v[26:27], v[40:41]
	v_mul_f64 v[40:41], v[28:29], v[40:41]
	v_fma_f64 v[174:175], v[4:5], v[34:35], v[176:177]
	v_fma_f64 v[34:35], v[2:3], v[34:35], -v[36:37]
	v_add_f64 v[36:37], v[32:33], v[30:31]
	v_add_f64 v[168:169], v[168:169], v[170:171]
	ds_load_b128 v[2:5], v1 offset:1152
	ds_load_b128 v[30:33], v1 offset:1168
	v_fma_f64 v[28:29], v[28:29], v[38:39], v[172:173]
	v_fma_f64 v[26:27], v[26:27], v[38:39], -v[40:41]
	s_waitcnt vmcnt(5) lgkmcnt(1)
	v_mul_f64 v[170:171], v[2:3], v[44:45]
	v_mul_f64 v[44:45], v[4:5], v[44:45]
	s_waitcnt vmcnt(4) lgkmcnt(0)
	v_mul_f64 v[38:39], v[30:31], v[8:9]
	v_mul_f64 v[8:9], v[32:33], v[8:9]
	v_add_f64 v[34:35], v[36:37], v[34:35]
	v_add_f64 v[36:37], v[168:169], v[174:175]
	v_fma_f64 v[40:41], v[4:5], v[42:43], v[170:171]
	v_fma_f64 v[42:43], v[2:3], v[42:43], -v[44:45]
	v_fma_f64 v[32:33], v[32:33], v[6:7], v[38:39]
	v_fma_f64 v[6:7], v[30:31], v[6:7], -v[8:9]
	v_add_f64 v[34:35], v[34:35], v[26:27]
	v_add_f64 v[36:37], v[36:37], v[28:29]
	ds_load_b128 v[2:5], v1 offset:1184
	ds_load_b128 v[26:29], v1 offset:1200
	s_waitcnt vmcnt(3) lgkmcnt(1)
	v_mul_f64 v[44:45], v[2:3], v[12:13]
	v_mul_f64 v[12:13], v[4:5], v[12:13]
	v_add_f64 v[8:9], v[34:35], v[42:43]
	v_add_f64 v[30:31], v[36:37], v[40:41]
	s_waitcnt vmcnt(2) lgkmcnt(0)
	v_mul_f64 v[34:35], v[26:27], v[16:17]
	v_mul_f64 v[16:17], v[28:29], v[16:17]
	v_fma_f64 v[36:37], v[4:5], v[10:11], v[44:45]
	v_fma_f64 v[10:11], v[2:3], v[10:11], -v[12:13]
	v_add_f64 v[12:13], v[8:9], v[6:7]
	v_add_f64 v[30:31], v[30:31], v[32:33]
	ds_load_b128 v[2:5], v1 offset:1216
	ds_load_b128 v[6:9], v1 offset:1232
	v_fma_f64 v[28:29], v[28:29], v[14:15], v[34:35]
	v_fma_f64 v[14:15], v[26:27], v[14:15], -v[16:17]
	s_waitcnt vmcnt(1) lgkmcnt(1)
	v_mul_f64 v[32:33], v[2:3], v[20:21]
	v_mul_f64 v[20:21], v[4:5], v[20:21]
	s_waitcnt vmcnt(0) lgkmcnt(0)
	v_mul_f64 v[16:17], v[6:7], v[24:25]
	v_mul_f64 v[24:25], v[8:9], v[24:25]
	v_add_f64 v[10:11], v[12:13], v[10:11]
	v_add_f64 v[12:13], v[30:31], v[36:37]
	v_fma_f64 v[4:5], v[4:5], v[18:19], v[32:33]
	v_fma_f64 v[1:2], v[2:3], v[18:19], -v[20:21]
	v_fma_f64 v[8:9], v[8:9], v[22:23], v[16:17]
	v_fma_f64 v[6:7], v[6:7], v[22:23], -v[24:25]
	v_add_f64 v[10:11], v[10:11], v[14:15]
	v_add_f64 v[12:13], v[12:13], v[28:29]
	s_delay_alu instid0(VALU_DEP_2) | instskip(NEXT) | instid1(VALU_DEP_2)
	v_add_f64 v[1:2], v[10:11], v[1:2]
	v_add_f64 v[3:4], v[12:13], v[4:5]
	s_delay_alu instid0(VALU_DEP_2) | instskip(NEXT) | instid1(VALU_DEP_2)
	;; [unrolled: 3-line block ×3, first 2 shown]
	v_add_f64 v[1:2], v[164:165], -v[1:2]
	v_add_f64 v[3:4], v[166:167], -v[3:4]
	scratch_store_b128 off, v[1:4], off offset:32
	v_cmpx_lt_u32_e32 1, v124
	s_cbranch_execz .LBB102_245
; %bb.244:
	scratch_load_b128 v[1:4], v128, off
	v_mov_b32_e32 v5, 0
	s_delay_alu instid0(VALU_DEP_1)
	v_mov_b32_e32 v6, v5
	v_mov_b32_e32 v7, v5
	v_mov_b32_e32 v8, v5
	scratch_store_b128 off, v[5:8], off offset:16
	s_waitcnt vmcnt(0)
	ds_store_b128 v163, v[1:4]
.LBB102_245:
	s_or_b32 exec_lo, exec_lo, s2
	s_waitcnt lgkmcnt(0)
	s_waitcnt_vscnt null, 0x0
	s_barrier
	buffer_gl0_inv
	s_clause 0x7
	scratch_load_b128 v[2:5], off, off offset:32
	scratch_load_b128 v[6:9], off, off offset:48
	;; [unrolled: 1-line block ×8, first 2 shown]
	v_mov_b32_e32 v1, 0
	s_mov_b32 s2, exec_lo
	ds_load_b128 v[38:41], v1 offset:656
	s_clause 0x1
	scratch_load_b128 v[34:37], off, off offset:160
	scratch_load_b128 v[42:45], off, off offset:16
	ds_load_b128 v[164:167], v1 offset:672
	scratch_load_b128 v[168:171], off, off offset:176
	s_waitcnt vmcnt(10) lgkmcnt(1)
	v_mul_f64 v[172:173], v[40:41], v[4:5]
	v_mul_f64 v[4:5], v[38:39], v[4:5]
	s_delay_alu instid0(VALU_DEP_2) | instskip(NEXT) | instid1(VALU_DEP_2)
	v_fma_f64 v[178:179], v[38:39], v[2:3], -v[172:173]
	v_fma_f64 v[180:181], v[40:41], v[2:3], v[4:5]
	scratch_load_b128 v[38:41], off, off offset:192
	ds_load_b128 v[2:5], v1 offset:688
	s_waitcnt vmcnt(10) lgkmcnt(1)
	v_mul_f64 v[176:177], v[164:165], v[8:9]
	v_mul_f64 v[8:9], v[166:167], v[8:9]
	ds_load_b128 v[172:175], v1 offset:704
	s_waitcnt vmcnt(9) lgkmcnt(1)
	v_mul_f64 v[182:183], v[2:3], v[12:13]
	v_mul_f64 v[12:13], v[4:5], v[12:13]
	v_fma_f64 v[166:167], v[166:167], v[6:7], v[176:177]
	v_fma_f64 v[164:165], v[164:165], v[6:7], -v[8:9]
	v_add_f64 v[176:177], v[178:179], 0
	v_add_f64 v[178:179], v[180:181], 0
	scratch_load_b128 v[6:9], off, off offset:208
	v_fma_f64 v[182:183], v[4:5], v[10:11], v[182:183]
	v_fma_f64 v[184:185], v[2:3], v[10:11], -v[12:13]
	scratch_load_b128 v[10:13], off, off offset:224
	ds_load_b128 v[2:5], v1 offset:720
	s_waitcnt vmcnt(10) lgkmcnt(1)
	v_mul_f64 v[180:181], v[172:173], v[16:17]
	v_mul_f64 v[16:17], v[174:175], v[16:17]
	v_add_f64 v[176:177], v[176:177], v[164:165]
	v_add_f64 v[178:179], v[178:179], v[166:167]
	s_waitcnt vmcnt(9) lgkmcnt(0)
	v_mul_f64 v[186:187], v[2:3], v[20:21]
	v_mul_f64 v[20:21], v[4:5], v[20:21]
	ds_load_b128 v[164:167], v1 offset:736
	v_fma_f64 v[174:175], v[174:175], v[14:15], v[180:181]
	v_fma_f64 v[172:173], v[172:173], v[14:15], -v[16:17]
	scratch_load_b128 v[14:17], off, off offset:240
	v_add_f64 v[176:177], v[176:177], v[184:185]
	v_add_f64 v[178:179], v[178:179], v[182:183]
	v_fma_f64 v[182:183], v[4:5], v[18:19], v[186:187]
	v_fma_f64 v[184:185], v[2:3], v[18:19], -v[20:21]
	scratch_load_b128 v[18:21], off, off offset:256
	ds_load_b128 v[2:5], v1 offset:752
	s_waitcnt vmcnt(10) lgkmcnt(1)
	v_mul_f64 v[180:181], v[164:165], v[24:25]
	v_mul_f64 v[24:25], v[166:167], v[24:25]
	s_waitcnt vmcnt(9) lgkmcnt(0)
	v_mul_f64 v[186:187], v[2:3], v[28:29]
	v_mul_f64 v[28:29], v[4:5], v[28:29]
	v_add_f64 v[176:177], v[176:177], v[172:173]
	v_add_f64 v[178:179], v[178:179], v[174:175]
	ds_load_b128 v[172:175], v1 offset:768
	v_fma_f64 v[166:167], v[166:167], v[22:23], v[180:181]
	v_fma_f64 v[164:165], v[164:165], v[22:23], -v[24:25]
	scratch_load_b128 v[22:25], off, off offset:272
	v_add_f64 v[176:177], v[176:177], v[184:185]
	v_add_f64 v[178:179], v[178:179], v[182:183]
	v_fma_f64 v[182:183], v[4:5], v[26:27], v[186:187]
	v_fma_f64 v[184:185], v[2:3], v[26:27], -v[28:29]
	scratch_load_b128 v[26:29], off, off offset:288
	ds_load_b128 v[2:5], v1 offset:784
	s_waitcnt vmcnt(10) lgkmcnt(1)
	v_mul_f64 v[180:181], v[172:173], v[32:33]
	v_mul_f64 v[32:33], v[174:175], v[32:33]
	s_waitcnt vmcnt(9) lgkmcnt(0)
	v_mul_f64 v[186:187], v[2:3], v[36:37]
	v_mul_f64 v[36:37], v[4:5], v[36:37]
	v_add_f64 v[176:177], v[176:177], v[164:165]
	v_add_f64 v[178:179], v[178:179], v[166:167]
	ds_load_b128 v[164:167], v1 offset:800
	v_fma_f64 v[174:175], v[174:175], v[30:31], v[180:181]
	v_fma_f64 v[172:173], v[172:173], v[30:31], -v[32:33]
	scratch_load_b128 v[30:33], off, off offset:304
	v_add_f64 v[176:177], v[176:177], v[184:185]
	v_add_f64 v[178:179], v[178:179], v[182:183]
	v_fma_f64 v[184:185], v[4:5], v[34:35], v[186:187]
	v_fma_f64 v[186:187], v[2:3], v[34:35], -v[36:37]
	scratch_load_b128 v[34:37], off, off offset:320
	ds_load_b128 v[2:5], v1 offset:816
	s_waitcnt vmcnt(9) lgkmcnt(1)
	v_mul_f64 v[180:181], v[164:165], v[170:171]
	v_mul_f64 v[182:183], v[166:167], v[170:171]
	v_add_f64 v[176:177], v[176:177], v[172:173]
	v_add_f64 v[174:175], v[178:179], v[174:175]
	ds_load_b128 v[170:173], v1 offset:832
	v_fma_f64 v[180:181], v[166:167], v[168:169], v[180:181]
	v_fma_f64 v[168:169], v[164:165], v[168:169], -v[182:183]
	scratch_load_b128 v[164:167], off, off offset:336
	s_waitcnt vmcnt(9) lgkmcnt(1)
	v_mul_f64 v[178:179], v[2:3], v[40:41]
	v_mul_f64 v[40:41], v[4:5], v[40:41]
	v_add_f64 v[176:177], v[176:177], v[186:187]
	v_add_f64 v[174:175], v[174:175], v[184:185]
	s_delay_alu instid0(VALU_DEP_4) | instskip(NEXT) | instid1(VALU_DEP_4)
	v_fma_f64 v[178:179], v[4:5], v[38:39], v[178:179]
	v_fma_f64 v[184:185], v[2:3], v[38:39], -v[40:41]
	scratch_load_b128 v[38:41], off, off offset:352
	ds_load_b128 v[2:5], v1 offset:848
	s_waitcnt vmcnt(9) lgkmcnt(1)
	v_mul_f64 v[182:183], v[170:171], v[8:9]
	v_mul_f64 v[8:9], v[172:173], v[8:9]
	s_waitcnt vmcnt(8) lgkmcnt(0)
	v_mul_f64 v[186:187], v[2:3], v[12:13]
	v_mul_f64 v[12:13], v[4:5], v[12:13]
	v_add_f64 v[168:169], v[176:177], v[168:169]
	v_add_f64 v[180:181], v[174:175], v[180:181]
	ds_load_b128 v[174:177], v1 offset:864
	v_fma_f64 v[172:173], v[172:173], v[6:7], v[182:183]
	v_fma_f64 v[170:171], v[170:171], v[6:7], -v[8:9]
	scratch_load_b128 v[6:9], off, off offset:368
	v_fma_f64 v[182:183], v[4:5], v[10:11], v[186:187]
	v_add_f64 v[168:169], v[168:169], v[184:185]
	v_add_f64 v[178:179], v[180:181], v[178:179]
	v_fma_f64 v[184:185], v[2:3], v[10:11], -v[12:13]
	scratch_load_b128 v[10:13], off, off offset:384
	ds_load_b128 v[2:5], v1 offset:880
	s_waitcnt vmcnt(9) lgkmcnt(1)
	v_mul_f64 v[180:181], v[174:175], v[16:17]
	v_mul_f64 v[16:17], v[176:177], v[16:17]
	v_add_f64 v[186:187], v[168:169], v[170:171]
	v_add_f64 v[172:173], v[178:179], v[172:173]
	s_waitcnt vmcnt(8) lgkmcnt(0)
	v_mul_f64 v[178:179], v[2:3], v[20:21]
	v_mul_f64 v[20:21], v[4:5], v[20:21]
	ds_load_b128 v[168:171], v1 offset:896
	v_fma_f64 v[176:177], v[176:177], v[14:15], v[180:181]
	v_fma_f64 v[174:175], v[174:175], v[14:15], -v[16:17]
	scratch_load_b128 v[14:17], off, off offset:400
	v_add_f64 v[180:181], v[186:187], v[184:185]
	v_add_f64 v[172:173], v[172:173], v[182:183]
	v_fma_f64 v[178:179], v[4:5], v[18:19], v[178:179]
	v_fma_f64 v[184:185], v[2:3], v[18:19], -v[20:21]
	scratch_load_b128 v[18:21], off, off offset:416
	ds_load_b128 v[2:5], v1 offset:912
	s_waitcnt vmcnt(9) lgkmcnt(1)
	v_mul_f64 v[182:183], v[168:169], v[24:25]
	v_mul_f64 v[24:25], v[170:171], v[24:25]
	s_waitcnt vmcnt(8) lgkmcnt(0)
	v_mul_f64 v[186:187], v[2:3], v[28:29]
	v_mul_f64 v[28:29], v[4:5], v[28:29]
	v_add_f64 v[180:181], v[180:181], v[174:175]
	v_add_f64 v[176:177], v[172:173], v[176:177]
	ds_load_b128 v[172:175], v1 offset:928
	v_fma_f64 v[170:171], v[170:171], v[22:23], v[182:183]
	v_fma_f64 v[168:169], v[168:169], v[22:23], -v[24:25]
	scratch_load_b128 v[22:25], off, off offset:432
	v_fma_f64 v[182:183], v[4:5], v[26:27], v[186:187]
	v_add_f64 v[180:181], v[180:181], v[184:185]
	v_add_f64 v[176:177], v[176:177], v[178:179]
	v_fma_f64 v[184:185], v[2:3], v[26:27], -v[28:29]
	scratch_load_b128 v[26:29], off, off offset:448
	ds_load_b128 v[2:5], v1 offset:944
	s_waitcnt vmcnt(9) lgkmcnt(1)
	v_mul_f64 v[178:179], v[172:173], v[32:33]
	v_mul_f64 v[32:33], v[174:175], v[32:33]
	s_waitcnt vmcnt(8) lgkmcnt(0)
	v_mul_f64 v[186:187], v[2:3], v[36:37]
	v_mul_f64 v[36:37], v[4:5], v[36:37]
	v_add_f64 v[180:181], v[180:181], v[168:169]
	v_add_f64 v[176:177], v[176:177], v[170:171]
	ds_load_b128 v[168:171], v1 offset:960
	v_fma_f64 v[174:175], v[174:175], v[30:31], v[178:179]
	v_fma_f64 v[172:173], v[172:173], v[30:31], -v[32:33]
	scratch_load_b128 v[30:33], off, off offset:464
	v_add_f64 v[178:179], v[180:181], v[184:185]
	v_add_f64 v[176:177], v[176:177], v[182:183]
	v_fma_f64 v[182:183], v[4:5], v[34:35], v[186:187]
	v_fma_f64 v[184:185], v[2:3], v[34:35], -v[36:37]
	scratch_load_b128 v[34:37], off, off offset:480
	ds_load_b128 v[2:5], v1 offset:976
	s_waitcnt vmcnt(9) lgkmcnt(1)
	v_mul_f64 v[180:181], v[168:169], v[166:167]
	v_mul_f64 v[166:167], v[170:171], v[166:167]
	s_waitcnt vmcnt(8) lgkmcnt(0)
	v_mul_f64 v[186:187], v[2:3], v[40:41]
	v_mul_f64 v[40:41], v[4:5], v[40:41]
	v_add_f64 v[178:179], v[178:179], v[172:173]
	v_add_f64 v[176:177], v[176:177], v[174:175]
	ds_load_b128 v[172:175], v1 offset:992
	v_fma_f64 v[170:171], v[170:171], v[164:165], v[180:181]
	v_fma_f64 v[168:169], v[168:169], v[164:165], -v[166:167]
	scratch_load_b128 v[164:167], off, off offset:496
	v_add_f64 v[178:179], v[178:179], v[184:185]
	v_add_f64 v[176:177], v[176:177], v[182:183]
	v_fma_f64 v[182:183], v[4:5], v[38:39], v[186:187]
	;; [unrolled: 18-line block ×5, first 2 shown]
	v_fma_f64 v[184:185], v[2:3], v[26:27], -v[28:29]
	scratch_load_b128 v[26:29], off, off offset:608
	ds_load_b128 v[2:5], v1 offset:1104
	s_waitcnt vmcnt(9) lgkmcnt(1)
	v_mul_f64 v[180:181], v[168:169], v[32:33]
	v_mul_f64 v[32:33], v[170:171], v[32:33]
	s_waitcnt vmcnt(8) lgkmcnt(0)
	v_mul_f64 v[186:187], v[2:3], v[36:37]
	v_mul_f64 v[36:37], v[4:5], v[36:37]
	v_add_f64 v[178:179], v[178:179], v[172:173]
	v_add_f64 v[176:177], v[176:177], v[174:175]
	ds_load_b128 v[172:175], v1 offset:1120
	v_fma_f64 v[170:171], v[170:171], v[30:31], v[180:181]
	v_fma_f64 v[30:31], v[168:169], v[30:31], -v[32:33]
	v_add_f64 v[32:33], v[178:179], v[184:185]
	v_add_f64 v[168:169], v[176:177], v[182:183]
	s_waitcnt vmcnt(7) lgkmcnt(0)
	v_mul_f64 v[176:177], v[172:173], v[166:167]
	v_mul_f64 v[166:167], v[174:175], v[166:167]
	v_fma_f64 v[178:179], v[4:5], v[34:35], v[186:187]
	v_fma_f64 v[34:35], v[2:3], v[34:35], -v[36:37]
	v_add_f64 v[36:37], v[32:33], v[30:31]
	v_add_f64 v[168:169], v[168:169], v[170:171]
	ds_load_b128 v[2:5], v1 offset:1136
	ds_load_b128 v[30:33], v1 offset:1152
	v_fma_f64 v[174:175], v[174:175], v[164:165], v[176:177]
	v_fma_f64 v[164:165], v[172:173], v[164:165], -v[166:167]
	s_waitcnt vmcnt(6) lgkmcnt(1)
	v_mul_f64 v[170:171], v[2:3], v[40:41]
	v_mul_f64 v[40:41], v[4:5], v[40:41]
	s_waitcnt vmcnt(5) lgkmcnt(0)
	v_mul_f64 v[166:167], v[30:31], v[8:9]
	v_mul_f64 v[8:9], v[32:33], v[8:9]
	v_add_f64 v[34:35], v[36:37], v[34:35]
	v_add_f64 v[36:37], v[168:169], v[178:179]
	v_fma_f64 v[168:169], v[4:5], v[38:39], v[170:171]
	v_fma_f64 v[38:39], v[2:3], v[38:39], -v[40:41]
	v_fma_f64 v[32:33], v[32:33], v[6:7], v[166:167]
	v_fma_f64 v[6:7], v[30:31], v[6:7], -v[8:9]
	v_add_f64 v[40:41], v[34:35], v[164:165]
	v_add_f64 v[164:165], v[36:37], v[174:175]
	ds_load_b128 v[2:5], v1 offset:1168
	ds_load_b128 v[34:37], v1 offset:1184
	s_waitcnt vmcnt(4) lgkmcnt(1)
	v_mul_f64 v[170:171], v[2:3], v[12:13]
	v_mul_f64 v[12:13], v[4:5], v[12:13]
	v_add_f64 v[8:9], v[40:41], v[38:39]
	v_add_f64 v[30:31], v[164:165], v[168:169]
	s_waitcnt vmcnt(3) lgkmcnt(0)
	v_mul_f64 v[38:39], v[34:35], v[16:17]
	v_mul_f64 v[16:17], v[36:37], v[16:17]
	v_fma_f64 v[40:41], v[4:5], v[10:11], v[170:171]
	v_fma_f64 v[10:11], v[2:3], v[10:11], -v[12:13]
	v_add_f64 v[12:13], v[8:9], v[6:7]
	v_add_f64 v[30:31], v[30:31], v[32:33]
	ds_load_b128 v[2:5], v1 offset:1200
	ds_load_b128 v[6:9], v1 offset:1216
	v_fma_f64 v[36:37], v[36:37], v[14:15], v[38:39]
	v_fma_f64 v[14:15], v[34:35], v[14:15], -v[16:17]
	s_waitcnt vmcnt(2) lgkmcnt(1)
	v_mul_f64 v[32:33], v[2:3], v[20:21]
	v_mul_f64 v[20:21], v[4:5], v[20:21]
	s_waitcnt vmcnt(1) lgkmcnt(0)
	v_mul_f64 v[16:17], v[6:7], v[24:25]
	v_mul_f64 v[24:25], v[8:9], v[24:25]
	v_add_f64 v[10:11], v[12:13], v[10:11]
	v_add_f64 v[12:13], v[30:31], v[40:41]
	v_fma_f64 v[30:31], v[4:5], v[18:19], v[32:33]
	v_fma_f64 v[18:19], v[2:3], v[18:19], -v[20:21]
	ds_load_b128 v[2:5], v1 offset:1232
	v_fma_f64 v[8:9], v[8:9], v[22:23], v[16:17]
	v_fma_f64 v[6:7], v[6:7], v[22:23], -v[24:25]
	v_add_f64 v[10:11], v[10:11], v[14:15]
	v_add_f64 v[12:13], v[12:13], v[36:37]
	s_waitcnt vmcnt(0) lgkmcnt(0)
	v_mul_f64 v[14:15], v[2:3], v[28:29]
	v_mul_f64 v[20:21], v[4:5], v[28:29]
	s_delay_alu instid0(VALU_DEP_4) | instskip(NEXT) | instid1(VALU_DEP_4)
	v_add_f64 v[10:11], v[10:11], v[18:19]
	v_add_f64 v[12:13], v[12:13], v[30:31]
	s_delay_alu instid0(VALU_DEP_4) | instskip(NEXT) | instid1(VALU_DEP_4)
	v_fma_f64 v[4:5], v[4:5], v[26:27], v[14:15]
	v_fma_f64 v[2:3], v[2:3], v[26:27], -v[20:21]
	s_delay_alu instid0(VALU_DEP_4) | instskip(NEXT) | instid1(VALU_DEP_4)
	v_add_f64 v[6:7], v[10:11], v[6:7]
	v_add_f64 v[8:9], v[12:13], v[8:9]
	s_delay_alu instid0(VALU_DEP_2) | instskip(NEXT) | instid1(VALU_DEP_2)
	v_add_f64 v[2:3], v[6:7], v[2:3]
	v_add_f64 v[4:5], v[8:9], v[4:5]
	s_delay_alu instid0(VALU_DEP_2) | instskip(NEXT) | instid1(VALU_DEP_2)
	v_add_f64 v[2:3], v[42:43], -v[2:3]
	v_add_f64 v[4:5], v[44:45], -v[4:5]
	scratch_store_b128 off, v[2:5], off offset:16
	v_cmpx_ne_u32_e32 0, v124
	s_cbranch_execz .LBB102_247
; %bb.246:
	scratch_load_b128 v[5:8], off, off
	v_mov_b32_e32 v2, v1
	v_mov_b32_e32 v3, v1
	;; [unrolled: 1-line block ×3, first 2 shown]
	scratch_store_b128 off, v[1:4], off
	s_waitcnt vmcnt(0)
	ds_store_b128 v163, v[5:8]
.LBB102_247:
	s_or_b32 exec_lo, exec_lo, s2
	s_waitcnt lgkmcnt(0)
	s_waitcnt_vscnt null, 0x0
	s_barrier
	buffer_gl0_inv
	s_clause 0x8
	scratch_load_b128 v[2:5], off, off offset:16
	scratch_load_b128 v[6:9], off, off offset:32
	;; [unrolled: 1-line block ×9, first 2 shown]
	ds_load_b128 v[42:45], v1 offset:640
	ds_load_b128 v[38:41], v1 offset:656
	s_clause 0x1
	scratch_load_b128 v[163:166], off, off
	scratch_load_b128 v[167:170], off, off offset:160
	s_and_b32 vcc_lo, exec_lo, s14
	s_waitcnt vmcnt(10) lgkmcnt(1)
	v_mul_f64 v[171:172], v[44:45], v[4:5]
	v_mul_f64 v[4:5], v[42:43], v[4:5]
	s_waitcnt vmcnt(9) lgkmcnt(0)
	v_mul_f64 v[175:176], v[38:39], v[8:9]
	v_mul_f64 v[8:9], v[40:41], v[8:9]
	s_delay_alu instid0(VALU_DEP_4) | instskip(NEXT) | instid1(VALU_DEP_4)
	v_fma_f64 v[177:178], v[42:43], v[2:3], -v[171:172]
	v_fma_f64 v[179:180], v[44:45], v[2:3], v[4:5]
	ds_load_b128 v[2:5], v1 offset:672
	ds_load_b128 v[171:174], v1 offset:688
	scratch_load_b128 v[42:45], off, off offset:176
	v_fma_f64 v[40:41], v[40:41], v[6:7], v[175:176]
	v_fma_f64 v[38:39], v[38:39], v[6:7], -v[8:9]
	scratch_load_b128 v[6:9], off, off offset:192
	s_waitcnt vmcnt(10) lgkmcnt(1)
	v_mul_f64 v[181:182], v[2:3], v[12:13]
	v_mul_f64 v[12:13], v[4:5], v[12:13]
	v_add_f64 v[175:176], v[177:178], 0
	v_add_f64 v[177:178], v[179:180], 0
	s_waitcnt vmcnt(9) lgkmcnt(0)
	v_mul_f64 v[179:180], v[171:172], v[16:17]
	v_mul_f64 v[16:17], v[173:174], v[16:17]
	v_fma_f64 v[181:182], v[4:5], v[10:11], v[181:182]
	v_fma_f64 v[183:184], v[2:3], v[10:11], -v[12:13]
	ds_load_b128 v[2:5], v1 offset:704
	scratch_load_b128 v[10:13], off, off offset:208
	v_add_f64 v[175:176], v[175:176], v[38:39]
	v_add_f64 v[177:178], v[177:178], v[40:41]
	ds_load_b128 v[38:41], v1 offset:720
	v_fma_f64 v[173:174], v[173:174], v[14:15], v[179:180]
	v_fma_f64 v[171:172], v[171:172], v[14:15], -v[16:17]
	scratch_load_b128 v[14:17], off, off offset:224
	s_waitcnt vmcnt(10) lgkmcnt(1)
	v_mul_f64 v[185:186], v[2:3], v[20:21]
	v_mul_f64 v[20:21], v[4:5], v[20:21]
	s_waitcnt vmcnt(9) lgkmcnt(0)
	v_mul_f64 v[179:180], v[38:39], v[24:25]
	v_mul_f64 v[24:25], v[40:41], v[24:25]
	v_add_f64 v[175:176], v[175:176], v[183:184]
	v_add_f64 v[177:178], v[177:178], v[181:182]
	v_fma_f64 v[181:182], v[4:5], v[18:19], v[185:186]
	v_fma_f64 v[183:184], v[2:3], v[18:19], -v[20:21]
	ds_load_b128 v[2:5], v1 offset:736
	scratch_load_b128 v[18:21], off, off offset:240
	v_fma_f64 v[40:41], v[40:41], v[22:23], v[179:180]
	v_fma_f64 v[38:39], v[38:39], v[22:23], -v[24:25]
	scratch_load_b128 v[22:25], off, off offset:256
	v_add_f64 v[175:176], v[175:176], v[171:172]
	v_add_f64 v[177:178], v[177:178], v[173:174]
	ds_load_b128 v[171:174], v1 offset:752
	s_waitcnt vmcnt(10) lgkmcnt(1)
	v_mul_f64 v[185:186], v[2:3], v[28:29]
	v_mul_f64 v[28:29], v[4:5], v[28:29]
	s_waitcnt vmcnt(9) lgkmcnt(0)
	v_mul_f64 v[179:180], v[171:172], v[32:33]
	v_mul_f64 v[32:33], v[173:174], v[32:33]
	v_add_f64 v[175:176], v[175:176], v[183:184]
	v_add_f64 v[177:178], v[177:178], v[181:182]
	v_fma_f64 v[181:182], v[4:5], v[26:27], v[185:186]
	v_fma_f64 v[183:184], v[2:3], v[26:27], -v[28:29]
	ds_load_b128 v[2:5], v1 offset:768
	scratch_load_b128 v[26:29], off, off offset:272
	v_fma_f64 v[173:174], v[173:174], v[30:31], v[179:180]
	v_fma_f64 v[171:172], v[171:172], v[30:31], -v[32:33]
	scratch_load_b128 v[30:33], off, off offset:288
	v_add_f64 v[175:176], v[175:176], v[38:39]
	v_add_f64 v[177:178], v[177:178], v[40:41]
	ds_load_b128 v[38:41], v1 offset:784
	s_waitcnt vmcnt(10) lgkmcnt(1)
	v_mul_f64 v[185:186], v[2:3], v[36:37]
	v_mul_f64 v[36:37], v[4:5], v[36:37]
	s_waitcnt vmcnt(8) lgkmcnt(0)
	v_mul_f64 v[179:180], v[38:39], v[169:170]
	v_add_f64 v[175:176], v[175:176], v[183:184]
	v_add_f64 v[177:178], v[177:178], v[181:182]
	v_mul_f64 v[181:182], v[40:41], v[169:170]
	v_fma_f64 v[183:184], v[4:5], v[34:35], v[185:186]
	v_fma_f64 v[185:186], v[2:3], v[34:35], -v[36:37]
	ds_load_b128 v[2:5], v1 offset:800
	scratch_load_b128 v[34:37], off, off offset:304
	v_fma_f64 v[179:180], v[40:41], v[167:168], v[179:180]
	v_add_f64 v[175:176], v[175:176], v[171:172]
	v_add_f64 v[173:174], v[177:178], v[173:174]
	ds_load_b128 v[169:172], v1 offset:816
	v_fma_f64 v[167:168], v[38:39], v[167:168], -v[181:182]
	scratch_load_b128 v[38:41], off, off offset:320
	s_waitcnt vmcnt(9) lgkmcnt(1)
	v_mul_f64 v[177:178], v[2:3], v[44:45]
	v_mul_f64 v[44:45], v[4:5], v[44:45]
	s_waitcnt vmcnt(8) lgkmcnt(0)
	v_mul_f64 v[181:182], v[169:170], v[8:9]
	v_mul_f64 v[8:9], v[171:172], v[8:9]
	v_add_f64 v[175:176], v[175:176], v[185:186]
	v_add_f64 v[173:174], v[173:174], v[183:184]
	v_fma_f64 v[177:178], v[4:5], v[42:43], v[177:178]
	v_fma_f64 v[183:184], v[2:3], v[42:43], -v[44:45]
	ds_load_b128 v[2:5], v1 offset:832
	scratch_load_b128 v[42:45], off, off offset:336
	v_fma_f64 v[171:172], v[171:172], v[6:7], v[181:182]
	v_fma_f64 v[169:170], v[169:170], v[6:7], -v[8:9]
	scratch_load_b128 v[6:9], off, off offset:352
	v_add_f64 v[167:168], v[175:176], v[167:168]
	v_add_f64 v[179:180], v[173:174], v[179:180]
	ds_load_b128 v[173:176], v1 offset:848
	s_waitcnt vmcnt(9) lgkmcnt(1)
	v_mul_f64 v[185:186], v[2:3], v[12:13]
	v_mul_f64 v[12:13], v[4:5], v[12:13]
	v_add_f64 v[167:168], v[167:168], v[183:184]
	v_add_f64 v[177:178], v[179:180], v[177:178]
	s_waitcnt vmcnt(8) lgkmcnt(0)
	v_mul_f64 v[179:180], v[173:174], v[16:17]
	v_mul_f64 v[16:17], v[175:176], v[16:17]
	v_fma_f64 v[181:182], v[4:5], v[10:11], v[185:186]
	v_fma_f64 v[183:184], v[2:3], v[10:11], -v[12:13]
	ds_load_b128 v[2:5], v1 offset:864
	scratch_load_b128 v[10:13], off, off offset:368
	v_add_f64 v[185:186], v[167:168], v[169:170]
	v_add_f64 v[171:172], v[177:178], v[171:172]
	ds_load_b128 v[167:170], v1 offset:880
	s_waitcnt vmcnt(8) lgkmcnt(1)
	v_mul_f64 v[177:178], v[2:3], v[20:21]
	v_mul_f64 v[20:21], v[4:5], v[20:21]
	v_fma_f64 v[175:176], v[175:176], v[14:15], v[179:180]
	v_fma_f64 v[173:174], v[173:174], v[14:15], -v[16:17]
	scratch_load_b128 v[14:17], off, off offset:384
	v_add_f64 v[179:180], v[185:186], v[183:184]
	v_add_f64 v[171:172], v[171:172], v[181:182]
	s_waitcnt vmcnt(8) lgkmcnt(0)
	v_mul_f64 v[181:182], v[167:168], v[24:25]
	v_mul_f64 v[24:25], v[169:170], v[24:25]
	v_fma_f64 v[177:178], v[4:5], v[18:19], v[177:178]
	v_fma_f64 v[183:184], v[2:3], v[18:19], -v[20:21]
	ds_load_b128 v[2:5], v1 offset:896
	scratch_load_b128 v[18:21], off, off offset:400
	v_add_f64 v[179:180], v[179:180], v[173:174]
	v_add_f64 v[175:176], v[171:172], v[175:176]
	ds_load_b128 v[171:174], v1 offset:912
	s_waitcnt vmcnt(8) lgkmcnt(1)
	v_mul_f64 v[185:186], v[2:3], v[28:29]
	v_mul_f64 v[28:29], v[4:5], v[28:29]
	v_fma_f64 v[169:170], v[169:170], v[22:23], v[181:182]
	v_fma_f64 v[167:168], v[167:168], v[22:23], -v[24:25]
	scratch_load_b128 v[22:25], off, off offset:416
	;; [unrolled: 18-line block ×4, first 2 shown]
	s_waitcnt vmcnt(8) lgkmcnt(0)
	v_mul_f64 v[179:180], v[171:172], v[8:9]
	v_mul_f64 v[8:9], v[173:174], v[8:9]
	v_add_f64 v[177:178], v[177:178], v[183:184]
	v_add_f64 v[175:176], v[175:176], v[181:182]
	v_fma_f64 v[181:182], v[4:5], v[42:43], v[185:186]
	v_fma_f64 v[183:184], v[2:3], v[42:43], -v[44:45]
	ds_load_b128 v[2:5], v1 offset:992
	scratch_load_b128 v[42:45], off, off offset:496
	v_fma_f64 v[173:174], v[173:174], v[6:7], v[179:180]
	v_fma_f64 v[171:172], v[171:172], v[6:7], -v[8:9]
	scratch_load_b128 v[6:9], off, off offset:512
	v_add_f64 v[177:178], v[177:178], v[167:168]
	v_add_f64 v[175:176], v[175:176], v[169:170]
	ds_load_b128 v[167:170], v1 offset:1008
	s_waitcnt vmcnt(9) lgkmcnt(1)
	v_mul_f64 v[185:186], v[2:3], v[12:13]
	v_mul_f64 v[12:13], v[4:5], v[12:13]
	s_waitcnt vmcnt(8) lgkmcnt(0)
	v_mul_f64 v[179:180], v[167:168], v[16:17]
	v_mul_f64 v[16:17], v[169:170], v[16:17]
	v_add_f64 v[177:178], v[177:178], v[183:184]
	v_add_f64 v[175:176], v[175:176], v[181:182]
	v_fma_f64 v[181:182], v[4:5], v[10:11], v[185:186]
	v_fma_f64 v[183:184], v[2:3], v[10:11], -v[12:13]
	ds_load_b128 v[2:5], v1 offset:1024
	scratch_load_b128 v[10:13], off, off offset:528
	v_fma_f64 v[169:170], v[169:170], v[14:15], v[179:180]
	v_fma_f64 v[167:168], v[167:168], v[14:15], -v[16:17]
	scratch_load_b128 v[14:17], off, off offset:544
	v_add_f64 v[177:178], v[177:178], v[171:172]
	v_add_f64 v[175:176], v[175:176], v[173:174]
	ds_load_b128 v[171:174], v1 offset:1040
	s_waitcnt vmcnt(9) lgkmcnt(1)
	v_mul_f64 v[185:186], v[2:3], v[20:21]
	v_mul_f64 v[20:21], v[4:5], v[20:21]
	;; [unrolled: 18-line block ×4, first 2 shown]
	s_waitcnt vmcnt(8) lgkmcnt(0)
	v_mul_f64 v[179:180], v[171:172], v[40:41]
	v_mul_f64 v[40:41], v[173:174], v[40:41]
	v_add_f64 v[177:178], v[177:178], v[183:184]
	v_add_f64 v[175:176], v[175:176], v[181:182]
	v_fma_f64 v[181:182], v[4:5], v[34:35], v[185:186]
	v_fma_f64 v[183:184], v[2:3], v[34:35], -v[36:37]
	ds_load_b128 v[2:5], v1 offset:1120
	ds_load_b128 v[34:37], v1 offset:1136
	v_fma_f64 v[173:174], v[173:174], v[38:39], v[179:180]
	v_fma_f64 v[38:39], v[171:172], v[38:39], -v[40:41]
	v_add_f64 v[167:168], v[177:178], v[167:168]
	v_add_f64 v[169:170], v[175:176], v[169:170]
	s_waitcnt vmcnt(7) lgkmcnt(1)
	v_mul_f64 v[175:176], v[2:3], v[44:45]
	v_mul_f64 v[44:45], v[4:5], v[44:45]
	s_delay_alu instid0(VALU_DEP_4) | instskip(NEXT) | instid1(VALU_DEP_4)
	v_add_f64 v[40:41], v[167:168], v[183:184]
	v_add_f64 v[167:168], v[169:170], v[181:182]
	s_waitcnt vmcnt(6) lgkmcnt(0)
	v_mul_f64 v[169:170], v[34:35], v[8:9]
	v_mul_f64 v[8:9], v[36:37], v[8:9]
	v_fma_f64 v[171:172], v[4:5], v[42:43], v[175:176]
	v_fma_f64 v[42:43], v[2:3], v[42:43], -v[44:45]
	v_add_f64 v[44:45], v[40:41], v[38:39]
	v_add_f64 v[167:168], v[167:168], v[173:174]
	ds_load_b128 v[2:5], v1 offset:1152
	ds_load_b128 v[38:41], v1 offset:1168
	v_fma_f64 v[36:37], v[36:37], v[6:7], v[169:170]
	v_fma_f64 v[6:7], v[34:35], v[6:7], -v[8:9]
	s_waitcnt vmcnt(5) lgkmcnt(1)
	v_mul_f64 v[173:174], v[2:3], v[12:13]
	v_mul_f64 v[12:13], v[4:5], v[12:13]
	v_add_f64 v[8:9], v[44:45], v[42:43]
	v_add_f64 v[34:35], v[167:168], v[171:172]
	s_waitcnt vmcnt(4) lgkmcnt(0)
	v_mul_f64 v[42:43], v[38:39], v[16:17]
	v_mul_f64 v[16:17], v[40:41], v[16:17]
	v_fma_f64 v[44:45], v[4:5], v[10:11], v[173:174]
	v_fma_f64 v[10:11], v[2:3], v[10:11], -v[12:13]
	v_add_f64 v[12:13], v[8:9], v[6:7]
	v_add_f64 v[34:35], v[34:35], v[36:37]
	ds_load_b128 v[2:5], v1 offset:1184
	ds_load_b128 v[6:9], v1 offset:1200
	v_fma_f64 v[40:41], v[40:41], v[14:15], v[42:43]
	v_fma_f64 v[14:15], v[38:39], v[14:15], -v[16:17]
	s_waitcnt vmcnt(3) lgkmcnt(1)
	v_mul_f64 v[36:37], v[2:3], v[20:21]
	v_mul_f64 v[20:21], v[4:5], v[20:21]
	s_waitcnt vmcnt(2) lgkmcnt(0)
	v_mul_f64 v[16:17], v[6:7], v[24:25]
	v_mul_f64 v[24:25], v[8:9], v[24:25]
	v_add_f64 v[10:11], v[12:13], v[10:11]
	v_add_f64 v[12:13], v[34:35], v[44:45]
	v_fma_f64 v[34:35], v[4:5], v[18:19], v[36:37]
	v_fma_f64 v[18:19], v[2:3], v[18:19], -v[20:21]
	v_fma_f64 v[8:9], v[8:9], v[22:23], v[16:17]
	v_fma_f64 v[6:7], v[6:7], v[22:23], -v[24:25]
	v_add_f64 v[14:15], v[10:11], v[14:15]
	v_add_f64 v[20:21], v[12:13], v[40:41]
	ds_load_b128 v[2:5], v1 offset:1216
	ds_load_b128 v[10:13], v1 offset:1232
	s_waitcnt vmcnt(1) lgkmcnt(1)
	v_mul_f64 v[36:37], v[2:3], v[28:29]
	v_mul_f64 v[28:29], v[4:5], v[28:29]
	v_add_f64 v[14:15], v[14:15], v[18:19]
	v_add_f64 v[16:17], v[20:21], v[34:35]
	s_waitcnt vmcnt(0) lgkmcnt(0)
	v_mul_f64 v[18:19], v[10:11], v[32:33]
	v_mul_f64 v[20:21], v[12:13], v[32:33]
	v_fma_f64 v[4:5], v[4:5], v[26:27], v[36:37]
	v_fma_f64 v[1:2], v[2:3], v[26:27], -v[28:29]
	v_add_f64 v[6:7], v[14:15], v[6:7]
	v_add_f64 v[8:9], v[16:17], v[8:9]
	v_fma_f64 v[12:13], v[12:13], v[30:31], v[18:19]
	v_fma_f64 v[10:11], v[10:11], v[30:31], -v[20:21]
	s_delay_alu instid0(VALU_DEP_4) | instskip(NEXT) | instid1(VALU_DEP_4)
	v_add_f64 v[1:2], v[6:7], v[1:2]
	v_add_f64 v[3:4], v[8:9], v[4:5]
	s_delay_alu instid0(VALU_DEP_2) | instskip(NEXT) | instid1(VALU_DEP_2)
	v_add_f64 v[1:2], v[1:2], v[10:11]
	v_add_f64 v[3:4], v[3:4], v[12:13]
	s_delay_alu instid0(VALU_DEP_2) | instskip(NEXT) | instid1(VALU_DEP_2)
	v_add_f64 v[1:2], v[163:164], -v[1:2]
	v_add_f64 v[3:4], v[165:166], -v[3:4]
	scratch_store_b128 off, v[1:4], off
	s_cbranch_vccz .LBB102_325
; %bb.248:
	v_dual_mov_b32 v1, s8 :: v_dual_mov_b32 v2, s9
	s_load_b64 s[0:1], s[0:1], 0x4
	flat_load_b32 v1, v[1:2] offset:148
	v_bfe_u32 v2, v0, 10, 10
	v_bfe_u32 v0, v0, 20, 10
	s_waitcnt lgkmcnt(0)
	s_lshr_b32 s0, s0, 16
	s_delay_alu instid0(VALU_DEP_2) | instskip(SKIP_1) | instid1(SALU_CYCLE_1)
	v_mul_u32_u24_e32 v2, s1, v2
	s_mul_i32 s0, s0, s1
	v_mul_u32_u24_e32 v3, s0, v124
	s_mov_b32 s0, exec_lo
	s_delay_alu instid0(VALU_DEP_1) | instskip(NEXT) | instid1(VALU_DEP_1)
	v_add3_u32 v0, v3, v2, v0
	v_lshl_add_u32 v0, v0, 4, 0x4e8
	s_waitcnt vmcnt(0)
	v_cmpx_ne_u32_e32 38, v1
	s_cbranch_execz .LBB102_250
; %bb.249:
	v_lshl_add_u32 v9, v1, 4, 0
	s_clause 0x1
	scratch_load_b128 v[1:4], v130, off
	scratch_load_b128 v[5:8], v9, off offset:-16
	s_waitcnt vmcnt(1)
	ds_store_2addr_b64 v0, v[1:2], v[3:4] offset1:1
	s_waitcnt vmcnt(0)
	s_clause 0x1
	scratch_store_b128 v130, v[5:8], off
	scratch_store_b128 v9, v[1:4], off offset:-16
.LBB102_250:
	s_or_b32 exec_lo, exec_lo, s0
	v_dual_mov_b32 v1, s8 :: v_dual_mov_b32 v2, s9
	s_mov_b32 s0, exec_lo
	flat_load_b32 v1, v[1:2] offset:144
	s_waitcnt vmcnt(0) lgkmcnt(0)
	v_cmpx_ne_u32_e32 37, v1
	s_cbranch_execz .LBB102_252
; %bb.251:
	v_lshl_add_u32 v9, v1, 4, 0
	s_clause 0x1
	scratch_load_b128 v[1:4], v133, off
	scratch_load_b128 v[5:8], v9, off offset:-16
	s_waitcnt vmcnt(1)
	ds_store_2addr_b64 v0, v[1:2], v[3:4] offset1:1
	s_waitcnt vmcnt(0)
	s_clause 0x1
	scratch_store_b128 v133, v[5:8], off
	scratch_store_b128 v9, v[1:4], off offset:-16
.LBB102_252:
	s_or_b32 exec_lo, exec_lo, s0
	v_dual_mov_b32 v1, s8 :: v_dual_mov_b32 v2, s9
	s_mov_b32 s0, exec_lo
	flat_load_b32 v1, v[1:2] offset:140
	s_waitcnt vmcnt(0) lgkmcnt(0)
	;; [unrolled: 19-line block ×36, first 2 shown]
	v_cmpx_ne_u32_e32 2, v1
	s_cbranch_execz .LBB102_322
; %bb.321:
	v_lshl_add_u32 v9, v1, 4, 0
	s_clause 0x1
	scratch_load_b128 v[1:4], v128, off
	scratch_load_b128 v[5:8], v9, off offset:-16
	s_waitcnt vmcnt(1)
	ds_store_2addr_b64 v0, v[1:2], v[3:4] offset1:1
	s_waitcnt vmcnt(0)
	s_clause 0x1
	scratch_store_b128 v128, v[5:8], off
	scratch_store_b128 v9, v[1:4], off offset:-16
.LBB102_322:
	s_or_b32 exec_lo, exec_lo, s0
	v_dual_mov_b32 v1, s8 :: v_dual_mov_b32 v2, s9
	s_mov_b32 s0, exec_lo
	flat_load_b32 v1, v[1:2]
	s_waitcnt vmcnt(0) lgkmcnt(0)
	v_cmpx_ne_u32_e32 1, v1
	s_cbranch_execz .LBB102_324
; %bb.323:
	v_lshl_add_u32 v9, v1, 4, 0
	scratch_load_b128 v[1:4], off, off
	scratch_load_b128 v[5:8], v9, off offset:-16
	s_waitcnt vmcnt(1)
	ds_store_2addr_b64 v0, v[1:2], v[3:4] offset1:1
	s_waitcnt vmcnt(0)
	scratch_store_b128 off, v[5:8], off
	scratch_store_b128 v9, v[1:4], off offset:-16
.LBB102_324:
	s_or_b32 exec_lo, exec_lo, s0
.LBB102_325:
	scratch_load_b128 v[0:3], off, off
	s_clause 0x15
	scratch_load_b128 v[4:7], v128, off
	scratch_load_b128 v[8:11], v127, off
	;; [unrolled: 1-line block ×22, first 2 shown]
	s_waitcnt vmcnt(22)
	global_store_b128 v[46:47], v[0:3], off
	s_clause 0x1
	scratch_load_b128 v[0:3], v136, off
	scratch_load_b128 v[44:47], v134, off
	s_waitcnt vmcnt(23)
	global_store_b128 v[48:49], v[4:7], off
	s_clause 0x1
	scratch_load_b128 v[4:7], v132, off
	scratch_load_b128 v[201:204], v131, off
	;; [unrolled: 5-line block ×8, first 2 shown]
	s_waitcnt vmcnt(30)
	global_store_b128 v[62:63], v[32:35], off
	s_waitcnt vmcnt(29)
	global_store_b128 v[64:65], v[36:39], off
	;; [unrolled: 2-line block ×31, first 2 shown]
	s_endpgm
	.section	.rodata,"a",@progbits
	.p2align	6, 0x0
	.amdhsa_kernel _ZN9rocsolver6v33100L18getri_kernel_smallILi39E19rocblas_complex_numIdEPKPS3_EEvT1_iilPiilS8_bb
		.amdhsa_group_segment_fixed_size 2280
		.amdhsa_private_segment_fixed_size 640
		.amdhsa_kernarg_size 60
		.amdhsa_user_sgpr_count 15
		.amdhsa_user_sgpr_dispatch_ptr 1
		.amdhsa_user_sgpr_queue_ptr 0
		.amdhsa_user_sgpr_kernarg_segment_ptr 1
		.amdhsa_user_sgpr_dispatch_id 0
		.amdhsa_user_sgpr_private_segment_size 0
		.amdhsa_wavefront_size32 1
		.amdhsa_uses_dynamic_stack 0
		.amdhsa_enable_private_segment 1
		.amdhsa_system_sgpr_workgroup_id_x 1
		.amdhsa_system_sgpr_workgroup_id_y 0
		.amdhsa_system_sgpr_workgroup_id_z 0
		.amdhsa_system_sgpr_workgroup_info 0
		.amdhsa_system_vgpr_workitem_id 2
		.amdhsa_next_free_vgpr 211
		.amdhsa_next_free_sgpr 46
		.amdhsa_reserve_vcc 1
		.amdhsa_float_round_mode_32 0
		.amdhsa_float_round_mode_16_64 0
		.amdhsa_float_denorm_mode_32 3
		.amdhsa_float_denorm_mode_16_64 3
		.amdhsa_dx10_clamp 1
		.amdhsa_ieee_mode 1
		.amdhsa_fp16_overflow 0
		.amdhsa_workgroup_processor_mode 1
		.amdhsa_memory_ordered 1
		.amdhsa_forward_progress 0
		.amdhsa_shared_vgpr_count 0
		.amdhsa_exception_fp_ieee_invalid_op 0
		.amdhsa_exception_fp_denorm_src 0
		.amdhsa_exception_fp_ieee_div_zero 0
		.amdhsa_exception_fp_ieee_overflow 0
		.amdhsa_exception_fp_ieee_underflow 0
		.amdhsa_exception_fp_ieee_inexact 0
		.amdhsa_exception_int_div_zero 0
	.end_amdhsa_kernel
	.section	.text._ZN9rocsolver6v33100L18getri_kernel_smallILi39E19rocblas_complex_numIdEPKPS3_EEvT1_iilPiilS8_bb,"axG",@progbits,_ZN9rocsolver6v33100L18getri_kernel_smallILi39E19rocblas_complex_numIdEPKPS3_EEvT1_iilPiilS8_bb,comdat
.Lfunc_end102:
	.size	_ZN9rocsolver6v33100L18getri_kernel_smallILi39E19rocblas_complex_numIdEPKPS3_EEvT1_iilPiilS8_bb, .Lfunc_end102-_ZN9rocsolver6v33100L18getri_kernel_smallILi39E19rocblas_complex_numIdEPKPS3_EEvT1_iilPiilS8_bb
                                        ; -- End function
	.section	.AMDGPU.csdata,"",@progbits
; Kernel info:
; codeLenInByte = 74724
; NumSgprs: 48
; NumVgprs: 211
; ScratchSize: 640
; MemoryBound: 0
; FloatMode: 240
; IeeeMode: 1
; LDSByteSize: 2280 bytes/workgroup (compile time only)
; SGPRBlocks: 5
; VGPRBlocks: 26
; NumSGPRsForWavesPerEU: 48
; NumVGPRsForWavesPerEU: 211
; Occupancy: 7
; WaveLimiterHint : 1
; COMPUTE_PGM_RSRC2:SCRATCH_EN: 1
; COMPUTE_PGM_RSRC2:USER_SGPR: 15
; COMPUTE_PGM_RSRC2:TRAP_HANDLER: 0
; COMPUTE_PGM_RSRC2:TGID_X_EN: 1
; COMPUTE_PGM_RSRC2:TGID_Y_EN: 0
; COMPUTE_PGM_RSRC2:TGID_Z_EN: 0
; COMPUTE_PGM_RSRC2:TIDIG_COMP_CNT: 2
	.section	.text._ZN9rocsolver6v33100L18getri_kernel_smallILi40E19rocblas_complex_numIdEPKPS3_EEvT1_iilPiilS8_bb,"axG",@progbits,_ZN9rocsolver6v33100L18getri_kernel_smallILi40E19rocblas_complex_numIdEPKPS3_EEvT1_iilPiilS8_bb,comdat
	.globl	_ZN9rocsolver6v33100L18getri_kernel_smallILi40E19rocblas_complex_numIdEPKPS3_EEvT1_iilPiilS8_bb ; -- Begin function _ZN9rocsolver6v33100L18getri_kernel_smallILi40E19rocblas_complex_numIdEPKPS3_EEvT1_iilPiilS8_bb
	.p2align	8
	.type	_ZN9rocsolver6v33100L18getri_kernel_smallILi40E19rocblas_complex_numIdEPKPS3_EEvT1_iilPiilS8_bb,@function
_ZN9rocsolver6v33100L18getri_kernel_smallILi40E19rocblas_complex_numIdEPKPS3_EEvT1_iilPiilS8_bb: ; @_ZN9rocsolver6v33100L18getri_kernel_smallILi40E19rocblas_complex_numIdEPKPS3_EEvT1_iilPiilS8_bb
; %bb.0:
	v_and_b32_e32 v122, 0x3ff, v0
	s_mov_b32 s4, exec_lo
	s_delay_alu instid0(VALU_DEP_1)
	v_cmpx_gt_u32_e32 40, v122
	s_cbranch_execz .LBB103_174
; %bb.1:
	s_clause 0x1
	s_load_b32 s17, s[2:3], 0x38
	s_load_b64 s[8:9], s[2:3], 0x0
	s_mov_b32 s10, s15
	s_load_b128 s[4:7], s[2:3], 0x28
	s_waitcnt lgkmcnt(0)
	s_bitcmp1_b32 s17, 8
	s_cselect_b32 s16, -1, 0
	s_ashr_i32 s11, s15, 31
	s_delay_alu instid0(SALU_CYCLE_1) | instskip(NEXT) | instid1(SALU_CYCLE_1)
	s_lshl_b64 s[12:13], s[10:11], 3
	s_add_u32 s8, s8, s12
	s_addc_u32 s9, s9, s13
	s_load_b64 s[14:15], s[8:9], 0x0
	s_bfe_u32 s8, s17, 0x10008
	s_delay_alu instid0(SALU_CYCLE_1)
	s_cmp_eq_u32 s8, 0
                                        ; implicit-def: $sgpr8_sgpr9
	s_cbranch_scc1 .LBB103_3
; %bb.2:
	s_clause 0x1
	s_load_b32 s8, s[2:3], 0x20
	s_load_b64 s[12:13], s[2:3], 0x18
	s_mul_i32 s5, s10, s5
	s_mul_hi_u32 s9, s10, s4
	s_mul_i32 s18, s11, s4
	s_add_i32 s5, s9, s5
	s_mul_i32 s4, s10, s4
	s_add_i32 s5, s5, s18
	s_delay_alu instid0(SALU_CYCLE_1)
	s_lshl_b64 s[4:5], s[4:5], 2
	s_waitcnt lgkmcnt(0)
	s_ashr_i32 s9, s8, 31
	s_add_u32 s12, s12, s4
	s_addc_u32 s13, s13, s5
	s_lshl_b64 s[4:5], s[8:9], 2
	s_delay_alu instid0(SALU_CYCLE_1)
	s_add_u32 s8, s12, s4
	s_addc_u32 s9, s13, s5
.LBB103_3:
	s_load_b64 s[4:5], s[2:3], 0x8
	v_lshlrev_b32_e32 v13, 4, v122
	s_movk_i32 s18, 0xd0
	s_movk_i32 s19, 0xe0
	;; [unrolled: 1-line block ×18, first 2 shown]
	s_waitcnt lgkmcnt(0)
	v_add3_u32 v5, s5, s5, v122
	s_ashr_i32 s3, s4, 31
	s_mov_b32 s2, s4
	s_mov_b32 s12, s5
	s_lshl_b64 s[2:3], s[2:3], 4
	v_add_nc_u32_e32 v9, s5, v5
	v_ashrrev_i32_e32 v6, 31, v5
	s_add_u32 s2, s14, s2
	s_addc_u32 s3, s15, s3
	v_add_co_u32 v44, s4, s2, v13
	v_add_nc_u32_e32 v11, s5, v9
	v_ashrrev_i32_e32 v10, 31, v9
	s_ashr_i32 s13, s5, 31
	v_add_co_ci_u32_e64 v45, null, s3, 0, s4
	s_delay_alu instid0(VALU_DEP_3)
	v_add_nc_u32_e32 v18, s5, v11
	v_lshlrev_b64 v[14:15], 4, v[5:6]
	s_lshl_b64 s[12:13], s[12:13], 4
	v_ashrrev_i32_e32 v12, 31, v11
	v_add_co_u32 v42, vcc_lo, v44, s12
	v_add_nc_u32_e32 v20, s5, v18
	v_lshlrev_b64 v[9:10], 4, v[9:10]
	v_ashrrev_i32_e32 v19, 31, v18
	v_add_co_ci_u32_e32 v43, vcc_lo, s13, v45, vcc_lo
	s_delay_alu instid0(VALU_DEP_4) | instskip(SKIP_3) | instid1(VALU_DEP_4)
	v_add_nc_u32_e32 v26, s5, v20
	v_add_co_u32 v50, vcc_lo, s2, v14
	v_lshlrev_b64 v[22:23], 4, v[11:12]
	v_ashrrev_i32_e32 v21, 31, v20
	v_add_nc_u32_e32 v28, s5, v26
	v_add_co_ci_u32_e32 v51, vcc_lo, s3, v15, vcc_lo
	v_add_co_u32 v46, vcc_lo, s2, v9
	s_delay_alu instid0(VALU_DEP_3) | instskip(SKIP_3) | instid1(VALU_DEP_4)
	v_add_nc_u32_e32 v34, s5, v28
	v_lshlrev_b64 v[18:19], 4, v[18:19]
	v_ashrrev_i32_e32 v27, 31, v26
	v_add_co_ci_u32_e32 v47, vcc_lo, s3, v10, vcc_lo
	v_add_nc_u32_e32 v36, s5, v34
	v_add_co_u32 v52, vcc_lo, s2, v22
	v_lshlrev_b64 v[30:31], 4, v[20:21]
	v_ashrrev_i32_e32 v29, 31, v28
	v_add_co_ci_u32_e32 v53, vcc_lo, s3, v23, vcc_lo
	v_add_co_u32 v48, vcc_lo, s2, v18
	v_lshlrev_b64 v[26:27], 4, v[26:27]
	v_add_nc_u32_e32 v64, s5, v36
	v_ashrrev_i32_e32 v35, 31, v34
	v_add_co_ci_u32_e32 v49, vcc_lo, s3, v19, vcc_lo
	v_add_co_u32 v54, vcc_lo, s2, v30
	v_lshlrev_b64 v[38:39], 4, v[28:29]
	v_ashrrev_i32_e32 v37, 31, v36
	v_add_co_ci_u32_e32 v55, vcc_lo, s3, v31, vcc_lo
	v_add_nc_u32_e32 v66, s5, v64
	v_add_co_u32 v56, vcc_lo, s2, v26
	v_lshlrev_b64 v[34:35], 4, v[34:35]
	v_ashrrev_i32_e32 v65, 31, v64
	v_add_co_ci_u32_e32 v57, vcc_lo, s3, v27, vcc_lo
	v_add_co_u32 v58, vcc_lo, s2, v38
	v_lshlrev_b64 v[62:63], 4, v[36:37]
	v_ashrrev_i32_e32 v67, 31, v66
	v_add_co_ci_u32_e32 v59, vcc_lo, s3, v39, vcc_lo
	v_add_co_u32 v60, vcc_lo, s2, v34
	v_lshlrev_b64 v[64:65], 4, v[64:65]
	v_add_co_ci_u32_e32 v61, vcc_lo, s3, v35, vcc_lo
	v_add_nc_u32_e32 v70, s5, v66
	v_add_co_u32 v62, vcc_lo, s2, v62
	v_lshlrev_b64 v[66:67], 4, v[66:67]
	v_add_co_ci_u32_e32 v63, vcc_lo, s3, v63, vcc_lo
	v_add_co_u32 v64, vcc_lo, s2, v64
	v_add_co_ci_u32_e32 v65, vcc_lo, s3, v65, vcc_lo
	s_clause 0x1
	global_load_b128 v[1:4], v13, s[2:3]
	global_load_b128 v[5:8], v[42:43], off
	v_add_co_u32 v66, vcc_lo, s2, v66
	s_clause 0x3
	global_load_b128 v[9:12], v[50:51], off
	global_load_b128 v[18:21], v[52:53], off
	;; [unrolled: 1-line block ×4, first 2 shown]
	v_add_co_ci_u32_e32 v67, vcc_lo, s3, v67, vcc_lo
	s_clause 0x6
	global_load_b128 v[26:29], v[54:55], off
	global_load_b128 v[30:33], v[56:57], off
	global_load_b128 v[34:37], v[58:59], off
	global_load_b128 v[38:41], v[60:61], off
	global_load_b128 v[123:126], v[62:63], off
	global_load_b128 v[127:130], v[64:65], off
	global_load_b128 v[131:134], v[66:67], off
	v_ashrrev_i32_e32 v71, 31, v70
	s_movk_i32 s4, 0x70
	s_movk_i32 s12, 0x90
	;; [unrolled: 1-line block ×4, first 2 shown]
	v_lshlrev_b64 v[68:69], 4, v[70:71]
	v_add_nc_u32_e32 v70, s5, v70
	s_movk_i32 s15, 0xc0
	s_movk_i32 s37, 0x1f0
	;; [unrolled: 1-line block ×4, first 2 shown]
	v_add_nc_u32_e32 v72, s5, v70
	v_ashrrev_i32_e32 v71, 31, v70
	v_add_co_u32 v68, vcc_lo, s2, v68
	v_add_co_ci_u32_e32 v69, vcc_lo, s3, v69, vcc_lo
	s_delay_alu instid0(VALU_DEP_4)
	v_add_nc_u32_e32 v74, s5, v72
	v_ashrrev_i32_e32 v73, 31, v72
	v_lshlrev_b64 v[70:71], 4, v[70:71]
	global_load_b128 v[135:138], v[68:69], off
	s_movk_i32 s40, 0x220
	v_add_nc_u32_e32 v76, s5, v74
	v_ashrrev_i32_e32 v75, 31, v74
	v_lshlrev_b64 v[72:73], 4, v[72:73]
	v_add_co_u32 v70, vcc_lo, s2, v70
	s_delay_alu instid0(VALU_DEP_4) | instskip(SKIP_3) | instid1(VALU_DEP_4)
	v_add_nc_u32_e32 v78, s5, v76
	v_ashrrev_i32_e32 v77, 31, v76
	v_lshlrev_b64 v[74:75], 4, v[74:75]
	v_add_co_ci_u32_e32 v71, vcc_lo, s3, v71, vcc_lo
	v_add_nc_u32_e32 v80, s5, v78
	v_ashrrev_i32_e32 v79, 31, v78
	v_add_co_u32 v72, vcc_lo, s2, v72
	global_load_b128 v[144:147], v[70:71], off
	v_add_nc_u32_e32 v82, s5, v80
	v_lshlrev_b64 v[76:77], 4, v[76:77]
	v_ashrrev_i32_e32 v81, 31, v80
	v_add_co_ci_u32_e32 v73, vcc_lo, s3, v73, vcc_lo
	s_delay_alu instid0(VALU_DEP_4) | instskip(SKIP_3) | instid1(VALU_DEP_4)
	v_add_nc_u32_e32 v84, s5, v82
	v_add_co_u32 v74, vcc_lo, s2, v74
	v_lshlrev_b64 v[78:79], 4, v[78:79]
	v_ashrrev_i32_e32 v83, 31, v82
	v_add_nc_u32_e32 v86, s5, v84
	v_add_co_ci_u32_e32 v75, vcc_lo, s3, v75, vcc_lo
	v_add_co_u32 v76, vcc_lo, s2, v76
	s_delay_alu instid0(VALU_DEP_3) | instskip(SKIP_3) | instid1(VALU_DEP_4)
	v_add_nc_u32_e32 v88, s5, v86
	v_lshlrev_b64 v[80:81], 4, v[80:81]
	v_ashrrev_i32_e32 v85, 31, v84
	v_add_co_ci_u32_e32 v77, vcc_lo, s3, v77, vcc_lo
	v_add_nc_u32_e32 v90, s5, v88
	v_add_co_u32 v78, vcc_lo, s2, v78
	v_lshlrev_b64 v[82:83], 4, v[82:83]
	v_ashrrev_i32_e32 v87, 31, v86
	s_delay_alu instid0(VALU_DEP_4) | instskip(SKIP_2) | instid1(VALU_DEP_3)
	v_add_nc_u32_e32 v92, s5, v90
	v_add_co_ci_u32_e32 v79, vcc_lo, s3, v79, vcc_lo
	v_add_co_u32 v80, vcc_lo, s2, v80
	v_add_nc_u32_e32 v94, s5, v92
	v_lshlrev_b64 v[84:85], 4, v[84:85]
	v_ashrrev_i32_e32 v89, 31, v88
	v_add_co_ci_u32_e32 v81, vcc_lo, s3, v81, vcc_lo
	s_delay_alu instid0(VALU_DEP_4) | instskip(SKIP_3) | instid1(VALU_DEP_4)
	v_add_nc_u32_e32 v96, s5, v94
	v_add_co_u32 v82, vcc_lo, s2, v82
	v_lshlrev_b64 v[86:87], 4, v[86:87]
	v_ashrrev_i32_e32 v91, 31, v90
	v_add_nc_u32_e32 v98, s5, v96
	v_add_co_ci_u32_e32 v83, vcc_lo, s3, v83, vcc_lo
	v_add_co_u32 v84, vcc_lo, s2, v84
	s_delay_alu instid0(VALU_DEP_3) | instskip(SKIP_3) | instid1(VALU_DEP_4)
	v_add_nc_u32_e32 v100, s5, v98
	v_lshlrev_b64 v[88:89], 4, v[88:89]
	v_ashrrev_i32_e32 v93, 31, v92
	v_add_co_ci_u32_e32 v85, vcc_lo, s3, v85, vcc_lo
	v_add_nc_u32_e32 v102, s5, v100
	v_add_co_u32 v86, vcc_lo, s2, v86
	v_lshlrev_b64 v[90:91], 4, v[90:91]
	v_add_co_ci_u32_e32 v87, vcc_lo, s3, v87, vcc_lo
	s_delay_alu instid0(VALU_DEP_4) | instskip(SKIP_3) | instid1(VALU_DEP_4)
	v_add_nc_u32_e32 v104, s5, v102
	v_add_co_u32 v88, vcc_lo, s2, v88
	v_lshlrev_b64 v[92:93], 4, v[92:93]
	v_ashrrev_i32_e32 v95, 31, v94
	v_add_nc_u32_e32 v106, s5, v104
	v_add_co_ci_u32_e32 v89, vcc_lo, s3, v89, vcc_lo
	v_add_co_u32 v90, vcc_lo, s2, v90
	s_delay_alu instid0(VALU_DEP_3) | instskip(SKIP_3) | instid1(VALU_DEP_4)
	v_add_nc_u32_e32 v108, s5, v106
	v_ashrrev_i32_e32 v97, 31, v96
	v_add_co_ci_u32_e32 v91, vcc_lo, s3, v91, vcc_lo
	v_lshlrev_b64 v[139:140], 4, v[94:95]
	v_add_nc_u32_e32 v110, s5, v108
	v_add_co_u32 v94, vcc_lo, s2, v92
	v_ashrrev_i32_e32 v99, 31, v98
	v_add_co_ci_u32_e32 v95, vcc_lo, s3, v93, vcc_lo
	s_delay_alu instid0(VALU_DEP_4)
	v_add_nc_u32_e32 v112, s5, v110
	v_lshlrev_b64 v[141:142], 4, v[96:97]
	v_ashrrev_i32_e32 v101, 31, v100
	v_ashrrev_i32_e32 v103, 31, v102
	;; [unrolled: 1-line block ×3, first 2 shown]
	v_add_nc_u32_e32 v114, s5, v112
	v_ashrrev_i32_e32 v107, 31, v106
	v_ashrrev_i32_e32 v109, 31, v108
	;; [unrolled: 1-line block ×4, first 2 shown]
	v_add_nc_u32_e32 v116, s5, v114
	v_ashrrev_i32_e32 v115, 31, v114
	s_clause 0x5
	global_load_b128 v[148:151], v[72:73], off
	global_load_b128 v[162:165], v[74:75], off
	;; [unrolled: 1-line block ×6, first 2 shown]
	v_add_nc_u32_e32 v118, s5, v116
	v_ashrrev_i32_e32 v117, 31, v116
	s_clause 0x3
	global_load_b128 v[182:185], v[84:85], off
	global_load_b128 v[186:189], v[86:87], off
	;; [unrolled: 1-line block ×4, first 2 shown]
	s_movk_i32 s41, 0x230
	v_add_nc_u32_e32 v119, s5, v118
	s_movk_i32 s5, 0x80
	s_movk_i32 s42, 0x240
	;; [unrolled: 1-line block ×4, first 2 shown]
	v_ashrrev_i32_e32 v120, 31, v119
	s_movk_i32 s45, 0x270
	v_add_nc_u32_e64 v143, 0, 16
	v_add_nc_u32_e64 v160, s4, 0
	;; [unrolled: 1-line block ×3, first 2 shown]
	v_lshlrev_b64 v[119:120], 4, v[119:120]
	v_add_nc_u32_e64 v157, s12, 0
	v_add_nc_u32_e64 v155, s13, 0
	;; [unrolled: 1-line block ×5, first 2 shown]
	v_add_co_u32 v92, vcc_lo, s2, v119
	v_add_co_ci_u32_e32 v93, vcc_lo, s3, v120, vcc_lo
	v_add_co_u32 v96, vcc_lo, s2, v139
	v_lshlrev_b64 v[119:120], 4, v[98:99]
	v_add_co_ci_u32_e32 v97, vcc_lo, s3, v140, vcc_lo
	v_add_co_u32 v98, vcc_lo, s2, v141
	v_add_co_ci_u32_e32 v99, vcc_lo, s3, v142, vcc_lo
	v_lshlrev_b64 v[139:140], 4, v[100:101]
	v_add_co_u32 v100, vcc_lo, s2, v119
	v_add_co_ci_u32_e32 v101, vcc_lo, s3, v120, vcc_lo
	v_lshlrev_b64 v[119:120], 4, v[102:103]
	s_delay_alu instid0(VALU_DEP_4) | instskip(SKIP_2) | instid1(VALU_DEP_4)
	v_add_co_u32 v102, vcc_lo, s2, v139
	v_add_co_ci_u32_e32 v103, vcc_lo, s3, v140, vcc_lo
	v_lshlrev_b64 v[139:140], 4, v[104:105]
	v_add_co_u32 v104, vcc_lo, s2, v119
	v_add_co_ci_u32_e32 v105, vcc_lo, s3, v120, vcc_lo
	v_lshlrev_b64 v[119:120], 4, v[106:107]
	s_delay_alu instid0(VALU_DEP_4) | instskip(SKIP_2) | instid1(VALU_DEP_4)
	;; [unrolled: 7-line block ×3, first 2 shown]
	v_add_co_u32 v110, vcc_lo, s2, v139
	v_add_co_ci_u32_e32 v111, vcc_lo, s3, v140, vcc_lo
	v_lshlrev_b64 v[139:140], 4, v[112:113]
	v_add_co_u32 v112, vcc_lo, s2, v119
	v_add_co_ci_u32_e32 v113, vcc_lo, s3, v120, vcc_lo
	v_lshlrev_b64 v[120:121], 4, v[114:115]
	s_delay_alu instid0(VALU_DEP_4)
	v_add_co_u32 v114, vcc_lo, s2, v139
	v_ashrrev_i32_e32 v119, 31, v118
	v_add_co_ci_u32_e32 v115, vcc_lo, s3, v140, vcc_lo
	v_lshlrev_b64 v[139:140], 4, v[116:117]
	v_add_co_u32 v116, vcc_lo, s2, v120
	v_add_co_ci_u32_e32 v117, vcc_lo, s3, v121, vcc_lo
	v_lshlrev_b64 v[120:121], 4, v[118:119]
	global_load_b128 v[198:201], v[92:93], off
	v_add_co_u32 v118, vcc_lo, s2, v139
	v_add_co_ci_u32_e32 v119, vcc_lo, s3, v140, vcc_lo
	v_add_co_u32 v120, vcc_lo, s2, v120
	v_add_co_ci_u32_e32 v121, vcc_lo, s3, v121, vcc_lo
	s_movk_i32 s2, 0x50
	s_movk_i32 s3, 0x60
	v_add_nc_u32_e64 v140, 0, 32
	v_add_nc_u32_e64 v142, 0, 48
	;; [unrolled: 1-line block ×7, first 2 shown]
	s_mov_b32 s3, -1
	s_bitcmp0_b32 s17, 0
	s_waitcnt vmcnt(25)
	scratch_store_b128 off, v[1:4], off
	s_waitcnt vmcnt(24)
	scratch_store_b128 off, v[5:8], off offset:16
	s_clause 0x1
	global_load_b128 v[1:4], v[94:95], off
	global_load_b128 v[5:8], v[96:97], off
	s_waitcnt vmcnt(25)
	scratch_store_b128 off, v[9:12], off offset:32
	s_waitcnt vmcnt(23)
	scratch_store_b128 off, v[14:17], off offset:48
	s_clause 0x1
	global_load_b128 v[9:12], v[98:99], off
	global_load_b128 v[14:17], v[100:101], off
	scratch_store_b128 off, v[18:21], off offset:64
	s_waitcnt vmcnt(24)
	scratch_store_b128 off, v[22:25], off offset:80
	s_clause 0x1
	global_load_b128 v[18:21], v[102:103], off
	global_load_b128 v[22:25], v[104:105], off
	s_waitcnt vmcnt(25)
	scratch_store_b128 off, v[26:29], off offset:96
	s_waitcnt vmcnt(24)
	scratch_store_b128 off, v[30:33], off offset:112
	s_clause 0x1
	global_load_b128 v[26:29], v[106:107], off
	global_load_b128 v[30:33], v[108:109], off
	s_waitcnt vmcnt(25)
	;; [unrolled: 7-line block ×4, first 2 shown]
	scratch_store_b128 off, v[131:134], off offset:192
	s_clause 0x1
	global_load_b128 v[128:131], v[118:119], off
	global_load_b128 v[210:213], v[120:121], off
	v_add_nc_u32_e64 v132, s31, 0
	v_add_nc_u32_e64 v133, s33, 0
	;; [unrolled: 1-line block ×8, first 2 shown]
	s_waitcnt vmcnt(26)
	scratch_store_b128 off, v[135:138], off offset:208
	v_add_nc_u32_e64 v138, s29, 0
	v_add_nc_u32_e64 v137, s30, 0
	;; [unrolled: 1-line block ×4, first 2 shown]
	s_waitcnt vmcnt(25)
	scratch_store_b128 off, v[144:147], off offset:224
	v_add_nc_u32_e64 v147, s24, 0
	v_add_nc_u32_e64 v146, s25, 0
	;; [unrolled: 1-line block ×4, first 2 shown]
	s_waitcnt vmcnt(24)
	scratch_store_b128 off, v[148:151], off offset:240
	s_waitcnt vmcnt(23)
	scratch_store_b128 off, v[162:165], off offset:256
	;; [unrolled: 2-line block ×3, first 2 shown]
	v_add_nc_u32_e64 v151, s20, 0
	v_add_nc_u32_e64 v150, s21, 0
	;; [unrolled: 1-line block ×4, first 2 shown]
	s_waitcnt vmcnt(21)
	scratch_store_b128 off, v[170:173], off offset:288
	s_waitcnt vmcnt(20)
	scratch_store_b128 off, v[174:177], off offset:304
	;; [unrolled: 2-line block ×20, first 2 shown]
	v_add_nc_u32_e64 v131, s42, 0
	v_add_nc_u32_e64 v130, s43, 0
	;; [unrolled: 1-line block ×4, first 2 shown]
	s_waitcnt vmcnt(0)
	s_clause 0x1
	scratch_store_b128 off, v[210:213], off offset:608
	scratch_store_b128 off, v[198:201], off offset:624
	s_cbranch_scc1 .LBB103_172
; %bb.4:
	v_cmp_eq_u32_e64 s2, 0, v122
	s_delay_alu instid0(VALU_DEP_1)
	s_and_saveexec_b32 s3, s2
	s_cbranch_execz .LBB103_6
; %bb.5:
	v_mov_b32_e32 v1, 0
	ds_store_b32 v1, v1 offset:1280
.LBB103_6:
	s_or_b32 exec_lo, exec_lo, s3
	s_waitcnt lgkmcnt(0)
	s_waitcnt_vscnt null, 0x0
	s_barrier
	buffer_gl0_inv
	scratch_load_b128 v[1:4], v13, off
	s_waitcnt vmcnt(0)
	v_cmp_eq_f64_e32 vcc_lo, 0, v[1:2]
	v_cmp_eq_f64_e64 s3, 0, v[3:4]
	s_delay_alu instid0(VALU_DEP_1) | instskip(NEXT) | instid1(SALU_CYCLE_1)
	s_and_b32 s3, vcc_lo, s3
	s_and_saveexec_b32 s4, s3
	s_cbranch_execz .LBB103_10
; %bb.7:
	v_mov_b32_e32 v1, 0
	s_mov_b32 s5, 0
	ds_load_b32 v2, v1 offset:1280
	s_waitcnt lgkmcnt(0)
	v_readfirstlane_b32 s3, v2
	v_add_nc_u32_e32 v2, 1, v122
	s_delay_alu instid0(VALU_DEP_2) | instskip(NEXT) | instid1(VALU_DEP_1)
	s_cmp_eq_u32 s3, 0
	v_cmp_gt_i32_e32 vcc_lo, s3, v2
	s_cselect_b32 s12, -1, 0
	s_delay_alu instid0(SALU_CYCLE_1) | instskip(NEXT) | instid1(SALU_CYCLE_1)
	s_or_b32 s12, s12, vcc_lo
	s_and_b32 exec_lo, exec_lo, s12
	s_cbranch_execz .LBB103_10
; %bb.8:
	v_mov_b32_e32 v3, s3
.LBB103_9:                              ; =>This Inner Loop Header: Depth=1
	ds_cmpstore_rtn_b32 v3, v1, v2, v3 offset:1280
	s_waitcnt lgkmcnt(0)
	v_cmp_ne_u32_e32 vcc_lo, 0, v3
	v_cmp_le_i32_e64 s3, v3, v2
	s_delay_alu instid0(VALU_DEP_1) | instskip(NEXT) | instid1(SALU_CYCLE_1)
	s_and_b32 s3, vcc_lo, s3
	s_and_b32 s3, exec_lo, s3
	s_delay_alu instid0(SALU_CYCLE_1) | instskip(NEXT) | instid1(SALU_CYCLE_1)
	s_or_b32 s5, s3, s5
	s_and_not1_b32 exec_lo, exec_lo, s5
	s_cbranch_execnz .LBB103_9
.LBB103_10:
	s_or_b32 exec_lo, exec_lo, s4
	v_mov_b32_e32 v1, 0
	s_barrier
	buffer_gl0_inv
	ds_load_b32 v2, v1 offset:1280
	s_and_saveexec_b32 s3, s2
	s_cbranch_execz .LBB103_12
; %bb.11:
	s_lshl_b64 s[4:5], s[10:11], 2
	s_delay_alu instid0(SALU_CYCLE_1)
	s_add_u32 s4, s6, s4
	s_addc_u32 s5, s7, s5
	s_waitcnt lgkmcnt(0)
	global_store_b32 v1, v2, s[4:5]
.LBB103_12:
	s_or_b32 exec_lo, exec_lo, s3
	s_waitcnt lgkmcnt(0)
	v_cmp_ne_u32_e32 vcc_lo, 0, v2
	s_mov_b32 s3, 0
	s_cbranch_vccnz .LBB103_172
; %bb.13:
	v_add_nc_u32_e32 v14, 0, v13
                                        ; implicit-def: $vgpr9_vgpr10
	scratch_load_b128 v[1:4], v14, off
	s_waitcnt vmcnt(0)
	v_mov_b32_e32 v5, v1
	v_cmp_gt_f64_e32 vcc_lo, 0, v[1:2]
	v_xor_b32_e32 v6, 0x80000000, v2
	v_xor_b32_e32 v7, 0x80000000, v4
	s_delay_alu instid0(VALU_DEP_2) | instskip(SKIP_1) | instid1(VALU_DEP_3)
	v_cndmask_b32_e32 v6, v2, v6, vcc_lo
	v_cmp_gt_f64_e32 vcc_lo, 0, v[3:4]
	v_dual_cndmask_b32 v8, v4, v7 :: v_dual_mov_b32 v7, v3
	s_delay_alu instid0(VALU_DEP_1) | instskip(SKIP_1) | instid1(SALU_CYCLE_1)
	v_cmp_ngt_f64_e32 vcc_lo, v[5:6], v[7:8]
                                        ; implicit-def: $vgpr5_vgpr6
	s_and_saveexec_b32 s3, vcc_lo
	s_xor_b32 s3, exec_lo, s3
	s_cbranch_execz .LBB103_15
; %bb.14:
	v_div_scale_f64 v[5:6], null, v[3:4], v[3:4], v[1:2]
	v_div_scale_f64 v[11:12], vcc_lo, v[1:2], v[3:4], v[1:2]
	s_delay_alu instid0(VALU_DEP_2) | instskip(SKIP_2) | instid1(VALU_DEP_1)
	v_rcp_f64_e32 v[7:8], v[5:6]
	s_waitcnt_depctr 0xfff
	v_fma_f64 v[9:10], -v[5:6], v[7:8], 1.0
	v_fma_f64 v[7:8], v[7:8], v[9:10], v[7:8]
	s_delay_alu instid0(VALU_DEP_1) | instskip(NEXT) | instid1(VALU_DEP_1)
	v_fma_f64 v[9:10], -v[5:6], v[7:8], 1.0
	v_fma_f64 v[7:8], v[7:8], v[9:10], v[7:8]
	s_delay_alu instid0(VALU_DEP_1) | instskip(NEXT) | instid1(VALU_DEP_1)
	v_mul_f64 v[9:10], v[11:12], v[7:8]
	v_fma_f64 v[5:6], -v[5:6], v[9:10], v[11:12]
	s_delay_alu instid0(VALU_DEP_1) | instskip(NEXT) | instid1(VALU_DEP_1)
	v_div_fmas_f64 v[5:6], v[5:6], v[7:8], v[9:10]
	v_div_fixup_f64 v[5:6], v[5:6], v[3:4], v[1:2]
	s_delay_alu instid0(VALU_DEP_1) | instskip(NEXT) | instid1(VALU_DEP_1)
	v_fma_f64 v[1:2], v[1:2], v[5:6], v[3:4]
	v_div_scale_f64 v[3:4], null, v[1:2], v[1:2], 1.0
	v_div_scale_f64 v[11:12], vcc_lo, 1.0, v[1:2], 1.0
	s_delay_alu instid0(VALU_DEP_2) | instskip(SKIP_2) | instid1(VALU_DEP_1)
	v_rcp_f64_e32 v[7:8], v[3:4]
	s_waitcnt_depctr 0xfff
	v_fma_f64 v[9:10], -v[3:4], v[7:8], 1.0
	v_fma_f64 v[7:8], v[7:8], v[9:10], v[7:8]
	s_delay_alu instid0(VALU_DEP_1) | instskip(NEXT) | instid1(VALU_DEP_1)
	v_fma_f64 v[9:10], -v[3:4], v[7:8], 1.0
	v_fma_f64 v[7:8], v[7:8], v[9:10], v[7:8]
	s_delay_alu instid0(VALU_DEP_1) | instskip(NEXT) | instid1(VALU_DEP_1)
	v_mul_f64 v[9:10], v[11:12], v[7:8]
	v_fma_f64 v[3:4], -v[3:4], v[9:10], v[11:12]
	s_delay_alu instid0(VALU_DEP_1) | instskip(NEXT) | instid1(VALU_DEP_1)
	v_div_fmas_f64 v[3:4], v[3:4], v[7:8], v[9:10]
	v_div_fixup_f64 v[7:8], v[3:4], v[1:2], 1.0
                                        ; implicit-def: $vgpr1_vgpr2
	s_delay_alu instid0(VALU_DEP_1) | instskip(SKIP_1) | instid1(VALU_DEP_2)
	v_mul_f64 v[5:6], v[5:6], v[7:8]
	v_xor_b32_e32 v8, 0x80000000, v8
	v_xor_b32_e32 v10, 0x80000000, v6
	s_delay_alu instid0(VALU_DEP_3)
	v_mov_b32_e32 v9, v5
.LBB103_15:
	s_and_not1_saveexec_b32 s3, s3
	s_cbranch_execz .LBB103_17
; %bb.16:
	v_div_scale_f64 v[5:6], null, v[1:2], v[1:2], v[3:4]
	v_div_scale_f64 v[11:12], vcc_lo, v[3:4], v[1:2], v[3:4]
	s_delay_alu instid0(VALU_DEP_2) | instskip(SKIP_2) | instid1(VALU_DEP_1)
	v_rcp_f64_e32 v[7:8], v[5:6]
	s_waitcnt_depctr 0xfff
	v_fma_f64 v[9:10], -v[5:6], v[7:8], 1.0
	v_fma_f64 v[7:8], v[7:8], v[9:10], v[7:8]
	s_delay_alu instid0(VALU_DEP_1) | instskip(NEXT) | instid1(VALU_DEP_1)
	v_fma_f64 v[9:10], -v[5:6], v[7:8], 1.0
	v_fma_f64 v[7:8], v[7:8], v[9:10], v[7:8]
	s_delay_alu instid0(VALU_DEP_1) | instskip(NEXT) | instid1(VALU_DEP_1)
	v_mul_f64 v[9:10], v[11:12], v[7:8]
	v_fma_f64 v[5:6], -v[5:6], v[9:10], v[11:12]
	s_delay_alu instid0(VALU_DEP_1) | instskip(NEXT) | instid1(VALU_DEP_1)
	v_div_fmas_f64 v[5:6], v[5:6], v[7:8], v[9:10]
	v_div_fixup_f64 v[7:8], v[5:6], v[1:2], v[3:4]
	s_delay_alu instid0(VALU_DEP_1) | instskip(NEXT) | instid1(VALU_DEP_1)
	v_fma_f64 v[1:2], v[3:4], v[7:8], v[1:2]
	v_div_scale_f64 v[3:4], null, v[1:2], v[1:2], 1.0
	s_delay_alu instid0(VALU_DEP_1) | instskip(SKIP_2) | instid1(VALU_DEP_1)
	v_rcp_f64_e32 v[5:6], v[3:4]
	s_waitcnt_depctr 0xfff
	v_fma_f64 v[9:10], -v[3:4], v[5:6], 1.0
	v_fma_f64 v[5:6], v[5:6], v[9:10], v[5:6]
	s_delay_alu instid0(VALU_DEP_1) | instskip(NEXT) | instid1(VALU_DEP_1)
	v_fma_f64 v[9:10], -v[3:4], v[5:6], 1.0
	v_fma_f64 v[5:6], v[5:6], v[9:10], v[5:6]
	v_div_scale_f64 v[9:10], vcc_lo, 1.0, v[1:2], 1.0
	s_delay_alu instid0(VALU_DEP_1) | instskip(NEXT) | instid1(VALU_DEP_1)
	v_mul_f64 v[11:12], v[9:10], v[5:6]
	v_fma_f64 v[3:4], -v[3:4], v[11:12], v[9:10]
	s_delay_alu instid0(VALU_DEP_1) | instskip(NEXT) | instid1(VALU_DEP_1)
	v_div_fmas_f64 v[3:4], v[3:4], v[5:6], v[11:12]
	v_div_fixup_f64 v[5:6], v[3:4], v[1:2], 1.0
	s_delay_alu instid0(VALU_DEP_1)
	v_mul_f64 v[7:8], v[7:8], -v[5:6]
	v_xor_b32_e32 v10, 0x80000000, v6
	v_mov_b32_e32 v9, v5
.LBB103_17:
	s_or_b32 exec_lo, exec_lo, s3
	scratch_store_b128 v14, v[5:8], off
	scratch_load_b128 v[1:4], v143, off
	v_xor_b32_e32 v12, 0x80000000, v8
	v_mov_b32_e32 v11, v7
	v_add_nc_u32_e32 v5, 0x280, v13
	ds_store_b128 v13, v[9:12]
	s_waitcnt vmcnt(0)
	ds_store_b128 v13, v[1:4] offset:640
	s_waitcnt lgkmcnt(0)
	s_waitcnt_vscnt null, 0x0
	s_barrier
	buffer_gl0_inv
	s_and_saveexec_b32 s3, s2
	s_cbranch_execz .LBB103_19
; %bb.18:
	scratch_load_b128 v[1:4], v14, off
	ds_load_b128 v[6:9], v5
	v_mov_b32_e32 v10, 0
	ds_load_b128 v[15:18], v10 offset:16
	s_waitcnt vmcnt(0) lgkmcnt(1)
	v_mul_f64 v[10:11], v[6:7], v[3:4]
	v_mul_f64 v[3:4], v[8:9], v[3:4]
	s_delay_alu instid0(VALU_DEP_2) | instskip(NEXT) | instid1(VALU_DEP_2)
	v_fma_f64 v[8:9], v[8:9], v[1:2], v[10:11]
	v_fma_f64 v[1:2], v[6:7], v[1:2], -v[3:4]
	s_delay_alu instid0(VALU_DEP_2) | instskip(NEXT) | instid1(VALU_DEP_2)
	v_add_f64 v[3:4], v[8:9], 0
	v_add_f64 v[1:2], v[1:2], 0
	s_waitcnt lgkmcnt(0)
	s_delay_alu instid0(VALU_DEP_2) | instskip(NEXT) | instid1(VALU_DEP_2)
	v_mul_f64 v[6:7], v[3:4], v[17:18]
	v_mul_f64 v[8:9], v[1:2], v[17:18]
	s_delay_alu instid0(VALU_DEP_2) | instskip(NEXT) | instid1(VALU_DEP_2)
	v_fma_f64 v[1:2], v[1:2], v[15:16], -v[6:7]
	v_fma_f64 v[3:4], v[3:4], v[15:16], v[8:9]
	scratch_store_b128 off, v[1:4], off offset:16
.LBB103_19:
	s_or_b32 exec_lo, exec_lo, s3
	s_waitcnt_vscnt null, 0x0
	s_barrier
	buffer_gl0_inv
	scratch_load_b128 v[1:4], v140, off
	s_mov_b32 s3, exec_lo
	s_waitcnt vmcnt(0)
	ds_store_b128 v5, v[1:4]
	s_waitcnt lgkmcnt(0)
	s_barrier
	buffer_gl0_inv
	v_cmpx_gt_u32_e32 2, v122
	s_cbranch_execz .LBB103_23
; %bb.20:
	scratch_load_b128 v[1:4], v14, off
	ds_load_b128 v[6:9], v5
	s_waitcnt vmcnt(0) lgkmcnt(0)
	v_mul_f64 v[10:11], v[8:9], v[3:4]
	v_mul_f64 v[3:4], v[6:7], v[3:4]
	s_delay_alu instid0(VALU_DEP_2) | instskip(NEXT) | instid1(VALU_DEP_2)
	v_fma_f64 v[6:7], v[6:7], v[1:2], -v[10:11]
	v_fma_f64 v[3:4], v[8:9], v[1:2], v[3:4]
	s_delay_alu instid0(VALU_DEP_2) | instskip(NEXT) | instid1(VALU_DEP_2)
	v_add_f64 v[1:2], v[6:7], 0
	v_add_f64 v[3:4], v[3:4], 0
	s_and_saveexec_b32 s4, s2
	s_cbranch_execz .LBB103_22
; %bb.21:
	scratch_load_b128 v[6:9], off, off offset:16
	v_mov_b32_e32 v10, 0
	ds_load_b128 v[15:18], v10 offset:656
	s_waitcnt vmcnt(0) lgkmcnt(0)
	v_mul_f64 v[10:11], v[15:16], v[8:9]
	v_mul_f64 v[8:9], v[17:18], v[8:9]
	s_delay_alu instid0(VALU_DEP_2) | instskip(NEXT) | instid1(VALU_DEP_2)
	v_fma_f64 v[10:11], v[17:18], v[6:7], v[10:11]
	v_fma_f64 v[6:7], v[15:16], v[6:7], -v[8:9]
	s_delay_alu instid0(VALU_DEP_2) | instskip(NEXT) | instid1(VALU_DEP_2)
	v_add_f64 v[3:4], v[3:4], v[10:11]
	v_add_f64 v[1:2], v[1:2], v[6:7]
.LBB103_22:
	s_or_b32 exec_lo, exec_lo, s4
	v_mov_b32_e32 v6, 0
	ds_load_b128 v[6:9], v6 offset:32
	s_waitcnt lgkmcnt(0)
	v_mul_f64 v[10:11], v[3:4], v[8:9]
	v_mul_f64 v[8:9], v[1:2], v[8:9]
	s_delay_alu instid0(VALU_DEP_2) | instskip(NEXT) | instid1(VALU_DEP_2)
	v_fma_f64 v[1:2], v[1:2], v[6:7], -v[10:11]
	v_fma_f64 v[3:4], v[3:4], v[6:7], v[8:9]
	scratch_store_b128 off, v[1:4], off offset:32
.LBB103_23:
	s_or_b32 exec_lo, exec_lo, s3
	s_waitcnt_vscnt null, 0x0
	s_barrier
	buffer_gl0_inv
	scratch_load_b128 v[1:4], v142, off
	v_add_nc_u32_e32 v6, -1, v122
	s_mov_b32 s2, exec_lo
	s_waitcnt vmcnt(0)
	ds_store_b128 v5, v[1:4]
	s_waitcnt lgkmcnt(0)
	s_barrier
	buffer_gl0_inv
	v_cmpx_gt_u32_e32 3, v122
	s_cbranch_execz .LBB103_27
; %bb.24:
	v_dual_mov_b32 v1, 0 :: v_dual_add_nc_u32 v8, 0x280, v13
	v_dual_mov_b32 v2, 0 :: v_dual_add_nc_u32 v7, -1, v122
	v_or_b32_e32 v9, 8, v14
	s_mov_b32 s3, 0
	s_delay_alu instid0(VALU_DEP_2)
	v_dual_mov_b32 v4, v2 :: v_dual_mov_b32 v3, v1
	.p2align	6
.LBB103_25:                             ; =>This Inner Loop Header: Depth=1
	scratch_load_b128 v[15:18], v9, off offset:-8
	ds_load_b128 v[19:22], v8
	v_add_nc_u32_e32 v7, 1, v7
	v_add_nc_u32_e32 v8, 16, v8
	;; [unrolled: 1-line block ×3, first 2 shown]
	s_delay_alu instid0(VALU_DEP_3) | instskip(SKIP_4) | instid1(VALU_DEP_2)
	v_cmp_lt_u32_e32 vcc_lo, 1, v7
	s_or_b32 s3, vcc_lo, s3
	s_waitcnt vmcnt(0) lgkmcnt(0)
	v_mul_f64 v[10:11], v[21:22], v[17:18]
	v_mul_f64 v[17:18], v[19:20], v[17:18]
	v_fma_f64 v[10:11], v[19:20], v[15:16], -v[10:11]
	s_delay_alu instid0(VALU_DEP_2) | instskip(NEXT) | instid1(VALU_DEP_2)
	v_fma_f64 v[15:16], v[21:22], v[15:16], v[17:18]
	v_add_f64 v[3:4], v[3:4], v[10:11]
	s_delay_alu instid0(VALU_DEP_2)
	v_add_f64 v[1:2], v[1:2], v[15:16]
	s_and_not1_b32 exec_lo, exec_lo, s3
	s_cbranch_execnz .LBB103_25
; %bb.26:
	s_or_b32 exec_lo, exec_lo, s3
	v_mov_b32_e32 v7, 0
	ds_load_b128 v[7:10], v7 offset:48
	s_waitcnt lgkmcnt(0)
	v_mul_f64 v[11:12], v[1:2], v[9:10]
	v_mul_f64 v[15:16], v[3:4], v[9:10]
	s_delay_alu instid0(VALU_DEP_2) | instskip(NEXT) | instid1(VALU_DEP_2)
	v_fma_f64 v[9:10], v[3:4], v[7:8], -v[11:12]
	v_fma_f64 v[11:12], v[1:2], v[7:8], v[15:16]
	scratch_store_b128 off, v[9:12], off offset:48
.LBB103_27:
	s_or_b32 exec_lo, exec_lo, s2
	s_waitcnt_vscnt null, 0x0
	s_barrier
	buffer_gl0_inv
	scratch_load_b128 v[1:4], v139, off
	s_mov_b32 s2, exec_lo
	s_waitcnt vmcnt(0)
	ds_store_b128 v5, v[1:4]
	s_waitcnt lgkmcnt(0)
	s_barrier
	buffer_gl0_inv
	v_cmpx_gt_u32_e32 4, v122
	s_cbranch_execz .LBB103_31
; %bb.28:
	v_dual_mov_b32 v1, 0 :: v_dual_add_nc_u32 v8, 0x280, v13
	v_dual_mov_b32 v2, 0 :: v_dual_add_nc_u32 v7, -1, v122
	v_or_b32_e32 v9, 8, v14
	s_mov_b32 s3, 0
	s_delay_alu instid0(VALU_DEP_2)
	v_dual_mov_b32 v4, v2 :: v_dual_mov_b32 v3, v1
	.p2align	6
.LBB103_29:                             ; =>This Inner Loop Header: Depth=1
	scratch_load_b128 v[15:18], v9, off offset:-8
	ds_load_b128 v[19:22], v8
	v_add_nc_u32_e32 v7, 1, v7
	v_add_nc_u32_e32 v8, 16, v8
	;; [unrolled: 1-line block ×3, first 2 shown]
	s_delay_alu instid0(VALU_DEP_3) | instskip(SKIP_4) | instid1(VALU_DEP_2)
	v_cmp_lt_u32_e32 vcc_lo, 2, v7
	s_or_b32 s3, vcc_lo, s3
	s_waitcnt vmcnt(0) lgkmcnt(0)
	v_mul_f64 v[10:11], v[21:22], v[17:18]
	v_mul_f64 v[17:18], v[19:20], v[17:18]
	v_fma_f64 v[10:11], v[19:20], v[15:16], -v[10:11]
	s_delay_alu instid0(VALU_DEP_2) | instskip(NEXT) | instid1(VALU_DEP_2)
	v_fma_f64 v[15:16], v[21:22], v[15:16], v[17:18]
	v_add_f64 v[3:4], v[3:4], v[10:11]
	s_delay_alu instid0(VALU_DEP_2)
	v_add_f64 v[1:2], v[1:2], v[15:16]
	s_and_not1_b32 exec_lo, exec_lo, s3
	s_cbranch_execnz .LBB103_29
; %bb.30:
	s_or_b32 exec_lo, exec_lo, s3
	v_mov_b32_e32 v7, 0
	ds_load_b128 v[7:10], v7 offset:64
	s_waitcnt lgkmcnt(0)
	v_mul_f64 v[11:12], v[1:2], v[9:10]
	v_mul_f64 v[15:16], v[3:4], v[9:10]
	s_delay_alu instid0(VALU_DEP_2) | instskip(NEXT) | instid1(VALU_DEP_2)
	v_fma_f64 v[9:10], v[3:4], v[7:8], -v[11:12]
	v_fma_f64 v[11:12], v[1:2], v[7:8], v[15:16]
	scratch_store_b128 off, v[9:12], off offset:64
.LBB103_31:
	s_or_b32 exec_lo, exec_lo, s2
	s_waitcnt_vscnt null, 0x0
	s_barrier
	buffer_gl0_inv
	scratch_load_b128 v[1:4], v161, off
	s_mov_b32 s2, exec_lo
	s_waitcnt vmcnt(0)
	ds_store_b128 v5, v[1:4]
	s_waitcnt lgkmcnt(0)
	s_barrier
	buffer_gl0_inv
	v_cmpx_gt_u32_e32 5, v122
	s_cbranch_execz .LBB103_35
; %bb.32:
	v_dual_mov_b32 v1, 0 :: v_dual_add_nc_u32 v8, 0x280, v13
	v_dual_mov_b32 v2, 0 :: v_dual_add_nc_u32 v7, -1, v122
	v_or_b32_e32 v9, 8, v14
	s_mov_b32 s3, 0
	s_delay_alu instid0(VALU_DEP_2)
	v_dual_mov_b32 v4, v2 :: v_dual_mov_b32 v3, v1
	.p2align	6
.LBB103_33:                             ; =>This Inner Loop Header: Depth=1
	scratch_load_b128 v[15:18], v9, off offset:-8
	ds_load_b128 v[19:22], v8
	v_add_nc_u32_e32 v7, 1, v7
	v_add_nc_u32_e32 v8, 16, v8
	;; [unrolled: 1-line block ×3, first 2 shown]
	s_delay_alu instid0(VALU_DEP_3) | instskip(SKIP_4) | instid1(VALU_DEP_2)
	v_cmp_lt_u32_e32 vcc_lo, 3, v7
	s_or_b32 s3, vcc_lo, s3
	s_waitcnt vmcnt(0) lgkmcnt(0)
	v_mul_f64 v[10:11], v[21:22], v[17:18]
	v_mul_f64 v[17:18], v[19:20], v[17:18]
	v_fma_f64 v[10:11], v[19:20], v[15:16], -v[10:11]
	s_delay_alu instid0(VALU_DEP_2) | instskip(NEXT) | instid1(VALU_DEP_2)
	v_fma_f64 v[15:16], v[21:22], v[15:16], v[17:18]
	v_add_f64 v[3:4], v[3:4], v[10:11]
	s_delay_alu instid0(VALU_DEP_2)
	v_add_f64 v[1:2], v[1:2], v[15:16]
	s_and_not1_b32 exec_lo, exec_lo, s3
	s_cbranch_execnz .LBB103_33
; %bb.34:
	s_or_b32 exec_lo, exec_lo, s3
	v_mov_b32_e32 v7, 0
	ds_load_b128 v[7:10], v7 offset:80
	s_waitcnt lgkmcnt(0)
	v_mul_f64 v[11:12], v[1:2], v[9:10]
	v_mul_f64 v[15:16], v[3:4], v[9:10]
	s_delay_alu instid0(VALU_DEP_2) | instskip(NEXT) | instid1(VALU_DEP_2)
	v_fma_f64 v[9:10], v[3:4], v[7:8], -v[11:12]
	v_fma_f64 v[11:12], v[1:2], v[7:8], v[15:16]
	scratch_store_b128 off, v[9:12], off offset:80
.LBB103_35:
	s_or_b32 exec_lo, exec_lo, s2
	s_waitcnt_vscnt null, 0x0
	s_barrier
	buffer_gl0_inv
	scratch_load_b128 v[1:4], v159, off
	s_mov_b32 s2, exec_lo
	s_waitcnt vmcnt(0)
	ds_store_b128 v5, v[1:4]
	s_waitcnt lgkmcnt(0)
	s_barrier
	buffer_gl0_inv
	v_cmpx_gt_u32_e32 6, v122
	s_cbranch_execz .LBB103_39
; %bb.36:
	v_dual_mov_b32 v1, 0 :: v_dual_add_nc_u32 v8, 0x280, v13
	v_dual_mov_b32 v2, 0 :: v_dual_add_nc_u32 v7, -1, v122
	v_or_b32_e32 v9, 8, v14
	s_mov_b32 s3, 0
	s_delay_alu instid0(VALU_DEP_2)
	v_dual_mov_b32 v4, v2 :: v_dual_mov_b32 v3, v1
	.p2align	6
.LBB103_37:                             ; =>This Inner Loop Header: Depth=1
	scratch_load_b128 v[15:18], v9, off offset:-8
	ds_load_b128 v[19:22], v8
	v_add_nc_u32_e32 v7, 1, v7
	v_add_nc_u32_e32 v8, 16, v8
	;; [unrolled: 1-line block ×3, first 2 shown]
	s_delay_alu instid0(VALU_DEP_3) | instskip(SKIP_4) | instid1(VALU_DEP_2)
	v_cmp_lt_u32_e32 vcc_lo, 4, v7
	s_or_b32 s3, vcc_lo, s3
	s_waitcnt vmcnt(0) lgkmcnt(0)
	v_mul_f64 v[10:11], v[21:22], v[17:18]
	v_mul_f64 v[17:18], v[19:20], v[17:18]
	v_fma_f64 v[10:11], v[19:20], v[15:16], -v[10:11]
	s_delay_alu instid0(VALU_DEP_2) | instskip(NEXT) | instid1(VALU_DEP_2)
	v_fma_f64 v[15:16], v[21:22], v[15:16], v[17:18]
	v_add_f64 v[3:4], v[3:4], v[10:11]
	s_delay_alu instid0(VALU_DEP_2)
	v_add_f64 v[1:2], v[1:2], v[15:16]
	s_and_not1_b32 exec_lo, exec_lo, s3
	s_cbranch_execnz .LBB103_37
; %bb.38:
	s_or_b32 exec_lo, exec_lo, s3
	v_mov_b32_e32 v7, 0
	ds_load_b128 v[7:10], v7 offset:96
	s_waitcnt lgkmcnt(0)
	v_mul_f64 v[11:12], v[1:2], v[9:10]
	v_mul_f64 v[15:16], v[3:4], v[9:10]
	s_delay_alu instid0(VALU_DEP_2) | instskip(NEXT) | instid1(VALU_DEP_2)
	v_fma_f64 v[9:10], v[3:4], v[7:8], -v[11:12]
	v_fma_f64 v[11:12], v[1:2], v[7:8], v[15:16]
	scratch_store_b128 off, v[9:12], off offset:96
.LBB103_39:
	s_or_b32 exec_lo, exec_lo, s2
	s_waitcnt_vscnt null, 0x0
	s_barrier
	buffer_gl0_inv
	scratch_load_b128 v[1:4], v160, off
	s_mov_b32 s2, exec_lo
	s_waitcnt vmcnt(0)
	ds_store_b128 v5, v[1:4]
	s_waitcnt lgkmcnt(0)
	s_barrier
	buffer_gl0_inv
	v_cmpx_gt_u32_e32 7, v122
	s_cbranch_execz .LBB103_43
; %bb.40:
	v_dual_mov_b32 v1, 0 :: v_dual_add_nc_u32 v8, 0x280, v13
	v_dual_mov_b32 v2, 0 :: v_dual_add_nc_u32 v7, -1, v122
	v_or_b32_e32 v9, 8, v14
	s_mov_b32 s3, 0
	s_delay_alu instid0(VALU_DEP_2)
	v_dual_mov_b32 v4, v2 :: v_dual_mov_b32 v3, v1
	.p2align	6
.LBB103_41:                             ; =>This Inner Loop Header: Depth=1
	scratch_load_b128 v[15:18], v9, off offset:-8
	ds_load_b128 v[19:22], v8
	v_add_nc_u32_e32 v7, 1, v7
	v_add_nc_u32_e32 v8, 16, v8
	;; [unrolled: 1-line block ×3, first 2 shown]
	s_delay_alu instid0(VALU_DEP_3) | instskip(SKIP_4) | instid1(VALU_DEP_2)
	v_cmp_lt_u32_e32 vcc_lo, 5, v7
	s_or_b32 s3, vcc_lo, s3
	s_waitcnt vmcnt(0) lgkmcnt(0)
	v_mul_f64 v[10:11], v[21:22], v[17:18]
	v_mul_f64 v[17:18], v[19:20], v[17:18]
	v_fma_f64 v[10:11], v[19:20], v[15:16], -v[10:11]
	s_delay_alu instid0(VALU_DEP_2) | instskip(NEXT) | instid1(VALU_DEP_2)
	v_fma_f64 v[15:16], v[21:22], v[15:16], v[17:18]
	v_add_f64 v[3:4], v[3:4], v[10:11]
	s_delay_alu instid0(VALU_DEP_2)
	v_add_f64 v[1:2], v[1:2], v[15:16]
	s_and_not1_b32 exec_lo, exec_lo, s3
	s_cbranch_execnz .LBB103_41
; %bb.42:
	s_or_b32 exec_lo, exec_lo, s3
	v_mov_b32_e32 v7, 0
	ds_load_b128 v[7:10], v7 offset:112
	s_waitcnt lgkmcnt(0)
	v_mul_f64 v[11:12], v[1:2], v[9:10]
	v_mul_f64 v[15:16], v[3:4], v[9:10]
	s_delay_alu instid0(VALU_DEP_2) | instskip(NEXT) | instid1(VALU_DEP_2)
	v_fma_f64 v[9:10], v[3:4], v[7:8], -v[11:12]
	v_fma_f64 v[11:12], v[1:2], v[7:8], v[15:16]
	scratch_store_b128 off, v[9:12], off offset:112
.LBB103_43:
	s_or_b32 exec_lo, exec_lo, s2
	s_waitcnt_vscnt null, 0x0
	s_barrier
	buffer_gl0_inv
	scratch_load_b128 v[1:4], v158, off
	s_mov_b32 s2, exec_lo
	s_waitcnt vmcnt(0)
	ds_store_b128 v5, v[1:4]
	s_waitcnt lgkmcnt(0)
	s_barrier
	buffer_gl0_inv
	v_cmpx_gt_u32_e32 8, v122
	s_cbranch_execz .LBB103_47
; %bb.44:
	v_dual_mov_b32 v1, 0 :: v_dual_add_nc_u32 v8, 0x280, v13
	v_dual_mov_b32 v2, 0 :: v_dual_add_nc_u32 v7, -1, v122
	v_or_b32_e32 v9, 8, v14
	s_mov_b32 s3, 0
	s_delay_alu instid0(VALU_DEP_2)
	v_dual_mov_b32 v4, v2 :: v_dual_mov_b32 v3, v1
	.p2align	6
.LBB103_45:                             ; =>This Inner Loop Header: Depth=1
	scratch_load_b128 v[15:18], v9, off offset:-8
	ds_load_b128 v[19:22], v8
	v_add_nc_u32_e32 v7, 1, v7
	v_add_nc_u32_e32 v8, 16, v8
	;; [unrolled: 1-line block ×3, first 2 shown]
	s_delay_alu instid0(VALU_DEP_3) | instskip(SKIP_4) | instid1(VALU_DEP_2)
	v_cmp_lt_u32_e32 vcc_lo, 6, v7
	s_or_b32 s3, vcc_lo, s3
	s_waitcnt vmcnt(0) lgkmcnt(0)
	v_mul_f64 v[10:11], v[21:22], v[17:18]
	v_mul_f64 v[17:18], v[19:20], v[17:18]
	v_fma_f64 v[10:11], v[19:20], v[15:16], -v[10:11]
	s_delay_alu instid0(VALU_DEP_2) | instskip(NEXT) | instid1(VALU_DEP_2)
	v_fma_f64 v[15:16], v[21:22], v[15:16], v[17:18]
	v_add_f64 v[3:4], v[3:4], v[10:11]
	s_delay_alu instid0(VALU_DEP_2)
	v_add_f64 v[1:2], v[1:2], v[15:16]
	s_and_not1_b32 exec_lo, exec_lo, s3
	s_cbranch_execnz .LBB103_45
; %bb.46:
	s_or_b32 exec_lo, exec_lo, s3
	v_mov_b32_e32 v7, 0
	ds_load_b128 v[7:10], v7 offset:128
	s_waitcnt lgkmcnt(0)
	v_mul_f64 v[11:12], v[1:2], v[9:10]
	v_mul_f64 v[15:16], v[3:4], v[9:10]
	s_delay_alu instid0(VALU_DEP_2) | instskip(NEXT) | instid1(VALU_DEP_2)
	v_fma_f64 v[9:10], v[3:4], v[7:8], -v[11:12]
	v_fma_f64 v[11:12], v[1:2], v[7:8], v[15:16]
	scratch_store_b128 off, v[9:12], off offset:128
.LBB103_47:
	s_or_b32 exec_lo, exec_lo, s2
	s_waitcnt_vscnt null, 0x0
	s_barrier
	buffer_gl0_inv
	scratch_load_b128 v[1:4], v157, off
	s_mov_b32 s2, exec_lo
	s_waitcnt vmcnt(0)
	ds_store_b128 v5, v[1:4]
	s_waitcnt lgkmcnt(0)
	s_barrier
	buffer_gl0_inv
	v_cmpx_gt_u32_e32 9, v122
	s_cbranch_execz .LBB103_51
; %bb.48:
	v_dual_mov_b32 v1, 0 :: v_dual_add_nc_u32 v8, 0x280, v13
	v_dual_mov_b32 v2, 0 :: v_dual_add_nc_u32 v7, -1, v122
	v_or_b32_e32 v9, 8, v14
	s_mov_b32 s3, 0
	s_delay_alu instid0(VALU_DEP_2)
	v_dual_mov_b32 v4, v2 :: v_dual_mov_b32 v3, v1
	.p2align	6
.LBB103_49:                             ; =>This Inner Loop Header: Depth=1
	scratch_load_b128 v[15:18], v9, off offset:-8
	ds_load_b128 v[19:22], v8
	v_add_nc_u32_e32 v7, 1, v7
	v_add_nc_u32_e32 v8, 16, v8
	;; [unrolled: 1-line block ×3, first 2 shown]
	s_delay_alu instid0(VALU_DEP_3) | instskip(SKIP_4) | instid1(VALU_DEP_2)
	v_cmp_lt_u32_e32 vcc_lo, 7, v7
	s_or_b32 s3, vcc_lo, s3
	s_waitcnt vmcnt(0) lgkmcnt(0)
	v_mul_f64 v[10:11], v[21:22], v[17:18]
	v_mul_f64 v[17:18], v[19:20], v[17:18]
	v_fma_f64 v[10:11], v[19:20], v[15:16], -v[10:11]
	s_delay_alu instid0(VALU_DEP_2) | instskip(NEXT) | instid1(VALU_DEP_2)
	v_fma_f64 v[15:16], v[21:22], v[15:16], v[17:18]
	v_add_f64 v[3:4], v[3:4], v[10:11]
	s_delay_alu instid0(VALU_DEP_2)
	v_add_f64 v[1:2], v[1:2], v[15:16]
	s_and_not1_b32 exec_lo, exec_lo, s3
	s_cbranch_execnz .LBB103_49
; %bb.50:
	s_or_b32 exec_lo, exec_lo, s3
	v_mov_b32_e32 v7, 0
	ds_load_b128 v[7:10], v7 offset:144
	s_waitcnt lgkmcnt(0)
	v_mul_f64 v[11:12], v[1:2], v[9:10]
	v_mul_f64 v[15:16], v[3:4], v[9:10]
	s_delay_alu instid0(VALU_DEP_2) | instskip(NEXT) | instid1(VALU_DEP_2)
	v_fma_f64 v[9:10], v[3:4], v[7:8], -v[11:12]
	v_fma_f64 v[11:12], v[1:2], v[7:8], v[15:16]
	scratch_store_b128 off, v[9:12], off offset:144
.LBB103_51:
	s_or_b32 exec_lo, exec_lo, s2
	s_waitcnt_vscnt null, 0x0
	s_barrier
	buffer_gl0_inv
	scratch_load_b128 v[1:4], v155, off
	s_mov_b32 s2, exec_lo
	s_waitcnt vmcnt(0)
	ds_store_b128 v5, v[1:4]
	s_waitcnt lgkmcnt(0)
	s_barrier
	buffer_gl0_inv
	v_cmpx_gt_u32_e32 10, v122
	s_cbranch_execz .LBB103_55
; %bb.52:
	v_dual_mov_b32 v1, 0 :: v_dual_add_nc_u32 v8, 0x280, v13
	v_dual_mov_b32 v2, 0 :: v_dual_add_nc_u32 v7, -1, v122
	v_or_b32_e32 v9, 8, v14
	s_mov_b32 s3, 0
	s_delay_alu instid0(VALU_DEP_2)
	v_dual_mov_b32 v4, v2 :: v_dual_mov_b32 v3, v1
	.p2align	6
.LBB103_53:                             ; =>This Inner Loop Header: Depth=1
	scratch_load_b128 v[15:18], v9, off offset:-8
	ds_load_b128 v[19:22], v8
	v_add_nc_u32_e32 v7, 1, v7
	v_add_nc_u32_e32 v8, 16, v8
	;; [unrolled: 1-line block ×3, first 2 shown]
	s_delay_alu instid0(VALU_DEP_3) | instskip(SKIP_4) | instid1(VALU_DEP_2)
	v_cmp_lt_u32_e32 vcc_lo, 8, v7
	s_or_b32 s3, vcc_lo, s3
	s_waitcnt vmcnt(0) lgkmcnt(0)
	v_mul_f64 v[10:11], v[21:22], v[17:18]
	v_mul_f64 v[17:18], v[19:20], v[17:18]
	v_fma_f64 v[10:11], v[19:20], v[15:16], -v[10:11]
	s_delay_alu instid0(VALU_DEP_2) | instskip(NEXT) | instid1(VALU_DEP_2)
	v_fma_f64 v[15:16], v[21:22], v[15:16], v[17:18]
	v_add_f64 v[3:4], v[3:4], v[10:11]
	s_delay_alu instid0(VALU_DEP_2)
	v_add_f64 v[1:2], v[1:2], v[15:16]
	s_and_not1_b32 exec_lo, exec_lo, s3
	s_cbranch_execnz .LBB103_53
; %bb.54:
	s_or_b32 exec_lo, exec_lo, s3
	v_mov_b32_e32 v7, 0
	ds_load_b128 v[7:10], v7 offset:160
	s_waitcnt lgkmcnt(0)
	v_mul_f64 v[11:12], v[1:2], v[9:10]
	v_mul_f64 v[15:16], v[3:4], v[9:10]
	s_delay_alu instid0(VALU_DEP_2) | instskip(NEXT) | instid1(VALU_DEP_2)
	v_fma_f64 v[9:10], v[3:4], v[7:8], -v[11:12]
	v_fma_f64 v[11:12], v[1:2], v[7:8], v[15:16]
	scratch_store_b128 off, v[9:12], off offset:160
.LBB103_55:
	s_or_b32 exec_lo, exec_lo, s2
	s_waitcnt_vscnt null, 0x0
	s_barrier
	buffer_gl0_inv
	scratch_load_b128 v[1:4], v156, off
	s_mov_b32 s2, exec_lo
	s_waitcnt vmcnt(0)
	ds_store_b128 v5, v[1:4]
	s_waitcnt lgkmcnt(0)
	s_barrier
	buffer_gl0_inv
	v_cmpx_gt_u32_e32 11, v122
	s_cbranch_execz .LBB103_59
; %bb.56:
	v_dual_mov_b32 v1, 0 :: v_dual_add_nc_u32 v8, 0x280, v13
	v_dual_mov_b32 v2, 0 :: v_dual_add_nc_u32 v7, -1, v122
	v_or_b32_e32 v9, 8, v14
	s_mov_b32 s3, 0
	s_delay_alu instid0(VALU_DEP_2)
	v_dual_mov_b32 v4, v2 :: v_dual_mov_b32 v3, v1
	.p2align	6
.LBB103_57:                             ; =>This Inner Loop Header: Depth=1
	scratch_load_b128 v[15:18], v9, off offset:-8
	ds_load_b128 v[19:22], v8
	v_add_nc_u32_e32 v7, 1, v7
	v_add_nc_u32_e32 v8, 16, v8
	;; [unrolled: 1-line block ×3, first 2 shown]
	s_delay_alu instid0(VALU_DEP_3) | instskip(SKIP_4) | instid1(VALU_DEP_2)
	v_cmp_lt_u32_e32 vcc_lo, 9, v7
	s_or_b32 s3, vcc_lo, s3
	s_waitcnt vmcnt(0) lgkmcnt(0)
	v_mul_f64 v[10:11], v[21:22], v[17:18]
	v_mul_f64 v[17:18], v[19:20], v[17:18]
	v_fma_f64 v[10:11], v[19:20], v[15:16], -v[10:11]
	s_delay_alu instid0(VALU_DEP_2) | instskip(NEXT) | instid1(VALU_DEP_2)
	v_fma_f64 v[15:16], v[21:22], v[15:16], v[17:18]
	v_add_f64 v[3:4], v[3:4], v[10:11]
	s_delay_alu instid0(VALU_DEP_2)
	v_add_f64 v[1:2], v[1:2], v[15:16]
	s_and_not1_b32 exec_lo, exec_lo, s3
	s_cbranch_execnz .LBB103_57
; %bb.58:
	s_or_b32 exec_lo, exec_lo, s3
	v_mov_b32_e32 v7, 0
	ds_load_b128 v[7:10], v7 offset:176
	s_waitcnt lgkmcnt(0)
	v_mul_f64 v[11:12], v[1:2], v[9:10]
	v_mul_f64 v[15:16], v[3:4], v[9:10]
	s_delay_alu instid0(VALU_DEP_2) | instskip(NEXT) | instid1(VALU_DEP_2)
	v_fma_f64 v[9:10], v[3:4], v[7:8], -v[11:12]
	v_fma_f64 v[11:12], v[1:2], v[7:8], v[15:16]
	scratch_store_b128 off, v[9:12], off offset:176
.LBB103_59:
	s_or_b32 exec_lo, exec_lo, s2
	s_waitcnt_vscnt null, 0x0
	s_barrier
	buffer_gl0_inv
	scratch_load_b128 v[1:4], v154, off
	s_mov_b32 s2, exec_lo
	s_waitcnt vmcnt(0)
	ds_store_b128 v5, v[1:4]
	s_waitcnt lgkmcnt(0)
	s_barrier
	buffer_gl0_inv
	v_cmpx_gt_u32_e32 12, v122
	s_cbranch_execz .LBB103_63
; %bb.60:
	v_dual_mov_b32 v1, 0 :: v_dual_add_nc_u32 v8, 0x280, v13
	v_dual_mov_b32 v2, 0 :: v_dual_add_nc_u32 v7, -1, v122
	v_or_b32_e32 v9, 8, v14
	s_mov_b32 s3, 0
	s_delay_alu instid0(VALU_DEP_2)
	v_dual_mov_b32 v4, v2 :: v_dual_mov_b32 v3, v1
	.p2align	6
.LBB103_61:                             ; =>This Inner Loop Header: Depth=1
	scratch_load_b128 v[15:18], v9, off offset:-8
	ds_load_b128 v[19:22], v8
	v_add_nc_u32_e32 v7, 1, v7
	v_add_nc_u32_e32 v8, 16, v8
	;; [unrolled: 1-line block ×3, first 2 shown]
	s_delay_alu instid0(VALU_DEP_3) | instskip(SKIP_4) | instid1(VALU_DEP_2)
	v_cmp_lt_u32_e32 vcc_lo, 10, v7
	s_or_b32 s3, vcc_lo, s3
	s_waitcnt vmcnt(0) lgkmcnt(0)
	v_mul_f64 v[10:11], v[21:22], v[17:18]
	v_mul_f64 v[17:18], v[19:20], v[17:18]
	v_fma_f64 v[10:11], v[19:20], v[15:16], -v[10:11]
	s_delay_alu instid0(VALU_DEP_2) | instskip(NEXT) | instid1(VALU_DEP_2)
	v_fma_f64 v[15:16], v[21:22], v[15:16], v[17:18]
	v_add_f64 v[3:4], v[3:4], v[10:11]
	s_delay_alu instid0(VALU_DEP_2)
	v_add_f64 v[1:2], v[1:2], v[15:16]
	s_and_not1_b32 exec_lo, exec_lo, s3
	s_cbranch_execnz .LBB103_61
; %bb.62:
	s_or_b32 exec_lo, exec_lo, s3
	v_mov_b32_e32 v7, 0
	ds_load_b128 v[7:10], v7 offset:192
	s_waitcnt lgkmcnt(0)
	v_mul_f64 v[11:12], v[1:2], v[9:10]
	v_mul_f64 v[15:16], v[3:4], v[9:10]
	s_delay_alu instid0(VALU_DEP_2) | instskip(NEXT) | instid1(VALU_DEP_2)
	v_fma_f64 v[9:10], v[3:4], v[7:8], -v[11:12]
	v_fma_f64 v[11:12], v[1:2], v[7:8], v[15:16]
	scratch_store_b128 off, v[9:12], off offset:192
.LBB103_63:
	s_or_b32 exec_lo, exec_lo, s2
	s_waitcnt_vscnt null, 0x0
	s_barrier
	buffer_gl0_inv
	scratch_load_b128 v[1:4], v153, off
	s_mov_b32 s2, exec_lo
	s_waitcnt vmcnt(0)
	ds_store_b128 v5, v[1:4]
	s_waitcnt lgkmcnt(0)
	s_barrier
	buffer_gl0_inv
	v_cmpx_gt_u32_e32 13, v122
	s_cbranch_execz .LBB103_67
; %bb.64:
	v_dual_mov_b32 v1, 0 :: v_dual_add_nc_u32 v8, 0x280, v13
	v_dual_mov_b32 v2, 0 :: v_dual_add_nc_u32 v7, -1, v122
	v_or_b32_e32 v9, 8, v14
	s_mov_b32 s3, 0
	s_delay_alu instid0(VALU_DEP_2)
	v_dual_mov_b32 v4, v2 :: v_dual_mov_b32 v3, v1
	.p2align	6
.LBB103_65:                             ; =>This Inner Loop Header: Depth=1
	scratch_load_b128 v[15:18], v9, off offset:-8
	ds_load_b128 v[19:22], v8
	v_add_nc_u32_e32 v7, 1, v7
	v_add_nc_u32_e32 v8, 16, v8
	;; [unrolled: 1-line block ×3, first 2 shown]
	s_delay_alu instid0(VALU_DEP_3) | instskip(SKIP_4) | instid1(VALU_DEP_2)
	v_cmp_lt_u32_e32 vcc_lo, 11, v7
	s_or_b32 s3, vcc_lo, s3
	s_waitcnt vmcnt(0) lgkmcnt(0)
	v_mul_f64 v[10:11], v[21:22], v[17:18]
	v_mul_f64 v[17:18], v[19:20], v[17:18]
	v_fma_f64 v[10:11], v[19:20], v[15:16], -v[10:11]
	s_delay_alu instid0(VALU_DEP_2) | instskip(NEXT) | instid1(VALU_DEP_2)
	v_fma_f64 v[15:16], v[21:22], v[15:16], v[17:18]
	v_add_f64 v[3:4], v[3:4], v[10:11]
	s_delay_alu instid0(VALU_DEP_2)
	v_add_f64 v[1:2], v[1:2], v[15:16]
	s_and_not1_b32 exec_lo, exec_lo, s3
	s_cbranch_execnz .LBB103_65
; %bb.66:
	s_or_b32 exec_lo, exec_lo, s3
	v_mov_b32_e32 v7, 0
	ds_load_b128 v[7:10], v7 offset:208
	s_waitcnt lgkmcnt(0)
	v_mul_f64 v[11:12], v[1:2], v[9:10]
	v_mul_f64 v[15:16], v[3:4], v[9:10]
	s_delay_alu instid0(VALU_DEP_2) | instskip(NEXT) | instid1(VALU_DEP_2)
	v_fma_f64 v[9:10], v[3:4], v[7:8], -v[11:12]
	v_fma_f64 v[11:12], v[1:2], v[7:8], v[15:16]
	scratch_store_b128 off, v[9:12], off offset:208
.LBB103_67:
	s_or_b32 exec_lo, exec_lo, s2
	s_waitcnt_vscnt null, 0x0
	s_barrier
	buffer_gl0_inv
	scratch_load_b128 v[1:4], v152, off
	s_mov_b32 s2, exec_lo
	s_waitcnt vmcnt(0)
	ds_store_b128 v5, v[1:4]
	s_waitcnt lgkmcnt(0)
	s_barrier
	buffer_gl0_inv
	v_cmpx_gt_u32_e32 14, v122
	s_cbranch_execz .LBB103_71
; %bb.68:
	v_dual_mov_b32 v1, 0 :: v_dual_add_nc_u32 v8, 0x280, v13
	v_dual_mov_b32 v2, 0 :: v_dual_add_nc_u32 v7, -1, v122
	v_or_b32_e32 v9, 8, v14
	s_mov_b32 s3, 0
	s_delay_alu instid0(VALU_DEP_2)
	v_dual_mov_b32 v4, v2 :: v_dual_mov_b32 v3, v1
	.p2align	6
.LBB103_69:                             ; =>This Inner Loop Header: Depth=1
	scratch_load_b128 v[15:18], v9, off offset:-8
	ds_load_b128 v[19:22], v8
	v_add_nc_u32_e32 v7, 1, v7
	v_add_nc_u32_e32 v8, 16, v8
	;; [unrolled: 1-line block ×3, first 2 shown]
	s_delay_alu instid0(VALU_DEP_3) | instskip(SKIP_4) | instid1(VALU_DEP_2)
	v_cmp_lt_u32_e32 vcc_lo, 12, v7
	s_or_b32 s3, vcc_lo, s3
	s_waitcnt vmcnt(0) lgkmcnt(0)
	v_mul_f64 v[10:11], v[21:22], v[17:18]
	v_mul_f64 v[17:18], v[19:20], v[17:18]
	v_fma_f64 v[10:11], v[19:20], v[15:16], -v[10:11]
	s_delay_alu instid0(VALU_DEP_2) | instskip(NEXT) | instid1(VALU_DEP_2)
	v_fma_f64 v[15:16], v[21:22], v[15:16], v[17:18]
	v_add_f64 v[3:4], v[3:4], v[10:11]
	s_delay_alu instid0(VALU_DEP_2)
	v_add_f64 v[1:2], v[1:2], v[15:16]
	s_and_not1_b32 exec_lo, exec_lo, s3
	s_cbranch_execnz .LBB103_69
; %bb.70:
	s_or_b32 exec_lo, exec_lo, s3
	v_mov_b32_e32 v7, 0
	ds_load_b128 v[7:10], v7 offset:224
	s_waitcnt lgkmcnt(0)
	v_mul_f64 v[11:12], v[1:2], v[9:10]
	v_mul_f64 v[15:16], v[3:4], v[9:10]
	s_delay_alu instid0(VALU_DEP_2) | instskip(NEXT) | instid1(VALU_DEP_2)
	v_fma_f64 v[9:10], v[3:4], v[7:8], -v[11:12]
	v_fma_f64 v[11:12], v[1:2], v[7:8], v[15:16]
	scratch_store_b128 off, v[9:12], off offset:224
.LBB103_71:
	s_or_b32 exec_lo, exec_lo, s2
	s_waitcnt_vscnt null, 0x0
	s_barrier
	buffer_gl0_inv
	scratch_load_b128 v[1:4], v151, off
	s_mov_b32 s2, exec_lo
	s_waitcnt vmcnt(0)
	ds_store_b128 v5, v[1:4]
	s_waitcnt lgkmcnt(0)
	s_barrier
	buffer_gl0_inv
	v_cmpx_gt_u32_e32 15, v122
	s_cbranch_execz .LBB103_75
; %bb.72:
	v_dual_mov_b32 v1, 0 :: v_dual_add_nc_u32 v8, 0x280, v13
	v_dual_mov_b32 v2, 0 :: v_dual_add_nc_u32 v7, -1, v122
	v_or_b32_e32 v9, 8, v14
	s_mov_b32 s3, 0
	s_delay_alu instid0(VALU_DEP_2)
	v_dual_mov_b32 v4, v2 :: v_dual_mov_b32 v3, v1
	.p2align	6
.LBB103_73:                             ; =>This Inner Loop Header: Depth=1
	scratch_load_b128 v[15:18], v9, off offset:-8
	ds_load_b128 v[19:22], v8
	v_add_nc_u32_e32 v7, 1, v7
	v_add_nc_u32_e32 v8, 16, v8
	;; [unrolled: 1-line block ×3, first 2 shown]
	s_delay_alu instid0(VALU_DEP_3) | instskip(SKIP_4) | instid1(VALU_DEP_2)
	v_cmp_lt_u32_e32 vcc_lo, 13, v7
	s_or_b32 s3, vcc_lo, s3
	s_waitcnt vmcnt(0) lgkmcnt(0)
	v_mul_f64 v[10:11], v[21:22], v[17:18]
	v_mul_f64 v[17:18], v[19:20], v[17:18]
	v_fma_f64 v[10:11], v[19:20], v[15:16], -v[10:11]
	s_delay_alu instid0(VALU_DEP_2) | instskip(NEXT) | instid1(VALU_DEP_2)
	v_fma_f64 v[15:16], v[21:22], v[15:16], v[17:18]
	v_add_f64 v[3:4], v[3:4], v[10:11]
	s_delay_alu instid0(VALU_DEP_2)
	v_add_f64 v[1:2], v[1:2], v[15:16]
	s_and_not1_b32 exec_lo, exec_lo, s3
	s_cbranch_execnz .LBB103_73
; %bb.74:
	s_or_b32 exec_lo, exec_lo, s3
	v_mov_b32_e32 v7, 0
	ds_load_b128 v[7:10], v7 offset:240
	s_waitcnt lgkmcnt(0)
	v_mul_f64 v[11:12], v[1:2], v[9:10]
	v_mul_f64 v[15:16], v[3:4], v[9:10]
	s_delay_alu instid0(VALU_DEP_2) | instskip(NEXT) | instid1(VALU_DEP_2)
	v_fma_f64 v[9:10], v[3:4], v[7:8], -v[11:12]
	v_fma_f64 v[11:12], v[1:2], v[7:8], v[15:16]
	scratch_store_b128 off, v[9:12], off offset:240
.LBB103_75:
	s_or_b32 exec_lo, exec_lo, s2
	s_waitcnt_vscnt null, 0x0
	s_barrier
	buffer_gl0_inv
	scratch_load_b128 v[1:4], v150, off
	s_mov_b32 s2, exec_lo
	s_waitcnt vmcnt(0)
	ds_store_b128 v5, v[1:4]
	s_waitcnt lgkmcnt(0)
	s_barrier
	buffer_gl0_inv
	v_cmpx_gt_u32_e32 16, v122
	s_cbranch_execz .LBB103_79
; %bb.76:
	v_dual_mov_b32 v1, 0 :: v_dual_add_nc_u32 v8, 0x280, v13
	v_dual_mov_b32 v2, 0 :: v_dual_add_nc_u32 v7, -1, v122
	v_or_b32_e32 v9, 8, v14
	s_mov_b32 s3, 0
	s_delay_alu instid0(VALU_DEP_2)
	v_dual_mov_b32 v4, v2 :: v_dual_mov_b32 v3, v1
	.p2align	6
.LBB103_77:                             ; =>This Inner Loop Header: Depth=1
	scratch_load_b128 v[15:18], v9, off offset:-8
	ds_load_b128 v[19:22], v8
	v_add_nc_u32_e32 v7, 1, v7
	v_add_nc_u32_e32 v8, 16, v8
	v_add_nc_u32_e32 v9, 16, v9
	s_delay_alu instid0(VALU_DEP_3) | instskip(SKIP_4) | instid1(VALU_DEP_2)
	v_cmp_lt_u32_e32 vcc_lo, 14, v7
	s_or_b32 s3, vcc_lo, s3
	s_waitcnt vmcnt(0) lgkmcnt(0)
	v_mul_f64 v[10:11], v[21:22], v[17:18]
	v_mul_f64 v[17:18], v[19:20], v[17:18]
	v_fma_f64 v[10:11], v[19:20], v[15:16], -v[10:11]
	s_delay_alu instid0(VALU_DEP_2) | instskip(NEXT) | instid1(VALU_DEP_2)
	v_fma_f64 v[15:16], v[21:22], v[15:16], v[17:18]
	v_add_f64 v[3:4], v[3:4], v[10:11]
	s_delay_alu instid0(VALU_DEP_2)
	v_add_f64 v[1:2], v[1:2], v[15:16]
	s_and_not1_b32 exec_lo, exec_lo, s3
	s_cbranch_execnz .LBB103_77
; %bb.78:
	s_or_b32 exec_lo, exec_lo, s3
	v_mov_b32_e32 v7, 0
	ds_load_b128 v[7:10], v7 offset:256
	s_waitcnt lgkmcnt(0)
	v_mul_f64 v[11:12], v[1:2], v[9:10]
	v_mul_f64 v[15:16], v[3:4], v[9:10]
	s_delay_alu instid0(VALU_DEP_2) | instskip(NEXT) | instid1(VALU_DEP_2)
	v_fma_f64 v[9:10], v[3:4], v[7:8], -v[11:12]
	v_fma_f64 v[11:12], v[1:2], v[7:8], v[15:16]
	scratch_store_b128 off, v[9:12], off offset:256
.LBB103_79:
	s_or_b32 exec_lo, exec_lo, s2
	s_waitcnt_vscnt null, 0x0
	s_barrier
	buffer_gl0_inv
	scratch_load_b128 v[1:4], v149, off
	s_mov_b32 s2, exec_lo
	s_waitcnt vmcnt(0)
	ds_store_b128 v5, v[1:4]
	s_waitcnt lgkmcnt(0)
	s_barrier
	buffer_gl0_inv
	v_cmpx_gt_u32_e32 17, v122
	s_cbranch_execz .LBB103_83
; %bb.80:
	v_dual_mov_b32 v1, 0 :: v_dual_add_nc_u32 v8, 0x280, v13
	v_dual_mov_b32 v2, 0 :: v_dual_add_nc_u32 v7, -1, v122
	v_or_b32_e32 v9, 8, v14
	s_mov_b32 s3, 0
	s_delay_alu instid0(VALU_DEP_2)
	v_dual_mov_b32 v4, v2 :: v_dual_mov_b32 v3, v1
	.p2align	6
.LBB103_81:                             ; =>This Inner Loop Header: Depth=1
	scratch_load_b128 v[15:18], v9, off offset:-8
	ds_load_b128 v[19:22], v8
	v_add_nc_u32_e32 v7, 1, v7
	v_add_nc_u32_e32 v8, 16, v8
	;; [unrolled: 1-line block ×3, first 2 shown]
	s_delay_alu instid0(VALU_DEP_3) | instskip(SKIP_4) | instid1(VALU_DEP_2)
	v_cmp_lt_u32_e32 vcc_lo, 15, v7
	s_or_b32 s3, vcc_lo, s3
	s_waitcnt vmcnt(0) lgkmcnt(0)
	v_mul_f64 v[10:11], v[21:22], v[17:18]
	v_mul_f64 v[17:18], v[19:20], v[17:18]
	v_fma_f64 v[10:11], v[19:20], v[15:16], -v[10:11]
	s_delay_alu instid0(VALU_DEP_2) | instskip(NEXT) | instid1(VALU_DEP_2)
	v_fma_f64 v[15:16], v[21:22], v[15:16], v[17:18]
	v_add_f64 v[3:4], v[3:4], v[10:11]
	s_delay_alu instid0(VALU_DEP_2)
	v_add_f64 v[1:2], v[1:2], v[15:16]
	s_and_not1_b32 exec_lo, exec_lo, s3
	s_cbranch_execnz .LBB103_81
; %bb.82:
	s_or_b32 exec_lo, exec_lo, s3
	v_mov_b32_e32 v7, 0
	ds_load_b128 v[7:10], v7 offset:272
	s_waitcnt lgkmcnt(0)
	v_mul_f64 v[11:12], v[1:2], v[9:10]
	v_mul_f64 v[15:16], v[3:4], v[9:10]
	s_delay_alu instid0(VALU_DEP_2) | instskip(NEXT) | instid1(VALU_DEP_2)
	v_fma_f64 v[9:10], v[3:4], v[7:8], -v[11:12]
	v_fma_f64 v[11:12], v[1:2], v[7:8], v[15:16]
	scratch_store_b128 off, v[9:12], off offset:272
.LBB103_83:
	s_or_b32 exec_lo, exec_lo, s2
	s_waitcnt_vscnt null, 0x0
	s_barrier
	buffer_gl0_inv
	scratch_load_b128 v[1:4], v148, off
	s_mov_b32 s2, exec_lo
	s_waitcnt vmcnt(0)
	ds_store_b128 v5, v[1:4]
	s_waitcnt lgkmcnt(0)
	s_barrier
	buffer_gl0_inv
	v_cmpx_gt_u32_e32 18, v122
	s_cbranch_execz .LBB103_87
; %bb.84:
	v_dual_mov_b32 v1, 0 :: v_dual_add_nc_u32 v8, 0x280, v13
	v_dual_mov_b32 v2, 0 :: v_dual_add_nc_u32 v7, -1, v122
	v_or_b32_e32 v9, 8, v14
	s_mov_b32 s3, 0
	s_delay_alu instid0(VALU_DEP_2)
	v_dual_mov_b32 v4, v2 :: v_dual_mov_b32 v3, v1
	.p2align	6
.LBB103_85:                             ; =>This Inner Loop Header: Depth=1
	scratch_load_b128 v[15:18], v9, off offset:-8
	ds_load_b128 v[19:22], v8
	v_add_nc_u32_e32 v7, 1, v7
	v_add_nc_u32_e32 v8, 16, v8
	;; [unrolled: 1-line block ×3, first 2 shown]
	s_delay_alu instid0(VALU_DEP_3) | instskip(SKIP_4) | instid1(VALU_DEP_2)
	v_cmp_lt_u32_e32 vcc_lo, 16, v7
	s_or_b32 s3, vcc_lo, s3
	s_waitcnt vmcnt(0) lgkmcnt(0)
	v_mul_f64 v[10:11], v[21:22], v[17:18]
	v_mul_f64 v[17:18], v[19:20], v[17:18]
	v_fma_f64 v[10:11], v[19:20], v[15:16], -v[10:11]
	s_delay_alu instid0(VALU_DEP_2) | instskip(NEXT) | instid1(VALU_DEP_2)
	v_fma_f64 v[15:16], v[21:22], v[15:16], v[17:18]
	v_add_f64 v[3:4], v[3:4], v[10:11]
	s_delay_alu instid0(VALU_DEP_2)
	v_add_f64 v[1:2], v[1:2], v[15:16]
	s_and_not1_b32 exec_lo, exec_lo, s3
	s_cbranch_execnz .LBB103_85
; %bb.86:
	s_or_b32 exec_lo, exec_lo, s3
	v_mov_b32_e32 v7, 0
	ds_load_b128 v[7:10], v7 offset:288
	s_waitcnt lgkmcnt(0)
	v_mul_f64 v[11:12], v[1:2], v[9:10]
	v_mul_f64 v[15:16], v[3:4], v[9:10]
	s_delay_alu instid0(VALU_DEP_2) | instskip(NEXT) | instid1(VALU_DEP_2)
	v_fma_f64 v[9:10], v[3:4], v[7:8], -v[11:12]
	v_fma_f64 v[11:12], v[1:2], v[7:8], v[15:16]
	scratch_store_b128 off, v[9:12], off offset:288
.LBB103_87:
	s_or_b32 exec_lo, exec_lo, s2
	s_waitcnt_vscnt null, 0x0
	s_barrier
	buffer_gl0_inv
	scratch_load_b128 v[1:4], v147, off
	s_mov_b32 s2, exec_lo
	s_waitcnt vmcnt(0)
	ds_store_b128 v5, v[1:4]
	s_waitcnt lgkmcnt(0)
	s_barrier
	buffer_gl0_inv
	v_cmpx_gt_u32_e32 19, v122
	s_cbranch_execz .LBB103_91
; %bb.88:
	v_dual_mov_b32 v1, 0 :: v_dual_add_nc_u32 v8, 0x280, v13
	v_dual_mov_b32 v2, 0 :: v_dual_add_nc_u32 v7, -1, v122
	v_or_b32_e32 v9, 8, v14
	s_mov_b32 s3, 0
	s_delay_alu instid0(VALU_DEP_2)
	v_dual_mov_b32 v4, v2 :: v_dual_mov_b32 v3, v1
	.p2align	6
.LBB103_89:                             ; =>This Inner Loop Header: Depth=1
	scratch_load_b128 v[15:18], v9, off offset:-8
	ds_load_b128 v[19:22], v8
	v_add_nc_u32_e32 v7, 1, v7
	v_add_nc_u32_e32 v8, 16, v8
	;; [unrolled: 1-line block ×3, first 2 shown]
	s_delay_alu instid0(VALU_DEP_3) | instskip(SKIP_4) | instid1(VALU_DEP_2)
	v_cmp_lt_u32_e32 vcc_lo, 17, v7
	s_or_b32 s3, vcc_lo, s3
	s_waitcnt vmcnt(0) lgkmcnt(0)
	v_mul_f64 v[10:11], v[21:22], v[17:18]
	v_mul_f64 v[17:18], v[19:20], v[17:18]
	v_fma_f64 v[10:11], v[19:20], v[15:16], -v[10:11]
	s_delay_alu instid0(VALU_DEP_2) | instskip(NEXT) | instid1(VALU_DEP_2)
	v_fma_f64 v[15:16], v[21:22], v[15:16], v[17:18]
	v_add_f64 v[3:4], v[3:4], v[10:11]
	s_delay_alu instid0(VALU_DEP_2)
	v_add_f64 v[1:2], v[1:2], v[15:16]
	s_and_not1_b32 exec_lo, exec_lo, s3
	s_cbranch_execnz .LBB103_89
; %bb.90:
	s_or_b32 exec_lo, exec_lo, s3
	v_mov_b32_e32 v7, 0
	ds_load_b128 v[7:10], v7 offset:304
	s_waitcnt lgkmcnt(0)
	v_mul_f64 v[11:12], v[1:2], v[9:10]
	v_mul_f64 v[15:16], v[3:4], v[9:10]
	s_delay_alu instid0(VALU_DEP_2) | instskip(NEXT) | instid1(VALU_DEP_2)
	v_fma_f64 v[9:10], v[3:4], v[7:8], -v[11:12]
	v_fma_f64 v[11:12], v[1:2], v[7:8], v[15:16]
	scratch_store_b128 off, v[9:12], off offset:304
.LBB103_91:
	s_or_b32 exec_lo, exec_lo, s2
	s_waitcnt_vscnt null, 0x0
	s_barrier
	buffer_gl0_inv
	scratch_load_b128 v[1:4], v146, off
	s_mov_b32 s2, exec_lo
	s_waitcnt vmcnt(0)
	ds_store_b128 v5, v[1:4]
	s_waitcnt lgkmcnt(0)
	s_barrier
	buffer_gl0_inv
	v_cmpx_gt_u32_e32 20, v122
	s_cbranch_execz .LBB103_95
; %bb.92:
	v_dual_mov_b32 v1, 0 :: v_dual_add_nc_u32 v8, 0x280, v13
	v_dual_mov_b32 v2, 0 :: v_dual_add_nc_u32 v7, -1, v122
	v_or_b32_e32 v9, 8, v14
	s_mov_b32 s3, 0
	s_delay_alu instid0(VALU_DEP_2)
	v_dual_mov_b32 v4, v2 :: v_dual_mov_b32 v3, v1
	.p2align	6
.LBB103_93:                             ; =>This Inner Loop Header: Depth=1
	scratch_load_b128 v[15:18], v9, off offset:-8
	ds_load_b128 v[19:22], v8
	v_add_nc_u32_e32 v7, 1, v7
	v_add_nc_u32_e32 v8, 16, v8
	;; [unrolled: 1-line block ×3, first 2 shown]
	s_delay_alu instid0(VALU_DEP_3) | instskip(SKIP_4) | instid1(VALU_DEP_2)
	v_cmp_lt_u32_e32 vcc_lo, 18, v7
	s_or_b32 s3, vcc_lo, s3
	s_waitcnt vmcnt(0) lgkmcnt(0)
	v_mul_f64 v[10:11], v[21:22], v[17:18]
	v_mul_f64 v[17:18], v[19:20], v[17:18]
	v_fma_f64 v[10:11], v[19:20], v[15:16], -v[10:11]
	s_delay_alu instid0(VALU_DEP_2) | instskip(NEXT) | instid1(VALU_DEP_2)
	v_fma_f64 v[15:16], v[21:22], v[15:16], v[17:18]
	v_add_f64 v[3:4], v[3:4], v[10:11]
	s_delay_alu instid0(VALU_DEP_2)
	v_add_f64 v[1:2], v[1:2], v[15:16]
	s_and_not1_b32 exec_lo, exec_lo, s3
	s_cbranch_execnz .LBB103_93
; %bb.94:
	s_or_b32 exec_lo, exec_lo, s3
	v_mov_b32_e32 v7, 0
	ds_load_b128 v[7:10], v7 offset:320
	s_waitcnt lgkmcnt(0)
	v_mul_f64 v[11:12], v[1:2], v[9:10]
	v_mul_f64 v[15:16], v[3:4], v[9:10]
	s_delay_alu instid0(VALU_DEP_2) | instskip(NEXT) | instid1(VALU_DEP_2)
	v_fma_f64 v[9:10], v[3:4], v[7:8], -v[11:12]
	v_fma_f64 v[11:12], v[1:2], v[7:8], v[15:16]
	scratch_store_b128 off, v[9:12], off offset:320
.LBB103_95:
	s_or_b32 exec_lo, exec_lo, s2
	s_waitcnt_vscnt null, 0x0
	s_barrier
	buffer_gl0_inv
	scratch_load_b128 v[1:4], v145, off
	s_mov_b32 s2, exec_lo
	s_waitcnt vmcnt(0)
	ds_store_b128 v5, v[1:4]
	s_waitcnt lgkmcnt(0)
	s_barrier
	buffer_gl0_inv
	v_cmpx_gt_u32_e32 21, v122
	s_cbranch_execz .LBB103_99
; %bb.96:
	v_dual_mov_b32 v1, 0 :: v_dual_add_nc_u32 v8, 0x280, v13
	v_dual_mov_b32 v2, 0 :: v_dual_add_nc_u32 v7, -1, v122
	v_or_b32_e32 v9, 8, v14
	s_mov_b32 s3, 0
	s_delay_alu instid0(VALU_DEP_2)
	v_dual_mov_b32 v4, v2 :: v_dual_mov_b32 v3, v1
	.p2align	6
.LBB103_97:                             ; =>This Inner Loop Header: Depth=1
	scratch_load_b128 v[15:18], v9, off offset:-8
	ds_load_b128 v[19:22], v8
	v_add_nc_u32_e32 v7, 1, v7
	v_add_nc_u32_e32 v8, 16, v8
	v_add_nc_u32_e32 v9, 16, v9
	s_delay_alu instid0(VALU_DEP_3) | instskip(SKIP_4) | instid1(VALU_DEP_2)
	v_cmp_lt_u32_e32 vcc_lo, 19, v7
	s_or_b32 s3, vcc_lo, s3
	s_waitcnt vmcnt(0) lgkmcnt(0)
	v_mul_f64 v[10:11], v[21:22], v[17:18]
	v_mul_f64 v[17:18], v[19:20], v[17:18]
	v_fma_f64 v[10:11], v[19:20], v[15:16], -v[10:11]
	s_delay_alu instid0(VALU_DEP_2) | instskip(NEXT) | instid1(VALU_DEP_2)
	v_fma_f64 v[15:16], v[21:22], v[15:16], v[17:18]
	v_add_f64 v[3:4], v[3:4], v[10:11]
	s_delay_alu instid0(VALU_DEP_2)
	v_add_f64 v[1:2], v[1:2], v[15:16]
	s_and_not1_b32 exec_lo, exec_lo, s3
	s_cbranch_execnz .LBB103_97
; %bb.98:
	s_or_b32 exec_lo, exec_lo, s3
	v_mov_b32_e32 v7, 0
	ds_load_b128 v[7:10], v7 offset:336
	s_waitcnt lgkmcnt(0)
	v_mul_f64 v[11:12], v[1:2], v[9:10]
	v_mul_f64 v[15:16], v[3:4], v[9:10]
	s_delay_alu instid0(VALU_DEP_2) | instskip(NEXT) | instid1(VALU_DEP_2)
	v_fma_f64 v[9:10], v[3:4], v[7:8], -v[11:12]
	v_fma_f64 v[11:12], v[1:2], v[7:8], v[15:16]
	scratch_store_b128 off, v[9:12], off offset:336
.LBB103_99:
	s_or_b32 exec_lo, exec_lo, s2
	s_waitcnt_vscnt null, 0x0
	s_barrier
	buffer_gl0_inv
	scratch_load_b128 v[1:4], v141, off
	s_mov_b32 s2, exec_lo
	s_waitcnt vmcnt(0)
	ds_store_b128 v5, v[1:4]
	s_waitcnt lgkmcnt(0)
	s_barrier
	buffer_gl0_inv
	v_cmpx_gt_u32_e32 22, v122
	s_cbranch_execz .LBB103_103
; %bb.100:
	v_dual_mov_b32 v1, 0 :: v_dual_add_nc_u32 v8, 0x280, v13
	v_dual_mov_b32 v2, 0 :: v_dual_add_nc_u32 v7, -1, v122
	v_or_b32_e32 v9, 8, v14
	s_mov_b32 s3, 0
	s_delay_alu instid0(VALU_DEP_2)
	v_dual_mov_b32 v4, v2 :: v_dual_mov_b32 v3, v1
	.p2align	6
.LBB103_101:                            ; =>This Inner Loop Header: Depth=1
	scratch_load_b128 v[15:18], v9, off offset:-8
	ds_load_b128 v[19:22], v8
	v_add_nc_u32_e32 v7, 1, v7
	v_add_nc_u32_e32 v8, 16, v8
	;; [unrolled: 1-line block ×3, first 2 shown]
	s_delay_alu instid0(VALU_DEP_3) | instskip(SKIP_4) | instid1(VALU_DEP_2)
	v_cmp_lt_u32_e32 vcc_lo, 20, v7
	s_or_b32 s3, vcc_lo, s3
	s_waitcnt vmcnt(0) lgkmcnt(0)
	v_mul_f64 v[10:11], v[21:22], v[17:18]
	v_mul_f64 v[17:18], v[19:20], v[17:18]
	v_fma_f64 v[10:11], v[19:20], v[15:16], -v[10:11]
	s_delay_alu instid0(VALU_DEP_2) | instskip(NEXT) | instid1(VALU_DEP_2)
	v_fma_f64 v[15:16], v[21:22], v[15:16], v[17:18]
	v_add_f64 v[3:4], v[3:4], v[10:11]
	s_delay_alu instid0(VALU_DEP_2)
	v_add_f64 v[1:2], v[1:2], v[15:16]
	s_and_not1_b32 exec_lo, exec_lo, s3
	s_cbranch_execnz .LBB103_101
; %bb.102:
	s_or_b32 exec_lo, exec_lo, s3
	v_mov_b32_e32 v7, 0
	ds_load_b128 v[7:10], v7 offset:352
	s_waitcnt lgkmcnt(0)
	v_mul_f64 v[11:12], v[1:2], v[9:10]
	v_mul_f64 v[15:16], v[3:4], v[9:10]
	s_delay_alu instid0(VALU_DEP_2) | instskip(NEXT) | instid1(VALU_DEP_2)
	v_fma_f64 v[9:10], v[3:4], v[7:8], -v[11:12]
	v_fma_f64 v[11:12], v[1:2], v[7:8], v[15:16]
	scratch_store_b128 off, v[9:12], off offset:352
.LBB103_103:
	s_or_b32 exec_lo, exec_lo, s2
	s_waitcnt_vscnt null, 0x0
	s_barrier
	buffer_gl0_inv
	scratch_load_b128 v[1:4], v144, off
	s_mov_b32 s2, exec_lo
	s_waitcnt vmcnt(0)
	ds_store_b128 v5, v[1:4]
	s_waitcnt lgkmcnt(0)
	s_barrier
	buffer_gl0_inv
	v_cmpx_gt_u32_e32 23, v122
	s_cbranch_execz .LBB103_107
; %bb.104:
	v_dual_mov_b32 v1, 0 :: v_dual_add_nc_u32 v8, 0x280, v13
	v_dual_mov_b32 v2, 0 :: v_dual_add_nc_u32 v7, -1, v122
	v_or_b32_e32 v9, 8, v14
	s_mov_b32 s3, 0
	s_delay_alu instid0(VALU_DEP_2)
	v_dual_mov_b32 v4, v2 :: v_dual_mov_b32 v3, v1
	.p2align	6
.LBB103_105:                            ; =>This Inner Loop Header: Depth=1
	scratch_load_b128 v[15:18], v9, off offset:-8
	ds_load_b128 v[19:22], v8
	v_add_nc_u32_e32 v7, 1, v7
	v_add_nc_u32_e32 v8, 16, v8
	;; [unrolled: 1-line block ×3, first 2 shown]
	s_delay_alu instid0(VALU_DEP_3) | instskip(SKIP_4) | instid1(VALU_DEP_2)
	v_cmp_lt_u32_e32 vcc_lo, 21, v7
	s_or_b32 s3, vcc_lo, s3
	s_waitcnt vmcnt(0) lgkmcnt(0)
	v_mul_f64 v[10:11], v[21:22], v[17:18]
	v_mul_f64 v[17:18], v[19:20], v[17:18]
	v_fma_f64 v[10:11], v[19:20], v[15:16], -v[10:11]
	s_delay_alu instid0(VALU_DEP_2) | instskip(NEXT) | instid1(VALU_DEP_2)
	v_fma_f64 v[15:16], v[21:22], v[15:16], v[17:18]
	v_add_f64 v[3:4], v[3:4], v[10:11]
	s_delay_alu instid0(VALU_DEP_2)
	v_add_f64 v[1:2], v[1:2], v[15:16]
	s_and_not1_b32 exec_lo, exec_lo, s3
	s_cbranch_execnz .LBB103_105
; %bb.106:
	s_or_b32 exec_lo, exec_lo, s3
	v_mov_b32_e32 v7, 0
	ds_load_b128 v[7:10], v7 offset:368
	s_waitcnt lgkmcnt(0)
	v_mul_f64 v[11:12], v[1:2], v[9:10]
	v_mul_f64 v[15:16], v[3:4], v[9:10]
	s_delay_alu instid0(VALU_DEP_2) | instskip(NEXT) | instid1(VALU_DEP_2)
	v_fma_f64 v[9:10], v[3:4], v[7:8], -v[11:12]
	v_fma_f64 v[11:12], v[1:2], v[7:8], v[15:16]
	scratch_store_b128 off, v[9:12], off offset:368
.LBB103_107:
	s_or_b32 exec_lo, exec_lo, s2
	s_waitcnt_vscnt null, 0x0
	s_barrier
	buffer_gl0_inv
	scratch_load_b128 v[1:4], v138, off
	s_mov_b32 s2, exec_lo
	s_waitcnt vmcnt(0)
	ds_store_b128 v5, v[1:4]
	s_waitcnt lgkmcnt(0)
	s_barrier
	buffer_gl0_inv
	v_cmpx_gt_u32_e32 24, v122
	s_cbranch_execz .LBB103_111
; %bb.108:
	v_dual_mov_b32 v1, 0 :: v_dual_add_nc_u32 v8, 0x280, v13
	v_dual_mov_b32 v2, 0 :: v_dual_add_nc_u32 v7, -1, v122
	v_or_b32_e32 v9, 8, v14
	s_mov_b32 s3, 0
	s_delay_alu instid0(VALU_DEP_2)
	v_dual_mov_b32 v4, v2 :: v_dual_mov_b32 v3, v1
	.p2align	6
.LBB103_109:                            ; =>This Inner Loop Header: Depth=1
	scratch_load_b128 v[15:18], v9, off offset:-8
	ds_load_b128 v[19:22], v8
	v_add_nc_u32_e32 v7, 1, v7
	v_add_nc_u32_e32 v8, 16, v8
	;; [unrolled: 1-line block ×3, first 2 shown]
	s_delay_alu instid0(VALU_DEP_3) | instskip(SKIP_4) | instid1(VALU_DEP_2)
	v_cmp_lt_u32_e32 vcc_lo, 22, v7
	s_or_b32 s3, vcc_lo, s3
	s_waitcnt vmcnt(0) lgkmcnt(0)
	v_mul_f64 v[10:11], v[21:22], v[17:18]
	v_mul_f64 v[17:18], v[19:20], v[17:18]
	v_fma_f64 v[10:11], v[19:20], v[15:16], -v[10:11]
	s_delay_alu instid0(VALU_DEP_2) | instskip(NEXT) | instid1(VALU_DEP_2)
	v_fma_f64 v[15:16], v[21:22], v[15:16], v[17:18]
	v_add_f64 v[3:4], v[3:4], v[10:11]
	s_delay_alu instid0(VALU_DEP_2)
	v_add_f64 v[1:2], v[1:2], v[15:16]
	s_and_not1_b32 exec_lo, exec_lo, s3
	s_cbranch_execnz .LBB103_109
; %bb.110:
	s_or_b32 exec_lo, exec_lo, s3
	v_mov_b32_e32 v7, 0
	ds_load_b128 v[7:10], v7 offset:384
	s_waitcnt lgkmcnt(0)
	v_mul_f64 v[11:12], v[1:2], v[9:10]
	v_mul_f64 v[15:16], v[3:4], v[9:10]
	s_delay_alu instid0(VALU_DEP_2) | instskip(NEXT) | instid1(VALU_DEP_2)
	v_fma_f64 v[9:10], v[3:4], v[7:8], -v[11:12]
	v_fma_f64 v[11:12], v[1:2], v[7:8], v[15:16]
	scratch_store_b128 off, v[9:12], off offset:384
.LBB103_111:
	s_or_b32 exec_lo, exec_lo, s2
	s_waitcnt_vscnt null, 0x0
	s_barrier
	buffer_gl0_inv
	scratch_load_b128 v[1:4], v137, off
	s_mov_b32 s2, exec_lo
	s_waitcnt vmcnt(0)
	ds_store_b128 v5, v[1:4]
	s_waitcnt lgkmcnt(0)
	s_barrier
	buffer_gl0_inv
	v_cmpx_gt_u32_e32 25, v122
	s_cbranch_execz .LBB103_115
; %bb.112:
	v_dual_mov_b32 v1, 0 :: v_dual_add_nc_u32 v8, 0x280, v13
	v_dual_mov_b32 v2, 0 :: v_dual_add_nc_u32 v7, -1, v122
	v_or_b32_e32 v9, 8, v14
	s_mov_b32 s3, 0
	s_delay_alu instid0(VALU_DEP_2)
	v_dual_mov_b32 v4, v2 :: v_dual_mov_b32 v3, v1
	.p2align	6
.LBB103_113:                            ; =>This Inner Loop Header: Depth=1
	scratch_load_b128 v[15:18], v9, off offset:-8
	ds_load_b128 v[19:22], v8
	v_add_nc_u32_e32 v7, 1, v7
	v_add_nc_u32_e32 v8, 16, v8
	;; [unrolled: 1-line block ×3, first 2 shown]
	s_delay_alu instid0(VALU_DEP_3) | instskip(SKIP_4) | instid1(VALU_DEP_2)
	v_cmp_lt_u32_e32 vcc_lo, 23, v7
	s_or_b32 s3, vcc_lo, s3
	s_waitcnt vmcnt(0) lgkmcnt(0)
	v_mul_f64 v[10:11], v[21:22], v[17:18]
	v_mul_f64 v[17:18], v[19:20], v[17:18]
	v_fma_f64 v[10:11], v[19:20], v[15:16], -v[10:11]
	s_delay_alu instid0(VALU_DEP_2) | instskip(NEXT) | instid1(VALU_DEP_2)
	v_fma_f64 v[15:16], v[21:22], v[15:16], v[17:18]
	v_add_f64 v[3:4], v[3:4], v[10:11]
	s_delay_alu instid0(VALU_DEP_2)
	v_add_f64 v[1:2], v[1:2], v[15:16]
	s_and_not1_b32 exec_lo, exec_lo, s3
	s_cbranch_execnz .LBB103_113
; %bb.114:
	s_or_b32 exec_lo, exec_lo, s3
	v_mov_b32_e32 v7, 0
	ds_load_b128 v[7:10], v7 offset:400
	s_waitcnt lgkmcnt(0)
	v_mul_f64 v[11:12], v[1:2], v[9:10]
	v_mul_f64 v[15:16], v[3:4], v[9:10]
	s_delay_alu instid0(VALU_DEP_2) | instskip(NEXT) | instid1(VALU_DEP_2)
	v_fma_f64 v[9:10], v[3:4], v[7:8], -v[11:12]
	v_fma_f64 v[11:12], v[1:2], v[7:8], v[15:16]
	scratch_store_b128 off, v[9:12], off offset:400
.LBB103_115:
	s_or_b32 exec_lo, exec_lo, s2
	s_waitcnt_vscnt null, 0x0
	s_barrier
	buffer_gl0_inv
	scratch_load_b128 v[1:4], v132, off
	s_mov_b32 s2, exec_lo
	s_waitcnt vmcnt(0)
	ds_store_b128 v5, v[1:4]
	s_waitcnt lgkmcnt(0)
	s_barrier
	buffer_gl0_inv
	v_cmpx_gt_u32_e32 26, v122
	s_cbranch_execz .LBB103_119
; %bb.116:
	v_dual_mov_b32 v1, 0 :: v_dual_add_nc_u32 v8, 0x280, v13
	v_dual_mov_b32 v2, 0 :: v_dual_add_nc_u32 v7, -1, v122
	v_or_b32_e32 v9, 8, v14
	s_mov_b32 s3, 0
	s_delay_alu instid0(VALU_DEP_2)
	v_dual_mov_b32 v4, v2 :: v_dual_mov_b32 v3, v1
	.p2align	6
.LBB103_117:                            ; =>This Inner Loop Header: Depth=1
	scratch_load_b128 v[15:18], v9, off offset:-8
	ds_load_b128 v[19:22], v8
	v_add_nc_u32_e32 v7, 1, v7
	v_add_nc_u32_e32 v8, 16, v8
	;; [unrolled: 1-line block ×3, first 2 shown]
	s_delay_alu instid0(VALU_DEP_3) | instskip(SKIP_4) | instid1(VALU_DEP_2)
	v_cmp_lt_u32_e32 vcc_lo, 24, v7
	s_or_b32 s3, vcc_lo, s3
	s_waitcnt vmcnt(0) lgkmcnt(0)
	v_mul_f64 v[10:11], v[21:22], v[17:18]
	v_mul_f64 v[17:18], v[19:20], v[17:18]
	v_fma_f64 v[10:11], v[19:20], v[15:16], -v[10:11]
	s_delay_alu instid0(VALU_DEP_2) | instskip(NEXT) | instid1(VALU_DEP_2)
	v_fma_f64 v[15:16], v[21:22], v[15:16], v[17:18]
	v_add_f64 v[3:4], v[3:4], v[10:11]
	s_delay_alu instid0(VALU_DEP_2)
	v_add_f64 v[1:2], v[1:2], v[15:16]
	s_and_not1_b32 exec_lo, exec_lo, s3
	s_cbranch_execnz .LBB103_117
; %bb.118:
	s_or_b32 exec_lo, exec_lo, s3
	v_mov_b32_e32 v7, 0
	ds_load_b128 v[7:10], v7 offset:416
	s_waitcnt lgkmcnt(0)
	v_mul_f64 v[11:12], v[1:2], v[9:10]
	v_mul_f64 v[15:16], v[3:4], v[9:10]
	s_delay_alu instid0(VALU_DEP_2) | instskip(NEXT) | instid1(VALU_DEP_2)
	v_fma_f64 v[9:10], v[3:4], v[7:8], -v[11:12]
	v_fma_f64 v[11:12], v[1:2], v[7:8], v[15:16]
	scratch_store_b128 off, v[9:12], off offset:416
.LBB103_119:
	s_or_b32 exec_lo, exec_lo, s2
	s_waitcnt_vscnt null, 0x0
	s_barrier
	buffer_gl0_inv
	scratch_load_b128 v[1:4], v133, off
	s_mov_b32 s2, exec_lo
	s_waitcnt vmcnt(0)
	ds_store_b128 v5, v[1:4]
	s_waitcnt lgkmcnt(0)
	s_barrier
	buffer_gl0_inv
	v_cmpx_gt_u32_e32 27, v122
	s_cbranch_execz .LBB103_123
; %bb.120:
	v_dual_mov_b32 v1, 0 :: v_dual_add_nc_u32 v8, 0x280, v13
	v_dual_mov_b32 v2, 0 :: v_dual_add_nc_u32 v7, -1, v122
	v_or_b32_e32 v9, 8, v14
	s_mov_b32 s3, 0
	s_delay_alu instid0(VALU_DEP_2)
	v_dual_mov_b32 v4, v2 :: v_dual_mov_b32 v3, v1
	.p2align	6
.LBB103_121:                            ; =>This Inner Loop Header: Depth=1
	scratch_load_b128 v[15:18], v9, off offset:-8
	ds_load_b128 v[19:22], v8
	v_add_nc_u32_e32 v7, 1, v7
	v_add_nc_u32_e32 v8, 16, v8
	v_add_nc_u32_e32 v9, 16, v9
	s_delay_alu instid0(VALU_DEP_3) | instskip(SKIP_4) | instid1(VALU_DEP_2)
	v_cmp_lt_u32_e32 vcc_lo, 25, v7
	s_or_b32 s3, vcc_lo, s3
	s_waitcnt vmcnt(0) lgkmcnt(0)
	v_mul_f64 v[10:11], v[21:22], v[17:18]
	v_mul_f64 v[17:18], v[19:20], v[17:18]
	v_fma_f64 v[10:11], v[19:20], v[15:16], -v[10:11]
	s_delay_alu instid0(VALU_DEP_2) | instskip(NEXT) | instid1(VALU_DEP_2)
	v_fma_f64 v[15:16], v[21:22], v[15:16], v[17:18]
	v_add_f64 v[3:4], v[3:4], v[10:11]
	s_delay_alu instid0(VALU_DEP_2)
	v_add_f64 v[1:2], v[1:2], v[15:16]
	s_and_not1_b32 exec_lo, exec_lo, s3
	s_cbranch_execnz .LBB103_121
; %bb.122:
	s_or_b32 exec_lo, exec_lo, s3
	v_mov_b32_e32 v7, 0
	ds_load_b128 v[7:10], v7 offset:432
	s_waitcnt lgkmcnt(0)
	v_mul_f64 v[11:12], v[1:2], v[9:10]
	v_mul_f64 v[15:16], v[3:4], v[9:10]
	s_delay_alu instid0(VALU_DEP_2) | instskip(NEXT) | instid1(VALU_DEP_2)
	v_fma_f64 v[9:10], v[3:4], v[7:8], -v[11:12]
	v_fma_f64 v[11:12], v[1:2], v[7:8], v[15:16]
	scratch_store_b128 off, v[9:12], off offset:432
.LBB103_123:
	s_or_b32 exec_lo, exec_lo, s2
	s_waitcnt_vscnt null, 0x0
	s_barrier
	buffer_gl0_inv
	scratch_load_b128 v[1:4], v127, off
	s_mov_b32 s2, exec_lo
	s_waitcnt vmcnt(0)
	ds_store_b128 v5, v[1:4]
	s_waitcnt lgkmcnt(0)
	s_barrier
	buffer_gl0_inv
	v_cmpx_gt_u32_e32 28, v122
	s_cbranch_execz .LBB103_127
; %bb.124:
	v_dual_mov_b32 v1, 0 :: v_dual_add_nc_u32 v8, 0x280, v13
	v_dual_mov_b32 v2, 0 :: v_dual_add_nc_u32 v7, -1, v122
	v_or_b32_e32 v9, 8, v14
	s_mov_b32 s3, 0
	s_delay_alu instid0(VALU_DEP_2)
	v_dual_mov_b32 v4, v2 :: v_dual_mov_b32 v3, v1
	.p2align	6
.LBB103_125:                            ; =>This Inner Loop Header: Depth=1
	scratch_load_b128 v[15:18], v9, off offset:-8
	ds_load_b128 v[19:22], v8
	v_add_nc_u32_e32 v7, 1, v7
	v_add_nc_u32_e32 v8, 16, v8
	v_add_nc_u32_e32 v9, 16, v9
	s_delay_alu instid0(VALU_DEP_3) | instskip(SKIP_4) | instid1(VALU_DEP_2)
	v_cmp_lt_u32_e32 vcc_lo, 26, v7
	s_or_b32 s3, vcc_lo, s3
	s_waitcnt vmcnt(0) lgkmcnt(0)
	v_mul_f64 v[10:11], v[21:22], v[17:18]
	v_mul_f64 v[17:18], v[19:20], v[17:18]
	v_fma_f64 v[10:11], v[19:20], v[15:16], -v[10:11]
	s_delay_alu instid0(VALU_DEP_2) | instskip(NEXT) | instid1(VALU_DEP_2)
	v_fma_f64 v[15:16], v[21:22], v[15:16], v[17:18]
	v_add_f64 v[3:4], v[3:4], v[10:11]
	s_delay_alu instid0(VALU_DEP_2)
	v_add_f64 v[1:2], v[1:2], v[15:16]
	s_and_not1_b32 exec_lo, exec_lo, s3
	s_cbranch_execnz .LBB103_125
; %bb.126:
	s_or_b32 exec_lo, exec_lo, s3
	v_mov_b32_e32 v7, 0
	ds_load_b128 v[7:10], v7 offset:448
	s_waitcnt lgkmcnt(0)
	v_mul_f64 v[11:12], v[1:2], v[9:10]
	v_mul_f64 v[15:16], v[3:4], v[9:10]
	s_delay_alu instid0(VALU_DEP_2) | instskip(NEXT) | instid1(VALU_DEP_2)
	v_fma_f64 v[9:10], v[3:4], v[7:8], -v[11:12]
	v_fma_f64 v[11:12], v[1:2], v[7:8], v[15:16]
	scratch_store_b128 off, v[9:12], off offset:448
.LBB103_127:
	s_or_b32 exec_lo, exec_lo, s2
	s_waitcnt_vscnt null, 0x0
	s_barrier
	buffer_gl0_inv
	scratch_load_b128 v[1:4], v126, off
	s_mov_b32 s2, exec_lo
	s_waitcnt vmcnt(0)
	ds_store_b128 v5, v[1:4]
	s_waitcnt lgkmcnt(0)
	s_barrier
	buffer_gl0_inv
	v_cmpx_gt_u32_e32 29, v122
	s_cbranch_execz .LBB103_131
; %bb.128:
	v_dual_mov_b32 v1, 0 :: v_dual_add_nc_u32 v8, 0x280, v13
	v_dual_mov_b32 v2, 0 :: v_dual_add_nc_u32 v7, -1, v122
	v_or_b32_e32 v9, 8, v14
	s_mov_b32 s3, 0
	s_delay_alu instid0(VALU_DEP_2)
	v_dual_mov_b32 v4, v2 :: v_dual_mov_b32 v3, v1
	.p2align	6
.LBB103_129:                            ; =>This Inner Loop Header: Depth=1
	scratch_load_b128 v[15:18], v9, off offset:-8
	ds_load_b128 v[19:22], v8
	v_add_nc_u32_e32 v7, 1, v7
	v_add_nc_u32_e32 v8, 16, v8
	;; [unrolled: 1-line block ×3, first 2 shown]
	s_delay_alu instid0(VALU_DEP_3) | instskip(SKIP_4) | instid1(VALU_DEP_2)
	v_cmp_lt_u32_e32 vcc_lo, 27, v7
	s_or_b32 s3, vcc_lo, s3
	s_waitcnt vmcnt(0) lgkmcnt(0)
	v_mul_f64 v[10:11], v[21:22], v[17:18]
	v_mul_f64 v[17:18], v[19:20], v[17:18]
	v_fma_f64 v[10:11], v[19:20], v[15:16], -v[10:11]
	s_delay_alu instid0(VALU_DEP_2) | instskip(NEXT) | instid1(VALU_DEP_2)
	v_fma_f64 v[15:16], v[21:22], v[15:16], v[17:18]
	v_add_f64 v[3:4], v[3:4], v[10:11]
	s_delay_alu instid0(VALU_DEP_2)
	v_add_f64 v[1:2], v[1:2], v[15:16]
	s_and_not1_b32 exec_lo, exec_lo, s3
	s_cbranch_execnz .LBB103_129
; %bb.130:
	s_or_b32 exec_lo, exec_lo, s3
	v_mov_b32_e32 v7, 0
	ds_load_b128 v[7:10], v7 offset:464
	s_waitcnt lgkmcnt(0)
	v_mul_f64 v[11:12], v[1:2], v[9:10]
	v_mul_f64 v[15:16], v[3:4], v[9:10]
	s_delay_alu instid0(VALU_DEP_2) | instskip(NEXT) | instid1(VALU_DEP_2)
	v_fma_f64 v[9:10], v[3:4], v[7:8], -v[11:12]
	v_fma_f64 v[11:12], v[1:2], v[7:8], v[15:16]
	scratch_store_b128 off, v[9:12], off offset:464
.LBB103_131:
	s_or_b32 exec_lo, exec_lo, s2
	s_waitcnt_vscnt null, 0x0
	s_barrier
	buffer_gl0_inv
	scratch_load_b128 v[1:4], v124, off
	s_mov_b32 s2, exec_lo
	s_waitcnt vmcnt(0)
	ds_store_b128 v5, v[1:4]
	s_waitcnt lgkmcnt(0)
	s_barrier
	buffer_gl0_inv
	v_cmpx_gt_u32_e32 30, v122
	s_cbranch_execz .LBB103_135
; %bb.132:
	v_dual_mov_b32 v1, 0 :: v_dual_add_nc_u32 v8, 0x280, v13
	v_dual_mov_b32 v2, 0 :: v_dual_add_nc_u32 v7, -1, v122
	v_or_b32_e32 v9, 8, v14
	s_mov_b32 s3, 0
	s_delay_alu instid0(VALU_DEP_2)
	v_dual_mov_b32 v4, v2 :: v_dual_mov_b32 v3, v1
	.p2align	6
.LBB103_133:                            ; =>This Inner Loop Header: Depth=1
	scratch_load_b128 v[15:18], v9, off offset:-8
	ds_load_b128 v[19:22], v8
	v_add_nc_u32_e32 v7, 1, v7
	v_add_nc_u32_e32 v8, 16, v8
	;; [unrolled: 1-line block ×3, first 2 shown]
	s_delay_alu instid0(VALU_DEP_3) | instskip(SKIP_4) | instid1(VALU_DEP_2)
	v_cmp_lt_u32_e32 vcc_lo, 28, v7
	s_or_b32 s3, vcc_lo, s3
	s_waitcnt vmcnt(0) lgkmcnt(0)
	v_mul_f64 v[10:11], v[21:22], v[17:18]
	v_mul_f64 v[17:18], v[19:20], v[17:18]
	v_fma_f64 v[10:11], v[19:20], v[15:16], -v[10:11]
	s_delay_alu instid0(VALU_DEP_2) | instskip(NEXT) | instid1(VALU_DEP_2)
	v_fma_f64 v[15:16], v[21:22], v[15:16], v[17:18]
	v_add_f64 v[3:4], v[3:4], v[10:11]
	s_delay_alu instid0(VALU_DEP_2)
	v_add_f64 v[1:2], v[1:2], v[15:16]
	s_and_not1_b32 exec_lo, exec_lo, s3
	s_cbranch_execnz .LBB103_133
; %bb.134:
	s_or_b32 exec_lo, exec_lo, s3
	v_mov_b32_e32 v7, 0
	ds_load_b128 v[7:10], v7 offset:480
	s_waitcnt lgkmcnt(0)
	v_mul_f64 v[11:12], v[1:2], v[9:10]
	v_mul_f64 v[15:16], v[3:4], v[9:10]
	s_delay_alu instid0(VALU_DEP_2) | instskip(NEXT) | instid1(VALU_DEP_2)
	v_fma_f64 v[9:10], v[3:4], v[7:8], -v[11:12]
	v_fma_f64 v[11:12], v[1:2], v[7:8], v[15:16]
	scratch_store_b128 off, v[9:12], off offset:480
.LBB103_135:
	s_or_b32 exec_lo, exec_lo, s2
	s_waitcnt_vscnt null, 0x0
	s_barrier
	buffer_gl0_inv
	scratch_load_b128 v[1:4], v125, off
	s_mov_b32 s2, exec_lo
	s_waitcnt vmcnt(0)
	ds_store_b128 v5, v[1:4]
	s_waitcnt lgkmcnt(0)
	s_barrier
	buffer_gl0_inv
	v_cmpx_gt_u32_e32 31, v122
	s_cbranch_execz .LBB103_139
; %bb.136:
	v_dual_mov_b32 v1, 0 :: v_dual_add_nc_u32 v8, 0x280, v13
	v_dual_mov_b32 v2, 0 :: v_dual_add_nc_u32 v7, -1, v122
	v_or_b32_e32 v9, 8, v14
	s_mov_b32 s3, 0
	s_delay_alu instid0(VALU_DEP_2)
	v_dual_mov_b32 v4, v2 :: v_dual_mov_b32 v3, v1
	.p2align	6
.LBB103_137:                            ; =>This Inner Loop Header: Depth=1
	scratch_load_b128 v[15:18], v9, off offset:-8
	ds_load_b128 v[19:22], v8
	v_add_nc_u32_e32 v7, 1, v7
	v_add_nc_u32_e32 v8, 16, v8
	;; [unrolled: 1-line block ×3, first 2 shown]
	s_delay_alu instid0(VALU_DEP_3) | instskip(SKIP_4) | instid1(VALU_DEP_2)
	v_cmp_lt_u32_e32 vcc_lo, 29, v7
	s_or_b32 s3, vcc_lo, s3
	s_waitcnt vmcnt(0) lgkmcnt(0)
	v_mul_f64 v[10:11], v[21:22], v[17:18]
	v_mul_f64 v[17:18], v[19:20], v[17:18]
	v_fma_f64 v[10:11], v[19:20], v[15:16], -v[10:11]
	s_delay_alu instid0(VALU_DEP_2) | instskip(NEXT) | instid1(VALU_DEP_2)
	v_fma_f64 v[15:16], v[21:22], v[15:16], v[17:18]
	v_add_f64 v[3:4], v[3:4], v[10:11]
	s_delay_alu instid0(VALU_DEP_2)
	v_add_f64 v[1:2], v[1:2], v[15:16]
	s_and_not1_b32 exec_lo, exec_lo, s3
	s_cbranch_execnz .LBB103_137
; %bb.138:
	s_or_b32 exec_lo, exec_lo, s3
	v_mov_b32_e32 v7, 0
	ds_load_b128 v[7:10], v7 offset:496
	s_waitcnt lgkmcnt(0)
	v_mul_f64 v[11:12], v[1:2], v[9:10]
	v_mul_f64 v[15:16], v[3:4], v[9:10]
	s_delay_alu instid0(VALU_DEP_2) | instskip(NEXT) | instid1(VALU_DEP_2)
	v_fma_f64 v[9:10], v[3:4], v[7:8], -v[11:12]
	v_fma_f64 v[11:12], v[1:2], v[7:8], v[15:16]
	scratch_store_b128 off, v[9:12], off offset:496
.LBB103_139:
	s_or_b32 exec_lo, exec_lo, s2
	s_waitcnt_vscnt null, 0x0
	s_barrier
	buffer_gl0_inv
	scratch_load_b128 v[1:4], v123, off
	s_mov_b32 s2, exec_lo
	s_waitcnt vmcnt(0)
	ds_store_b128 v5, v[1:4]
	s_waitcnt lgkmcnt(0)
	s_barrier
	buffer_gl0_inv
	v_cmpx_gt_u32_e32 32, v122
	s_cbranch_execz .LBB103_143
; %bb.140:
	v_dual_mov_b32 v1, 0 :: v_dual_add_nc_u32 v8, 0x280, v13
	v_dual_mov_b32 v2, 0 :: v_dual_add_nc_u32 v7, -1, v122
	v_or_b32_e32 v9, 8, v14
	s_mov_b32 s3, 0
	s_delay_alu instid0(VALU_DEP_2)
	v_dual_mov_b32 v4, v2 :: v_dual_mov_b32 v3, v1
	.p2align	6
.LBB103_141:                            ; =>This Inner Loop Header: Depth=1
	scratch_load_b128 v[15:18], v9, off offset:-8
	ds_load_b128 v[19:22], v8
	v_add_nc_u32_e32 v7, 1, v7
	v_add_nc_u32_e32 v8, 16, v8
	;; [unrolled: 1-line block ×3, first 2 shown]
	s_delay_alu instid0(VALU_DEP_3) | instskip(SKIP_4) | instid1(VALU_DEP_2)
	v_cmp_lt_u32_e32 vcc_lo, 30, v7
	s_or_b32 s3, vcc_lo, s3
	s_waitcnt vmcnt(0) lgkmcnt(0)
	v_mul_f64 v[10:11], v[21:22], v[17:18]
	v_mul_f64 v[17:18], v[19:20], v[17:18]
	v_fma_f64 v[10:11], v[19:20], v[15:16], -v[10:11]
	s_delay_alu instid0(VALU_DEP_2) | instskip(NEXT) | instid1(VALU_DEP_2)
	v_fma_f64 v[15:16], v[21:22], v[15:16], v[17:18]
	v_add_f64 v[3:4], v[3:4], v[10:11]
	s_delay_alu instid0(VALU_DEP_2)
	v_add_f64 v[1:2], v[1:2], v[15:16]
	s_and_not1_b32 exec_lo, exec_lo, s3
	s_cbranch_execnz .LBB103_141
; %bb.142:
	s_or_b32 exec_lo, exec_lo, s3
	v_mov_b32_e32 v7, 0
	ds_load_b128 v[7:10], v7 offset:512
	s_waitcnt lgkmcnt(0)
	v_mul_f64 v[11:12], v[1:2], v[9:10]
	v_mul_f64 v[15:16], v[3:4], v[9:10]
	s_delay_alu instid0(VALU_DEP_2) | instskip(NEXT) | instid1(VALU_DEP_2)
	v_fma_f64 v[9:10], v[3:4], v[7:8], -v[11:12]
	v_fma_f64 v[11:12], v[1:2], v[7:8], v[15:16]
	scratch_store_b128 off, v[9:12], off offset:512
.LBB103_143:
	s_or_b32 exec_lo, exec_lo, s2
	s_waitcnt_vscnt null, 0x0
	s_barrier
	buffer_gl0_inv
	scratch_load_b128 v[1:4], v136, off
	s_mov_b32 s2, exec_lo
	s_waitcnt vmcnt(0)
	ds_store_b128 v5, v[1:4]
	s_waitcnt lgkmcnt(0)
	s_barrier
	buffer_gl0_inv
	v_cmpx_gt_u32_e32 33, v122
	s_cbranch_execz .LBB103_147
; %bb.144:
	v_dual_mov_b32 v1, 0 :: v_dual_add_nc_u32 v8, 0x280, v13
	v_dual_mov_b32 v2, 0 :: v_dual_add_nc_u32 v7, -1, v122
	v_or_b32_e32 v9, 8, v14
	s_mov_b32 s3, 0
	s_delay_alu instid0(VALU_DEP_2)
	v_dual_mov_b32 v4, v2 :: v_dual_mov_b32 v3, v1
	.p2align	6
.LBB103_145:                            ; =>This Inner Loop Header: Depth=1
	scratch_load_b128 v[15:18], v9, off offset:-8
	ds_load_b128 v[19:22], v8
	v_add_nc_u32_e32 v7, 1, v7
	v_add_nc_u32_e32 v8, 16, v8
	;; [unrolled: 1-line block ×3, first 2 shown]
	s_delay_alu instid0(VALU_DEP_3) | instskip(SKIP_4) | instid1(VALU_DEP_2)
	v_cmp_lt_u32_e32 vcc_lo, 31, v7
	s_or_b32 s3, vcc_lo, s3
	s_waitcnt vmcnt(0) lgkmcnt(0)
	v_mul_f64 v[10:11], v[21:22], v[17:18]
	v_mul_f64 v[17:18], v[19:20], v[17:18]
	v_fma_f64 v[10:11], v[19:20], v[15:16], -v[10:11]
	s_delay_alu instid0(VALU_DEP_2) | instskip(NEXT) | instid1(VALU_DEP_2)
	v_fma_f64 v[15:16], v[21:22], v[15:16], v[17:18]
	v_add_f64 v[3:4], v[3:4], v[10:11]
	s_delay_alu instid0(VALU_DEP_2)
	v_add_f64 v[1:2], v[1:2], v[15:16]
	s_and_not1_b32 exec_lo, exec_lo, s3
	s_cbranch_execnz .LBB103_145
; %bb.146:
	s_or_b32 exec_lo, exec_lo, s3
	v_mov_b32_e32 v7, 0
	ds_load_b128 v[7:10], v7 offset:528
	s_waitcnt lgkmcnt(0)
	v_mul_f64 v[11:12], v[1:2], v[9:10]
	v_mul_f64 v[15:16], v[3:4], v[9:10]
	s_delay_alu instid0(VALU_DEP_2) | instskip(NEXT) | instid1(VALU_DEP_2)
	v_fma_f64 v[9:10], v[3:4], v[7:8], -v[11:12]
	v_fma_f64 v[11:12], v[1:2], v[7:8], v[15:16]
	scratch_store_b128 off, v[9:12], off offset:528
.LBB103_147:
	s_or_b32 exec_lo, exec_lo, s2
	s_waitcnt_vscnt null, 0x0
	s_barrier
	buffer_gl0_inv
	scratch_load_b128 v[1:4], v135, off
	s_mov_b32 s2, exec_lo
	s_waitcnt vmcnt(0)
	ds_store_b128 v5, v[1:4]
	s_waitcnt lgkmcnt(0)
	s_barrier
	buffer_gl0_inv
	v_cmpx_gt_u32_e32 34, v122
	s_cbranch_execz .LBB103_151
; %bb.148:
	v_dual_mov_b32 v1, 0 :: v_dual_add_nc_u32 v8, 0x280, v13
	v_dual_mov_b32 v2, 0 :: v_dual_add_nc_u32 v7, -1, v122
	v_or_b32_e32 v9, 8, v14
	s_mov_b32 s3, 0
	s_delay_alu instid0(VALU_DEP_2)
	v_dual_mov_b32 v4, v2 :: v_dual_mov_b32 v3, v1
	.p2align	6
.LBB103_149:                            ; =>This Inner Loop Header: Depth=1
	scratch_load_b128 v[15:18], v9, off offset:-8
	ds_load_b128 v[19:22], v8
	v_add_nc_u32_e32 v7, 1, v7
	v_add_nc_u32_e32 v8, 16, v8
	;; [unrolled: 1-line block ×3, first 2 shown]
	s_delay_alu instid0(VALU_DEP_3) | instskip(SKIP_4) | instid1(VALU_DEP_2)
	v_cmp_lt_u32_e32 vcc_lo, 32, v7
	s_or_b32 s3, vcc_lo, s3
	s_waitcnt vmcnt(0) lgkmcnt(0)
	v_mul_f64 v[10:11], v[21:22], v[17:18]
	v_mul_f64 v[17:18], v[19:20], v[17:18]
	v_fma_f64 v[10:11], v[19:20], v[15:16], -v[10:11]
	s_delay_alu instid0(VALU_DEP_2) | instskip(NEXT) | instid1(VALU_DEP_2)
	v_fma_f64 v[15:16], v[21:22], v[15:16], v[17:18]
	v_add_f64 v[3:4], v[3:4], v[10:11]
	s_delay_alu instid0(VALU_DEP_2)
	v_add_f64 v[1:2], v[1:2], v[15:16]
	s_and_not1_b32 exec_lo, exec_lo, s3
	s_cbranch_execnz .LBB103_149
; %bb.150:
	s_or_b32 exec_lo, exec_lo, s3
	v_mov_b32_e32 v7, 0
	ds_load_b128 v[7:10], v7 offset:544
	s_waitcnt lgkmcnt(0)
	v_mul_f64 v[11:12], v[1:2], v[9:10]
	v_mul_f64 v[15:16], v[3:4], v[9:10]
	s_delay_alu instid0(VALU_DEP_2) | instskip(NEXT) | instid1(VALU_DEP_2)
	v_fma_f64 v[9:10], v[3:4], v[7:8], -v[11:12]
	v_fma_f64 v[11:12], v[1:2], v[7:8], v[15:16]
	scratch_store_b128 off, v[9:12], off offset:544
.LBB103_151:
	s_or_b32 exec_lo, exec_lo, s2
	s_waitcnt_vscnt null, 0x0
	s_barrier
	buffer_gl0_inv
	scratch_load_b128 v[1:4], v134, off
	s_mov_b32 s2, exec_lo
	s_waitcnt vmcnt(0)
	ds_store_b128 v5, v[1:4]
	s_waitcnt lgkmcnt(0)
	s_barrier
	buffer_gl0_inv
	v_cmpx_gt_u32_e32 35, v122
	s_cbranch_execz .LBB103_155
; %bb.152:
	v_dual_mov_b32 v1, 0 :: v_dual_add_nc_u32 v8, 0x280, v13
	v_dual_mov_b32 v2, 0 :: v_dual_add_nc_u32 v7, -1, v122
	v_or_b32_e32 v9, 8, v14
	s_mov_b32 s3, 0
	s_delay_alu instid0(VALU_DEP_2)
	v_dual_mov_b32 v4, v2 :: v_dual_mov_b32 v3, v1
	.p2align	6
.LBB103_153:                            ; =>This Inner Loop Header: Depth=1
	scratch_load_b128 v[15:18], v9, off offset:-8
	ds_load_b128 v[19:22], v8
	v_add_nc_u32_e32 v7, 1, v7
	v_add_nc_u32_e32 v8, 16, v8
	;; [unrolled: 1-line block ×3, first 2 shown]
	s_delay_alu instid0(VALU_DEP_3) | instskip(SKIP_4) | instid1(VALU_DEP_2)
	v_cmp_lt_u32_e32 vcc_lo, 33, v7
	s_or_b32 s3, vcc_lo, s3
	s_waitcnt vmcnt(0) lgkmcnt(0)
	v_mul_f64 v[10:11], v[21:22], v[17:18]
	v_mul_f64 v[17:18], v[19:20], v[17:18]
	v_fma_f64 v[10:11], v[19:20], v[15:16], -v[10:11]
	s_delay_alu instid0(VALU_DEP_2) | instskip(NEXT) | instid1(VALU_DEP_2)
	v_fma_f64 v[15:16], v[21:22], v[15:16], v[17:18]
	v_add_f64 v[3:4], v[3:4], v[10:11]
	s_delay_alu instid0(VALU_DEP_2)
	v_add_f64 v[1:2], v[1:2], v[15:16]
	s_and_not1_b32 exec_lo, exec_lo, s3
	s_cbranch_execnz .LBB103_153
; %bb.154:
	s_or_b32 exec_lo, exec_lo, s3
	v_mov_b32_e32 v7, 0
	ds_load_b128 v[7:10], v7 offset:560
	s_waitcnt lgkmcnt(0)
	v_mul_f64 v[11:12], v[1:2], v[9:10]
	v_mul_f64 v[15:16], v[3:4], v[9:10]
	s_delay_alu instid0(VALU_DEP_2) | instskip(NEXT) | instid1(VALU_DEP_2)
	v_fma_f64 v[9:10], v[3:4], v[7:8], -v[11:12]
	v_fma_f64 v[11:12], v[1:2], v[7:8], v[15:16]
	scratch_store_b128 off, v[9:12], off offset:560
.LBB103_155:
	s_or_b32 exec_lo, exec_lo, s2
	s_waitcnt_vscnt null, 0x0
	s_barrier
	buffer_gl0_inv
	scratch_load_b128 v[1:4], v131, off
	s_mov_b32 s2, exec_lo
	s_waitcnt vmcnt(0)
	ds_store_b128 v5, v[1:4]
	s_waitcnt lgkmcnt(0)
	s_barrier
	buffer_gl0_inv
	v_cmpx_gt_u32_e32 36, v122
	s_cbranch_execz .LBB103_159
; %bb.156:
	v_dual_mov_b32 v1, 0 :: v_dual_add_nc_u32 v8, 0x280, v13
	v_dual_mov_b32 v2, 0 :: v_dual_add_nc_u32 v7, -1, v122
	v_or_b32_e32 v9, 8, v14
	s_mov_b32 s3, 0
	s_delay_alu instid0(VALU_DEP_2)
	v_dual_mov_b32 v4, v2 :: v_dual_mov_b32 v3, v1
	.p2align	6
.LBB103_157:                            ; =>This Inner Loop Header: Depth=1
	scratch_load_b128 v[15:18], v9, off offset:-8
	ds_load_b128 v[19:22], v8
	v_add_nc_u32_e32 v7, 1, v7
	v_add_nc_u32_e32 v8, 16, v8
	;; [unrolled: 1-line block ×3, first 2 shown]
	s_delay_alu instid0(VALU_DEP_3) | instskip(SKIP_4) | instid1(VALU_DEP_2)
	v_cmp_lt_u32_e32 vcc_lo, 34, v7
	s_or_b32 s3, vcc_lo, s3
	s_waitcnt vmcnt(0) lgkmcnt(0)
	v_mul_f64 v[10:11], v[21:22], v[17:18]
	v_mul_f64 v[17:18], v[19:20], v[17:18]
	v_fma_f64 v[10:11], v[19:20], v[15:16], -v[10:11]
	s_delay_alu instid0(VALU_DEP_2) | instskip(NEXT) | instid1(VALU_DEP_2)
	v_fma_f64 v[15:16], v[21:22], v[15:16], v[17:18]
	v_add_f64 v[3:4], v[3:4], v[10:11]
	s_delay_alu instid0(VALU_DEP_2)
	v_add_f64 v[1:2], v[1:2], v[15:16]
	s_and_not1_b32 exec_lo, exec_lo, s3
	s_cbranch_execnz .LBB103_157
; %bb.158:
	s_or_b32 exec_lo, exec_lo, s3
	v_mov_b32_e32 v7, 0
	ds_load_b128 v[7:10], v7 offset:576
	s_waitcnt lgkmcnt(0)
	v_mul_f64 v[11:12], v[1:2], v[9:10]
	v_mul_f64 v[15:16], v[3:4], v[9:10]
	s_delay_alu instid0(VALU_DEP_2) | instskip(NEXT) | instid1(VALU_DEP_2)
	v_fma_f64 v[9:10], v[3:4], v[7:8], -v[11:12]
	v_fma_f64 v[11:12], v[1:2], v[7:8], v[15:16]
	scratch_store_b128 off, v[9:12], off offset:576
.LBB103_159:
	s_or_b32 exec_lo, exec_lo, s2
	s_waitcnt_vscnt null, 0x0
	s_barrier
	buffer_gl0_inv
	scratch_load_b128 v[1:4], v130, off
	s_mov_b32 s2, exec_lo
	s_waitcnt vmcnt(0)
	ds_store_b128 v5, v[1:4]
	s_waitcnt lgkmcnt(0)
	s_barrier
	buffer_gl0_inv
	v_cmpx_gt_u32_e32 37, v122
	s_cbranch_execz .LBB103_163
; %bb.160:
	v_dual_mov_b32 v1, 0 :: v_dual_add_nc_u32 v8, 0x280, v13
	v_dual_mov_b32 v2, 0 :: v_dual_add_nc_u32 v7, -1, v122
	v_or_b32_e32 v9, 8, v14
	s_mov_b32 s3, 0
	s_delay_alu instid0(VALU_DEP_2)
	v_dual_mov_b32 v4, v2 :: v_dual_mov_b32 v3, v1
	.p2align	6
.LBB103_161:                            ; =>This Inner Loop Header: Depth=1
	scratch_load_b128 v[15:18], v9, off offset:-8
	ds_load_b128 v[19:22], v8
	v_add_nc_u32_e32 v7, 1, v7
	v_add_nc_u32_e32 v8, 16, v8
	;; [unrolled: 1-line block ×3, first 2 shown]
	s_delay_alu instid0(VALU_DEP_3) | instskip(SKIP_4) | instid1(VALU_DEP_2)
	v_cmp_lt_u32_e32 vcc_lo, 35, v7
	s_or_b32 s3, vcc_lo, s3
	s_waitcnt vmcnt(0) lgkmcnt(0)
	v_mul_f64 v[10:11], v[21:22], v[17:18]
	v_mul_f64 v[17:18], v[19:20], v[17:18]
	v_fma_f64 v[10:11], v[19:20], v[15:16], -v[10:11]
	s_delay_alu instid0(VALU_DEP_2) | instskip(NEXT) | instid1(VALU_DEP_2)
	v_fma_f64 v[15:16], v[21:22], v[15:16], v[17:18]
	v_add_f64 v[3:4], v[3:4], v[10:11]
	s_delay_alu instid0(VALU_DEP_2)
	v_add_f64 v[1:2], v[1:2], v[15:16]
	s_and_not1_b32 exec_lo, exec_lo, s3
	s_cbranch_execnz .LBB103_161
; %bb.162:
	s_or_b32 exec_lo, exec_lo, s3
	v_mov_b32_e32 v7, 0
	ds_load_b128 v[7:10], v7 offset:592
	s_waitcnt lgkmcnt(0)
	v_mul_f64 v[11:12], v[1:2], v[9:10]
	v_mul_f64 v[15:16], v[3:4], v[9:10]
	s_delay_alu instid0(VALU_DEP_2) | instskip(NEXT) | instid1(VALU_DEP_2)
	v_fma_f64 v[9:10], v[3:4], v[7:8], -v[11:12]
	v_fma_f64 v[11:12], v[1:2], v[7:8], v[15:16]
	scratch_store_b128 off, v[9:12], off offset:592
.LBB103_163:
	s_or_b32 exec_lo, exec_lo, s2
	s_waitcnt_vscnt null, 0x0
	s_barrier
	buffer_gl0_inv
	scratch_load_b128 v[1:4], v129, off
	s_mov_b32 s2, exec_lo
	s_waitcnt vmcnt(0)
	ds_store_b128 v5, v[1:4]
	s_waitcnt lgkmcnt(0)
	s_barrier
	buffer_gl0_inv
	v_cmpx_gt_u32_e32 38, v122
	s_cbranch_execz .LBB103_167
; %bb.164:
	v_dual_mov_b32 v1, 0 :: v_dual_add_nc_u32 v8, 0x280, v13
	v_dual_mov_b32 v2, 0 :: v_dual_add_nc_u32 v7, -1, v122
	v_or_b32_e32 v9, 8, v14
	s_mov_b32 s3, 0
	s_delay_alu instid0(VALU_DEP_2)
	v_dual_mov_b32 v4, v2 :: v_dual_mov_b32 v3, v1
	.p2align	6
.LBB103_165:                            ; =>This Inner Loop Header: Depth=1
	scratch_load_b128 v[10:13], v9, off offset:-8
	ds_load_b128 v[15:18], v8
	v_add_nc_u32_e32 v7, 1, v7
	v_add_nc_u32_e32 v8, 16, v8
	;; [unrolled: 1-line block ×3, first 2 shown]
	s_delay_alu instid0(VALU_DEP_3) | instskip(SKIP_4) | instid1(VALU_DEP_2)
	v_cmp_lt_u32_e32 vcc_lo, 36, v7
	s_or_b32 s3, vcc_lo, s3
	s_waitcnt vmcnt(0) lgkmcnt(0)
	v_mul_f64 v[19:20], v[17:18], v[12:13]
	v_mul_f64 v[12:13], v[15:16], v[12:13]
	v_fma_f64 v[15:16], v[15:16], v[10:11], -v[19:20]
	s_delay_alu instid0(VALU_DEP_2) | instskip(NEXT) | instid1(VALU_DEP_2)
	v_fma_f64 v[10:11], v[17:18], v[10:11], v[12:13]
	v_add_f64 v[3:4], v[3:4], v[15:16]
	s_delay_alu instid0(VALU_DEP_2)
	v_add_f64 v[1:2], v[1:2], v[10:11]
	s_and_not1_b32 exec_lo, exec_lo, s3
	s_cbranch_execnz .LBB103_165
; %bb.166:
	s_or_b32 exec_lo, exec_lo, s3
	v_mov_b32_e32 v7, 0
	ds_load_b128 v[7:10], v7 offset:608
	s_waitcnt lgkmcnt(0)
	v_mul_f64 v[11:12], v[1:2], v[9:10]
	v_mul_f64 v[15:16], v[3:4], v[9:10]
	s_delay_alu instid0(VALU_DEP_2) | instskip(NEXT) | instid1(VALU_DEP_2)
	v_fma_f64 v[9:10], v[3:4], v[7:8], -v[11:12]
	v_fma_f64 v[11:12], v[1:2], v[7:8], v[15:16]
	scratch_store_b128 off, v[9:12], off offset:608
.LBB103_167:
	s_or_b32 exec_lo, exec_lo, s2
	s_waitcnt_vscnt null, 0x0
	s_barrier
	buffer_gl0_inv
	scratch_load_b128 v[1:4], v128, off
	s_mov_b32 s2, exec_lo
	s_waitcnt vmcnt(0)
	ds_store_b128 v5, v[1:4]
	s_waitcnt lgkmcnt(0)
	s_barrier
	buffer_gl0_inv
	v_cmpx_ne_u32_e32 39, v122
	s_cbranch_execz .LBB103_171
; %bb.168:
	v_mov_b32_e32 v1, 0
	v_mov_b32_e32 v2, 0
	v_or_b32_e32 v7, 8, v14
	s_mov_b32 s3, 0
	s_delay_alu instid0(VALU_DEP_2)
	v_dual_mov_b32 v4, v2 :: v_dual_mov_b32 v3, v1
	.p2align	6
.LBB103_169:                            ; =>This Inner Loop Header: Depth=1
	scratch_load_b128 v[8:11], v7, off offset:-8
	ds_load_b128 v[12:15], v5
	v_add_nc_u32_e32 v6, 1, v6
	v_add_nc_u32_e32 v5, 16, v5
	;; [unrolled: 1-line block ×3, first 2 shown]
	s_delay_alu instid0(VALU_DEP_3) | instskip(SKIP_4) | instid1(VALU_DEP_2)
	v_cmp_lt_u32_e32 vcc_lo, 37, v6
	s_or_b32 s3, vcc_lo, s3
	s_waitcnt vmcnt(0) lgkmcnt(0)
	v_mul_f64 v[16:17], v[14:15], v[10:11]
	v_mul_f64 v[10:11], v[12:13], v[10:11]
	v_fma_f64 v[12:13], v[12:13], v[8:9], -v[16:17]
	s_delay_alu instid0(VALU_DEP_2) | instskip(NEXT) | instid1(VALU_DEP_2)
	v_fma_f64 v[8:9], v[14:15], v[8:9], v[10:11]
	v_add_f64 v[3:4], v[3:4], v[12:13]
	s_delay_alu instid0(VALU_DEP_2)
	v_add_f64 v[1:2], v[1:2], v[8:9]
	s_and_not1_b32 exec_lo, exec_lo, s3
	s_cbranch_execnz .LBB103_169
; %bb.170:
	s_or_b32 exec_lo, exec_lo, s3
	v_mov_b32_e32 v5, 0
	ds_load_b128 v[5:8], v5 offset:624
	s_waitcnt lgkmcnt(0)
	v_mul_f64 v[9:10], v[1:2], v[7:8]
	v_mul_f64 v[7:8], v[3:4], v[7:8]
	s_delay_alu instid0(VALU_DEP_2) | instskip(NEXT) | instid1(VALU_DEP_2)
	v_fma_f64 v[3:4], v[3:4], v[5:6], -v[9:10]
	v_fma_f64 v[5:6], v[1:2], v[5:6], v[7:8]
	scratch_store_b128 off, v[3:6], off offset:624
.LBB103_171:
	s_or_b32 exec_lo, exec_lo, s2
	s_mov_b32 s3, -1
	s_waitcnt_vscnt null, 0x0
	s_barrier
	buffer_gl0_inv
.LBB103_172:
	s_and_b32 vcc_lo, exec_lo, s3
	s_cbranch_vccz .LBB103_174
; %bb.173:
	s_lshl_b64 s[2:3], s[10:11], 2
	v_mov_b32_e32 v1, 0
	s_add_u32 s2, s6, s2
	s_addc_u32 s3, s7, s3
	global_load_b32 v1, v1, s[2:3]
	s_waitcnt vmcnt(0)
	v_cmp_ne_u32_e32 vcc_lo, 0, v1
	s_cbranch_vccz .LBB103_175
.LBB103_174:
	s_endpgm
.LBB103_175:
	v_lshl_add_u32 v162, v122, 4, 0x280
	s_mov_b32 s2, exec_lo
	v_cmpx_eq_u32_e32 39, v122
	s_cbranch_execz .LBB103_177
; %bb.176:
	scratch_load_b128 v[1:4], v129, off
	v_mov_b32_e32 v5, 0
	s_delay_alu instid0(VALU_DEP_1)
	v_mov_b32_e32 v6, v5
	v_mov_b32_e32 v7, v5
	;; [unrolled: 1-line block ×3, first 2 shown]
	scratch_store_b128 off, v[5:8], off offset:608
	s_waitcnt vmcnt(0)
	ds_store_b128 v162, v[1:4]
.LBB103_177:
	s_or_b32 exec_lo, exec_lo, s2
	s_waitcnt lgkmcnt(0)
	s_waitcnt_vscnt null, 0x0
	s_barrier
	buffer_gl0_inv
	s_clause 0x1
	scratch_load_b128 v[2:5], off, off offset:624
	scratch_load_b128 v[6:9], off, off offset:608
	v_mov_b32_e32 v1, 0
	s_mov_b32 s2, exec_lo
	ds_load_b128 v[10:13], v1 offset:1264
	s_waitcnt vmcnt(1) lgkmcnt(0)
	v_mul_f64 v[14:15], v[12:13], v[4:5]
	v_mul_f64 v[4:5], v[10:11], v[4:5]
	s_delay_alu instid0(VALU_DEP_2) | instskip(NEXT) | instid1(VALU_DEP_2)
	v_fma_f64 v[10:11], v[10:11], v[2:3], -v[14:15]
	v_fma_f64 v[2:3], v[12:13], v[2:3], v[4:5]
	s_delay_alu instid0(VALU_DEP_2) | instskip(NEXT) | instid1(VALU_DEP_2)
	v_add_f64 v[4:5], v[10:11], 0
	v_add_f64 v[10:11], v[2:3], 0
	s_waitcnt vmcnt(0)
	s_delay_alu instid0(VALU_DEP_2) | instskip(NEXT) | instid1(VALU_DEP_2)
	v_add_f64 v[2:3], v[6:7], -v[4:5]
	v_add_f64 v[4:5], v[8:9], -v[10:11]
	scratch_store_b128 off, v[2:5], off offset:608
	v_cmpx_lt_u32_e32 37, v122
	s_cbranch_execz .LBB103_179
; %bb.178:
	scratch_load_b128 v[5:8], v130, off
	v_mov_b32_e32 v2, v1
	v_mov_b32_e32 v3, v1
	;; [unrolled: 1-line block ×3, first 2 shown]
	scratch_store_b128 off, v[1:4], off offset:592
	s_waitcnt vmcnt(0)
	ds_store_b128 v162, v[5:8]
.LBB103_179:
	s_or_b32 exec_lo, exec_lo, s2
	s_waitcnt lgkmcnt(0)
	s_waitcnt_vscnt null, 0x0
	s_barrier
	buffer_gl0_inv
	s_clause 0x2
	scratch_load_b128 v[2:5], off, off offset:608
	scratch_load_b128 v[6:9], off, off offset:624
	;; [unrolled: 1-line block ×3, first 2 shown]
	ds_load_b128 v[14:17], v1 offset:1248
	ds_load_b128 v[18:21], v1 offset:1264
	s_mov_b32 s2, exec_lo
	s_waitcnt vmcnt(2) lgkmcnt(1)
	v_mul_f64 v[22:23], v[16:17], v[4:5]
	v_mul_f64 v[4:5], v[14:15], v[4:5]
	s_waitcnt vmcnt(1) lgkmcnt(0)
	v_mul_f64 v[24:25], v[18:19], v[8:9]
	v_mul_f64 v[8:9], v[20:21], v[8:9]
	s_delay_alu instid0(VALU_DEP_4) | instskip(NEXT) | instid1(VALU_DEP_4)
	v_fma_f64 v[14:15], v[14:15], v[2:3], -v[22:23]
	v_fma_f64 v[1:2], v[16:17], v[2:3], v[4:5]
	s_delay_alu instid0(VALU_DEP_4) | instskip(NEXT) | instid1(VALU_DEP_4)
	v_fma_f64 v[3:4], v[20:21], v[6:7], v[24:25]
	v_fma_f64 v[5:6], v[18:19], v[6:7], -v[8:9]
	s_delay_alu instid0(VALU_DEP_4) | instskip(NEXT) | instid1(VALU_DEP_4)
	v_add_f64 v[7:8], v[14:15], 0
	v_add_f64 v[1:2], v[1:2], 0
	s_delay_alu instid0(VALU_DEP_2) | instskip(NEXT) | instid1(VALU_DEP_2)
	v_add_f64 v[5:6], v[7:8], v[5:6]
	v_add_f64 v[3:4], v[1:2], v[3:4]
	s_waitcnt vmcnt(0)
	s_delay_alu instid0(VALU_DEP_2) | instskip(NEXT) | instid1(VALU_DEP_2)
	v_add_f64 v[1:2], v[10:11], -v[5:6]
	v_add_f64 v[3:4], v[12:13], -v[3:4]
	scratch_store_b128 off, v[1:4], off offset:592
	v_cmpx_lt_u32_e32 36, v122
	s_cbranch_execz .LBB103_181
; %bb.180:
	scratch_load_b128 v[1:4], v131, off
	v_mov_b32_e32 v5, 0
	s_delay_alu instid0(VALU_DEP_1)
	v_mov_b32_e32 v6, v5
	v_mov_b32_e32 v7, v5
	;; [unrolled: 1-line block ×3, first 2 shown]
	scratch_store_b128 off, v[5:8], off offset:576
	s_waitcnt vmcnt(0)
	ds_store_b128 v162, v[1:4]
.LBB103_181:
	s_or_b32 exec_lo, exec_lo, s2
	s_waitcnt lgkmcnt(0)
	s_waitcnt_vscnt null, 0x0
	s_barrier
	buffer_gl0_inv
	s_clause 0x3
	scratch_load_b128 v[2:5], off, off offset:592
	scratch_load_b128 v[6:9], off, off offset:608
	;; [unrolled: 1-line block ×4, first 2 shown]
	v_mov_b32_e32 v1, 0
	ds_load_b128 v[18:21], v1 offset:1232
	ds_load_b128 v[22:25], v1 offset:1248
	s_mov_b32 s2, exec_lo
	s_waitcnt vmcnt(3) lgkmcnt(1)
	v_mul_f64 v[26:27], v[20:21], v[4:5]
	v_mul_f64 v[4:5], v[18:19], v[4:5]
	s_waitcnt vmcnt(2) lgkmcnt(0)
	v_mul_f64 v[28:29], v[22:23], v[8:9]
	v_mul_f64 v[8:9], v[24:25], v[8:9]
	s_delay_alu instid0(VALU_DEP_4) | instskip(NEXT) | instid1(VALU_DEP_4)
	v_fma_f64 v[18:19], v[18:19], v[2:3], -v[26:27]
	v_fma_f64 v[20:21], v[20:21], v[2:3], v[4:5]
	ds_load_b128 v[2:5], v1 offset:1264
	v_fma_f64 v[24:25], v[24:25], v[6:7], v[28:29]
	v_fma_f64 v[6:7], v[22:23], v[6:7], -v[8:9]
	s_waitcnt vmcnt(1) lgkmcnt(0)
	v_mul_f64 v[26:27], v[2:3], v[12:13]
	v_mul_f64 v[12:13], v[4:5], v[12:13]
	v_add_f64 v[8:9], v[18:19], 0
	v_add_f64 v[18:19], v[20:21], 0
	s_delay_alu instid0(VALU_DEP_4) | instskip(NEXT) | instid1(VALU_DEP_4)
	v_fma_f64 v[4:5], v[4:5], v[10:11], v[26:27]
	v_fma_f64 v[2:3], v[2:3], v[10:11], -v[12:13]
	s_delay_alu instid0(VALU_DEP_4) | instskip(NEXT) | instid1(VALU_DEP_4)
	v_add_f64 v[6:7], v[8:9], v[6:7]
	v_add_f64 v[8:9], v[18:19], v[24:25]
	s_delay_alu instid0(VALU_DEP_2) | instskip(NEXT) | instid1(VALU_DEP_2)
	v_add_f64 v[2:3], v[6:7], v[2:3]
	v_add_f64 v[4:5], v[8:9], v[4:5]
	s_waitcnt vmcnt(0)
	s_delay_alu instid0(VALU_DEP_2) | instskip(NEXT) | instid1(VALU_DEP_2)
	v_add_f64 v[2:3], v[14:15], -v[2:3]
	v_add_f64 v[4:5], v[16:17], -v[4:5]
	scratch_store_b128 off, v[2:5], off offset:576
	v_cmpx_lt_u32_e32 35, v122
	s_cbranch_execz .LBB103_183
; %bb.182:
	scratch_load_b128 v[5:8], v134, off
	v_mov_b32_e32 v2, v1
	v_mov_b32_e32 v3, v1
	;; [unrolled: 1-line block ×3, first 2 shown]
	scratch_store_b128 off, v[1:4], off offset:560
	s_waitcnt vmcnt(0)
	ds_store_b128 v162, v[5:8]
.LBB103_183:
	s_or_b32 exec_lo, exec_lo, s2
	s_waitcnt lgkmcnt(0)
	s_waitcnt_vscnt null, 0x0
	s_barrier
	buffer_gl0_inv
	s_clause 0x4
	scratch_load_b128 v[2:5], off, off offset:576
	scratch_load_b128 v[6:9], off, off offset:592
	;; [unrolled: 1-line block ×5, first 2 shown]
	ds_load_b128 v[22:25], v1 offset:1216
	ds_load_b128 v[26:29], v1 offset:1232
	s_mov_b32 s2, exec_lo
	s_waitcnt vmcnt(4) lgkmcnt(1)
	v_mul_f64 v[30:31], v[24:25], v[4:5]
	v_mul_f64 v[4:5], v[22:23], v[4:5]
	s_waitcnt vmcnt(3) lgkmcnt(0)
	v_mul_f64 v[32:33], v[26:27], v[8:9]
	v_mul_f64 v[8:9], v[28:29], v[8:9]
	s_delay_alu instid0(VALU_DEP_4) | instskip(NEXT) | instid1(VALU_DEP_4)
	v_fma_f64 v[30:31], v[22:23], v[2:3], -v[30:31]
	v_fma_f64 v[34:35], v[24:25], v[2:3], v[4:5]
	ds_load_b128 v[2:5], v1 offset:1248
	ds_load_b128 v[22:25], v1 offset:1264
	v_fma_f64 v[28:29], v[28:29], v[6:7], v[32:33]
	v_fma_f64 v[6:7], v[26:27], v[6:7], -v[8:9]
	s_waitcnt vmcnt(2) lgkmcnt(1)
	v_mul_f64 v[36:37], v[2:3], v[12:13]
	v_mul_f64 v[12:13], v[4:5], v[12:13]
	v_add_f64 v[8:9], v[30:31], 0
	v_add_f64 v[26:27], v[34:35], 0
	s_waitcnt vmcnt(1) lgkmcnt(0)
	v_mul_f64 v[30:31], v[22:23], v[16:17]
	v_mul_f64 v[16:17], v[24:25], v[16:17]
	v_fma_f64 v[4:5], v[4:5], v[10:11], v[36:37]
	v_fma_f64 v[1:2], v[2:3], v[10:11], -v[12:13]
	v_add_f64 v[6:7], v[8:9], v[6:7]
	v_add_f64 v[8:9], v[26:27], v[28:29]
	v_fma_f64 v[10:11], v[24:25], v[14:15], v[30:31]
	v_fma_f64 v[12:13], v[22:23], v[14:15], -v[16:17]
	s_delay_alu instid0(VALU_DEP_4) | instskip(NEXT) | instid1(VALU_DEP_4)
	v_add_f64 v[1:2], v[6:7], v[1:2]
	v_add_f64 v[3:4], v[8:9], v[4:5]
	s_delay_alu instid0(VALU_DEP_2) | instskip(NEXT) | instid1(VALU_DEP_2)
	v_add_f64 v[1:2], v[1:2], v[12:13]
	v_add_f64 v[3:4], v[3:4], v[10:11]
	s_waitcnt vmcnt(0)
	s_delay_alu instid0(VALU_DEP_2) | instskip(NEXT) | instid1(VALU_DEP_2)
	v_add_f64 v[1:2], v[18:19], -v[1:2]
	v_add_f64 v[3:4], v[20:21], -v[3:4]
	scratch_store_b128 off, v[1:4], off offset:560
	v_cmpx_lt_u32_e32 34, v122
	s_cbranch_execz .LBB103_185
; %bb.184:
	scratch_load_b128 v[1:4], v135, off
	v_mov_b32_e32 v5, 0
	s_delay_alu instid0(VALU_DEP_1)
	v_mov_b32_e32 v6, v5
	v_mov_b32_e32 v7, v5
	v_mov_b32_e32 v8, v5
	scratch_store_b128 off, v[5:8], off offset:544
	s_waitcnt vmcnt(0)
	ds_store_b128 v162, v[1:4]
.LBB103_185:
	s_or_b32 exec_lo, exec_lo, s2
	s_waitcnt lgkmcnt(0)
	s_waitcnt_vscnt null, 0x0
	s_barrier
	buffer_gl0_inv
	s_clause 0x5
	scratch_load_b128 v[2:5], off, off offset:560
	scratch_load_b128 v[6:9], off, off offset:576
	;; [unrolled: 1-line block ×6, first 2 shown]
	v_mov_b32_e32 v1, 0
	ds_load_b128 v[26:29], v1 offset:1200
	ds_load_b128 v[30:33], v1 offset:1216
	s_mov_b32 s2, exec_lo
	s_waitcnt vmcnt(5) lgkmcnt(1)
	v_mul_f64 v[34:35], v[28:29], v[4:5]
	v_mul_f64 v[4:5], v[26:27], v[4:5]
	s_waitcnt vmcnt(4) lgkmcnt(0)
	v_mul_f64 v[36:37], v[30:31], v[8:9]
	v_mul_f64 v[8:9], v[32:33], v[8:9]
	s_delay_alu instid0(VALU_DEP_4) | instskip(NEXT) | instid1(VALU_DEP_4)
	v_fma_f64 v[34:35], v[26:27], v[2:3], -v[34:35]
	v_fma_f64 v[38:39], v[28:29], v[2:3], v[4:5]
	ds_load_b128 v[2:5], v1 offset:1232
	ds_load_b128 v[26:29], v1 offset:1248
	v_fma_f64 v[32:33], v[32:33], v[6:7], v[36:37]
	v_fma_f64 v[6:7], v[30:31], v[6:7], -v[8:9]
	s_waitcnt vmcnt(3) lgkmcnt(1)
	v_mul_f64 v[40:41], v[2:3], v[12:13]
	v_mul_f64 v[12:13], v[4:5], v[12:13]
	v_add_f64 v[8:9], v[34:35], 0
	v_add_f64 v[30:31], v[38:39], 0
	s_waitcnt vmcnt(2) lgkmcnt(0)
	v_mul_f64 v[34:35], v[26:27], v[16:17]
	v_mul_f64 v[16:17], v[28:29], v[16:17]
	v_fma_f64 v[36:37], v[4:5], v[10:11], v[40:41]
	v_fma_f64 v[10:11], v[2:3], v[10:11], -v[12:13]
	ds_load_b128 v[2:5], v1 offset:1264
	v_add_f64 v[6:7], v[8:9], v[6:7]
	v_add_f64 v[8:9], v[30:31], v[32:33]
	v_fma_f64 v[28:29], v[28:29], v[14:15], v[34:35]
	v_fma_f64 v[14:15], v[26:27], v[14:15], -v[16:17]
	s_waitcnt vmcnt(1) lgkmcnt(0)
	v_mul_f64 v[12:13], v[2:3], v[20:21]
	v_mul_f64 v[20:21], v[4:5], v[20:21]
	v_add_f64 v[6:7], v[6:7], v[10:11]
	v_add_f64 v[8:9], v[8:9], v[36:37]
	s_delay_alu instid0(VALU_DEP_4) | instskip(NEXT) | instid1(VALU_DEP_4)
	v_fma_f64 v[4:5], v[4:5], v[18:19], v[12:13]
	v_fma_f64 v[2:3], v[2:3], v[18:19], -v[20:21]
	s_delay_alu instid0(VALU_DEP_4) | instskip(NEXT) | instid1(VALU_DEP_4)
	v_add_f64 v[6:7], v[6:7], v[14:15]
	v_add_f64 v[8:9], v[8:9], v[28:29]
	s_delay_alu instid0(VALU_DEP_2) | instskip(NEXT) | instid1(VALU_DEP_2)
	v_add_f64 v[2:3], v[6:7], v[2:3]
	v_add_f64 v[4:5], v[8:9], v[4:5]
	s_waitcnt vmcnt(0)
	s_delay_alu instid0(VALU_DEP_2) | instskip(NEXT) | instid1(VALU_DEP_2)
	v_add_f64 v[2:3], v[22:23], -v[2:3]
	v_add_f64 v[4:5], v[24:25], -v[4:5]
	scratch_store_b128 off, v[2:5], off offset:544
	v_cmpx_lt_u32_e32 33, v122
	s_cbranch_execz .LBB103_187
; %bb.186:
	scratch_load_b128 v[5:8], v136, off
	v_mov_b32_e32 v2, v1
	v_mov_b32_e32 v3, v1
	;; [unrolled: 1-line block ×3, first 2 shown]
	scratch_store_b128 off, v[1:4], off offset:528
	s_waitcnt vmcnt(0)
	ds_store_b128 v162, v[5:8]
.LBB103_187:
	s_or_b32 exec_lo, exec_lo, s2
	s_waitcnt lgkmcnt(0)
	s_waitcnt_vscnt null, 0x0
	s_barrier
	buffer_gl0_inv
	s_clause 0x5
	scratch_load_b128 v[2:5], off, off offset:544
	scratch_load_b128 v[6:9], off, off offset:560
	;; [unrolled: 1-line block ×6, first 2 shown]
	ds_load_b128 v[26:29], v1 offset:1184
	ds_load_b128 v[34:37], v1 offset:1200
	scratch_load_b128 v[30:33], off, off offset:528
	s_mov_b32 s2, exec_lo
	s_waitcnt vmcnt(6) lgkmcnt(1)
	v_mul_f64 v[38:39], v[28:29], v[4:5]
	v_mul_f64 v[4:5], v[26:27], v[4:5]
	s_waitcnt vmcnt(5) lgkmcnt(0)
	v_mul_f64 v[40:41], v[34:35], v[8:9]
	v_mul_f64 v[8:9], v[36:37], v[8:9]
	s_delay_alu instid0(VALU_DEP_4) | instskip(NEXT) | instid1(VALU_DEP_4)
	v_fma_f64 v[38:39], v[26:27], v[2:3], -v[38:39]
	v_fma_f64 v[163:164], v[28:29], v[2:3], v[4:5]
	ds_load_b128 v[2:5], v1 offset:1216
	ds_load_b128 v[26:29], v1 offset:1232
	v_fma_f64 v[36:37], v[36:37], v[6:7], v[40:41]
	v_fma_f64 v[6:7], v[34:35], v[6:7], -v[8:9]
	s_waitcnt vmcnt(4) lgkmcnt(1)
	v_mul_f64 v[165:166], v[2:3], v[12:13]
	v_mul_f64 v[12:13], v[4:5], v[12:13]
	v_add_f64 v[8:9], v[38:39], 0
	v_add_f64 v[34:35], v[163:164], 0
	s_waitcnt vmcnt(3) lgkmcnt(0)
	v_mul_f64 v[38:39], v[26:27], v[16:17]
	v_mul_f64 v[16:17], v[28:29], v[16:17]
	v_fma_f64 v[40:41], v[4:5], v[10:11], v[165:166]
	v_fma_f64 v[10:11], v[2:3], v[10:11], -v[12:13]
	v_add_f64 v[12:13], v[8:9], v[6:7]
	v_add_f64 v[34:35], v[34:35], v[36:37]
	ds_load_b128 v[2:5], v1 offset:1248
	ds_load_b128 v[6:9], v1 offset:1264
	v_fma_f64 v[28:29], v[28:29], v[14:15], v[38:39]
	v_fma_f64 v[14:15], v[26:27], v[14:15], -v[16:17]
	s_waitcnt vmcnt(2) lgkmcnt(1)
	v_mul_f64 v[36:37], v[2:3], v[20:21]
	v_mul_f64 v[20:21], v[4:5], v[20:21]
	s_waitcnt vmcnt(1) lgkmcnt(0)
	v_mul_f64 v[16:17], v[6:7], v[24:25]
	v_mul_f64 v[24:25], v[8:9], v[24:25]
	v_add_f64 v[10:11], v[12:13], v[10:11]
	v_add_f64 v[12:13], v[34:35], v[40:41]
	v_fma_f64 v[4:5], v[4:5], v[18:19], v[36:37]
	v_fma_f64 v[1:2], v[2:3], v[18:19], -v[20:21]
	v_fma_f64 v[8:9], v[8:9], v[22:23], v[16:17]
	v_fma_f64 v[6:7], v[6:7], v[22:23], -v[24:25]
	v_add_f64 v[10:11], v[10:11], v[14:15]
	v_add_f64 v[12:13], v[12:13], v[28:29]
	s_delay_alu instid0(VALU_DEP_2) | instskip(NEXT) | instid1(VALU_DEP_2)
	v_add_f64 v[1:2], v[10:11], v[1:2]
	v_add_f64 v[3:4], v[12:13], v[4:5]
	s_delay_alu instid0(VALU_DEP_2) | instskip(NEXT) | instid1(VALU_DEP_2)
	v_add_f64 v[1:2], v[1:2], v[6:7]
	v_add_f64 v[3:4], v[3:4], v[8:9]
	s_waitcnt vmcnt(0)
	s_delay_alu instid0(VALU_DEP_2) | instskip(NEXT) | instid1(VALU_DEP_2)
	v_add_f64 v[1:2], v[30:31], -v[1:2]
	v_add_f64 v[3:4], v[32:33], -v[3:4]
	scratch_store_b128 off, v[1:4], off offset:528
	v_cmpx_lt_u32_e32 32, v122
	s_cbranch_execz .LBB103_189
; %bb.188:
	scratch_load_b128 v[1:4], v123, off
	v_mov_b32_e32 v5, 0
	s_delay_alu instid0(VALU_DEP_1)
	v_mov_b32_e32 v6, v5
	v_mov_b32_e32 v7, v5
	;; [unrolled: 1-line block ×3, first 2 shown]
	scratch_store_b128 off, v[5:8], off offset:512
	s_waitcnt vmcnt(0)
	ds_store_b128 v162, v[1:4]
.LBB103_189:
	s_or_b32 exec_lo, exec_lo, s2
	s_waitcnt lgkmcnt(0)
	s_waitcnt_vscnt null, 0x0
	s_barrier
	buffer_gl0_inv
	s_clause 0x6
	scratch_load_b128 v[2:5], off, off offset:528
	scratch_load_b128 v[6:9], off, off offset:544
	;; [unrolled: 1-line block ×7, first 2 shown]
	v_mov_b32_e32 v1, 0
	scratch_load_b128 v[34:37], off, off offset:512
	s_mov_b32 s2, exec_lo
	ds_load_b128 v[30:33], v1 offset:1168
	ds_load_b128 v[38:41], v1 offset:1184
	s_waitcnt vmcnt(7) lgkmcnt(1)
	v_mul_f64 v[163:164], v[32:33], v[4:5]
	v_mul_f64 v[4:5], v[30:31], v[4:5]
	s_waitcnt vmcnt(6) lgkmcnt(0)
	v_mul_f64 v[165:166], v[38:39], v[8:9]
	v_mul_f64 v[8:9], v[40:41], v[8:9]
	s_delay_alu instid0(VALU_DEP_4) | instskip(NEXT) | instid1(VALU_DEP_4)
	v_fma_f64 v[163:164], v[30:31], v[2:3], -v[163:164]
	v_fma_f64 v[167:168], v[32:33], v[2:3], v[4:5]
	ds_load_b128 v[2:5], v1 offset:1200
	ds_load_b128 v[30:33], v1 offset:1216
	v_fma_f64 v[40:41], v[40:41], v[6:7], v[165:166]
	v_fma_f64 v[6:7], v[38:39], v[6:7], -v[8:9]
	s_waitcnt vmcnt(5) lgkmcnt(1)
	v_mul_f64 v[169:170], v[2:3], v[12:13]
	v_mul_f64 v[12:13], v[4:5], v[12:13]
	v_add_f64 v[8:9], v[163:164], 0
	v_add_f64 v[38:39], v[167:168], 0
	s_waitcnt vmcnt(4) lgkmcnt(0)
	v_mul_f64 v[163:164], v[30:31], v[16:17]
	v_mul_f64 v[16:17], v[32:33], v[16:17]
	v_fma_f64 v[165:166], v[4:5], v[10:11], v[169:170]
	v_fma_f64 v[10:11], v[2:3], v[10:11], -v[12:13]
	v_add_f64 v[12:13], v[8:9], v[6:7]
	v_add_f64 v[38:39], v[38:39], v[40:41]
	ds_load_b128 v[2:5], v1 offset:1232
	ds_load_b128 v[6:9], v1 offset:1248
	v_fma_f64 v[32:33], v[32:33], v[14:15], v[163:164]
	v_fma_f64 v[14:15], v[30:31], v[14:15], -v[16:17]
	s_waitcnt vmcnt(3) lgkmcnt(1)
	v_mul_f64 v[40:41], v[2:3], v[20:21]
	v_mul_f64 v[20:21], v[4:5], v[20:21]
	s_waitcnt vmcnt(2) lgkmcnt(0)
	v_mul_f64 v[16:17], v[6:7], v[24:25]
	v_mul_f64 v[24:25], v[8:9], v[24:25]
	v_add_f64 v[10:11], v[12:13], v[10:11]
	v_add_f64 v[12:13], v[38:39], v[165:166]
	v_fma_f64 v[30:31], v[4:5], v[18:19], v[40:41]
	v_fma_f64 v[18:19], v[2:3], v[18:19], -v[20:21]
	ds_load_b128 v[2:5], v1 offset:1264
	v_fma_f64 v[8:9], v[8:9], v[22:23], v[16:17]
	v_fma_f64 v[6:7], v[6:7], v[22:23], -v[24:25]
	v_add_f64 v[10:11], v[10:11], v[14:15]
	v_add_f64 v[12:13], v[12:13], v[32:33]
	s_waitcnt vmcnt(1) lgkmcnt(0)
	v_mul_f64 v[14:15], v[2:3], v[28:29]
	v_mul_f64 v[20:21], v[4:5], v[28:29]
	s_delay_alu instid0(VALU_DEP_4) | instskip(NEXT) | instid1(VALU_DEP_4)
	v_add_f64 v[10:11], v[10:11], v[18:19]
	v_add_f64 v[12:13], v[12:13], v[30:31]
	s_delay_alu instid0(VALU_DEP_4) | instskip(NEXT) | instid1(VALU_DEP_4)
	v_fma_f64 v[4:5], v[4:5], v[26:27], v[14:15]
	v_fma_f64 v[2:3], v[2:3], v[26:27], -v[20:21]
	s_delay_alu instid0(VALU_DEP_4) | instskip(NEXT) | instid1(VALU_DEP_4)
	v_add_f64 v[6:7], v[10:11], v[6:7]
	v_add_f64 v[8:9], v[12:13], v[8:9]
	s_delay_alu instid0(VALU_DEP_2) | instskip(NEXT) | instid1(VALU_DEP_2)
	v_add_f64 v[2:3], v[6:7], v[2:3]
	v_add_f64 v[4:5], v[8:9], v[4:5]
	s_waitcnt vmcnt(0)
	s_delay_alu instid0(VALU_DEP_2) | instskip(NEXT) | instid1(VALU_DEP_2)
	v_add_f64 v[2:3], v[34:35], -v[2:3]
	v_add_f64 v[4:5], v[36:37], -v[4:5]
	scratch_store_b128 off, v[2:5], off offset:512
	v_cmpx_lt_u32_e32 31, v122
	s_cbranch_execz .LBB103_191
; %bb.190:
	scratch_load_b128 v[5:8], v125, off
	v_mov_b32_e32 v2, v1
	v_mov_b32_e32 v3, v1
	;; [unrolled: 1-line block ×3, first 2 shown]
	scratch_store_b128 off, v[1:4], off offset:496
	s_waitcnt vmcnt(0)
	ds_store_b128 v162, v[5:8]
.LBB103_191:
	s_or_b32 exec_lo, exec_lo, s2
	s_waitcnt lgkmcnt(0)
	s_waitcnt_vscnt null, 0x0
	s_barrier
	buffer_gl0_inv
	s_clause 0x7
	scratch_load_b128 v[2:5], off, off offset:512
	scratch_load_b128 v[6:9], off, off offset:528
	;; [unrolled: 1-line block ×8, first 2 shown]
	ds_load_b128 v[34:37], v1 offset:1152
	ds_load_b128 v[38:41], v1 offset:1168
	scratch_load_b128 v[163:166], off, off offset:496
	s_mov_b32 s2, exec_lo
	s_waitcnt vmcnt(8) lgkmcnt(1)
	v_mul_f64 v[167:168], v[36:37], v[4:5]
	v_mul_f64 v[4:5], v[34:35], v[4:5]
	s_waitcnt vmcnt(7) lgkmcnt(0)
	v_mul_f64 v[169:170], v[38:39], v[8:9]
	v_mul_f64 v[8:9], v[40:41], v[8:9]
	s_delay_alu instid0(VALU_DEP_4) | instskip(NEXT) | instid1(VALU_DEP_4)
	v_fma_f64 v[167:168], v[34:35], v[2:3], -v[167:168]
	v_fma_f64 v[171:172], v[36:37], v[2:3], v[4:5]
	ds_load_b128 v[2:5], v1 offset:1184
	ds_load_b128 v[34:37], v1 offset:1200
	v_fma_f64 v[40:41], v[40:41], v[6:7], v[169:170]
	v_fma_f64 v[6:7], v[38:39], v[6:7], -v[8:9]
	s_waitcnt vmcnt(6) lgkmcnt(1)
	v_mul_f64 v[173:174], v[2:3], v[12:13]
	v_mul_f64 v[12:13], v[4:5], v[12:13]
	v_add_f64 v[8:9], v[167:168], 0
	v_add_f64 v[38:39], v[171:172], 0
	s_waitcnt vmcnt(5) lgkmcnt(0)
	v_mul_f64 v[167:168], v[34:35], v[16:17]
	v_mul_f64 v[16:17], v[36:37], v[16:17]
	v_fma_f64 v[169:170], v[4:5], v[10:11], v[173:174]
	v_fma_f64 v[10:11], v[2:3], v[10:11], -v[12:13]
	v_add_f64 v[12:13], v[8:9], v[6:7]
	v_add_f64 v[38:39], v[38:39], v[40:41]
	ds_load_b128 v[2:5], v1 offset:1216
	ds_load_b128 v[6:9], v1 offset:1232
	v_fma_f64 v[36:37], v[36:37], v[14:15], v[167:168]
	v_fma_f64 v[14:15], v[34:35], v[14:15], -v[16:17]
	s_waitcnt vmcnt(4) lgkmcnt(1)
	v_mul_f64 v[40:41], v[2:3], v[20:21]
	v_mul_f64 v[20:21], v[4:5], v[20:21]
	s_waitcnt vmcnt(3) lgkmcnt(0)
	v_mul_f64 v[16:17], v[6:7], v[24:25]
	v_mul_f64 v[24:25], v[8:9], v[24:25]
	v_add_f64 v[10:11], v[12:13], v[10:11]
	v_add_f64 v[12:13], v[38:39], v[169:170]
	v_fma_f64 v[34:35], v[4:5], v[18:19], v[40:41]
	v_fma_f64 v[18:19], v[2:3], v[18:19], -v[20:21]
	v_fma_f64 v[8:9], v[8:9], v[22:23], v[16:17]
	v_fma_f64 v[6:7], v[6:7], v[22:23], -v[24:25]
	v_add_f64 v[14:15], v[10:11], v[14:15]
	v_add_f64 v[20:21], v[12:13], v[36:37]
	ds_load_b128 v[2:5], v1 offset:1248
	ds_load_b128 v[10:13], v1 offset:1264
	s_waitcnt vmcnt(2) lgkmcnt(1)
	v_mul_f64 v[36:37], v[2:3], v[28:29]
	v_mul_f64 v[28:29], v[4:5], v[28:29]
	v_add_f64 v[14:15], v[14:15], v[18:19]
	v_add_f64 v[16:17], v[20:21], v[34:35]
	s_waitcnt vmcnt(1) lgkmcnt(0)
	v_mul_f64 v[18:19], v[10:11], v[32:33]
	v_mul_f64 v[20:21], v[12:13], v[32:33]
	v_fma_f64 v[4:5], v[4:5], v[26:27], v[36:37]
	v_fma_f64 v[1:2], v[2:3], v[26:27], -v[28:29]
	v_add_f64 v[6:7], v[14:15], v[6:7]
	v_add_f64 v[8:9], v[16:17], v[8:9]
	v_fma_f64 v[12:13], v[12:13], v[30:31], v[18:19]
	v_fma_f64 v[10:11], v[10:11], v[30:31], -v[20:21]
	s_delay_alu instid0(VALU_DEP_4) | instskip(NEXT) | instid1(VALU_DEP_4)
	v_add_f64 v[1:2], v[6:7], v[1:2]
	v_add_f64 v[3:4], v[8:9], v[4:5]
	s_delay_alu instid0(VALU_DEP_2) | instskip(NEXT) | instid1(VALU_DEP_2)
	v_add_f64 v[1:2], v[1:2], v[10:11]
	v_add_f64 v[3:4], v[3:4], v[12:13]
	s_waitcnt vmcnt(0)
	s_delay_alu instid0(VALU_DEP_2) | instskip(NEXT) | instid1(VALU_DEP_2)
	v_add_f64 v[1:2], v[163:164], -v[1:2]
	v_add_f64 v[3:4], v[165:166], -v[3:4]
	scratch_store_b128 off, v[1:4], off offset:496
	v_cmpx_lt_u32_e32 30, v122
	s_cbranch_execz .LBB103_193
; %bb.192:
	scratch_load_b128 v[1:4], v124, off
	v_mov_b32_e32 v5, 0
	s_delay_alu instid0(VALU_DEP_1)
	v_mov_b32_e32 v6, v5
	v_mov_b32_e32 v7, v5
	;; [unrolled: 1-line block ×3, first 2 shown]
	scratch_store_b128 off, v[5:8], off offset:480
	s_waitcnt vmcnt(0)
	ds_store_b128 v162, v[1:4]
.LBB103_193:
	s_or_b32 exec_lo, exec_lo, s2
	s_waitcnt lgkmcnt(0)
	s_waitcnt_vscnt null, 0x0
	s_barrier
	buffer_gl0_inv
	s_clause 0x7
	scratch_load_b128 v[2:5], off, off offset:496
	scratch_load_b128 v[6:9], off, off offset:512
	;; [unrolled: 1-line block ×8, first 2 shown]
	v_mov_b32_e32 v1, 0
	s_mov_b32 s2, exec_lo
	ds_load_b128 v[34:37], v1 offset:1136
	s_clause 0x1
	scratch_load_b128 v[38:41], off, off offset:624
	scratch_load_b128 v[163:166], off, off offset:480
	ds_load_b128 v[167:170], v1 offset:1152
	s_waitcnt vmcnt(9) lgkmcnt(1)
	v_mul_f64 v[171:172], v[36:37], v[4:5]
	v_mul_f64 v[4:5], v[34:35], v[4:5]
	s_waitcnt vmcnt(8) lgkmcnt(0)
	v_mul_f64 v[173:174], v[167:168], v[8:9]
	v_mul_f64 v[8:9], v[169:170], v[8:9]
	s_delay_alu instid0(VALU_DEP_4) | instskip(NEXT) | instid1(VALU_DEP_4)
	v_fma_f64 v[171:172], v[34:35], v[2:3], -v[171:172]
	v_fma_f64 v[175:176], v[36:37], v[2:3], v[4:5]
	ds_load_b128 v[2:5], v1 offset:1168
	ds_load_b128 v[34:37], v1 offset:1184
	v_fma_f64 v[169:170], v[169:170], v[6:7], v[173:174]
	v_fma_f64 v[6:7], v[167:168], v[6:7], -v[8:9]
	s_waitcnt vmcnt(7) lgkmcnt(1)
	v_mul_f64 v[177:178], v[2:3], v[12:13]
	v_mul_f64 v[12:13], v[4:5], v[12:13]
	v_add_f64 v[8:9], v[171:172], 0
	v_add_f64 v[167:168], v[175:176], 0
	s_waitcnt vmcnt(6) lgkmcnt(0)
	v_mul_f64 v[171:172], v[34:35], v[16:17]
	v_mul_f64 v[16:17], v[36:37], v[16:17]
	v_fma_f64 v[173:174], v[4:5], v[10:11], v[177:178]
	v_fma_f64 v[10:11], v[2:3], v[10:11], -v[12:13]
	v_add_f64 v[12:13], v[8:9], v[6:7]
	v_add_f64 v[167:168], v[167:168], v[169:170]
	ds_load_b128 v[2:5], v1 offset:1200
	ds_load_b128 v[6:9], v1 offset:1216
	v_fma_f64 v[36:37], v[36:37], v[14:15], v[171:172]
	v_fma_f64 v[14:15], v[34:35], v[14:15], -v[16:17]
	s_waitcnt vmcnt(5) lgkmcnt(1)
	v_mul_f64 v[169:170], v[2:3], v[20:21]
	v_mul_f64 v[20:21], v[4:5], v[20:21]
	s_waitcnt vmcnt(4) lgkmcnt(0)
	v_mul_f64 v[16:17], v[6:7], v[24:25]
	v_mul_f64 v[24:25], v[8:9], v[24:25]
	v_add_f64 v[10:11], v[12:13], v[10:11]
	v_add_f64 v[12:13], v[167:168], v[173:174]
	v_fma_f64 v[34:35], v[4:5], v[18:19], v[169:170]
	v_fma_f64 v[18:19], v[2:3], v[18:19], -v[20:21]
	v_fma_f64 v[8:9], v[8:9], v[22:23], v[16:17]
	v_fma_f64 v[6:7], v[6:7], v[22:23], -v[24:25]
	v_add_f64 v[14:15], v[10:11], v[14:15]
	v_add_f64 v[20:21], v[12:13], v[36:37]
	ds_load_b128 v[2:5], v1 offset:1232
	ds_load_b128 v[10:13], v1 offset:1248
	s_waitcnt vmcnt(3) lgkmcnt(1)
	v_mul_f64 v[36:37], v[2:3], v[28:29]
	v_mul_f64 v[28:29], v[4:5], v[28:29]
	v_add_f64 v[14:15], v[14:15], v[18:19]
	v_add_f64 v[16:17], v[20:21], v[34:35]
	s_waitcnt vmcnt(2) lgkmcnt(0)
	v_mul_f64 v[18:19], v[10:11], v[32:33]
	v_mul_f64 v[20:21], v[12:13], v[32:33]
	v_fma_f64 v[22:23], v[4:5], v[26:27], v[36:37]
	v_fma_f64 v[24:25], v[2:3], v[26:27], -v[28:29]
	ds_load_b128 v[2:5], v1 offset:1264
	v_add_f64 v[6:7], v[14:15], v[6:7]
	v_add_f64 v[8:9], v[16:17], v[8:9]
	v_fma_f64 v[12:13], v[12:13], v[30:31], v[18:19]
	v_fma_f64 v[10:11], v[10:11], v[30:31], -v[20:21]
	s_waitcnt vmcnt(1) lgkmcnt(0)
	v_mul_f64 v[14:15], v[2:3], v[40:41]
	v_mul_f64 v[16:17], v[4:5], v[40:41]
	v_add_f64 v[6:7], v[6:7], v[24:25]
	v_add_f64 v[8:9], v[8:9], v[22:23]
	s_delay_alu instid0(VALU_DEP_4) | instskip(NEXT) | instid1(VALU_DEP_4)
	v_fma_f64 v[4:5], v[4:5], v[38:39], v[14:15]
	v_fma_f64 v[2:3], v[2:3], v[38:39], -v[16:17]
	s_delay_alu instid0(VALU_DEP_4) | instskip(NEXT) | instid1(VALU_DEP_4)
	v_add_f64 v[6:7], v[6:7], v[10:11]
	v_add_f64 v[8:9], v[8:9], v[12:13]
	s_delay_alu instid0(VALU_DEP_2) | instskip(NEXT) | instid1(VALU_DEP_2)
	v_add_f64 v[2:3], v[6:7], v[2:3]
	v_add_f64 v[4:5], v[8:9], v[4:5]
	s_waitcnt vmcnt(0)
	s_delay_alu instid0(VALU_DEP_2) | instskip(NEXT) | instid1(VALU_DEP_2)
	v_add_f64 v[2:3], v[163:164], -v[2:3]
	v_add_f64 v[4:5], v[165:166], -v[4:5]
	scratch_store_b128 off, v[2:5], off offset:480
	v_cmpx_lt_u32_e32 29, v122
	s_cbranch_execz .LBB103_195
; %bb.194:
	scratch_load_b128 v[5:8], v126, off
	v_mov_b32_e32 v2, v1
	v_mov_b32_e32 v3, v1
	v_mov_b32_e32 v4, v1
	scratch_store_b128 off, v[1:4], off offset:464
	s_waitcnt vmcnt(0)
	ds_store_b128 v162, v[5:8]
.LBB103_195:
	s_or_b32 exec_lo, exec_lo, s2
	s_waitcnt lgkmcnt(0)
	s_waitcnt_vscnt null, 0x0
	s_barrier
	buffer_gl0_inv
	s_clause 0x8
	scratch_load_b128 v[2:5], off, off offset:480
	scratch_load_b128 v[6:9], off, off offset:496
	;; [unrolled: 1-line block ×9, first 2 shown]
	ds_load_b128 v[38:41], v1 offset:1120
	ds_load_b128 v[163:166], v1 offset:1136
	s_clause 0x1
	scratch_load_b128 v[167:170], off, off offset:464
	scratch_load_b128 v[171:174], off, off offset:624
	s_mov_b32 s2, exec_lo
	s_waitcnt vmcnt(10) lgkmcnt(1)
	v_mul_f64 v[175:176], v[40:41], v[4:5]
	v_mul_f64 v[4:5], v[38:39], v[4:5]
	s_waitcnt vmcnt(9) lgkmcnt(0)
	v_mul_f64 v[177:178], v[163:164], v[8:9]
	v_mul_f64 v[8:9], v[165:166], v[8:9]
	s_delay_alu instid0(VALU_DEP_4) | instskip(NEXT) | instid1(VALU_DEP_4)
	v_fma_f64 v[175:176], v[38:39], v[2:3], -v[175:176]
	v_fma_f64 v[179:180], v[40:41], v[2:3], v[4:5]
	ds_load_b128 v[2:5], v1 offset:1152
	ds_load_b128 v[38:41], v1 offset:1168
	v_fma_f64 v[165:166], v[165:166], v[6:7], v[177:178]
	v_fma_f64 v[6:7], v[163:164], v[6:7], -v[8:9]
	s_waitcnt vmcnt(8) lgkmcnt(1)
	v_mul_f64 v[181:182], v[2:3], v[12:13]
	v_mul_f64 v[12:13], v[4:5], v[12:13]
	v_add_f64 v[8:9], v[175:176], 0
	v_add_f64 v[163:164], v[179:180], 0
	s_waitcnt vmcnt(7) lgkmcnt(0)
	v_mul_f64 v[175:176], v[38:39], v[16:17]
	v_mul_f64 v[16:17], v[40:41], v[16:17]
	v_fma_f64 v[177:178], v[4:5], v[10:11], v[181:182]
	v_fma_f64 v[10:11], v[2:3], v[10:11], -v[12:13]
	v_add_f64 v[12:13], v[8:9], v[6:7]
	v_add_f64 v[163:164], v[163:164], v[165:166]
	ds_load_b128 v[2:5], v1 offset:1184
	ds_load_b128 v[6:9], v1 offset:1200
	v_fma_f64 v[40:41], v[40:41], v[14:15], v[175:176]
	v_fma_f64 v[14:15], v[38:39], v[14:15], -v[16:17]
	s_waitcnt vmcnt(6) lgkmcnt(1)
	v_mul_f64 v[165:166], v[2:3], v[20:21]
	v_mul_f64 v[20:21], v[4:5], v[20:21]
	s_waitcnt vmcnt(5) lgkmcnt(0)
	v_mul_f64 v[16:17], v[6:7], v[24:25]
	v_mul_f64 v[24:25], v[8:9], v[24:25]
	v_add_f64 v[10:11], v[12:13], v[10:11]
	v_add_f64 v[12:13], v[163:164], v[177:178]
	v_fma_f64 v[38:39], v[4:5], v[18:19], v[165:166]
	v_fma_f64 v[18:19], v[2:3], v[18:19], -v[20:21]
	v_fma_f64 v[8:9], v[8:9], v[22:23], v[16:17]
	v_fma_f64 v[6:7], v[6:7], v[22:23], -v[24:25]
	v_add_f64 v[14:15], v[10:11], v[14:15]
	v_add_f64 v[20:21], v[12:13], v[40:41]
	ds_load_b128 v[2:5], v1 offset:1216
	ds_load_b128 v[10:13], v1 offset:1232
	s_waitcnt vmcnt(4) lgkmcnt(1)
	v_mul_f64 v[40:41], v[2:3], v[28:29]
	v_mul_f64 v[28:29], v[4:5], v[28:29]
	v_add_f64 v[14:15], v[14:15], v[18:19]
	v_add_f64 v[16:17], v[20:21], v[38:39]
	s_waitcnt vmcnt(3) lgkmcnt(0)
	v_mul_f64 v[18:19], v[10:11], v[32:33]
	v_mul_f64 v[20:21], v[12:13], v[32:33]
	v_fma_f64 v[22:23], v[4:5], v[26:27], v[40:41]
	v_fma_f64 v[24:25], v[2:3], v[26:27], -v[28:29]
	v_add_f64 v[14:15], v[14:15], v[6:7]
	v_add_f64 v[16:17], v[16:17], v[8:9]
	ds_load_b128 v[2:5], v1 offset:1248
	ds_load_b128 v[6:9], v1 offset:1264
	v_fma_f64 v[12:13], v[12:13], v[30:31], v[18:19]
	v_fma_f64 v[10:11], v[10:11], v[30:31], -v[20:21]
	s_waitcnt vmcnt(2) lgkmcnt(1)
	v_mul_f64 v[26:27], v[2:3], v[36:37]
	v_mul_f64 v[28:29], v[4:5], v[36:37]
	s_waitcnt vmcnt(0) lgkmcnt(0)
	v_mul_f64 v[18:19], v[6:7], v[173:174]
	v_mul_f64 v[20:21], v[8:9], v[173:174]
	v_add_f64 v[14:15], v[14:15], v[24:25]
	v_add_f64 v[16:17], v[16:17], v[22:23]
	v_fma_f64 v[4:5], v[4:5], v[34:35], v[26:27]
	v_fma_f64 v[1:2], v[2:3], v[34:35], -v[28:29]
	v_fma_f64 v[8:9], v[8:9], v[171:172], v[18:19]
	v_fma_f64 v[6:7], v[6:7], v[171:172], -v[20:21]
	v_add_f64 v[10:11], v[14:15], v[10:11]
	v_add_f64 v[12:13], v[16:17], v[12:13]
	s_delay_alu instid0(VALU_DEP_2) | instskip(NEXT) | instid1(VALU_DEP_2)
	v_add_f64 v[1:2], v[10:11], v[1:2]
	v_add_f64 v[3:4], v[12:13], v[4:5]
	s_delay_alu instid0(VALU_DEP_2) | instskip(NEXT) | instid1(VALU_DEP_2)
	;; [unrolled: 3-line block ×3, first 2 shown]
	v_add_f64 v[1:2], v[167:168], -v[1:2]
	v_add_f64 v[3:4], v[169:170], -v[3:4]
	scratch_store_b128 off, v[1:4], off offset:464
	v_cmpx_lt_u32_e32 28, v122
	s_cbranch_execz .LBB103_197
; %bb.196:
	scratch_load_b128 v[1:4], v127, off
	v_mov_b32_e32 v5, 0
	s_delay_alu instid0(VALU_DEP_1)
	v_mov_b32_e32 v6, v5
	v_mov_b32_e32 v7, v5
	;; [unrolled: 1-line block ×3, first 2 shown]
	scratch_store_b128 off, v[5:8], off offset:448
	s_waitcnt vmcnt(0)
	ds_store_b128 v162, v[1:4]
.LBB103_197:
	s_or_b32 exec_lo, exec_lo, s2
	s_waitcnt lgkmcnt(0)
	s_waitcnt_vscnt null, 0x0
	s_barrier
	buffer_gl0_inv
	s_clause 0x7
	scratch_load_b128 v[2:5], off, off offset:464
	scratch_load_b128 v[6:9], off, off offset:480
	scratch_load_b128 v[10:13], off, off offset:496
	scratch_load_b128 v[14:17], off, off offset:512
	scratch_load_b128 v[18:21], off, off offset:528
	scratch_load_b128 v[22:25], off, off offset:544
	scratch_load_b128 v[26:29], off, off offset:560
	scratch_load_b128 v[30:33], off, off offset:576
	v_mov_b32_e32 v1, 0
	s_mov_b32 s2, exec_lo
	ds_load_b128 v[34:37], v1 offset:1104
	s_clause 0x1
	scratch_load_b128 v[38:41], off, off offset:592
	scratch_load_b128 v[163:166], off, off offset:448
	ds_load_b128 v[167:170], v1 offset:1120
	scratch_load_b128 v[171:174], off, off offset:608
	s_waitcnt vmcnt(10) lgkmcnt(1)
	v_mul_f64 v[175:176], v[36:37], v[4:5]
	v_mul_f64 v[4:5], v[34:35], v[4:5]
	s_delay_alu instid0(VALU_DEP_2) | instskip(NEXT) | instid1(VALU_DEP_2)
	v_fma_f64 v[181:182], v[34:35], v[2:3], -v[175:176]
	v_fma_f64 v[183:184], v[36:37], v[2:3], v[4:5]
	scratch_load_b128 v[34:37], off, off offset:624
	ds_load_b128 v[2:5], v1 offset:1136
	s_waitcnt vmcnt(10) lgkmcnt(1)
	v_mul_f64 v[179:180], v[167:168], v[8:9]
	v_mul_f64 v[8:9], v[169:170], v[8:9]
	ds_load_b128 v[175:178], v1 offset:1152
	s_waitcnt vmcnt(9) lgkmcnt(1)
	v_mul_f64 v[185:186], v[2:3], v[12:13]
	v_mul_f64 v[12:13], v[4:5], v[12:13]
	v_fma_f64 v[169:170], v[169:170], v[6:7], v[179:180]
	v_fma_f64 v[6:7], v[167:168], v[6:7], -v[8:9]
	v_add_f64 v[8:9], v[181:182], 0
	v_add_f64 v[167:168], v[183:184], 0
	s_waitcnt vmcnt(8) lgkmcnt(0)
	v_mul_f64 v[179:180], v[175:176], v[16:17]
	v_mul_f64 v[16:17], v[177:178], v[16:17]
	v_fma_f64 v[181:182], v[4:5], v[10:11], v[185:186]
	v_fma_f64 v[10:11], v[2:3], v[10:11], -v[12:13]
	v_add_f64 v[12:13], v[8:9], v[6:7]
	v_add_f64 v[167:168], v[167:168], v[169:170]
	ds_load_b128 v[2:5], v1 offset:1168
	ds_load_b128 v[6:9], v1 offset:1184
	v_fma_f64 v[177:178], v[177:178], v[14:15], v[179:180]
	v_fma_f64 v[14:15], v[175:176], v[14:15], -v[16:17]
	s_waitcnt vmcnt(7) lgkmcnt(1)
	v_mul_f64 v[169:170], v[2:3], v[20:21]
	v_mul_f64 v[20:21], v[4:5], v[20:21]
	s_waitcnt vmcnt(6) lgkmcnt(0)
	v_mul_f64 v[16:17], v[6:7], v[24:25]
	v_mul_f64 v[24:25], v[8:9], v[24:25]
	v_add_f64 v[10:11], v[12:13], v[10:11]
	v_add_f64 v[12:13], v[167:168], v[181:182]
	v_fma_f64 v[167:168], v[4:5], v[18:19], v[169:170]
	v_fma_f64 v[18:19], v[2:3], v[18:19], -v[20:21]
	v_fma_f64 v[8:9], v[8:9], v[22:23], v[16:17]
	v_fma_f64 v[6:7], v[6:7], v[22:23], -v[24:25]
	v_add_f64 v[14:15], v[10:11], v[14:15]
	v_add_f64 v[20:21], v[12:13], v[177:178]
	ds_load_b128 v[2:5], v1 offset:1200
	ds_load_b128 v[10:13], v1 offset:1216
	s_waitcnt vmcnt(5) lgkmcnt(1)
	v_mul_f64 v[169:170], v[2:3], v[28:29]
	v_mul_f64 v[28:29], v[4:5], v[28:29]
	v_add_f64 v[14:15], v[14:15], v[18:19]
	v_add_f64 v[16:17], v[20:21], v[167:168]
	s_waitcnt vmcnt(4) lgkmcnt(0)
	v_mul_f64 v[18:19], v[10:11], v[32:33]
	v_mul_f64 v[20:21], v[12:13], v[32:33]
	v_fma_f64 v[22:23], v[4:5], v[26:27], v[169:170]
	v_fma_f64 v[24:25], v[2:3], v[26:27], -v[28:29]
	v_add_f64 v[14:15], v[14:15], v[6:7]
	v_add_f64 v[16:17], v[16:17], v[8:9]
	ds_load_b128 v[2:5], v1 offset:1232
	ds_load_b128 v[6:9], v1 offset:1248
	v_fma_f64 v[12:13], v[12:13], v[30:31], v[18:19]
	v_fma_f64 v[10:11], v[10:11], v[30:31], -v[20:21]
	s_waitcnt vmcnt(3) lgkmcnt(1)
	v_mul_f64 v[26:27], v[2:3], v[40:41]
	v_mul_f64 v[28:29], v[4:5], v[40:41]
	s_waitcnt vmcnt(1) lgkmcnt(0)
	v_mul_f64 v[18:19], v[6:7], v[173:174]
	v_mul_f64 v[20:21], v[8:9], v[173:174]
	v_add_f64 v[14:15], v[14:15], v[24:25]
	v_add_f64 v[16:17], v[16:17], v[22:23]
	v_fma_f64 v[22:23], v[4:5], v[38:39], v[26:27]
	v_fma_f64 v[24:25], v[2:3], v[38:39], -v[28:29]
	ds_load_b128 v[2:5], v1 offset:1264
	v_fma_f64 v[8:9], v[8:9], v[171:172], v[18:19]
	v_fma_f64 v[6:7], v[6:7], v[171:172], -v[20:21]
	v_add_f64 v[10:11], v[14:15], v[10:11]
	v_add_f64 v[12:13], v[16:17], v[12:13]
	s_waitcnt vmcnt(0) lgkmcnt(0)
	v_mul_f64 v[14:15], v[2:3], v[36:37]
	v_mul_f64 v[16:17], v[4:5], v[36:37]
	s_delay_alu instid0(VALU_DEP_4) | instskip(NEXT) | instid1(VALU_DEP_4)
	v_add_f64 v[10:11], v[10:11], v[24:25]
	v_add_f64 v[12:13], v[12:13], v[22:23]
	s_delay_alu instid0(VALU_DEP_4) | instskip(NEXT) | instid1(VALU_DEP_4)
	v_fma_f64 v[4:5], v[4:5], v[34:35], v[14:15]
	v_fma_f64 v[2:3], v[2:3], v[34:35], -v[16:17]
	s_delay_alu instid0(VALU_DEP_4) | instskip(NEXT) | instid1(VALU_DEP_4)
	v_add_f64 v[6:7], v[10:11], v[6:7]
	v_add_f64 v[8:9], v[12:13], v[8:9]
	s_delay_alu instid0(VALU_DEP_2) | instskip(NEXT) | instid1(VALU_DEP_2)
	v_add_f64 v[2:3], v[6:7], v[2:3]
	v_add_f64 v[4:5], v[8:9], v[4:5]
	s_delay_alu instid0(VALU_DEP_2) | instskip(NEXT) | instid1(VALU_DEP_2)
	v_add_f64 v[2:3], v[163:164], -v[2:3]
	v_add_f64 v[4:5], v[165:166], -v[4:5]
	scratch_store_b128 off, v[2:5], off offset:448
	v_cmpx_lt_u32_e32 27, v122
	s_cbranch_execz .LBB103_199
; %bb.198:
	scratch_load_b128 v[5:8], v133, off
	v_mov_b32_e32 v2, v1
	v_mov_b32_e32 v3, v1
	;; [unrolled: 1-line block ×3, first 2 shown]
	scratch_store_b128 off, v[1:4], off offset:432
	s_waitcnt vmcnt(0)
	ds_store_b128 v162, v[5:8]
.LBB103_199:
	s_or_b32 exec_lo, exec_lo, s2
	s_waitcnt lgkmcnt(0)
	s_waitcnt_vscnt null, 0x0
	s_barrier
	buffer_gl0_inv
	s_clause 0x8
	scratch_load_b128 v[2:5], off, off offset:448
	scratch_load_b128 v[6:9], off, off offset:464
	;; [unrolled: 1-line block ×9, first 2 shown]
	ds_load_b128 v[38:41], v1 offset:1088
	ds_load_b128 v[163:166], v1 offset:1104
	s_clause 0x1
	scratch_load_b128 v[167:170], off, off offset:432
	scratch_load_b128 v[171:174], off, off offset:592
	s_mov_b32 s2, exec_lo
	s_waitcnt vmcnt(10) lgkmcnt(1)
	v_mul_f64 v[175:176], v[40:41], v[4:5]
	v_mul_f64 v[4:5], v[38:39], v[4:5]
	s_waitcnt vmcnt(9) lgkmcnt(0)
	v_mul_f64 v[179:180], v[163:164], v[8:9]
	v_mul_f64 v[8:9], v[165:166], v[8:9]
	s_delay_alu instid0(VALU_DEP_4) | instskip(NEXT) | instid1(VALU_DEP_4)
	v_fma_f64 v[181:182], v[38:39], v[2:3], -v[175:176]
	v_fma_f64 v[183:184], v[40:41], v[2:3], v[4:5]
	ds_load_b128 v[2:5], v1 offset:1120
	ds_load_b128 v[175:178], v1 offset:1136
	scratch_load_b128 v[38:41], off, off offset:608
	v_fma_f64 v[165:166], v[165:166], v[6:7], v[179:180]
	v_fma_f64 v[163:164], v[163:164], v[6:7], -v[8:9]
	scratch_load_b128 v[6:9], off, off offset:624
	s_waitcnt vmcnt(10) lgkmcnt(1)
	v_mul_f64 v[185:186], v[2:3], v[12:13]
	v_mul_f64 v[12:13], v[4:5], v[12:13]
	v_add_f64 v[179:180], v[181:182], 0
	v_add_f64 v[181:182], v[183:184], 0
	s_waitcnt vmcnt(9) lgkmcnt(0)
	v_mul_f64 v[183:184], v[175:176], v[16:17]
	v_mul_f64 v[16:17], v[177:178], v[16:17]
	v_fma_f64 v[185:186], v[4:5], v[10:11], v[185:186]
	v_fma_f64 v[187:188], v[2:3], v[10:11], -v[12:13]
	ds_load_b128 v[2:5], v1 offset:1152
	ds_load_b128 v[10:13], v1 offset:1168
	v_add_f64 v[163:164], v[179:180], v[163:164]
	v_add_f64 v[165:166], v[181:182], v[165:166]
	v_fma_f64 v[177:178], v[177:178], v[14:15], v[183:184]
	v_fma_f64 v[14:15], v[175:176], v[14:15], -v[16:17]
	s_waitcnt vmcnt(8) lgkmcnt(1)
	v_mul_f64 v[179:180], v[2:3], v[20:21]
	v_mul_f64 v[20:21], v[4:5], v[20:21]
	v_add_f64 v[16:17], v[163:164], v[187:188]
	v_add_f64 v[163:164], v[165:166], v[185:186]
	s_waitcnt vmcnt(7) lgkmcnt(0)
	v_mul_f64 v[165:166], v[10:11], v[24:25]
	v_mul_f64 v[24:25], v[12:13], v[24:25]
	v_fma_f64 v[175:176], v[4:5], v[18:19], v[179:180]
	v_fma_f64 v[18:19], v[2:3], v[18:19], -v[20:21]
	v_add_f64 v[20:21], v[16:17], v[14:15]
	v_add_f64 v[163:164], v[163:164], v[177:178]
	ds_load_b128 v[2:5], v1 offset:1184
	ds_load_b128 v[14:17], v1 offset:1200
	v_fma_f64 v[12:13], v[12:13], v[22:23], v[165:166]
	v_fma_f64 v[10:11], v[10:11], v[22:23], -v[24:25]
	s_waitcnt vmcnt(6) lgkmcnt(1)
	v_mul_f64 v[177:178], v[2:3], v[28:29]
	v_mul_f64 v[28:29], v[4:5], v[28:29]
	s_waitcnt vmcnt(5) lgkmcnt(0)
	v_mul_f64 v[22:23], v[14:15], v[32:33]
	v_mul_f64 v[24:25], v[16:17], v[32:33]
	v_add_f64 v[18:19], v[20:21], v[18:19]
	v_add_f64 v[20:21], v[163:164], v[175:176]
	v_fma_f64 v[32:33], v[4:5], v[26:27], v[177:178]
	v_fma_f64 v[26:27], v[2:3], v[26:27], -v[28:29]
	v_fma_f64 v[16:17], v[16:17], v[30:31], v[22:23]
	v_fma_f64 v[14:15], v[14:15], v[30:31], -v[24:25]
	v_add_f64 v[18:19], v[18:19], v[10:11]
	v_add_f64 v[20:21], v[20:21], v[12:13]
	ds_load_b128 v[2:5], v1 offset:1216
	ds_load_b128 v[10:13], v1 offset:1232
	s_waitcnt vmcnt(4) lgkmcnt(1)
	v_mul_f64 v[28:29], v[2:3], v[36:37]
	v_mul_f64 v[36:37], v[4:5], v[36:37]
	s_waitcnt vmcnt(2) lgkmcnt(0)
	v_mul_f64 v[22:23], v[10:11], v[173:174]
	v_mul_f64 v[24:25], v[12:13], v[173:174]
	v_add_f64 v[18:19], v[18:19], v[26:27]
	v_add_f64 v[20:21], v[20:21], v[32:33]
	v_fma_f64 v[26:27], v[4:5], v[34:35], v[28:29]
	v_fma_f64 v[28:29], v[2:3], v[34:35], -v[36:37]
	v_fma_f64 v[12:13], v[12:13], v[171:172], v[22:23]
	v_fma_f64 v[10:11], v[10:11], v[171:172], -v[24:25]
	v_add_f64 v[18:19], v[18:19], v[14:15]
	v_add_f64 v[20:21], v[20:21], v[16:17]
	ds_load_b128 v[2:5], v1 offset:1248
	ds_load_b128 v[14:17], v1 offset:1264
	s_waitcnt vmcnt(1) lgkmcnt(1)
	v_mul_f64 v[30:31], v[2:3], v[40:41]
	v_mul_f64 v[32:33], v[4:5], v[40:41]
	s_waitcnt vmcnt(0) lgkmcnt(0)
	v_mul_f64 v[22:23], v[14:15], v[8:9]
	v_mul_f64 v[8:9], v[16:17], v[8:9]
	v_add_f64 v[18:19], v[18:19], v[28:29]
	v_add_f64 v[20:21], v[20:21], v[26:27]
	v_fma_f64 v[4:5], v[4:5], v[38:39], v[30:31]
	v_fma_f64 v[1:2], v[2:3], v[38:39], -v[32:33]
	v_fma_f64 v[16:17], v[16:17], v[6:7], v[22:23]
	v_fma_f64 v[6:7], v[14:15], v[6:7], -v[8:9]
	v_add_f64 v[10:11], v[18:19], v[10:11]
	v_add_f64 v[12:13], v[20:21], v[12:13]
	s_delay_alu instid0(VALU_DEP_2) | instskip(NEXT) | instid1(VALU_DEP_2)
	v_add_f64 v[1:2], v[10:11], v[1:2]
	v_add_f64 v[3:4], v[12:13], v[4:5]
	s_delay_alu instid0(VALU_DEP_2) | instskip(NEXT) | instid1(VALU_DEP_2)
	v_add_f64 v[1:2], v[1:2], v[6:7]
	v_add_f64 v[3:4], v[3:4], v[16:17]
	s_delay_alu instid0(VALU_DEP_2) | instskip(NEXT) | instid1(VALU_DEP_2)
	v_add_f64 v[1:2], v[167:168], -v[1:2]
	v_add_f64 v[3:4], v[169:170], -v[3:4]
	scratch_store_b128 off, v[1:4], off offset:432
	v_cmpx_lt_u32_e32 26, v122
	s_cbranch_execz .LBB103_201
; %bb.200:
	scratch_load_b128 v[1:4], v132, off
	v_mov_b32_e32 v5, 0
	s_delay_alu instid0(VALU_DEP_1)
	v_mov_b32_e32 v6, v5
	v_mov_b32_e32 v7, v5
	v_mov_b32_e32 v8, v5
	scratch_store_b128 off, v[5:8], off offset:416
	s_waitcnt vmcnt(0)
	ds_store_b128 v162, v[1:4]
.LBB103_201:
	s_or_b32 exec_lo, exec_lo, s2
	s_waitcnt lgkmcnt(0)
	s_waitcnt_vscnt null, 0x0
	s_barrier
	buffer_gl0_inv
	s_clause 0x7
	scratch_load_b128 v[2:5], off, off offset:432
	scratch_load_b128 v[6:9], off, off offset:448
	;; [unrolled: 1-line block ×8, first 2 shown]
	v_mov_b32_e32 v1, 0
	s_clause 0x1
	scratch_load_b128 v[38:41], off, off offset:560
	scratch_load_b128 v[167:170], off, off offset:576
	s_mov_b32 s2, exec_lo
	ds_load_b128 v[34:37], v1 offset:1072
	ds_load_b128 v[163:166], v1 offset:1088
	s_waitcnt vmcnt(9) lgkmcnt(1)
	v_mul_f64 v[171:172], v[36:37], v[4:5]
	v_mul_f64 v[4:5], v[34:35], v[4:5]
	s_waitcnt vmcnt(8) lgkmcnt(0)
	v_mul_f64 v[173:174], v[163:164], v[8:9]
	v_mul_f64 v[8:9], v[165:166], v[8:9]
	s_delay_alu instid0(VALU_DEP_4) | instskip(NEXT) | instid1(VALU_DEP_4)
	v_fma_f64 v[171:172], v[34:35], v[2:3], -v[171:172]
	v_fma_f64 v[175:176], v[36:37], v[2:3], v[4:5]
	ds_load_b128 v[2:5], v1 offset:1104
	scratch_load_b128 v[34:37], off, off offset:592
	v_fma_f64 v[173:174], v[165:166], v[6:7], v[173:174]
	v_fma_f64 v[179:180], v[163:164], v[6:7], -v[8:9]
	ds_load_b128 v[6:9], v1 offset:1120
	scratch_load_b128 v[163:166], off, off offset:608
	s_waitcnt vmcnt(9) lgkmcnt(1)
	v_mul_f64 v[177:178], v[2:3], v[12:13]
	v_mul_f64 v[12:13], v[4:5], v[12:13]
	s_waitcnt vmcnt(8) lgkmcnt(0)
	v_mul_f64 v[181:182], v[6:7], v[16:17]
	v_mul_f64 v[16:17], v[8:9], v[16:17]
	v_add_f64 v[171:172], v[171:172], 0
	v_add_f64 v[175:176], v[175:176], 0
	v_fma_f64 v[177:178], v[4:5], v[10:11], v[177:178]
	v_fma_f64 v[183:184], v[2:3], v[10:11], -v[12:13]
	scratch_load_b128 v[10:13], off, off offset:624
	ds_load_b128 v[2:5], v1 offset:1136
	v_add_f64 v[171:172], v[171:172], v[179:180]
	v_add_f64 v[173:174], v[175:176], v[173:174]
	v_fma_f64 v[179:180], v[8:9], v[14:15], v[181:182]
	v_fma_f64 v[14:15], v[6:7], v[14:15], -v[16:17]
	ds_load_b128 v[6:9], v1 offset:1152
	s_waitcnt vmcnt(8) lgkmcnt(1)
	v_mul_f64 v[175:176], v[2:3], v[20:21]
	v_mul_f64 v[20:21], v[4:5], v[20:21]
	v_add_f64 v[16:17], v[171:172], v[183:184]
	v_add_f64 v[171:172], v[173:174], v[177:178]
	s_waitcnt vmcnt(7) lgkmcnt(0)
	v_mul_f64 v[173:174], v[6:7], v[24:25]
	v_mul_f64 v[24:25], v[8:9], v[24:25]
	v_fma_f64 v[175:176], v[4:5], v[18:19], v[175:176]
	v_fma_f64 v[18:19], v[2:3], v[18:19], -v[20:21]
	ds_load_b128 v[2:5], v1 offset:1168
	v_add_f64 v[14:15], v[16:17], v[14:15]
	v_add_f64 v[16:17], v[171:172], v[179:180]
	v_fma_f64 v[171:172], v[8:9], v[22:23], v[173:174]
	v_fma_f64 v[22:23], v[6:7], v[22:23], -v[24:25]
	ds_load_b128 v[6:9], v1 offset:1184
	s_waitcnt vmcnt(6) lgkmcnt(1)
	v_mul_f64 v[20:21], v[2:3], v[28:29]
	v_mul_f64 v[28:29], v[4:5], v[28:29]
	s_waitcnt vmcnt(5) lgkmcnt(0)
	v_mul_f64 v[173:174], v[6:7], v[32:33]
	v_mul_f64 v[32:33], v[8:9], v[32:33]
	v_add_f64 v[18:19], v[14:15], v[18:19]
	v_add_f64 v[24:25], v[16:17], v[175:176]
	scratch_load_b128 v[14:17], off, off offset:416
	v_fma_f64 v[20:21], v[4:5], v[26:27], v[20:21]
	v_fma_f64 v[26:27], v[2:3], v[26:27], -v[28:29]
	ds_load_b128 v[2:5], v1 offset:1200
	s_waitcnt vmcnt(5) lgkmcnt(0)
	v_mul_f64 v[28:29], v[4:5], v[40:41]
	v_add_f64 v[18:19], v[18:19], v[22:23]
	v_add_f64 v[22:23], v[24:25], v[171:172]
	v_mul_f64 v[24:25], v[2:3], v[40:41]
	v_fma_f64 v[40:41], v[8:9], v[30:31], v[173:174]
	v_fma_f64 v[30:31], v[6:7], v[30:31], -v[32:33]
	ds_load_b128 v[6:9], v1 offset:1216
	v_fma_f64 v[28:29], v[2:3], v[38:39], -v[28:29]
	v_add_f64 v[18:19], v[18:19], v[26:27]
	v_add_f64 v[20:21], v[22:23], v[20:21]
	v_fma_f64 v[24:25], v[4:5], v[38:39], v[24:25]
	ds_load_b128 v[2:5], v1 offset:1232
	s_waitcnt vmcnt(4) lgkmcnt(1)
	v_mul_f64 v[22:23], v[6:7], v[169:170]
	v_mul_f64 v[26:27], v[8:9], v[169:170]
	v_add_f64 v[18:19], v[18:19], v[30:31]
	v_add_f64 v[20:21], v[20:21], v[40:41]
	s_delay_alu instid0(VALU_DEP_4) | instskip(NEXT) | instid1(VALU_DEP_4)
	v_fma_f64 v[22:23], v[8:9], v[167:168], v[22:23]
	v_fma_f64 v[26:27], v[6:7], v[167:168], -v[26:27]
	ds_load_b128 v[6:9], v1 offset:1248
	s_waitcnt vmcnt(3) lgkmcnt(1)
	v_mul_f64 v[30:31], v[2:3], v[36:37]
	v_mul_f64 v[32:33], v[4:5], v[36:37]
	v_add_f64 v[18:19], v[18:19], v[28:29]
	v_add_f64 v[20:21], v[20:21], v[24:25]
	s_delay_alu instid0(VALU_DEP_4) | instskip(NEXT) | instid1(VALU_DEP_4)
	v_fma_f64 v[30:31], v[4:5], v[34:35], v[30:31]
	v_fma_f64 v[32:33], v[2:3], v[34:35], -v[32:33]
	ds_load_b128 v[2:5], v1 offset:1264
	s_waitcnt vmcnt(2) lgkmcnt(1)
	v_mul_f64 v[24:25], v[6:7], v[165:166]
	v_mul_f64 v[28:29], v[8:9], v[165:166]
	v_add_f64 v[18:19], v[18:19], v[26:27]
	v_add_f64 v[20:21], v[20:21], v[22:23]
	s_waitcnt vmcnt(1) lgkmcnt(0)
	v_mul_f64 v[22:23], v[2:3], v[12:13]
	v_mul_f64 v[12:13], v[4:5], v[12:13]
	v_fma_f64 v[8:9], v[8:9], v[163:164], v[24:25]
	v_fma_f64 v[6:7], v[6:7], v[163:164], -v[28:29]
	v_add_f64 v[18:19], v[18:19], v[32:33]
	v_add_f64 v[20:21], v[20:21], v[30:31]
	v_fma_f64 v[4:5], v[4:5], v[10:11], v[22:23]
	v_fma_f64 v[2:3], v[2:3], v[10:11], -v[12:13]
	s_delay_alu instid0(VALU_DEP_4) | instskip(NEXT) | instid1(VALU_DEP_4)
	v_add_f64 v[6:7], v[18:19], v[6:7]
	v_add_f64 v[8:9], v[20:21], v[8:9]
	s_delay_alu instid0(VALU_DEP_2) | instskip(NEXT) | instid1(VALU_DEP_2)
	v_add_f64 v[2:3], v[6:7], v[2:3]
	v_add_f64 v[4:5], v[8:9], v[4:5]
	s_waitcnt vmcnt(0)
	s_delay_alu instid0(VALU_DEP_2) | instskip(NEXT) | instid1(VALU_DEP_2)
	v_add_f64 v[2:3], v[14:15], -v[2:3]
	v_add_f64 v[4:5], v[16:17], -v[4:5]
	scratch_store_b128 off, v[2:5], off offset:416
	v_cmpx_lt_u32_e32 25, v122
	s_cbranch_execz .LBB103_203
; %bb.202:
	scratch_load_b128 v[5:8], v137, off
	v_mov_b32_e32 v2, v1
	v_mov_b32_e32 v3, v1
	;; [unrolled: 1-line block ×3, first 2 shown]
	scratch_store_b128 off, v[1:4], off offset:400
	s_waitcnt vmcnt(0)
	ds_store_b128 v162, v[5:8]
.LBB103_203:
	s_or_b32 exec_lo, exec_lo, s2
	s_waitcnt lgkmcnt(0)
	s_waitcnt_vscnt null, 0x0
	s_barrier
	buffer_gl0_inv
	s_clause 0x7
	scratch_load_b128 v[2:5], off, off offset:416
	scratch_load_b128 v[6:9], off, off offset:432
	;; [unrolled: 1-line block ×8, first 2 shown]
	ds_load_b128 v[34:37], v1 offset:1056
	ds_load_b128 v[163:166], v1 offset:1072
	s_clause 0x1
	scratch_load_b128 v[38:41], off, off offset:544
	scratch_load_b128 v[167:170], off, off offset:560
	s_mov_b32 s2, exec_lo
	s_waitcnt vmcnt(9) lgkmcnt(1)
	v_mul_f64 v[171:172], v[36:37], v[4:5]
	v_mul_f64 v[4:5], v[34:35], v[4:5]
	s_waitcnt vmcnt(8) lgkmcnt(0)
	v_mul_f64 v[173:174], v[163:164], v[8:9]
	v_mul_f64 v[8:9], v[165:166], v[8:9]
	s_delay_alu instid0(VALU_DEP_4) | instskip(NEXT) | instid1(VALU_DEP_4)
	v_fma_f64 v[171:172], v[34:35], v[2:3], -v[171:172]
	v_fma_f64 v[175:176], v[36:37], v[2:3], v[4:5]
	scratch_load_b128 v[34:37], off, off offset:576
	ds_load_b128 v[2:5], v1 offset:1088
	v_fma_f64 v[173:174], v[165:166], v[6:7], v[173:174]
	v_fma_f64 v[179:180], v[163:164], v[6:7], -v[8:9]
	ds_load_b128 v[6:9], v1 offset:1104
	scratch_load_b128 v[163:166], off, off offset:592
	s_waitcnt vmcnt(9) lgkmcnt(1)
	v_mul_f64 v[177:178], v[2:3], v[12:13]
	v_mul_f64 v[12:13], v[4:5], v[12:13]
	s_waitcnt vmcnt(8) lgkmcnt(0)
	v_mul_f64 v[181:182], v[6:7], v[16:17]
	v_mul_f64 v[16:17], v[8:9], v[16:17]
	v_add_f64 v[171:172], v[171:172], 0
	v_add_f64 v[175:176], v[175:176], 0
	v_fma_f64 v[177:178], v[4:5], v[10:11], v[177:178]
	v_fma_f64 v[183:184], v[2:3], v[10:11], -v[12:13]
	scratch_load_b128 v[10:13], off, off offset:608
	ds_load_b128 v[2:5], v1 offset:1120
	v_add_f64 v[171:172], v[171:172], v[179:180]
	v_add_f64 v[173:174], v[175:176], v[173:174]
	v_fma_f64 v[179:180], v[8:9], v[14:15], v[181:182]
	v_fma_f64 v[181:182], v[6:7], v[14:15], -v[16:17]
	ds_load_b128 v[6:9], v1 offset:1136
	scratch_load_b128 v[14:17], off, off offset:624
	s_waitcnt vmcnt(9) lgkmcnt(1)
	v_mul_f64 v[175:176], v[2:3], v[20:21]
	v_mul_f64 v[20:21], v[4:5], v[20:21]
	v_add_f64 v[171:172], v[171:172], v[183:184]
	v_add_f64 v[173:174], v[173:174], v[177:178]
	s_waitcnt vmcnt(8) lgkmcnt(0)
	v_mul_f64 v[177:178], v[6:7], v[24:25]
	v_mul_f64 v[24:25], v[8:9], v[24:25]
	v_fma_f64 v[175:176], v[4:5], v[18:19], v[175:176]
	v_fma_f64 v[18:19], v[2:3], v[18:19], -v[20:21]
	ds_load_b128 v[2:5], v1 offset:1152
	v_add_f64 v[20:21], v[171:172], v[181:182]
	v_add_f64 v[171:172], v[173:174], v[179:180]
	v_fma_f64 v[177:178], v[8:9], v[22:23], v[177:178]
	v_fma_f64 v[22:23], v[6:7], v[22:23], -v[24:25]
	ds_load_b128 v[6:9], v1 offset:1168
	s_waitcnt vmcnt(7) lgkmcnt(1)
	v_mul_f64 v[173:174], v[2:3], v[28:29]
	v_mul_f64 v[28:29], v[4:5], v[28:29]
	s_waitcnt vmcnt(6) lgkmcnt(0)
	v_mul_f64 v[24:25], v[6:7], v[32:33]
	v_mul_f64 v[32:33], v[8:9], v[32:33]
	v_add_f64 v[18:19], v[20:21], v[18:19]
	v_add_f64 v[20:21], v[171:172], v[175:176]
	v_fma_f64 v[171:172], v[4:5], v[26:27], v[173:174]
	v_fma_f64 v[26:27], v[2:3], v[26:27], -v[28:29]
	ds_load_b128 v[2:5], v1 offset:1184
	v_fma_f64 v[24:25], v[8:9], v[30:31], v[24:25]
	v_fma_f64 v[30:31], v[6:7], v[30:31], -v[32:33]
	ds_load_b128 v[6:9], v1 offset:1200
	v_add_f64 v[22:23], v[18:19], v[22:23]
	v_add_f64 v[28:29], v[20:21], v[177:178]
	scratch_load_b128 v[18:21], off, off offset:400
	s_waitcnt vmcnt(6) lgkmcnt(1)
	v_mul_f64 v[173:174], v[2:3], v[40:41]
	v_mul_f64 v[40:41], v[4:5], v[40:41]
	s_waitcnt vmcnt(5) lgkmcnt(0)
	v_mul_f64 v[32:33], v[8:9], v[169:170]
	v_add_f64 v[22:23], v[22:23], v[26:27]
	v_add_f64 v[26:27], v[28:29], v[171:172]
	v_mul_f64 v[28:29], v[6:7], v[169:170]
	v_fma_f64 v[169:170], v[4:5], v[38:39], v[173:174]
	v_fma_f64 v[38:39], v[2:3], v[38:39], -v[40:41]
	ds_load_b128 v[2:5], v1 offset:1216
	v_fma_f64 v[32:33], v[6:7], v[167:168], -v[32:33]
	v_add_f64 v[22:23], v[22:23], v[30:31]
	v_add_f64 v[24:25], v[26:27], v[24:25]
	v_fma_f64 v[28:29], v[8:9], v[167:168], v[28:29]
	ds_load_b128 v[6:9], v1 offset:1232
	s_waitcnt vmcnt(4) lgkmcnt(1)
	v_mul_f64 v[26:27], v[2:3], v[36:37]
	v_mul_f64 v[30:31], v[4:5], v[36:37]
	s_waitcnt vmcnt(3) lgkmcnt(0)
	v_mul_f64 v[36:37], v[6:7], v[165:166]
	v_add_f64 v[22:23], v[22:23], v[38:39]
	v_add_f64 v[24:25], v[24:25], v[169:170]
	v_mul_f64 v[38:39], v[8:9], v[165:166]
	v_fma_f64 v[26:27], v[4:5], v[34:35], v[26:27]
	v_fma_f64 v[30:31], v[2:3], v[34:35], -v[30:31]
	ds_load_b128 v[2:5], v1 offset:1248
	v_add_f64 v[22:23], v[22:23], v[32:33]
	v_add_f64 v[24:25], v[24:25], v[28:29]
	v_fma_f64 v[32:33], v[8:9], v[163:164], v[36:37]
	v_fma_f64 v[34:35], v[6:7], v[163:164], -v[38:39]
	ds_load_b128 v[6:9], v1 offset:1264
	s_waitcnt vmcnt(2) lgkmcnt(1)
	v_mul_f64 v[28:29], v[2:3], v[12:13]
	v_mul_f64 v[12:13], v[4:5], v[12:13]
	v_add_f64 v[22:23], v[22:23], v[30:31]
	v_add_f64 v[24:25], v[24:25], v[26:27]
	s_waitcnt vmcnt(1) lgkmcnt(0)
	v_mul_f64 v[26:27], v[6:7], v[16:17]
	v_mul_f64 v[16:17], v[8:9], v[16:17]
	v_fma_f64 v[4:5], v[4:5], v[10:11], v[28:29]
	v_fma_f64 v[1:2], v[2:3], v[10:11], -v[12:13]
	v_add_f64 v[10:11], v[22:23], v[34:35]
	v_add_f64 v[12:13], v[24:25], v[32:33]
	v_fma_f64 v[8:9], v[8:9], v[14:15], v[26:27]
	v_fma_f64 v[6:7], v[6:7], v[14:15], -v[16:17]
	s_delay_alu instid0(VALU_DEP_4) | instskip(NEXT) | instid1(VALU_DEP_4)
	v_add_f64 v[1:2], v[10:11], v[1:2]
	v_add_f64 v[3:4], v[12:13], v[4:5]
	s_delay_alu instid0(VALU_DEP_2) | instskip(NEXT) | instid1(VALU_DEP_2)
	v_add_f64 v[1:2], v[1:2], v[6:7]
	v_add_f64 v[3:4], v[3:4], v[8:9]
	s_waitcnt vmcnt(0)
	s_delay_alu instid0(VALU_DEP_2) | instskip(NEXT) | instid1(VALU_DEP_2)
	v_add_f64 v[1:2], v[18:19], -v[1:2]
	v_add_f64 v[3:4], v[20:21], -v[3:4]
	scratch_store_b128 off, v[1:4], off offset:400
	v_cmpx_lt_u32_e32 24, v122
	s_cbranch_execz .LBB103_205
; %bb.204:
	scratch_load_b128 v[1:4], v138, off
	v_mov_b32_e32 v5, 0
	s_delay_alu instid0(VALU_DEP_1)
	v_mov_b32_e32 v6, v5
	v_mov_b32_e32 v7, v5
	;; [unrolled: 1-line block ×3, first 2 shown]
	scratch_store_b128 off, v[5:8], off offset:384
	s_waitcnt vmcnt(0)
	ds_store_b128 v162, v[1:4]
.LBB103_205:
	s_or_b32 exec_lo, exec_lo, s2
	s_waitcnt lgkmcnt(0)
	s_waitcnt_vscnt null, 0x0
	s_barrier
	buffer_gl0_inv
	s_clause 0x7
	scratch_load_b128 v[2:5], off, off offset:400
	scratch_load_b128 v[6:9], off, off offset:416
	;; [unrolled: 1-line block ×8, first 2 shown]
	v_mov_b32_e32 v1, 0
	s_clause 0x1
	scratch_load_b128 v[38:41], off, off offset:528
	scratch_load_b128 v[167:170], off, off offset:544
	s_mov_b32 s2, exec_lo
	ds_load_b128 v[34:37], v1 offset:1040
	ds_load_b128 v[163:166], v1 offset:1056
	s_waitcnt vmcnt(9) lgkmcnt(1)
	v_mul_f64 v[171:172], v[36:37], v[4:5]
	v_mul_f64 v[4:5], v[34:35], v[4:5]
	s_waitcnt vmcnt(8) lgkmcnt(0)
	v_mul_f64 v[173:174], v[163:164], v[8:9]
	v_mul_f64 v[8:9], v[165:166], v[8:9]
	s_delay_alu instid0(VALU_DEP_4) | instskip(NEXT) | instid1(VALU_DEP_4)
	v_fma_f64 v[171:172], v[34:35], v[2:3], -v[171:172]
	v_fma_f64 v[175:176], v[36:37], v[2:3], v[4:5]
	ds_load_b128 v[2:5], v1 offset:1072
	scratch_load_b128 v[34:37], off, off offset:560
	v_fma_f64 v[173:174], v[165:166], v[6:7], v[173:174]
	v_fma_f64 v[179:180], v[163:164], v[6:7], -v[8:9]
	ds_load_b128 v[6:9], v1 offset:1088
	scratch_load_b128 v[163:166], off, off offset:576
	s_waitcnt vmcnt(9) lgkmcnt(1)
	v_mul_f64 v[177:178], v[2:3], v[12:13]
	v_mul_f64 v[12:13], v[4:5], v[12:13]
	s_waitcnt vmcnt(8) lgkmcnt(0)
	v_mul_f64 v[181:182], v[6:7], v[16:17]
	v_mul_f64 v[16:17], v[8:9], v[16:17]
	v_add_f64 v[171:172], v[171:172], 0
	v_add_f64 v[175:176], v[175:176], 0
	v_fma_f64 v[177:178], v[4:5], v[10:11], v[177:178]
	v_fma_f64 v[183:184], v[2:3], v[10:11], -v[12:13]
	scratch_load_b128 v[10:13], off, off offset:592
	ds_load_b128 v[2:5], v1 offset:1104
	v_add_f64 v[171:172], v[171:172], v[179:180]
	v_add_f64 v[173:174], v[175:176], v[173:174]
	v_fma_f64 v[179:180], v[8:9], v[14:15], v[181:182]
	v_fma_f64 v[181:182], v[6:7], v[14:15], -v[16:17]
	ds_load_b128 v[6:9], v1 offset:1120
	scratch_load_b128 v[14:17], off, off offset:608
	s_waitcnt vmcnt(9) lgkmcnt(1)
	v_mul_f64 v[175:176], v[2:3], v[20:21]
	v_mul_f64 v[20:21], v[4:5], v[20:21]
	v_add_f64 v[171:172], v[171:172], v[183:184]
	v_add_f64 v[173:174], v[173:174], v[177:178]
	s_waitcnt vmcnt(8) lgkmcnt(0)
	v_mul_f64 v[177:178], v[6:7], v[24:25]
	v_mul_f64 v[24:25], v[8:9], v[24:25]
	v_fma_f64 v[175:176], v[4:5], v[18:19], v[175:176]
	v_fma_f64 v[183:184], v[2:3], v[18:19], -v[20:21]
	scratch_load_b128 v[18:21], off, off offset:624
	ds_load_b128 v[2:5], v1 offset:1136
	v_add_f64 v[171:172], v[171:172], v[181:182]
	v_add_f64 v[173:174], v[173:174], v[179:180]
	v_fma_f64 v[177:178], v[8:9], v[22:23], v[177:178]
	v_fma_f64 v[22:23], v[6:7], v[22:23], -v[24:25]
	ds_load_b128 v[6:9], v1 offset:1152
	s_waitcnt vmcnt(8) lgkmcnt(1)
	v_mul_f64 v[179:180], v[2:3], v[28:29]
	v_mul_f64 v[28:29], v[4:5], v[28:29]
	v_add_f64 v[24:25], v[171:172], v[183:184]
	v_add_f64 v[171:172], v[173:174], v[175:176]
	s_waitcnt vmcnt(7) lgkmcnt(0)
	v_mul_f64 v[173:174], v[6:7], v[32:33]
	v_mul_f64 v[32:33], v[8:9], v[32:33]
	v_fma_f64 v[175:176], v[4:5], v[26:27], v[179:180]
	v_fma_f64 v[26:27], v[2:3], v[26:27], -v[28:29]
	ds_load_b128 v[2:5], v1 offset:1168
	v_add_f64 v[22:23], v[24:25], v[22:23]
	v_add_f64 v[24:25], v[171:172], v[177:178]
	v_fma_f64 v[171:172], v[8:9], v[30:31], v[173:174]
	v_fma_f64 v[30:31], v[6:7], v[30:31], -v[32:33]
	ds_load_b128 v[6:9], v1 offset:1184
	s_waitcnt vmcnt(5) lgkmcnt(0)
	v_mul_f64 v[173:174], v[6:7], v[169:170]
	v_mul_f64 v[169:170], v[8:9], v[169:170]
	v_add_f64 v[26:27], v[22:23], v[26:27]
	v_add_f64 v[32:33], v[24:25], v[175:176]
	scratch_load_b128 v[22:25], off, off offset:384
	v_mul_f64 v[28:29], v[2:3], v[40:41]
	v_mul_f64 v[40:41], v[4:5], v[40:41]
	v_add_f64 v[26:27], v[26:27], v[30:31]
	v_add_f64 v[30:31], v[32:33], v[171:172]
	s_delay_alu instid0(VALU_DEP_4) | instskip(NEXT) | instid1(VALU_DEP_4)
	v_fma_f64 v[28:29], v[4:5], v[38:39], v[28:29]
	v_fma_f64 v[38:39], v[2:3], v[38:39], -v[40:41]
	ds_load_b128 v[2:5], v1 offset:1200
	v_fma_f64 v[40:41], v[8:9], v[167:168], v[173:174]
	v_fma_f64 v[167:168], v[6:7], v[167:168], -v[169:170]
	ds_load_b128 v[6:9], v1 offset:1216
	s_waitcnt vmcnt(5) lgkmcnt(1)
	v_mul_f64 v[32:33], v[2:3], v[36:37]
	v_mul_f64 v[36:37], v[4:5], v[36:37]
	v_add_f64 v[28:29], v[30:31], v[28:29]
	v_add_f64 v[26:27], v[26:27], v[38:39]
	s_waitcnt vmcnt(4) lgkmcnt(0)
	v_mul_f64 v[30:31], v[6:7], v[165:166]
	v_mul_f64 v[38:39], v[8:9], v[165:166]
	v_fma_f64 v[32:33], v[4:5], v[34:35], v[32:33]
	v_fma_f64 v[34:35], v[2:3], v[34:35], -v[36:37]
	ds_load_b128 v[2:5], v1 offset:1232
	v_add_f64 v[28:29], v[28:29], v[40:41]
	v_add_f64 v[26:27], v[26:27], v[167:168]
	v_fma_f64 v[30:31], v[8:9], v[163:164], v[30:31]
	v_fma_f64 v[38:39], v[6:7], v[163:164], -v[38:39]
	ds_load_b128 v[6:9], v1 offset:1248
	s_waitcnt vmcnt(3) lgkmcnt(1)
	v_mul_f64 v[36:37], v[2:3], v[12:13]
	v_mul_f64 v[12:13], v[4:5], v[12:13]
	v_add_f64 v[28:29], v[28:29], v[32:33]
	v_add_f64 v[26:27], v[26:27], v[34:35]
	s_waitcnt vmcnt(2) lgkmcnt(0)
	v_mul_f64 v[32:33], v[6:7], v[16:17]
	v_mul_f64 v[16:17], v[8:9], v[16:17]
	v_fma_f64 v[34:35], v[4:5], v[10:11], v[36:37]
	v_fma_f64 v[10:11], v[2:3], v[10:11], -v[12:13]
	ds_load_b128 v[2:5], v1 offset:1264
	v_add_f64 v[12:13], v[26:27], v[38:39]
	v_add_f64 v[26:27], v[28:29], v[30:31]
	s_waitcnt vmcnt(1) lgkmcnt(0)
	v_mul_f64 v[28:29], v[2:3], v[20:21]
	v_mul_f64 v[20:21], v[4:5], v[20:21]
	v_fma_f64 v[8:9], v[8:9], v[14:15], v[32:33]
	v_fma_f64 v[6:7], v[6:7], v[14:15], -v[16:17]
	v_add_f64 v[10:11], v[12:13], v[10:11]
	v_add_f64 v[12:13], v[26:27], v[34:35]
	v_fma_f64 v[4:5], v[4:5], v[18:19], v[28:29]
	v_fma_f64 v[2:3], v[2:3], v[18:19], -v[20:21]
	s_delay_alu instid0(VALU_DEP_4) | instskip(NEXT) | instid1(VALU_DEP_4)
	v_add_f64 v[6:7], v[10:11], v[6:7]
	v_add_f64 v[8:9], v[12:13], v[8:9]
	s_delay_alu instid0(VALU_DEP_2) | instskip(NEXT) | instid1(VALU_DEP_2)
	v_add_f64 v[2:3], v[6:7], v[2:3]
	v_add_f64 v[4:5], v[8:9], v[4:5]
	s_waitcnt vmcnt(0)
	s_delay_alu instid0(VALU_DEP_2) | instskip(NEXT) | instid1(VALU_DEP_2)
	v_add_f64 v[2:3], v[22:23], -v[2:3]
	v_add_f64 v[4:5], v[24:25], -v[4:5]
	scratch_store_b128 off, v[2:5], off offset:384
	v_cmpx_lt_u32_e32 23, v122
	s_cbranch_execz .LBB103_207
; %bb.206:
	scratch_load_b128 v[5:8], v144, off
	v_mov_b32_e32 v2, v1
	v_mov_b32_e32 v3, v1
	;; [unrolled: 1-line block ×3, first 2 shown]
	scratch_store_b128 off, v[1:4], off offset:368
	s_waitcnt vmcnt(0)
	ds_store_b128 v162, v[5:8]
.LBB103_207:
	s_or_b32 exec_lo, exec_lo, s2
	s_waitcnt lgkmcnt(0)
	s_waitcnt_vscnt null, 0x0
	s_barrier
	buffer_gl0_inv
	s_clause 0x7
	scratch_load_b128 v[2:5], off, off offset:384
	scratch_load_b128 v[6:9], off, off offset:400
	;; [unrolled: 1-line block ×8, first 2 shown]
	ds_load_b128 v[34:37], v1 offset:1024
	ds_load_b128 v[163:166], v1 offset:1040
	s_clause 0x1
	scratch_load_b128 v[38:41], off, off offset:512
	scratch_load_b128 v[167:170], off, off offset:528
	s_mov_b32 s2, exec_lo
	s_waitcnt vmcnt(9) lgkmcnt(1)
	v_mul_f64 v[171:172], v[36:37], v[4:5]
	v_mul_f64 v[4:5], v[34:35], v[4:5]
	s_waitcnt vmcnt(8) lgkmcnt(0)
	v_mul_f64 v[173:174], v[163:164], v[8:9]
	v_mul_f64 v[8:9], v[165:166], v[8:9]
	s_delay_alu instid0(VALU_DEP_4) | instskip(NEXT) | instid1(VALU_DEP_4)
	v_fma_f64 v[171:172], v[34:35], v[2:3], -v[171:172]
	v_fma_f64 v[175:176], v[36:37], v[2:3], v[4:5]
	ds_load_b128 v[2:5], v1 offset:1056
	scratch_load_b128 v[34:37], off, off offset:544
	v_fma_f64 v[173:174], v[165:166], v[6:7], v[173:174]
	v_fma_f64 v[179:180], v[163:164], v[6:7], -v[8:9]
	ds_load_b128 v[6:9], v1 offset:1072
	scratch_load_b128 v[163:166], off, off offset:560
	s_waitcnt vmcnt(9) lgkmcnt(1)
	v_mul_f64 v[177:178], v[2:3], v[12:13]
	v_mul_f64 v[12:13], v[4:5], v[12:13]
	s_waitcnt vmcnt(8) lgkmcnt(0)
	v_mul_f64 v[181:182], v[6:7], v[16:17]
	v_mul_f64 v[16:17], v[8:9], v[16:17]
	v_add_f64 v[171:172], v[171:172], 0
	v_add_f64 v[175:176], v[175:176], 0
	v_fma_f64 v[177:178], v[4:5], v[10:11], v[177:178]
	v_fma_f64 v[183:184], v[2:3], v[10:11], -v[12:13]
	scratch_load_b128 v[10:13], off, off offset:576
	ds_load_b128 v[2:5], v1 offset:1088
	v_add_f64 v[171:172], v[171:172], v[179:180]
	v_add_f64 v[173:174], v[175:176], v[173:174]
	v_fma_f64 v[179:180], v[8:9], v[14:15], v[181:182]
	v_fma_f64 v[181:182], v[6:7], v[14:15], -v[16:17]
	ds_load_b128 v[6:9], v1 offset:1104
	scratch_load_b128 v[14:17], off, off offset:592
	s_waitcnt vmcnt(9) lgkmcnt(1)
	v_mul_f64 v[175:176], v[2:3], v[20:21]
	v_mul_f64 v[20:21], v[4:5], v[20:21]
	v_add_f64 v[171:172], v[171:172], v[183:184]
	v_add_f64 v[173:174], v[173:174], v[177:178]
	s_waitcnt vmcnt(8) lgkmcnt(0)
	v_mul_f64 v[177:178], v[6:7], v[24:25]
	v_mul_f64 v[24:25], v[8:9], v[24:25]
	v_fma_f64 v[175:176], v[4:5], v[18:19], v[175:176]
	v_fma_f64 v[183:184], v[2:3], v[18:19], -v[20:21]
	scratch_load_b128 v[18:21], off, off offset:608
	ds_load_b128 v[2:5], v1 offset:1120
	v_add_f64 v[171:172], v[171:172], v[181:182]
	v_add_f64 v[173:174], v[173:174], v[179:180]
	v_fma_f64 v[177:178], v[8:9], v[22:23], v[177:178]
	v_fma_f64 v[181:182], v[6:7], v[22:23], -v[24:25]
	ds_load_b128 v[6:9], v1 offset:1136
	s_waitcnt vmcnt(8) lgkmcnt(1)
	v_mul_f64 v[179:180], v[2:3], v[28:29]
	v_mul_f64 v[28:29], v[4:5], v[28:29]
	scratch_load_b128 v[22:25], off, off offset:624
	v_add_f64 v[171:172], v[171:172], v[183:184]
	v_add_f64 v[173:174], v[173:174], v[175:176]
	s_waitcnt vmcnt(8) lgkmcnt(0)
	v_mul_f64 v[175:176], v[6:7], v[32:33]
	v_mul_f64 v[32:33], v[8:9], v[32:33]
	v_fma_f64 v[179:180], v[4:5], v[26:27], v[179:180]
	v_fma_f64 v[26:27], v[2:3], v[26:27], -v[28:29]
	ds_load_b128 v[2:5], v1 offset:1152
	v_add_f64 v[28:29], v[171:172], v[181:182]
	v_add_f64 v[171:172], v[173:174], v[177:178]
	v_fma_f64 v[175:176], v[8:9], v[30:31], v[175:176]
	v_fma_f64 v[30:31], v[6:7], v[30:31], -v[32:33]
	ds_load_b128 v[6:9], v1 offset:1168
	s_waitcnt vmcnt(7) lgkmcnt(1)
	v_mul_f64 v[173:174], v[2:3], v[40:41]
	v_mul_f64 v[40:41], v[4:5], v[40:41]
	v_add_f64 v[26:27], v[28:29], v[26:27]
	v_add_f64 v[28:29], v[171:172], v[179:180]
	s_delay_alu instid0(VALU_DEP_4) | instskip(NEXT) | instid1(VALU_DEP_4)
	v_fma_f64 v[171:172], v[4:5], v[38:39], v[173:174]
	v_fma_f64 v[38:39], v[2:3], v[38:39], -v[40:41]
	ds_load_b128 v[2:5], v1 offset:1184
	v_add_f64 v[30:31], v[26:27], v[30:31]
	v_add_f64 v[40:41], v[28:29], v[175:176]
	scratch_load_b128 v[26:29], off, off offset:368
	s_waitcnt vmcnt(7) lgkmcnt(1)
	v_mul_f64 v[32:33], v[6:7], v[169:170]
	v_mul_f64 v[169:170], v[8:9], v[169:170]
	v_add_f64 v[30:31], v[30:31], v[38:39]
	v_add_f64 v[38:39], v[40:41], v[171:172]
	s_delay_alu instid0(VALU_DEP_4) | instskip(NEXT) | instid1(VALU_DEP_4)
	v_fma_f64 v[32:33], v[8:9], v[167:168], v[32:33]
	v_fma_f64 v[167:168], v[6:7], v[167:168], -v[169:170]
	ds_load_b128 v[6:9], v1 offset:1200
	s_waitcnt vmcnt(6) lgkmcnt(1)
	v_mul_f64 v[173:174], v[2:3], v[36:37]
	v_mul_f64 v[36:37], v[4:5], v[36:37]
	s_waitcnt vmcnt(5) lgkmcnt(0)
	v_mul_f64 v[40:41], v[6:7], v[165:166]
	v_mul_f64 v[165:166], v[8:9], v[165:166]
	v_add_f64 v[32:33], v[38:39], v[32:33]
	v_add_f64 v[30:31], v[30:31], v[167:168]
	v_fma_f64 v[169:170], v[4:5], v[34:35], v[173:174]
	v_fma_f64 v[34:35], v[2:3], v[34:35], -v[36:37]
	ds_load_b128 v[2:5], v1 offset:1216
	v_fma_f64 v[38:39], v[8:9], v[163:164], v[40:41]
	v_fma_f64 v[40:41], v[6:7], v[163:164], -v[165:166]
	ds_load_b128 v[6:9], v1 offset:1232
	s_waitcnt vmcnt(4) lgkmcnt(1)
	v_mul_f64 v[36:37], v[2:3], v[12:13]
	v_mul_f64 v[12:13], v[4:5], v[12:13]
	v_add_f64 v[32:33], v[32:33], v[169:170]
	v_add_f64 v[30:31], v[30:31], v[34:35]
	s_waitcnt vmcnt(3) lgkmcnt(0)
	v_mul_f64 v[34:35], v[6:7], v[16:17]
	v_mul_f64 v[16:17], v[8:9], v[16:17]
	v_fma_f64 v[36:37], v[4:5], v[10:11], v[36:37]
	v_fma_f64 v[10:11], v[2:3], v[10:11], -v[12:13]
	ds_load_b128 v[2:5], v1 offset:1248
	v_add_f64 v[12:13], v[30:31], v[40:41]
	v_add_f64 v[30:31], v[32:33], v[38:39]
	v_fma_f64 v[34:35], v[8:9], v[14:15], v[34:35]
	v_fma_f64 v[14:15], v[6:7], v[14:15], -v[16:17]
	ds_load_b128 v[6:9], v1 offset:1264
	s_waitcnt vmcnt(2) lgkmcnt(1)
	v_mul_f64 v[32:33], v[2:3], v[20:21]
	v_mul_f64 v[20:21], v[4:5], v[20:21]
	s_waitcnt vmcnt(1) lgkmcnt(0)
	v_mul_f64 v[16:17], v[6:7], v[24:25]
	v_mul_f64 v[24:25], v[8:9], v[24:25]
	v_add_f64 v[10:11], v[12:13], v[10:11]
	v_add_f64 v[12:13], v[30:31], v[36:37]
	v_fma_f64 v[4:5], v[4:5], v[18:19], v[32:33]
	v_fma_f64 v[1:2], v[2:3], v[18:19], -v[20:21]
	v_fma_f64 v[8:9], v[8:9], v[22:23], v[16:17]
	v_fma_f64 v[6:7], v[6:7], v[22:23], -v[24:25]
	v_add_f64 v[10:11], v[10:11], v[14:15]
	v_add_f64 v[12:13], v[12:13], v[34:35]
	s_delay_alu instid0(VALU_DEP_2) | instskip(NEXT) | instid1(VALU_DEP_2)
	v_add_f64 v[1:2], v[10:11], v[1:2]
	v_add_f64 v[3:4], v[12:13], v[4:5]
	s_delay_alu instid0(VALU_DEP_2) | instskip(NEXT) | instid1(VALU_DEP_2)
	v_add_f64 v[1:2], v[1:2], v[6:7]
	v_add_f64 v[3:4], v[3:4], v[8:9]
	s_waitcnt vmcnt(0)
	s_delay_alu instid0(VALU_DEP_2) | instskip(NEXT) | instid1(VALU_DEP_2)
	v_add_f64 v[1:2], v[26:27], -v[1:2]
	v_add_f64 v[3:4], v[28:29], -v[3:4]
	scratch_store_b128 off, v[1:4], off offset:368
	v_cmpx_lt_u32_e32 22, v122
	s_cbranch_execz .LBB103_209
; %bb.208:
	scratch_load_b128 v[1:4], v141, off
	v_mov_b32_e32 v5, 0
	s_delay_alu instid0(VALU_DEP_1)
	v_mov_b32_e32 v6, v5
	v_mov_b32_e32 v7, v5
	;; [unrolled: 1-line block ×3, first 2 shown]
	scratch_store_b128 off, v[5:8], off offset:352
	s_waitcnt vmcnt(0)
	ds_store_b128 v162, v[1:4]
.LBB103_209:
	s_or_b32 exec_lo, exec_lo, s2
	s_waitcnt lgkmcnt(0)
	s_waitcnt_vscnt null, 0x0
	s_barrier
	buffer_gl0_inv
	s_clause 0x7
	scratch_load_b128 v[2:5], off, off offset:368
	scratch_load_b128 v[6:9], off, off offset:384
	;; [unrolled: 1-line block ×8, first 2 shown]
	v_mov_b32_e32 v1, 0
	s_clause 0x1
	scratch_load_b128 v[38:41], off, off offset:496
	scratch_load_b128 v[167:170], off, off offset:512
	s_mov_b32 s2, exec_lo
	ds_load_b128 v[34:37], v1 offset:1008
	ds_load_b128 v[163:166], v1 offset:1024
	s_waitcnt vmcnt(9) lgkmcnt(1)
	v_mul_f64 v[171:172], v[36:37], v[4:5]
	v_mul_f64 v[4:5], v[34:35], v[4:5]
	s_waitcnt vmcnt(8) lgkmcnt(0)
	v_mul_f64 v[173:174], v[163:164], v[8:9]
	v_mul_f64 v[8:9], v[165:166], v[8:9]
	s_delay_alu instid0(VALU_DEP_4) | instskip(NEXT) | instid1(VALU_DEP_4)
	v_fma_f64 v[171:172], v[34:35], v[2:3], -v[171:172]
	v_fma_f64 v[175:176], v[36:37], v[2:3], v[4:5]
	ds_load_b128 v[2:5], v1 offset:1040
	scratch_load_b128 v[34:37], off, off offset:528
	v_fma_f64 v[173:174], v[165:166], v[6:7], v[173:174]
	v_fma_f64 v[179:180], v[163:164], v[6:7], -v[8:9]
	ds_load_b128 v[6:9], v1 offset:1056
	scratch_load_b128 v[163:166], off, off offset:544
	s_waitcnt vmcnt(9) lgkmcnt(1)
	v_mul_f64 v[177:178], v[2:3], v[12:13]
	v_mul_f64 v[12:13], v[4:5], v[12:13]
	s_waitcnt vmcnt(8) lgkmcnt(0)
	v_mul_f64 v[181:182], v[6:7], v[16:17]
	v_mul_f64 v[16:17], v[8:9], v[16:17]
	v_add_f64 v[171:172], v[171:172], 0
	v_add_f64 v[175:176], v[175:176], 0
	v_fma_f64 v[177:178], v[4:5], v[10:11], v[177:178]
	v_fma_f64 v[183:184], v[2:3], v[10:11], -v[12:13]
	scratch_load_b128 v[10:13], off, off offset:560
	ds_load_b128 v[2:5], v1 offset:1072
	v_add_f64 v[171:172], v[171:172], v[179:180]
	v_add_f64 v[173:174], v[175:176], v[173:174]
	v_fma_f64 v[179:180], v[8:9], v[14:15], v[181:182]
	v_fma_f64 v[181:182], v[6:7], v[14:15], -v[16:17]
	ds_load_b128 v[6:9], v1 offset:1088
	scratch_load_b128 v[14:17], off, off offset:576
	s_waitcnt vmcnt(9) lgkmcnt(1)
	v_mul_f64 v[175:176], v[2:3], v[20:21]
	v_mul_f64 v[20:21], v[4:5], v[20:21]
	v_add_f64 v[171:172], v[171:172], v[183:184]
	v_add_f64 v[173:174], v[173:174], v[177:178]
	s_waitcnt vmcnt(8) lgkmcnt(0)
	v_mul_f64 v[177:178], v[6:7], v[24:25]
	v_mul_f64 v[24:25], v[8:9], v[24:25]
	v_fma_f64 v[175:176], v[4:5], v[18:19], v[175:176]
	v_fma_f64 v[183:184], v[2:3], v[18:19], -v[20:21]
	scratch_load_b128 v[18:21], off, off offset:592
	ds_load_b128 v[2:5], v1 offset:1104
	v_add_f64 v[171:172], v[171:172], v[181:182]
	v_add_f64 v[173:174], v[173:174], v[179:180]
	v_fma_f64 v[177:178], v[8:9], v[22:23], v[177:178]
	v_fma_f64 v[181:182], v[6:7], v[22:23], -v[24:25]
	ds_load_b128 v[6:9], v1 offset:1120
	s_waitcnt vmcnt(8) lgkmcnt(1)
	v_mul_f64 v[179:180], v[2:3], v[28:29]
	v_mul_f64 v[28:29], v[4:5], v[28:29]
	scratch_load_b128 v[22:25], off, off offset:608
	v_add_f64 v[171:172], v[171:172], v[183:184]
	v_add_f64 v[173:174], v[173:174], v[175:176]
	s_waitcnt vmcnt(8) lgkmcnt(0)
	v_mul_f64 v[175:176], v[6:7], v[32:33]
	v_mul_f64 v[32:33], v[8:9], v[32:33]
	v_fma_f64 v[179:180], v[4:5], v[26:27], v[179:180]
	v_fma_f64 v[183:184], v[2:3], v[26:27], -v[28:29]
	scratch_load_b128 v[26:29], off, off offset:624
	ds_load_b128 v[2:5], v1 offset:1136
	v_add_f64 v[171:172], v[171:172], v[181:182]
	v_add_f64 v[173:174], v[173:174], v[177:178]
	v_fma_f64 v[175:176], v[8:9], v[30:31], v[175:176]
	v_fma_f64 v[30:31], v[6:7], v[30:31], -v[32:33]
	ds_load_b128 v[6:9], v1 offset:1152
	s_waitcnt vmcnt(8) lgkmcnt(1)
	v_mul_f64 v[177:178], v[2:3], v[40:41]
	v_mul_f64 v[40:41], v[4:5], v[40:41]
	v_add_f64 v[32:33], v[171:172], v[183:184]
	v_add_f64 v[171:172], v[173:174], v[179:180]
	s_waitcnt vmcnt(7) lgkmcnt(0)
	v_mul_f64 v[173:174], v[6:7], v[169:170]
	v_mul_f64 v[169:170], v[8:9], v[169:170]
	v_fma_f64 v[177:178], v[4:5], v[38:39], v[177:178]
	v_fma_f64 v[38:39], v[2:3], v[38:39], -v[40:41]
	ds_load_b128 v[2:5], v1 offset:1168
	v_add_f64 v[30:31], v[32:33], v[30:31]
	v_add_f64 v[32:33], v[171:172], v[175:176]
	v_fma_f64 v[171:172], v[8:9], v[167:168], v[173:174]
	v_fma_f64 v[167:168], v[6:7], v[167:168], -v[169:170]
	ds_load_b128 v[6:9], v1 offset:1184
	s_waitcnt vmcnt(5) lgkmcnt(0)
	v_mul_f64 v[173:174], v[6:7], v[165:166]
	v_mul_f64 v[165:166], v[8:9], v[165:166]
	v_add_f64 v[38:39], v[30:31], v[38:39]
	v_add_f64 v[169:170], v[32:33], v[177:178]
	scratch_load_b128 v[30:33], off, off offset:352
	v_mul_f64 v[40:41], v[2:3], v[36:37]
	v_mul_f64 v[36:37], v[4:5], v[36:37]
	s_delay_alu instid0(VALU_DEP_2) | instskip(NEXT) | instid1(VALU_DEP_2)
	v_fma_f64 v[40:41], v[4:5], v[34:35], v[40:41]
	v_fma_f64 v[34:35], v[2:3], v[34:35], -v[36:37]
	v_add_f64 v[36:37], v[38:39], v[167:168]
	v_add_f64 v[38:39], v[169:170], v[171:172]
	ds_load_b128 v[2:5], v1 offset:1200
	v_fma_f64 v[169:170], v[8:9], v[163:164], v[173:174]
	v_fma_f64 v[163:164], v[6:7], v[163:164], -v[165:166]
	ds_load_b128 v[6:9], v1 offset:1216
	s_waitcnt vmcnt(5) lgkmcnt(1)
	v_mul_f64 v[167:168], v[2:3], v[12:13]
	v_mul_f64 v[12:13], v[4:5], v[12:13]
	v_add_f64 v[34:35], v[36:37], v[34:35]
	v_add_f64 v[36:37], v[38:39], v[40:41]
	s_waitcnt vmcnt(4) lgkmcnt(0)
	v_mul_f64 v[38:39], v[6:7], v[16:17]
	v_mul_f64 v[16:17], v[8:9], v[16:17]
	v_fma_f64 v[40:41], v[4:5], v[10:11], v[167:168]
	v_fma_f64 v[10:11], v[2:3], v[10:11], -v[12:13]
	ds_load_b128 v[2:5], v1 offset:1232
	v_add_f64 v[12:13], v[34:35], v[163:164]
	v_add_f64 v[34:35], v[36:37], v[169:170]
	v_fma_f64 v[38:39], v[8:9], v[14:15], v[38:39]
	v_fma_f64 v[14:15], v[6:7], v[14:15], -v[16:17]
	ds_load_b128 v[6:9], v1 offset:1248
	s_waitcnt vmcnt(3) lgkmcnt(1)
	v_mul_f64 v[36:37], v[2:3], v[20:21]
	v_mul_f64 v[20:21], v[4:5], v[20:21]
	s_waitcnt vmcnt(2) lgkmcnt(0)
	v_mul_f64 v[16:17], v[6:7], v[24:25]
	v_mul_f64 v[24:25], v[8:9], v[24:25]
	v_add_f64 v[10:11], v[12:13], v[10:11]
	v_add_f64 v[12:13], v[34:35], v[40:41]
	v_fma_f64 v[34:35], v[4:5], v[18:19], v[36:37]
	v_fma_f64 v[18:19], v[2:3], v[18:19], -v[20:21]
	ds_load_b128 v[2:5], v1 offset:1264
	v_fma_f64 v[8:9], v[8:9], v[22:23], v[16:17]
	v_fma_f64 v[6:7], v[6:7], v[22:23], -v[24:25]
	s_waitcnt vmcnt(1) lgkmcnt(0)
	v_mul_f64 v[20:21], v[4:5], v[28:29]
	v_add_f64 v[10:11], v[10:11], v[14:15]
	v_add_f64 v[12:13], v[12:13], v[38:39]
	v_mul_f64 v[14:15], v[2:3], v[28:29]
	s_delay_alu instid0(VALU_DEP_4) | instskip(NEXT) | instid1(VALU_DEP_4)
	v_fma_f64 v[2:3], v[2:3], v[26:27], -v[20:21]
	v_add_f64 v[10:11], v[10:11], v[18:19]
	s_delay_alu instid0(VALU_DEP_4) | instskip(NEXT) | instid1(VALU_DEP_4)
	v_add_f64 v[12:13], v[12:13], v[34:35]
	v_fma_f64 v[4:5], v[4:5], v[26:27], v[14:15]
	s_delay_alu instid0(VALU_DEP_3) | instskip(NEXT) | instid1(VALU_DEP_3)
	v_add_f64 v[6:7], v[10:11], v[6:7]
	v_add_f64 v[8:9], v[12:13], v[8:9]
	s_delay_alu instid0(VALU_DEP_2) | instskip(NEXT) | instid1(VALU_DEP_2)
	v_add_f64 v[2:3], v[6:7], v[2:3]
	v_add_f64 v[4:5], v[8:9], v[4:5]
	s_waitcnt vmcnt(0)
	s_delay_alu instid0(VALU_DEP_2) | instskip(NEXT) | instid1(VALU_DEP_2)
	v_add_f64 v[2:3], v[30:31], -v[2:3]
	v_add_f64 v[4:5], v[32:33], -v[4:5]
	scratch_store_b128 off, v[2:5], off offset:352
	v_cmpx_lt_u32_e32 21, v122
	s_cbranch_execz .LBB103_211
; %bb.210:
	scratch_load_b128 v[5:8], v145, off
	v_mov_b32_e32 v2, v1
	v_mov_b32_e32 v3, v1
	;; [unrolled: 1-line block ×3, first 2 shown]
	scratch_store_b128 off, v[1:4], off offset:336
	s_waitcnt vmcnt(0)
	ds_store_b128 v162, v[5:8]
.LBB103_211:
	s_or_b32 exec_lo, exec_lo, s2
	s_waitcnt lgkmcnt(0)
	s_waitcnt_vscnt null, 0x0
	s_barrier
	buffer_gl0_inv
	s_clause 0x7
	scratch_load_b128 v[2:5], off, off offset:352
	scratch_load_b128 v[6:9], off, off offset:368
	;; [unrolled: 1-line block ×8, first 2 shown]
	ds_load_b128 v[34:37], v1 offset:992
	ds_load_b128 v[163:166], v1 offset:1008
	s_clause 0x1
	scratch_load_b128 v[38:41], off, off offset:480
	scratch_load_b128 v[167:170], off, off offset:496
	s_mov_b32 s2, exec_lo
	s_waitcnt vmcnt(9) lgkmcnt(1)
	v_mul_f64 v[171:172], v[36:37], v[4:5]
	v_mul_f64 v[4:5], v[34:35], v[4:5]
	s_waitcnt vmcnt(8) lgkmcnt(0)
	v_mul_f64 v[173:174], v[163:164], v[8:9]
	v_mul_f64 v[8:9], v[165:166], v[8:9]
	s_delay_alu instid0(VALU_DEP_4) | instskip(NEXT) | instid1(VALU_DEP_4)
	v_fma_f64 v[171:172], v[34:35], v[2:3], -v[171:172]
	v_fma_f64 v[175:176], v[36:37], v[2:3], v[4:5]
	scratch_load_b128 v[34:37], off, off offset:512
	ds_load_b128 v[2:5], v1 offset:1024
	v_fma_f64 v[173:174], v[165:166], v[6:7], v[173:174]
	v_fma_f64 v[179:180], v[163:164], v[6:7], -v[8:9]
	ds_load_b128 v[6:9], v1 offset:1040
	scratch_load_b128 v[163:166], off, off offset:528
	s_waitcnt vmcnt(9) lgkmcnt(1)
	v_mul_f64 v[177:178], v[2:3], v[12:13]
	v_mul_f64 v[12:13], v[4:5], v[12:13]
	s_waitcnt vmcnt(8) lgkmcnt(0)
	v_mul_f64 v[181:182], v[6:7], v[16:17]
	v_mul_f64 v[16:17], v[8:9], v[16:17]
	v_add_f64 v[171:172], v[171:172], 0
	v_add_f64 v[175:176], v[175:176], 0
	v_fma_f64 v[177:178], v[4:5], v[10:11], v[177:178]
	v_fma_f64 v[183:184], v[2:3], v[10:11], -v[12:13]
	scratch_load_b128 v[10:13], off, off offset:544
	ds_load_b128 v[2:5], v1 offset:1056
	v_add_f64 v[171:172], v[171:172], v[179:180]
	v_add_f64 v[173:174], v[175:176], v[173:174]
	v_fma_f64 v[179:180], v[8:9], v[14:15], v[181:182]
	v_fma_f64 v[181:182], v[6:7], v[14:15], -v[16:17]
	ds_load_b128 v[6:9], v1 offset:1072
	scratch_load_b128 v[14:17], off, off offset:560
	s_waitcnt vmcnt(9) lgkmcnt(1)
	v_mul_f64 v[175:176], v[2:3], v[20:21]
	v_mul_f64 v[20:21], v[4:5], v[20:21]
	v_add_f64 v[171:172], v[171:172], v[183:184]
	v_add_f64 v[173:174], v[173:174], v[177:178]
	s_waitcnt vmcnt(8) lgkmcnt(0)
	v_mul_f64 v[177:178], v[6:7], v[24:25]
	v_mul_f64 v[24:25], v[8:9], v[24:25]
	v_fma_f64 v[175:176], v[4:5], v[18:19], v[175:176]
	v_fma_f64 v[183:184], v[2:3], v[18:19], -v[20:21]
	scratch_load_b128 v[18:21], off, off offset:576
	ds_load_b128 v[2:5], v1 offset:1088
	v_add_f64 v[171:172], v[171:172], v[181:182]
	v_add_f64 v[173:174], v[173:174], v[179:180]
	v_fma_f64 v[177:178], v[8:9], v[22:23], v[177:178]
	v_fma_f64 v[181:182], v[6:7], v[22:23], -v[24:25]
	ds_load_b128 v[6:9], v1 offset:1104
	s_waitcnt vmcnt(8) lgkmcnt(1)
	v_mul_f64 v[179:180], v[2:3], v[28:29]
	v_mul_f64 v[28:29], v[4:5], v[28:29]
	scratch_load_b128 v[22:25], off, off offset:592
	v_add_f64 v[171:172], v[171:172], v[183:184]
	v_add_f64 v[173:174], v[173:174], v[175:176]
	s_waitcnt vmcnt(8) lgkmcnt(0)
	v_mul_f64 v[175:176], v[6:7], v[32:33]
	v_mul_f64 v[32:33], v[8:9], v[32:33]
	v_fma_f64 v[179:180], v[4:5], v[26:27], v[179:180]
	v_fma_f64 v[183:184], v[2:3], v[26:27], -v[28:29]
	scratch_load_b128 v[26:29], off, off offset:608
	ds_load_b128 v[2:5], v1 offset:1120
	v_add_f64 v[171:172], v[171:172], v[181:182]
	v_add_f64 v[173:174], v[173:174], v[177:178]
	v_fma_f64 v[175:176], v[8:9], v[30:31], v[175:176]
	v_fma_f64 v[181:182], v[6:7], v[30:31], -v[32:33]
	ds_load_b128 v[6:9], v1 offset:1136
	s_waitcnt vmcnt(8) lgkmcnt(1)
	v_mul_f64 v[177:178], v[2:3], v[40:41]
	v_mul_f64 v[40:41], v[4:5], v[40:41]
	scratch_load_b128 v[30:33], off, off offset:624
	v_add_f64 v[171:172], v[171:172], v[183:184]
	v_add_f64 v[173:174], v[173:174], v[179:180]
	v_fma_f64 v[177:178], v[4:5], v[38:39], v[177:178]
	v_fma_f64 v[38:39], v[2:3], v[38:39], -v[40:41]
	ds_load_b128 v[2:5], v1 offset:1152
	v_add_f64 v[40:41], v[171:172], v[181:182]
	v_add_f64 v[171:172], v[173:174], v[175:176]
	s_waitcnt vmcnt(7) lgkmcnt(0)
	v_mul_f64 v[173:174], v[2:3], v[36:37]
	v_mul_f64 v[36:37], v[4:5], v[36:37]
	s_delay_alu instid0(VALU_DEP_4) | instskip(NEXT) | instid1(VALU_DEP_4)
	v_add_f64 v[38:39], v[40:41], v[38:39]
	v_add_f64 v[40:41], v[171:172], v[177:178]
	s_delay_alu instid0(VALU_DEP_4) | instskip(NEXT) | instid1(VALU_DEP_4)
	v_fma_f64 v[171:172], v[4:5], v[34:35], v[173:174]
	v_fma_f64 v[173:174], v[2:3], v[34:35], -v[36:37]
	scratch_load_b128 v[34:37], off, off offset:336
	v_mul_f64 v[179:180], v[6:7], v[169:170]
	v_mul_f64 v[169:170], v[8:9], v[169:170]
	ds_load_b128 v[2:5], v1 offset:1184
	v_fma_f64 v[175:176], v[8:9], v[167:168], v[179:180]
	v_fma_f64 v[167:168], v[6:7], v[167:168], -v[169:170]
	ds_load_b128 v[6:9], v1 offset:1168
	s_waitcnt vmcnt(7) lgkmcnt(0)
	v_mul_f64 v[169:170], v[6:7], v[165:166]
	v_mul_f64 v[165:166], v[8:9], v[165:166]
	v_add_f64 v[40:41], v[40:41], v[175:176]
	v_add_f64 v[38:39], v[38:39], v[167:168]
	s_waitcnt vmcnt(6)
	v_mul_f64 v[167:168], v[2:3], v[12:13]
	v_mul_f64 v[12:13], v[4:5], v[12:13]
	v_fma_f64 v[169:170], v[8:9], v[163:164], v[169:170]
	v_fma_f64 v[163:164], v[6:7], v[163:164], -v[165:166]
	ds_load_b128 v[6:9], v1 offset:1200
	v_add_f64 v[40:41], v[40:41], v[171:172]
	v_add_f64 v[38:39], v[38:39], v[173:174]
	v_fma_f64 v[167:168], v[4:5], v[10:11], v[167:168]
	v_fma_f64 v[10:11], v[2:3], v[10:11], -v[12:13]
	ds_load_b128 v[2:5], v1 offset:1216
	s_waitcnt vmcnt(5) lgkmcnt(1)
	v_mul_f64 v[165:166], v[6:7], v[16:17]
	v_mul_f64 v[16:17], v[8:9], v[16:17]
	v_add_f64 v[12:13], v[38:39], v[163:164]
	v_add_f64 v[38:39], v[40:41], v[169:170]
	s_waitcnt vmcnt(4) lgkmcnt(0)
	v_mul_f64 v[40:41], v[2:3], v[20:21]
	v_mul_f64 v[20:21], v[4:5], v[20:21]
	v_fma_f64 v[163:164], v[8:9], v[14:15], v[165:166]
	v_fma_f64 v[14:15], v[6:7], v[14:15], -v[16:17]
	ds_load_b128 v[6:9], v1 offset:1232
	v_add_f64 v[10:11], v[12:13], v[10:11]
	v_add_f64 v[12:13], v[38:39], v[167:168]
	v_fma_f64 v[38:39], v[4:5], v[18:19], v[40:41]
	v_fma_f64 v[18:19], v[2:3], v[18:19], -v[20:21]
	ds_load_b128 v[2:5], v1 offset:1248
	s_waitcnt vmcnt(3) lgkmcnt(1)
	v_mul_f64 v[16:17], v[6:7], v[24:25]
	v_mul_f64 v[24:25], v[8:9], v[24:25]
	s_waitcnt vmcnt(2) lgkmcnt(0)
	v_mul_f64 v[20:21], v[4:5], v[28:29]
	v_add_f64 v[10:11], v[10:11], v[14:15]
	v_add_f64 v[12:13], v[12:13], v[163:164]
	v_mul_f64 v[14:15], v[2:3], v[28:29]
	v_fma_f64 v[16:17], v[8:9], v[22:23], v[16:17]
	v_fma_f64 v[22:23], v[6:7], v[22:23], -v[24:25]
	ds_load_b128 v[6:9], v1 offset:1264
	v_fma_f64 v[1:2], v[2:3], v[26:27], -v[20:21]
	s_waitcnt vmcnt(1) lgkmcnt(0)
	v_mul_f64 v[24:25], v[8:9], v[32:33]
	v_add_f64 v[10:11], v[10:11], v[18:19]
	v_add_f64 v[12:13], v[12:13], v[38:39]
	v_mul_f64 v[18:19], v[6:7], v[32:33]
	v_fma_f64 v[4:5], v[4:5], v[26:27], v[14:15]
	v_fma_f64 v[6:7], v[6:7], v[30:31], -v[24:25]
	v_add_f64 v[10:11], v[10:11], v[22:23]
	v_add_f64 v[12:13], v[12:13], v[16:17]
	v_fma_f64 v[8:9], v[8:9], v[30:31], v[18:19]
	s_delay_alu instid0(VALU_DEP_3) | instskip(NEXT) | instid1(VALU_DEP_3)
	v_add_f64 v[1:2], v[10:11], v[1:2]
	v_add_f64 v[3:4], v[12:13], v[4:5]
	s_delay_alu instid0(VALU_DEP_2) | instskip(NEXT) | instid1(VALU_DEP_2)
	v_add_f64 v[1:2], v[1:2], v[6:7]
	v_add_f64 v[3:4], v[3:4], v[8:9]
	s_waitcnt vmcnt(0)
	s_delay_alu instid0(VALU_DEP_2) | instskip(NEXT) | instid1(VALU_DEP_2)
	v_add_f64 v[1:2], v[34:35], -v[1:2]
	v_add_f64 v[3:4], v[36:37], -v[3:4]
	scratch_store_b128 off, v[1:4], off offset:336
	v_cmpx_lt_u32_e32 20, v122
	s_cbranch_execz .LBB103_213
; %bb.212:
	scratch_load_b128 v[1:4], v146, off
	v_mov_b32_e32 v5, 0
	s_delay_alu instid0(VALU_DEP_1)
	v_mov_b32_e32 v6, v5
	v_mov_b32_e32 v7, v5
	;; [unrolled: 1-line block ×3, first 2 shown]
	scratch_store_b128 off, v[5:8], off offset:320
	s_waitcnt vmcnt(0)
	ds_store_b128 v162, v[1:4]
.LBB103_213:
	s_or_b32 exec_lo, exec_lo, s2
	s_waitcnt lgkmcnt(0)
	s_waitcnt_vscnt null, 0x0
	s_barrier
	buffer_gl0_inv
	s_clause 0x7
	scratch_load_b128 v[2:5], off, off offset:336
	scratch_load_b128 v[6:9], off, off offset:352
	;; [unrolled: 1-line block ×8, first 2 shown]
	v_mov_b32_e32 v1, 0
	s_clause 0x1
	scratch_load_b128 v[38:41], off, off offset:464
	scratch_load_b128 v[167:170], off, off offset:480
	s_mov_b32 s2, exec_lo
	ds_load_b128 v[34:37], v1 offset:976
	ds_load_b128 v[163:166], v1 offset:992
	s_waitcnt vmcnt(9) lgkmcnt(1)
	v_mul_f64 v[171:172], v[36:37], v[4:5]
	v_mul_f64 v[4:5], v[34:35], v[4:5]
	s_waitcnt vmcnt(8) lgkmcnt(0)
	v_mul_f64 v[173:174], v[163:164], v[8:9]
	v_mul_f64 v[8:9], v[165:166], v[8:9]
	s_delay_alu instid0(VALU_DEP_4) | instskip(NEXT) | instid1(VALU_DEP_4)
	v_fma_f64 v[171:172], v[34:35], v[2:3], -v[171:172]
	v_fma_f64 v[175:176], v[36:37], v[2:3], v[4:5]
	ds_load_b128 v[2:5], v1 offset:1008
	scratch_load_b128 v[34:37], off, off offset:496
	v_fma_f64 v[173:174], v[165:166], v[6:7], v[173:174]
	v_fma_f64 v[179:180], v[163:164], v[6:7], -v[8:9]
	scratch_load_b128 v[163:166], off, off offset:512
	ds_load_b128 v[6:9], v1 offset:1024
	s_waitcnt vmcnt(9) lgkmcnt(1)
	v_mul_f64 v[177:178], v[2:3], v[12:13]
	v_mul_f64 v[12:13], v[4:5], v[12:13]
	s_waitcnt vmcnt(8) lgkmcnt(0)
	v_mul_f64 v[181:182], v[6:7], v[16:17]
	v_mul_f64 v[16:17], v[8:9], v[16:17]
	v_add_f64 v[171:172], v[171:172], 0
	v_add_f64 v[175:176], v[175:176], 0
	v_fma_f64 v[177:178], v[4:5], v[10:11], v[177:178]
	v_fma_f64 v[183:184], v[2:3], v[10:11], -v[12:13]
	ds_load_b128 v[2:5], v1 offset:1040
	scratch_load_b128 v[10:13], off, off offset:528
	v_add_f64 v[171:172], v[171:172], v[179:180]
	v_add_f64 v[173:174], v[175:176], v[173:174]
	v_fma_f64 v[179:180], v[8:9], v[14:15], v[181:182]
	v_fma_f64 v[181:182], v[6:7], v[14:15], -v[16:17]
	ds_load_b128 v[6:9], v1 offset:1056
	scratch_load_b128 v[14:17], off, off offset:544
	s_waitcnt vmcnt(9) lgkmcnt(1)
	v_mul_f64 v[175:176], v[2:3], v[20:21]
	v_mul_f64 v[20:21], v[4:5], v[20:21]
	v_add_f64 v[171:172], v[171:172], v[183:184]
	v_add_f64 v[173:174], v[173:174], v[177:178]
	s_waitcnt vmcnt(8) lgkmcnt(0)
	v_mul_f64 v[177:178], v[6:7], v[24:25]
	v_mul_f64 v[24:25], v[8:9], v[24:25]
	v_fma_f64 v[175:176], v[4:5], v[18:19], v[175:176]
	v_fma_f64 v[183:184], v[2:3], v[18:19], -v[20:21]
	scratch_load_b128 v[18:21], off, off offset:560
	ds_load_b128 v[2:5], v1 offset:1072
	v_add_f64 v[171:172], v[171:172], v[181:182]
	v_add_f64 v[173:174], v[173:174], v[179:180]
	v_fma_f64 v[177:178], v[8:9], v[22:23], v[177:178]
	v_fma_f64 v[181:182], v[6:7], v[22:23], -v[24:25]
	ds_load_b128 v[6:9], v1 offset:1088
	s_waitcnt vmcnt(8) lgkmcnt(1)
	v_mul_f64 v[179:180], v[2:3], v[28:29]
	v_mul_f64 v[28:29], v[4:5], v[28:29]
	scratch_load_b128 v[22:25], off, off offset:576
	v_add_f64 v[171:172], v[171:172], v[183:184]
	v_add_f64 v[173:174], v[173:174], v[175:176]
	s_waitcnt vmcnt(8) lgkmcnt(0)
	v_mul_f64 v[175:176], v[6:7], v[32:33]
	v_mul_f64 v[32:33], v[8:9], v[32:33]
	v_fma_f64 v[179:180], v[4:5], v[26:27], v[179:180]
	v_fma_f64 v[183:184], v[2:3], v[26:27], -v[28:29]
	scratch_load_b128 v[26:29], off, off offset:592
	ds_load_b128 v[2:5], v1 offset:1104
	v_add_f64 v[171:172], v[171:172], v[181:182]
	v_add_f64 v[173:174], v[173:174], v[177:178]
	v_fma_f64 v[175:176], v[8:9], v[30:31], v[175:176]
	v_fma_f64 v[181:182], v[6:7], v[30:31], -v[32:33]
	ds_load_b128 v[6:9], v1 offset:1120
	s_waitcnt vmcnt(8) lgkmcnt(1)
	v_mul_f64 v[177:178], v[2:3], v[40:41]
	v_mul_f64 v[40:41], v[4:5], v[40:41]
	scratch_load_b128 v[30:33], off, off offset:608
	v_add_f64 v[171:172], v[171:172], v[183:184]
	v_add_f64 v[173:174], v[173:174], v[179:180]
	s_waitcnt vmcnt(8) lgkmcnt(0)
	v_mul_f64 v[179:180], v[6:7], v[169:170]
	v_mul_f64 v[169:170], v[8:9], v[169:170]
	v_fma_f64 v[177:178], v[4:5], v[38:39], v[177:178]
	v_fma_f64 v[183:184], v[2:3], v[38:39], -v[40:41]
	scratch_load_b128 v[38:41], off, off offset:624
	ds_load_b128 v[2:5], v1 offset:1136
	v_add_f64 v[171:172], v[171:172], v[181:182]
	v_add_f64 v[173:174], v[173:174], v[175:176]
	v_fma_f64 v[179:180], v[8:9], v[167:168], v[179:180]
	v_fma_f64 v[167:168], v[6:7], v[167:168], -v[169:170]
	ds_load_b128 v[6:9], v1 offset:1152
	s_waitcnt vmcnt(8) lgkmcnt(1)
	v_mul_f64 v[175:176], v[2:3], v[36:37]
	v_mul_f64 v[36:37], v[4:5], v[36:37]
	v_add_f64 v[169:170], v[171:172], v[183:184]
	v_add_f64 v[171:172], v[173:174], v[177:178]
	s_waitcnt vmcnt(7) lgkmcnt(0)
	v_mul_f64 v[173:174], v[6:7], v[165:166]
	v_mul_f64 v[165:166], v[8:9], v[165:166]
	v_fma_f64 v[175:176], v[4:5], v[34:35], v[175:176]
	v_fma_f64 v[34:35], v[2:3], v[34:35], -v[36:37]
	ds_load_b128 v[2:5], v1 offset:1168
	v_add_f64 v[36:37], v[169:170], v[167:168]
	v_add_f64 v[167:168], v[171:172], v[179:180]
	v_fma_f64 v[171:172], v[8:9], v[163:164], v[173:174]
	v_fma_f64 v[163:164], v[6:7], v[163:164], -v[165:166]
	ds_load_b128 v[6:9], v1 offset:1184
	s_waitcnt vmcnt(5) lgkmcnt(0)
	v_mul_f64 v[173:174], v[6:7], v[16:17]
	v_mul_f64 v[16:17], v[8:9], v[16:17]
	v_add_f64 v[165:166], v[36:37], v[34:35]
	v_add_f64 v[167:168], v[167:168], v[175:176]
	scratch_load_b128 v[34:37], off, off offset:320
	v_mul_f64 v[169:170], v[2:3], v[12:13]
	v_mul_f64 v[12:13], v[4:5], v[12:13]
	s_delay_alu instid0(VALU_DEP_2) | instskip(NEXT) | instid1(VALU_DEP_2)
	v_fma_f64 v[169:170], v[4:5], v[10:11], v[169:170]
	v_fma_f64 v[10:11], v[2:3], v[10:11], -v[12:13]
	v_add_f64 v[12:13], v[165:166], v[163:164]
	v_add_f64 v[163:164], v[167:168], v[171:172]
	ds_load_b128 v[2:5], v1 offset:1200
	v_fma_f64 v[167:168], v[8:9], v[14:15], v[173:174]
	v_fma_f64 v[14:15], v[6:7], v[14:15], -v[16:17]
	ds_load_b128 v[6:9], v1 offset:1216
	s_waitcnt vmcnt(5) lgkmcnt(1)
	v_mul_f64 v[165:166], v[2:3], v[20:21]
	v_mul_f64 v[20:21], v[4:5], v[20:21]
	s_waitcnt vmcnt(4) lgkmcnt(0)
	v_mul_f64 v[16:17], v[6:7], v[24:25]
	v_mul_f64 v[24:25], v[8:9], v[24:25]
	v_add_f64 v[10:11], v[12:13], v[10:11]
	v_add_f64 v[12:13], v[163:164], v[169:170]
	v_fma_f64 v[163:164], v[4:5], v[18:19], v[165:166]
	v_fma_f64 v[18:19], v[2:3], v[18:19], -v[20:21]
	ds_load_b128 v[2:5], v1 offset:1232
	v_fma_f64 v[16:17], v[8:9], v[22:23], v[16:17]
	v_fma_f64 v[22:23], v[6:7], v[22:23], -v[24:25]
	ds_load_b128 v[6:9], v1 offset:1248
	v_add_f64 v[10:11], v[10:11], v[14:15]
	v_add_f64 v[12:13], v[12:13], v[167:168]
	s_waitcnt vmcnt(3) lgkmcnt(1)
	v_mul_f64 v[14:15], v[2:3], v[28:29]
	v_mul_f64 v[20:21], v[4:5], v[28:29]
	s_waitcnt vmcnt(2) lgkmcnt(0)
	v_mul_f64 v[24:25], v[8:9], v[32:33]
	v_add_f64 v[10:11], v[10:11], v[18:19]
	v_add_f64 v[12:13], v[12:13], v[163:164]
	v_mul_f64 v[18:19], v[6:7], v[32:33]
	v_fma_f64 v[14:15], v[4:5], v[26:27], v[14:15]
	v_fma_f64 v[20:21], v[2:3], v[26:27], -v[20:21]
	ds_load_b128 v[2:5], v1 offset:1264
	v_fma_f64 v[6:7], v[6:7], v[30:31], -v[24:25]
	v_add_f64 v[10:11], v[10:11], v[22:23]
	v_add_f64 v[12:13], v[12:13], v[16:17]
	s_waitcnt vmcnt(1) lgkmcnt(0)
	v_mul_f64 v[16:17], v[2:3], v[40:41]
	v_mul_f64 v[22:23], v[4:5], v[40:41]
	v_fma_f64 v[8:9], v[8:9], v[30:31], v[18:19]
	v_add_f64 v[10:11], v[10:11], v[20:21]
	v_add_f64 v[12:13], v[12:13], v[14:15]
	v_fma_f64 v[4:5], v[4:5], v[38:39], v[16:17]
	v_fma_f64 v[2:3], v[2:3], v[38:39], -v[22:23]
	s_delay_alu instid0(VALU_DEP_4) | instskip(NEXT) | instid1(VALU_DEP_4)
	v_add_f64 v[6:7], v[10:11], v[6:7]
	v_add_f64 v[8:9], v[12:13], v[8:9]
	s_delay_alu instid0(VALU_DEP_2) | instskip(NEXT) | instid1(VALU_DEP_2)
	v_add_f64 v[2:3], v[6:7], v[2:3]
	v_add_f64 v[4:5], v[8:9], v[4:5]
	s_waitcnt vmcnt(0)
	s_delay_alu instid0(VALU_DEP_2) | instskip(NEXT) | instid1(VALU_DEP_2)
	v_add_f64 v[2:3], v[34:35], -v[2:3]
	v_add_f64 v[4:5], v[36:37], -v[4:5]
	scratch_store_b128 off, v[2:5], off offset:320
	v_cmpx_lt_u32_e32 19, v122
	s_cbranch_execz .LBB103_215
; %bb.214:
	scratch_load_b128 v[5:8], v147, off
	v_mov_b32_e32 v2, v1
	v_mov_b32_e32 v3, v1
	;; [unrolled: 1-line block ×3, first 2 shown]
	scratch_store_b128 off, v[1:4], off offset:304
	s_waitcnt vmcnt(0)
	ds_store_b128 v162, v[5:8]
.LBB103_215:
	s_or_b32 exec_lo, exec_lo, s2
	s_waitcnt lgkmcnt(0)
	s_waitcnt_vscnt null, 0x0
	s_barrier
	buffer_gl0_inv
	s_clause 0x7
	scratch_load_b128 v[2:5], off, off offset:320
	scratch_load_b128 v[6:9], off, off offset:336
	;; [unrolled: 1-line block ×8, first 2 shown]
	ds_load_b128 v[34:37], v1 offset:960
	ds_load_b128 v[163:166], v1 offset:976
	s_clause 0x1
	scratch_load_b128 v[38:41], off, off offset:448
	scratch_load_b128 v[167:170], off, off offset:464
	s_mov_b32 s2, exec_lo
	s_waitcnt vmcnt(9) lgkmcnt(1)
	v_mul_f64 v[171:172], v[36:37], v[4:5]
	v_mul_f64 v[4:5], v[34:35], v[4:5]
	s_waitcnt vmcnt(8) lgkmcnt(0)
	v_mul_f64 v[173:174], v[163:164], v[8:9]
	v_mul_f64 v[8:9], v[165:166], v[8:9]
	s_delay_alu instid0(VALU_DEP_4) | instskip(NEXT) | instid1(VALU_DEP_4)
	v_fma_f64 v[171:172], v[34:35], v[2:3], -v[171:172]
	v_fma_f64 v[175:176], v[36:37], v[2:3], v[4:5]
	ds_load_b128 v[2:5], v1 offset:992
	scratch_load_b128 v[34:37], off, off offset:480
	v_fma_f64 v[173:174], v[165:166], v[6:7], v[173:174]
	v_fma_f64 v[179:180], v[163:164], v[6:7], -v[8:9]
	ds_load_b128 v[6:9], v1 offset:1008
	scratch_load_b128 v[163:166], off, off offset:496
	s_waitcnt vmcnt(9) lgkmcnt(1)
	v_mul_f64 v[177:178], v[2:3], v[12:13]
	v_mul_f64 v[12:13], v[4:5], v[12:13]
	s_waitcnt vmcnt(8) lgkmcnt(0)
	v_mul_f64 v[181:182], v[6:7], v[16:17]
	v_mul_f64 v[16:17], v[8:9], v[16:17]
	v_add_f64 v[171:172], v[171:172], 0
	v_add_f64 v[175:176], v[175:176], 0
	v_fma_f64 v[177:178], v[4:5], v[10:11], v[177:178]
	v_fma_f64 v[183:184], v[2:3], v[10:11], -v[12:13]
	scratch_load_b128 v[10:13], off, off offset:512
	ds_load_b128 v[2:5], v1 offset:1024
	v_add_f64 v[171:172], v[171:172], v[179:180]
	v_add_f64 v[173:174], v[175:176], v[173:174]
	v_fma_f64 v[179:180], v[8:9], v[14:15], v[181:182]
	v_fma_f64 v[181:182], v[6:7], v[14:15], -v[16:17]
	ds_load_b128 v[6:9], v1 offset:1040
	scratch_load_b128 v[14:17], off, off offset:528
	s_waitcnt vmcnt(9) lgkmcnt(1)
	v_mul_f64 v[175:176], v[2:3], v[20:21]
	v_mul_f64 v[20:21], v[4:5], v[20:21]
	v_add_f64 v[171:172], v[171:172], v[183:184]
	v_add_f64 v[173:174], v[173:174], v[177:178]
	s_waitcnt vmcnt(8) lgkmcnt(0)
	v_mul_f64 v[177:178], v[6:7], v[24:25]
	v_mul_f64 v[24:25], v[8:9], v[24:25]
	v_fma_f64 v[175:176], v[4:5], v[18:19], v[175:176]
	v_fma_f64 v[183:184], v[2:3], v[18:19], -v[20:21]
	scratch_load_b128 v[18:21], off, off offset:544
	ds_load_b128 v[2:5], v1 offset:1056
	v_add_f64 v[171:172], v[171:172], v[181:182]
	v_add_f64 v[173:174], v[173:174], v[179:180]
	v_fma_f64 v[177:178], v[8:9], v[22:23], v[177:178]
	v_fma_f64 v[181:182], v[6:7], v[22:23], -v[24:25]
	ds_load_b128 v[6:9], v1 offset:1072
	s_waitcnt vmcnt(8) lgkmcnt(1)
	v_mul_f64 v[179:180], v[2:3], v[28:29]
	v_mul_f64 v[28:29], v[4:5], v[28:29]
	scratch_load_b128 v[22:25], off, off offset:560
	v_add_f64 v[171:172], v[171:172], v[183:184]
	v_add_f64 v[173:174], v[173:174], v[175:176]
	s_waitcnt vmcnt(8) lgkmcnt(0)
	v_mul_f64 v[175:176], v[6:7], v[32:33]
	v_mul_f64 v[32:33], v[8:9], v[32:33]
	v_fma_f64 v[179:180], v[4:5], v[26:27], v[179:180]
	v_fma_f64 v[183:184], v[2:3], v[26:27], -v[28:29]
	scratch_load_b128 v[26:29], off, off offset:576
	ds_load_b128 v[2:5], v1 offset:1088
	v_add_f64 v[171:172], v[171:172], v[181:182]
	v_add_f64 v[173:174], v[173:174], v[177:178]
	v_fma_f64 v[175:176], v[8:9], v[30:31], v[175:176]
	v_fma_f64 v[181:182], v[6:7], v[30:31], -v[32:33]
	ds_load_b128 v[6:9], v1 offset:1104
	s_waitcnt vmcnt(8) lgkmcnt(1)
	v_mul_f64 v[177:178], v[2:3], v[40:41]
	v_mul_f64 v[40:41], v[4:5], v[40:41]
	scratch_load_b128 v[30:33], off, off offset:592
	v_add_f64 v[171:172], v[171:172], v[183:184]
	v_add_f64 v[173:174], v[173:174], v[179:180]
	s_waitcnt vmcnt(8) lgkmcnt(0)
	v_mul_f64 v[179:180], v[6:7], v[169:170]
	v_mul_f64 v[169:170], v[8:9], v[169:170]
	v_fma_f64 v[177:178], v[4:5], v[38:39], v[177:178]
	v_fma_f64 v[183:184], v[2:3], v[38:39], -v[40:41]
	scratch_load_b128 v[38:41], off, off offset:608
	ds_load_b128 v[2:5], v1 offset:1120
	v_add_f64 v[171:172], v[171:172], v[181:182]
	v_add_f64 v[173:174], v[173:174], v[175:176]
	v_fma_f64 v[179:180], v[8:9], v[167:168], v[179:180]
	v_fma_f64 v[181:182], v[6:7], v[167:168], -v[169:170]
	ds_load_b128 v[6:9], v1 offset:1136
	scratch_load_b128 v[167:170], off, off offset:624
	s_waitcnt vmcnt(9) lgkmcnt(1)
	v_mul_f64 v[175:176], v[2:3], v[36:37]
	v_mul_f64 v[36:37], v[4:5], v[36:37]
	v_add_f64 v[171:172], v[171:172], v[183:184]
	v_add_f64 v[173:174], v[173:174], v[177:178]
	s_delay_alu instid0(VALU_DEP_4) | instskip(NEXT) | instid1(VALU_DEP_4)
	v_fma_f64 v[175:176], v[4:5], v[34:35], v[175:176]
	v_fma_f64 v[34:35], v[2:3], v[34:35], -v[36:37]
	ds_load_b128 v[2:5], v1 offset:1152
	v_add_f64 v[36:37], v[171:172], v[181:182]
	v_add_f64 v[171:172], v[173:174], v[179:180]
	s_waitcnt vmcnt(7) lgkmcnt(0)
	v_mul_f64 v[173:174], v[2:3], v[12:13]
	v_mul_f64 v[12:13], v[4:5], v[12:13]
	s_delay_alu instid0(VALU_DEP_4) | instskip(NEXT) | instid1(VALU_DEP_4)
	v_add_f64 v[34:35], v[36:37], v[34:35]
	v_add_f64 v[36:37], v[171:172], v[175:176]
	s_delay_alu instid0(VALU_DEP_4) | instskip(NEXT) | instid1(VALU_DEP_4)
	v_fma_f64 v[171:172], v[4:5], v[10:11], v[173:174]
	v_fma_f64 v[173:174], v[2:3], v[10:11], -v[12:13]
	scratch_load_b128 v[10:13], off, off offset:304
	v_mul_f64 v[177:178], v[6:7], v[165:166]
	v_mul_f64 v[165:166], v[8:9], v[165:166]
	ds_load_b128 v[2:5], v1 offset:1184
	v_fma_f64 v[177:178], v[8:9], v[163:164], v[177:178]
	v_fma_f64 v[163:164], v[6:7], v[163:164], -v[165:166]
	ds_load_b128 v[6:9], v1 offset:1168
	s_waitcnt vmcnt(7) lgkmcnt(0)
	v_mul_f64 v[165:166], v[6:7], v[16:17]
	v_mul_f64 v[16:17], v[8:9], v[16:17]
	v_add_f64 v[36:37], v[36:37], v[177:178]
	v_add_f64 v[34:35], v[34:35], v[163:164]
	s_waitcnt vmcnt(6)
	v_mul_f64 v[163:164], v[2:3], v[20:21]
	v_mul_f64 v[20:21], v[4:5], v[20:21]
	v_fma_f64 v[165:166], v[8:9], v[14:15], v[165:166]
	v_fma_f64 v[14:15], v[6:7], v[14:15], -v[16:17]
	ds_load_b128 v[6:9], v1 offset:1200
	v_add_f64 v[16:17], v[34:35], v[173:174]
	v_add_f64 v[34:35], v[36:37], v[171:172]
	v_fma_f64 v[163:164], v[4:5], v[18:19], v[163:164]
	v_fma_f64 v[18:19], v[2:3], v[18:19], -v[20:21]
	ds_load_b128 v[2:5], v1 offset:1216
	s_waitcnt vmcnt(5) lgkmcnt(1)
	v_mul_f64 v[36:37], v[6:7], v[24:25]
	v_mul_f64 v[24:25], v[8:9], v[24:25]
	s_waitcnt vmcnt(4) lgkmcnt(0)
	v_mul_f64 v[20:21], v[2:3], v[28:29]
	v_mul_f64 v[28:29], v[4:5], v[28:29]
	v_add_f64 v[14:15], v[16:17], v[14:15]
	v_add_f64 v[16:17], v[34:35], v[165:166]
	v_fma_f64 v[34:35], v[8:9], v[22:23], v[36:37]
	v_fma_f64 v[22:23], v[6:7], v[22:23], -v[24:25]
	ds_load_b128 v[6:9], v1 offset:1232
	v_fma_f64 v[20:21], v[4:5], v[26:27], v[20:21]
	v_fma_f64 v[26:27], v[2:3], v[26:27], -v[28:29]
	ds_load_b128 v[2:5], v1 offset:1248
	s_waitcnt vmcnt(3) lgkmcnt(1)
	v_mul_f64 v[24:25], v[8:9], v[32:33]
	v_add_f64 v[14:15], v[14:15], v[18:19]
	v_add_f64 v[16:17], v[16:17], v[163:164]
	v_mul_f64 v[18:19], v[6:7], v[32:33]
	s_waitcnt vmcnt(2) lgkmcnt(0)
	v_mul_f64 v[28:29], v[4:5], v[40:41]
	v_fma_f64 v[24:25], v[6:7], v[30:31], -v[24:25]
	v_add_f64 v[14:15], v[14:15], v[22:23]
	v_add_f64 v[16:17], v[16:17], v[34:35]
	v_mul_f64 v[22:23], v[2:3], v[40:41]
	v_fma_f64 v[18:19], v[8:9], v[30:31], v[18:19]
	ds_load_b128 v[6:9], v1 offset:1264
	v_fma_f64 v[1:2], v[2:3], v[38:39], -v[28:29]
	v_add_f64 v[14:15], v[14:15], v[26:27]
	v_add_f64 v[16:17], v[16:17], v[20:21]
	s_waitcnt vmcnt(1) lgkmcnt(0)
	v_mul_f64 v[20:21], v[6:7], v[169:170]
	v_mul_f64 v[26:27], v[8:9], v[169:170]
	v_fma_f64 v[4:5], v[4:5], v[38:39], v[22:23]
	v_add_f64 v[14:15], v[14:15], v[24:25]
	v_add_f64 v[16:17], v[16:17], v[18:19]
	v_fma_f64 v[8:9], v[8:9], v[167:168], v[20:21]
	v_fma_f64 v[6:7], v[6:7], v[167:168], -v[26:27]
	s_delay_alu instid0(VALU_DEP_4) | instskip(NEXT) | instid1(VALU_DEP_4)
	v_add_f64 v[1:2], v[14:15], v[1:2]
	v_add_f64 v[3:4], v[16:17], v[4:5]
	s_delay_alu instid0(VALU_DEP_2) | instskip(NEXT) | instid1(VALU_DEP_2)
	v_add_f64 v[1:2], v[1:2], v[6:7]
	v_add_f64 v[3:4], v[3:4], v[8:9]
	s_waitcnt vmcnt(0)
	s_delay_alu instid0(VALU_DEP_2) | instskip(NEXT) | instid1(VALU_DEP_2)
	v_add_f64 v[1:2], v[10:11], -v[1:2]
	v_add_f64 v[3:4], v[12:13], -v[3:4]
	scratch_store_b128 off, v[1:4], off offset:304
	v_cmpx_lt_u32_e32 18, v122
	s_cbranch_execz .LBB103_217
; %bb.216:
	scratch_load_b128 v[1:4], v148, off
	v_mov_b32_e32 v5, 0
	s_delay_alu instid0(VALU_DEP_1)
	v_mov_b32_e32 v6, v5
	v_mov_b32_e32 v7, v5
	;; [unrolled: 1-line block ×3, first 2 shown]
	scratch_store_b128 off, v[5:8], off offset:288
	s_waitcnt vmcnt(0)
	ds_store_b128 v162, v[1:4]
.LBB103_217:
	s_or_b32 exec_lo, exec_lo, s2
	s_waitcnt lgkmcnt(0)
	s_waitcnt_vscnt null, 0x0
	s_barrier
	buffer_gl0_inv
	s_clause 0x7
	scratch_load_b128 v[2:5], off, off offset:304
	scratch_load_b128 v[6:9], off, off offset:320
	;; [unrolled: 1-line block ×8, first 2 shown]
	v_mov_b32_e32 v1, 0
	s_clause 0x1
	scratch_load_b128 v[38:41], off, off offset:432
	scratch_load_b128 v[167:170], off, off offset:448
	s_mov_b32 s2, exec_lo
	ds_load_b128 v[34:37], v1 offset:944
	ds_load_b128 v[163:166], v1 offset:960
	s_waitcnt vmcnt(9) lgkmcnt(1)
	v_mul_f64 v[171:172], v[36:37], v[4:5]
	v_mul_f64 v[4:5], v[34:35], v[4:5]
	s_waitcnt vmcnt(8) lgkmcnt(0)
	v_mul_f64 v[173:174], v[163:164], v[8:9]
	v_mul_f64 v[8:9], v[165:166], v[8:9]
	s_delay_alu instid0(VALU_DEP_4) | instskip(NEXT) | instid1(VALU_DEP_4)
	v_fma_f64 v[171:172], v[34:35], v[2:3], -v[171:172]
	v_fma_f64 v[175:176], v[36:37], v[2:3], v[4:5]
	ds_load_b128 v[2:5], v1 offset:976
	scratch_load_b128 v[34:37], off, off offset:464
	v_fma_f64 v[173:174], v[165:166], v[6:7], v[173:174]
	v_fma_f64 v[179:180], v[163:164], v[6:7], -v[8:9]
	scratch_load_b128 v[163:166], off, off offset:480
	ds_load_b128 v[6:9], v1 offset:992
	s_waitcnt vmcnt(9) lgkmcnt(1)
	v_mul_f64 v[177:178], v[2:3], v[12:13]
	v_mul_f64 v[12:13], v[4:5], v[12:13]
	s_waitcnt vmcnt(8) lgkmcnt(0)
	v_mul_f64 v[181:182], v[6:7], v[16:17]
	v_mul_f64 v[16:17], v[8:9], v[16:17]
	v_add_f64 v[171:172], v[171:172], 0
	v_add_f64 v[175:176], v[175:176], 0
	v_fma_f64 v[177:178], v[4:5], v[10:11], v[177:178]
	v_fma_f64 v[183:184], v[2:3], v[10:11], -v[12:13]
	ds_load_b128 v[2:5], v1 offset:1008
	scratch_load_b128 v[10:13], off, off offset:496
	v_add_f64 v[171:172], v[171:172], v[179:180]
	v_add_f64 v[173:174], v[175:176], v[173:174]
	v_fma_f64 v[179:180], v[8:9], v[14:15], v[181:182]
	v_fma_f64 v[181:182], v[6:7], v[14:15], -v[16:17]
	scratch_load_b128 v[14:17], off, off offset:512
	ds_load_b128 v[6:9], v1 offset:1024
	s_waitcnt vmcnt(9) lgkmcnt(1)
	v_mul_f64 v[175:176], v[2:3], v[20:21]
	v_mul_f64 v[20:21], v[4:5], v[20:21]
	v_add_f64 v[171:172], v[171:172], v[183:184]
	v_add_f64 v[173:174], v[173:174], v[177:178]
	s_waitcnt vmcnt(8) lgkmcnt(0)
	v_mul_f64 v[177:178], v[6:7], v[24:25]
	v_mul_f64 v[24:25], v[8:9], v[24:25]
	v_fma_f64 v[175:176], v[4:5], v[18:19], v[175:176]
	v_fma_f64 v[183:184], v[2:3], v[18:19], -v[20:21]
	ds_load_b128 v[2:5], v1 offset:1040
	scratch_load_b128 v[18:21], off, off offset:528
	v_add_f64 v[171:172], v[171:172], v[181:182]
	v_add_f64 v[173:174], v[173:174], v[179:180]
	v_fma_f64 v[177:178], v[8:9], v[22:23], v[177:178]
	v_fma_f64 v[181:182], v[6:7], v[22:23], -v[24:25]
	ds_load_b128 v[6:9], v1 offset:1056
	s_waitcnt vmcnt(8) lgkmcnt(1)
	v_mul_f64 v[179:180], v[2:3], v[28:29]
	v_mul_f64 v[28:29], v[4:5], v[28:29]
	scratch_load_b128 v[22:25], off, off offset:544
	v_add_f64 v[171:172], v[171:172], v[183:184]
	v_add_f64 v[173:174], v[173:174], v[175:176]
	s_waitcnt vmcnt(8) lgkmcnt(0)
	v_mul_f64 v[175:176], v[6:7], v[32:33]
	v_mul_f64 v[32:33], v[8:9], v[32:33]
	v_fma_f64 v[179:180], v[4:5], v[26:27], v[179:180]
	v_fma_f64 v[183:184], v[2:3], v[26:27], -v[28:29]
	scratch_load_b128 v[26:29], off, off offset:560
	ds_load_b128 v[2:5], v1 offset:1072
	v_add_f64 v[171:172], v[171:172], v[181:182]
	v_add_f64 v[173:174], v[173:174], v[177:178]
	v_fma_f64 v[175:176], v[8:9], v[30:31], v[175:176]
	v_fma_f64 v[181:182], v[6:7], v[30:31], -v[32:33]
	ds_load_b128 v[6:9], v1 offset:1088
	s_waitcnt vmcnt(8) lgkmcnt(1)
	v_mul_f64 v[177:178], v[2:3], v[40:41]
	v_mul_f64 v[40:41], v[4:5], v[40:41]
	scratch_load_b128 v[30:33], off, off offset:576
	v_add_f64 v[171:172], v[171:172], v[183:184]
	v_add_f64 v[173:174], v[173:174], v[179:180]
	s_waitcnt vmcnt(8) lgkmcnt(0)
	v_mul_f64 v[179:180], v[6:7], v[169:170]
	v_mul_f64 v[169:170], v[8:9], v[169:170]
	v_fma_f64 v[177:178], v[4:5], v[38:39], v[177:178]
	v_fma_f64 v[183:184], v[2:3], v[38:39], -v[40:41]
	scratch_load_b128 v[38:41], off, off offset:592
	ds_load_b128 v[2:5], v1 offset:1104
	v_add_f64 v[171:172], v[171:172], v[181:182]
	v_add_f64 v[173:174], v[173:174], v[175:176]
	v_fma_f64 v[179:180], v[8:9], v[167:168], v[179:180]
	v_fma_f64 v[181:182], v[6:7], v[167:168], -v[169:170]
	ds_load_b128 v[6:9], v1 offset:1120
	scratch_load_b128 v[167:170], off, off offset:608
	s_waitcnt vmcnt(9) lgkmcnt(1)
	v_mul_f64 v[175:176], v[2:3], v[36:37]
	v_mul_f64 v[36:37], v[4:5], v[36:37]
	v_add_f64 v[171:172], v[171:172], v[183:184]
	v_add_f64 v[173:174], v[173:174], v[177:178]
	s_waitcnt vmcnt(8) lgkmcnt(0)
	v_mul_f64 v[177:178], v[6:7], v[165:166]
	v_mul_f64 v[165:166], v[8:9], v[165:166]
	v_fma_f64 v[175:176], v[4:5], v[34:35], v[175:176]
	v_fma_f64 v[183:184], v[2:3], v[34:35], -v[36:37]
	scratch_load_b128 v[34:37], off, off offset:624
	ds_load_b128 v[2:5], v1 offset:1136
	v_add_f64 v[171:172], v[171:172], v[181:182]
	v_add_f64 v[173:174], v[173:174], v[179:180]
	v_fma_f64 v[177:178], v[8:9], v[163:164], v[177:178]
	v_fma_f64 v[163:164], v[6:7], v[163:164], -v[165:166]
	ds_load_b128 v[6:9], v1 offset:1152
	s_waitcnt vmcnt(8) lgkmcnt(1)
	v_mul_f64 v[179:180], v[2:3], v[12:13]
	v_mul_f64 v[12:13], v[4:5], v[12:13]
	v_add_f64 v[165:166], v[171:172], v[183:184]
	v_add_f64 v[171:172], v[173:174], v[175:176]
	s_waitcnt vmcnt(7) lgkmcnt(0)
	v_mul_f64 v[173:174], v[6:7], v[16:17]
	v_mul_f64 v[16:17], v[8:9], v[16:17]
	v_fma_f64 v[175:176], v[4:5], v[10:11], v[179:180]
	v_fma_f64 v[10:11], v[2:3], v[10:11], -v[12:13]
	ds_load_b128 v[2:5], v1 offset:1168
	v_add_f64 v[12:13], v[165:166], v[163:164]
	v_add_f64 v[163:164], v[171:172], v[177:178]
	v_fma_f64 v[171:172], v[8:9], v[14:15], v[173:174]
	v_fma_f64 v[14:15], v[6:7], v[14:15], -v[16:17]
	ds_load_b128 v[6:9], v1 offset:1184
	s_waitcnt vmcnt(5) lgkmcnt(0)
	v_mul_f64 v[173:174], v[6:7], v[24:25]
	v_mul_f64 v[24:25], v[8:9], v[24:25]
	v_add_f64 v[16:17], v[12:13], v[10:11]
	v_add_f64 v[163:164], v[163:164], v[175:176]
	scratch_load_b128 v[10:13], off, off offset:288
	v_mul_f64 v[165:166], v[2:3], v[20:21]
	v_mul_f64 v[20:21], v[4:5], v[20:21]
	v_add_f64 v[14:15], v[16:17], v[14:15]
	v_add_f64 v[16:17], v[163:164], v[171:172]
	v_fma_f64 v[163:164], v[8:9], v[22:23], v[173:174]
	v_fma_f64 v[165:166], v[4:5], v[18:19], v[165:166]
	v_fma_f64 v[18:19], v[2:3], v[18:19], -v[20:21]
	ds_load_b128 v[2:5], v1 offset:1200
	v_fma_f64 v[22:23], v[6:7], v[22:23], -v[24:25]
	ds_load_b128 v[6:9], v1 offset:1216
	s_waitcnt vmcnt(5) lgkmcnt(1)
	v_mul_f64 v[20:21], v[2:3], v[28:29]
	v_mul_f64 v[28:29], v[4:5], v[28:29]
	s_waitcnt vmcnt(4) lgkmcnt(0)
	v_mul_f64 v[24:25], v[8:9], v[32:33]
	v_add_f64 v[16:17], v[16:17], v[165:166]
	v_add_f64 v[14:15], v[14:15], v[18:19]
	v_mul_f64 v[18:19], v[6:7], v[32:33]
	v_fma_f64 v[20:21], v[4:5], v[26:27], v[20:21]
	v_fma_f64 v[26:27], v[2:3], v[26:27], -v[28:29]
	ds_load_b128 v[2:5], v1 offset:1232
	v_fma_f64 v[24:25], v[6:7], v[30:31], -v[24:25]
	v_add_f64 v[16:17], v[16:17], v[163:164]
	v_add_f64 v[14:15], v[14:15], v[22:23]
	v_fma_f64 v[18:19], v[8:9], v[30:31], v[18:19]
	ds_load_b128 v[6:9], v1 offset:1248
	s_waitcnt vmcnt(3) lgkmcnt(1)
	v_mul_f64 v[22:23], v[2:3], v[40:41]
	v_mul_f64 v[28:29], v[4:5], v[40:41]
	v_add_f64 v[16:17], v[16:17], v[20:21]
	v_add_f64 v[14:15], v[14:15], v[26:27]
	s_waitcnt vmcnt(2) lgkmcnt(0)
	v_mul_f64 v[20:21], v[6:7], v[169:170]
	v_mul_f64 v[26:27], v[8:9], v[169:170]
	v_fma_f64 v[22:23], v[4:5], v[38:39], v[22:23]
	v_fma_f64 v[28:29], v[2:3], v[38:39], -v[28:29]
	ds_load_b128 v[2:5], v1 offset:1264
	v_add_f64 v[16:17], v[16:17], v[18:19]
	v_add_f64 v[14:15], v[14:15], v[24:25]
	s_waitcnt vmcnt(1) lgkmcnt(0)
	v_mul_f64 v[18:19], v[2:3], v[36:37]
	v_mul_f64 v[24:25], v[4:5], v[36:37]
	v_fma_f64 v[8:9], v[8:9], v[167:168], v[20:21]
	v_fma_f64 v[6:7], v[6:7], v[167:168], -v[26:27]
	v_add_f64 v[16:17], v[16:17], v[22:23]
	v_add_f64 v[14:15], v[14:15], v[28:29]
	v_fma_f64 v[4:5], v[4:5], v[34:35], v[18:19]
	v_fma_f64 v[2:3], v[2:3], v[34:35], -v[24:25]
	s_delay_alu instid0(VALU_DEP_4) | instskip(NEXT) | instid1(VALU_DEP_4)
	v_add_f64 v[8:9], v[16:17], v[8:9]
	v_add_f64 v[6:7], v[14:15], v[6:7]
	s_delay_alu instid0(VALU_DEP_2) | instskip(NEXT) | instid1(VALU_DEP_2)
	v_add_f64 v[4:5], v[8:9], v[4:5]
	v_add_f64 v[2:3], v[6:7], v[2:3]
	s_waitcnt vmcnt(0)
	s_delay_alu instid0(VALU_DEP_2) | instskip(NEXT) | instid1(VALU_DEP_2)
	v_add_f64 v[4:5], v[12:13], -v[4:5]
	v_add_f64 v[2:3], v[10:11], -v[2:3]
	scratch_store_b128 off, v[2:5], off offset:288
	v_cmpx_lt_u32_e32 17, v122
	s_cbranch_execz .LBB103_219
; %bb.218:
	scratch_load_b128 v[5:8], v149, off
	v_mov_b32_e32 v2, v1
	v_mov_b32_e32 v3, v1
	;; [unrolled: 1-line block ×3, first 2 shown]
	scratch_store_b128 off, v[1:4], off offset:272
	s_waitcnt vmcnt(0)
	ds_store_b128 v162, v[5:8]
.LBB103_219:
	s_or_b32 exec_lo, exec_lo, s2
	s_waitcnt lgkmcnt(0)
	s_waitcnt_vscnt null, 0x0
	s_barrier
	buffer_gl0_inv
	s_clause 0x7
	scratch_load_b128 v[2:5], off, off offset:288
	scratch_load_b128 v[6:9], off, off offset:304
	;; [unrolled: 1-line block ×8, first 2 shown]
	ds_load_b128 v[34:37], v1 offset:928
	ds_load_b128 v[163:166], v1 offset:944
	s_clause 0x1
	scratch_load_b128 v[38:41], off, off offset:416
	scratch_load_b128 v[167:170], off, off offset:432
	s_mov_b32 s2, exec_lo
	s_waitcnt vmcnt(9) lgkmcnt(1)
	v_mul_f64 v[171:172], v[36:37], v[4:5]
	v_mul_f64 v[4:5], v[34:35], v[4:5]
	s_waitcnt vmcnt(8) lgkmcnt(0)
	v_mul_f64 v[173:174], v[163:164], v[8:9]
	v_mul_f64 v[8:9], v[165:166], v[8:9]
	s_delay_alu instid0(VALU_DEP_4) | instskip(NEXT) | instid1(VALU_DEP_4)
	v_fma_f64 v[171:172], v[34:35], v[2:3], -v[171:172]
	v_fma_f64 v[175:176], v[36:37], v[2:3], v[4:5]
	ds_load_b128 v[2:5], v1 offset:960
	scratch_load_b128 v[34:37], off, off offset:448
	v_fma_f64 v[173:174], v[165:166], v[6:7], v[173:174]
	v_fma_f64 v[179:180], v[163:164], v[6:7], -v[8:9]
	scratch_load_b128 v[163:166], off, off offset:464
	ds_load_b128 v[6:9], v1 offset:976
	s_waitcnt vmcnt(9) lgkmcnt(1)
	v_mul_f64 v[177:178], v[2:3], v[12:13]
	v_mul_f64 v[12:13], v[4:5], v[12:13]
	s_waitcnt vmcnt(8) lgkmcnt(0)
	v_mul_f64 v[181:182], v[6:7], v[16:17]
	v_mul_f64 v[16:17], v[8:9], v[16:17]
	v_add_f64 v[171:172], v[171:172], 0
	v_add_f64 v[175:176], v[175:176], 0
	v_fma_f64 v[177:178], v[4:5], v[10:11], v[177:178]
	v_fma_f64 v[183:184], v[2:3], v[10:11], -v[12:13]
	ds_load_b128 v[2:5], v1 offset:992
	scratch_load_b128 v[10:13], off, off offset:480
	v_add_f64 v[171:172], v[171:172], v[179:180]
	v_add_f64 v[173:174], v[175:176], v[173:174]
	v_fma_f64 v[179:180], v[8:9], v[14:15], v[181:182]
	v_fma_f64 v[181:182], v[6:7], v[14:15], -v[16:17]
	scratch_load_b128 v[14:17], off, off offset:496
	ds_load_b128 v[6:9], v1 offset:1008
	s_waitcnt vmcnt(9) lgkmcnt(1)
	v_mul_f64 v[175:176], v[2:3], v[20:21]
	v_mul_f64 v[20:21], v[4:5], v[20:21]
	v_add_f64 v[171:172], v[171:172], v[183:184]
	v_add_f64 v[173:174], v[173:174], v[177:178]
	s_waitcnt vmcnt(8) lgkmcnt(0)
	v_mul_f64 v[177:178], v[6:7], v[24:25]
	v_mul_f64 v[24:25], v[8:9], v[24:25]
	v_fma_f64 v[175:176], v[4:5], v[18:19], v[175:176]
	v_fma_f64 v[183:184], v[2:3], v[18:19], -v[20:21]
	ds_load_b128 v[2:5], v1 offset:1024
	scratch_load_b128 v[18:21], off, off offset:512
	v_add_f64 v[171:172], v[171:172], v[181:182]
	v_add_f64 v[173:174], v[173:174], v[179:180]
	v_fma_f64 v[177:178], v[8:9], v[22:23], v[177:178]
	v_fma_f64 v[181:182], v[6:7], v[22:23], -v[24:25]
	ds_load_b128 v[6:9], v1 offset:1040
	s_waitcnt vmcnt(8) lgkmcnt(1)
	v_mul_f64 v[179:180], v[2:3], v[28:29]
	v_mul_f64 v[28:29], v[4:5], v[28:29]
	scratch_load_b128 v[22:25], off, off offset:528
	v_add_f64 v[171:172], v[171:172], v[183:184]
	v_add_f64 v[173:174], v[173:174], v[175:176]
	s_waitcnt vmcnt(8) lgkmcnt(0)
	v_mul_f64 v[175:176], v[6:7], v[32:33]
	v_mul_f64 v[32:33], v[8:9], v[32:33]
	v_fma_f64 v[179:180], v[4:5], v[26:27], v[179:180]
	v_fma_f64 v[183:184], v[2:3], v[26:27], -v[28:29]
	ds_load_b128 v[2:5], v1 offset:1056
	scratch_load_b128 v[26:29], off, off offset:544
	v_add_f64 v[171:172], v[171:172], v[181:182]
	v_add_f64 v[173:174], v[173:174], v[177:178]
	v_fma_f64 v[175:176], v[8:9], v[30:31], v[175:176]
	v_fma_f64 v[181:182], v[6:7], v[30:31], -v[32:33]
	ds_load_b128 v[6:9], v1 offset:1072
	s_waitcnt vmcnt(8) lgkmcnt(1)
	v_mul_f64 v[177:178], v[2:3], v[40:41]
	v_mul_f64 v[40:41], v[4:5], v[40:41]
	scratch_load_b128 v[30:33], off, off offset:560
	v_add_f64 v[171:172], v[171:172], v[183:184]
	v_add_f64 v[173:174], v[173:174], v[179:180]
	s_waitcnt vmcnt(8) lgkmcnt(0)
	v_mul_f64 v[179:180], v[6:7], v[169:170]
	v_mul_f64 v[169:170], v[8:9], v[169:170]
	v_fma_f64 v[177:178], v[4:5], v[38:39], v[177:178]
	v_fma_f64 v[183:184], v[2:3], v[38:39], -v[40:41]
	scratch_load_b128 v[38:41], off, off offset:576
	ds_load_b128 v[2:5], v1 offset:1088
	v_add_f64 v[171:172], v[171:172], v[181:182]
	v_add_f64 v[173:174], v[173:174], v[175:176]
	v_fma_f64 v[179:180], v[8:9], v[167:168], v[179:180]
	v_fma_f64 v[181:182], v[6:7], v[167:168], -v[169:170]
	ds_load_b128 v[6:9], v1 offset:1104
	scratch_load_b128 v[167:170], off, off offset:592
	s_waitcnt vmcnt(9) lgkmcnt(1)
	v_mul_f64 v[175:176], v[2:3], v[36:37]
	v_mul_f64 v[36:37], v[4:5], v[36:37]
	v_add_f64 v[171:172], v[171:172], v[183:184]
	v_add_f64 v[173:174], v[173:174], v[177:178]
	s_waitcnt vmcnt(8) lgkmcnt(0)
	v_mul_f64 v[177:178], v[6:7], v[165:166]
	v_mul_f64 v[165:166], v[8:9], v[165:166]
	v_fma_f64 v[175:176], v[4:5], v[34:35], v[175:176]
	v_fma_f64 v[183:184], v[2:3], v[34:35], -v[36:37]
	scratch_load_b128 v[34:37], off, off offset:608
	ds_load_b128 v[2:5], v1 offset:1120
	v_add_f64 v[171:172], v[171:172], v[181:182]
	v_add_f64 v[173:174], v[173:174], v[179:180]
	v_fma_f64 v[177:178], v[8:9], v[163:164], v[177:178]
	v_fma_f64 v[181:182], v[6:7], v[163:164], -v[165:166]
	ds_load_b128 v[6:9], v1 offset:1136
	s_waitcnt vmcnt(8) lgkmcnt(1)
	v_mul_f64 v[179:180], v[2:3], v[12:13]
	v_mul_f64 v[12:13], v[4:5], v[12:13]
	scratch_load_b128 v[163:166], off, off offset:624
	v_add_f64 v[171:172], v[171:172], v[183:184]
	v_add_f64 v[173:174], v[173:174], v[175:176]
	s_waitcnt vmcnt(8) lgkmcnt(0)
	v_mul_f64 v[175:176], v[6:7], v[16:17]
	v_mul_f64 v[16:17], v[8:9], v[16:17]
	v_fma_f64 v[179:180], v[4:5], v[10:11], v[179:180]
	v_fma_f64 v[10:11], v[2:3], v[10:11], -v[12:13]
	ds_load_b128 v[2:5], v1 offset:1152
	v_add_f64 v[12:13], v[171:172], v[181:182]
	v_add_f64 v[171:172], v[173:174], v[177:178]
	v_fma_f64 v[175:176], v[8:9], v[14:15], v[175:176]
	v_fma_f64 v[14:15], v[6:7], v[14:15], -v[16:17]
	ds_load_b128 v[6:9], v1 offset:1168
	s_waitcnt vmcnt(7) lgkmcnt(1)
	v_mul_f64 v[173:174], v[2:3], v[20:21]
	v_mul_f64 v[20:21], v[4:5], v[20:21]
	v_add_f64 v[10:11], v[12:13], v[10:11]
	v_add_f64 v[12:13], v[171:172], v[179:180]
	s_delay_alu instid0(VALU_DEP_4) | instskip(NEXT) | instid1(VALU_DEP_4)
	v_fma_f64 v[171:172], v[4:5], v[18:19], v[173:174]
	v_fma_f64 v[18:19], v[2:3], v[18:19], -v[20:21]
	ds_load_b128 v[2:5], v1 offset:1184
	v_add_f64 v[14:15], v[10:11], v[14:15]
	v_add_f64 v[20:21], v[12:13], v[175:176]
	scratch_load_b128 v[10:13], off, off offset:272
	s_waitcnt vmcnt(7) lgkmcnt(1)
	v_mul_f64 v[16:17], v[6:7], v[24:25]
	v_mul_f64 v[24:25], v[8:9], v[24:25]
	v_add_f64 v[14:15], v[14:15], v[18:19]
	v_add_f64 v[18:19], v[20:21], v[171:172]
	s_delay_alu instid0(VALU_DEP_4) | instskip(NEXT) | instid1(VALU_DEP_4)
	v_fma_f64 v[16:17], v[8:9], v[22:23], v[16:17]
	v_fma_f64 v[22:23], v[6:7], v[22:23], -v[24:25]
	ds_load_b128 v[6:9], v1 offset:1200
	s_waitcnt vmcnt(6) lgkmcnt(1)
	v_mul_f64 v[173:174], v[2:3], v[28:29]
	v_mul_f64 v[28:29], v[4:5], v[28:29]
	s_waitcnt vmcnt(5) lgkmcnt(0)
	v_mul_f64 v[20:21], v[6:7], v[32:33]
	v_mul_f64 v[24:25], v[8:9], v[32:33]
	v_add_f64 v[16:17], v[18:19], v[16:17]
	v_add_f64 v[14:15], v[14:15], v[22:23]
	v_fma_f64 v[32:33], v[4:5], v[26:27], v[173:174]
	v_fma_f64 v[26:27], v[2:3], v[26:27], -v[28:29]
	ds_load_b128 v[2:5], v1 offset:1216
	v_fma_f64 v[20:21], v[8:9], v[30:31], v[20:21]
	v_fma_f64 v[24:25], v[6:7], v[30:31], -v[24:25]
	ds_load_b128 v[6:9], v1 offset:1232
	s_waitcnt vmcnt(4) lgkmcnt(1)
	v_mul_f64 v[18:19], v[2:3], v[40:41]
	v_mul_f64 v[22:23], v[4:5], v[40:41]
	v_add_f64 v[16:17], v[16:17], v[32:33]
	v_add_f64 v[14:15], v[14:15], v[26:27]
	s_waitcnt vmcnt(3) lgkmcnt(0)
	v_mul_f64 v[26:27], v[6:7], v[169:170]
	v_mul_f64 v[28:29], v[8:9], v[169:170]
	v_fma_f64 v[18:19], v[4:5], v[38:39], v[18:19]
	v_fma_f64 v[22:23], v[2:3], v[38:39], -v[22:23]
	ds_load_b128 v[2:5], v1 offset:1248
	v_add_f64 v[16:17], v[16:17], v[20:21]
	v_add_f64 v[14:15], v[14:15], v[24:25]
	v_fma_f64 v[26:27], v[8:9], v[167:168], v[26:27]
	v_fma_f64 v[28:29], v[6:7], v[167:168], -v[28:29]
	ds_load_b128 v[6:9], v1 offset:1264
	s_waitcnt vmcnt(2) lgkmcnt(1)
	v_mul_f64 v[20:21], v[2:3], v[36:37]
	v_mul_f64 v[24:25], v[4:5], v[36:37]
	v_add_f64 v[16:17], v[16:17], v[18:19]
	v_add_f64 v[14:15], v[14:15], v[22:23]
	s_waitcnt vmcnt(1) lgkmcnt(0)
	v_mul_f64 v[18:19], v[6:7], v[165:166]
	v_mul_f64 v[22:23], v[8:9], v[165:166]
	v_fma_f64 v[4:5], v[4:5], v[34:35], v[20:21]
	v_fma_f64 v[1:2], v[2:3], v[34:35], -v[24:25]
	v_add_f64 v[16:17], v[16:17], v[26:27]
	v_add_f64 v[14:15], v[14:15], v[28:29]
	v_fma_f64 v[8:9], v[8:9], v[163:164], v[18:19]
	v_fma_f64 v[6:7], v[6:7], v[163:164], -v[22:23]
	s_delay_alu instid0(VALU_DEP_4) | instskip(NEXT) | instid1(VALU_DEP_4)
	v_add_f64 v[3:4], v[16:17], v[4:5]
	v_add_f64 v[1:2], v[14:15], v[1:2]
	s_delay_alu instid0(VALU_DEP_2) | instskip(NEXT) | instid1(VALU_DEP_2)
	v_add_f64 v[3:4], v[3:4], v[8:9]
	v_add_f64 v[1:2], v[1:2], v[6:7]
	s_waitcnt vmcnt(0)
	s_delay_alu instid0(VALU_DEP_2) | instskip(NEXT) | instid1(VALU_DEP_2)
	v_add_f64 v[3:4], v[12:13], -v[3:4]
	v_add_f64 v[1:2], v[10:11], -v[1:2]
	scratch_store_b128 off, v[1:4], off offset:272
	v_cmpx_lt_u32_e32 16, v122
	s_cbranch_execz .LBB103_221
; %bb.220:
	scratch_load_b128 v[1:4], v150, off
	v_mov_b32_e32 v5, 0
	s_delay_alu instid0(VALU_DEP_1)
	v_mov_b32_e32 v6, v5
	v_mov_b32_e32 v7, v5
	;; [unrolled: 1-line block ×3, first 2 shown]
	scratch_store_b128 off, v[5:8], off offset:256
	s_waitcnt vmcnt(0)
	ds_store_b128 v162, v[1:4]
.LBB103_221:
	s_or_b32 exec_lo, exec_lo, s2
	s_waitcnt lgkmcnt(0)
	s_waitcnt_vscnt null, 0x0
	s_barrier
	buffer_gl0_inv
	s_clause 0x7
	scratch_load_b128 v[2:5], off, off offset:272
	scratch_load_b128 v[6:9], off, off offset:288
	;; [unrolled: 1-line block ×8, first 2 shown]
	v_mov_b32_e32 v1, 0
	s_clause 0x1
	scratch_load_b128 v[38:41], off, off offset:400
	scratch_load_b128 v[167:170], off, off offset:416
	s_mov_b32 s2, exec_lo
	ds_load_b128 v[34:37], v1 offset:912
	ds_load_b128 v[163:166], v1 offset:928
	s_waitcnt vmcnt(9) lgkmcnt(1)
	v_mul_f64 v[171:172], v[36:37], v[4:5]
	v_mul_f64 v[4:5], v[34:35], v[4:5]
	s_waitcnt vmcnt(8) lgkmcnt(0)
	v_mul_f64 v[173:174], v[163:164], v[8:9]
	v_mul_f64 v[8:9], v[165:166], v[8:9]
	s_delay_alu instid0(VALU_DEP_4) | instskip(NEXT) | instid1(VALU_DEP_4)
	v_fma_f64 v[171:172], v[34:35], v[2:3], -v[171:172]
	v_fma_f64 v[175:176], v[36:37], v[2:3], v[4:5]
	ds_load_b128 v[2:5], v1 offset:944
	scratch_load_b128 v[34:37], off, off offset:432
	v_fma_f64 v[173:174], v[165:166], v[6:7], v[173:174]
	v_fma_f64 v[179:180], v[163:164], v[6:7], -v[8:9]
	scratch_load_b128 v[163:166], off, off offset:448
	ds_load_b128 v[6:9], v1 offset:960
	s_waitcnt vmcnt(9) lgkmcnt(1)
	v_mul_f64 v[177:178], v[2:3], v[12:13]
	v_mul_f64 v[12:13], v[4:5], v[12:13]
	s_waitcnt vmcnt(8) lgkmcnt(0)
	v_mul_f64 v[181:182], v[6:7], v[16:17]
	v_mul_f64 v[16:17], v[8:9], v[16:17]
	v_add_f64 v[171:172], v[171:172], 0
	v_add_f64 v[175:176], v[175:176], 0
	v_fma_f64 v[177:178], v[4:5], v[10:11], v[177:178]
	v_fma_f64 v[183:184], v[2:3], v[10:11], -v[12:13]
	ds_load_b128 v[2:5], v1 offset:976
	scratch_load_b128 v[10:13], off, off offset:464
	v_add_f64 v[171:172], v[171:172], v[179:180]
	v_add_f64 v[173:174], v[175:176], v[173:174]
	v_fma_f64 v[179:180], v[8:9], v[14:15], v[181:182]
	v_fma_f64 v[181:182], v[6:7], v[14:15], -v[16:17]
	scratch_load_b128 v[14:17], off, off offset:480
	ds_load_b128 v[6:9], v1 offset:992
	s_waitcnt vmcnt(9) lgkmcnt(1)
	v_mul_f64 v[175:176], v[2:3], v[20:21]
	v_mul_f64 v[20:21], v[4:5], v[20:21]
	v_add_f64 v[171:172], v[171:172], v[183:184]
	v_add_f64 v[173:174], v[173:174], v[177:178]
	s_waitcnt vmcnt(8) lgkmcnt(0)
	v_mul_f64 v[177:178], v[6:7], v[24:25]
	v_mul_f64 v[24:25], v[8:9], v[24:25]
	v_fma_f64 v[175:176], v[4:5], v[18:19], v[175:176]
	v_fma_f64 v[183:184], v[2:3], v[18:19], -v[20:21]
	ds_load_b128 v[2:5], v1 offset:1008
	scratch_load_b128 v[18:21], off, off offset:496
	v_add_f64 v[171:172], v[171:172], v[181:182]
	v_add_f64 v[173:174], v[173:174], v[179:180]
	v_fma_f64 v[177:178], v[8:9], v[22:23], v[177:178]
	v_fma_f64 v[181:182], v[6:7], v[22:23], -v[24:25]
	scratch_load_b128 v[22:25], off, off offset:512
	ds_load_b128 v[6:9], v1 offset:1024
	s_waitcnt vmcnt(9) lgkmcnt(1)
	v_mul_f64 v[179:180], v[2:3], v[28:29]
	v_mul_f64 v[28:29], v[4:5], v[28:29]
	v_add_f64 v[171:172], v[171:172], v[183:184]
	v_add_f64 v[173:174], v[173:174], v[175:176]
	s_waitcnt vmcnt(8) lgkmcnt(0)
	v_mul_f64 v[175:176], v[6:7], v[32:33]
	v_mul_f64 v[32:33], v[8:9], v[32:33]
	v_fma_f64 v[179:180], v[4:5], v[26:27], v[179:180]
	v_fma_f64 v[183:184], v[2:3], v[26:27], -v[28:29]
	ds_load_b128 v[2:5], v1 offset:1040
	scratch_load_b128 v[26:29], off, off offset:528
	v_add_f64 v[171:172], v[171:172], v[181:182]
	v_add_f64 v[173:174], v[173:174], v[177:178]
	v_fma_f64 v[175:176], v[8:9], v[30:31], v[175:176]
	v_fma_f64 v[181:182], v[6:7], v[30:31], -v[32:33]
	ds_load_b128 v[6:9], v1 offset:1056
	s_waitcnt vmcnt(8) lgkmcnt(1)
	v_mul_f64 v[177:178], v[2:3], v[40:41]
	v_mul_f64 v[40:41], v[4:5], v[40:41]
	scratch_load_b128 v[30:33], off, off offset:544
	v_add_f64 v[171:172], v[171:172], v[183:184]
	v_add_f64 v[173:174], v[173:174], v[179:180]
	s_waitcnt vmcnt(8) lgkmcnt(0)
	v_mul_f64 v[179:180], v[6:7], v[169:170]
	v_mul_f64 v[169:170], v[8:9], v[169:170]
	v_fma_f64 v[177:178], v[4:5], v[38:39], v[177:178]
	v_fma_f64 v[183:184], v[2:3], v[38:39], -v[40:41]
	scratch_load_b128 v[38:41], off, off offset:560
	ds_load_b128 v[2:5], v1 offset:1072
	v_add_f64 v[171:172], v[171:172], v[181:182]
	v_add_f64 v[173:174], v[173:174], v[175:176]
	v_fma_f64 v[179:180], v[8:9], v[167:168], v[179:180]
	v_fma_f64 v[181:182], v[6:7], v[167:168], -v[169:170]
	ds_load_b128 v[6:9], v1 offset:1088
	scratch_load_b128 v[167:170], off, off offset:576
	s_waitcnt vmcnt(9) lgkmcnt(1)
	v_mul_f64 v[175:176], v[2:3], v[36:37]
	v_mul_f64 v[36:37], v[4:5], v[36:37]
	v_add_f64 v[171:172], v[171:172], v[183:184]
	v_add_f64 v[173:174], v[173:174], v[177:178]
	s_waitcnt vmcnt(8) lgkmcnt(0)
	v_mul_f64 v[177:178], v[6:7], v[165:166]
	v_mul_f64 v[165:166], v[8:9], v[165:166]
	v_fma_f64 v[175:176], v[4:5], v[34:35], v[175:176]
	v_fma_f64 v[183:184], v[2:3], v[34:35], -v[36:37]
	scratch_load_b128 v[34:37], off, off offset:592
	ds_load_b128 v[2:5], v1 offset:1104
	v_add_f64 v[171:172], v[171:172], v[181:182]
	v_add_f64 v[173:174], v[173:174], v[179:180]
	v_fma_f64 v[177:178], v[8:9], v[163:164], v[177:178]
	v_fma_f64 v[181:182], v[6:7], v[163:164], -v[165:166]
	ds_load_b128 v[6:9], v1 offset:1120
	s_waitcnt vmcnt(8) lgkmcnt(1)
	v_mul_f64 v[179:180], v[2:3], v[12:13]
	v_mul_f64 v[12:13], v[4:5], v[12:13]
	scratch_load_b128 v[163:166], off, off offset:608
	v_add_f64 v[171:172], v[171:172], v[183:184]
	v_add_f64 v[173:174], v[173:174], v[175:176]
	s_waitcnt vmcnt(8) lgkmcnt(0)
	v_mul_f64 v[175:176], v[6:7], v[16:17]
	v_mul_f64 v[16:17], v[8:9], v[16:17]
	v_fma_f64 v[179:180], v[4:5], v[10:11], v[179:180]
	v_fma_f64 v[183:184], v[2:3], v[10:11], -v[12:13]
	scratch_load_b128 v[10:13], off, off offset:624
	ds_load_b128 v[2:5], v1 offset:1136
	v_add_f64 v[171:172], v[171:172], v[181:182]
	v_add_f64 v[173:174], v[173:174], v[177:178]
	v_fma_f64 v[175:176], v[8:9], v[14:15], v[175:176]
	v_fma_f64 v[14:15], v[6:7], v[14:15], -v[16:17]
	ds_load_b128 v[6:9], v1 offset:1152
	s_waitcnt vmcnt(8) lgkmcnt(1)
	v_mul_f64 v[177:178], v[2:3], v[20:21]
	v_mul_f64 v[20:21], v[4:5], v[20:21]
	v_add_f64 v[16:17], v[171:172], v[183:184]
	v_add_f64 v[171:172], v[173:174], v[179:180]
	s_waitcnt vmcnt(7) lgkmcnt(0)
	v_mul_f64 v[173:174], v[6:7], v[24:25]
	v_mul_f64 v[24:25], v[8:9], v[24:25]
	v_fma_f64 v[177:178], v[4:5], v[18:19], v[177:178]
	v_fma_f64 v[18:19], v[2:3], v[18:19], -v[20:21]
	ds_load_b128 v[2:5], v1 offset:1168
	v_add_f64 v[14:15], v[16:17], v[14:15]
	v_add_f64 v[16:17], v[171:172], v[175:176]
	v_fma_f64 v[171:172], v[8:9], v[22:23], v[173:174]
	v_fma_f64 v[22:23], v[6:7], v[22:23], -v[24:25]
	ds_load_b128 v[6:9], v1 offset:1184
	s_waitcnt vmcnt(5) lgkmcnt(0)
	v_mul_f64 v[173:174], v[6:7], v[32:33]
	v_mul_f64 v[32:33], v[8:9], v[32:33]
	v_add_f64 v[18:19], v[14:15], v[18:19]
	v_add_f64 v[24:25], v[16:17], v[177:178]
	scratch_load_b128 v[14:17], off, off offset:256
	v_mul_f64 v[20:21], v[2:3], v[28:29]
	v_mul_f64 v[28:29], v[4:5], v[28:29]
	v_add_f64 v[18:19], v[18:19], v[22:23]
	v_add_f64 v[22:23], v[24:25], v[171:172]
	s_delay_alu instid0(VALU_DEP_4) | instskip(NEXT) | instid1(VALU_DEP_4)
	v_fma_f64 v[20:21], v[4:5], v[26:27], v[20:21]
	v_fma_f64 v[26:27], v[2:3], v[26:27], -v[28:29]
	ds_load_b128 v[2:5], v1 offset:1200
	s_waitcnt vmcnt(5) lgkmcnt(0)
	v_mul_f64 v[24:25], v[2:3], v[40:41]
	v_mul_f64 v[28:29], v[4:5], v[40:41]
	v_fma_f64 v[40:41], v[8:9], v[30:31], v[173:174]
	v_fma_f64 v[30:31], v[6:7], v[30:31], -v[32:33]
	ds_load_b128 v[6:9], v1 offset:1216
	v_add_f64 v[20:21], v[22:23], v[20:21]
	v_add_f64 v[18:19], v[18:19], v[26:27]
	v_fma_f64 v[24:25], v[4:5], v[38:39], v[24:25]
	v_fma_f64 v[28:29], v[2:3], v[38:39], -v[28:29]
	ds_load_b128 v[2:5], v1 offset:1232
	s_waitcnt vmcnt(4) lgkmcnt(1)
	v_mul_f64 v[22:23], v[6:7], v[169:170]
	v_mul_f64 v[26:27], v[8:9], v[169:170]
	v_add_f64 v[20:21], v[20:21], v[40:41]
	v_add_f64 v[18:19], v[18:19], v[30:31]
	s_waitcnt vmcnt(3) lgkmcnt(0)
	v_mul_f64 v[30:31], v[2:3], v[36:37]
	v_mul_f64 v[32:33], v[4:5], v[36:37]
	v_fma_f64 v[22:23], v[8:9], v[167:168], v[22:23]
	v_fma_f64 v[26:27], v[6:7], v[167:168], -v[26:27]
	ds_load_b128 v[6:9], v1 offset:1248
	v_add_f64 v[20:21], v[20:21], v[24:25]
	v_add_f64 v[18:19], v[18:19], v[28:29]
	v_fma_f64 v[30:31], v[4:5], v[34:35], v[30:31]
	v_fma_f64 v[32:33], v[2:3], v[34:35], -v[32:33]
	ds_load_b128 v[2:5], v1 offset:1264
	s_waitcnt vmcnt(2) lgkmcnt(1)
	v_mul_f64 v[24:25], v[6:7], v[165:166]
	v_mul_f64 v[28:29], v[8:9], v[165:166]
	v_add_f64 v[20:21], v[20:21], v[22:23]
	v_add_f64 v[18:19], v[18:19], v[26:27]
	s_waitcnt vmcnt(1) lgkmcnt(0)
	v_mul_f64 v[22:23], v[2:3], v[12:13]
	v_mul_f64 v[12:13], v[4:5], v[12:13]
	v_fma_f64 v[8:9], v[8:9], v[163:164], v[24:25]
	v_fma_f64 v[6:7], v[6:7], v[163:164], -v[28:29]
	v_add_f64 v[20:21], v[20:21], v[30:31]
	v_add_f64 v[18:19], v[18:19], v[32:33]
	v_fma_f64 v[4:5], v[4:5], v[10:11], v[22:23]
	v_fma_f64 v[2:3], v[2:3], v[10:11], -v[12:13]
	s_delay_alu instid0(VALU_DEP_4) | instskip(NEXT) | instid1(VALU_DEP_4)
	v_add_f64 v[8:9], v[20:21], v[8:9]
	v_add_f64 v[6:7], v[18:19], v[6:7]
	s_delay_alu instid0(VALU_DEP_2) | instskip(NEXT) | instid1(VALU_DEP_2)
	v_add_f64 v[4:5], v[8:9], v[4:5]
	v_add_f64 v[2:3], v[6:7], v[2:3]
	s_waitcnt vmcnt(0)
	s_delay_alu instid0(VALU_DEP_2) | instskip(NEXT) | instid1(VALU_DEP_2)
	v_add_f64 v[4:5], v[16:17], -v[4:5]
	v_add_f64 v[2:3], v[14:15], -v[2:3]
	scratch_store_b128 off, v[2:5], off offset:256
	v_cmpx_lt_u32_e32 15, v122
	s_cbranch_execz .LBB103_223
; %bb.222:
	scratch_load_b128 v[5:8], v151, off
	v_mov_b32_e32 v2, v1
	v_mov_b32_e32 v3, v1
	;; [unrolled: 1-line block ×3, first 2 shown]
	scratch_store_b128 off, v[1:4], off offset:240
	s_waitcnt vmcnt(0)
	ds_store_b128 v162, v[5:8]
.LBB103_223:
	s_or_b32 exec_lo, exec_lo, s2
	s_waitcnt lgkmcnt(0)
	s_waitcnt_vscnt null, 0x0
	s_barrier
	buffer_gl0_inv
	s_clause 0x7
	scratch_load_b128 v[2:5], off, off offset:256
	scratch_load_b128 v[6:9], off, off offset:272
	;; [unrolled: 1-line block ×8, first 2 shown]
	ds_load_b128 v[34:37], v1 offset:896
	ds_load_b128 v[163:166], v1 offset:912
	s_clause 0x1
	scratch_load_b128 v[38:41], off, off offset:384
	scratch_load_b128 v[167:170], off, off offset:400
	s_mov_b32 s2, exec_lo
	s_waitcnt vmcnt(9) lgkmcnt(1)
	v_mul_f64 v[171:172], v[36:37], v[4:5]
	v_mul_f64 v[4:5], v[34:35], v[4:5]
	s_waitcnt vmcnt(8) lgkmcnt(0)
	v_mul_f64 v[173:174], v[163:164], v[8:9]
	v_mul_f64 v[8:9], v[165:166], v[8:9]
	s_delay_alu instid0(VALU_DEP_4) | instskip(NEXT) | instid1(VALU_DEP_4)
	v_fma_f64 v[171:172], v[34:35], v[2:3], -v[171:172]
	v_fma_f64 v[175:176], v[36:37], v[2:3], v[4:5]
	ds_load_b128 v[2:5], v1 offset:928
	scratch_load_b128 v[34:37], off, off offset:416
	v_fma_f64 v[173:174], v[165:166], v[6:7], v[173:174]
	v_fma_f64 v[179:180], v[163:164], v[6:7], -v[8:9]
	scratch_load_b128 v[163:166], off, off offset:432
	ds_load_b128 v[6:9], v1 offset:944
	s_waitcnt vmcnt(9) lgkmcnt(1)
	v_mul_f64 v[177:178], v[2:3], v[12:13]
	v_mul_f64 v[12:13], v[4:5], v[12:13]
	s_waitcnt vmcnt(8) lgkmcnt(0)
	v_mul_f64 v[181:182], v[6:7], v[16:17]
	v_mul_f64 v[16:17], v[8:9], v[16:17]
	v_add_f64 v[171:172], v[171:172], 0
	v_add_f64 v[175:176], v[175:176], 0
	v_fma_f64 v[177:178], v[4:5], v[10:11], v[177:178]
	v_fma_f64 v[183:184], v[2:3], v[10:11], -v[12:13]
	ds_load_b128 v[2:5], v1 offset:960
	scratch_load_b128 v[10:13], off, off offset:448
	v_add_f64 v[171:172], v[171:172], v[179:180]
	v_add_f64 v[173:174], v[175:176], v[173:174]
	v_fma_f64 v[179:180], v[8:9], v[14:15], v[181:182]
	v_fma_f64 v[181:182], v[6:7], v[14:15], -v[16:17]
	scratch_load_b128 v[14:17], off, off offset:464
	ds_load_b128 v[6:9], v1 offset:976
	s_waitcnt vmcnt(9) lgkmcnt(1)
	v_mul_f64 v[175:176], v[2:3], v[20:21]
	v_mul_f64 v[20:21], v[4:5], v[20:21]
	v_add_f64 v[171:172], v[171:172], v[183:184]
	v_add_f64 v[173:174], v[173:174], v[177:178]
	s_waitcnt vmcnt(8) lgkmcnt(0)
	v_mul_f64 v[177:178], v[6:7], v[24:25]
	v_mul_f64 v[24:25], v[8:9], v[24:25]
	v_fma_f64 v[175:176], v[4:5], v[18:19], v[175:176]
	v_fma_f64 v[183:184], v[2:3], v[18:19], -v[20:21]
	ds_load_b128 v[2:5], v1 offset:992
	scratch_load_b128 v[18:21], off, off offset:480
	v_add_f64 v[171:172], v[171:172], v[181:182]
	v_add_f64 v[173:174], v[173:174], v[179:180]
	v_fma_f64 v[177:178], v[8:9], v[22:23], v[177:178]
	v_fma_f64 v[181:182], v[6:7], v[22:23], -v[24:25]
	scratch_load_b128 v[22:25], off, off offset:496
	ds_load_b128 v[6:9], v1 offset:1008
	s_waitcnt vmcnt(9) lgkmcnt(1)
	v_mul_f64 v[179:180], v[2:3], v[28:29]
	v_mul_f64 v[28:29], v[4:5], v[28:29]
	v_add_f64 v[171:172], v[171:172], v[183:184]
	v_add_f64 v[173:174], v[173:174], v[175:176]
	s_waitcnt vmcnt(8) lgkmcnt(0)
	v_mul_f64 v[175:176], v[6:7], v[32:33]
	v_mul_f64 v[32:33], v[8:9], v[32:33]
	v_fma_f64 v[179:180], v[4:5], v[26:27], v[179:180]
	v_fma_f64 v[183:184], v[2:3], v[26:27], -v[28:29]
	ds_load_b128 v[2:5], v1 offset:1024
	scratch_load_b128 v[26:29], off, off offset:512
	v_add_f64 v[171:172], v[171:172], v[181:182]
	v_add_f64 v[173:174], v[173:174], v[177:178]
	v_fma_f64 v[175:176], v[8:9], v[30:31], v[175:176]
	v_fma_f64 v[181:182], v[6:7], v[30:31], -v[32:33]
	ds_load_b128 v[6:9], v1 offset:1040
	s_waitcnt vmcnt(8) lgkmcnt(1)
	v_mul_f64 v[177:178], v[2:3], v[40:41]
	v_mul_f64 v[40:41], v[4:5], v[40:41]
	scratch_load_b128 v[30:33], off, off offset:528
	v_add_f64 v[171:172], v[171:172], v[183:184]
	v_add_f64 v[173:174], v[173:174], v[179:180]
	s_waitcnt vmcnt(8) lgkmcnt(0)
	v_mul_f64 v[179:180], v[6:7], v[169:170]
	v_mul_f64 v[169:170], v[8:9], v[169:170]
	v_fma_f64 v[177:178], v[4:5], v[38:39], v[177:178]
	v_fma_f64 v[183:184], v[2:3], v[38:39], -v[40:41]
	ds_load_b128 v[2:5], v1 offset:1056
	scratch_load_b128 v[38:41], off, off offset:544
	v_add_f64 v[171:172], v[171:172], v[181:182]
	v_add_f64 v[173:174], v[173:174], v[175:176]
	v_fma_f64 v[179:180], v[8:9], v[167:168], v[179:180]
	v_fma_f64 v[181:182], v[6:7], v[167:168], -v[169:170]
	ds_load_b128 v[6:9], v1 offset:1072
	scratch_load_b128 v[167:170], off, off offset:560
	s_waitcnt vmcnt(9) lgkmcnt(1)
	v_mul_f64 v[175:176], v[2:3], v[36:37]
	v_mul_f64 v[36:37], v[4:5], v[36:37]
	v_add_f64 v[171:172], v[171:172], v[183:184]
	v_add_f64 v[173:174], v[173:174], v[177:178]
	s_waitcnt vmcnt(8) lgkmcnt(0)
	v_mul_f64 v[177:178], v[6:7], v[165:166]
	v_mul_f64 v[165:166], v[8:9], v[165:166]
	v_fma_f64 v[175:176], v[4:5], v[34:35], v[175:176]
	v_fma_f64 v[183:184], v[2:3], v[34:35], -v[36:37]
	scratch_load_b128 v[34:37], off, off offset:576
	ds_load_b128 v[2:5], v1 offset:1088
	v_add_f64 v[171:172], v[171:172], v[181:182]
	v_add_f64 v[173:174], v[173:174], v[179:180]
	v_fma_f64 v[177:178], v[8:9], v[163:164], v[177:178]
	v_fma_f64 v[181:182], v[6:7], v[163:164], -v[165:166]
	ds_load_b128 v[6:9], v1 offset:1104
	s_waitcnt vmcnt(8) lgkmcnt(1)
	v_mul_f64 v[179:180], v[2:3], v[12:13]
	v_mul_f64 v[12:13], v[4:5], v[12:13]
	scratch_load_b128 v[163:166], off, off offset:592
	v_add_f64 v[171:172], v[171:172], v[183:184]
	v_add_f64 v[173:174], v[173:174], v[175:176]
	s_waitcnt vmcnt(8) lgkmcnt(0)
	v_mul_f64 v[175:176], v[6:7], v[16:17]
	v_mul_f64 v[16:17], v[8:9], v[16:17]
	v_fma_f64 v[179:180], v[4:5], v[10:11], v[179:180]
	v_fma_f64 v[183:184], v[2:3], v[10:11], -v[12:13]
	scratch_load_b128 v[10:13], off, off offset:608
	ds_load_b128 v[2:5], v1 offset:1120
	v_add_f64 v[171:172], v[171:172], v[181:182]
	v_add_f64 v[173:174], v[173:174], v[177:178]
	v_fma_f64 v[175:176], v[8:9], v[14:15], v[175:176]
	v_fma_f64 v[181:182], v[6:7], v[14:15], -v[16:17]
	ds_load_b128 v[6:9], v1 offset:1136
	s_waitcnt vmcnt(8) lgkmcnt(1)
	v_mul_f64 v[177:178], v[2:3], v[20:21]
	v_mul_f64 v[20:21], v[4:5], v[20:21]
	scratch_load_b128 v[14:17], off, off offset:624
	v_add_f64 v[171:172], v[171:172], v[183:184]
	v_add_f64 v[173:174], v[173:174], v[179:180]
	s_waitcnt vmcnt(8) lgkmcnt(0)
	v_mul_f64 v[179:180], v[6:7], v[24:25]
	v_mul_f64 v[24:25], v[8:9], v[24:25]
	v_fma_f64 v[177:178], v[4:5], v[18:19], v[177:178]
	v_fma_f64 v[18:19], v[2:3], v[18:19], -v[20:21]
	ds_load_b128 v[2:5], v1 offset:1152
	v_add_f64 v[20:21], v[171:172], v[181:182]
	v_add_f64 v[171:172], v[173:174], v[175:176]
	v_fma_f64 v[175:176], v[8:9], v[22:23], v[179:180]
	v_fma_f64 v[22:23], v[6:7], v[22:23], -v[24:25]
	ds_load_b128 v[6:9], v1 offset:1168
	s_waitcnt vmcnt(7) lgkmcnt(1)
	v_mul_f64 v[173:174], v[2:3], v[28:29]
	v_mul_f64 v[28:29], v[4:5], v[28:29]
	v_add_f64 v[18:19], v[20:21], v[18:19]
	v_add_f64 v[20:21], v[171:172], v[177:178]
	s_delay_alu instid0(VALU_DEP_4) | instskip(NEXT) | instid1(VALU_DEP_4)
	v_fma_f64 v[171:172], v[4:5], v[26:27], v[173:174]
	v_fma_f64 v[26:27], v[2:3], v[26:27], -v[28:29]
	ds_load_b128 v[2:5], v1 offset:1184
	v_add_f64 v[22:23], v[18:19], v[22:23]
	v_add_f64 v[28:29], v[20:21], v[175:176]
	scratch_load_b128 v[18:21], off, off offset:240
	s_waitcnt vmcnt(7) lgkmcnt(1)
	v_mul_f64 v[24:25], v[6:7], v[32:33]
	v_mul_f64 v[32:33], v[8:9], v[32:33]
	v_add_f64 v[22:23], v[22:23], v[26:27]
	v_add_f64 v[26:27], v[28:29], v[171:172]
	s_delay_alu instid0(VALU_DEP_4) | instskip(NEXT) | instid1(VALU_DEP_4)
	v_fma_f64 v[24:25], v[8:9], v[30:31], v[24:25]
	v_fma_f64 v[30:31], v[6:7], v[30:31], -v[32:33]
	ds_load_b128 v[6:9], v1 offset:1200
	s_waitcnt vmcnt(6) lgkmcnt(1)
	v_mul_f64 v[173:174], v[2:3], v[40:41]
	v_mul_f64 v[40:41], v[4:5], v[40:41]
	s_waitcnt vmcnt(5) lgkmcnt(0)
	v_mul_f64 v[28:29], v[6:7], v[169:170]
	v_mul_f64 v[32:33], v[8:9], v[169:170]
	v_add_f64 v[24:25], v[26:27], v[24:25]
	v_add_f64 v[22:23], v[22:23], v[30:31]
	v_fma_f64 v[169:170], v[4:5], v[38:39], v[173:174]
	v_fma_f64 v[38:39], v[2:3], v[38:39], -v[40:41]
	ds_load_b128 v[2:5], v1 offset:1216
	v_fma_f64 v[28:29], v[8:9], v[167:168], v[28:29]
	v_fma_f64 v[32:33], v[6:7], v[167:168], -v[32:33]
	ds_load_b128 v[6:9], v1 offset:1232
	s_waitcnt vmcnt(4) lgkmcnt(1)
	v_mul_f64 v[26:27], v[2:3], v[36:37]
	v_mul_f64 v[30:31], v[4:5], v[36:37]
	v_add_f64 v[24:25], v[24:25], v[169:170]
	v_add_f64 v[22:23], v[22:23], v[38:39]
	s_waitcnt vmcnt(3) lgkmcnt(0)
	v_mul_f64 v[36:37], v[6:7], v[165:166]
	v_mul_f64 v[38:39], v[8:9], v[165:166]
	v_fma_f64 v[26:27], v[4:5], v[34:35], v[26:27]
	v_fma_f64 v[30:31], v[2:3], v[34:35], -v[30:31]
	ds_load_b128 v[2:5], v1 offset:1248
	v_add_f64 v[24:25], v[24:25], v[28:29]
	v_add_f64 v[22:23], v[22:23], v[32:33]
	v_fma_f64 v[32:33], v[8:9], v[163:164], v[36:37]
	v_fma_f64 v[34:35], v[6:7], v[163:164], -v[38:39]
	ds_load_b128 v[6:9], v1 offset:1264
	s_waitcnt vmcnt(2) lgkmcnt(1)
	v_mul_f64 v[28:29], v[2:3], v[12:13]
	v_mul_f64 v[12:13], v[4:5], v[12:13]
	v_add_f64 v[24:25], v[24:25], v[26:27]
	v_add_f64 v[22:23], v[22:23], v[30:31]
	s_waitcnt vmcnt(1) lgkmcnt(0)
	v_mul_f64 v[26:27], v[6:7], v[16:17]
	v_mul_f64 v[16:17], v[8:9], v[16:17]
	v_fma_f64 v[4:5], v[4:5], v[10:11], v[28:29]
	v_fma_f64 v[1:2], v[2:3], v[10:11], -v[12:13]
	v_add_f64 v[12:13], v[24:25], v[32:33]
	v_add_f64 v[10:11], v[22:23], v[34:35]
	v_fma_f64 v[8:9], v[8:9], v[14:15], v[26:27]
	v_fma_f64 v[6:7], v[6:7], v[14:15], -v[16:17]
	s_delay_alu instid0(VALU_DEP_4) | instskip(NEXT) | instid1(VALU_DEP_4)
	v_add_f64 v[3:4], v[12:13], v[4:5]
	v_add_f64 v[1:2], v[10:11], v[1:2]
	s_delay_alu instid0(VALU_DEP_2) | instskip(NEXT) | instid1(VALU_DEP_2)
	v_add_f64 v[3:4], v[3:4], v[8:9]
	v_add_f64 v[1:2], v[1:2], v[6:7]
	s_waitcnt vmcnt(0)
	s_delay_alu instid0(VALU_DEP_2) | instskip(NEXT) | instid1(VALU_DEP_2)
	v_add_f64 v[3:4], v[20:21], -v[3:4]
	v_add_f64 v[1:2], v[18:19], -v[1:2]
	scratch_store_b128 off, v[1:4], off offset:240
	v_cmpx_lt_u32_e32 14, v122
	s_cbranch_execz .LBB103_225
; %bb.224:
	scratch_load_b128 v[1:4], v152, off
	v_mov_b32_e32 v5, 0
	s_delay_alu instid0(VALU_DEP_1)
	v_mov_b32_e32 v6, v5
	v_mov_b32_e32 v7, v5
	;; [unrolled: 1-line block ×3, first 2 shown]
	scratch_store_b128 off, v[5:8], off offset:224
	s_waitcnt vmcnt(0)
	ds_store_b128 v162, v[1:4]
.LBB103_225:
	s_or_b32 exec_lo, exec_lo, s2
	s_waitcnt lgkmcnt(0)
	s_waitcnt_vscnt null, 0x0
	s_barrier
	buffer_gl0_inv
	s_clause 0x7
	scratch_load_b128 v[2:5], off, off offset:240
	scratch_load_b128 v[6:9], off, off offset:256
	;; [unrolled: 1-line block ×8, first 2 shown]
	v_mov_b32_e32 v1, 0
	s_clause 0x1
	scratch_load_b128 v[38:41], off, off offset:368
	scratch_load_b128 v[167:170], off, off offset:384
	s_mov_b32 s2, exec_lo
	ds_load_b128 v[34:37], v1 offset:880
	ds_load_b128 v[163:166], v1 offset:896
	s_waitcnt vmcnt(9) lgkmcnt(1)
	v_mul_f64 v[171:172], v[36:37], v[4:5]
	v_mul_f64 v[4:5], v[34:35], v[4:5]
	s_waitcnt vmcnt(8) lgkmcnt(0)
	v_mul_f64 v[173:174], v[163:164], v[8:9]
	v_mul_f64 v[8:9], v[165:166], v[8:9]
	s_delay_alu instid0(VALU_DEP_4) | instskip(NEXT) | instid1(VALU_DEP_4)
	v_fma_f64 v[171:172], v[34:35], v[2:3], -v[171:172]
	v_fma_f64 v[175:176], v[36:37], v[2:3], v[4:5]
	ds_load_b128 v[2:5], v1 offset:912
	scratch_load_b128 v[34:37], off, off offset:400
	v_fma_f64 v[173:174], v[165:166], v[6:7], v[173:174]
	v_fma_f64 v[179:180], v[163:164], v[6:7], -v[8:9]
	scratch_load_b128 v[163:166], off, off offset:416
	ds_load_b128 v[6:9], v1 offset:928
	s_waitcnt vmcnt(9) lgkmcnt(1)
	v_mul_f64 v[177:178], v[2:3], v[12:13]
	v_mul_f64 v[12:13], v[4:5], v[12:13]
	s_waitcnt vmcnt(8) lgkmcnt(0)
	v_mul_f64 v[181:182], v[6:7], v[16:17]
	v_mul_f64 v[16:17], v[8:9], v[16:17]
	v_add_f64 v[171:172], v[171:172], 0
	v_add_f64 v[175:176], v[175:176], 0
	v_fma_f64 v[177:178], v[4:5], v[10:11], v[177:178]
	v_fma_f64 v[183:184], v[2:3], v[10:11], -v[12:13]
	ds_load_b128 v[2:5], v1 offset:944
	scratch_load_b128 v[10:13], off, off offset:432
	v_add_f64 v[171:172], v[171:172], v[179:180]
	v_add_f64 v[173:174], v[175:176], v[173:174]
	v_fma_f64 v[179:180], v[8:9], v[14:15], v[181:182]
	v_fma_f64 v[181:182], v[6:7], v[14:15], -v[16:17]
	scratch_load_b128 v[14:17], off, off offset:448
	ds_load_b128 v[6:9], v1 offset:960
	s_waitcnt vmcnt(9) lgkmcnt(1)
	v_mul_f64 v[175:176], v[2:3], v[20:21]
	v_mul_f64 v[20:21], v[4:5], v[20:21]
	v_add_f64 v[171:172], v[171:172], v[183:184]
	v_add_f64 v[173:174], v[173:174], v[177:178]
	s_waitcnt vmcnt(8) lgkmcnt(0)
	v_mul_f64 v[177:178], v[6:7], v[24:25]
	v_mul_f64 v[24:25], v[8:9], v[24:25]
	v_fma_f64 v[175:176], v[4:5], v[18:19], v[175:176]
	v_fma_f64 v[183:184], v[2:3], v[18:19], -v[20:21]
	ds_load_b128 v[2:5], v1 offset:976
	scratch_load_b128 v[18:21], off, off offset:464
	v_add_f64 v[171:172], v[171:172], v[181:182]
	v_add_f64 v[173:174], v[173:174], v[179:180]
	v_fma_f64 v[177:178], v[8:9], v[22:23], v[177:178]
	v_fma_f64 v[181:182], v[6:7], v[22:23], -v[24:25]
	scratch_load_b128 v[22:25], off, off offset:480
	ds_load_b128 v[6:9], v1 offset:992
	s_waitcnt vmcnt(9) lgkmcnt(1)
	v_mul_f64 v[179:180], v[2:3], v[28:29]
	v_mul_f64 v[28:29], v[4:5], v[28:29]
	v_add_f64 v[171:172], v[171:172], v[183:184]
	v_add_f64 v[173:174], v[173:174], v[175:176]
	s_waitcnt vmcnt(8) lgkmcnt(0)
	v_mul_f64 v[175:176], v[6:7], v[32:33]
	v_mul_f64 v[32:33], v[8:9], v[32:33]
	;; [unrolled: 18-line block ×3, first 2 shown]
	v_fma_f64 v[177:178], v[4:5], v[38:39], v[177:178]
	v_fma_f64 v[183:184], v[2:3], v[38:39], -v[40:41]
	ds_load_b128 v[2:5], v1 offset:1040
	scratch_load_b128 v[38:41], off, off offset:528
	v_add_f64 v[171:172], v[171:172], v[181:182]
	v_add_f64 v[173:174], v[173:174], v[175:176]
	v_fma_f64 v[179:180], v[8:9], v[167:168], v[179:180]
	v_fma_f64 v[181:182], v[6:7], v[167:168], -v[169:170]
	ds_load_b128 v[6:9], v1 offset:1056
	scratch_load_b128 v[167:170], off, off offset:544
	s_waitcnt vmcnt(9) lgkmcnt(1)
	v_mul_f64 v[175:176], v[2:3], v[36:37]
	v_mul_f64 v[36:37], v[4:5], v[36:37]
	v_add_f64 v[171:172], v[171:172], v[183:184]
	v_add_f64 v[173:174], v[173:174], v[177:178]
	s_waitcnt vmcnt(8) lgkmcnt(0)
	v_mul_f64 v[177:178], v[6:7], v[165:166]
	v_mul_f64 v[165:166], v[8:9], v[165:166]
	v_fma_f64 v[175:176], v[4:5], v[34:35], v[175:176]
	v_fma_f64 v[183:184], v[2:3], v[34:35], -v[36:37]
	scratch_load_b128 v[34:37], off, off offset:560
	ds_load_b128 v[2:5], v1 offset:1072
	v_add_f64 v[171:172], v[171:172], v[181:182]
	v_add_f64 v[173:174], v[173:174], v[179:180]
	v_fma_f64 v[177:178], v[8:9], v[163:164], v[177:178]
	v_fma_f64 v[181:182], v[6:7], v[163:164], -v[165:166]
	ds_load_b128 v[6:9], v1 offset:1088
	s_waitcnt vmcnt(8) lgkmcnt(1)
	v_mul_f64 v[179:180], v[2:3], v[12:13]
	v_mul_f64 v[12:13], v[4:5], v[12:13]
	scratch_load_b128 v[163:166], off, off offset:576
	v_add_f64 v[171:172], v[171:172], v[183:184]
	v_add_f64 v[173:174], v[173:174], v[175:176]
	s_waitcnt vmcnt(8) lgkmcnt(0)
	v_mul_f64 v[175:176], v[6:7], v[16:17]
	v_mul_f64 v[16:17], v[8:9], v[16:17]
	v_fma_f64 v[179:180], v[4:5], v[10:11], v[179:180]
	v_fma_f64 v[183:184], v[2:3], v[10:11], -v[12:13]
	scratch_load_b128 v[10:13], off, off offset:592
	ds_load_b128 v[2:5], v1 offset:1104
	v_add_f64 v[171:172], v[171:172], v[181:182]
	v_add_f64 v[173:174], v[173:174], v[177:178]
	v_fma_f64 v[175:176], v[8:9], v[14:15], v[175:176]
	v_fma_f64 v[181:182], v[6:7], v[14:15], -v[16:17]
	ds_load_b128 v[6:9], v1 offset:1120
	s_waitcnt vmcnt(8) lgkmcnt(1)
	v_mul_f64 v[177:178], v[2:3], v[20:21]
	v_mul_f64 v[20:21], v[4:5], v[20:21]
	scratch_load_b128 v[14:17], off, off offset:608
	v_add_f64 v[171:172], v[171:172], v[183:184]
	v_add_f64 v[173:174], v[173:174], v[179:180]
	s_waitcnt vmcnt(8) lgkmcnt(0)
	v_mul_f64 v[179:180], v[6:7], v[24:25]
	v_mul_f64 v[24:25], v[8:9], v[24:25]
	v_fma_f64 v[177:178], v[4:5], v[18:19], v[177:178]
	v_fma_f64 v[183:184], v[2:3], v[18:19], -v[20:21]
	scratch_load_b128 v[18:21], off, off offset:624
	ds_load_b128 v[2:5], v1 offset:1136
	v_add_f64 v[171:172], v[171:172], v[181:182]
	v_add_f64 v[173:174], v[173:174], v[175:176]
	v_fma_f64 v[179:180], v[8:9], v[22:23], v[179:180]
	v_fma_f64 v[22:23], v[6:7], v[22:23], -v[24:25]
	ds_load_b128 v[6:9], v1 offset:1152
	s_waitcnt vmcnt(8) lgkmcnt(1)
	v_mul_f64 v[175:176], v[2:3], v[28:29]
	v_mul_f64 v[28:29], v[4:5], v[28:29]
	v_add_f64 v[24:25], v[171:172], v[183:184]
	v_add_f64 v[171:172], v[173:174], v[177:178]
	s_waitcnt vmcnt(7) lgkmcnt(0)
	v_mul_f64 v[173:174], v[6:7], v[32:33]
	v_mul_f64 v[32:33], v[8:9], v[32:33]
	v_fma_f64 v[175:176], v[4:5], v[26:27], v[175:176]
	v_fma_f64 v[26:27], v[2:3], v[26:27], -v[28:29]
	ds_load_b128 v[2:5], v1 offset:1168
	v_add_f64 v[22:23], v[24:25], v[22:23]
	v_add_f64 v[24:25], v[171:172], v[179:180]
	v_fma_f64 v[171:172], v[8:9], v[30:31], v[173:174]
	v_fma_f64 v[30:31], v[6:7], v[30:31], -v[32:33]
	ds_load_b128 v[6:9], v1 offset:1184
	s_waitcnt vmcnt(5) lgkmcnt(0)
	v_mul_f64 v[173:174], v[6:7], v[169:170]
	v_mul_f64 v[169:170], v[8:9], v[169:170]
	v_add_f64 v[26:27], v[22:23], v[26:27]
	v_add_f64 v[32:33], v[24:25], v[175:176]
	scratch_load_b128 v[22:25], off, off offset:224
	v_mul_f64 v[28:29], v[2:3], v[40:41]
	v_mul_f64 v[40:41], v[4:5], v[40:41]
	v_add_f64 v[26:27], v[26:27], v[30:31]
	v_add_f64 v[30:31], v[32:33], v[171:172]
	s_delay_alu instid0(VALU_DEP_4) | instskip(NEXT) | instid1(VALU_DEP_4)
	v_fma_f64 v[28:29], v[4:5], v[38:39], v[28:29]
	v_fma_f64 v[38:39], v[2:3], v[38:39], -v[40:41]
	ds_load_b128 v[2:5], v1 offset:1200
	v_fma_f64 v[40:41], v[8:9], v[167:168], v[173:174]
	v_fma_f64 v[167:168], v[6:7], v[167:168], -v[169:170]
	ds_load_b128 v[6:9], v1 offset:1216
	s_waitcnt vmcnt(5) lgkmcnt(1)
	v_mul_f64 v[32:33], v[2:3], v[36:37]
	v_mul_f64 v[36:37], v[4:5], v[36:37]
	v_add_f64 v[28:29], v[30:31], v[28:29]
	v_add_f64 v[26:27], v[26:27], v[38:39]
	s_waitcnt vmcnt(4) lgkmcnt(0)
	v_mul_f64 v[30:31], v[6:7], v[165:166]
	v_mul_f64 v[38:39], v[8:9], v[165:166]
	v_fma_f64 v[32:33], v[4:5], v[34:35], v[32:33]
	v_fma_f64 v[34:35], v[2:3], v[34:35], -v[36:37]
	ds_load_b128 v[2:5], v1 offset:1232
	v_add_f64 v[28:29], v[28:29], v[40:41]
	v_add_f64 v[26:27], v[26:27], v[167:168]
	v_fma_f64 v[30:31], v[8:9], v[163:164], v[30:31]
	v_fma_f64 v[38:39], v[6:7], v[163:164], -v[38:39]
	ds_load_b128 v[6:9], v1 offset:1248
	s_waitcnt vmcnt(3) lgkmcnt(1)
	v_mul_f64 v[36:37], v[2:3], v[12:13]
	v_mul_f64 v[12:13], v[4:5], v[12:13]
	v_add_f64 v[28:29], v[28:29], v[32:33]
	v_add_f64 v[26:27], v[26:27], v[34:35]
	s_waitcnt vmcnt(2) lgkmcnt(0)
	v_mul_f64 v[32:33], v[6:7], v[16:17]
	v_mul_f64 v[16:17], v[8:9], v[16:17]
	v_fma_f64 v[34:35], v[4:5], v[10:11], v[36:37]
	v_fma_f64 v[10:11], v[2:3], v[10:11], -v[12:13]
	ds_load_b128 v[2:5], v1 offset:1264
	v_add_f64 v[12:13], v[26:27], v[38:39]
	v_add_f64 v[26:27], v[28:29], v[30:31]
	s_waitcnt vmcnt(1) lgkmcnt(0)
	v_mul_f64 v[28:29], v[2:3], v[20:21]
	v_mul_f64 v[20:21], v[4:5], v[20:21]
	v_fma_f64 v[8:9], v[8:9], v[14:15], v[32:33]
	v_fma_f64 v[6:7], v[6:7], v[14:15], -v[16:17]
	v_add_f64 v[10:11], v[12:13], v[10:11]
	v_add_f64 v[12:13], v[26:27], v[34:35]
	v_fma_f64 v[4:5], v[4:5], v[18:19], v[28:29]
	v_fma_f64 v[2:3], v[2:3], v[18:19], -v[20:21]
	s_delay_alu instid0(VALU_DEP_4) | instskip(NEXT) | instid1(VALU_DEP_4)
	v_add_f64 v[6:7], v[10:11], v[6:7]
	v_add_f64 v[8:9], v[12:13], v[8:9]
	s_delay_alu instid0(VALU_DEP_2) | instskip(NEXT) | instid1(VALU_DEP_2)
	v_add_f64 v[2:3], v[6:7], v[2:3]
	v_add_f64 v[4:5], v[8:9], v[4:5]
	s_waitcnt vmcnt(0)
	s_delay_alu instid0(VALU_DEP_2) | instskip(NEXT) | instid1(VALU_DEP_2)
	v_add_f64 v[2:3], v[22:23], -v[2:3]
	v_add_f64 v[4:5], v[24:25], -v[4:5]
	scratch_store_b128 off, v[2:5], off offset:224
	v_cmpx_lt_u32_e32 13, v122
	s_cbranch_execz .LBB103_227
; %bb.226:
	scratch_load_b128 v[5:8], v153, off
	v_mov_b32_e32 v2, v1
	v_mov_b32_e32 v3, v1
	;; [unrolled: 1-line block ×3, first 2 shown]
	scratch_store_b128 off, v[1:4], off offset:208
	s_waitcnt vmcnt(0)
	ds_store_b128 v162, v[5:8]
.LBB103_227:
	s_or_b32 exec_lo, exec_lo, s2
	s_waitcnt lgkmcnt(0)
	s_waitcnt_vscnt null, 0x0
	s_barrier
	buffer_gl0_inv
	s_clause 0x7
	scratch_load_b128 v[2:5], off, off offset:224
	scratch_load_b128 v[6:9], off, off offset:240
	;; [unrolled: 1-line block ×8, first 2 shown]
	ds_load_b128 v[38:41], v1 offset:864
	ds_load_b128 v[163:166], v1 offset:880
	s_clause 0x1
	scratch_load_b128 v[34:37], off, off offset:352
	scratch_load_b128 v[167:170], off, off offset:368
	s_mov_b32 s2, exec_lo
	s_waitcnt vmcnt(9) lgkmcnt(1)
	v_mul_f64 v[171:172], v[40:41], v[4:5]
	v_mul_f64 v[4:5], v[38:39], v[4:5]
	s_waitcnt vmcnt(8) lgkmcnt(0)
	v_mul_f64 v[173:174], v[163:164], v[8:9]
	v_mul_f64 v[8:9], v[165:166], v[8:9]
	s_delay_alu instid0(VALU_DEP_4) | instskip(NEXT) | instid1(VALU_DEP_4)
	v_fma_f64 v[171:172], v[38:39], v[2:3], -v[171:172]
	v_fma_f64 v[175:176], v[40:41], v[2:3], v[4:5]
	ds_load_b128 v[2:5], v1 offset:896
	scratch_load_b128 v[38:41], off, off offset:384
	v_fma_f64 v[173:174], v[165:166], v[6:7], v[173:174]
	v_fma_f64 v[179:180], v[163:164], v[6:7], -v[8:9]
	scratch_load_b128 v[163:166], off, off offset:400
	ds_load_b128 v[6:9], v1 offset:912
	s_waitcnt vmcnt(9) lgkmcnt(1)
	v_mul_f64 v[177:178], v[2:3], v[12:13]
	v_mul_f64 v[12:13], v[4:5], v[12:13]
	s_waitcnt vmcnt(8) lgkmcnt(0)
	v_mul_f64 v[181:182], v[6:7], v[16:17]
	v_mul_f64 v[16:17], v[8:9], v[16:17]
	v_add_f64 v[171:172], v[171:172], 0
	v_add_f64 v[175:176], v[175:176], 0
	v_fma_f64 v[177:178], v[4:5], v[10:11], v[177:178]
	v_fma_f64 v[183:184], v[2:3], v[10:11], -v[12:13]
	ds_load_b128 v[2:5], v1 offset:928
	scratch_load_b128 v[10:13], off, off offset:416
	v_add_f64 v[171:172], v[171:172], v[179:180]
	v_add_f64 v[173:174], v[175:176], v[173:174]
	v_fma_f64 v[179:180], v[8:9], v[14:15], v[181:182]
	v_fma_f64 v[181:182], v[6:7], v[14:15], -v[16:17]
	scratch_load_b128 v[14:17], off, off offset:432
	ds_load_b128 v[6:9], v1 offset:944
	s_waitcnt vmcnt(9) lgkmcnt(1)
	v_mul_f64 v[175:176], v[2:3], v[20:21]
	v_mul_f64 v[20:21], v[4:5], v[20:21]
	v_add_f64 v[171:172], v[171:172], v[183:184]
	v_add_f64 v[173:174], v[173:174], v[177:178]
	s_waitcnt vmcnt(8) lgkmcnt(0)
	v_mul_f64 v[177:178], v[6:7], v[24:25]
	v_mul_f64 v[24:25], v[8:9], v[24:25]
	v_fma_f64 v[175:176], v[4:5], v[18:19], v[175:176]
	v_fma_f64 v[183:184], v[2:3], v[18:19], -v[20:21]
	ds_load_b128 v[2:5], v1 offset:960
	scratch_load_b128 v[18:21], off, off offset:448
	v_add_f64 v[171:172], v[171:172], v[181:182]
	v_add_f64 v[173:174], v[173:174], v[179:180]
	v_fma_f64 v[177:178], v[8:9], v[22:23], v[177:178]
	v_fma_f64 v[181:182], v[6:7], v[22:23], -v[24:25]
	scratch_load_b128 v[22:25], off, off offset:464
	ds_load_b128 v[6:9], v1 offset:976
	s_waitcnt vmcnt(9) lgkmcnt(1)
	v_mul_f64 v[179:180], v[2:3], v[28:29]
	v_mul_f64 v[28:29], v[4:5], v[28:29]
	v_add_f64 v[171:172], v[171:172], v[183:184]
	v_add_f64 v[173:174], v[173:174], v[175:176]
	s_waitcnt vmcnt(8) lgkmcnt(0)
	v_mul_f64 v[175:176], v[6:7], v[32:33]
	v_mul_f64 v[32:33], v[8:9], v[32:33]
	v_fma_f64 v[179:180], v[4:5], v[26:27], v[179:180]
	v_fma_f64 v[183:184], v[2:3], v[26:27], -v[28:29]
	ds_load_b128 v[2:5], v1 offset:992
	scratch_load_b128 v[26:29], off, off offset:480
	v_add_f64 v[171:172], v[171:172], v[181:182]
	v_add_f64 v[173:174], v[173:174], v[177:178]
	v_fma_f64 v[175:176], v[8:9], v[30:31], v[175:176]
	v_fma_f64 v[181:182], v[6:7], v[30:31], -v[32:33]
	scratch_load_b128 v[30:33], off, off offset:496
	ds_load_b128 v[6:9], v1 offset:1008
	s_waitcnt vmcnt(9) lgkmcnt(1)
	v_mul_f64 v[177:178], v[2:3], v[36:37]
	v_mul_f64 v[36:37], v[4:5], v[36:37]
	v_add_f64 v[171:172], v[171:172], v[183:184]
	v_add_f64 v[173:174], v[173:174], v[179:180]
	s_waitcnt vmcnt(8) lgkmcnt(0)
	v_mul_f64 v[179:180], v[6:7], v[169:170]
	v_mul_f64 v[169:170], v[8:9], v[169:170]
	v_fma_f64 v[177:178], v[4:5], v[34:35], v[177:178]
	v_fma_f64 v[183:184], v[2:3], v[34:35], -v[36:37]
	ds_load_b128 v[2:5], v1 offset:1024
	scratch_load_b128 v[34:37], off, off offset:512
	v_add_f64 v[171:172], v[171:172], v[181:182]
	v_add_f64 v[173:174], v[173:174], v[175:176]
	v_fma_f64 v[179:180], v[8:9], v[167:168], v[179:180]
	v_fma_f64 v[181:182], v[6:7], v[167:168], -v[169:170]
	ds_load_b128 v[6:9], v1 offset:1040
	scratch_load_b128 v[167:170], off, off offset:528
	s_waitcnt vmcnt(9) lgkmcnt(1)
	v_mul_f64 v[175:176], v[2:3], v[40:41]
	v_mul_f64 v[40:41], v[4:5], v[40:41]
	v_add_f64 v[171:172], v[171:172], v[183:184]
	v_add_f64 v[173:174], v[173:174], v[177:178]
	s_waitcnt vmcnt(8) lgkmcnt(0)
	v_mul_f64 v[177:178], v[6:7], v[165:166]
	v_mul_f64 v[165:166], v[8:9], v[165:166]
	v_fma_f64 v[175:176], v[4:5], v[38:39], v[175:176]
	v_fma_f64 v[183:184], v[2:3], v[38:39], -v[40:41]
	ds_load_b128 v[2:5], v1 offset:1056
	scratch_load_b128 v[38:41], off, off offset:544
	v_add_f64 v[171:172], v[171:172], v[181:182]
	v_add_f64 v[173:174], v[173:174], v[179:180]
	v_fma_f64 v[177:178], v[8:9], v[163:164], v[177:178]
	v_fma_f64 v[181:182], v[6:7], v[163:164], -v[165:166]
	ds_load_b128 v[6:9], v1 offset:1072
	s_waitcnt vmcnt(8) lgkmcnt(1)
	v_mul_f64 v[179:180], v[2:3], v[12:13]
	v_mul_f64 v[12:13], v[4:5], v[12:13]
	scratch_load_b128 v[163:166], off, off offset:560
	v_add_f64 v[171:172], v[171:172], v[183:184]
	v_add_f64 v[173:174], v[173:174], v[175:176]
	s_waitcnt vmcnt(8) lgkmcnt(0)
	v_mul_f64 v[175:176], v[6:7], v[16:17]
	v_mul_f64 v[16:17], v[8:9], v[16:17]
	v_fma_f64 v[179:180], v[4:5], v[10:11], v[179:180]
	v_fma_f64 v[183:184], v[2:3], v[10:11], -v[12:13]
	scratch_load_b128 v[10:13], off, off offset:576
	ds_load_b128 v[2:5], v1 offset:1088
	v_add_f64 v[171:172], v[171:172], v[181:182]
	v_add_f64 v[173:174], v[173:174], v[177:178]
	v_fma_f64 v[175:176], v[8:9], v[14:15], v[175:176]
	v_fma_f64 v[181:182], v[6:7], v[14:15], -v[16:17]
	ds_load_b128 v[6:9], v1 offset:1104
	s_waitcnt vmcnt(8) lgkmcnt(1)
	v_mul_f64 v[177:178], v[2:3], v[20:21]
	v_mul_f64 v[20:21], v[4:5], v[20:21]
	scratch_load_b128 v[14:17], off, off offset:592
	v_add_f64 v[171:172], v[171:172], v[183:184]
	v_add_f64 v[173:174], v[173:174], v[179:180]
	s_waitcnt vmcnt(8) lgkmcnt(0)
	v_mul_f64 v[179:180], v[6:7], v[24:25]
	v_mul_f64 v[24:25], v[8:9], v[24:25]
	v_fma_f64 v[177:178], v[4:5], v[18:19], v[177:178]
	v_fma_f64 v[183:184], v[2:3], v[18:19], -v[20:21]
	scratch_load_b128 v[18:21], off, off offset:608
	ds_load_b128 v[2:5], v1 offset:1120
	v_add_f64 v[171:172], v[171:172], v[181:182]
	v_add_f64 v[173:174], v[173:174], v[175:176]
	v_fma_f64 v[179:180], v[8:9], v[22:23], v[179:180]
	v_fma_f64 v[181:182], v[6:7], v[22:23], -v[24:25]
	ds_load_b128 v[6:9], v1 offset:1136
	s_waitcnt vmcnt(8) lgkmcnt(1)
	v_mul_f64 v[175:176], v[2:3], v[28:29]
	v_mul_f64 v[28:29], v[4:5], v[28:29]
	scratch_load_b128 v[22:25], off, off offset:624
	v_add_f64 v[171:172], v[171:172], v[183:184]
	v_add_f64 v[173:174], v[173:174], v[177:178]
	s_waitcnt vmcnt(8) lgkmcnt(0)
	v_mul_f64 v[177:178], v[6:7], v[32:33]
	v_mul_f64 v[32:33], v[8:9], v[32:33]
	v_fma_f64 v[175:176], v[4:5], v[26:27], v[175:176]
	v_fma_f64 v[26:27], v[2:3], v[26:27], -v[28:29]
	ds_load_b128 v[2:5], v1 offset:1152
	v_add_f64 v[28:29], v[171:172], v[181:182]
	v_add_f64 v[171:172], v[173:174], v[179:180]
	v_fma_f64 v[177:178], v[8:9], v[30:31], v[177:178]
	v_fma_f64 v[30:31], v[6:7], v[30:31], -v[32:33]
	ds_load_b128 v[6:9], v1 offset:1168
	s_waitcnt vmcnt(7) lgkmcnt(1)
	v_mul_f64 v[173:174], v[2:3], v[36:37]
	v_mul_f64 v[36:37], v[4:5], v[36:37]
	v_add_f64 v[26:27], v[28:29], v[26:27]
	v_add_f64 v[28:29], v[171:172], v[175:176]
	s_delay_alu instid0(VALU_DEP_4) | instskip(NEXT) | instid1(VALU_DEP_4)
	v_fma_f64 v[171:172], v[4:5], v[34:35], v[173:174]
	v_fma_f64 v[34:35], v[2:3], v[34:35], -v[36:37]
	ds_load_b128 v[2:5], v1 offset:1184
	v_add_f64 v[30:31], v[26:27], v[30:31]
	v_add_f64 v[36:37], v[28:29], v[177:178]
	scratch_load_b128 v[26:29], off, off offset:208
	s_waitcnt vmcnt(7) lgkmcnt(1)
	v_mul_f64 v[32:33], v[6:7], v[169:170]
	v_mul_f64 v[169:170], v[8:9], v[169:170]
	v_add_f64 v[30:31], v[30:31], v[34:35]
	v_add_f64 v[34:35], v[36:37], v[171:172]
	s_delay_alu instid0(VALU_DEP_4) | instskip(NEXT) | instid1(VALU_DEP_4)
	v_fma_f64 v[32:33], v[8:9], v[167:168], v[32:33]
	v_fma_f64 v[167:168], v[6:7], v[167:168], -v[169:170]
	ds_load_b128 v[6:9], v1 offset:1200
	s_waitcnt vmcnt(6) lgkmcnt(1)
	v_mul_f64 v[173:174], v[2:3], v[40:41]
	v_mul_f64 v[40:41], v[4:5], v[40:41]
	s_waitcnt vmcnt(5) lgkmcnt(0)
	v_mul_f64 v[36:37], v[6:7], v[165:166]
	v_mul_f64 v[165:166], v[8:9], v[165:166]
	v_add_f64 v[32:33], v[34:35], v[32:33]
	v_add_f64 v[30:31], v[30:31], v[167:168]
	v_fma_f64 v[169:170], v[4:5], v[38:39], v[173:174]
	v_fma_f64 v[38:39], v[2:3], v[38:39], -v[40:41]
	ds_load_b128 v[2:5], v1 offset:1216
	v_fma_f64 v[36:37], v[8:9], v[163:164], v[36:37]
	v_fma_f64 v[40:41], v[6:7], v[163:164], -v[165:166]
	ds_load_b128 v[6:9], v1 offset:1232
	s_waitcnt vmcnt(4) lgkmcnt(1)
	v_mul_f64 v[34:35], v[2:3], v[12:13]
	v_mul_f64 v[12:13], v[4:5], v[12:13]
	v_add_f64 v[32:33], v[32:33], v[169:170]
	v_add_f64 v[30:31], v[30:31], v[38:39]
	s_waitcnt vmcnt(3) lgkmcnt(0)
	v_mul_f64 v[38:39], v[6:7], v[16:17]
	v_mul_f64 v[16:17], v[8:9], v[16:17]
	v_fma_f64 v[34:35], v[4:5], v[10:11], v[34:35]
	v_fma_f64 v[10:11], v[2:3], v[10:11], -v[12:13]
	ds_load_b128 v[2:5], v1 offset:1248
	v_add_f64 v[12:13], v[30:31], v[40:41]
	v_add_f64 v[30:31], v[32:33], v[36:37]
	v_fma_f64 v[36:37], v[8:9], v[14:15], v[38:39]
	v_fma_f64 v[14:15], v[6:7], v[14:15], -v[16:17]
	ds_load_b128 v[6:9], v1 offset:1264
	s_waitcnt vmcnt(2) lgkmcnt(1)
	v_mul_f64 v[32:33], v[2:3], v[20:21]
	v_mul_f64 v[20:21], v[4:5], v[20:21]
	s_waitcnt vmcnt(1) lgkmcnt(0)
	v_mul_f64 v[16:17], v[6:7], v[24:25]
	v_mul_f64 v[24:25], v[8:9], v[24:25]
	v_add_f64 v[10:11], v[12:13], v[10:11]
	v_add_f64 v[12:13], v[30:31], v[34:35]
	v_fma_f64 v[4:5], v[4:5], v[18:19], v[32:33]
	v_fma_f64 v[1:2], v[2:3], v[18:19], -v[20:21]
	v_fma_f64 v[8:9], v[8:9], v[22:23], v[16:17]
	v_fma_f64 v[6:7], v[6:7], v[22:23], -v[24:25]
	v_add_f64 v[10:11], v[10:11], v[14:15]
	v_add_f64 v[12:13], v[12:13], v[36:37]
	s_delay_alu instid0(VALU_DEP_2) | instskip(NEXT) | instid1(VALU_DEP_2)
	v_add_f64 v[1:2], v[10:11], v[1:2]
	v_add_f64 v[3:4], v[12:13], v[4:5]
	s_delay_alu instid0(VALU_DEP_2) | instskip(NEXT) | instid1(VALU_DEP_2)
	v_add_f64 v[1:2], v[1:2], v[6:7]
	v_add_f64 v[3:4], v[3:4], v[8:9]
	s_waitcnt vmcnt(0)
	s_delay_alu instid0(VALU_DEP_2) | instskip(NEXT) | instid1(VALU_DEP_2)
	v_add_f64 v[1:2], v[26:27], -v[1:2]
	v_add_f64 v[3:4], v[28:29], -v[3:4]
	scratch_store_b128 off, v[1:4], off offset:208
	v_cmpx_lt_u32_e32 12, v122
	s_cbranch_execz .LBB103_229
; %bb.228:
	scratch_load_b128 v[1:4], v154, off
	v_mov_b32_e32 v5, 0
	s_delay_alu instid0(VALU_DEP_1)
	v_mov_b32_e32 v6, v5
	v_mov_b32_e32 v7, v5
	;; [unrolled: 1-line block ×3, first 2 shown]
	scratch_store_b128 off, v[5:8], off offset:192
	s_waitcnt vmcnt(0)
	ds_store_b128 v162, v[1:4]
.LBB103_229:
	s_or_b32 exec_lo, exec_lo, s2
	s_waitcnt lgkmcnt(0)
	s_waitcnt_vscnt null, 0x0
	s_barrier
	buffer_gl0_inv
	s_clause 0x7
	scratch_load_b128 v[2:5], off, off offset:208
	scratch_load_b128 v[6:9], off, off offset:224
	;; [unrolled: 1-line block ×8, first 2 shown]
	v_mov_b32_e32 v1, 0
	s_clause 0x1
	scratch_load_b128 v[34:37], off, off offset:336
	scratch_load_b128 v[167:170], off, off offset:352
	s_mov_b32 s2, exec_lo
	ds_load_b128 v[38:41], v1 offset:848
	ds_load_b128 v[163:166], v1 offset:864
	s_waitcnt vmcnt(9) lgkmcnt(1)
	v_mul_f64 v[171:172], v[40:41], v[4:5]
	v_mul_f64 v[4:5], v[38:39], v[4:5]
	s_waitcnt vmcnt(8) lgkmcnt(0)
	v_mul_f64 v[173:174], v[163:164], v[8:9]
	v_mul_f64 v[8:9], v[165:166], v[8:9]
	s_delay_alu instid0(VALU_DEP_4) | instskip(NEXT) | instid1(VALU_DEP_4)
	v_fma_f64 v[171:172], v[38:39], v[2:3], -v[171:172]
	v_fma_f64 v[175:176], v[40:41], v[2:3], v[4:5]
	ds_load_b128 v[2:5], v1 offset:880
	scratch_load_b128 v[38:41], off, off offset:368
	v_fma_f64 v[173:174], v[165:166], v[6:7], v[173:174]
	v_fma_f64 v[179:180], v[163:164], v[6:7], -v[8:9]
	scratch_load_b128 v[163:166], off, off offset:384
	ds_load_b128 v[6:9], v1 offset:896
	s_waitcnt vmcnt(9) lgkmcnt(1)
	v_mul_f64 v[177:178], v[2:3], v[12:13]
	v_mul_f64 v[12:13], v[4:5], v[12:13]
	s_waitcnt vmcnt(8) lgkmcnt(0)
	v_mul_f64 v[181:182], v[6:7], v[16:17]
	v_mul_f64 v[16:17], v[8:9], v[16:17]
	v_add_f64 v[171:172], v[171:172], 0
	v_add_f64 v[175:176], v[175:176], 0
	v_fma_f64 v[177:178], v[4:5], v[10:11], v[177:178]
	v_fma_f64 v[183:184], v[2:3], v[10:11], -v[12:13]
	ds_load_b128 v[2:5], v1 offset:912
	scratch_load_b128 v[10:13], off, off offset:400
	v_add_f64 v[171:172], v[171:172], v[179:180]
	v_add_f64 v[173:174], v[175:176], v[173:174]
	v_fma_f64 v[179:180], v[8:9], v[14:15], v[181:182]
	v_fma_f64 v[181:182], v[6:7], v[14:15], -v[16:17]
	scratch_load_b128 v[14:17], off, off offset:416
	ds_load_b128 v[6:9], v1 offset:928
	s_waitcnt vmcnt(9) lgkmcnt(1)
	v_mul_f64 v[175:176], v[2:3], v[20:21]
	v_mul_f64 v[20:21], v[4:5], v[20:21]
	v_add_f64 v[171:172], v[171:172], v[183:184]
	v_add_f64 v[173:174], v[173:174], v[177:178]
	s_waitcnt vmcnt(8) lgkmcnt(0)
	v_mul_f64 v[177:178], v[6:7], v[24:25]
	v_mul_f64 v[24:25], v[8:9], v[24:25]
	v_fma_f64 v[175:176], v[4:5], v[18:19], v[175:176]
	v_fma_f64 v[183:184], v[2:3], v[18:19], -v[20:21]
	ds_load_b128 v[2:5], v1 offset:944
	scratch_load_b128 v[18:21], off, off offset:432
	v_add_f64 v[171:172], v[171:172], v[181:182]
	v_add_f64 v[173:174], v[173:174], v[179:180]
	v_fma_f64 v[177:178], v[8:9], v[22:23], v[177:178]
	v_fma_f64 v[181:182], v[6:7], v[22:23], -v[24:25]
	scratch_load_b128 v[22:25], off, off offset:448
	ds_load_b128 v[6:9], v1 offset:960
	s_waitcnt vmcnt(9) lgkmcnt(1)
	v_mul_f64 v[179:180], v[2:3], v[28:29]
	v_mul_f64 v[28:29], v[4:5], v[28:29]
	v_add_f64 v[171:172], v[171:172], v[183:184]
	v_add_f64 v[173:174], v[173:174], v[175:176]
	s_waitcnt vmcnt(8) lgkmcnt(0)
	v_mul_f64 v[175:176], v[6:7], v[32:33]
	v_mul_f64 v[32:33], v[8:9], v[32:33]
	;; [unrolled: 18-line block ×4, first 2 shown]
	v_fma_f64 v[175:176], v[4:5], v[38:39], v[175:176]
	v_fma_f64 v[183:184], v[2:3], v[38:39], -v[40:41]
	ds_load_b128 v[2:5], v1 offset:1040
	scratch_load_b128 v[38:41], off, off offset:528
	v_add_f64 v[171:172], v[171:172], v[181:182]
	v_add_f64 v[173:174], v[173:174], v[179:180]
	v_fma_f64 v[177:178], v[8:9], v[163:164], v[177:178]
	v_fma_f64 v[181:182], v[6:7], v[163:164], -v[165:166]
	ds_load_b128 v[6:9], v1 offset:1056
	s_waitcnt vmcnt(8) lgkmcnt(1)
	v_mul_f64 v[179:180], v[2:3], v[12:13]
	v_mul_f64 v[12:13], v[4:5], v[12:13]
	scratch_load_b128 v[163:166], off, off offset:544
	v_add_f64 v[171:172], v[171:172], v[183:184]
	v_add_f64 v[173:174], v[173:174], v[175:176]
	s_waitcnt vmcnt(8) lgkmcnt(0)
	v_mul_f64 v[175:176], v[6:7], v[16:17]
	v_mul_f64 v[16:17], v[8:9], v[16:17]
	v_fma_f64 v[179:180], v[4:5], v[10:11], v[179:180]
	v_fma_f64 v[183:184], v[2:3], v[10:11], -v[12:13]
	scratch_load_b128 v[10:13], off, off offset:560
	ds_load_b128 v[2:5], v1 offset:1072
	v_add_f64 v[171:172], v[171:172], v[181:182]
	v_add_f64 v[173:174], v[173:174], v[177:178]
	v_fma_f64 v[175:176], v[8:9], v[14:15], v[175:176]
	v_fma_f64 v[181:182], v[6:7], v[14:15], -v[16:17]
	ds_load_b128 v[6:9], v1 offset:1088
	s_waitcnt vmcnt(8) lgkmcnt(1)
	v_mul_f64 v[177:178], v[2:3], v[20:21]
	v_mul_f64 v[20:21], v[4:5], v[20:21]
	scratch_load_b128 v[14:17], off, off offset:576
	v_add_f64 v[171:172], v[171:172], v[183:184]
	v_add_f64 v[173:174], v[173:174], v[179:180]
	s_waitcnt vmcnt(8) lgkmcnt(0)
	v_mul_f64 v[179:180], v[6:7], v[24:25]
	v_mul_f64 v[24:25], v[8:9], v[24:25]
	v_fma_f64 v[177:178], v[4:5], v[18:19], v[177:178]
	v_fma_f64 v[183:184], v[2:3], v[18:19], -v[20:21]
	scratch_load_b128 v[18:21], off, off offset:592
	ds_load_b128 v[2:5], v1 offset:1104
	;; [unrolled: 18-line block ×3, first 2 shown]
	v_add_f64 v[171:172], v[171:172], v[181:182]
	v_add_f64 v[173:174], v[173:174], v[179:180]
	v_fma_f64 v[177:178], v[8:9], v[30:31], v[177:178]
	v_fma_f64 v[30:31], v[6:7], v[30:31], -v[32:33]
	ds_load_b128 v[6:9], v1 offset:1152
	s_waitcnt vmcnt(8) lgkmcnt(1)
	v_mul_f64 v[179:180], v[2:3], v[36:37]
	v_mul_f64 v[36:37], v[4:5], v[36:37]
	v_add_f64 v[32:33], v[171:172], v[183:184]
	v_add_f64 v[171:172], v[173:174], v[175:176]
	s_waitcnt vmcnt(7) lgkmcnt(0)
	v_mul_f64 v[173:174], v[6:7], v[169:170]
	v_mul_f64 v[169:170], v[8:9], v[169:170]
	v_fma_f64 v[175:176], v[4:5], v[34:35], v[179:180]
	v_fma_f64 v[34:35], v[2:3], v[34:35], -v[36:37]
	ds_load_b128 v[2:5], v1 offset:1168
	v_add_f64 v[30:31], v[32:33], v[30:31]
	v_add_f64 v[32:33], v[171:172], v[177:178]
	v_fma_f64 v[171:172], v[8:9], v[167:168], v[173:174]
	v_fma_f64 v[167:168], v[6:7], v[167:168], -v[169:170]
	ds_load_b128 v[6:9], v1 offset:1184
	s_waitcnt vmcnt(5) lgkmcnt(0)
	v_mul_f64 v[173:174], v[6:7], v[165:166]
	v_mul_f64 v[165:166], v[8:9], v[165:166]
	v_add_f64 v[34:35], v[30:31], v[34:35]
	v_add_f64 v[169:170], v[32:33], v[175:176]
	scratch_load_b128 v[30:33], off, off offset:192
	v_mul_f64 v[36:37], v[2:3], v[40:41]
	v_mul_f64 v[40:41], v[4:5], v[40:41]
	v_add_f64 v[34:35], v[34:35], v[167:168]
	s_delay_alu instid0(VALU_DEP_3) | instskip(NEXT) | instid1(VALU_DEP_3)
	v_fma_f64 v[36:37], v[4:5], v[38:39], v[36:37]
	v_fma_f64 v[38:39], v[2:3], v[38:39], -v[40:41]
	v_add_f64 v[40:41], v[169:170], v[171:172]
	ds_load_b128 v[2:5], v1 offset:1200
	v_fma_f64 v[169:170], v[8:9], v[163:164], v[173:174]
	v_fma_f64 v[163:164], v[6:7], v[163:164], -v[165:166]
	ds_load_b128 v[6:9], v1 offset:1216
	s_waitcnt vmcnt(5) lgkmcnt(1)
	v_mul_f64 v[167:168], v[2:3], v[12:13]
	v_mul_f64 v[12:13], v[4:5], v[12:13]
	v_add_f64 v[34:35], v[34:35], v[38:39]
	v_add_f64 v[36:37], v[40:41], v[36:37]
	s_waitcnt vmcnt(4) lgkmcnt(0)
	v_mul_f64 v[38:39], v[6:7], v[16:17]
	v_mul_f64 v[16:17], v[8:9], v[16:17]
	v_fma_f64 v[40:41], v[4:5], v[10:11], v[167:168]
	v_fma_f64 v[10:11], v[2:3], v[10:11], -v[12:13]
	ds_load_b128 v[2:5], v1 offset:1232
	v_add_f64 v[12:13], v[34:35], v[163:164]
	v_add_f64 v[34:35], v[36:37], v[169:170]
	v_fma_f64 v[38:39], v[8:9], v[14:15], v[38:39]
	v_fma_f64 v[14:15], v[6:7], v[14:15], -v[16:17]
	ds_load_b128 v[6:9], v1 offset:1248
	s_waitcnt vmcnt(3) lgkmcnt(1)
	v_mul_f64 v[36:37], v[2:3], v[20:21]
	v_mul_f64 v[20:21], v[4:5], v[20:21]
	s_waitcnt vmcnt(2) lgkmcnt(0)
	v_mul_f64 v[16:17], v[6:7], v[24:25]
	v_mul_f64 v[24:25], v[8:9], v[24:25]
	v_add_f64 v[10:11], v[12:13], v[10:11]
	v_add_f64 v[12:13], v[34:35], v[40:41]
	v_fma_f64 v[34:35], v[4:5], v[18:19], v[36:37]
	v_fma_f64 v[18:19], v[2:3], v[18:19], -v[20:21]
	ds_load_b128 v[2:5], v1 offset:1264
	v_fma_f64 v[8:9], v[8:9], v[22:23], v[16:17]
	v_fma_f64 v[6:7], v[6:7], v[22:23], -v[24:25]
	s_waitcnt vmcnt(1) lgkmcnt(0)
	v_mul_f64 v[20:21], v[4:5], v[28:29]
	v_add_f64 v[10:11], v[10:11], v[14:15]
	v_add_f64 v[12:13], v[12:13], v[38:39]
	v_mul_f64 v[14:15], v[2:3], v[28:29]
	s_delay_alu instid0(VALU_DEP_4) | instskip(NEXT) | instid1(VALU_DEP_4)
	v_fma_f64 v[2:3], v[2:3], v[26:27], -v[20:21]
	v_add_f64 v[10:11], v[10:11], v[18:19]
	s_delay_alu instid0(VALU_DEP_4) | instskip(NEXT) | instid1(VALU_DEP_4)
	v_add_f64 v[12:13], v[12:13], v[34:35]
	v_fma_f64 v[4:5], v[4:5], v[26:27], v[14:15]
	s_delay_alu instid0(VALU_DEP_3) | instskip(NEXT) | instid1(VALU_DEP_3)
	v_add_f64 v[6:7], v[10:11], v[6:7]
	v_add_f64 v[8:9], v[12:13], v[8:9]
	s_delay_alu instid0(VALU_DEP_2) | instskip(NEXT) | instid1(VALU_DEP_2)
	v_add_f64 v[2:3], v[6:7], v[2:3]
	v_add_f64 v[4:5], v[8:9], v[4:5]
	s_waitcnt vmcnt(0)
	s_delay_alu instid0(VALU_DEP_2) | instskip(NEXT) | instid1(VALU_DEP_2)
	v_add_f64 v[2:3], v[30:31], -v[2:3]
	v_add_f64 v[4:5], v[32:33], -v[4:5]
	scratch_store_b128 off, v[2:5], off offset:192
	v_cmpx_lt_u32_e32 11, v122
	s_cbranch_execz .LBB103_231
; %bb.230:
	scratch_load_b128 v[5:8], v156, off
	v_mov_b32_e32 v2, v1
	v_mov_b32_e32 v3, v1
	v_mov_b32_e32 v4, v1
	scratch_store_b128 off, v[1:4], off offset:176
	s_waitcnt vmcnt(0)
	ds_store_b128 v162, v[5:8]
.LBB103_231:
	s_or_b32 exec_lo, exec_lo, s2
	s_waitcnt lgkmcnt(0)
	s_waitcnt_vscnt null, 0x0
	s_barrier
	buffer_gl0_inv
	s_clause 0x7
	scratch_load_b128 v[2:5], off, off offset:192
	scratch_load_b128 v[6:9], off, off offset:208
	;; [unrolled: 1-line block ×8, first 2 shown]
	ds_load_b128 v[38:41], v1 offset:832
	ds_load_b128 v[163:166], v1 offset:848
	s_clause 0x1
	scratch_load_b128 v[34:37], off, off offset:320
	scratch_load_b128 v[167:170], off, off offset:336
	s_mov_b32 s2, exec_lo
	s_waitcnt vmcnt(9) lgkmcnt(1)
	v_mul_f64 v[171:172], v[40:41], v[4:5]
	v_mul_f64 v[4:5], v[38:39], v[4:5]
	s_waitcnt vmcnt(8) lgkmcnt(0)
	v_mul_f64 v[173:174], v[163:164], v[8:9]
	v_mul_f64 v[8:9], v[165:166], v[8:9]
	s_delay_alu instid0(VALU_DEP_4) | instskip(NEXT) | instid1(VALU_DEP_4)
	v_fma_f64 v[171:172], v[38:39], v[2:3], -v[171:172]
	v_fma_f64 v[175:176], v[40:41], v[2:3], v[4:5]
	ds_load_b128 v[2:5], v1 offset:864
	scratch_load_b128 v[38:41], off, off offset:352
	v_fma_f64 v[173:174], v[165:166], v[6:7], v[173:174]
	v_fma_f64 v[179:180], v[163:164], v[6:7], -v[8:9]
	scratch_load_b128 v[163:166], off, off offset:368
	ds_load_b128 v[6:9], v1 offset:880
	s_waitcnt vmcnt(9) lgkmcnt(1)
	v_mul_f64 v[177:178], v[2:3], v[12:13]
	v_mul_f64 v[12:13], v[4:5], v[12:13]
	s_waitcnt vmcnt(8) lgkmcnt(0)
	v_mul_f64 v[181:182], v[6:7], v[16:17]
	v_mul_f64 v[16:17], v[8:9], v[16:17]
	v_add_f64 v[171:172], v[171:172], 0
	v_add_f64 v[175:176], v[175:176], 0
	v_fma_f64 v[177:178], v[4:5], v[10:11], v[177:178]
	v_fma_f64 v[183:184], v[2:3], v[10:11], -v[12:13]
	ds_load_b128 v[2:5], v1 offset:896
	scratch_load_b128 v[10:13], off, off offset:384
	v_add_f64 v[171:172], v[171:172], v[179:180]
	v_add_f64 v[173:174], v[175:176], v[173:174]
	v_fma_f64 v[179:180], v[8:9], v[14:15], v[181:182]
	v_fma_f64 v[181:182], v[6:7], v[14:15], -v[16:17]
	scratch_load_b128 v[14:17], off, off offset:400
	ds_load_b128 v[6:9], v1 offset:912
	s_waitcnt vmcnt(9) lgkmcnt(1)
	v_mul_f64 v[175:176], v[2:3], v[20:21]
	v_mul_f64 v[20:21], v[4:5], v[20:21]
	v_add_f64 v[171:172], v[171:172], v[183:184]
	v_add_f64 v[173:174], v[173:174], v[177:178]
	s_waitcnt vmcnt(8) lgkmcnt(0)
	v_mul_f64 v[177:178], v[6:7], v[24:25]
	v_mul_f64 v[24:25], v[8:9], v[24:25]
	v_fma_f64 v[175:176], v[4:5], v[18:19], v[175:176]
	v_fma_f64 v[183:184], v[2:3], v[18:19], -v[20:21]
	ds_load_b128 v[2:5], v1 offset:928
	scratch_load_b128 v[18:21], off, off offset:416
	v_add_f64 v[171:172], v[171:172], v[181:182]
	v_add_f64 v[173:174], v[173:174], v[179:180]
	v_fma_f64 v[177:178], v[8:9], v[22:23], v[177:178]
	v_fma_f64 v[181:182], v[6:7], v[22:23], -v[24:25]
	scratch_load_b128 v[22:25], off, off offset:432
	ds_load_b128 v[6:9], v1 offset:944
	s_waitcnt vmcnt(9) lgkmcnt(1)
	v_mul_f64 v[179:180], v[2:3], v[28:29]
	v_mul_f64 v[28:29], v[4:5], v[28:29]
	v_add_f64 v[171:172], v[171:172], v[183:184]
	v_add_f64 v[173:174], v[173:174], v[175:176]
	s_waitcnt vmcnt(8) lgkmcnt(0)
	v_mul_f64 v[175:176], v[6:7], v[32:33]
	v_mul_f64 v[32:33], v[8:9], v[32:33]
	;; [unrolled: 18-line block ×4, first 2 shown]
	v_fma_f64 v[175:176], v[4:5], v[38:39], v[175:176]
	v_fma_f64 v[183:184], v[2:3], v[38:39], -v[40:41]
	ds_load_b128 v[2:5], v1 offset:1024
	scratch_load_b128 v[38:41], off, off offset:512
	v_add_f64 v[171:172], v[171:172], v[181:182]
	v_add_f64 v[173:174], v[173:174], v[179:180]
	v_fma_f64 v[177:178], v[8:9], v[163:164], v[177:178]
	v_fma_f64 v[181:182], v[6:7], v[163:164], -v[165:166]
	ds_load_b128 v[6:9], v1 offset:1040
	s_waitcnt vmcnt(8) lgkmcnt(1)
	v_mul_f64 v[179:180], v[2:3], v[12:13]
	v_mul_f64 v[12:13], v[4:5], v[12:13]
	scratch_load_b128 v[163:166], off, off offset:528
	v_add_f64 v[171:172], v[171:172], v[183:184]
	v_add_f64 v[173:174], v[173:174], v[175:176]
	s_waitcnt vmcnt(8) lgkmcnt(0)
	v_mul_f64 v[175:176], v[6:7], v[16:17]
	v_mul_f64 v[16:17], v[8:9], v[16:17]
	v_fma_f64 v[179:180], v[4:5], v[10:11], v[179:180]
	v_fma_f64 v[183:184], v[2:3], v[10:11], -v[12:13]
	ds_load_b128 v[2:5], v1 offset:1056
	scratch_load_b128 v[10:13], off, off offset:544
	v_add_f64 v[171:172], v[171:172], v[181:182]
	v_add_f64 v[173:174], v[173:174], v[177:178]
	v_fma_f64 v[175:176], v[8:9], v[14:15], v[175:176]
	v_fma_f64 v[181:182], v[6:7], v[14:15], -v[16:17]
	ds_load_b128 v[6:9], v1 offset:1072
	s_waitcnt vmcnt(8) lgkmcnt(1)
	v_mul_f64 v[177:178], v[2:3], v[20:21]
	v_mul_f64 v[20:21], v[4:5], v[20:21]
	scratch_load_b128 v[14:17], off, off offset:560
	v_add_f64 v[171:172], v[171:172], v[183:184]
	v_add_f64 v[173:174], v[173:174], v[179:180]
	s_waitcnt vmcnt(8) lgkmcnt(0)
	v_mul_f64 v[179:180], v[6:7], v[24:25]
	v_mul_f64 v[24:25], v[8:9], v[24:25]
	v_fma_f64 v[177:178], v[4:5], v[18:19], v[177:178]
	v_fma_f64 v[183:184], v[2:3], v[18:19], -v[20:21]
	scratch_load_b128 v[18:21], off, off offset:576
	ds_load_b128 v[2:5], v1 offset:1088
	v_add_f64 v[171:172], v[171:172], v[181:182]
	v_add_f64 v[173:174], v[173:174], v[175:176]
	v_fma_f64 v[179:180], v[8:9], v[22:23], v[179:180]
	v_fma_f64 v[181:182], v[6:7], v[22:23], -v[24:25]
	ds_load_b128 v[6:9], v1 offset:1104
	s_waitcnt vmcnt(8) lgkmcnt(1)
	v_mul_f64 v[175:176], v[2:3], v[28:29]
	v_mul_f64 v[28:29], v[4:5], v[28:29]
	scratch_load_b128 v[22:25], off, off offset:592
	v_add_f64 v[171:172], v[171:172], v[183:184]
	v_add_f64 v[173:174], v[173:174], v[177:178]
	s_waitcnt vmcnt(8) lgkmcnt(0)
	v_mul_f64 v[177:178], v[6:7], v[32:33]
	v_mul_f64 v[32:33], v[8:9], v[32:33]
	v_fma_f64 v[175:176], v[4:5], v[26:27], v[175:176]
	v_fma_f64 v[183:184], v[2:3], v[26:27], -v[28:29]
	scratch_load_b128 v[26:29], off, off offset:608
	ds_load_b128 v[2:5], v1 offset:1120
	v_add_f64 v[171:172], v[171:172], v[181:182]
	v_add_f64 v[173:174], v[173:174], v[179:180]
	v_fma_f64 v[177:178], v[8:9], v[30:31], v[177:178]
	v_fma_f64 v[181:182], v[6:7], v[30:31], -v[32:33]
	ds_load_b128 v[6:9], v1 offset:1136
	s_waitcnt vmcnt(8) lgkmcnt(1)
	v_mul_f64 v[179:180], v[2:3], v[36:37]
	v_mul_f64 v[36:37], v[4:5], v[36:37]
	scratch_load_b128 v[30:33], off, off offset:624
	v_add_f64 v[171:172], v[171:172], v[183:184]
	v_add_f64 v[173:174], v[173:174], v[175:176]
	s_waitcnt vmcnt(8) lgkmcnt(0)
	v_mul_f64 v[175:176], v[6:7], v[169:170]
	v_mul_f64 v[169:170], v[8:9], v[169:170]
	v_fma_f64 v[179:180], v[4:5], v[34:35], v[179:180]
	v_fma_f64 v[34:35], v[2:3], v[34:35], -v[36:37]
	ds_load_b128 v[2:5], v1 offset:1152
	v_add_f64 v[36:37], v[171:172], v[181:182]
	v_add_f64 v[171:172], v[173:174], v[177:178]
	v_fma_f64 v[175:176], v[8:9], v[167:168], v[175:176]
	v_fma_f64 v[167:168], v[6:7], v[167:168], -v[169:170]
	ds_load_b128 v[6:9], v1 offset:1168
	s_waitcnt vmcnt(7) lgkmcnt(1)
	v_mul_f64 v[173:174], v[2:3], v[40:41]
	v_mul_f64 v[40:41], v[4:5], v[40:41]
	v_add_f64 v[34:35], v[36:37], v[34:35]
	v_add_f64 v[36:37], v[171:172], v[179:180]
	s_delay_alu instid0(VALU_DEP_4) | instskip(NEXT) | instid1(VALU_DEP_4)
	v_fma_f64 v[171:172], v[4:5], v[38:39], v[173:174]
	v_fma_f64 v[38:39], v[2:3], v[38:39], -v[40:41]
	ds_load_b128 v[2:5], v1 offset:1184
	v_add_f64 v[40:41], v[34:35], v[167:168]
	v_add_f64 v[167:168], v[36:37], v[175:176]
	scratch_load_b128 v[34:37], off, off offset:176
	s_waitcnt vmcnt(7) lgkmcnt(1)
	v_mul_f64 v[169:170], v[6:7], v[165:166]
	v_mul_f64 v[165:166], v[8:9], v[165:166]
	v_add_f64 v[38:39], v[40:41], v[38:39]
	v_add_f64 v[40:41], v[167:168], v[171:172]
	s_delay_alu instid0(VALU_DEP_4) | instskip(NEXT) | instid1(VALU_DEP_4)
	v_fma_f64 v[169:170], v[8:9], v[163:164], v[169:170]
	v_fma_f64 v[163:164], v[6:7], v[163:164], -v[165:166]
	ds_load_b128 v[6:9], v1 offset:1200
	s_waitcnt vmcnt(6) lgkmcnt(1)
	v_mul_f64 v[173:174], v[2:3], v[12:13]
	v_mul_f64 v[12:13], v[4:5], v[12:13]
	s_waitcnt vmcnt(5) lgkmcnt(0)
	v_mul_f64 v[165:166], v[6:7], v[16:17]
	v_mul_f64 v[16:17], v[8:9], v[16:17]
	s_delay_alu instid0(VALU_DEP_4) | instskip(NEXT) | instid1(VALU_DEP_4)
	v_fma_f64 v[167:168], v[4:5], v[10:11], v[173:174]
	v_fma_f64 v[10:11], v[2:3], v[10:11], -v[12:13]
	v_add_f64 v[12:13], v[38:39], v[163:164]
	v_add_f64 v[38:39], v[40:41], v[169:170]
	ds_load_b128 v[2:5], v1 offset:1216
	v_fma_f64 v[163:164], v[8:9], v[14:15], v[165:166]
	v_fma_f64 v[14:15], v[6:7], v[14:15], -v[16:17]
	ds_load_b128 v[6:9], v1 offset:1232
	s_waitcnt vmcnt(4) lgkmcnt(1)
	v_mul_f64 v[40:41], v[2:3], v[20:21]
	v_mul_f64 v[20:21], v[4:5], v[20:21]
	v_add_f64 v[10:11], v[12:13], v[10:11]
	v_add_f64 v[12:13], v[38:39], v[167:168]
	s_waitcnt vmcnt(3) lgkmcnt(0)
	v_mul_f64 v[16:17], v[6:7], v[24:25]
	v_mul_f64 v[24:25], v[8:9], v[24:25]
	v_fma_f64 v[38:39], v[4:5], v[18:19], v[40:41]
	v_fma_f64 v[18:19], v[2:3], v[18:19], -v[20:21]
	ds_load_b128 v[2:5], v1 offset:1248
	v_add_f64 v[10:11], v[10:11], v[14:15]
	v_add_f64 v[12:13], v[12:13], v[163:164]
	v_fma_f64 v[16:17], v[8:9], v[22:23], v[16:17]
	v_fma_f64 v[22:23], v[6:7], v[22:23], -v[24:25]
	ds_load_b128 v[6:9], v1 offset:1264
	s_waitcnt vmcnt(2) lgkmcnt(1)
	v_mul_f64 v[14:15], v[2:3], v[28:29]
	v_mul_f64 v[20:21], v[4:5], v[28:29]
	s_waitcnt vmcnt(1) lgkmcnt(0)
	v_mul_f64 v[24:25], v[8:9], v[32:33]
	v_add_f64 v[10:11], v[10:11], v[18:19]
	v_add_f64 v[12:13], v[12:13], v[38:39]
	v_mul_f64 v[18:19], v[6:7], v[32:33]
	v_fma_f64 v[4:5], v[4:5], v[26:27], v[14:15]
	v_fma_f64 v[1:2], v[2:3], v[26:27], -v[20:21]
	v_fma_f64 v[6:7], v[6:7], v[30:31], -v[24:25]
	v_add_f64 v[10:11], v[10:11], v[22:23]
	v_add_f64 v[12:13], v[12:13], v[16:17]
	v_fma_f64 v[8:9], v[8:9], v[30:31], v[18:19]
	s_delay_alu instid0(VALU_DEP_3) | instskip(NEXT) | instid1(VALU_DEP_3)
	v_add_f64 v[1:2], v[10:11], v[1:2]
	v_add_f64 v[3:4], v[12:13], v[4:5]
	s_delay_alu instid0(VALU_DEP_2) | instskip(NEXT) | instid1(VALU_DEP_2)
	v_add_f64 v[1:2], v[1:2], v[6:7]
	v_add_f64 v[3:4], v[3:4], v[8:9]
	s_waitcnt vmcnt(0)
	s_delay_alu instid0(VALU_DEP_2) | instskip(NEXT) | instid1(VALU_DEP_2)
	v_add_f64 v[1:2], v[34:35], -v[1:2]
	v_add_f64 v[3:4], v[36:37], -v[3:4]
	scratch_store_b128 off, v[1:4], off offset:176
	v_cmpx_lt_u32_e32 10, v122
	s_cbranch_execz .LBB103_233
; %bb.232:
	scratch_load_b128 v[1:4], v155, off
	v_mov_b32_e32 v5, 0
	s_delay_alu instid0(VALU_DEP_1)
	v_mov_b32_e32 v6, v5
	v_mov_b32_e32 v7, v5
	;; [unrolled: 1-line block ×3, first 2 shown]
	scratch_store_b128 off, v[5:8], off offset:160
	s_waitcnt vmcnt(0)
	ds_store_b128 v162, v[1:4]
.LBB103_233:
	s_or_b32 exec_lo, exec_lo, s2
	s_waitcnt lgkmcnt(0)
	s_waitcnt_vscnt null, 0x0
	s_barrier
	buffer_gl0_inv
	s_clause 0x7
	scratch_load_b128 v[2:5], off, off offset:176
	scratch_load_b128 v[6:9], off, off offset:192
	;; [unrolled: 1-line block ×8, first 2 shown]
	v_mov_b32_e32 v1, 0
	s_clause 0x1
	scratch_load_b128 v[34:37], off, off offset:304
	scratch_load_b128 v[167:170], off, off offset:320
	s_mov_b32 s2, exec_lo
	ds_load_b128 v[38:41], v1 offset:816
	ds_load_b128 v[163:166], v1 offset:832
	s_waitcnt vmcnt(9) lgkmcnt(1)
	v_mul_f64 v[171:172], v[40:41], v[4:5]
	v_mul_f64 v[4:5], v[38:39], v[4:5]
	s_waitcnt vmcnt(8) lgkmcnt(0)
	v_mul_f64 v[173:174], v[163:164], v[8:9]
	v_mul_f64 v[8:9], v[165:166], v[8:9]
	s_delay_alu instid0(VALU_DEP_4) | instskip(NEXT) | instid1(VALU_DEP_4)
	v_fma_f64 v[171:172], v[38:39], v[2:3], -v[171:172]
	v_fma_f64 v[175:176], v[40:41], v[2:3], v[4:5]
	ds_load_b128 v[2:5], v1 offset:848
	scratch_load_b128 v[38:41], off, off offset:336
	v_fma_f64 v[173:174], v[165:166], v[6:7], v[173:174]
	v_fma_f64 v[179:180], v[163:164], v[6:7], -v[8:9]
	scratch_load_b128 v[163:166], off, off offset:352
	ds_load_b128 v[6:9], v1 offset:864
	s_waitcnt vmcnt(9) lgkmcnt(1)
	v_mul_f64 v[177:178], v[2:3], v[12:13]
	v_mul_f64 v[12:13], v[4:5], v[12:13]
	s_waitcnt vmcnt(8) lgkmcnt(0)
	v_mul_f64 v[181:182], v[6:7], v[16:17]
	v_mul_f64 v[16:17], v[8:9], v[16:17]
	v_add_f64 v[171:172], v[171:172], 0
	v_add_f64 v[175:176], v[175:176], 0
	v_fma_f64 v[177:178], v[4:5], v[10:11], v[177:178]
	v_fma_f64 v[183:184], v[2:3], v[10:11], -v[12:13]
	ds_load_b128 v[2:5], v1 offset:880
	scratch_load_b128 v[10:13], off, off offset:368
	v_add_f64 v[171:172], v[171:172], v[179:180]
	v_add_f64 v[173:174], v[175:176], v[173:174]
	v_fma_f64 v[179:180], v[8:9], v[14:15], v[181:182]
	v_fma_f64 v[181:182], v[6:7], v[14:15], -v[16:17]
	scratch_load_b128 v[14:17], off, off offset:384
	ds_load_b128 v[6:9], v1 offset:896
	s_waitcnt vmcnt(9) lgkmcnt(1)
	v_mul_f64 v[175:176], v[2:3], v[20:21]
	v_mul_f64 v[20:21], v[4:5], v[20:21]
	v_add_f64 v[171:172], v[171:172], v[183:184]
	v_add_f64 v[173:174], v[173:174], v[177:178]
	s_waitcnt vmcnt(8) lgkmcnt(0)
	v_mul_f64 v[177:178], v[6:7], v[24:25]
	v_mul_f64 v[24:25], v[8:9], v[24:25]
	v_fma_f64 v[175:176], v[4:5], v[18:19], v[175:176]
	v_fma_f64 v[183:184], v[2:3], v[18:19], -v[20:21]
	ds_load_b128 v[2:5], v1 offset:912
	scratch_load_b128 v[18:21], off, off offset:400
	v_add_f64 v[171:172], v[171:172], v[181:182]
	v_add_f64 v[173:174], v[173:174], v[179:180]
	v_fma_f64 v[177:178], v[8:9], v[22:23], v[177:178]
	v_fma_f64 v[181:182], v[6:7], v[22:23], -v[24:25]
	scratch_load_b128 v[22:25], off, off offset:416
	ds_load_b128 v[6:9], v1 offset:928
	s_waitcnt vmcnt(9) lgkmcnt(1)
	v_mul_f64 v[179:180], v[2:3], v[28:29]
	v_mul_f64 v[28:29], v[4:5], v[28:29]
	v_add_f64 v[171:172], v[171:172], v[183:184]
	v_add_f64 v[173:174], v[173:174], v[175:176]
	s_waitcnt vmcnt(8) lgkmcnt(0)
	v_mul_f64 v[175:176], v[6:7], v[32:33]
	v_mul_f64 v[32:33], v[8:9], v[32:33]
	v_fma_f64 v[179:180], v[4:5], v[26:27], v[179:180]
	v_fma_f64 v[183:184], v[2:3], v[26:27], -v[28:29]
	ds_load_b128 v[2:5], v1 offset:944
	scratch_load_b128 v[26:29], off, off offset:432
	v_add_f64 v[171:172], v[171:172], v[181:182]
	v_add_f64 v[173:174], v[173:174], v[177:178]
	v_fma_f64 v[175:176], v[8:9], v[30:31], v[175:176]
	v_fma_f64 v[181:182], v[6:7], v[30:31], -v[32:33]
	scratch_load_b128 v[30:33], off, off offset:448
	ds_load_b128 v[6:9], v1 offset:960
	s_waitcnt vmcnt(9) lgkmcnt(1)
	v_mul_f64 v[177:178], v[2:3], v[36:37]
	v_mul_f64 v[36:37], v[4:5], v[36:37]
	v_add_f64 v[171:172], v[171:172], v[183:184]
	v_add_f64 v[173:174], v[173:174], v[179:180]
	s_waitcnt vmcnt(8) lgkmcnt(0)
	v_mul_f64 v[179:180], v[6:7], v[169:170]
	v_mul_f64 v[169:170], v[8:9], v[169:170]
	v_fma_f64 v[177:178], v[4:5], v[34:35], v[177:178]
	v_fma_f64 v[183:184], v[2:3], v[34:35], -v[36:37]
	ds_load_b128 v[2:5], v1 offset:976
	scratch_load_b128 v[34:37], off, off offset:464
	v_add_f64 v[171:172], v[171:172], v[181:182]
	v_add_f64 v[173:174], v[173:174], v[175:176]
	v_fma_f64 v[179:180], v[8:9], v[167:168], v[179:180]
	v_fma_f64 v[181:182], v[6:7], v[167:168], -v[169:170]
	scratch_load_b128 v[167:170], off, off offset:480
	ds_load_b128 v[6:9], v1 offset:992
	s_waitcnt vmcnt(9) lgkmcnt(1)
	v_mul_f64 v[175:176], v[2:3], v[40:41]
	v_mul_f64 v[40:41], v[4:5], v[40:41]
	v_add_f64 v[171:172], v[171:172], v[183:184]
	v_add_f64 v[173:174], v[173:174], v[177:178]
	s_waitcnt vmcnt(8) lgkmcnt(0)
	v_mul_f64 v[177:178], v[6:7], v[165:166]
	v_mul_f64 v[165:166], v[8:9], v[165:166]
	v_fma_f64 v[175:176], v[4:5], v[38:39], v[175:176]
	v_fma_f64 v[183:184], v[2:3], v[38:39], -v[40:41]
	ds_load_b128 v[2:5], v1 offset:1008
	scratch_load_b128 v[38:41], off, off offset:496
	v_add_f64 v[171:172], v[171:172], v[181:182]
	v_add_f64 v[173:174], v[173:174], v[179:180]
	v_fma_f64 v[177:178], v[8:9], v[163:164], v[177:178]
	v_fma_f64 v[181:182], v[6:7], v[163:164], -v[165:166]
	scratch_load_b128 v[163:166], off, off offset:512
	ds_load_b128 v[6:9], v1 offset:1024
	s_waitcnt vmcnt(9) lgkmcnt(1)
	v_mul_f64 v[179:180], v[2:3], v[12:13]
	v_mul_f64 v[12:13], v[4:5], v[12:13]
	v_add_f64 v[171:172], v[171:172], v[183:184]
	v_add_f64 v[173:174], v[173:174], v[175:176]
	s_waitcnt vmcnt(8) lgkmcnt(0)
	v_mul_f64 v[175:176], v[6:7], v[16:17]
	v_mul_f64 v[16:17], v[8:9], v[16:17]
	v_fma_f64 v[179:180], v[4:5], v[10:11], v[179:180]
	v_fma_f64 v[183:184], v[2:3], v[10:11], -v[12:13]
	ds_load_b128 v[2:5], v1 offset:1040
	scratch_load_b128 v[10:13], off, off offset:528
	v_add_f64 v[171:172], v[171:172], v[181:182]
	v_add_f64 v[173:174], v[173:174], v[177:178]
	v_fma_f64 v[175:176], v[8:9], v[14:15], v[175:176]
	v_fma_f64 v[181:182], v[6:7], v[14:15], -v[16:17]
	ds_load_b128 v[6:9], v1 offset:1056
	s_waitcnt vmcnt(8) lgkmcnt(1)
	v_mul_f64 v[177:178], v[2:3], v[20:21]
	v_mul_f64 v[20:21], v[4:5], v[20:21]
	scratch_load_b128 v[14:17], off, off offset:544
	v_add_f64 v[171:172], v[171:172], v[183:184]
	v_add_f64 v[173:174], v[173:174], v[179:180]
	s_waitcnt vmcnt(8) lgkmcnt(0)
	v_mul_f64 v[179:180], v[6:7], v[24:25]
	v_mul_f64 v[24:25], v[8:9], v[24:25]
	v_fma_f64 v[177:178], v[4:5], v[18:19], v[177:178]
	v_fma_f64 v[183:184], v[2:3], v[18:19], -v[20:21]
	scratch_load_b128 v[18:21], off, off offset:560
	ds_load_b128 v[2:5], v1 offset:1072
	v_add_f64 v[171:172], v[171:172], v[181:182]
	v_add_f64 v[173:174], v[173:174], v[175:176]
	v_fma_f64 v[179:180], v[8:9], v[22:23], v[179:180]
	v_fma_f64 v[181:182], v[6:7], v[22:23], -v[24:25]
	ds_load_b128 v[6:9], v1 offset:1088
	s_waitcnt vmcnt(8) lgkmcnt(1)
	v_mul_f64 v[175:176], v[2:3], v[28:29]
	v_mul_f64 v[28:29], v[4:5], v[28:29]
	scratch_load_b128 v[22:25], off, off offset:576
	v_add_f64 v[171:172], v[171:172], v[183:184]
	v_add_f64 v[173:174], v[173:174], v[177:178]
	s_waitcnt vmcnt(8) lgkmcnt(0)
	v_mul_f64 v[177:178], v[6:7], v[32:33]
	v_mul_f64 v[32:33], v[8:9], v[32:33]
	v_fma_f64 v[175:176], v[4:5], v[26:27], v[175:176]
	v_fma_f64 v[183:184], v[2:3], v[26:27], -v[28:29]
	scratch_load_b128 v[26:29], off, off offset:592
	ds_load_b128 v[2:5], v1 offset:1104
	;; [unrolled: 18-line block ×3, first 2 shown]
	v_add_f64 v[171:172], v[171:172], v[181:182]
	v_add_f64 v[173:174], v[173:174], v[177:178]
	v_fma_f64 v[175:176], v[8:9], v[167:168], v[175:176]
	v_fma_f64 v[167:168], v[6:7], v[167:168], -v[169:170]
	ds_load_b128 v[6:9], v1 offset:1152
	s_waitcnt vmcnt(8) lgkmcnt(1)
	v_mul_f64 v[177:178], v[2:3], v[40:41]
	v_mul_f64 v[40:41], v[4:5], v[40:41]
	v_add_f64 v[169:170], v[171:172], v[183:184]
	v_add_f64 v[171:172], v[173:174], v[179:180]
	s_waitcnt vmcnt(7) lgkmcnt(0)
	v_mul_f64 v[173:174], v[6:7], v[165:166]
	v_mul_f64 v[165:166], v[8:9], v[165:166]
	v_fma_f64 v[177:178], v[4:5], v[38:39], v[177:178]
	v_fma_f64 v[38:39], v[2:3], v[38:39], -v[40:41]
	ds_load_b128 v[2:5], v1 offset:1168
	v_add_f64 v[40:41], v[169:170], v[167:168]
	v_add_f64 v[167:168], v[171:172], v[175:176]
	v_fma_f64 v[171:172], v[8:9], v[163:164], v[173:174]
	v_fma_f64 v[163:164], v[6:7], v[163:164], -v[165:166]
	ds_load_b128 v[6:9], v1 offset:1184
	s_waitcnt vmcnt(5) lgkmcnt(0)
	v_mul_f64 v[173:174], v[6:7], v[16:17]
	v_mul_f64 v[16:17], v[8:9], v[16:17]
	v_add_f64 v[165:166], v[40:41], v[38:39]
	v_add_f64 v[167:168], v[167:168], v[177:178]
	scratch_load_b128 v[38:41], off, off offset:160
	v_mul_f64 v[169:170], v[2:3], v[12:13]
	v_mul_f64 v[12:13], v[4:5], v[12:13]
	s_delay_alu instid0(VALU_DEP_2) | instskip(NEXT) | instid1(VALU_DEP_2)
	v_fma_f64 v[169:170], v[4:5], v[10:11], v[169:170]
	v_fma_f64 v[10:11], v[2:3], v[10:11], -v[12:13]
	v_add_f64 v[12:13], v[165:166], v[163:164]
	v_add_f64 v[163:164], v[167:168], v[171:172]
	ds_load_b128 v[2:5], v1 offset:1200
	v_fma_f64 v[167:168], v[8:9], v[14:15], v[173:174]
	v_fma_f64 v[14:15], v[6:7], v[14:15], -v[16:17]
	ds_load_b128 v[6:9], v1 offset:1216
	s_waitcnt vmcnt(5) lgkmcnt(1)
	v_mul_f64 v[165:166], v[2:3], v[20:21]
	v_mul_f64 v[20:21], v[4:5], v[20:21]
	s_waitcnt vmcnt(4) lgkmcnt(0)
	v_mul_f64 v[16:17], v[6:7], v[24:25]
	v_mul_f64 v[24:25], v[8:9], v[24:25]
	v_add_f64 v[10:11], v[12:13], v[10:11]
	v_add_f64 v[12:13], v[163:164], v[169:170]
	v_fma_f64 v[163:164], v[4:5], v[18:19], v[165:166]
	v_fma_f64 v[18:19], v[2:3], v[18:19], -v[20:21]
	ds_load_b128 v[2:5], v1 offset:1232
	v_fma_f64 v[16:17], v[8:9], v[22:23], v[16:17]
	v_fma_f64 v[22:23], v[6:7], v[22:23], -v[24:25]
	ds_load_b128 v[6:9], v1 offset:1248
	v_add_f64 v[10:11], v[10:11], v[14:15]
	v_add_f64 v[12:13], v[12:13], v[167:168]
	s_waitcnt vmcnt(3) lgkmcnt(1)
	v_mul_f64 v[14:15], v[2:3], v[28:29]
	v_mul_f64 v[20:21], v[4:5], v[28:29]
	s_waitcnt vmcnt(2) lgkmcnt(0)
	v_mul_f64 v[24:25], v[8:9], v[32:33]
	v_add_f64 v[10:11], v[10:11], v[18:19]
	v_add_f64 v[12:13], v[12:13], v[163:164]
	v_mul_f64 v[18:19], v[6:7], v[32:33]
	v_fma_f64 v[14:15], v[4:5], v[26:27], v[14:15]
	v_fma_f64 v[20:21], v[2:3], v[26:27], -v[20:21]
	ds_load_b128 v[2:5], v1 offset:1264
	v_fma_f64 v[6:7], v[6:7], v[30:31], -v[24:25]
	v_add_f64 v[10:11], v[10:11], v[22:23]
	v_add_f64 v[12:13], v[12:13], v[16:17]
	s_waitcnt vmcnt(1) lgkmcnt(0)
	v_mul_f64 v[16:17], v[2:3], v[36:37]
	v_mul_f64 v[22:23], v[4:5], v[36:37]
	v_fma_f64 v[8:9], v[8:9], v[30:31], v[18:19]
	v_add_f64 v[10:11], v[10:11], v[20:21]
	v_add_f64 v[12:13], v[12:13], v[14:15]
	v_fma_f64 v[4:5], v[4:5], v[34:35], v[16:17]
	v_fma_f64 v[2:3], v[2:3], v[34:35], -v[22:23]
	s_delay_alu instid0(VALU_DEP_4) | instskip(NEXT) | instid1(VALU_DEP_4)
	v_add_f64 v[6:7], v[10:11], v[6:7]
	v_add_f64 v[8:9], v[12:13], v[8:9]
	s_delay_alu instid0(VALU_DEP_2) | instskip(NEXT) | instid1(VALU_DEP_2)
	v_add_f64 v[2:3], v[6:7], v[2:3]
	v_add_f64 v[4:5], v[8:9], v[4:5]
	s_waitcnt vmcnt(0)
	s_delay_alu instid0(VALU_DEP_2) | instskip(NEXT) | instid1(VALU_DEP_2)
	v_add_f64 v[2:3], v[38:39], -v[2:3]
	v_add_f64 v[4:5], v[40:41], -v[4:5]
	scratch_store_b128 off, v[2:5], off offset:160
	v_cmpx_lt_u32_e32 9, v122
	s_cbranch_execz .LBB103_235
; %bb.234:
	scratch_load_b128 v[5:8], v157, off
	v_mov_b32_e32 v2, v1
	v_mov_b32_e32 v3, v1
	;; [unrolled: 1-line block ×3, first 2 shown]
	scratch_store_b128 off, v[1:4], off offset:144
	s_waitcnt vmcnt(0)
	ds_store_b128 v162, v[5:8]
.LBB103_235:
	s_or_b32 exec_lo, exec_lo, s2
	s_waitcnt lgkmcnt(0)
	s_waitcnt_vscnt null, 0x0
	s_barrier
	buffer_gl0_inv
	s_clause 0x7
	scratch_load_b128 v[2:5], off, off offset:160
	scratch_load_b128 v[6:9], off, off offset:176
	;; [unrolled: 1-line block ×8, first 2 shown]
	ds_load_b128 v[38:41], v1 offset:800
	ds_load_b128 v[163:166], v1 offset:816
	s_clause 0x1
	scratch_load_b128 v[34:37], off, off offset:288
	scratch_load_b128 v[167:170], off, off offset:304
	s_mov_b32 s2, exec_lo
	s_waitcnt vmcnt(9) lgkmcnt(1)
	v_mul_f64 v[171:172], v[40:41], v[4:5]
	v_mul_f64 v[4:5], v[38:39], v[4:5]
	s_waitcnt vmcnt(8) lgkmcnt(0)
	v_mul_f64 v[173:174], v[163:164], v[8:9]
	v_mul_f64 v[8:9], v[165:166], v[8:9]
	s_delay_alu instid0(VALU_DEP_4) | instskip(NEXT) | instid1(VALU_DEP_4)
	v_fma_f64 v[171:172], v[38:39], v[2:3], -v[171:172]
	v_fma_f64 v[175:176], v[40:41], v[2:3], v[4:5]
	ds_load_b128 v[2:5], v1 offset:832
	scratch_load_b128 v[38:41], off, off offset:320
	v_fma_f64 v[173:174], v[165:166], v[6:7], v[173:174]
	v_fma_f64 v[179:180], v[163:164], v[6:7], -v[8:9]
	scratch_load_b128 v[163:166], off, off offset:336
	ds_load_b128 v[6:9], v1 offset:848
	s_waitcnt vmcnt(9) lgkmcnt(1)
	v_mul_f64 v[177:178], v[2:3], v[12:13]
	v_mul_f64 v[12:13], v[4:5], v[12:13]
	s_waitcnt vmcnt(8) lgkmcnt(0)
	v_mul_f64 v[181:182], v[6:7], v[16:17]
	v_mul_f64 v[16:17], v[8:9], v[16:17]
	v_add_f64 v[171:172], v[171:172], 0
	v_add_f64 v[175:176], v[175:176], 0
	v_fma_f64 v[177:178], v[4:5], v[10:11], v[177:178]
	v_fma_f64 v[183:184], v[2:3], v[10:11], -v[12:13]
	scratch_load_b128 v[10:13], off, off offset:352
	ds_load_b128 v[2:5], v1 offset:864
	v_add_f64 v[171:172], v[171:172], v[179:180]
	v_add_f64 v[173:174], v[175:176], v[173:174]
	v_fma_f64 v[179:180], v[8:9], v[14:15], v[181:182]
	v_fma_f64 v[181:182], v[6:7], v[14:15], -v[16:17]
	ds_load_b128 v[6:9], v1 offset:880
	scratch_load_b128 v[14:17], off, off offset:368
	s_waitcnt vmcnt(9) lgkmcnt(1)
	v_mul_f64 v[175:176], v[2:3], v[20:21]
	v_mul_f64 v[20:21], v[4:5], v[20:21]
	v_add_f64 v[171:172], v[171:172], v[183:184]
	v_add_f64 v[173:174], v[173:174], v[177:178]
	s_waitcnt vmcnt(8) lgkmcnt(0)
	v_mul_f64 v[177:178], v[6:7], v[24:25]
	v_mul_f64 v[24:25], v[8:9], v[24:25]
	v_fma_f64 v[175:176], v[4:5], v[18:19], v[175:176]
	v_fma_f64 v[183:184], v[2:3], v[18:19], -v[20:21]
	ds_load_b128 v[2:5], v1 offset:896
	scratch_load_b128 v[18:21], off, off offset:384
	v_add_f64 v[171:172], v[171:172], v[181:182]
	v_add_f64 v[173:174], v[173:174], v[179:180]
	v_fma_f64 v[177:178], v[8:9], v[22:23], v[177:178]
	v_fma_f64 v[181:182], v[6:7], v[22:23], -v[24:25]
	scratch_load_b128 v[22:25], off, off offset:400
	ds_load_b128 v[6:9], v1 offset:912
	s_waitcnt vmcnt(9) lgkmcnt(1)
	v_mul_f64 v[179:180], v[2:3], v[28:29]
	v_mul_f64 v[28:29], v[4:5], v[28:29]
	v_add_f64 v[171:172], v[171:172], v[183:184]
	v_add_f64 v[173:174], v[173:174], v[175:176]
	s_waitcnt vmcnt(8) lgkmcnt(0)
	v_mul_f64 v[175:176], v[6:7], v[32:33]
	v_mul_f64 v[32:33], v[8:9], v[32:33]
	v_fma_f64 v[179:180], v[4:5], v[26:27], v[179:180]
	v_fma_f64 v[183:184], v[2:3], v[26:27], -v[28:29]
	ds_load_b128 v[2:5], v1 offset:928
	scratch_load_b128 v[26:29], off, off offset:416
	v_add_f64 v[171:172], v[171:172], v[181:182]
	v_add_f64 v[173:174], v[173:174], v[177:178]
	v_fma_f64 v[175:176], v[8:9], v[30:31], v[175:176]
	v_fma_f64 v[181:182], v[6:7], v[30:31], -v[32:33]
	scratch_load_b128 v[30:33], off, off offset:432
	ds_load_b128 v[6:9], v1 offset:944
	;; [unrolled: 18-line block ×3, first 2 shown]
	s_waitcnt vmcnt(9) lgkmcnt(1)
	v_mul_f64 v[175:176], v[2:3], v[40:41]
	v_mul_f64 v[40:41], v[4:5], v[40:41]
	v_add_f64 v[171:172], v[171:172], v[183:184]
	v_add_f64 v[173:174], v[173:174], v[177:178]
	s_waitcnt vmcnt(8) lgkmcnt(0)
	v_mul_f64 v[177:178], v[6:7], v[165:166]
	v_mul_f64 v[165:166], v[8:9], v[165:166]
	v_fma_f64 v[175:176], v[4:5], v[38:39], v[175:176]
	v_fma_f64 v[183:184], v[2:3], v[38:39], -v[40:41]
	ds_load_b128 v[2:5], v1 offset:992
	scratch_load_b128 v[38:41], off, off offset:480
	v_add_f64 v[171:172], v[171:172], v[181:182]
	v_add_f64 v[173:174], v[173:174], v[179:180]
	v_fma_f64 v[177:178], v[8:9], v[163:164], v[177:178]
	v_fma_f64 v[181:182], v[6:7], v[163:164], -v[165:166]
	ds_load_b128 v[6:9], v1 offset:1008
	s_waitcnt vmcnt(8) lgkmcnt(1)
	v_mul_f64 v[179:180], v[2:3], v[12:13]
	v_mul_f64 v[12:13], v[4:5], v[12:13]
	scratch_load_b128 v[163:166], off, off offset:496
	v_add_f64 v[171:172], v[171:172], v[183:184]
	v_add_f64 v[173:174], v[173:174], v[175:176]
	s_waitcnt vmcnt(8) lgkmcnt(0)
	v_mul_f64 v[175:176], v[6:7], v[16:17]
	v_mul_f64 v[16:17], v[8:9], v[16:17]
	v_fma_f64 v[179:180], v[4:5], v[10:11], v[179:180]
	v_fma_f64 v[183:184], v[2:3], v[10:11], -v[12:13]
	scratch_load_b128 v[10:13], off, off offset:512
	ds_load_b128 v[2:5], v1 offset:1024
	v_add_f64 v[171:172], v[171:172], v[181:182]
	v_add_f64 v[173:174], v[173:174], v[177:178]
	v_fma_f64 v[175:176], v[8:9], v[14:15], v[175:176]
	v_fma_f64 v[181:182], v[6:7], v[14:15], -v[16:17]
	ds_load_b128 v[6:9], v1 offset:1040
	s_waitcnt vmcnt(8) lgkmcnt(1)
	v_mul_f64 v[177:178], v[2:3], v[20:21]
	v_mul_f64 v[20:21], v[4:5], v[20:21]
	scratch_load_b128 v[14:17], off, off offset:528
	v_add_f64 v[171:172], v[171:172], v[183:184]
	v_add_f64 v[173:174], v[173:174], v[179:180]
	s_waitcnt vmcnt(8) lgkmcnt(0)
	v_mul_f64 v[179:180], v[6:7], v[24:25]
	v_mul_f64 v[24:25], v[8:9], v[24:25]
	v_fma_f64 v[177:178], v[4:5], v[18:19], v[177:178]
	v_fma_f64 v[183:184], v[2:3], v[18:19], -v[20:21]
	scratch_load_b128 v[18:21], off, off offset:544
	ds_load_b128 v[2:5], v1 offset:1056
	;; [unrolled: 18-line block ×4, first 2 shown]
	v_add_f64 v[171:172], v[171:172], v[181:182]
	v_add_f64 v[173:174], v[173:174], v[177:178]
	v_fma_f64 v[175:176], v[8:9], v[167:168], v[175:176]
	v_fma_f64 v[181:182], v[6:7], v[167:168], -v[169:170]
	ds_load_b128 v[6:9], v1 offset:1136
	s_waitcnt vmcnt(8) lgkmcnt(1)
	v_mul_f64 v[177:178], v[2:3], v[40:41]
	v_mul_f64 v[40:41], v[4:5], v[40:41]
	scratch_load_b128 v[167:170], off, off offset:624
	v_add_f64 v[171:172], v[171:172], v[183:184]
	v_add_f64 v[173:174], v[173:174], v[179:180]
	v_fma_f64 v[177:178], v[4:5], v[38:39], v[177:178]
	v_fma_f64 v[38:39], v[2:3], v[38:39], -v[40:41]
	ds_load_b128 v[2:5], v1 offset:1152
	v_add_f64 v[40:41], v[171:172], v[181:182]
	v_add_f64 v[171:172], v[173:174], v[175:176]
	s_waitcnt vmcnt(7) lgkmcnt(0)
	v_mul_f64 v[173:174], v[2:3], v[12:13]
	v_mul_f64 v[12:13], v[4:5], v[12:13]
	s_delay_alu instid0(VALU_DEP_4) | instskip(NEXT) | instid1(VALU_DEP_4)
	v_add_f64 v[38:39], v[40:41], v[38:39]
	v_add_f64 v[40:41], v[171:172], v[177:178]
	s_delay_alu instid0(VALU_DEP_4) | instskip(NEXT) | instid1(VALU_DEP_4)
	v_fma_f64 v[171:172], v[4:5], v[10:11], v[173:174]
	v_fma_f64 v[173:174], v[2:3], v[10:11], -v[12:13]
	scratch_load_b128 v[10:13], off, off offset:144
	v_mul_f64 v[179:180], v[6:7], v[165:166]
	v_mul_f64 v[165:166], v[8:9], v[165:166]
	ds_load_b128 v[2:5], v1 offset:1184
	v_fma_f64 v[175:176], v[8:9], v[163:164], v[179:180]
	v_fma_f64 v[163:164], v[6:7], v[163:164], -v[165:166]
	ds_load_b128 v[6:9], v1 offset:1168
	s_waitcnt vmcnt(7) lgkmcnt(0)
	v_mul_f64 v[165:166], v[6:7], v[16:17]
	v_mul_f64 v[16:17], v[8:9], v[16:17]
	v_add_f64 v[40:41], v[40:41], v[175:176]
	v_add_f64 v[38:39], v[38:39], v[163:164]
	s_waitcnt vmcnt(6)
	v_mul_f64 v[163:164], v[2:3], v[20:21]
	v_mul_f64 v[20:21], v[4:5], v[20:21]
	v_fma_f64 v[165:166], v[8:9], v[14:15], v[165:166]
	v_fma_f64 v[14:15], v[6:7], v[14:15], -v[16:17]
	ds_load_b128 v[6:9], v1 offset:1200
	v_add_f64 v[16:17], v[38:39], v[173:174]
	v_add_f64 v[38:39], v[40:41], v[171:172]
	v_fma_f64 v[163:164], v[4:5], v[18:19], v[163:164]
	v_fma_f64 v[18:19], v[2:3], v[18:19], -v[20:21]
	ds_load_b128 v[2:5], v1 offset:1216
	s_waitcnt vmcnt(5) lgkmcnt(1)
	v_mul_f64 v[40:41], v[6:7], v[24:25]
	v_mul_f64 v[24:25], v[8:9], v[24:25]
	s_waitcnt vmcnt(4) lgkmcnt(0)
	v_mul_f64 v[20:21], v[2:3], v[28:29]
	v_mul_f64 v[28:29], v[4:5], v[28:29]
	v_add_f64 v[14:15], v[16:17], v[14:15]
	v_add_f64 v[16:17], v[38:39], v[165:166]
	v_fma_f64 v[38:39], v[8:9], v[22:23], v[40:41]
	v_fma_f64 v[22:23], v[6:7], v[22:23], -v[24:25]
	ds_load_b128 v[6:9], v1 offset:1232
	v_fma_f64 v[20:21], v[4:5], v[26:27], v[20:21]
	v_fma_f64 v[26:27], v[2:3], v[26:27], -v[28:29]
	ds_load_b128 v[2:5], v1 offset:1248
	s_waitcnt vmcnt(3) lgkmcnt(1)
	v_mul_f64 v[24:25], v[8:9], v[32:33]
	v_add_f64 v[14:15], v[14:15], v[18:19]
	v_add_f64 v[16:17], v[16:17], v[163:164]
	v_mul_f64 v[18:19], v[6:7], v[32:33]
	s_waitcnt vmcnt(2) lgkmcnt(0)
	v_mul_f64 v[28:29], v[4:5], v[36:37]
	v_fma_f64 v[24:25], v[6:7], v[30:31], -v[24:25]
	v_add_f64 v[14:15], v[14:15], v[22:23]
	v_add_f64 v[16:17], v[16:17], v[38:39]
	v_mul_f64 v[22:23], v[2:3], v[36:37]
	v_fma_f64 v[18:19], v[8:9], v[30:31], v[18:19]
	ds_load_b128 v[6:9], v1 offset:1264
	v_fma_f64 v[1:2], v[2:3], v[34:35], -v[28:29]
	v_add_f64 v[14:15], v[14:15], v[26:27]
	v_add_f64 v[16:17], v[16:17], v[20:21]
	s_waitcnt vmcnt(1) lgkmcnt(0)
	v_mul_f64 v[20:21], v[6:7], v[169:170]
	v_mul_f64 v[26:27], v[8:9], v[169:170]
	v_fma_f64 v[4:5], v[4:5], v[34:35], v[22:23]
	v_add_f64 v[14:15], v[14:15], v[24:25]
	v_add_f64 v[16:17], v[16:17], v[18:19]
	v_fma_f64 v[8:9], v[8:9], v[167:168], v[20:21]
	v_fma_f64 v[6:7], v[6:7], v[167:168], -v[26:27]
	s_delay_alu instid0(VALU_DEP_4) | instskip(NEXT) | instid1(VALU_DEP_4)
	v_add_f64 v[1:2], v[14:15], v[1:2]
	v_add_f64 v[3:4], v[16:17], v[4:5]
	s_delay_alu instid0(VALU_DEP_2) | instskip(NEXT) | instid1(VALU_DEP_2)
	v_add_f64 v[1:2], v[1:2], v[6:7]
	v_add_f64 v[3:4], v[3:4], v[8:9]
	s_waitcnt vmcnt(0)
	s_delay_alu instid0(VALU_DEP_2) | instskip(NEXT) | instid1(VALU_DEP_2)
	v_add_f64 v[1:2], v[10:11], -v[1:2]
	v_add_f64 v[3:4], v[12:13], -v[3:4]
	scratch_store_b128 off, v[1:4], off offset:144
	v_cmpx_lt_u32_e32 8, v122
	s_cbranch_execz .LBB103_237
; %bb.236:
	scratch_load_b128 v[1:4], v158, off
	v_mov_b32_e32 v5, 0
	s_delay_alu instid0(VALU_DEP_1)
	v_mov_b32_e32 v6, v5
	v_mov_b32_e32 v7, v5
	;; [unrolled: 1-line block ×3, first 2 shown]
	scratch_store_b128 off, v[5:8], off offset:128
	s_waitcnt vmcnt(0)
	ds_store_b128 v162, v[1:4]
.LBB103_237:
	s_or_b32 exec_lo, exec_lo, s2
	s_waitcnt lgkmcnt(0)
	s_waitcnt_vscnt null, 0x0
	s_barrier
	buffer_gl0_inv
	s_clause 0x7
	scratch_load_b128 v[2:5], off, off offset:144
	scratch_load_b128 v[6:9], off, off offset:160
	;; [unrolled: 1-line block ×8, first 2 shown]
	v_mov_b32_e32 v1, 0
	s_clause 0x1
	scratch_load_b128 v[34:37], off, off offset:272
	scratch_load_b128 v[167:170], off, off offset:288
	s_mov_b32 s2, exec_lo
	ds_load_b128 v[38:41], v1 offset:784
	ds_load_b128 v[163:166], v1 offset:800
	s_waitcnt vmcnt(9) lgkmcnt(1)
	v_mul_f64 v[171:172], v[40:41], v[4:5]
	v_mul_f64 v[4:5], v[38:39], v[4:5]
	s_waitcnt vmcnt(8) lgkmcnt(0)
	v_mul_f64 v[173:174], v[163:164], v[8:9]
	v_mul_f64 v[8:9], v[165:166], v[8:9]
	s_delay_alu instid0(VALU_DEP_4) | instskip(NEXT) | instid1(VALU_DEP_4)
	v_fma_f64 v[171:172], v[38:39], v[2:3], -v[171:172]
	v_fma_f64 v[175:176], v[40:41], v[2:3], v[4:5]
	ds_load_b128 v[2:5], v1 offset:816
	scratch_load_b128 v[38:41], off, off offset:304
	v_fma_f64 v[173:174], v[165:166], v[6:7], v[173:174]
	v_fma_f64 v[179:180], v[163:164], v[6:7], -v[8:9]
	scratch_load_b128 v[163:166], off, off offset:320
	ds_load_b128 v[6:9], v1 offset:832
	s_waitcnt vmcnt(9) lgkmcnt(1)
	v_mul_f64 v[177:178], v[2:3], v[12:13]
	v_mul_f64 v[12:13], v[4:5], v[12:13]
	s_waitcnt vmcnt(8) lgkmcnt(0)
	v_mul_f64 v[181:182], v[6:7], v[16:17]
	v_mul_f64 v[16:17], v[8:9], v[16:17]
	v_add_f64 v[171:172], v[171:172], 0
	v_add_f64 v[175:176], v[175:176], 0
	v_fma_f64 v[177:178], v[4:5], v[10:11], v[177:178]
	v_fma_f64 v[183:184], v[2:3], v[10:11], -v[12:13]
	ds_load_b128 v[2:5], v1 offset:848
	scratch_load_b128 v[10:13], off, off offset:336
	v_add_f64 v[171:172], v[171:172], v[179:180]
	v_add_f64 v[173:174], v[175:176], v[173:174]
	v_fma_f64 v[179:180], v[8:9], v[14:15], v[181:182]
	v_fma_f64 v[181:182], v[6:7], v[14:15], -v[16:17]
	scratch_load_b128 v[14:17], off, off offset:352
	ds_load_b128 v[6:9], v1 offset:864
	s_waitcnt vmcnt(9) lgkmcnt(1)
	v_mul_f64 v[175:176], v[2:3], v[20:21]
	v_mul_f64 v[20:21], v[4:5], v[20:21]
	v_add_f64 v[171:172], v[171:172], v[183:184]
	v_add_f64 v[173:174], v[173:174], v[177:178]
	s_waitcnt vmcnt(8) lgkmcnt(0)
	v_mul_f64 v[177:178], v[6:7], v[24:25]
	v_mul_f64 v[24:25], v[8:9], v[24:25]
	v_fma_f64 v[175:176], v[4:5], v[18:19], v[175:176]
	v_fma_f64 v[183:184], v[2:3], v[18:19], -v[20:21]
	ds_load_b128 v[2:5], v1 offset:880
	scratch_load_b128 v[18:21], off, off offset:368
	v_add_f64 v[171:172], v[171:172], v[181:182]
	v_add_f64 v[173:174], v[173:174], v[179:180]
	v_fma_f64 v[177:178], v[8:9], v[22:23], v[177:178]
	v_fma_f64 v[181:182], v[6:7], v[22:23], -v[24:25]
	scratch_load_b128 v[22:25], off, off offset:384
	ds_load_b128 v[6:9], v1 offset:896
	s_waitcnt vmcnt(9) lgkmcnt(1)
	v_mul_f64 v[179:180], v[2:3], v[28:29]
	v_mul_f64 v[28:29], v[4:5], v[28:29]
	v_add_f64 v[171:172], v[171:172], v[183:184]
	v_add_f64 v[173:174], v[173:174], v[175:176]
	s_waitcnt vmcnt(8) lgkmcnt(0)
	v_mul_f64 v[175:176], v[6:7], v[32:33]
	v_mul_f64 v[32:33], v[8:9], v[32:33]
	;; [unrolled: 18-line block ×6, first 2 shown]
	v_fma_f64 v[177:178], v[4:5], v[18:19], v[177:178]
	v_fma_f64 v[183:184], v[2:3], v[18:19], -v[20:21]
	ds_load_b128 v[2:5], v1 offset:1040
	scratch_load_b128 v[18:21], off, off offset:528
	v_add_f64 v[171:172], v[171:172], v[181:182]
	v_add_f64 v[173:174], v[173:174], v[175:176]
	v_fma_f64 v[179:180], v[8:9], v[22:23], v[179:180]
	v_fma_f64 v[181:182], v[6:7], v[22:23], -v[24:25]
	ds_load_b128 v[6:9], v1 offset:1056
	s_waitcnt vmcnt(8) lgkmcnt(1)
	v_mul_f64 v[175:176], v[2:3], v[28:29]
	v_mul_f64 v[28:29], v[4:5], v[28:29]
	scratch_load_b128 v[22:25], off, off offset:544
	v_add_f64 v[171:172], v[171:172], v[183:184]
	v_add_f64 v[173:174], v[173:174], v[177:178]
	s_waitcnt vmcnt(8) lgkmcnt(0)
	v_mul_f64 v[177:178], v[6:7], v[32:33]
	v_mul_f64 v[32:33], v[8:9], v[32:33]
	v_fma_f64 v[175:176], v[4:5], v[26:27], v[175:176]
	v_fma_f64 v[183:184], v[2:3], v[26:27], -v[28:29]
	scratch_load_b128 v[26:29], off, off offset:560
	ds_load_b128 v[2:5], v1 offset:1072
	v_add_f64 v[171:172], v[171:172], v[181:182]
	v_add_f64 v[173:174], v[173:174], v[179:180]
	v_fma_f64 v[177:178], v[8:9], v[30:31], v[177:178]
	v_fma_f64 v[181:182], v[6:7], v[30:31], -v[32:33]
	ds_load_b128 v[6:9], v1 offset:1088
	s_waitcnt vmcnt(8) lgkmcnt(1)
	v_mul_f64 v[179:180], v[2:3], v[36:37]
	v_mul_f64 v[36:37], v[4:5], v[36:37]
	scratch_load_b128 v[30:33], off, off offset:576
	v_add_f64 v[171:172], v[171:172], v[183:184]
	v_add_f64 v[173:174], v[173:174], v[175:176]
	s_waitcnt vmcnt(8) lgkmcnt(0)
	v_mul_f64 v[175:176], v[6:7], v[169:170]
	v_mul_f64 v[169:170], v[8:9], v[169:170]
	v_fma_f64 v[179:180], v[4:5], v[34:35], v[179:180]
	v_fma_f64 v[183:184], v[2:3], v[34:35], -v[36:37]
	scratch_load_b128 v[34:37], off, off offset:592
	ds_load_b128 v[2:5], v1 offset:1104
	;; [unrolled: 18-line block ×3, first 2 shown]
	v_add_f64 v[171:172], v[171:172], v[181:182]
	v_add_f64 v[173:174], v[173:174], v[175:176]
	v_fma_f64 v[179:180], v[8:9], v[163:164], v[179:180]
	v_fma_f64 v[163:164], v[6:7], v[163:164], -v[165:166]
	ds_load_b128 v[6:9], v1 offset:1152
	s_waitcnt vmcnt(8) lgkmcnt(1)
	v_mul_f64 v[175:176], v[2:3], v[12:13]
	v_mul_f64 v[12:13], v[4:5], v[12:13]
	v_add_f64 v[165:166], v[171:172], v[183:184]
	v_add_f64 v[171:172], v[173:174], v[177:178]
	s_waitcnt vmcnt(7) lgkmcnt(0)
	v_mul_f64 v[173:174], v[6:7], v[16:17]
	v_mul_f64 v[16:17], v[8:9], v[16:17]
	v_fma_f64 v[175:176], v[4:5], v[10:11], v[175:176]
	v_fma_f64 v[10:11], v[2:3], v[10:11], -v[12:13]
	ds_load_b128 v[2:5], v1 offset:1168
	v_add_f64 v[12:13], v[165:166], v[163:164]
	v_add_f64 v[163:164], v[171:172], v[179:180]
	v_fma_f64 v[171:172], v[8:9], v[14:15], v[173:174]
	v_fma_f64 v[14:15], v[6:7], v[14:15], -v[16:17]
	ds_load_b128 v[6:9], v1 offset:1184
	s_waitcnt vmcnt(5) lgkmcnt(0)
	v_mul_f64 v[173:174], v[6:7], v[24:25]
	v_mul_f64 v[24:25], v[8:9], v[24:25]
	v_add_f64 v[16:17], v[12:13], v[10:11]
	v_add_f64 v[163:164], v[163:164], v[175:176]
	scratch_load_b128 v[10:13], off, off offset:128
	v_mul_f64 v[165:166], v[2:3], v[20:21]
	v_mul_f64 v[20:21], v[4:5], v[20:21]
	v_add_f64 v[14:15], v[16:17], v[14:15]
	v_add_f64 v[16:17], v[163:164], v[171:172]
	v_fma_f64 v[163:164], v[8:9], v[22:23], v[173:174]
	v_fma_f64 v[165:166], v[4:5], v[18:19], v[165:166]
	v_fma_f64 v[18:19], v[2:3], v[18:19], -v[20:21]
	ds_load_b128 v[2:5], v1 offset:1200
	v_fma_f64 v[22:23], v[6:7], v[22:23], -v[24:25]
	ds_load_b128 v[6:9], v1 offset:1216
	s_waitcnt vmcnt(5) lgkmcnt(1)
	v_mul_f64 v[20:21], v[2:3], v[28:29]
	v_mul_f64 v[28:29], v[4:5], v[28:29]
	s_waitcnt vmcnt(4) lgkmcnt(0)
	v_mul_f64 v[24:25], v[8:9], v[32:33]
	v_add_f64 v[16:17], v[16:17], v[165:166]
	v_add_f64 v[14:15], v[14:15], v[18:19]
	v_mul_f64 v[18:19], v[6:7], v[32:33]
	v_fma_f64 v[20:21], v[4:5], v[26:27], v[20:21]
	v_fma_f64 v[26:27], v[2:3], v[26:27], -v[28:29]
	ds_load_b128 v[2:5], v1 offset:1232
	v_fma_f64 v[24:25], v[6:7], v[30:31], -v[24:25]
	v_add_f64 v[16:17], v[16:17], v[163:164]
	v_add_f64 v[14:15], v[14:15], v[22:23]
	v_fma_f64 v[18:19], v[8:9], v[30:31], v[18:19]
	ds_load_b128 v[6:9], v1 offset:1248
	s_waitcnt vmcnt(3) lgkmcnt(1)
	v_mul_f64 v[22:23], v[2:3], v[36:37]
	v_mul_f64 v[28:29], v[4:5], v[36:37]
	v_add_f64 v[16:17], v[16:17], v[20:21]
	v_add_f64 v[14:15], v[14:15], v[26:27]
	s_waitcnt vmcnt(2) lgkmcnt(0)
	v_mul_f64 v[20:21], v[6:7], v[169:170]
	v_mul_f64 v[26:27], v[8:9], v[169:170]
	v_fma_f64 v[22:23], v[4:5], v[34:35], v[22:23]
	v_fma_f64 v[28:29], v[2:3], v[34:35], -v[28:29]
	ds_load_b128 v[2:5], v1 offset:1264
	v_add_f64 v[16:17], v[16:17], v[18:19]
	v_add_f64 v[14:15], v[14:15], v[24:25]
	s_waitcnt vmcnt(1) lgkmcnt(0)
	v_mul_f64 v[18:19], v[2:3], v[40:41]
	v_mul_f64 v[24:25], v[4:5], v[40:41]
	v_fma_f64 v[8:9], v[8:9], v[167:168], v[20:21]
	v_fma_f64 v[6:7], v[6:7], v[167:168], -v[26:27]
	v_add_f64 v[16:17], v[16:17], v[22:23]
	v_add_f64 v[14:15], v[14:15], v[28:29]
	v_fma_f64 v[4:5], v[4:5], v[38:39], v[18:19]
	v_fma_f64 v[2:3], v[2:3], v[38:39], -v[24:25]
	s_delay_alu instid0(VALU_DEP_4) | instskip(NEXT) | instid1(VALU_DEP_4)
	v_add_f64 v[8:9], v[16:17], v[8:9]
	v_add_f64 v[6:7], v[14:15], v[6:7]
	s_delay_alu instid0(VALU_DEP_2) | instskip(NEXT) | instid1(VALU_DEP_2)
	v_add_f64 v[4:5], v[8:9], v[4:5]
	v_add_f64 v[2:3], v[6:7], v[2:3]
	s_waitcnt vmcnt(0)
	s_delay_alu instid0(VALU_DEP_2) | instskip(NEXT) | instid1(VALU_DEP_2)
	v_add_f64 v[4:5], v[12:13], -v[4:5]
	v_add_f64 v[2:3], v[10:11], -v[2:3]
	scratch_store_b128 off, v[2:5], off offset:128
	v_cmpx_lt_u32_e32 7, v122
	s_cbranch_execz .LBB103_239
; %bb.238:
	scratch_load_b128 v[5:8], v160, off
	v_mov_b32_e32 v2, v1
	v_mov_b32_e32 v3, v1
	;; [unrolled: 1-line block ×3, first 2 shown]
	scratch_store_b128 off, v[1:4], off offset:112
	s_waitcnt vmcnt(0)
	ds_store_b128 v162, v[5:8]
.LBB103_239:
	s_or_b32 exec_lo, exec_lo, s2
	s_waitcnt lgkmcnt(0)
	s_waitcnt_vscnt null, 0x0
	s_barrier
	buffer_gl0_inv
	s_clause 0x7
	scratch_load_b128 v[2:5], off, off offset:128
	scratch_load_b128 v[6:9], off, off offset:144
	;; [unrolled: 1-line block ×8, first 2 shown]
	ds_load_b128 v[38:41], v1 offset:768
	ds_load_b128 v[163:166], v1 offset:784
	s_clause 0x1
	scratch_load_b128 v[34:37], off, off offset:256
	scratch_load_b128 v[167:170], off, off offset:272
	s_mov_b32 s2, exec_lo
	s_waitcnt vmcnt(9) lgkmcnt(1)
	v_mul_f64 v[171:172], v[40:41], v[4:5]
	v_mul_f64 v[4:5], v[38:39], v[4:5]
	s_waitcnt vmcnt(8) lgkmcnt(0)
	v_mul_f64 v[173:174], v[163:164], v[8:9]
	v_mul_f64 v[8:9], v[165:166], v[8:9]
	s_delay_alu instid0(VALU_DEP_4) | instskip(NEXT) | instid1(VALU_DEP_4)
	v_fma_f64 v[171:172], v[38:39], v[2:3], -v[171:172]
	v_fma_f64 v[175:176], v[40:41], v[2:3], v[4:5]
	ds_load_b128 v[2:5], v1 offset:800
	scratch_load_b128 v[38:41], off, off offset:288
	v_fma_f64 v[173:174], v[165:166], v[6:7], v[173:174]
	v_fma_f64 v[179:180], v[163:164], v[6:7], -v[8:9]
	scratch_load_b128 v[163:166], off, off offset:304
	ds_load_b128 v[6:9], v1 offset:816
	s_waitcnt vmcnt(9) lgkmcnt(1)
	v_mul_f64 v[177:178], v[2:3], v[12:13]
	v_mul_f64 v[12:13], v[4:5], v[12:13]
	s_waitcnt vmcnt(8) lgkmcnt(0)
	v_mul_f64 v[181:182], v[6:7], v[16:17]
	v_mul_f64 v[16:17], v[8:9], v[16:17]
	v_add_f64 v[171:172], v[171:172], 0
	v_add_f64 v[175:176], v[175:176], 0
	v_fma_f64 v[177:178], v[4:5], v[10:11], v[177:178]
	v_fma_f64 v[183:184], v[2:3], v[10:11], -v[12:13]
	ds_load_b128 v[2:5], v1 offset:832
	scratch_load_b128 v[10:13], off, off offset:320
	v_add_f64 v[171:172], v[171:172], v[179:180]
	v_add_f64 v[173:174], v[175:176], v[173:174]
	v_fma_f64 v[179:180], v[8:9], v[14:15], v[181:182]
	v_fma_f64 v[181:182], v[6:7], v[14:15], -v[16:17]
	scratch_load_b128 v[14:17], off, off offset:336
	ds_load_b128 v[6:9], v1 offset:848
	s_waitcnt vmcnt(9) lgkmcnt(1)
	v_mul_f64 v[175:176], v[2:3], v[20:21]
	v_mul_f64 v[20:21], v[4:5], v[20:21]
	v_add_f64 v[171:172], v[171:172], v[183:184]
	v_add_f64 v[173:174], v[173:174], v[177:178]
	s_waitcnt vmcnt(8) lgkmcnt(0)
	v_mul_f64 v[177:178], v[6:7], v[24:25]
	v_mul_f64 v[24:25], v[8:9], v[24:25]
	v_fma_f64 v[175:176], v[4:5], v[18:19], v[175:176]
	v_fma_f64 v[183:184], v[2:3], v[18:19], -v[20:21]
	ds_load_b128 v[2:5], v1 offset:864
	scratch_load_b128 v[18:21], off, off offset:352
	v_add_f64 v[171:172], v[171:172], v[181:182]
	v_add_f64 v[173:174], v[173:174], v[179:180]
	v_fma_f64 v[177:178], v[8:9], v[22:23], v[177:178]
	v_fma_f64 v[181:182], v[6:7], v[22:23], -v[24:25]
	scratch_load_b128 v[22:25], off, off offset:368
	ds_load_b128 v[6:9], v1 offset:880
	s_waitcnt vmcnt(9) lgkmcnt(1)
	v_mul_f64 v[179:180], v[2:3], v[28:29]
	v_mul_f64 v[28:29], v[4:5], v[28:29]
	v_add_f64 v[171:172], v[171:172], v[183:184]
	v_add_f64 v[173:174], v[173:174], v[175:176]
	s_waitcnt vmcnt(8) lgkmcnt(0)
	v_mul_f64 v[175:176], v[6:7], v[32:33]
	v_mul_f64 v[32:33], v[8:9], v[32:33]
	v_fma_f64 v[179:180], v[4:5], v[26:27], v[179:180]
	v_fma_f64 v[183:184], v[2:3], v[26:27], -v[28:29]
	ds_load_b128 v[2:5], v1 offset:896
	scratch_load_b128 v[26:29], off, off offset:384
	v_add_f64 v[171:172], v[171:172], v[181:182]
	v_add_f64 v[173:174], v[173:174], v[177:178]
	v_fma_f64 v[175:176], v[8:9], v[30:31], v[175:176]
	v_fma_f64 v[181:182], v[6:7], v[30:31], -v[32:33]
	scratch_load_b128 v[30:33], off, off offset:400
	ds_load_b128 v[6:9], v1 offset:912
	s_waitcnt vmcnt(9) lgkmcnt(1)
	v_mul_f64 v[177:178], v[2:3], v[36:37]
	v_mul_f64 v[36:37], v[4:5], v[36:37]
	v_add_f64 v[171:172], v[171:172], v[183:184]
	v_add_f64 v[173:174], v[173:174], v[179:180]
	s_waitcnt vmcnt(8) lgkmcnt(0)
	v_mul_f64 v[179:180], v[6:7], v[169:170]
	v_mul_f64 v[169:170], v[8:9], v[169:170]
	v_fma_f64 v[177:178], v[4:5], v[34:35], v[177:178]
	v_fma_f64 v[183:184], v[2:3], v[34:35], -v[36:37]
	ds_load_b128 v[2:5], v1 offset:928
	scratch_load_b128 v[34:37], off, off offset:416
	v_add_f64 v[171:172], v[171:172], v[181:182]
	v_add_f64 v[173:174], v[173:174], v[175:176]
	v_fma_f64 v[179:180], v[8:9], v[167:168], v[179:180]
	v_fma_f64 v[181:182], v[6:7], v[167:168], -v[169:170]
	scratch_load_b128 v[167:170], off, off offset:432
	ds_load_b128 v[6:9], v1 offset:944
	s_waitcnt vmcnt(9) lgkmcnt(1)
	v_mul_f64 v[175:176], v[2:3], v[40:41]
	v_mul_f64 v[40:41], v[4:5], v[40:41]
	v_add_f64 v[171:172], v[171:172], v[183:184]
	v_add_f64 v[173:174], v[173:174], v[177:178]
	s_waitcnt vmcnt(8) lgkmcnt(0)
	v_mul_f64 v[177:178], v[6:7], v[165:166]
	v_mul_f64 v[165:166], v[8:9], v[165:166]
	v_fma_f64 v[175:176], v[4:5], v[38:39], v[175:176]
	v_fma_f64 v[183:184], v[2:3], v[38:39], -v[40:41]
	ds_load_b128 v[2:5], v1 offset:960
	scratch_load_b128 v[38:41], off, off offset:448
	v_add_f64 v[171:172], v[171:172], v[181:182]
	v_add_f64 v[173:174], v[173:174], v[179:180]
	v_fma_f64 v[177:178], v[8:9], v[163:164], v[177:178]
	v_fma_f64 v[181:182], v[6:7], v[163:164], -v[165:166]
	scratch_load_b128 v[163:166], off, off offset:464
	ds_load_b128 v[6:9], v1 offset:976
	s_waitcnt vmcnt(9) lgkmcnt(1)
	v_mul_f64 v[179:180], v[2:3], v[12:13]
	v_mul_f64 v[12:13], v[4:5], v[12:13]
	v_add_f64 v[171:172], v[171:172], v[183:184]
	v_add_f64 v[173:174], v[173:174], v[175:176]
	s_waitcnt vmcnt(8) lgkmcnt(0)
	v_mul_f64 v[175:176], v[6:7], v[16:17]
	v_mul_f64 v[16:17], v[8:9], v[16:17]
	v_fma_f64 v[179:180], v[4:5], v[10:11], v[179:180]
	v_fma_f64 v[183:184], v[2:3], v[10:11], -v[12:13]
	ds_load_b128 v[2:5], v1 offset:992
	scratch_load_b128 v[10:13], off, off offset:480
	v_add_f64 v[171:172], v[171:172], v[181:182]
	v_add_f64 v[173:174], v[173:174], v[177:178]
	v_fma_f64 v[175:176], v[8:9], v[14:15], v[175:176]
	v_fma_f64 v[181:182], v[6:7], v[14:15], -v[16:17]
	scratch_load_b128 v[14:17], off, off offset:496
	ds_load_b128 v[6:9], v1 offset:1008
	s_waitcnt vmcnt(9) lgkmcnt(1)
	v_mul_f64 v[177:178], v[2:3], v[20:21]
	v_mul_f64 v[20:21], v[4:5], v[20:21]
	v_add_f64 v[171:172], v[171:172], v[183:184]
	v_add_f64 v[173:174], v[173:174], v[179:180]
	s_waitcnt vmcnt(8) lgkmcnt(0)
	v_mul_f64 v[179:180], v[6:7], v[24:25]
	v_mul_f64 v[24:25], v[8:9], v[24:25]
	v_fma_f64 v[177:178], v[4:5], v[18:19], v[177:178]
	v_fma_f64 v[183:184], v[2:3], v[18:19], -v[20:21]
	ds_load_b128 v[2:5], v1 offset:1024
	scratch_load_b128 v[18:21], off, off offset:512
	v_add_f64 v[171:172], v[171:172], v[181:182]
	v_add_f64 v[173:174], v[173:174], v[175:176]
	v_fma_f64 v[179:180], v[8:9], v[22:23], v[179:180]
	v_fma_f64 v[181:182], v[6:7], v[22:23], -v[24:25]
	ds_load_b128 v[6:9], v1 offset:1040
	s_waitcnt vmcnt(8) lgkmcnt(1)
	v_mul_f64 v[175:176], v[2:3], v[28:29]
	v_mul_f64 v[28:29], v[4:5], v[28:29]
	scratch_load_b128 v[22:25], off, off offset:528
	v_add_f64 v[171:172], v[171:172], v[183:184]
	v_add_f64 v[173:174], v[173:174], v[177:178]
	s_waitcnt vmcnt(8) lgkmcnt(0)
	v_mul_f64 v[177:178], v[6:7], v[32:33]
	v_mul_f64 v[32:33], v[8:9], v[32:33]
	v_fma_f64 v[175:176], v[4:5], v[26:27], v[175:176]
	v_fma_f64 v[183:184], v[2:3], v[26:27], -v[28:29]
	ds_load_b128 v[2:5], v1 offset:1056
	scratch_load_b128 v[26:29], off, off offset:544
	v_add_f64 v[171:172], v[171:172], v[181:182]
	v_add_f64 v[173:174], v[173:174], v[179:180]
	v_fma_f64 v[177:178], v[8:9], v[30:31], v[177:178]
	v_fma_f64 v[181:182], v[6:7], v[30:31], -v[32:33]
	ds_load_b128 v[6:9], v1 offset:1072
	s_waitcnt vmcnt(8) lgkmcnt(1)
	v_mul_f64 v[179:180], v[2:3], v[36:37]
	v_mul_f64 v[36:37], v[4:5], v[36:37]
	scratch_load_b128 v[30:33], off, off offset:560
	v_add_f64 v[171:172], v[171:172], v[183:184]
	v_add_f64 v[173:174], v[173:174], v[175:176]
	s_waitcnt vmcnt(8) lgkmcnt(0)
	v_mul_f64 v[175:176], v[6:7], v[169:170]
	v_mul_f64 v[169:170], v[8:9], v[169:170]
	v_fma_f64 v[179:180], v[4:5], v[34:35], v[179:180]
	v_fma_f64 v[183:184], v[2:3], v[34:35], -v[36:37]
	scratch_load_b128 v[34:37], off, off offset:576
	ds_load_b128 v[2:5], v1 offset:1088
	v_add_f64 v[171:172], v[171:172], v[181:182]
	v_add_f64 v[173:174], v[173:174], v[177:178]
	v_fma_f64 v[175:176], v[8:9], v[167:168], v[175:176]
	v_fma_f64 v[181:182], v[6:7], v[167:168], -v[169:170]
	ds_load_b128 v[6:9], v1 offset:1104
	s_waitcnt vmcnt(8) lgkmcnt(1)
	v_mul_f64 v[177:178], v[2:3], v[40:41]
	v_mul_f64 v[40:41], v[4:5], v[40:41]
	scratch_load_b128 v[167:170], off, off offset:592
	v_add_f64 v[171:172], v[171:172], v[183:184]
	v_add_f64 v[173:174], v[173:174], v[179:180]
	s_waitcnt vmcnt(8) lgkmcnt(0)
	v_mul_f64 v[179:180], v[6:7], v[165:166]
	v_mul_f64 v[165:166], v[8:9], v[165:166]
	v_fma_f64 v[177:178], v[4:5], v[38:39], v[177:178]
	v_fma_f64 v[183:184], v[2:3], v[38:39], -v[40:41]
	scratch_load_b128 v[38:41], off, off offset:608
	ds_load_b128 v[2:5], v1 offset:1120
	v_add_f64 v[171:172], v[171:172], v[181:182]
	v_add_f64 v[173:174], v[173:174], v[175:176]
	v_fma_f64 v[179:180], v[8:9], v[163:164], v[179:180]
	v_fma_f64 v[181:182], v[6:7], v[163:164], -v[165:166]
	ds_load_b128 v[6:9], v1 offset:1136
	s_waitcnt vmcnt(8) lgkmcnt(1)
	v_mul_f64 v[175:176], v[2:3], v[12:13]
	v_mul_f64 v[12:13], v[4:5], v[12:13]
	scratch_load_b128 v[163:166], off, off offset:624
	v_add_f64 v[171:172], v[171:172], v[183:184]
	v_add_f64 v[173:174], v[173:174], v[177:178]
	s_waitcnt vmcnt(8) lgkmcnt(0)
	v_mul_f64 v[177:178], v[6:7], v[16:17]
	v_mul_f64 v[16:17], v[8:9], v[16:17]
	v_fma_f64 v[175:176], v[4:5], v[10:11], v[175:176]
	v_fma_f64 v[10:11], v[2:3], v[10:11], -v[12:13]
	ds_load_b128 v[2:5], v1 offset:1152
	v_add_f64 v[12:13], v[171:172], v[181:182]
	v_add_f64 v[171:172], v[173:174], v[179:180]
	v_fma_f64 v[177:178], v[8:9], v[14:15], v[177:178]
	v_fma_f64 v[14:15], v[6:7], v[14:15], -v[16:17]
	ds_load_b128 v[6:9], v1 offset:1168
	s_waitcnt vmcnt(7) lgkmcnt(1)
	v_mul_f64 v[173:174], v[2:3], v[20:21]
	v_mul_f64 v[20:21], v[4:5], v[20:21]
	v_add_f64 v[10:11], v[12:13], v[10:11]
	v_add_f64 v[12:13], v[171:172], v[175:176]
	s_delay_alu instid0(VALU_DEP_4) | instskip(NEXT) | instid1(VALU_DEP_4)
	v_fma_f64 v[171:172], v[4:5], v[18:19], v[173:174]
	v_fma_f64 v[18:19], v[2:3], v[18:19], -v[20:21]
	ds_load_b128 v[2:5], v1 offset:1184
	v_add_f64 v[14:15], v[10:11], v[14:15]
	v_add_f64 v[20:21], v[12:13], v[177:178]
	scratch_load_b128 v[10:13], off, off offset:112
	s_waitcnt vmcnt(7) lgkmcnt(1)
	v_mul_f64 v[16:17], v[6:7], v[24:25]
	v_mul_f64 v[24:25], v[8:9], v[24:25]
	v_add_f64 v[14:15], v[14:15], v[18:19]
	v_add_f64 v[18:19], v[20:21], v[171:172]
	s_delay_alu instid0(VALU_DEP_4) | instskip(NEXT) | instid1(VALU_DEP_4)
	v_fma_f64 v[16:17], v[8:9], v[22:23], v[16:17]
	v_fma_f64 v[22:23], v[6:7], v[22:23], -v[24:25]
	ds_load_b128 v[6:9], v1 offset:1200
	s_waitcnt vmcnt(6) lgkmcnt(1)
	v_mul_f64 v[173:174], v[2:3], v[28:29]
	v_mul_f64 v[28:29], v[4:5], v[28:29]
	s_waitcnt vmcnt(5) lgkmcnt(0)
	v_mul_f64 v[20:21], v[6:7], v[32:33]
	v_mul_f64 v[24:25], v[8:9], v[32:33]
	v_add_f64 v[16:17], v[18:19], v[16:17]
	v_add_f64 v[14:15], v[14:15], v[22:23]
	v_fma_f64 v[32:33], v[4:5], v[26:27], v[173:174]
	v_fma_f64 v[26:27], v[2:3], v[26:27], -v[28:29]
	ds_load_b128 v[2:5], v1 offset:1216
	v_fma_f64 v[20:21], v[8:9], v[30:31], v[20:21]
	v_fma_f64 v[24:25], v[6:7], v[30:31], -v[24:25]
	ds_load_b128 v[6:9], v1 offset:1232
	s_waitcnt vmcnt(4) lgkmcnt(1)
	v_mul_f64 v[18:19], v[2:3], v[36:37]
	v_mul_f64 v[22:23], v[4:5], v[36:37]
	v_add_f64 v[16:17], v[16:17], v[32:33]
	v_add_f64 v[14:15], v[14:15], v[26:27]
	s_waitcnt vmcnt(3) lgkmcnt(0)
	v_mul_f64 v[26:27], v[6:7], v[169:170]
	v_mul_f64 v[28:29], v[8:9], v[169:170]
	v_fma_f64 v[18:19], v[4:5], v[34:35], v[18:19]
	v_fma_f64 v[22:23], v[2:3], v[34:35], -v[22:23]
	ds_load_b128 v[2:5], v1 offset:1248
	v_add_f64 v[16:17], v[16:17], v[20:21]
	v_add_f64 v[14:15], v[14:15], v[24:25]
	v_fma_f64 v[26:27], v[8:9], v[167:168], v[26:27]
	v_fma_f64 v[28:29], v[6:7], v[167:168], -v[28:29]
	ds_load_b128 v[6:9], v1 offset:1264
	s_waitcnt vmcnt(2) lgkmcnt(1)
	v_mul_f64 v[20:21], v[2:3], v[40:41]
	v_mul_f64 v[24:25], v[4:5], v[40:41]
	v_add_f64 v[16:17], v[16:17], v[18:19]
	v_add_f64 v[14:15], v[14:15], v[22:23]
	s_waitcnt vmcnt(1) lgkmcnt(0)
	v_mul_f64 v[18:19], v[6:7], v[165:166]
	v_mul_f64 v[22:23], v[8:9], v[165:166]
	v_fma_f64 v[4:5], v[4:5], v[38:39], v[20:21]
	v_fma_f64 v[1:2], v[2:3], v[38:39], -v[24:25]
	v_add_f64 v[16:17], v[16:17], v[26:27]
	v_add_f64 v[14:15], v[14:15], v[28:29]
	v_fma_f64 v[8:9], v[8:9], v[163:164], v[18:19]
	v_fma_f64 v[6:7], v[6:7], v[163:164], -v[22:23]
	s_delay_alu instid0(VALU_DEP_4) | instskip(NEXT) | instid1(VALU_DEP_4)
	v_add_f64 v[3:4], v[16:17], v[4:5]
	v_add_f64 v[1:2], v[14:15], v[1:2]
	s_delay_alu instid0(VALU_DEP_2) | instskip(NEXT) | instid1(VALU_DEP_2)
	v_add_f64 v[3:4], v[3:4], v[8:9]
	v_add_f64 v[1:2], v[1:2], v[6:7]
	s_waitcnt vmcnt(0)
	s_delay_alu instid0(VALU_DEP_2) | instskip(NEXT) | instid1(VALU_DEP_2)
	v_add_f64 v[3:4], v[12:13], -v[3:4]
	v_add_f64 v[1:2], v[10:11], -v[1:2]
	scratch_store_b128 off, v[1:4], off offset:112
	v_cmpx_lt_u32_e32 6, v122
	s_cbranch_execz .LBB103_241
; %bb.240:
	scratch_load_b128 v[1:4], v159, off
	v_mov_b32_e32 v5, 0
	s_delay_alu instid0(VALU_DEP_1)
	v_mov_b32_e32 v6, v5
	v_mov_b32_e32 v7, v5
	;; [unrolled: 1-line block ×3, first 2 shown]
	scratch_store_b128 off, v[5:8], off offset:96
	s_waitcnt vmcnt(0)
	ds_store_b128 v162, v[1:4]
.LBB103_241:
	s_or_b32 exec_lo, exec_lo, s2
	s_waitcnt lgkmcnt(0)
	s_waitcnt_vscnt null, 0x0
	s_barrier
	buffer_gl0_inv
	s_clause 0x7
	scratch_load_b128 v[2:5], off, off offset:112
	scratch_load_b128 v[6:9], off, off offset:128
	;; [unrolled: 1-line block ×8, first 2 shown]
	v_mov_b32_e32 v1, 0
	s_clause 0x1
	scratch_load_b128 v[34:37], off, off offset:240
	scratch_load_b128 v[167:170], off, off offset:256
	s_mov_b32 s2, exec_lo
	ds_load_b128 v[38:41], v1 offset:752
	ds_load_b128 v[163:166], v1 offset:768
	s_waitcnt vmcnt(9) lgkmcnt(1)
	v_mul_f64 v[171:172], v[40:41], v[4:5]
	v_mul_f64 v[4:5], v[38:39], v[4:5]
	s_waitcnt vmcnt(8) lgkmcnt(0)
	v_mul_f64 v[173:174], v[163:164], v[8:9]
	v_mul_f64 v[8:9], v[165:166], v[8:9]
	s_delay_alu instid0(VALU_DEP_4) | instskip(NEXT) | instid1(VALU_DEP_4)
	v_fma_f64 v[171:172], v[38:39], v[2:3], -v[171:172]
	v_fma_f64 v[175:176], v[40:41], v[2:3], v[4:5]
	ds_load_b128 v[2:5], v1 offset:784
	scratch_load_b128 v[38:41], off, off offset:272
	v_fma_f64 v[173:174], v[165:166], v[6:7], v[173:174]
	v_fma_f64 v[179:180], v[163:164], v[6:7], -v[8:9]
	scratch_load_b128 v[163:166], off, off offset:288
	ds_load_b128 v[6:9], v1 offset:800
	s_waitcnt vmcnt(9) lgkmcnt(1)
	v_mul_f64 v[177:178], v[2:3], v[12:13]
	v_mul_f64 v[12:13], v[4:5], v[12:13]
	s_waitcnt vmcnt(8) lgkmcnt(0)
	v_mul_f64 v[181:182], v[6:7], v[16:17]
	v_mul_f64 v[16:17], v[8:9], v[16:17]
	v_add_f64 v[171:172], v[171:172], 0
	v_add_f64 v[175:176], v[175:176], 0
	v_fma_f64 v[177:178], v[4:5], v[10:11], v[177:178]
	v_fma_f64 v[183:184], v[2:3], v[10:11], -v[12:13]
	ds_load_b128 v[2:5], v1 offset:816
	scratch_load_b128 v[10:13], off, off offset:304
	v_add_f64 v[171:172], v[171:172], v[179:180]
	v_add_f64 v[173:174], v[175:176], v[173:174]
	v_fma_f64 v[179:180], v[8:9], v[14:15], v[181:182]
	v_fma_f64 v[181:182], v[6:7], v[14:15], -v[16:17]
	scratch_load_b128 v[14:17], off, off offset:320
	ds_load_b128 v[6:9], v1 offset:832
	s_waitcnt vmcnt(9) lgkmcnt(1)
	v_mul_f64 v[175:176], v[2:3], v[20:21]
	v_mul_f64 v[20:21], v[4:5], v[20:21]
	v_add_f64 v[171:172], v[171:172], v[183:184]
	v_add_f64 v[173:174], v[173:174], v[177:178]
	s_waitcnt vmcnt(8) lgkmcnt(0)
	v_mul_f64 v[177:178], v[6:7], v[24:25]
	v_mul_f64 v[24:25], v[8:9], v[24:25]
	v_fma_f64 v[175:176], v[4:5], v[18:19], v[175:176]
	v_fma_f64 v[183:184], v[2:3], v[18:19], -v[20:21]
	ds_load_b128 v[2:5], v1 offset:848
	scratch_load_b128 v[18:21], off, off offset:336
	v_add_f64 v[171:172], v[171:172], v[181:182]
	v_add_f64 v[173:174], v[173:174], v[179:180]
	v_fma_f64 v[177:178], v[8:9], v[22:23], v[177:178]
	v_fma_f64 v[181:182], v[6:7], v[22:23], -v[24:25]
	scratch_load_b128 v[22:25], off, off offset:352
	ds_load_b128 v[6:9], v1 offset:864
	s_waitcnt vmcnt(9) lgkmcnt(1)
	v_mul_f64 v[179:180], v[2:3], v[28:29]
	v_mul_f64 v[28:29], v[4:5], v[28:29]
	v_add_f64 v[171:172], v[171:172], v[183:184]
	v_add_f64 v[173:174], v[173:174], v[175:176]
	s_waitcnt vmcnt(8) lgkmcnt(0)
	v_mul_f64 v[175:176], v[6:7], v[32:33]
	v_mul_f64 v[32:33], v[8:9], v[32:33]
	;; [unrolled: 18-line block ×7, first 2 shown]
	v_fma_f64 v[175:176], v[4:5], v[26:27], v[175:176]
	v_fma_f64 v[183:184], v[2:3], v[26:27], -v[28:29]
	ds_load_b128 v[2:5], v1 offset:1040
	scratch_load_b128 v[26:29], off, off offset:528
	v_add_f64 v[171:172], v[171:172], v[181:182]
	v_add_f64 v[173:174], v[173:174], v[179:180]
	v_fma_f64 v[177:178], v[8:9], v[30:31], v[177:178]
	v_fma_f64 v[181:182], v[6:7], v[30:31], -v[32:33]
	ds_load_b128 v[6:9], v1 offset:1056
	s_waitcnt vmcnt(8) lgkmcnt(1)
	v_mul_f64 v[179:180], v[2:3], v[36:37]
	v_mul_f64 v[36:37], v[4:5], v[36:37]
	scratch_load_b128 v[30:33], off, off offset:544
	v_add_f64 v[171:172], v[171:172], v[183:184]
	v_add_f64 v[173:174], v[173:174], v[175:176]
	s_waitcnt vmcnt(8) lgkmcnt(0)
	v_mul_f64 v[175:176], v[6:7], v[169:170]
	v_mul_f64 v[169:170], v[8:9], v[169:170]
	v_fma_f64 v[179:180], v[4:5], v[34:35], v[179:180]
	v_fma_f64 v[183:184], v[2:3], v[34:35], -v[36:37]
	scratch_load_b128 v[34:37], off, off offset:560
	ds_load_b128 v[2:5], v1 offset:1072
	v_add_f64 v[171:172], v[171:172], v[181:182]
	v_add_f64 v[173:174], v[173:174], v[177:178]
	v_fma_f64 v[175:176], v[8:9], v[167:168], v[175:176]
	v_fma_f64 v[181:182], v[6:7], v[167:168], -v[169:170]
	ds_load_b128 v[6:9], v1 offset:1088
	s_waitcnt vmcnt(8) lgkmcnt(1)
	v_mul_f64 v[177:178], v[2:3], v[40:41]
	v_mul_f64 v[40:41], v[4:5], v[40:41]
	scratch_load_b128 v[167:170], off, off offset:576
	v_add_f64 v[171:172], v[171:172], v[183:184]
	v_add_f64 v[173:174], v[173:174], v[179:180]
	s_waitcnt vmcnt(8) lgkmcnt(0)
	v_mul_f64 v[179:180], v[6:7], v[165:166]
	v_mul_f64 v[165:166], v[8:9], v[165:166]
	v_fma_f64 v[177:178], v[4:5], v[38:39], v[177:178]
	v_fma_f64 v[183:184], v[2:3], v[38:39], -v[40:41]
	scratch_load_b128 v[38:41], off, off offset:592
	ds_load_b128 v[2:5], v1 offset:1104
	;; [unrolled: 18-line block ×3, first 2 shown]
	v_add_f64 v[171:172], v[171:172], v[181:182]
	v_add_f64 v[173:174], v[173:174], v[179:180]
	v_fma_f64 v[177:178], v[8:9], v[14:15], v[177:178]
	v_fma_f64 v[14:15], v[6:7], v[14:15], -v[16:17]
	ds_load_b128 v[6:9], v1 offset:1152
	s_waitcnt vmcnt(8) lgkmcnt(1)
	v_mul_f64 v[179:180], v[2:3], v[20:21]
	v_mul_f64 v[20:21], v[4:5], v[20:21]
	v_add_f64 v[16:17], v[171:172], v[183:184]
	v_add_f64 v[171:172], v[173:174], v[175:176]
	s_waitcnt vmcnt(7) lgkmcnt(0)
	v_mul_f64 v[173:174], v[6:7], v[24:25]
	v_mul_f64 v[24:25], v[8:9], v[24:25]
	v_fma_f64 v[175:176], v[4:5], v[18:19], v[179:180]
	v_fma_f64 v[18:19], v[2:3], v[18:19], -v[20:21]
	ds_load_b128 v[2:5], v1 offset:1168
	v_add_f64 v[14:15], v[16:17], v[14:15]
	v_add_f64 v[16:17], v[171:172], v[177:178]
	v_fma_f64 v[171:172], v[8:9], v[22:23], v[173:174]
	v_fma_f64 v[22:23], v[6:7], v[22:23], -v[24:25]
	ds_load_b128 v[6:9], v1 offset:1184
	s_waitcnt vmcnt(5) lgkmcnt(0)
	v_mul_f64 v[173:174], v[6:7], v[32:33]
	v_mul_f64 v[32:33], v[8:9], v[32:33]
	v_add_f64 v[18:19], v[14:15], v[18:19]
	v_add_f64 v[24:25], v[16:17], v[175:176]
	scratch_load_b128 v[14:17], off, off offset:96
	v_mul_f64 v[20:21], v[2:3], v[28:29]
	v_mul_f64 v[28:29], v[4:5], v[28:29]
	v_add_f64 v[18:19], v[18:19], v[22:23]
	v_add_f64 v[22:23], v[24:25], v[171:172]
	s_delay_alu instid0(VALU_DEP_4) | instskip(NEXT) | instid1(VALU_DEP_4)
	v_fma_f64 v[20:21], v[4:5], v[26:27], v[20:21]
	v_fma_f64 v[26:27], v[2:3], v[26:27], -v[28:29]
	ds_load_b128 v[2:5], v1 offset:1200
	s_waitcnt vmcnt(5) lgkmcnt(0)
	v_mul_f64 v[24:25], v[2:3], v[36:37]
	v_mul_f64 v[28:29], v[4:5], v[36:37]
	v_fma_f64 v[36:37], v[8:9], v[30:31], v[173:174]
	v_fma_f64 v[30:31], v[6:7], v[30:31], -v[32:33]
	ds_load_b128 v[6:9], v1 offset:1216
	v_add_f64 v[20:21], v[22:23], v[20:21]
	v_add_f64 v[18:19], v[18:19], v[26:27]
	v_fma_f64 v[24:25], v[4:5], v[34:35], v[24:25]
	v_fma_f64 v[28:29], v[2:3], v[34:35], -v[28:29]
	ds_load_b128 v[2:5], v1 offset:1232
	s_waitcnt vmcnt(4) lgkmcnt(1)
	v_mul_f64 v[22:23], v[6:7], v[169:170]
	v_mul_f64 v[26:27], v[8:9], v[169:170]
	v_add_f64 v[20:21], v[20:21], v[36:37]
	v_add_f64 v[18:19], v[18:19], v[30:31]
	s_waitcnt vmcnt(3) lgkmcnt(0)
	v_mul_f64 v[30:31], v[2:3], v[40:41]
	v_mul_f64 v[32:33], v[4:5], v[40:41]
	v_fma_f64 v[22:23], v[8:9], v[167:168], v[22:23]
	v_fma_f64 v[26:27], v[6:7], v[167:168], -v[26:27]
	ds_load_b128 v[6:9], v1 offset:1248
	v_add_f64 v[20:21], v[20:21], v[24:25]
	v_add_f64 v[18:19], v[18:19], v[28:29]
	v_fma_f64 v[30:31], v[4:5], v[38:39], v[30:31]
	v_fma_f64 v[32:33], v[2:3], v[38:39], -v[32:33]
	ds_load_b128 v[2:5], v1 offset:1264
	s_waitcnt vmcnt(2) lgkmcnt(1)
	v_mul_f64 v[24:25], v[6:7], v[165:166]
	v_mul_f64 v[28:29], v[8:9], v[165:166]
	v_add_f64 v[20:21], v[20:21], v[22:23]
	v_add_f64 v[18:19], v[18:19], v[26:27]
	s_waitcnt vmcnt(1) lgkmcnt(0)
	v_mul_f64 v[22:23], v[2:3], v[12:13]
	v_mul_f64 v[12:13], v[4:5], v[12:13]
	v_fma_f64 v[8:9], v[8:9], v[163:164], v[24:25]
	v_fma_f64 v[6:7], v[6:7], v[163:164], -v[28:29]
	v_add_f64 v[20:21], v[20:21], v[30:31]
	v_add_f64 v[18:19], v[18:19], v[32:33]
	v_fma_f64 v[4:5], v[4:5], v[10:11], v[22:23]
	v_fma_f64 v[2:3], v[2:3], v[10:11], -v[12:13]
	s_delay_alu instid0(VALU_DEP_4) | instskip(NEXT) | instid1(VALU_DEP_4)
	v_add_f64 v[8:9], v[20:21], v[8:9]
	v_add_f64 v[6:7], v[18:19], v[6:7]
	s_delay_alu instid0(VALU_DEP_2) | instskip(NEXT) | instid1(VALU_DEP_2)
	v_add_f64 v[4:5], v[8:9], v[4:5]
	v_add_f64 v[2:3], v[6:7], v[2:3]
	s_waitcnt vmcnt(0)
	s_delay_alu instid0(VALU_DEP_2) | instskip(NEXT) | instid1(VALU_DEP_2)
	v_add_f64 v[4:5], v[16:17], -v[4:5]
	v_add_f64 v[2:3], v[14:15], -v[2:3]
	scratch_store_b128 off, v[2:5], off offset:96
	v_cmpx_lt_u32_e32 5, v122
	s_cbranch_execz .LBB103_243
; %bb.242:
	scratch_load_b128 v[5:8], v161, off
	v_mov_b32_e32 v2, v1
	v_mov_b32_e32 v3, v1
	;; [unrolled: 1-line block ×3, first 2 shown]
	scratch_store_b128 off, v[1:4], off offset:80
	s_waitcnt vmcnt(0)
	ds_store_b128 v162, v[5:8]
.LBB103_243:
	s_or_b32 exec_lo, exec_lo, s2
	s_waitcnt lgkmcnt(0)
	s_waitcnt_vscnt null, 0x0
	s_barrier
	buffer_gl0_inv
	s_clause 0x7
	scratch_load_b128 v[2:5], off, off offset:96
	scratch_load_b128 v[6:9], off, off offset:112
	;; [unrolled: 1-line block ×8, first 2 shown]
	ds_load_b128 v[38:41], v1 offset:736
	ds_load_b128 v[163:166], v1 offset:752
	s_clause 0x1
	scratch_load_b128 v[34:37], off, off offset:224
	scratch_load_b128 v[167:170], off, off offset:240
	s_mov_b32 s2, exec_lo
	s_waitcnt vmcnt(9) lgkmcnt(1)
	v_mul_f64 v[171:172], v[40:41], v[4:5]
	v_mul_f64 v[4:5], v[38:39], v[4:5]
	s_waitcnt vmcnt(8) lgkmcnt(0)
	v_mul_f64 v[173:174], v[163:164], v[8:9]
	v_mul_f64 v[8:9], v[165:166], v[8:9]
	s_delay_alu instid0(VALU_DEP_4) | instskip(NEXT) | instid1(VALU_DEP_4)
	v_fma_f64 v[171:172], v[38:39], v[2:3], -v[171:172]
	v_fma_f64 v[175:176], v[40:41], v[2:3], v[4:5]
	ds_load_b128 v[2:5], v1 offset:768
	scratch_load_b128 v[38:41], off, off offset:256
	v_fma_f64 v[173:174], v[165:166], v[6:7], v[173:174]
	v_fma_f64 v[179:180], v[163:164], v[6:7], -v[8:9]
	scratch_load_b128 v[163:166], off, off offset:272
	ds_load_b128 v[6:9], v1 offset:784
	s_waitcnt vmcnt(9) lgkmcnt(1)
	v_mul_f64 v[177:178], v[2:3], v[12:13]
	v_mul_f64 v[12:13], v[4:5], v[12:13]
	s_waitcnt vmcnt(8) lgkmcnt(0)
	v_mul_f64 v[181:182], v[6:7], v[16:17]
	v_mul_f64 v[16:17], v[8:9], v[16:17]
	v_add_f64 v[171:172], v[171:172], 0
	v_add_f64 v[175:176], v[175:176], 0
	v_fma_f64 v[177:178], v[4:5], v[10:11], v[177:178]
	v_fma_f64 v[183:184], v[2:3], v[10:11], -v[12:13]
	ds_load_b128 v[2:5], v1 offset:800
	scratch_load_b128 v[10:13], off, off offset:288
	v_add_f64 v[171:172], v[171:172], v[179:180]
	v_add_f64 v[173:174], v[175:176], v[173:174]
	v_fma_f64 v[179:180], v[8:9], v[14:15], v[181:182]
	v_fma_f64 v[181:182], v[6:7], v[14:15], -v[16:17]
	scratch_load_b128 v[14:17], off, off offset:304
	ds_load_b128 v[6:9], v1 offset:816
	s_waitcnt vmcnt(9) lgkmcnt(1)
	v_mul_f64 v[175:176], v[2:3], v[20:21]
	v_mul_f64 v[20:21], v[4:5], v[20:21]
	v_add_f64 v[171:172], v[171:172], v[183:184]
	v_add_f64 v[173:174], v[173:174], v[177:178]
	s_waitcnt vmcnt(8) lgkmcnt(0)
	v_mul_f64 v[177:178], v[6:7], v[24:25]
	v_mul_f64 v[24:25], v[8:9], v[24:25]
	v_fma_f64 v[175:176], v[4:5], v[18:19], v[175:176]
	v_fma_f64 v[183:184], v[2:3], v[18:19], -v[20:21]
	ds_load_b128 v[2:5], v1 offset:832
	scratch_load_b128 v[18:21], off, off offset:320
	v_add_f64 v[171:172], v[171:172], v[181:182]
	v_add_f64 v[173:174], v[173:174], v[179:180]
	v_fma_f64 v[177:178], v[8:9], v[22:23], v[177:178]
	v_fma_f64 v[181:182], v[6:7], v[22:23], -v[24:25]
	scratch_load_b128 v[22:25], off, off offset:336
	ds_load_b128 v[6:9], v1 offset:848
	s_waitcnt vmcnt(9) lgkmcnt(1)
	v_mul_f64 v[179:180], v[2:3], v[28:29]
	v_mul_f64 v[28:29], v[4:5], v[28:29]
	v_add_f64 v[171:172], v[171:172], v[183:184]
	v_add_f64 v[173:174], v[173:174], v[175:176]
	s_waitcnt vmcnt(8) lgkmcnt(0)
	v_mul_f64 v[175:176], v[6:7], v[32:33]
	v_mul_f64 v[32:33], v[8:9], v[32:33]
	;; [unrolled: 18-line block ×7, first 2 shown]
	v_fma_f64 v[175:176], v[4:5], v[26:27], v[175:176]
	v_fma_f64 v[183:184], v[2:3], v[26:27], -v[28:29]
	ds_load_b128 v[2:5], v1 offset:1024
	scratch_load_b128 v[26:29], off, off offset:512
	v_add_f64 v[171:172], v[171:172], v[181:182]
	v_add_f64 v[173:174], v[173:174], v[179:180]
	v_fma_f64 v[177:178], v[8:9], v[30:31], v[177:178]
	v_fma_f64 v[181:182], v[6:7], v[30:31], -v[32:33]
	ds_load_b128 v[6:9], v1 offset:1040
	s_waitcnt vmcnt(8) lgkmcnt(1)
	v_mul_f64 v[179:180], v[2:3], v[36:37]
	v_mul_f64 v[36:37], v[4:5], v[36:37]
	scratch_load_b128 v[30:33], off, off offset:528
	v_add_f64 v[171:172], v[171:172], v[183:184]
	v_add_f64 v[173:174], v[173:174], v[175:176]
	s_waitcnt vmcnt(8) lgkmcnt(0)
	v_mul_f64 v[175:176], v[6:7], v[169:170]
	v_mul_f64 v[169:170], v[8:9], v[169:170]
	v_fma_f64 v[179:180], v[4:5], v[34:35], v[179:180]
	v_fma_f64 v[183:184], v[2:3], v[34:35], -v[36:37]
	ds_load_b128 v[2:5], v1 offset:1056
	scratch_load_b128 v[34:37], off, off offset:544
	v_add_f64 v[171:172], v[171:172], v[181:182]
	v_add_f64 v[173:174], v[173:174], v[177:178]
	v_fma_f64 v[175:176], v[8:9], v[167:168], v[175:176]
	v_fma_f64 v[181:182], v[6:7], v[167:168], -v[169:170]
	ds_load_b128 v[6:9], v1 offset:1072
	s_waitcnt vmcnt(8) lgkmcnt(1)
	v_mul_f64 v[177:178], v[2:3], v[40:41]
	v_mul_f64 v[40:41], v[4:5], v[40:41]
	scratch_load_b128 v[167:170], off, off offset:560
	v_add_f64 v[171:172], v[171:172], v[183:184]
	v_add_f64 v[173:174], v[173:174], v[179:180]
	s_waitcnt vmcnt(8) lgkmcnt(0)
	v_mul_f64 v[179:180], v[6:7], v[165:166]
	v_mul_f64 v[165:166], v[8:9], v[165:166]
	v_fma_f64 v[177:178], v[4:5], v[38:39], v[177:178]
	v_fma_f64 v[183:184], v[2:3], v[38:39], -v[40:41]
	scratch_load_b128 v[38:41], off, off offset:576
	ds_load_b128 v[2:5], v1 offset:1088
	v_add_f64 v[171:172], v[171:172], v[181:182]
	v_add_f64 v[173:174], v[173:174], v[175:176]
	v_fma_f64 v[179:180], v[8:9], v[163:164], v[179:180]
	v_fma_f64 v[181:182], v[6:7], v[163:164], -v[165:166]
	ds_load_b128 v[6:9], v1 offset:1104
	s_waitcnt vmcnt(8) lgkmcnt(1)
	v_mul_f64 v[175:176], v[2:3], v[12:13]
	v_mul_f64 v[12:13], v[4:5], v[12:13]
	scratch_load_b128 v[163:166], off, off offset:592
	v_add_f64 v[171:172], v[171:172], v[183:184]
	v_add_f64 v[173:174], v[173:174], v[177:178]
	s_waitcnt vmcnt(8) lgkmcnt(0)
	v_mul_f64 v[177:178], v[6:7], v[16:17]
	v_mul_f64 v[16:17], v[8:9], v[16:17]
	v_fma_f64 v[175:176], v[4:5], v[10:11], v[175:176]
	v_fma_f64 v[183:184], v[2:3], v[10:11], -v[12:13]
	scratch_load_b128 v[10:13], off, off offset:608
	ds_load_b128 v[2:5], v1 offset:1120
	v_add_f64 v[171:172], v[171:172], v[181:182]
	v_add_f64 v[173:174], v[173:174], v[179:180]
	v_fma_f64 v[177:178], v[8:9], v[14:15], v[177:178]
	v_fma_f64 v[181:182], v[6:7], v[14:15], -v[16:17]
	ds_load_b128 v[6:9], v1 offset:1136
	s_waitcnt vmcnt(8) lgkmcnt(1)
	v_mul_f64 v[179:180], v[2:3], v[20:21]
	v_mul_f64 v[20:21], v[4:5], v[20:21]
	scratch_load_b128 v[14:17], off, off offset:624
	v_add_f64 v[171:172], v[171:172], v[183:184]
	v_add_f64 v[173:174], v[173:174], v[175:176]
	s_waitcnt vmcnt(8) lgkmcnt(0)
	v_mul_f64 v[175:176], v[6:7], v[24:25]
	v_mul_f64 v[24:25], v[8:9], v[24:25]
	v_fma_f64 v[179:180], v[4:5], v[18:19], v[179:180]
	v_fma_f64 v[18:19], v[2:3], v[18:19], -v[20:21]
	ds_load_b128 v[2:5], v1 offset:1152
	v_add_f64 v[20:21], v[171:172], v[181:182]
	v_add_f64 v[171:172], v[173:174], v[177:178]
	v_fma_f64 v[175:176], v[8:9], v[22:23], v[175:176]
	v_fma_f64 v[22:23], v[6:7], v[22:23], -v[24:25]
	ds_load_b128 v[6:9], v1 offset:1168
	s_waitcnt vmcnt(7) lgkmcnt(1)
	v_mul_f64 v[173:174], v[2:3], v[28:29]
	v_mul_f64 v[28:29], v[4:5], v[28:29]
	v_add_f64 v[18:19], v[20:21], v[18:19]
	v_add_f64 v[20:21], v[171:172], v[179:180]
	s_delay_alu instid0(VALU_DEP_4) | instskip(NEXT) | instid1(VALU_DEP_4)
	v_fma_f64 v[171:172], v[4:5], v[26:27], v[173:174]
	v_fma_f64 v[26:27], v[2:3], v[26:27], -v[28:29]
	ds_load_b128 v[2:5], v1 offset:1184
	v_add_f64 v[22:23], v[18:19], v[22:23]
	v_add_f64 v[28:29], v[20:21], v[175:176]
	scratch_load_b128 v[18:21], off, off offset:80
	s_waitcnt vmcnt(7) lgkmcnt(1)
	v_mul_f64 v[24:25], v[6:7], v[32:33]
	v_mul_f64 v[32:33], v[8:9], v[32:33]
	v_add_f64 v[22:23], v[22:23], v[26:27]
	v_add_f64 v[26:27], v[28:29], v[171:172]
	s_delay_alu instid0(VALU_DEP_4) | instskip(NEXT) | instid1(VALU_DEP_4)
	v_fma_f64 v[24:25], v[8:9], v[30:31], v[24:25]
	v_fma_f64 v[30:31], v[6:7], v[30:31], -v[32:33]
	ds_load_b128 v[6:9], v1 offset:1200
	s_waitcnt vmcnt(6) lgkmcnt(1)
	v_mul_f64 v[173:174], v[2:3], v[36:37]
	v_mul_f64 v[36:37], v[4:5], v[36:37]
	s_waitcnt vmcnt(5) lgkmcnt(0)
	v_mul_f64 v[28:29], v[6:7], v[169:170]
	v_mul_f64 v[32:33], v[8:9], v[169:170]
	v_add_f64 v[24:25], v[26:27], v[24:25]
	v_add_f64 v[22:23], v[22:23], v[30:31]
	v_fma_f64 v[169:170], v[4:5], v[34:35], v[173:174]
	v_fma_f64 v[34:35], v[2:3], v[34:35], -v[36:37]
	ds_load_b128 v[2:5], v1 offset:1216
	v_fma_f64 v[28:29], v[8:9], v[167:168], v[28:29]
	v_fma_f64 v[32:33], v[6:7], v[167:168], -v[32:33]
	ds_load_b128 v[6:9], v1 offset:1232
	s_waitcnt vmcnt(4) lgkmcnt(1)
	v_mul_f64 v[26:27], v[2:3], v[40:41]
	v_mul_f64 v[30:31], v[4:5], v[40:41]
	v_add_f64 v[24:25], v[24:25], v[169:170]
	v_add_f64 v[22:23], v[22:23], v[34:35]
	s_waitcnt vmcnt(3) lgkmcnt(0)
	v_mul_f64 v[34:35], v[6:7], v[165:166]
	v_mul_f64 v[36:37], v[8:9], v[165:166]
	v_fma_f64 v[26:27], v[4:5], v[38:39], v[26:27]
	v_fma_f64 v[30:31], v[2:3], v[38:39], -v[30:31]
	ds_load_b128 v[2:5], v1 offset:1248
	v_add_f64 v[24:25], v[24:25], v[28:29]
	v_add_f64 v[22:23], v[22:23], v[32:33]
	v_fma_f64 v[32:33], v[8:9], v[163:164], v[34:35]
	v_fma_f64 v[34:35], v[6:7], v[163:164], -v[36:37]
	ds_load_b128 v[6:9], v1 offset:1264
	s_waitcnt vmcnt(2) lgkmcnt(1)
	v_mul_f64 v[28:29], v[2:3], v[12:13]
	v_mul_f64 v[12:13], v[4:5], v[12:13]
	v_add_f64 v[24:25], v[24:25], v[26:27]
	v_add_f64 v[22:23], v[22:23], v[30:31]
	s_waitcnt vmcnt(1) lgkmcnt(0)
	v_mul_f64 v[26:27], v[6:7], v[16:17]
	v_mul_f64 v[16:17], v[8:9], v[16:17]
	v_fma_f64 v[4:5], v[4:5], v[10:11], v[28:29]
	v_fma_f64 v[1:2], v[2:3], v[10:11], -v[12:13]
	v_add_f64 v[12:13], v[24:25], v[32:33]
	v_add_f64 v[10:11], v[22:23], v[34:35]
	v_fma_f64 v[8:9], v[8:9], v[14:15], v[26:27]
	v_fma_f64 v[6:7], v[6:7], v[14:15], -v[16:17]
	s_delay_alu instid0(VALU_DEP_4) | instskip(NEXT) | instid1(VALU_DEP_4)
	v_add_f64 v[3:4], v[12:13], v[4:5]
	v_add_f64 v[1:2], v[10:11], v[1:2]
	s_delay_alu instid0(VALU_DEP_2) | instskip(NEXT) | instid1(VALU_DEP_2)
	v_add_f64 v[3:4], v[3:4], v[8:9]
	v_add_f64 v[1:2], v[1:2], v[6:7]
	s_waitcnt vmcnt(0)
	s_delay_alu instid0(VALU_DEP_2) | instskip(NEXT) | instid1(VALU_DEP_2)
	v_add_f64 v[3:4], v[20:21], -v[3:4]
	v_add_f64 v[1:2], v[18:19], -v[1:2]
	scratch_store_b128 off, v[1:4], off offset:80
	v_cmpx_lt_u32_e32 4, v122
	s_cbranch_execz .LBB103_245
; %bb.244:
	scratch_load_b128 v[1:4], v139, off
	v_mov_b32_e32 v5, 0
	s_delay_alu instid0(VALU_DEP_1)
	v_mov_b32_e32 v6, v5
	v_mov_b32_e32 v7, v5
	;; [unrolled: 1-line block ×3, first 2 shown]
	scratch_store_b128 off, v[5:8], off offset:64
	s_waitcnt vmcnt(0)
	ds_store_b128 v162, v[1:4]
.LBB103_245:
	s_or_b32 exec_lo, exec_lo, s2
	s_waitcnt lgkmcnt(0)
	s_waitcnt_vscnt null, 0x0
	s_barrier
	buffer_gl0_inv
	s_clause 0x7
	scratch_load_b128 v[2:5], off, off offset:80
	scratch_load_b128 v[6:9], off, off offset:96
	;; [unrolled: 1-line block ×8, first 2 shown]
	v_mov_b32_e32 v1, 0
	s_clause 0x1
	scratch_load_b128 v[34:37], off, off offset:208
	scratch_load_b128 v[167:170], off, off offset:224
	s_mov_b32 s2, exec_lo
	ds_load_b128 v[38:41], v1 offset:720
	ds_load_b128 v[163:166], v1 offset:736
	s_waitcnt vmcnt(9) lgkmcnt(1)
	v_mul_f64 v[171:172], v[40:41], v[4:5]
	v_mul_f64 v[4:5], v[38:39], v[4:5]
	s_waitcnt vmcnt(8) lgkmcnt(0)
	v_mul_f64 v[173:174], v[163:164], v[8:9]
	v_mul_f64 v[8:9], v[165:166], v[8:9]
	s_delay_alu instid0(VALU_DEP_4) | instskip(NEXT) | instid1(VALU_DEP_4)
	v_fma_f64 v[171:172], v[38:39], v[2:3], -v[171:172]
	v_fma_f64 v[175:176], v[40:41], v[2:3], v[4:5]
	ds_load_b128 v[2:5], v1 offset:752
	scratch_load_b128 v[38:41], off, off offset:240
	v_fma_f64 v[173:174], v[165:166], v[6:7], v[173:174]
	v_fma_f64 v[179:180], v[163:164], v[6:7], -v[8:9]
	scratch_load_b128 v[163:166], off, off offset:256
	ds_load_b128 v[6:9], v1 offset:768
	s_waitcnt vmcnt(9) lgkmcnt(1)
	v_mul_f64 v[177:178], v[2:3], v[12:13]
	v_mul_f64 v[12:13], v[4:5], v[12:13]
	s_waitcnt vmcnt(8) lgkmcnt(0)
	v_mul_f64 v[181:182], v[6:7], v[16:17]
	v_mul_f64 v[16:17], v[8:9], v[16:17]
	v_add_f64 v[171:172], v[171:172], 0
	v_add_f64 v[175:176], v[175:176], 0
	v_fma_f64 v[177:178], v[4:5], v[10:11], v[177:178]
	v_fma_f64 v[183:184], v[2:3], v[10:11], -v[12:13]
	ds_load_b128 v[2:5], v1 offset:784
	scratch_load_b128 v[10:13], off, off offset:272
	v_add_f64 v[171:172], v[171:172], v[179:180]
	v_add_f64 v[173:174], v[175:176], v[173:174]
	v_fma_f64 v[179:180], v[8:9], v[14:15], v[181:182]
	v_fma_f64 v[181:182], v[6:7], v[14:15], -v[16:17]
	scratch_load_b128 v[14:17], off, off offset:288
	ds_load_b128 v[6:9], v1 offset:800
	s_waitcnt vmcnt(9) lgkmcnt(1)
	v_mul_f64 v[175:176], v[2:3], v[20:21]
	v_mul_f64 v[20:21], v[4:5], v[20:21]
	v_add_f64 v[171:172], v[171:172], v[183:184]
	v_add_f64 v[173:174], v[173:174], v[177:178]
	s_waitcnt vmcnt(8) lgkmcnt(0)
	v_mul_f64 v[177:178], v[6:7], v[24:25]
	v_mul_f64 v[24:25], v[8:9], v[24:25]
	v_fma_f64 v[175:176], v[4:5], v[18:19], v[175:176]
	v_fma_f64 v[183:184], v[2:3], v[18:19], -v[20:21]
	ds_load_b128 v[2:5], v1 offset:816
	scratch_load_b128 v[18:21], off, off offset:304
	v_add_f64 v[171:172], v[171:172], v[181:182]
	v_add_f64 v[173:174], v[173:174], v[179:180]
	v_fma_f64 v[177:178], v[8:9], v[22:23], v[177:178]
	v_fma_f64 v[181:182], v[6:7], v[22:23], -v[24:25]
	scratch_load_b128 v[22:25], off, off offset:320
	ds_load_b128 v[6:9], v1 offset:832
	s_waitcnt vmcnt(9) lgkmcnt(1)
	v_mul_f64 v[179:180], v[2:3], v[28:29]
	v_mul_f64 v[28:29], v[4:5], v[28:29]
	v_add_f64 v[171:172], v[171:172], v[183:184]
	v_add_f64 v[173:174], v[173:174], v[175:176]
	s_waitcnt vmcnt(8) lgkmcnt(0)
	v_mul_f64 v[175:176], v[6:7], v[32:33]
	v_mul_f64 v[32:33], v[8:9], v[32:33]
	;; [unrolled: 18-line block ×8, first 2 shown]
	v_fma_f64 v[179:180], v[4:5], v[34:35], v[179:180]
	v_fma_f64 v[183:184], v[2:3], v[34:35], -v[36:37]
	ds_load_b128 v[2:5], v1 offset:1040
	scratch_load_b128 v[34:37], off, off offset:528
	v_add_f64 v[171:172], v[171:172], v[181:182]
	v_add_f64 v[173:174], v[173:174], v[177:178]
	v_fma_f64 v[175:176], v[8:9], v[167:168], v[175:176]
	v_fma_f64 v[181:182], v[6:7], v[167:168], -v[169:170]
	ds_load_b128 v[6:9], v1 offset:1056
	s_waitcnt vmcnt(8) lgkmcnt(1)
	v_mul_f64 v[177:178], v[2:3], v[40:41]
	v_mul_f64 v[40:41], v[4:5], v[40:41]
	scratch_load_b128 v[167:170], off, off offset:544
	v_add_f64 v[171:172], v[171:172], v[183:184]
	v_add_f64 v[173:174], v[173:174], v[179:180]
	s_waitcnt vmcnt(8) lgkmcnt(0)
	v_mul_f64 v[179:180], v[6:7], v[165:166]
	v_mul_f64 v[165:166], v[8:9], v[165:166]
	v_fma_f64 v[177:178], v[4:5], v[38:39], v[177:178]
	v_fma_f64 v[183:184], v[2:3], v[38:39], -v[40:41]
	scratch_load_b128 v[38:41], off, off offset:560
	ds_load_b128 v[2:5], v1 offset:1072
	v_add_f64 v[171:172], v[171:172], v[181:182]
	v_add_f64 v[173:174], v[173:174], v[175:176]
	v_fma_f64 v[179:180], v[8:9], v[163:164], v[179:180]
	v_fma_f64 v[181:182], v[6:7], v[163:164], -v[165:166]
	ds_load_b128 v[6:9], v1 offset:1088
	s_waitcnt vmcnt(8) lgkmcnt(1)
	v_mul_f64 v[175:176], v[2:3], v[12:13]
	v_mul_f64 v[12:13], v[4:5], v[12:13]
	scratch_load_b128 v[163:166], off, off offset:576
	v_add_f64 v[171:172], v[171:172], v[183:184]
	v_add_f64 v[173:174], v[173:174], v[177:178]
	s_waitcnt vmcnt(8) lgkmcnt(0)
	v_mul_f64 v[177:178], v[6:7], v[16:17]
	v_mul_f64 v[16:17], v[8:9], v[16:17]
	v_fma_f64 v[175:176], v[4:5], v[10:11], v[175:176]
	v_fma_f64 v[183:184], v[2:3], v[10:11], -v[12:13]
	scratch_load_b128 v[10:13], off, off offset:592
	ds_load_b128 v[2:5], v1 offset:1104
	;; [unrolled: 18-line block ×3, first 2 shown]
	v_add_f64 v[171:172], v[171:172], v[181:182]
	v_add_f64 v[173:174], v[173:174], v[177:178]
	v_fma_f64 v[175:176], v[8:9], v[22:23], v[175:176]
	v_fma_f64 v[22:23], v[6:7], v[22:23], -v[24:25]
	ds_load_b128 v[6:9], v1 offset:1152
	s_waitcnt vmcnt(8) lgkmcnt(1)
	v_mul_f64 v[177:178], v[2:3], v[28:29]
	v_mul_f64 v[28:29], v[4:5], v[28:29]
	v_add_f64 v[24:25], v[171:172], v[183:184]
	v_add_f64 v[171:172], v[173:174], v[179:180]
	s_waitcnt vmcnt(7) lgkmcnt(0)
	v_mul_f64 v[173:174], v[6:7], v[32:33]
	v_mul_f64 v[32:33], v[8:9], v[32:33]
	v_fma_f64 v[177:178], v[4:5], v[26:27], v[177:178]
	v_fma_f64 v[26:27], v[2:3], v[26:27], -v[28:29]
	ds_load_b128 v[2:5], v1 offset:1168
	v_add_f64 v[22:23], v[24:25], v[22:23]
	v_add_f64 v[24:25], v[171:172], v[175:176]
	v_fma_f64 v[171:172], v[8:9], v[30:31], v[173:174]
	v_fma_f64 v[30:31], v[6:7], v[30:31], -v[32:33]
	ds_load_b128 v[6:9], v1 offset:1184
	s_waitcnt vmcnt(5) lgkmcnt(0)
	v_mul_f64 v[173:174], v[6:7], v[169:170]
	v_mul_f64 v[169:170], v[8:9], v[169:170]
	v_add_f64 v[26:27], v[22:23], v[26:27]
	v_add_f64 v[32:33], v[24:25], v[177:178]
	scratch_load_b128 v[22:25], off, off offset:64
	v_mul_f64 v[28:29], v[2:3], v[36:37]
	v_mul_f64 v[36:37], v[4:5], v[36:37]
	v_add_f64 v[26:27], v[26:27], v[30:31]
	v_add_f64 v[30:31], v[32:33], v[171:172]
	s_delay_alu instid0(VALU_DEP_4) | instskip(NEXT) | instid1(VALU_DEP_4)
	v_fma_f64 v[28:29], v[4:5], v[34:35], v[28:29]
	v_fma_f64 v[34:35], v[2:3], v[34:35], -v[36:37]
	ds_load_b128 v[2:5], v1 offset:1200
	s_waitcnt vmcnt(5) lgkmcnt(0)
	v_mul_f64 v[32:33], v[2:3], v[40:41]
	v_mul_f64 v[36:37], v[4:5], v[40:41]
	v_fma_f64 v[40:41], v[8:9], v[167:168], v[173:174]
	v_fma_f64 v[167:168], v[6:7], v[167:168], -v[169:170]
	ds_load_b128 v[6:9], v1 offset:1216
	v_add_f64 v[28:29], v[30:31], v[28:29]
	v_add_f64 v[26:27], v[26:27], v[34:35]
	v_fma_f64 v[32:33], v[4:5], v[38:39], v[32:33]
	v_fma_f64 v[36:37], v[2:3], v[38:39], -v[36:37]
	ds_load_b128 v[2:5], v1 offset:1232
	s_waitcnt vmcnt(4) lgkmcnt(1)
	v_mul_f64 v[30:31], v[6:7], v[165:166]
	v_mul_f64 v[34:35], v[8:9], v[165:166]
	v_add_f64 v[28:29], v[28:29], v[40:41]
	v_add_f64 v[26:27], v[26:27], v[167:168]
	s_waitcnt vmcnt(3) lgkmcnt(0)
	v_mul_f64 v[38:39], v[2:3], v[12:13]
	v_mul_f64 v[12:13], v[4:5], v[12:13]
	v_fma_f64 v[30:31], v[8:9], v[163:164], v[30:31]
	v_fma_f64 v[34:35], v[6:7], v[163:164], -v[34:35]
	ds_load_b128 v[6:9], v1 offset:1248
	v_add_f64 v[28:29], v[28:29], v[32:33]
	v_add_f64 v[26:27], v[26:27], v[36:37]
	v_fma_f64 v[36:37], v[4:5], v[10:11], v[38:39]
	v_fma_f64 v[10:11], v[2:3], v[10:11], -v[12:13]
	ds_load_b128 v[2:5], v1 offset:1264
	s_waitcnt vmcnt(2) lgkmcnt(1)
	v_mul_f64 v[32:33], v[6:7], v[16:17]
	v_mul_f64 v[16:17], v[8:9], v[16:17]
	v_add_f64 v[12:13], v[26:27], v[34:35]
	v_add_f64 v[26:27], v[28:29], v[30:31]
	s_waitcnt vmcnt(1) lgkmcnt(0)
	v_mul_f64 v[28:29], v[2:3], v[20:21]
	v_mul_f64 v[20:21], v[4:5], v[20:21]
	v_fma_f64 v[8:9], v[8:9], v[14:15], v[32:33]
	v_fma_f64 v[6:7], v[6:7], v[14:15], -v[16:17]
	v_add_f64 v[10:11], v[12:13], v[10:11]
	v_add_f64 v[12:13], v[26:27], v[36:37]
	v_fma_f64 v[4:5], v[4:5], v[18:19], v[28:29]
	v_fma_f64 v[2:3], v[2:3], v[18:19], -v[20:21]
	s_delay_alu instid0(VALU_DEP_4) | instskip(NEXT) | instid1(VALU_DEP_4)
	v_add_f64 v[6:7], v[10:11], v[6:7]
	v_add_f64 v[8:9], v[12:13], v[8:9]
	s_delay_alu instid0(VALU_DEP_2) | instskip(NEXT) | instid1(VALU_DEP_2)
	v_add_f64 v[2:3], v[6:7], v[2:3]
	v_add_f64 v[4:5], v[8:9], v[4:5]
	s_waitcnt vmcnt(0)
	s_delay_alu instid0(VALU_DEP_2) | instskip(NEXT) | instid1(VALU_DEP_2)
	v_add_f64 v[2:3], v[22:23], -v[2:3]
	v_add_f64 v[4:5], v[24:25], -v[4:5]
	scratch_store_b128 off, v[2:5], off offset:64
	v_cmpx_lt_u32_e32 3, v122
	s_cbranch_execz .LBB103_247
; %bb.246:
	scratch_load_b128 v[5:8], v142, off
	v_mov_b32_e32 v2, v1
	v_mov_b32_e32 v3, v1
	;; [unrolled: 1-line block ×3, first 2 shown]
	scratch_store_b128 off, v[1:4], off offset:48
	s_waitcnt vmcnt(0)
	ds_store_b128 v162, v[5:8]
.LBB103_247:
	s_or_b32 exec_lo, exec_lo, s2
	s_waitcnt lgkmcnt(0)
	s_waitcnt_vscnt null, 0x0
	s_barrier
	buffer_gl0_inv
	s_clause 0x7
	scratch_load_b128 v[2:5], off, off offset:64
	scratch_load_b128 v[6:9], off, off offset:80
	;; [unrolled: 1-line block ×8, first 2 shown]
	ds_load_b128 v[38:41], v1 offset:704
	ds_load_b128 v[163:166], v1 offset:720
	s_clause 0x1
	scratch_load_b128 v[34:37], off, off offset:192
	scratch_load_b128 v[167:170], off, off offset:208
	s_mov_b32 s2, exec_lo
	s_waitcnt vmcnt(9) lgkmcnt(1)
	v_mul_f64 v[171:172], v[40:41], v[4:5]
	v_mul_f64 v[4:5], v[38:39], v[4:5]
	s_waitcnt vmcnt(8) lgkmcnt(0)
	v_mul_f64 v[173:174], v[163:164], v[8:9]
	v_mul_f64 v[8:9], v[165:166], v[8:9]
	s_delay_alu instid0(VALU_DEP_4) | instskip(NEXT) | instid1(VALU_DEP_4)
	v_fma_f64 v[171:172], v[38:39], v[2:3], -v[171:172]
	v_fma_f64 v[175:176], v[40:41], v[2:3], v[4:5]
	ds_load_b128 v[2:5], v1 offset:736
	scratch_load_b128 v[38:41], off, off offset:224
	v_fma_f64 v[173:174], v[165:166], v[6:7], v[173:174]
	v_fma_f64 v[179:180], v[163:164], v[6:7], -v[8:9]
	scratch_load_b128 v[163:166], off, off offset:240
	ds_load_b128 v[6:9], v1 offset:752
	s_waitcnt vmcnt(9) lgkmcnt(1)
	v_mul_f64 v[177:178], v[2:3], v[12:13]
	v_mul_f64 v[12:13], v[4:5], v[12:13]
	s_waitcnt vmcnt(8) lgkmcnt(0)
	v_mul_f64 v[181:182], v[6:7], v[16:17]
	v_mul_f64 v[16:17], v[8:9], v[16:17]
	v_add_f64 v[171:172], v[171:172], 0
	v_add_f64 v[175:176], v[175:176], 0
	v_fma_f64 v[177:178], v[4:5], v[10:11], v[177:178]
	v_fma_f64 v[183:184], v[2:3], v[10:11], -v[12:13]
	ds_load_b128 v[2:5], v1 offset:768
	scratch_load_b128 v[10:13], off, off offset:256
	v_add_f64 v[171:172], v[171:172], v[179:180]
	v_add_f64 v[173:174], v[175:176], v[173:174]
	v_fma_f64 v[179:180], v[8:9], v[14:15], v[181:182]
	v_fma_f64 v[181:182], v[6:7], v[14:15], -v[16:17]
	scratch_load_b128 v[14:17], off, off offset:272
	ds_load_b128 v[6:9], v1 offset:784
	s_waitcnt vmcnt(9) lgkmcnt(1)
	v_mul_f64 v[175:176], v[2:3], v[20:21]
	v_mul_f64 v[20:21], v[4:5], v[20:21]
	v_add_f64 v[171:172], v[171:172], v[183:184]
	v_add_f64 v[173:174], v[173:174], v[177:178]
	s_waitcnt vmcnt(8) lgkmcnt(0)
	v_mul_f64 v[177:178], v[6:7], v[24:25]
	v_mul_f64 v[24:25], v[8:9], v[24:25]
	v_fma_f64 v[175:176], v[4:5], v[18:19], v[175:176]
	v_fma_f64 v[183:184], v[2:3], v[18:19], -v[20:21]
	ds_load_b128 v[2:5], v1 offset:800
	scratch_load_b128 v[18:21], off, off offset:288
	v_add_f64 v[171:172], v[171:172], v[181:182]
	v_add_f64 v[173:174], v[173:174], v[179:180]
	v_fma_f64 v[177:178], v[8:9], v[22:23], v[177:178]
	v_fma_f64 v[181:182], v[6:7], v[22:23], -v[24:25]
	scratch_load_b128 v[22:25], off, off offset:304
	ds_load_b128 v[6:9], v1 offset:816
	s_waitcnt vmcnt(9) lgkmcnt(1)
	v_mul_f64 v[179:180], v[2:3], v[28:29]
	v_mul_f64 v[28:29], v[4:5], v[28:29]
	v_add_f64 v[171:172], v[171:172], v[183:184]
	v_add_f64 v[173:174], v[173:174], v[175:176]
	s_waitcnt vmcnt(8) lgkmcnt(0)
	v_mul_f64 v[175:176], v[6:7], v[32:33]
	v_mul_f64 v[32:33], v[8:9], v[32:33]
	;; [unrolled: 18-line block ×8, first 2 shown]
	v_fma_f64 v[179:180], v[4:5], v[34:35], v[179:180]
	v_fma_f64 v[183:184], v[2:3], v[34:35], -v[36:37]
	ds_load_b128 v[2:5], v1 offset:1024
	scratch_load_b128 v[34:37], off, off offset:512
	v_add_f64 v[171:172], v[171:172], v[181:182]
	v_add_f64 v[173:174], v[173:174], v[177:178]
	v_fma_f64 v[175:176], v[8:9], v[167:168], v[175:176]
	v_fma_f64 v[181:182], v[6:7], v[167:168], -v[169:170]
	ds_load_b128 v[6:9], v1 offset:1040
	s_waitcnt vmcnt(8) lgkmcnt(1)
	v_mul_f64 v[177:178], v[2:3], v[40:41]
	v_mul_f64 v[40:41], v[4:5], v[40:41]
	scratch_load_b128 v[167:170], off, off offset:528
	v_add_f64 v[171:172], v[171:172], v[183:184]
	v_add_f64 v[173:174], v[173:174], v[179:180]
	s_waitcnt vmcnt(8) lgkmcnt(0)
	v_mul_f64 v[179:180], v[6:7], v[165:166]
	v_mul_f64 v[165:166], v[8:9], v[165:166]
	v_fma_f64 v[177:178], v[4:5], v[38:39], v[177:178]
	v_fma_f64 v[183:184], v[2:3], v[38:39], -v[40:41]
	ds_load_b128 v[2:5], v1 offset:1056
	scratch_load_b128 v[38:41], off, off offset:544
	v_add_f64 v[171:172], v[171:172], v[181:182]
	v_add_f64 v[173:174], v[173:174], v[175:176]
	v_fma_f64 v[179:180], v[8:9], v[163:164], v[179:180]
	v_fma_f64 v[181:182], v[6:7], v[163:164], -v[165:166]
	ds_load_b128 v[6:9], v1 offset:1072
	s_waitcnt vmcnt(8) lgkmcnt(1)
	v_mul_f64 v[175:176], v[2:3], v[12:13]
	v_mul_f64 v[12:13], v[4:5], v[12:13]
	scratch_load_b128 v[163:166], off, off offset:560
	v_add_f64 v[171:172], v[171:172], v[183:184]
	v_add_f64 v[173:174], v[173:174], v[177:178]
	s_waitcnt vmcnt(8) lgkmcnt(0)
	v_mul_f64 v[177:178], v[6:7], v[16:17]
	v_mul_f64 v[16:17], v[8:9], v[16:17]
	v_fma_f64 v[175:176], v[4:5], v[10:11], v[175:176]
	v_fma_f64 v[183:184], v[2:3], v[10:11], -v[12:13]
	scratch_load_b128 v[10:13], off, off offset:576
	ds_load_b128 v[2:5], v1 offset:1088
	v_add_f64 v[171:172], v[171:172], v[181:182]
	v_add_f64 v[173:174], v[173:174], v[179:180]
	v_fma_f64 v[177:178], v[8:9], v[14:15], v[177:178]
	v_fma_f64 v[181:182], v[6:7], v[14:15], -v[16:17]
	ds_load_b128 v[6:9], v1 offset:1104
	s_waitcnt vmcnt(8) lgkmcnt(1)
	v_mul_f64 v[179:180], v[2:3], v[20:21]
	v_mul_f64 v[20:21], v[4:5], v[20:21]
	scratch_load_b128 v[14:17], off, off offset:592
	v_add_f64 v[171:172], v[171:172], v[183:184]
	v_add_f64 v[173:174], v[173:174], v[175:176]
	s_waitcnt vmcnt(8) lgkmcnt(0)
	v_mul_f64 v[175:176], v[6:7], v[24:25]
	v_mul_f64 v[24:25], v[8:9], v[24:25]
	v_fma_f64 v[179:180], v[4:5], v[18:19], v[179:180]
	v_fma_f64 v[183:184], v[2:3], v[18:19], -v[20:21]
	scratch_load_b128 v[18:21], off, off offset:608
	ds_load_b128 v[2:5], v1 offset:1120
	v_add_f64 v[171:172], v[171:172], v[181:182]
	v_add_f64 v[173:174], v[173:174], v[177:178]
	v_fma_f64 v[175:176], v[8:9], v[22:23], v[175:176]
	v_fma_f64 v[181:182], v[6:7], v[22:23], -v[24:25]
	ds_load_b128 v[6:9], v1 offset:1136
	s_waitcnt vmcnt(8) lgkmcnt(1)
	v_mul_f64 v[177:178], v[2:3], v[28:29]
	v_mul_f64 v[28:29], v[4:5], v[28:29]
	scratch_load_b128 v[22:25], off, off offset:624
	v_add_f64 v[171:172], v[171:172], v[183:184]
	v_add_f64 v[173:174], v[173:174], v[179:180]
	s_waitcnt vmcnt(8) lgkmcnt(0)
	v_mul_f64 v[179:180], v[6:7], v[32:33]
	v_mul_f64 v[32:33], v[8:9], v[32:33]
	v_fma_f64 v[177:178], v[4:5], v[26:27], v[177:178]
	v_fma_f64 v[26:27], v[2:3], v[26:27], -v[28:29]
	ds_load_b128 v[2:5], v1 offset:1152
	v_add_f64 v[28:29], v[171:172], v[181:182]
	v_add_f64 v[171:172], v[173:174], v[175:176]
	v_fma_f64 v[175:176], v[8:9], v[30:31], v[179:180]
	v_fma_f64 v[30:31], v[6:7], v[30:31], -v[32:33]
	ds_load_b128 v[6:9], v1 offset:1168
	s_waitcnt vmcnt(7) lgkmcnt(1)
	v_mul_f64 v[173:174], v[2:3], v[36:37]
	v_mul_f64 v[36:37], v[4:5], v[36:37]
	v_add_f64 v[26:27], v[28:29], v[26:27]
	v_add_f64 v[28:29], v[171:172], v[177:178]
	s_delay_alu instid0(VALU_DEP_4) | instskip(NEXT) | instid1(VALU_DEP_4)
	v_fma_f64 v[171:172], v[4:5], v[34:35], v[173:174]
	v_fma_f64 v[34:35], v[2:3], v[34:35], -v[36:37]
	ds_load_b128 v[2:5], v1 offset:1184
	v_add_f64 v[30:31], v[26:27], v[30:31]
	v_add_f64 v[36:37], v[28:29], v[175:176]
	scratch_load_b128 v[26:29], off, off offset:48
	s_waitcnt vmcnt(7) lgkmcnt(1)
	v_mul_f64 v[32:33], v[6:7], v[169:170]
	v_mul_f64 v[169:170], v[8:9], v[169:170]
	v_add_f64 v[30:31], v[30:31], v[34:35]
	v_add_f64 v[34:35], v[36:37], v[171:172]
	s_delay_alu instid0(VALU_DEP_4) | instskip(NEXT) | instid1(VALU_DEP_4)
	v_fma_f64 v[32:33], v[8:9], v[167:168], v[32:33]
	v_fma_f64 v[167:168], v[6:7], v[167:168], -v[169:170]
	ds_load_b128 v[6:9], v1 offset:1200
	s_waitcnt vmcnt(6) lgkmcnt(1)
	v_mul_f64 v[173:174], v[2:3], v[40:41]
	v_mul_f64 v[40:41], v[4:5], v[40:41]
	s_waitcnt vmcnt(5) lgkmcnt(0)
	v_mul_f64 v[36:37], v[6:7], v[165:166]
	v_mul_f64 v[165:166], v[8:9], v[165:166]
	v_add_f64 v[32:33], v[34:35], v[32:33]
	v_add_f64 v[30:31], v[30:31], v[167:168]
	v_fma_f64 v[169:170], v[4:5], v[38:39], v[173:174]
	v_fma_f64 v[38:39], v[2:3], v[38:39], -v[40:41]
	ds_load_b128 v[2:5], v1 offset:1216
	v_fma_f64 v[36:37], v[8:9], v[163:164], v[36:37]
	v_fma_f64 v[40:41], v[6:7], v[163:164], -v[165:166]
	ds_load_b128 v[6:9], v1 offset:1232
	s_waitcnt vmcnt(4) lgkmcnt(1)
	v_mul_f64 v[34:35], v[2:3], v[12:13]
	v_mul_f64 v[12:13], v[4:5], v[12:13]
	v_add_f64 v[32:33], v[32:33], v[169:170]
	v_add_f64 v[30:31], v[30:31], v[38:39]
	s_waitcnt vmcnt(3) lgkmcnt(0)
	v_mul_f64 v[38:39], v[6:7], v[16:17]
	v_mul_f64 v[16:17], v[8:9], v[16:17]
	v_fma_f64 v[34:35], v[4:5], v[10:11], v[34:35]
	v_fma_f64 v[10:11], v[2:3], v[10:11], -v[12:13]
	ds_load_b128 v[2:5], v1 offset:1248
	v_add_f64 v[12:13], v[30:31], v[40:41]
	v_add_f64 v[30:31], v[32:33], v[36:37]
	v_fma_f64 v[36:37], v[8:9], v[14:15], v[38:39]
	v_fma_f64 v[14:15], v[6:7], v[14:15], -v[16:17]
	ds_load_b128 v[6:9], v1 offset:1264
	s_waitcnt vmcnt(2) lgkmcnt(1)
	v_mul_f64 v[32:33], v[2:3], v[20:21]
	v_mul_f64 v[20:21], v[4:5], v[20:21]
	s_waitcnt vmcnt(1) lgkmcnt(0)
	v_mul_f64 v[16:17], v[6:7], v[24:25]
	v_mul_f64 v[24:25], v[8:9], v[24:25]
	v_add_f64 v[10:11], v[12:13], v[10:11]
	v_add_f64 v[12:13], v[30:31], v[34:35]
	v_fma_f64 v[4:5], v[4:5], v[18:19], v[32:33]
	v_fma_f64 v[1:2], v[2:3], v[18:19], -v[20:21]
	v_fma_f64 v[8:9], v[8:9], v[22:23], v[16:17]
	v_fma_f64 v[6:7], v[6:7], v[22:23], -v[24:25]
	v_add_f64 v[10:11], v[10:11], v[14:15]
	v_add_f64 v[12:13], v[12:13], v[36:37]
	s_delay_alu instid0(VALU_DEP_2) | instskip(NEXT) | instid1(VALU_DEP_2)
	v_add_f64 v[1:2], v[10:11], v[1:2]
	v_add_f64 v[3:4], v[12:13], v[4:5]
	s_delay_alu instid0(VALU_DEP_2) | instskip(NEXT) | instid1(VALU_DEP_2)
	v_add_f64 v[1:2], v[1:2], v[6:7]
	v_add_f64 v[3:4], v[3:4], v[8:9]
	s_waitcnt vmcnt(0)
	s_delay_alu instid0(VALU_DEP_2) | instskip(NEXT) | instid1(VALU_DEP_2)
	v_add_f64 v[1:2], v[26:27], -v[1:2]
	v_add_f64 v[3:4], v[28:29], -v[3:4]
	scratch_store_b128 off, v[1:4], off offset:48
	v_cmpx_lt_u32_e32 2, v122
	s_cbranch_execz .LBB103_249
; %bb.248:
	scratch_load_b128 v[1:4], v140, off
	v_mov_b32_e32 v5, 0
	s_delay_alu instid0(VALU_DEP_1)
	v_mov_b32_e32 v6, v5
	v_mov_b32_e32 v7, v5
	;; [unrolled: 1-line block ×3, first 2 shown]
	scratch_store_b128 off, v[5:8], off offset:32
	s_waitcnt vmcnt(0)
	ds_store_b128 v162, v[1:4]
.LBB103_249:
	s_or_b32 exec_lo, exec_lo, s2
	s_waitcnt lgkmcnt(0)
	s_waitcnt_vscnt null, 0x0
	s_barrier
	buffer_gl0_inv
	s_clause 0x7
	scratch_load_b128 v[2:5], off, off offset:48
	scratch_load_b128 v[6:9], off, off offset:64
	;; [unrolled: 1-line block ×8, first 2 shown]
	v_mov_b32_e32 v1, 0
	s_clause 0x1
	scratch_load_b128 v[34:37], off, off offset:176
	scratch_load_b128 v[167:170], off, off offset:192
	s_mov_b32 s2, exec_lo
	ds_load_b128 v[38:41], v1 offset:688
	ds_load_b128 v[163:166], v1 offset:704
	s_waitcnt vmcnt(9) lgkmcnt(1)
	v_mul_f64 v[171:172], v[40:41], v[4:5]
	v_mul_f64 v[4:5], v[38:39], v[4:5]
	s_waitcnt vmcnt(8) lgkmcnt(0)
	v_mul_f64 v[173:174], v[163:164], v[8:9]
	v_mul_f64 v[8:9], v[165:166], v[8:9]
	s_delay_alu instid0(VALU_DEP_4) | instskip(NEXT) | instid1(VALU_DEP_4)
	v_fma_f64 v[171:172], v[38:39], v[2:3], -v[171:172]
	v_fma_f64 v[175:176], v[40:41], v[2:3], v[4:5]
	ds_load_b128 v[2:5], v1 offset:720
	scratch_load_b128 v[38:41], off, off offset:208
	v_fma_f64 v[173:174], v[165:166], v[6:7], v[173:174]
	v_fma_f64 v[179:180], v[163:164], v[6:7], -v[8:9]
	scratch_load_b128 v[163:166], off, off offset:224
	ds_load_b128 v[6:9], v1 offset:736
	s_waitcnt vmcnt(9) lgkmcnt(1)
	v_mul_f64 v[177:178], v[2:3], v[12:13]
	v_mul_f64 v[12:13], v[4:5], v[12:13]
	s_waitcnt vmcnt(8) lgkmcnt(0)
	v_mul_f64 v[181:182], v[6:7], v[16:17]
	v_mul_f64 v[16:17], v[8:9], v[16:17]
	v_add_f64 v[171:172], v[171:172], 0
	v_add_f64 v[175:176], v[175:176], 0
	v_fma_f64 v[177:178], v[4:5], v[10:11], v[177:178]
	v_fma_f64 v[183:184], v[2:3], v[10:11], -v[12:13]
	ds_load_b128 v[2:5], v1 offset:752
	scratch_load_b128 v[10:13], off, off offset:240
	v_add_f64 v[171:172], v[171:172], v[179:180]
	v_add_f64 v[173:174], v[175:176], v[173:174]
	v_fma_f64 v[179:180], v[8:9], v[14:15], v[181:182]
	v_fma_f64 v[181:182], v[6:7], v[14:15], -v[16:17]
	scratch_load_b128 v[14:17], off, off offset:256
	ds_load_b128 v[6:9], v1 offset:768
	s_waitcnt vmcnt(9) lgkmcnt(1)
	v_mul_f64 v[175:176], v[2:3], v[20:21]
	v_mul_f64 v[20:21], v[4:5], v[20:21]
	v_add_f64 v[171:172], v[171:172], v[183:184]
	v_add_f64 v[173:174], v[173:174], v[177:178]
	s_waitcnt vmcnt(8) lgkmcnt(0)
	v_mul_f64 v[177:178], v[6:7], v[24:25]
	v_mul_f64 v[24:25], v[8:9], v[24:25]
	v_fma_f64 v[175:176], v[4:5], v[18:19], v[175:176]
	v_fma_f64 v[183:184], v[2:3], v[18:19], -v[20:21]
	ds_load_b128 v[2:5], v1 offset:784
	scratch_load_b128 v[18:21], off, off offset:272
	v_add_f64 v[171:172], v[171:172], v[181:182]
	v_add_f64 v[173:174], v[173:174], v[179:180]
	v_fma_f64 v[177:178], v[8:9], v[22:23], v[177:178]
	v_fma_f64 v[181:182], v[6:7], v[22:23], -v[24:25]
	scratch_load_b128 v[22:25], off, off offset:288
	ds_load_b128 v[6:9], v1 offset:800
	s_waitcnt vmcnt(9) lgkmcnt(1)
	v_mul_f64 v[179:180], v[2:3], v[28:29]
	v_mul_f64 v[28:29], v[4:5], v[28:29]
	v_add_f64 v[171:172], v[171:172], v[183:184]
	v_add_f64 v[173:174], v[173:174], v[175:176]
	s_waitcnt vmcnt(8) lgkmcnt(0)
	v_mul_f64 v[175:176], v[6:7], v[32:33]
	v_mul_f64 v[32:33], v[8:9], v[32:33]
	v_fma_f64 v[179:180], v[4:5], v[26:27], v[179:180]
	v_fma_f64 v[183:184], v[2:3], v[26:27], -v[28:29]
	ds_load_b128 v[2:5], v1 offset:816
	scratch_load_b128 v[26:29], off, off offset:304
	v_add_f64 v[171:172], v[171:172], v[181:182]
	v_add_f64 v[173:174], v[173:174], v[177:178]
	v_fma_f64 v[175:176], v[8:9], v[30:31], v[175:176]
	v_fma_f64 v[181:182], v[6:7], v[30:31], -v[32:33]
	scratch_load_b128 v[30:33], off, off offset:320
	ds_load_b128 v[6:9], v1 offset:832
	s_waitcnt vmcnt(9) lgkmcnt(1)
	v_mul_f64 v[177:178], v[2:3], v[36:37]
	v_mul_f64 v[36:37], v[4:5], v[36:37]
	v_add_f64 v[171:172], v[171:172], v[183:184]
	v_add_f64 v[173:174], v[173:174], v[179:180]
	s_waitcnt vmcnt(8) lgkmcnt(0)
	v_mul_f64 v[179:180], v[6:7], v[169:170]
	v_mul_f64 v[169:170], v[8:9], v[169:170]
	v_fma_f64 v[177:178], v[4:5], v[34:35], v[177:178]
	v_fma_f64 v[183:184], v[2:3], v[34:35], -v[36:37]
	ds_load_b128 v[2:5], v1 offset:848
	scratch_load_b128 v[34:37], off, off offset:336
	v_add_f64 v[171:172], v[171:172], v[181:182]
	v_add_f64 v[173:174], v[173:174], v[175:176]
	v_fma_f64 v[179:180], v[8:9], v[167:168], v[179:180]
	v_fma_f64 v[181:182], v[6:7], v[167:168], -v[169:170]
	scratch_load_b128 v[167:170], off, off offset:352
	ds_load_b128 v[6:9], v1 offset:864
	s_waitcnt vmcnt(9) lgkmcnt(1)
	v_mul_f64 v[175:176], v[2:3], v[40:41]
	v_mul_f64 v[40:41], v[4:5], v[40:41]
	v_add_f64 v[171:172], v[171:172], v[183:184]
	v_add_f64 v[173:174], v[173:174], v[177:178]
	s_waitcnt vmcnt(8) lgkmcnt(0)
	v_mul_f64 v[177:178], v[6:7], v[165:166]
	v_mul_f64 v[165:166], v[8:9], v[165:166]
	v_fma_f64 v[175:176], v[4:5], v[38:39], v[175:176]
	v_fma_f64 v[183:184], v[2:3], v[38:39], -v[40:41]
	ds_load_b128 v[2:5], v1 offset:880
	scratch_load_b128 v[38:41], off, off offset:368
	v_add_f64 v[171:172], v[171:172], v[181:182]
	v_add_f64 v[173:174], v[173:174], v[179:180]
	v_fma_f64 v[177:178], v[8:9], v[163:164], v[177:178]
	v_fma_f64 v[181:182], v[6:7], v[163:164], -v[165:166]
	scratch_load_b128 v[163:166], off, off offset:384
	ds_load_b128 v[6:9], v1 offset:896
	s_waitcnt vmcnt(9) lgkmcnt(1)
	v_mul_f64 v[179:180], v[2:3], v[12:13]
	v_mul_f64 v[12:13], v[4:5], v[12:13]
	v_add_f64 v[171:172], v[171:172], v[183:184]
	v_add_f64 v[173:174], v[173:174], v[175:176]
	s_waitcnt vmcnt(8) lgkmcnt(0)
	v_mul_f64 v[175:176], v[6:7], v[16:17]
	v_mul_f64 v[16:17], v[8:9], v[16:17]
	v_fma_f64 v[179:180], v[4:5], v[10:11], v[179:180]
	v_fma_f64 v[183:184], v[2:3], v[10:11], -v[12:13]
	ds_load_b128 v[2:5], v1 offset:912
	scratch_load_b128 v[10:13], off, off offset:400
	v_add_f64 v[171:172], v[171:172], v[181:182]
	v_add_f64 v[173:174], v[173:174], v[177:178]
	v_fma_f64 v[175:176], v[8:9], v[14:15], v[175:176]
	v_fma_f64 v[181:182], v[6:7], v[14:15], -v[16:17]
	scratch_load_b128 v[14:17], off, off offset:416
	ds_load_b128 v[6:9], v1 offset:928
	s_waitcnt vmcnt(9) lgkmcnt(1)
	v_mul_f64 v[177:178], v[2:3], v[20:21]
	v_mul_f64 v[20:21], v[4:5], v[20:21]
	v_add_f64 v[171:172], v[171:172], v[183:184]
	v_add_f64 v[173:174], v[173:174], v[179:180]
	s_waitcnt vmcnt(8) lgkmcnt(0)
	v_mul_f64 v[179:180], v[6:7], v[24:25]
	v_mul_f64 v[24:25], v[8:9], v[24:25]
	v_fma_f64 v[177:178], v[4:5], v[18:19], v[177:178]
	v_fma_f64 v[183:184], v[2:3], v[18:19], -v[20:21]
	ds_load_b128 v[2:5], v1 offset:944
	scratch_load_b128 v[18:21], off, off offset:432
	v_add_f64 v[171:172], v[171:172], v[181:182]
	v_add_f64 v[173:174], v[173:174], v[175:176]
	v_fma_f64 v[179:180], v[8:9], v[22:23], v[179:180]
	v_fma_f64 v[181:182], v[6:7], v[22:23], -v[24:25]
	scratch_load_b128 v[22:25], off, off offset:448
	ds_load_b128 v[6:9], v1 offset:960
	s_waitcnt vmcnt(9) lgkmcnt(1)
	v_mul_f64 v[175:176], v[2:3], v[28:29]
	v_mul_f64 v[28:29], v[4:5], v[28:29]
	v_add_f64 v[171:172], v[171:172], v[183:184]
	v_add_f64 v[173:174], v[173:174], v[177:178]
	s_waitcnt vmcnt(8) lgkmcnt(0)
	v_mul_f64 v[177:178], v[6:7], v[32:33]
	v_mul_f64 v[32:33], v[8:9], v[32:33]
	v_fma_f64 v[175:176], v[4:5], v[26:27], v[175:176]
	v_fma_f64 v[183:184], v[2:3], v[26:27], -v[28:29]
	ds_load_b128 v[2:5], v1 offset:976
	scratch_load_b128 v[26:29], off, off offset:464
	v_add_f64 v[171:172], v[171:172], v[181:182]
	v_add_f64 v[173:174], v[173:174], v[179:180]
	v_fma_f64 v[177:178], v[8:9], v[30:31], v[177:178]
	v_fma_f64 v[181:182], v[6:7], v[30:31], -v[32:33]
	scratch_load_b128 v[30:33], off, off offset:480
	ds_load_b128 v[6:9], v1 offset:992
	s_waitcnt vmcnt(9) lgkmcnt(1)
	v_mul_f64 v[179:180], v[2:3], v[36:37]
	v_mul_f64 v[36:37], v[4:5], v[36:37]
	v_add_f64 v[171:172], v[171:172], v[183:184]
	v_add_f64 v[173:174], v[173:174], v[175:176]
	s_waitcnt vmcnt(8) lgkmcnt(0)
	v_mul_f64 v[175:176], v[6:7], v[169:170]
	v_mul_f64 v[169:170], v[8:9], v[169:170]
	v_fma_f64 v[179:180], v[4:5], v[34:35], v[179:180]
	v_fma_f64 v[183:184], v[2:3], v[34:35], -v[36:37]
	ds_load_b128 v[2:5], v1 offset:1008
	scratch_load_b128 v[34:37], off, off offset:496
	v_add_f64 v[171:172], v[171:172], v[181:182]
	v_add_f64 v[173:174], v[173:174], v[177:178]
	v_fma_f64 v[175:176], v[8:9], v[167:168], v[175:176]
	v_fma_f64 v[181:182], v[6:7], v[167:168], -v[169:170]
	scratch_load_b128 v[167:170], off, off offset:512
	ds_load_b128 v[6:9], v1 offset:1024
	s_waitcnt vmcnt(9) lgkmcnt(1)
	v_mul_f64 v[177:178], v[2:3], v[40:41]
	v_mul_f64 v[40:41], v[4:5], v[40:41]
	v_add_f64 v[171:172], v[171:172], v[183:184]
	v_add_f64 v[173:174], v[173:174], v[179:180]
	s_waitcnt vmcnt(8) lgkmcnt(0)
	v_mul_f64 v[179:180], v[6:7], v[165:166]
	v_mul_f64 v[165:166], v[8:9], v[165:166]
	v_fma_f64 v[177:178], v[4:5], v[38:39], v[177:178]
	v_fma_f64 v[183:184], v[2:3], v[38:39], -v[40:41]
	ds_load_b128 v[2:5], v1 offset:1040
	scratch_load_b128 v[38:41], off, off offset:528
	v_add_f64 v[171:172], v[171:172], v[181:182]
	v_add_f64 v[173:174], v[173:174], v[175:176]
	v_fma_f64 v[179:180], v[8:9], v[163:164], v[179:180]
	v_fma_f64 v[181:182], v[6:7], v[163:164], -v[165:166]
	ds_load_b128 v[6:9], v1 offset:1056
	s_waitcnt vmcnt(8) lgkmcnt(1)
	v_mul_f64 v[175:176], v[2:3], v[12:13]
	v_mul_f64 v[12:13], v[4:5], v[12:13]
	scratch_load_b128 v[163:166], off, off offset:544
	v_add_f64 v[171:172], v[171:172], v[183:184]
	v_add_f64 v[173:174], v[173:174], v[177:178]
	s_waitcnt vmcnt(8) lgkmcnt(0)
	v_mul_f64 v[177:178], v[6:7], v[16:17]
	v_mul_f64 v[16:17], v[8:9], v[16:17]
	v_fma_f64 v[175:176], v[4:5], v[10:11], v[175:176]
	v_fma_f64 v[183:184], v[2:3], v[10:11], -v[12:13]
	scratch_load_b128 v[10:13], off, off offset:560
	ds_load_b128 v[2:5], v1 offset:1072
	v_add_f64 v[171:172], v[171:172], v[181:182]
	v_add_f64 v[173:174], v[173:174], v[179:180]
	v_fma_f64 v[177:178], v[8:9], v[14:15], v[177:178]
	v_fma_f64 v[181:182], v[6:7], v[14:15], -v[16:17]
	ds_load_b128 v[6:9], v1 offset:1088
	s_waitcnt vmcnt(8) lgkmcnt(1)
	v_mul_f64 v[179:180], v[2:3], v[20:21]
	v_mul_f64 v[20:21], v[4:5], v[20:21]
	scratch_load_b128 v[14:17], off, off offset:576
	v_add_f64 v[171:172], v[171:172], v[183:184]
	v_add_f64 v[173:174], v[173:174], v[175:176]
	s_waitcnt vmcnt(8) lgkmcnt(0)
	v_mul_f64 v[175:176], v[6:7], v[24:25]
	v_mul_f64 v[24:25], v[8:9], v[24:25]
	v_fma_f64 v[179:180], v[4:5], v[18:19], v[179:180]
	v_fma_f64 v[183:184], v[2:3], v[18:19], -v[20:21]
	scratch_load_b128 v[18:21], off, off offset:592
	ds_load_b128 v[2:5], v1 offset:1104
	;; [unrolled: 18-line block ×3, first 2 shown]
	v_add_f64 v[171:172], v[171:172], v[181:182]
	v_add_f64 v[173:174], v[173:174], v[175:176]
	v_fma_f64 v[179:180], v[8:9], v[30:31], v[179:180]
	v_fma_f64 v[30:31], v[6:7], v[30:31], -v[32:33]
	ds_load_b128 v[6:9], v1 offset:1152
	s_waitcnt vmcnt(8) lgkmcnt(1)
	v_mul_f64 v[175:176], v[2:3], v[36:37]
	v_mul_f64 v[36:37], v[4:5], v[36:37]
	v_add_f64 v[32:33], v[171:172], v[183:184]
	v_add_f64 v[171:172], v[173:174], v[177:178]
	s_waitcnt vmcnt(7) lgkmcnt(0)
	v_mul_f64 v[173:174], v[6:7], v[169:170]
	v_mul_f64 v[169:170], v[8:9], v[169:170]
	v_fma_f64 v[175:176], v[4:5], v[34:35], v[175:176]
	v_fma_f64 v[34:35], v[2:3], v[34:35], -v[36:37]
	ds_load_b128 v[2:5], v1 offset:1168
	v_add_f64 v[30:31], v[32:33], v[30:31]
	v_add_f64 v[32:33], v[171:172], v[179:180]
	v_fma_f64 v[171:172], v[8:9], v[167:168], v[173:174]
	v_fma_f64 v[167:168], v[6:7], v[167:168], -v[169:170]
	ds_load_b128 v[6:9], v1 offset:1184
	s_waitcnt vmcnt(5) lgkmcnt(0)
	v_mul_f64 v[173:174], v[6:7], v[165:166]
	v_mul_f64 v[165:166], v[8:9], v[165:166]
	v_add_f64 v[34:35], v[30:31], v[34:35]
	v_add_f64 v[169:170], v[32:33], v[175:176]
	scratch_load_b128 v[30:33], off, off offset:32
	v_mul_f64 v[36:37], v[2:3], v[40:41]
	v_mul_f64 v[40:41], v[4:5], v[40:41]
	v_add_f64 v[34:35], v[34:35], v[167:168]
	s_delay_alu instid0(VALU_DEP_3) | instskip(NEXT) | instid1(VALU_DEP_3)
	v_fma_f64 v[36:37], v[4:5], v[38:39], v[36:37]
	v_fma_f64 v[38:39], v[2:3], v[38:39], -v[40:41]
	v_add_f64 v[40:41], v[169:170], v[171:172]
	ds_load_b128 v[2:5], v1 offset:1200
	v_fma_f64 v[169:170], v[8:9], v[163:164], v[173:174]
	v_fma_f64 v[163:164], v[6:7], v[163:164], -v[165:166]
	ds_load_b128 v[6:9], v1 offset:1216
	s_waitcnt vmcnt(5) lgkmcnt(1)
	v_mul_f64 v[167:168], v[2:3], v[12:13]
	v_mul_f64 v[12:13], v[4:5], v[12:13]
	v_add_f64 v[34:35], v[34:35], v[38:39]
	v_add_f64 v[36:37], v[40:41], v[36:37]
	s_waitcnt vmcnt(4) lgkmcnt(0)
	v_mul_f64 v[38:39], v[6:7], v[16:17]
	v_mul_f64 v[16:17], v[8:9], v[16:17]
	v_fma_f64 v[40:41], v[4:5], v[10:11], v[167:168]
	v_fma_f64 v[10:11], v[2:3], v[10:11], -v[12:13]
	ds_load_b128 v[2:5], v1 offset:1232
	v_add_f64 v[12:13], v[34:35], v[163:164]
	v_add_f64 v[34:35], v[36:37], v[169:170]
	v_fma_f64 v[38:39], v[8:9], v[14:15], v[38:39]
	v_fma_f64 v[14:15], v[6:7], v[14:15], -v[16:17]
	ds_load_b128 v[6:9], v1 offset:1248
	s_waitcnt vmcnt(3) lgkmcnt(1)
	v_mul_f64 v[36:37], v[2:3], v[20:21]
	v_mul_f64 v[20:21], v[4:5], v[20:21]
	s_waitcnt vmcnt(2) lgkmcnt(0)
	v_mul_f64 v[16:17], v[6:7], v[24:25]
	v_mul_f64 v[24:25], v[8:9], v[24:25]
	v_add_f64 v[10:11], v[12:13], v[10:11]
	v_add_f64 v[12:13], v[34:35], v[40:41]
	v_fma_f64 v[34:35], v[4:5], v[18:19], v[36:37]
	v_fma_f64 v[18:19], v[2:3], v[18:19], -v[20:21]
	ds_load_b128 v[2:5], v1 offset:1264
	v_fma_f64 v[8:9], v[8:9], v[22:23], v[16:17]
	v_fma_f64 v[6:7], v[6:7], v[22:23], -v[24:25]
	s_waitcnt vmcnt(1) lgkmcnt(0)
	v_mul_f64 v[20:21], v[4:5], v[28:29]
	v_add_f64 v[10:11], v[10:11], v[14:15]
	v_add_f64 v[12:13], v[12:13], v[38:39]
	v_mul_f64 v[14:15], v[2:3], v[28:29]
	s_delay_alu instid0(VALU_DEP_4) | instskip(NEXT) | instid1(VALU_DEP_4)
	v_fma_f64 v[2:3], v[2:3], v[26:27], -v[20:21]
	v_add_f64 v[10:11], v[10:11], v[18:19]
	s_delay_alu instid0(VALU_DEP_4) | instskip(NEXT) | instid1(VALU_DEP_4)
	v_add_f64 v[12:13], v[12:13], v[34:35]
	v_fma_f64 v[4:5], v[4:5], v[26:27], v[14:15]
	s_delay_alu instid0(VALU_DEP_3) | instskip(NEXT) | instid1(VALU_DEP_3)
	v_add_f64 v[6:7], v[10:11], v[6:7]
	v_add_f64 v[8:9], v[12:13], v[8:9]
	s_delay_alu instid0(VALU_DEP_2) | instskip(NEXT) | instid1(VALU_DEP_2)
	v_add_f64 v[2:3], v[6:7], v[2:3]
	v_add_f64 v[4:5], v[8:9], v[4:5]
	s_waitcnt vmcnt(0)
	s_delay_alu instid0(VALU_DEP_2) | instskip(NEXT) | instid1(VALU_DEP_2)
	v_add_f64 v[2:3], v[30:31], -v[2:3]
	v_add_f64 v[4:5], v[32:33], -v[4:5]
	scratch_store_b128 off, v[2:5], off offset:32
	v_cmpx_lt_u32_e32 1, v122
	s_cbranch_execz .LBB103_251
; %bb.250:
	scratch_load_b128 v[5:8], v143, off
	v_mov_b32_e32 v2, v1
	v_mov_b32_e32 v3, v1
	;; [unrolled: 1-line block ×3, first 2 shown]
	scratch_store_b128 off, v[1:4], off offset:16
	s_waitcnt vmcnt(0)
	ds_store_b128 v162, v[5:8]
.LBB103_251:
	s_or_b32 exec_lo, exec_lo, s2
	s_waitcnt lgkmcnt(0)
	s_waitcnt_vscnt null, 0x0
	s_barrier
	buffer_gl0_inv
	s_clause 0x7
	scratch_load_b128 v[2:5], off, off offset:32
	scratch_load_b128 v[6:9], off, off offset:48
	scratch_load_b128 v[10:13], off, off offset:64
	scratch_load_b128 v[14:17], off, off offset:80
	scratch_load_b128 v[18:21], off, off offset:96
	scratch_load_b128 v[22:25], off, off offset:112
	scratch_load_b128 v[26:29], off, off offset:128
	scratch_load_b128 v[30:33], off, off offset:144
	ds_load_b128 v[38:41], v1 offset:672
	ds_load_b128 v[163:166], v1 offset:688
	s_clause 0x1
	scratch_load_b128 v[34:37], off, off offset:160
	scratch_load_b128 v[167:170], off, off offset:176
	s_mov_b32 s2, exec_lo
	s_waitcnt vmcnt(9) lgkmcnt(1)
	v_mul_f64 v[171:172], v[40:41], v[4:5]
	v_mul_f64 v[4:5], v[38:39], v[4:5]
	s_waitcnt vmcnt(8) lgkmcnt(0)
	v_mul_f64 v[173:174], v[163:164], v[8:9]
	v_mul_f64 v[8:9], v[165:166], v[8:9]
	s_delay_alu instid0(VALU_DEP_4) | instskip(NEXT) | instid1(VALU_DEP_4)
	v_fma_f64 v[171:172], v[38:39], v[2:3], -v[171:172]
	v_fma_f64 v[175:176], v[40:41], v[2:3], v[4:5]
	ds_load_b128 v[2:5], v1 offset:704
	scratch_load_b128 v[38:41], off, off offset:192
	v_fma_f64 v[173:174], v[165:166], v[6:7], v[173:174]
	v_fma_f64 v[179:180], v[163:164], v[6:7], -v[8:9]
	scratch_load_b128 v[163:166], off, off offset:208
	ds_load_b128 v[6:9], v1 offset:720
	s_waitcnt vmcnt(9) lgkmcnt(1)
	v_mul_f64 v[177:178], v[2:3], v[12:13]
	v_mul_f64 v[12:13], v[4:5], v[12:13]
	s_waitcnt vmcnt(8) lgkmcnt(0)
	v_mul_f64 v[181:182], v[6:7], v[16:17]
	v_mul_f64 v[16:17], v[8:9], v[16:17]
	v_add_f64 v[171:172], v[171:172], 0
	v_add_f64 v[175:176], v[175:176], 0
	v_fma_f64 v[177:178], v[4:5], v[10:11], v[177:178]
	v_fma_f64 v[183:184], v[2:3], v[10:11], -v[12:13]
	ds_load_b128 v[2:5], v1 offset:736
	scratch_load_b128 v[10:13], off, off offset:224
	v_add_f64 v[171:172], v[171:172], v[179:180]
	v_add_f64 v[173:174], v[175:176], v[173:174]
	v_fma_f64 v[179:180], v[8:9], v[14:15], v[181:182]
	v_fma_f64 v[181:182], v[6:7], v[14:15], -v[16:17]
	scratch_load_b128 v[14:17], off, off offset:240
	ds_load_b128 v[6:9], v1 offset:752
	s_waitcnt vmcnt(9) lgkmcnt(1)
	v_mul_f64 v[175:176], v[2:3], v[20:21]
	v_mul_f64 v[20:21], v[4:5], v[20:21]
	v_add_f64 v[171:172], v[171:172], v[183:184]
	v_add_f64 v[173:174], v[173:174], v[177:178]
	s_waitcnt vmcnt(8) lgkmcnt(0)
	v_mul_f64 v[177:178], v[6:7], v[24:25]
	v_mul_f64 v[24:25], v[8:9], v[24:25]
	v_fma_f64 v[175:176], v[4:5], v[18:19], v[175:176]
	v_fma_f64 v[183:184], v[2:3], v[18:19], -v[20:21]
	ds_load_b128 v[2:5], v1 offset:768
	scratch_load_b128 v[18:21], off, off offset:256
	v_add_f64 v[171:172], v[171:172], v[181:182]
	v_add_f64 v[173:174], v[173:174], v[179:180]
	v_fma_f64 v[177:178], v[8:9], v[22:23], v[177:178]
	v_fma_f64 v[181:182], v[6:7], v[22:23], -v[24:25]
	scratch_load_b128 v[22:25], off, off offset:272
	ds_load_b128 v[6:9], v1 offset:784
	s_waitcnt vmcnt(9) lgkmcnt(1)
	v_mul_f64 v[179:180], v[2:3], v[28:29]
	v_mul_f64 v[28:29], v[4:5], v[28:29]
	v_add_f64 v[171:172], v[171:172], v[183:184]
	v_add_f64 v[173:174], v[173:174], v[175:176]
	s_waitcnt vmcnt(8) lgkmcnt(0)
	v_mul_f64 v[175:176], v[6:7], v[32:33]
	v_mul_f64 v[32:33], v[8:9], v[32:33]
	;; [unrolled: 18-line block ×9, first 2 shown]
	v_fma_f64 v[177:178], v[4:5], v[38:39], v[177:178]
	v_fma_f64 v[183:184], v[2:3], v[38:39], -v[40:41]
	ds_load_b128 v[2:5], v1 offset:1024
	scratch_load_b128 v[38:41], off, off offset:512
	v_add_f64 v[171:172], v[171:172], v[181:182]
	v_add_f64 v[173:174], v[173:174], v[175:176]
	v_fma_f64 v[179:180], v[8:9], v[163:164], v[179:180]
	v_fma_f64 v[181:182], v[6:7], v[163:164], -v[165:166]
	ds_load_b128 v[6:9], v1 offset:1040
	s_waitcnt vmcnt(8) lgkmcnt(1)
	v_mul_f64 v[175:176], v[2:3], v[12:13]
	v_mul_f64 v[12:13], v[4:5], v[12:13]
	scratch_load_b128 v[163:166], off, off offset:528
	v_add_f64 v[171:172], v[171:172], v[183:184]
	v_add_f64 v[173:174], v[173:174], v[177:178]
	s_waitcnt vmcnt(8) lgkmcnt(0)
	v_mul_f64 v[177:178], v[6:7], v[16:17]
	v_mul_f64 v[16:17], v[8:9], v[16:17]
	v_fma_f64 v[175:176], v[4:5], v[10:11], v[175:176]
	v_fma_f64 v[183:184], v[2:3], v[10:11], -v[12:13]
	ds_load_b128 v[2:5], v1 offset:1056
	scratch_load_b128 v[10:13], off, off offset:544
	v_add_f64 v[171:172], v[171:172], v[181:182]
	v_add_f64 v[173:174], v[173:174], v[179:180]
	v_fma_f64 v[177:178], v[8:9], v[14:15], v[177:178]
	v_fma_f64 v[181:182], v[6:7], v[14:15], -v[16:17]
	ds_load_b128 v[6:9], v1 offset:1072
	s_waitcnt vmcnt(8) lgkmcnt(1)
	v_mul_f64 v[179:180], v[2:3], v[20:21]
	v_mul_f64 v[20:21], v[4:5], v[20:21]
	scratch_load_b128 v[14:17], off, off offset:560
	v_add_f64 v[171:172], v[171:172], v[183:184]
	v_add_f64 v[173:174], v[173:174], v[175:176]
	s_waitcnt vmcnt(8) lgkmcnt(0)
	v_mul_f64 v[175:176], v[6:7], v[24:25]
	v_mul_f64 v[24:25], v[8:9], v[24:25]
	v_fma_f64 v[179:180], v[4:5], v[18:19], v[179:180]
	v_fma_f64 v[183:184], v[2:3], v[18:19], -v[20:21]
	scratch_load_b128 v[18:21], off, off offset:576
	ds_load_b128 v[2:5], v1 offset:1088
	v_add_f64 v[171:172], v[171:172], v[181:182]
	v_add_f64 v[173:174], v[173:174], v[177:178]
	v_fma_f64 v[175:176], v[8:9], v[22:23], v[175:176]
	v_fma_f64 v[181:182], v[6:7], v[22:23], -v[24:25]
	ds_load_b128 v[6:9], v1 offset:1104
	s_waitcnt vmcnt(8) lgkmcnt(1)
	v_mul_f64 v[177:178], v[2:3], v[28:29]
	v_mul_f64 v[28:29], v[4:5], v[28:29]
	scratch_load_b128 v[22:25], off, off offset:592
	v_add_f64 v[171:172], v[171:172], v[183:184]
	v_add_f64 v[173:174], v[173:174], v[179:180]
	s_waitcnt vmcnt(8) lgkmcnt(0)
	v_mul_f64 v[179:180], v[6:7], v[32:33]
	v_mul_f64 v[32:33], v[8:9], v[32:33]
	v_fma_f64 v[177:178], v[4:5], v[26:27], v[177:178]
	v_fma_f64 v[183:184], v[2:3], v[26:27], -v[28:29]
	scratch_load_b128 v[26:29], off, off offset:608
	ds_load_b128 v[2:5], v1 offset:1120
	v_add_f64 v[171:172], v[171:172], v[181:182]
	v_add_f64 v[173:174], v[173:174], v[175:176]
	v_fma_f64 v[179:180], v[8:9], v[30:31], v[179:180]
	v_fma_f64 v[181:182], v[6:7], v[30:31], -v[32:33]
	ds_load_b128 v[6:9], v1 offset:1136
	s_waitcnt vmcnt(8) lgkmcnt(1)
	v_mul_f64 v[175:176], v[2:3], v[36:37]
	v_mul_f64 v[36:37], v[4:5], v[36:37]
	scratch_load_b128 v[30:33], off, off offset:624
	v_add_f64 v[171:172], v[171:172], v[183:184]
	v_add_f64 v[173:174], v[173:174], v[177:178]
	s_waitcnt vmcnt(8) lgkmcnt(0)
	v_mul_f64 v[177:178], v[6:7], v[169:170]
	v_mul_f64 v[169:170], v[8:9], v[169:170]
	v_fma_f64 v[175:176], v[4:5], v[34:35], v[175:176]
	v_fma_f64 v[34:35], v[2:3], v[34:35], -v[36:37]
	ds_load_b128 v[2:5], v1 offset:1152
	v_add_f64 v[36:37], v[171:172], v[181:182]
	v_add_f64 v[171:172], v[173:174], v[179:180]
	v_fma_f64 v[177:178], v[8:9], v[167:168], v[177:178]
	v_fma_f64 v[167:168], v[6:7], v[167:168], -v[169:170]
	ds_load_b128 v[6:9], v1 offset:1168
	s_waitcnt vmcnt(7) lgkmcnt(1)
	v_mul_f64 v[173:174], v[2:3], v[40:41]
	v_mul_f64 v[40:41], v[4:5], v[40:41]
	v_add_f64 v[34:35], v[36:37], v[34:35]
	v_add_f64 v[36:37], v[171:172], v[175:176]
	s_delay_alu instid0(VALU_DEP_4) | instskip(NEXT) | instid1(VALU_DEP_4)
	v_fma_f64 v[171:172], v[4:5], v[38:39], v[173:174]
	v_fma_f64 v[38:39], v[2:3], v[38:39], -v[40:41]
	ds_load_b128 v[2:5], v1 offset:1184
	v_add_f64 v[40:41], v[34:35], v[167:168]
	v_add_f64 v[167:168], v[36:37], v[177:178]
	scratch_load_b128 v[34:37], off, off offset:16
	s_waitcnt vmcnt(7) lgkmcnt(1)
	v_mul_f64 v[169:170], v[6:7], v[165:166]
	v_mul_f64 v[165:166], v[8:9], v[165:166]
	v_add_f64 v[38:39], v[40:41], v[38:39]
	v_add_f64 v[40:41], v[167:168], v[171:172]
	s_delay_alu instid0(VALU_DEP_4) | instskip(NEXT) | instid1(VALU_DEP_4)
	v_fma_f64 v[169:170], v[8:9], v[163:164], v[169:170]
	v_fma_f64 v[163:164], v[6:7], v[163:164], -v[165:166]
	ds_load_b128 v[6:9], v1 offset:1200
	s_waitcnt vmcnt(6) lgkmcnt(1)
	v_mul_f64 v[173:174], v[2:3], v[12:13]
	v_mul_f64 v[12:13], v[4:5], v[12:13]
	s_waitcnt vmcnt(5) lgkmcnt(0)
	v_mul_f64 v[165:166], v[6:7], v[16:17]
	v_mul_f64 v[16:17], v[8:9], v[16:17]
	s_delay_alu instid0(VALU_DEP_4) | instskip(NEXT) | instid1(VALU_DEP_4)
	v_fma_f64 v[167:168], v[4:5], v[10:11], v[173:174]
	v_fma_f64 v[10:11], v[2:3], v[10:11], -v[12:13]
	v_add_f64 v[12:13], v[38:39], v[163:164]
	v_add_f64 v[38:39], v[40:41], v[169:170]
	ds_load_b128 v[2:5], v1 offset:1216
	v_fma_f64 v[163:164], v[8:9], v[14:15], v[165:166]
	v_fma_f64 v[14:15], v[6:7], v[14:15], -v[16:17]
	ds_load_b128 v[6:9], v1 offset:1232
	s_waitcnt vmcnt(4) lgkmcnt(1)
	v_mul_f64 v[40:41], v[2:3], v[20:21]
	v_mul_f64 v[20:21], v[4:5], v[20:21]
	v_add_f64 v[10:11], v[12:13], v[10:11]
	v_add_f64 v[12:13], v[38:39], v[167:168]
	s_waitcnt vmcnt(3) lgkmcnt(0)
	v_mul_f64 v[16:17], v[6:7], v[24:25]
	v_mul_f64 v[24:25], v[8:9], v[24:25]
	v_fma_f64 v[38:39], v[4:5], v[18:19], v[40:41]
	v_fma_f64 v[18:19], v[2:3], v[18:19], -v[20:21]
	ds_load_b128 v[2:5], v1 offset:1248
	v_add_f64 v[10:11], v[10:11], v[14:15]
	v_add_f64 v[12:13], v[12:13], v[163:164]
	v_fma_f64 v[16:17], v[8:9], v[22:23], v[16:17]
	v_fma_f64 v[22:23], v[6:7], v[22:23], -v[24:25]
	ds_load_b128 v[6:9], v1 offset:1264
	s_waitcnt vmcnt(2) lgkmcnt(1)
	v_mul_f64 v[14:15], v[2:3], v[28:29]
	v_mul_f64 v[20:21], v[4:5], v[28:29]
	s_waitcnt vmcnt(1) lgkmcnt(0)
	v_mul_f64 v[24:25], v[8:9], v[32:33]
	v_add_f64 v[10:11], v[10:11], v[18:19]
	v_add_f64 v[12:13], v[12:13], v[38:39]
	v_mul_f64 v[18:19], v[6:7], v[32:33]
	v_fma_f64 v[4:5], v[4:5], v[26:27], v[14:15]
	v_fma_f64 v[1:2], v[2:3], v[26:27], -v[20:21]
	v_fma_f64 v[6:7], v[6:7], v[30:31], -v[24:25]
	v_add_f64 v[10:11], v[10:11], v[22:23]
	v_add_f64 v[12:13], v[12:13], v[16:17]
	v_fma_f64 v[8:9], v[8:9], v[30:31], v[18:19]
	s_delay_alu instid0(VALU_DEP_3) | instskip(NEXT) | instid1(VALU_DEP_3)
	v_add_f64 v[1:2], v[10:11], v[1:2]
	v_add_f64 v[3:4], v[12:13], v[4:5]
	s_delay_alu instid0(VALU_DEP_2) | instskip(NEXT) | instid1(VALU_DEP_2)
	v_add_f64 v[1:2], v[1:2], v[6:7]
	v_add_f64 v[3:4], v[3:4], v[8:9]
	s_waitcnt vmcnt(0)
	s_delay_alu instid0(VALU_DEP_2) | instskip(NEXT) | instid1(VALU_DEP_2)
	v_add_f64 v[1:2], v[34:35], -v[1:2]
	v_add_f64 v[3:4], v[36:37], -v[3:4]
	scratch_store_b128 off, v[1:4], off offset:16
	v_cmpx_ne_u32_e32 0, v122
	s_cbranch_execz .LBB103_253
; %bb.252:
	scratch_load_b128 v[1:4], off, off
	v_mov_b32_e32 v5, 0
	s_delay_alu instid0(VALU_DEP_1)
	v_mov_b32_e32 v6, v5
	v_mov_b32_e32 v7, v5
	;; [unrolled: 1-line block ×3, first 2 shown]
	scratch_store_b128 off, v[5:8], off
	s_waitcnt vmcnt(0)
	ds_store_b128 v162, v[1:4]
.LBB103_253:
	s_or_b32 exec_lo, exec_lo, s2
	s_waitcnt lgkmcnt(0)
	s_waitcnt_vscnt null, 0x0
	s_barrier
	buffer_gl0_inv
	s_clause 0x7
	scratch_load_b128 v[1:4], off, off offset:16
	scratch_load_b128 v[5:8], off, off offset:32
	;; [unrolled: 1-line block ×8, first 2 shown]
	v_mov_b32_e32 v41, 0
	s_and_b32 vcc_lo, exec_lo, s16
	ds_load_b128 v[37:40], v41 offset:656
	s_clause 0x1
	scratch_load_b128 v[33:36], off, off offset:144
	scratch_load_b128 v[162:165], off, off
	ds_load_b128 v[166:169], v41 offset:672
	scratch_load_b128 v[170:173], off, off offset:160
	s_waitcnt vmcnt(10) lgkmcnt(1)
	v_mul_f64 v[174:175], v[39:40], v[3:4]
	v_mul_f64 v[3:4], v[37:38], v[3:4]
	s_delay_alu instid0(VALU_DEP_2) | instskip(NEXT) | instid1(VALU_DEP_2)
	v_fma_f64 v[180:181], v[37:38], v[1:2], -v[174:175]
	v_fma_f64 v[182:183], v[39:40], v[1:2], v[3:4]
	scratch_load_b128 v[37:40], off, off offset:176
	ds_load_b128 v[1:4], v41 offset:688
	s_waitcnt vmcnt(10) lgkmcnt(1)
	v_mul_f64 v[178:179], v[166:167], v[7:8]
	v_mul_f64 v[7:8], v[168:169], v[7:8]
	ds_load_b128 v[174:177], v41 offset:704
	s_waitcnt vmcnt(9) lgkmcnt(1)
	v_mul_f64 v[184:185], v[1:2], v[11:12]
	v_mul_f64 v[11:12], v[3:4], v[11:12]
	v_fma_f64 v[168:169], v[168:169], v[5:6], v[178:179]
	v_fma_f64 v[166:167], v[166:167], v[5:6], -v[7:8]
	v_add_f64 v[178:179], v[180:181], 0
	v_add_f64 v[180:181], v[182:183], 0
	scratch_load_b128 v[5:8], off, off offset:192
	v_fma_f64 v[184:185], v[3:4], v[9:10], v[184:185]
	v_fma_f64 v[186:187], v[1:2], v[9:10], -v[11:12]
	scratch_load_b128 v[9:12], off, off offset:208
	ds_load_b128 v[1:4], v41 offset:720
	s_waitcnt vmcnt(10) lgkmcnt(1)
	v_mul_f64 v[182:183], v[174:175], v[15:16]
	v_mul_f64 v[15:16], v[176:177], v[15:16]
	v_add_f64 v[178:179], v[178:179], v[166:167]
	v_add_f64 v[180:181], v[180:181], v[168:169]
	s_waitcnt vmcnt(9) lgkmcnt(0)
	v_mul_f64 v[188:189], v[1:2], v[19:20]
	v_mul_f64 v[19:20], v[3:4], v[19:20]
	ds_load_b128 v[166:169], v41 offset:736
	v_fma_f64 v[176:177], v[176:177], v[13:14], v[182:183]
	v_fma_f64 v[174:175], v[174:175], v[13:14], -v[15:16]
	scratch_load_b128 v[13:16], off, off offset:224
	v_add_f64 v[178:179], v[178:179], v[186:187]
	v_add_f64 v[180:181], v[180:181], v[184:185]
	v_fma_f64 v[184:185], v[3:4], v[17:18], v[188:189]
	v_fma_f64 v[186:187], v[1:2], v[17:18], -v[19:20]
	scratch_load_b128 v[17:20], off, off offset:240
	ds_load_b128 v[1:4], v41 offset:752
	s_waitcnt vmcnt(10) lgkmcnt(1)
	v_mul_f64 v[182:183], v[166:167], v[23:24]
	v_mul_f64 v[23:24], v[168:169], v[23:24]
	s_waitcnt vmcnt(9) lgkmcnt(0)
	v_mul_f64 v[188:189], v[1:2], v[27:28]
	v_mul_f64 v[27:28], v[3:4], v[27:28]
	v_add_f64 v[178:179], v[178:179], v[174:175]
	v_add_f64 v[180:181], v[180:181], v[176:177]
	ds_load_b128 v[174:177], v41 offset:768
	v_fma_f64 v[168:169], v[168:169], v[21:22], v[182:183]
	v_fma_f64 v[166:167], v[166:167], v[21:22], -v[23:24]
	scratch_load_b128 v[21:24], off, off offset:256
	v_add_f64 v[178:179], v[178:179], v[186:187]
	v_add_f64 v[180:181], v[180:181], v[184:185]
	v_fma_f64 v[184:185], v[3:4], v[25:26], v[188:189]
	v_fma_f64 v[186:187], v[1:2], v[25:26], -v[27:28]
	scratch_load_b128 v[25:28], off, off offset:272
	ds_load_b128 v[1:4], v41 offset:784
	s_waitcnt vmcnt(10) lgkmcnt(1)
	v_mul_f64 v[182:183], v[174:175], v[31:32]
	v_mul_f64 v[31:32], v[176:177], v[31:32]
	s_waitcnt vmcnt(9) lgkmcnt(0)
	v_mul_f64 v[188:189], v[1:2], v[35:36]
	v_mul_f64 v[35:36], v[3:4], v[35:36]
	v_add_f64 v[178:179], v[178:179], v[166:167]
	v_add_f64 v[180:181], v[180:181], v[168:169]
	ds_load_b128 v[166:169], v41 offset:800
	v_fma_f64 v[176:177], v[176:177], v[29:30], v[182:183]
	v_fma_f64 v[174:175], v[174:175], v[29:30], -v[31:32]
	scratch_load_b128 v[29:32], off, off offset:288
	v_add_f64 v[178:179], v[178:179], v[186:187]
	v_add_f64 v[180:181], v[180:181], v[184:185]
	v_fma_f64 v[186:187], v[3:4], v[33:34], v[188:189]
	v_fma_f64 v[188:189], v[1:2], v[33:34], -v[35:36]
	scratch_load_b128 v[33:36], off, off offset:304
	ds_load_b128 v[1:4], v41 offset:816
	s_waitcnt vmcnt(9) lgkmcnt(1)
	v_mul_f64 v[182:183], v[166:167], v[172:173]
	v_mul_f64 v[184:185], v[168:169], v[172:173]
	v_add_f64 v[178:179], v[178:179], v[174:175]
	v_add_f64 v[176:177], v[180:181], v[176:177]
	ds_load_b128 v[172:175], v41 offset:832
	v_fma_f64 v[182:183], v[168:169], v[170:171], v[182:183]
	v_fma_f64 v[170:171], v[166:167], v[170:171], -v[184:185]
	scratch_load_b128 v[166:169], off, off offset:320
	s_waitcnt vmcnt(9) lgkmcnt(1)
	v_mul_f64 v[180:181], v[1:2], v[39:40]
	v_mul_f64 v[39:40], v[3:4], v[39:40]
	v_add_f64 v[178:179], v[178:179], v[188:189]
	v_add_f64 v[176:177], v[176:177], v[186:187]
	s_delay_alu instid0(VALU_DEP_4) | instskip(NEXT) | instid1(VALU_DEP_4)
	v_fma_f64 v[180:181], v[3:4], v[37:38], v[180:181]
	v_fma_f64 v[186:187], v[1:2], v[37:38], -v[39:40]
	scratch_load_b128 v[37:40], off, off offset:336
	ds_load_b128 v[1:4], v41 offset:848
	s_waitcnt vmcnt(9) lgkmcnt(1)
	v_mul_f64 v[184:185], v[172:173], v[7:8]
	v_mul_f64 v[7:8], v[174:175], v[7:8]
	s_waitcnt vmcnt(8) lgkmcnt(0)
	v_mul_f64 v[188:189], v[1:2], v[11:12]
	v_mul_f64 v[11:12], v[3:4], v[11:12]
	v_add_f64 v[170:171], v[178:179], v[170:171]
	v_add_f64 v[182:183], v[176:177], v[182:183]
	ds_load_b128 v[176:179], v41 offset:864
	v_fma_f64 v[174:175], v[174:175], v[5:6], v[184:185]
	v_fma_f64 v[172:173], v[172:173], v[5:6], -v[7:8]
	scratch_load_b128 v[5:8], off, off offset:352
	v_fma_f64 v[184:185], v[3:4], v[9:10], v[188:189]
	v_add_f64 v[170:171], v[170:171], v[186:187]
	v_add_f64 v[180:181], v[182:183], v[180:181]
	v_fma_f64 v[186:187], v[1:2], v[9:10], -v[11:12]
	scratch_load_b128 v[9:12], off, off offset:368
	ds_load_b128 v[1:4], v41 offset:880
	s_waitcnt vmcnt(9) lgkmcnt(1)
	v_mul_f64 v[182:183], v[176:177], v[15:16]
	v_mul_f64 v[15:16], v[178:179], v[15:16]
	v_add_f64 v[188:189], v[170:171], v[172:173]
	v_add_f64 v[174:175], v[180:181], v[174:175]
	s_waitcnt vmcnt(8) lgkmcnt(0)
	v_mul_f64 v[180:181], v[1:2], v[19:20]
	v_mul_f64 v[19:20], v[3:4], v[19:20]
	ds_load_b128 v[170:173], v41 offset:896
	v_fma_f64 v[178:179], v[178:179], v[13:14], v[182:183]
	v_fma_f64 v[176:177], v[176:177], v[13:14], -v[15:16]
	scratch_load_b128 v[13:16], off, off offset:384
	v_add_f64 v[182:183], v[188:189], v[186:187]
	v_add_f64 v[174:175], v[174:175], v[184:185]
	v_fma_f64 v[180:181], v[3:4], v[17:18], v[180:181]
	v_fma_f64 v[186:187], v[1:2], v[17:18], -v[19:20]
	scratch_load_b128 v[17:20], off, off offset:400
	ds_load_b128 v[1:4], v41 offset:912
	s_waitcnt vmcnt(9) lgkmcnt(1)
	v_mul_f64 v[184:185], v[170:171], v[23:24]
	v_mul_f64 v[23:24], v[172:173], v[23:24]
	s_waitcnt vmcnt(8) lgkmcnt(0)
	v_mul_f64 v[188:189], v[1:2], v[27:28]
	v_mul_f64 v[27:28], v[3:4], v[27:28]
	v_add_f64 v[182:183], v[182:183], v[176:177]
	v_add_f64 v[178:179], v[174:175], v[178:179]
	ds_load_b128 v[174:177], v41 offset:928
	v_fma_f64 v[172:173], v[172:173], v[21:22], v[184:185]
	v_fma_f64 v[170:171], v[170:171], v[21:22], -v[23:24]
	scratch_load_b128 v[21:24], off, off offset:416
	v_fma_f64 v[184:185], v[3:4], v[25:26], v[188:189]
	v_add_f64 v[182:183], v[182:183], v[186:187]
	v_add_f64 v[178:179], v[178:179], v[180:181]
	v_fma_f64 v[186:187], v[1:2], v[25:26], -v[27:28]
	scratch_load_b128 v[25:28], off, off offset:432
	ds_load_b128 v[1:4], v41 offset:944
	s_waitcnt vmcnt(9) lgkmcnt(1)
	v_mul_f64 v[180:181], v[174:175], v[31:32]
	v_mul_f64 v[31:32], v[176:177], v[31:32]
	s_waitcnt vmcnt(8) lgkmcnt(0)
	v_mul_f64 v[188:189], v[1:2], v[35:36]
	v_mul_f64 v[35:36], v[3:4], v[35:36]
	v_add_f64 v[182:183], v[182:183], v[170:171]
	v_add_f64 v[178:179], v[178:179], v[172:173]
	ds_load_b128 v[170:173], v41 offset:960
	v_fma_f64 v[176:177], v[176:177], v[29:30], v[180:181]
	v_fma_f64 v[174:175], v[174:175], v[29:30], -v[31:32]
	scratch_load_b128 v[29:32], off, off offset:448
	v_add_f64 v[180:181], v[182:183], v[186:187]
	v_add_f64 v[178:179], v[178:179], v[184:185]
	v_fma_f64 v[184:185], v[3:4], v[33:34], v[188:189]
	v_fma_f64 v[186:187], v[1:2], v[33:34], -v[35:36]
	scratch_load_b128 v[33:36], off, off offset:464
	ds_load_b128 v[1:4], v41 offset:976
	s_waitcnt vmcnt(9) lgkmcnt(1)
	v_mul_f64 v[182:183], v[170:171], v[168:169]
	v_mul_f64 v[168:169], v[172:173], v[168:169]
	s_waitcnt vmcnt(8) lgkmcnt(0)
	v_mul_f64 v[188:189], v[1:2], v[39:40]
	v_mul_f64 v[39:40], v[3:4], v[39:40]
	v_add_f64 v[180:181], v[180:181], v[174:175]
	v_add_f64 v[178:179], v[178:179], v[176:177]
	ds_load_b128 v[174:177], v41 offset:992
	v_fma_f64 v[172:173], v[172:173], v[166:167], v[182:183]
	v_fma_f64 v[170:171], v[170:171], v[166:167], -v[168:169]
	scratch_load_b128 v[166:169], off, off offset:480
	v_add_f64 v[180:181], v[180:181], v[186:187]
	v_add_f64 v[178:179], v[178:179], v[184:185]
	v_fma_f64 v[184:185], v[3:4], v[37:38], v[188:189]
	;; [unrolled: 18-line block ×6, first 2 shown]
	v_fma_f64 v[188:189], v[1:2], v[33:34], -v[35:36]
	scratch_load_b128 v[33:36], off, off offset:624
	ds_load_b128 v[1:4], v41 offset:1136
	s_waitcnt vmcnt(9) lgkmcnt(1)
	v_mul_f64 v[182:183], v[174:175], v[168:169]
	v_mul_f64 v[184:185], v[176:177], v[168:169]
	v_add_f64 v[180:181], v[180:181], v[170:171]
	v_add_f64 v[172:173], v[178:179], v[172:173]
	s_waitcnt vmcnt(8) lgkmcnt(0)
	v_mul_f64 v[178:179], v[1:2], v[39:40]
	v_mul_f64 v[39:40], v[3:4], v[39:40]
	ds_load_b128 v[168:171], v41 offset:1152
	v_fma_f64 v[176:177], v[176:177], v[166:167], v[182:183]
	v_fma_f64 v[166:167], v[174:175], v[166:167], -v[184:185]
	v_add_f64 v[174:175], v[180:181], v[188:189]
	v_add_f64 v[172:173], v[172:173], v[186:187]
	s_waitcnt vmcnt(7) lgkmcnt(0)
	v_mul_f64 v[180:181], v[168:169], v[7:8]
	v_mul_f64 v[7:8], v[170:171], v[7:8]
	v_fma_f64 v[178:179], v[3:4], v[37:38], v[178:179]
	v_fma_f64 v[182:183], v[1:2], v[37:38], -v[39:40]
	ds_load_b128 v[1:4], v41 offset:1168
	ds_load_b128 v[37:40], v41 offset:1184
	v_add_f64 v[166:167], v[174:175], v[166:167]
	v_add_f64 v[172:173], v[172:173], v[176:177]
	s_waitcnt vmcnt(6) lgkmcnt(1)
	v_mul_f64 v[174:175], v[1:2], v[11:12]
	v_mul_f64 v[11:12], v[3:4], v[11:12]
	v_fma_f64 v[170:171], v[170:171], v[5:6], v[180:181]
	v_fma_f64 v[5:6], v[168:169], v[5:6], -v[7:8]
	s_waitcnt vmcnt(5) lgkmcnt(0)
	v_mul_f64 v[168:169], v[37:38], v[15:16]
	v_mul_f64 v[15:16], v[39:40], v[15:16]
	v_add_f64 v[7:8], v[166:167], v[182:183]
	v_add_f64 v[166:167], v[172:173], v[178:179]
	v_fma_f64 v[172:173], v[3:4], v[9:10], v[174:175]
	v_fma_f64 v[9:10], v[1:2], v[9:10], -v[11:12]
	v_fma_f64 v[39:40], v[39:40], v[13:14], v[168:169]
	v_fma_f64 v[13:14], v[37:38], v[13:14], -v[15:16]
	v_add_f64 v[11:12], v[7:8], v[5:6]
	v_add_f64 v[166:167], v[166:167], v[170:171]
	ds_load_b128 v[1:4], v41 offset:1200
	ds_load_b128 v[5:8], v41 offset:1216
	s_waitcnt vmcnt(4) lgkmcnt(1)
	v_mul_f64 v[170:171], v[1:2], v[19:20]
	v_mul_f64 v[19:20], v[3:4], v[19:20]
	s_waitcnt vmcnt(3) lgkmcnt(0)
	v_mul_f64 v[15:16], v[5:6], v[23:24]
	v_mul_f64 v[23:24], v[7:8], v[23:24]
	v_add_f64 v[9:10], v[11:12], v[9:10]
	v_add_f64 v[11:12], v[166:167], v[172:173]
	v_fma_f64 v[37:38], v[3:4], v[17:18], v[170:171]
	v_fma_f64 v[17:18], v[1:2], v[17:18], -v[19:20]
	v_fma_f64 v[7:8], v[7:8], v[21:22], v[15:16]
	v_fma_f64 v[5:6], v[5:6], v[21:22], -v[23:24]
	v_add_f64 v[13:14], v[9:10], v[13:14]
	v_add_f64 v[19:20], v[11:12], v[39:40]
	ds_load_b128 v[1:4], v41 offset:1232
	ds_load_b128 v[9:12], v41 offset:1248
	s_waitcnt vmcnt(2) lgkmcnt(1)
	v_mul_f64 v[39:40], v[1:2], v[27:28]
	v_mul_f64 v[27:28], v[3:4], v[27:28]
	v_add_f64 v[13:14], v[13:14], v[17:18]
	v_add_f64 v[15:16], v[19:20], v[37:38]
	s_waitcnt vmcnt(1) lgkmcnt(0)
	v_mul_f64 v[17:18], v[9:10], v[31:32]
	v_mul_f64 v[19:20], v[11:12], v[31:32]
	v_fma_f64 v[21:22], v[3:4], v[25:26], v[39:40]
	v_fma_f64 v[23:24], v[1:2], v[25:26], -v[27:28]
	ds_load_b128 v[1:4], v41 offset:1264
	v_add_f64 v[5:6], v[13:14], v[5:6]
	v_add_f64 v[7:8], v[15:16], v[7:8]
	v_fma_f64 v[11:12], v[11:12], v[29:30], v[17:18]
	v_fma_f64 v[9:10], v[9:10], v[29:30], -v[19:20]
	s_waitcnt vmcnt(0) lgkmcnt(0)
	v_mul_f64 v[13:14], v[1:2], v[35:36]
	v_mul_f64 v[15:16], v[3:4], v[35:36]
	v_add_f64 v[5:6], v[5:6], v[23:24]
	v_add_f64 v[7:8], v[7:8], v[21:22]
	s_delay_alu instid0(VALU_DEP_4) | instskip(NEXT) | instid1(VALU_DEP_4)
	v_fma_f64 v[3:4], v[3:4], v[33:34], v[13:14]
	v_fma_f64 v[1:2], v[1:2], v[33:34], -v[15:16]
	s_delay_alu instid0(VALU_DEP_4) | instskip(NEXT) | instid1(VALU_DEP_4)
	v_add_f64 v[5:6], v[5:6], v[9:10]
	v_add_f64 v[7:8], v[7:8], v[11:12]
	s_delay_alu instid0(VALU_DEP_2) | instskip(NEXT) | instid1(VALU_DEP_2)
	v_add_f64 v[1:2], v[5:6], v[1:2]
	v_add_f64 v[3:4], v[7:8], v[3:4]
	s_delay_alu instid0(VALU_DEP_2) | instskip(NEXT) | instid1(VALU_DEP_2)
	v_add_f64 v[1:2], v[162:163], -v[1:2]
	v_add_f64 v[3:4], v[164:165], -v[3:4]
	scratch_store_b128 off, v[1:4], off
	s_cbranch_vccz .LBB103_333
; %bb.254:
	v_dual_mov_b32 v1, s8 :: v_dual_mov_b32 v2, s9
	s_load_b64 s[0:1], s[0:1], 0x4
	flat_load_b32 v1, v[1:2] offset:152
	v_bfe_u32 v2, v0, 10, 10
	v_bfe_u32 v0, v0, 20, 10
	s_waitcnt lgkmcnt(0)
	s_lshr_b32 s0, s0, 16
	s_delay_alu instid0(VALU_DEP_2) | instskip(SKIP_1) | instid1(SALU_CYCLE_1)
	v_mul_u32_u24_e32 v2, s1, v2
	s_mul_i32 s0, s0, s1
	v_mul_u32_u24_e32 v3, s0, v122
	s_mov_b32 s0, exec_lo
	s_delay_alu instid0(VALU_DEP_1) | instskip(NEXT) | instid1(VALU_DEP_1)
	v_add3_u32 v0, v3, v2, v0
	v_lshl_add_u32 v0, v0, 4, 0x508
	s_waitcnt vmcnt(0)
	v_cmpx_ne_u32_e32 39, v1
	s_cbranch_execz .LBB103_256
; %bb.255:
	v_lshl_add_u32 v9, v1, 4, 0
	s_clause 0x1
	scratch_load_b128 v[1:4], v129, off
	scratch_load_b128 v[5:8], v9, off offset:-16
	s_waitcnt vmcnt(1)
	ds_store_2addr_b64 v0, v[1:2], v[3:4] offset1:1
	s_waitcnt vmcnt(0)
	s_clause 0x1
	scratch_store_b128 v129, v[5:8], off
	scratch_store_b128 v9, v[1:4], off offset:-16
.LBB103_256:
	s_or_b32 exec_lo, exec_lo, s0
	v_dual_mov_b32 v1, s8 :: v_dual_mov_b32 v2, s9
	s_mov_b32 s0, exec_lo
	flat_load_b32 v1, v[1:2] offset:148
	s_waitcnt vmcnt(0) lgkmcnt(0)
	v_cmpx_ne_u32_e32 38, v1
	s_cbranch_execz .LBB103_258
; %bb.257:
	v_lshl_add_u32 v9, v1, 4, 0
	s_clause 0x1
	scratch_load_b128 v[1:4], v130, off
	scratch_load_b128 v[5:8], v9, off offset:-16
	s_waitcnt vmcnt(1)
	ds_store_2addr_b64 v0, v[1:2], v[3:4] offset1:1
	s_waitcnt vmcnt(0)
	s_clause 0x1
	scratch_store_b128 v130, v[5:8], off
	scratch_store_b128 v9, v[1:4], off offset:-16
.LBB103_258:
	s_or_b32 exec_lo, exec_lo, s0
	v_dual_mov_b32 v1, s8 :: v_dual_mov_b32 v2, s9
	s_mov_b32 s0, exec_lo
	flat_load_b32 v1, v[1:2] offset:144
	s_waitcnt vmcnt(0) lgkmcnt(0)
	;; [unrolled: 19-line block ×37, first 2 shown]
	v_cmpx_ne_u32_e32 2, v1
	s_cbranch_execz .LBB103_330
; %bb.329:
	v_lshl_add_u32 v9, v1, 4, 0
	s_clause 0x1
	scratch_load_b128 v[1:4], v143, off
	scratch_load_b128 v[5:8], v9, off offset:-16
	s_waitcnt vmcnt(1)
	ds_store_2addr_b64 v0, v[1:2], v[3:4] offset1:1
	s_waitcnt vmcnt(0)
	s_clause 0x1
	scratch_store_b128 v143, v[5:8], off
	scratch_store_b128 v9, v[1:4], off offset:-16
.LBB103_330:
	s_or_b32 exec_lo, exec_lo, s0
	v_dual_mov_b32 v1, s8 :: v_dual_mov_b32 v2, s9
	s_mov_b32 s0, exec_lo
	flat_load_b32 v1, v[1:2]
	s_waitcnt vmcnt(0) lgkmcnt(0)
	v_cmpx_ne_u32_e32 1, v1
	s_cbranch_execz .LBB103_332
; %bb.331:
	v_lshl_add_u32 v9, v1, 4, 0
	scratch_load_b128 v[1:4], off, off
	scratch_load_b128 v[5:8], v9, off offset:-16
	s_waitcnt vmcnt(1)
	ds_store_2addr_b64 v0, v[1:2], v[3:4] offset1:1
	s_waitcnt vmcnt(0)
	scratch_store_b128 off, v[5:8], off
	scratch_store_b128 v9, v[1:4], off offset:-16
.LBB103_332:
	s_or_b32 exec_lo, exec_lo, s0
.LBB103_333:
	scratch_load_b128 v[0:3], off, off
	s_clause 0x14
	scratch_load_b128 v[4:7], v143, off
	scratch_load_b128 v[8:11], v140, off
	;; [unrolled: 1-line block ×21, first 2 shown]
	s_waitcnt vmcnt(21)
	global_store_b128 v[44:45], v[0:3], off
	s_clause 0x1
	scratch_load_b128 v[0:3], v141, off
	scratch_load_b128 v[139:142], v144, off
	s_waitcnt vmcnt(22)
	global_store_b128 v[42:43], v[4:7], off
	s_clause 0x1
	scratch_load_b128 v[4:7], v138, off
	scratch_load_b128 v[40:43], v137, off
	;; [unrolled: 5-line block ×9, first 2 shown]
	s_waitcnt vmcnt(30)
	global_store_b128 v[60:61], v[36:39], off
	s_waitcnt vmcnt(29)
	global_store_b128 v[62:63], v[157:160], off
	;; [unrolled: 2-line block ×31, first 2 shown]
	s_endpgm
	.section	.rodata,"a",@progbits
	.p2align	6, 0x0
	.amdhsa_kernel _ZN9rocsolver6v33100L18getri_kernel_smallILi40E19rocblas_complex_numIdEPKPS3_EEvT1_iilPiilS8_bb
		.amdhsa_group_segment_fixed_size 2312
		.amdhsa_private_segment_fixed_size 656
		.amdhsa_kernarg_size 60
		.amdhsa_user_sgpr_count 15
		.amdhsa_user_sgpr_dispatch_ptr 1
		.amdhsa_user_sgpr_queue_ptr 0
		.amdhsa_user_sgpr_kernarg_segment_ptr 1
		.amdhsa_user_sgpr_dispatch_id 0
		.amdhsa_user_sgpr_private_segment_size 0
		.amdhsa_wavefront_size32 1
		.amdhsa_uses_dynamic_stack 0
		.amdhsa_enable_private_segment 1
		.amdhsa_system_sgpr_workgroup_id_x 1
		.amdhsa_system_sgpr_workgroup_id_y 0
		.amdhsa_system_sgpr_workgroup_id_z 0
		.amdhsa_system_sgpr_workgroup_info 0
		.amdhsa_system_vgpr_workitem_id 2
		.amdhsa_next_free_vgpr 214
		.amdhsa_next_free_sgpr 46
		.amdhsa_reserve_vcc 1
		.amdhsa_float_round_mode_32 0
		.amdhsa_float_round_mode_16_64 0
		.amdhsa_float_denorm_mode_32 3
		.amdhsa_float_denorm_mode_16_64 3
		.amdhsa_dx10_clamp 1
		.amdhsa_ieee_mode 1
		.amdhsa_fp16_overflow 0
		.amdhsa_workgroup_processor_mode 1
		.amdhsa_memory_ordered 1
		.amdhsa_forward_progress 0
		.amdhsa_shared_vgpr_count 0
		.amdhsa_exception_fp_ieee_invalid_op 0
		.amdhsa_exception_fp_denorm_src 0
		.amdhsa_exception_fp_ieee_div_zero 0
		.amdhsa_exception_fp_ieee_overflow 0
		.amdhsa_exception_fp_ieee_underflow 0
		.amdhsa_exception_fp_ieee_inexact 0
		.amdhsa_exception_int_div_zero 0
	.end_amdhsa_kernel
	.section	.text._ZN9rocsolver6v33100L18getri_kernel_smallILi40E19rocblas_complex_numIdEPKPS3_EEvT1_iilPiilS8_bb,"axG",@progbits,_ZN9rocsolver6v33100L18getri_kernel_smallILi40E19rocblas_complex_numIdEPKPS3_EEvT1_iilPiilS8_bb,comdat
.Lfunc_end103:
	.size	_ZN9rocsolver6v33100L18getri_kernel_smallILi40E19rocblas_complex_numIdEPKPS3_EEvT1_iilPiilS8_bb, .Lfunc_end103-_ZN9rocsolver6v33100L18getri_kernel_smallILi40E19rocblas_complex_numIdEPKPS3_EEvT1_iilPiilS8_bb
                                        ; -- End function
	.section	.AMDGPU.csdata,"",@progbits
; Kernel info:
; codeLenInByte = 78072
; NumSgprs: 48
; NumVgprs: 214
; ScratchSize: 656
; MemoryBound: 0
; FloatMode: 240
; IeeeMode: 1
; LDSByteSize: 2312 bytes/workgroup (compile time only)
; SGPRBlocks: 5
; VGPRBlocks: 26
; NumSGPRsForWavesPerEU: 48
; NumVGPRsForWavesPerEU: 214
; Occupancy: 7
; WaveLimiterHint : 1
; COMPUTE_PGM_RSRC2:SCRATCH_EN: 1
; COMPUTE_PGM_RSRC2:USER_SGPR: 15
; COMPUTE_PGM_RSRC2:TRAP_HANDLER: 0
; COMPUTE_PGM_RSRC2:TGID_X_EN: 1
; COMPUTE_PGM_RSRC2:TGID_Y_EN: 0
; COMPUTE_PGM_RSRC2:TGID_Z_EN: 0
; COMPUTE_PGM_RSRC2:TIDIG_COMP_CNT: 2
	.section	.text._ZN9rocsolver6v33100L18getri_kernel_smallILi41E19rocblas_complex_numIdEPKPS3_EEvT1_iilPiilS8_bb,"axG",@progbits,_ZN9rocsolver6v33100L18getri_kernel_smallILi41E19rocblas_complex_numIdEPKPS3_EEvT1_iilPiilS8_bb,comdat
	.globl	_ZN9rocsolver6v33100L18getri_kernel_smallILi41E19rocblas_complex_numIdEPKPS3_EEvT1_iilPiilS8_bb ; -- Begin function _ZN9rocsolver6v33100L18getri_kernel_smallILi41E19rocblas_complex_numIdEPKPS3_EEvT1_iilPiilS8_bb
	.p2align	8
	.type	_ZN9rocsolver6v33100L18getri_kernel_smallILi41E19rocblas_complex_numIdEPKPS3_EEvT1_iilPiilS8_bb,@function
_ZN9rocsolver6v33100L18getri_kernel_smallILi41E19rocblas_complex_numIdEPKPS3_EEvT1_iilPiilS8_bb: ; @_ZN9rocsolver6v33100L18getri_kernel_smallILi41E19rocblas_complex_numIdEPKPS3_EEvT1_iilPiilS8_bb
; %bb.0:
	v_and_b32_e32 v124, 0x3ff, v0
	s_mov_b32 s4, exec_lo
	s_delay_alu instid0(VALU_DEP_1)
	v_cmpx_gt_u32_e32 41, v124
	s_cbranch_execz .LBB104_178
; %bb.1:
	s_mov_b32 s10, s15
	s_clause 0x2
	s_load_b32 s15, s[2:3], 0x38
	s_load_b64 s[8:9], s[2:3], 0x0
	s_load_b128 s[4:7], s[2:3], 0x28
	s_waitcnt lgkmcnt(0)
	s_bitcmp1_b32 s15, 8
	s_cselect_b32 s14, -1, 0
	s_ashr_i32 s11, s10, 31
	s_delay_alu instid0(SALU_CYCLE_1) | instskip(NEXT) | instid1(SALU_CYCLE_1)
	s_lshl_b64 s[12:13], s[10:11], 3
	s_add_u32 s8, s8, s12
	s_addc_u32 s9, s9, s13
	s_load_b64 s[12:13], s[8:9], 0x0
	s_bfe_u32 s8, s15, 0x10008
	s_delay_alu instid0(SALU_CYCLE_1)
	s_cmp_eq_u32 s8, 0
                                        ; implicit-def: $sgpr8_sgpr9
	s_cbranch_scc1 .LBB104_3
; %bb.2:
	s_clause 0x1
	s_load_b32 s8, s[2:3], 0x20
	s_load_b64 s[16:17], s[2:3], 0x18
	s_mul_i32 s5, s10, s5
	s_mul_hi_u32 s9, s10, s4
	s_mul_i32 s18, s11, s4
	s_add_i32 s5, s9, s5
	s_mul_i32 s4, s10, s4
	s_add_i32 s5, s5, s18
	s_delay_alu instid0(SALU_CYCLE_1)
	s_lshl_b64 s[4:5], s[4:5], 2
	s_waitcnt lgkmcnt(0)
	s_ashr_i32 s9, s8, 31
	s_add_u32 s16, s16, s4
	s_addc_u32 s17, s17, s5
	s_lshl_b64 s[4:5], s[8:9], 2
	s_delay_alu instid0(SALU_CYCLE_1)
	s_add_u32 s8, s16, s4
	s_addc_u32 s9, s17, s5
.LBB104_3:
	s_load_b64 s[2:3], s[2:3], 0x8
	v_lshlrev_b32_e32 v13, 4, v124
	s_movk_i32 s18, 0xd0
	s_movk_i32 s19, 0xe0
	;; [unrolled: 1-line block ×18, first 2 shown]
	s_waitcnt lgkmcnt(0)
	v_add3_u32 v5, s3, s3, v124
	s_ashr_i32 s5, s2, 31
	s_mov_b32 s4, s2
	s_mov_b32 s16, s3
	s_lshl_b64 s[4:5], s[4:5], 4
	v_add_nc_u32_e32 v7, s3, v5
	v_ashrrev_i32_e32 v6, 31, v5
	s_add_u32 s4, s12, s4
	s_addc_u32 s5, s13, s5
	v_add_co_u32 v42, s2, s4, v13
	v_add_nc_u32_e32 v9, s3, v7
	s_ashr_i32 s17, s3, 31
	v_add_co_ci_u32_e64 v43, null, s5, 0, s2
	v_ashrrev_i32_e32 v8, 31, v7
	v_lshlrev_b64 v[5:6], 4, v[5:6]
	s_lshl_b64 s[12:13], s[16:17], 4
	v_ashrrev_i32_e32 v10, 31, v9
	v_add_co_u32 v44, vcc_lo, v42, s12
	v_add_nc_u32_e32 v11, s3, v9
	v_add_co_ci_u32_e32 v45, vcc_lo, s13, v43, vcc_lo
	v_lshlrev_b64 v[7:8], 4, v[7:8]
	v_add_co_u32 v46, vcc_lo, s4, v5
	v_add_co_ci_u32_e32 v47, vcc_lo, s5, v6, vcc_lo
	v_lshlrev_b64 v[5:6], 4, v[9:10]
	v_ashrrev_i32_e32 v12, 31, v11
	v_add_nc_u32_e32 v9, s3, v11
	v_add_co_u32 v48, vcc_lo, s4, v7
	v_add_co_ci_u32_e32 v49, vcc_lo, s5, v8, vcc_lo
	s_delay_alu instid0(VALU_DEP_4) | instskip(NEXT) | instid1(VALU_DEP_4)
	v_lshlrev_b64 v[7:8], 4, v[11:12]
	v_ashrrev_i32_e32 v10, 31, v9
	v_add_nc_u32_e32 v11, s3, v9
	v_add_co_u32 v50, vcc_lo, s4, v5
	v_add_co_ci_u32_e32 v51, vcc_lo, s5, v6, vcc_lo
	s_delay_alu instid0(VALU_DEP_4) | instskip(NEXT) | instid1(VALU_DEP_4)
	;; [unrolled: 6-line block ×6, first 2 shown]
	v_lshlrev_b64 v[5:6], 4, v[9:10]
	v_add_nc_u32_e32 v9, s3, v11
	v_ashrrev_i32_e32 v12, 31, v11
	v_add_co_u32 v60, vcc_lo, s4, v7
	v_add_co_ci_u32_e32 v61, vcc_lo, s5, v8, vcc_lo
	s_delay_alu instid0(VALU_DEP_4) | instskip(NEXT) | instid1(VALU_DEP_4)
	v_add_nc_u32_e32 v32, s3, v9
	v_lshlrev_b64 v[30:31], 4, v[11:12]
	v_ashrrev_i32_e32 v10, 31, v9
	v_add_co_u32 v62, vcc_lo, s4, v5
	s_delay_alu instid0(VALU_DEP_4)
	v_ashrrev_i32_e32 v33, 31, v32
	global_load_b128 v[1:4], v13, s[4:5]
	v_add_co_ci_u32_e32 v63, vcc_lo, s5, v6, vcc_lo
	v_lshlrev_b64 v[66:67], 4, v[9:10]
	s_clause 0x1
	global_load_b128 v[5:8], v[44:45], off
	global_load_b128 v[9:12], v[46:47], off
	v_add_co_u32 v64, vcc_lo, s4, v30
	s_clause 0x3
	global_load_b128 v[14:17], v[48:49], off
	global_load_b128 v[18:21], v[50:51], off
	;; [unrolled: 1-line block ×4, first 2 shown]
	v_add_co_ci_u32_e32 v65, vcc_lo, s5, v31, vcc_lo
	v_add_nc_u32_e32 v72, s3, v32
	v_lshlrev_b64 v[68:69], 4, v[32:33]
	s_clause 0x4
	global_load_b128 v[30:33], v[56:57], off
	global_load_b128 v[34:37], v[58:59], off
	;; [unrolled: 1-line block ×5, first 2 shown]
	v_add_co_u32 v66, vcc_lo, s4, v66
	v_ashrrev_i32_e32 v73, 31, v72
	v_add_co_ci_u32_e32 v67, vcc_lo, s5, v67, vcc_lo
	v_add_co_u32 v68, vcc_lo, s4, v68
	s_delay_alu instid0(VALU_DEP_3) | instskip(SKIP_4) | instid1(VALU_DEP_2)
	v_lshlrev_b64 v[70:71], 4, v[72:73]
	v_add_nc_u32_e32 v72, s3, v72
	v_add_co_ci_u32_e32 v69, vcc_lo, s5, v69, vcc_lo
	s_movk_i32 s2, 0x50
	s_movk_i32 s12, 0x90
	v_add_nc_u32_e32 v74, s3, v72
	v_ashrrev_i32_e32 v73, 31, v72
	v_add_co_u32 v70, vcc_lo, s4, v70
	v_add_co_ci_u32_e32 v71, vcc_lo, s5, v71, vcc_lo
	s_delay_alu instid0(VALU_DEP_4)
	v_add_nc_u32_e32 v76, s3, v74
	v_ashrrev_i32_e32 v75, 31, v74
	v_lshlrev_b64 v[72:73], 4, v[72:73]
	s_clause 0x2
	global_load_b128 v[133:136], v[66:67], off
	global_load_b128 v[137:140], v[68:69], off
	;; [unrolled: 1-line block ×3, first 2 shown]
	s_movk_i32 s13, 0xa0
	v_add_nc_u32_e32 v78, s3, v76
	v_ashrrev_i32_e32 v77, 31, v76
	v_lshlrev_b64 v[74:75], 4, v[74:75]
	v_add_co_u32 v72, vcc_lo, s4, v72
	s_delay_alu instid0(VALU_DEP_4) | instskip(SKIP_3) | instid1(VALU_DEP_4)
	v_add_nc_u32_e32 v80, s3, v78
	v_ashrrev_i32_e32 v79, 31, v78
	v_lshlrev_b64 v[76:77], 4, v[76:77]
	v_add_co_ci_u32_e32 v73, vcc_lo, s5, v73, vcc_lo
	v_add_nc_u32_e32 v82, s3, v80
	v_ashrrev_i32_e32 v81, 31, v80
	v_add_co_u32 v74, vcc_lo, s4, v74
	v_lshlrev_b64 v[78:79], 4, v[78:79]
	s_delay_alu instid0(VALU_DEP_4) | instskip(SKIP_3) | instid1(VALU_DEP_4)
	v_add_nc_u32_e32 v84, s3, v82
	v_ashrrev_i32_e32 v83, 31, v82
	v_add_co_ci_u32_e32 v75, vcc_lo, s5, v75, vcc_lo
	v_add_co_u32 v76, vcc_lo, s4, v76
	v_add_nc_u32_e32 v86, s3, v84
	v_lshlrev_b64 v[80:81], 4, v[80:81]
	v_ashrrev_i32_e32 v85, 31, v84
	v_add_co_ci_u32_e32 v77, vcc_lo, s5, v77, vcc_lo
	s_delay_alu instid0(VALU_DEP_4) | instskip(SKIP_3) | instid1(VALU_DEP_4)
	v_add_nc_u32_e32 v88, s3, v86
	v_add_co_u32 v78, vcc_lo, s4, v78
	v_lshlrev_b64 v[82:83], 4, v[82:83]
	v_ashrrev_i32_e32 v87, 31, v86
	v_add_nc_u32_e32 v90, s3, v88
	v_add_co_ci_u32_e32 v79, vcc_lo, s5, v79, vcc_lo
	v_add_co_u32 v80, vcc_lo, s4, v80
	s_delay_alu instid0(VALU_DEP_3) | instskip(SKIP_3) | instid1(VALU_DEP_4)
	v_add_nc_u32_e32 v92, s3, v90
	v_lshlrev_b64 v[84:85], 4, v[84:85]
	v_ashrrev_i32_e32 v89, 31, v88
	v_add_co_ci_u32_e32 v81, vcc_lo, s5, v81, vcc_lo
	v_add_nc_u32_e32 v94, s3, v92
	v_add_co_u32 v82, vcc_lo, s4, v82
	v_lshlrev_b64 v[86:87], 4, v[86:87]
	v_ashrrev_i32_e32 v91, 31, v90
	s_delay_alu instid0(VALU_DEP_4) | instskip(SKIP_2) | instid1(VALU_DEP_3)
	v_add_nc_u32_e32 v96, s3, v94
	v_add_co_ci_u32_e32 v83, vcc_lo, s5, v83, vcc_lo
	v_add_co_u32 v84, vcc_lo, s4, v84
	v_add_nc_u32_e32 v98, s3, v96
	v_lshlrev_b64 v[88:89], 4, v[88:89]
	v_ashrrev_i32_e32 v93, 31, v92
	v_add_co_ci_u32_e32 v85, vcc_lo, s5, v85, vcc_lo
	s_delay_alu instid0(VALU_DEP_4) | instskip(SKIP_3) | instid1(VALU_DEP_4)
	v_add_nc_u32_e32 v100, s3, v98
	v_add_co_u32 v86, vcc_lo, s4, v86
	v_lshlrev_b64 v[90:91], 4, v[90:91]
	v_ashrrev_i32_e32 v95, 31, v94
	v_add_nc_u32_e32 v102, s3, v100
	v_add_co_ci_u32_e32 v87, vcc_lo, s5, v87, vcc_lo
	v_add_co_u32 v88, vcc_lo, s4, v88
	s_delay_alu instid0(VALU_DEP_3) | instskip(SKIP_3) | instid1(VALU_DEP_4)
	v_add_nc_u32_e32 v104, s3, v102
	v_lshlrev_b64 v[92:93], 4, v[92:93]
	v_ashrrev_i32_e32 v97, 31, v96
	v_add_co_ci_u32_e32 v89, vcc_lo, s5, v89, vcc_lo
	v_add_nc_u32_e32 v106, s3, v104
	v_add_co_u32 v90, vcc_lo, s4, v90
	v_lshlrev_b64 v[94:95], 4, v[94:95]
	v_ashrrev_i32_e32 v99, 31, v98
	s_delay_alu instid0(VALU_DEP_4) | instskip(SKIP_2) | instid1(VALU_DEP_3)
	v_add_nc_u32_e32 v108, s3, v106
	v_add_co_ci_u32_e32 v91, vcc_lo, s5, v91, vcc_lo
	v_add_co_u32 v92, vcc_lo, s4, v92
	v_add_nc_u32_e32 v110, s3, v108
	v_lshlrev_b64 v[96:97], 4, v[96:97]
	v_ashrrev_i32_e32 v101, 31, v100
	v_add_co_ci_u32_e32 v93, vcc_lo, s5, v93, vcc_lo
	v_add_co_u32 v94, vcc_lo, s4, v94
	v_lshlrev_b64 v[98:99], 4, v[98:99]
	v_ashrrev_i32_e32 v103, 31, v102
	v_add_nc_u32_e32 v112, s3, v110
	v_add_co_ci_u32_e32 v95, vcc_lo, s5, v95, vcc_lo
	v_add_co_u32 v96, vcc_lo, s4, v96
	v_lshlrev_b64 v[100:101], 4, v[100:101]
	v_ashrrev_i32_e32 v105, 31, v104
	v_add_co_ci_u32_e32 v97, vcc_lo, s5, v97, vcc_lo
	v_add_co_u32 v98, vcc_lo, s4, v98
	v_lshlrev_b64 v[102:103], 4, v[102:103]
	v_add_nc_u32_e32 v114, s3, v112
	v_ashrrev_i32_e32 v107, 31, v106
	v_add_co_ci_u32_e32 v99, vcc_lo, s5, v99, vcc_lo
	v_add_co_u32 v100, vcc_lo, s4, v100
	v_lshlrev_b64 v[104:105], 4, v[104:105]
	v_ashrrev_i32_e32 v109, 31, v108
	v_add_co_ci_u32_e32 v101, vcc_lo, s5, v101, vcc_lo
	v_add_nc_u32_e32 v116, s3, v114
	v_add_co_u32 v102, vcc_lo, s4, v102
	v_lshlrev_b64 v[106:107], 4, v[106:107]
	v_ashrrev_i32_e32 v111, 31, v110
	v_add_co_ci_u32_e32 v103, vcc_lo, s5, v103, vcc_lo
	v_add_co_u32 v104, vcc_lo, s4, v104
	v_lshlrev_b64 v[108:109], 4, v[108:109]
	v_ashrrev_i32_e32 v113, 31, v112
	v_add_nc_u32_e32 v118, s3, v116
	v_add_co_ci_u32_e32 v105, vcc_lo, s5, v105, vcc_lo
	v_add_co_u32 v106, vcc_lo, s4, v106
	v_lshlrev_b64 v[110:111], 4, v[110:111]
	v_ashrrev_i32_e32 v115, 31, v114
	v_add_co_ci_u32_e32 v107, vcc_lo, s5, v107, vcc_lo
	v_add_co_u32 v108, vcc_lo, s4, v108
	v_lshlrev_b64 v[112:113], 4, v[112:113]
	v_add_nc_u32_e32 v120, s3, v118
	v_ashrrev_i32_e32 v117, 31, v116
	v_add_co_ci_u32_e32 v109, vcc_lo, s5, v109, vcc_lo
	v_add_co_u32 v110, vcc_lo, s4, v110
	v_lshlrev_b64 v[114:115], 4, v[114:115]
	v_ashrrev_i32_e32 v119, 31, v118
	v_add_co_ci_u32_e32 v111, vcc_lo, s5, v111, vcc_lo
	v_add_nc_u32_e32 v122, s3, v120
	v_add_co_u32 v112, vcc_lo, s4, v112
	v_lshlrev_b64 v[116:117], 4, v[116:117]
	v_ashrrev_i32_e32 v121, 31, v120
	v_add_co_ci_u32_e32 v113, vcc_lo, s5, v113, vcc_lo
	v_add_co_u32 v114, vcc_lo, s4, v114
	v_lshlrev_b64 v[118:119], 4, v[118:119]
	v_ashrrev_i32_e32 v123, 31, v122
	v_add_co_ci_u32_e32 v115, vcc_lo, s5, v115, vcc_lo
	v_add_co_u32 v116, vcc_lo, s4, v116
	v_lshlrev_b64 v[120:121], 4, v[120:121]
	v_add_co_ci_u32_e32 v117, vcc_lo, s5, v117, vcc_lo
	v_add_co_u32 v118, vcc_lo, s4, v118
	v_lshlrev_b64 v[122:123], 4, v[122:123]
	s_clause 0x9
	global_load_b128 v[145:148], v[72:73], off
	global_load_b128 v[149:152], v[74:75], off
	;; [unrolled: 1-line block ×10, first 2 shown]
	v_add_co_ci_u32_e32 v119, vcc_lo, s5, v119, vcc_lo
	v_add_co_u32 v120, vcc_lo, s4, v120
	v_add_co_ci_u32_e32 v121, vcc_lo, s5, v121, vcc_lo
	v_add_co_u32 v122, vcc_lo, s4, v122
	v_add_co_ci_u32_e32 v123, vcc_lo, s5, v123, vcc_lo
	s_movk_i32 s3, 0x60
	s_movk_i32 s4, 0x70
	;; [unrolled: 1-line block ×15, first 2 shown]
	v_add_nc_u32_e64 v164, s2, 0
	v_add_nc_u32_e64 v163, s3, 0
	;; [unrolled: 1-line block ×8, first 2 shown]
	s_bitcmp0_b32 s15, 0
	s_mov_b32 s3, -1
	s_waitcnt vmcnt(24)
	scratch_store_b128 off, v[1:4], off
	s_clause 0x1
	global_load_b128 v[1:4], v[92:93], off
	global_load_b128 v[193:196], v[94:95], off
	s_waitcnt vmcnt(25)
	scratch_store_b128 off, v[5:8], off offset:16
	s_waitcnt vmcnt(24)
	scratch_store_b128 off, v[9:12], off offset:32
	s_clause 0x1
	global_load_b128 v[5:8], v[96:97], off
	global_load_b128 v[9:12], v[98:99], off
	s_waitcnt vmcnt(25)
	scratch_store_b128 off, v[14:17], off offset:48
	s_waitcnt vmcnt(24)
	scratch_store_b128 off, v[18:21], off offset:64
	;; [unrolled: 7-line block ×5, first 2 shown]
	s_clause 0x1
	global_load_b128 v[38:41], v[112:113], off
	global_load_b128 v[197:200], v[114:115], off
	s_waitcnt vmcnt(25)
	scratch_store_b128 off, v[129:132], off offset:176
	s_clause 0x3
	global_load_b128 v[126:129], v[116:117], off
	global_load_b128 v[201:204], v[118:119], off
	;; [unrolled: 1-line block ×4, first 2 shown]
	v_add_nc_u32_e64 v132, s34, 0
	v_add_nc_u32_e64 v125, s35, 0
	;; [unrolled: 1-line block ×4, first 2 shown]
	s_waitcnt vmcnt(28)
	scratch_store_b128 off, v[133:136], off offset:192
	s_waitcnt vmcnt(27)
	scratch_store_b128 off, v[137:140], off offset:208
	;; [unrolled: 2-line block ×3, first 2 shown]
	v_add_nc_u32_e64 v144, 0, 48
	v_add_nc_u32_e64 v143, 0, 64
	;; [unrolled: 1-line block ×12, first 2 shown]
	s_waitcnt vmcnt(25)
	scratch_store_b128 off, v[145:148], off offset:240
	s_waitcnt vmcnt(24)
	scratch_store_b128 off, v[149:152], off offset:256
	v_add_nc_u32_e64 v146, 0, 16
	v_add_nc_u32_e64 v145, 0, 32
	s_waitcnt vmcnt(23)
	scratch_store_b128 off, v[153:156], off offset:272
	s_waitcnt vmcnt(22)
	scratch_store_b128 off, v[165:168], off offset:288
	v_add_nc_u32_e64 v156, s18, 0
	v_add_nc_u32_e64 v155, s19, 0
	;; [unrolled: 1-line block ×4, first 2 shown]
	s_waitcnt vmcnt(21)
	scratch_store_b128 off, v[169:172], off offset:304
	s_waitcnt vmcnt(20)
	scratch_store_b128 off, v[173:176], off offset:320
	v_add_nc_u32_e64 v152, s22, 0
	v_add_nc_u32_e64 v151, s23, 0
	;; [unrolled: 1-line block ×6, first 2 shown]
	s_waitcnt vmcnt(19)
	scratch_store_b128 off, v[177:180], off offset:336
	s_waitcnt vmcnt(18)
	scratch_store_b128 off, v[181:184], off offset:352
	;; [unrolled: 2-line block ×17, first 2 shown]
	v_add_nc_u32_e64 v129, s43, 0
	v_add_nc_u32_e64 v128, s44, 0
	;; [unrolled: 1-line block ×4, first 2 shown]
	s_waitcnt vmcnt(2)
	scratch_store_b128 off, v[201:204], off offset:608
	s_waitcnt vmcnt(1)
	scratch_store_b128 off, v[205:208], off offset:624
	;; [unrolled: 2-line block ×3, first 2 shown]
	s_cbranch_scc1 .LBB104_176
; %bb.4:
	v_cmp_eq_u32_e64 s2, 0, v124
	s_delay_alu instid0(VALU_DEP_1)
	s_and_saveexec_b32 s3, s2
	s_cbranch_execz .LBB104_6
; %bb.5:
	v_mov_b32_e32 v1, 0
	ds_store_b32 v1, v1 offset:1312
.LBB104_6:
	s_or_b32 exec_lo, exec_lo, s3
	s_waitcnt lgkmcnt(0)
	s_waitcnt_vscnt null, 0x0
	s_barrier
	buffer_gl0_inv
	scratch_load_b128 v[1:4], v13, off
	s_waitcnt vmcnt(0)
	v_cmp_eq_f64_e32 vcc_lo, 0, v[1:2]
	v_cmp_eq_f64_e64 s3, 0, v[3:4]
	s_delay_alu instid0(VALU_DEP_1) | instskip(NEXT) | instid1(SALU_CYCLE_1)
	s_and_b32 s3, vcc_lo, s3
	s_and_saveexec_b32 s4, s3
	s_cbranch_execz .LBB104_10
; %bb.7:
	v_mov_b32_e32 v1, 0
	s_mov_b32 s5, 0
	ds_load_b32 v2, v1 offset:1312
	s_waitcnt lgkmcnt(0)
	v_readfirstlane_b32 s3, v2
	v_add_nc_u32_e32 v2, 1, v124
	s_delay_alu instid0(VALU_DEP_2) | instskip(NEXT) | instid1(VALU_DEP_1)
	s_cmp_eq_u32 s3, 0
	v_cmp_gt_i32_e32 vcc_lo, s3, v2
	s_cselect_b32 s12, -1, 0
	s_delay_alu instid0(SALU_CYCLE_1) | instskip(NEXT) | instid1(SALU_CYCLE_1)
	s_or_b32 s12, s12, vcc_lo
	s_and_b32 exec_lo, exec_lo, s12
	s_cbranch_execz .LBB104_10
; %bb.8:
	v_mov_b32_e32 v3, s3
.LBB104_9:                              ; =>This Inner Loop Header: Depth=1
	ds_cmpstore_rtn_b32 v3, v1, v2, v3 offset:1312
	s_waitcnt lgkmcnt(0)
	v_cmp_ne_u32_e32 vcc_lo, 0, v3
	v_cmp_le_i32_e64 s3, v3, v2
	s_delay_alu instid0(VALU_DEP_1) | instskip(NEXT) | instid1(SALU_CYCLE_1)
	s_and_b32 s3, vcc_lo, s3
	s_and_b32 s3, exec_lo, s3
	s_delay_alu instid0(SALU_CYCLE_1) | instskip(NEXT) | instid1(SALU_CYCLE_1)
	s_or_b32 s5, s3, s5
	s_and_not1_b32 exec_lo, exec_lo, s5
	s_cbranch_execnz .LBB104_9
.LBB104_10:
	s_or_b32 exec_lo, exec_lo, s4
	v_mov_b32_e32 v1, 0
	s_barrier
	buffer_gl0_inv
	ds_load_b32 v2, v1 offset:1312
	s_and_saveexec_b32 s3, s2
	s_cbranch_execz .LBB104_12
; %bb.11:
	s_lshl_b64 s[4:5], s[10:11], 2
	s_delay_alu instid0(SALU_CYCLE_1)
	s_add_u32 s4, s6, s4
	s_addc_u32 s5, s7, s5
	s_waitcnt lgkmcnt(0)
	global_store_b32 v1, v2, s[4:5]
.LBB104_12:
	s_or_b32 exec_lo, exec_lo, s3
	s_waitcnt lgkmcnt(0)
	v_cmp_ne_u32_e32 vcc_lo, 0, v2
	s_mov_b32 s3, 0
	s_cbranch_vccnz .LBB104_176
; %bb.13:
	v_add_nc_u32_e32 v14, 0, v13
                                        ; implicit-def: $vgpr9_vgpr10
	scratch_load_b128 v[1:4], v14, off
	s_waitcnt vmcnt(0)
	v_mov_b32_e32 v5, v1
	v_cmp_gt_f64_e32 vcc_lo, 0, v[1:2]
	v_xor_b32_e32 v6, 0x80000000, v2
	v_xor_b32_e32 v7, 0x80000000, v4
	s_delay_alu instid0(VALU_DEP_2) | instskip(SKIP_1) | instid1(VALU_DEP_3)
	v_cndmask_b32_e32 v6, v2, v6, vcc_lo
	v_cmp_gt_f64_e32 vcc_lo, 0, v[3:4]
	v_dual_cndmask_b32 v8, v4, v7 :: v_dual_mov_b32 v7, v3
	s_delay_alu instid0(VALU_DEP_1) | instskip(SKIP_1) | instid1(SALU_CYCLE_1)
	v_cmp_ngt_f64_e32 vcc_lo, v[5:6], v[7:8]
                                        ; implicit-def: $vgpr5_vgpr6
	s_and_saveexec_b32 s3, vcc_lo
	s_xor_b32 s3, exec_lo, s3
	s_cbranch_execz .LBB104_15
; %bb.14:
	v_div_scale_f64 v[5:6], null, v[3:4], v[3:4], v[1:2]
	v_div_scale_f64 v[11:12], vcc_lo, v[1:2], v[3:4], v[1:2]
	s_delay_alu instid0(VALU_DEP_2) | instskip(SKIP_2) | instid1(VALU_DEP_1)
	v_rcp_f64_e32 v[7:8], v[5:6]
	s_waitcnt_depctr 0xfff
	v_fma_f64 v[9:10], -v[5:6], v[7:8], 1.0
	v_fma_f64 v[7:8], v[7:8], v[9:10], v[7:8]
	s_delay_alu instid0(VALU_DEP_1) | instskip(NEXT) | instid1(VALU_DEP_1)
	v_fma_f64 v[9:10], -v[5:6], v[7:8], 1.0
	v_fma_f64 v[7:8], v[7:8], v[9:10], v[7:8]
	s_delay_alu instid0(VALU_DEP_1) | instskip(NEXT) | instid1(VALU_DEP_1)
	v_mul_f64 v[9:10], v[11:12], v[7:8]
	v_fma_f64 v[5:6], -v[5:6], v[9:10], v[11:12]
	s_delay_alu instid0(VALU_DEP_1) | instskip(NEXT) | instid1(VALU_DEP_1)
	v_div_fmas_f64 v[5:6], v[5:6], v[7:8], v[9:10]
	v_div_fixup_f64 v[5:6], v[5:6], v[3:4], v[1:2]
	s_delay_alu instid0(VALU_DEP_1) | instskip(NEXT) | instid1(VALU_DEP_1)
	v_fma_f64 v[1:2], v[1:2], v[5:6], v[3:4]
	v_div_scale_f64 v[3:4], null, v[1:2], v[1:2], 1.0
	v_div_scale_f64 v[11:12], vcc_lo, 1.0, v[1:2], 1.0
	s_delay_alu instid0(VALU_DEP_2) | instskip(SKIP_2) | instid1(VALU_DEP_1)
	v_rcp_f64_e32 v[7:8], v[3:4]
	s_waitcnt_depctr 0xfff
	v_fma_f64 v[9:10], -v[3:4], v[7:8], 1.0
	v_fma_f64 v[7:8], v[7:8], v[9:10], v[7:8]
	s_delay_alu instid0(VALU_DEP_1) | instskip(NEXT) | instid1(VALU_DEP_1)
	v_fma_f64 v[9:10], -v[3:4], v[7:8], 1.0
	v_fma_f64 v[7:8], v[7:8], v[9:10], v[7:8]
	s_delay_alu instid0(VALU_DEP_1) | instskip(NEXT) | instid1(VALU_DEP_1)
	v_mul_f64 v[9:10], v[11:12], v[7:8]
	v_fma_f64 v[3:4], -v[3:4], v[9:10], v[11:12]
	s_delay_alu instid0(VALU_DEP_1) | instskip(NEXT) | instid1(VALU_DEP_1)
	v_div_fmas_f64 v[3:4], v[3:4], v[7:8], v[9:10]
	v_div_fixup_f64 v[7:8], v[3:4], v[1:2], 1.0
                                        ; implicit-def: $vgpr1_vgpr2
	s_delay_alu instid0(VALU_DEP_1) | instskip(SKIP_1) | instid1(VALU_DEP_2)
	v_mul_f64 v[5:6], v[5:6], v[7:8]
	v_xor_b32_e32 v8, 0x80000000, v8
	v_xor_b32_e32 v10, 0x80000000, v6
	s_delay_alu instid0(VALU_DEP_3)
	v_mov_b32_e32 v9, v5
.LBB104_15:
	s_and_not1_saveexec_b32 s3, s3
	s_cbranch_execz .LBB104_17
; %bb.16:
	v_div_scale_f64 v[5:6], null, v[1:2], v[1:2], v[3:4]
	v_div_scale_f64 v[11:12], vcc_lo, v[3:4], v[1:2], v[3:4]
	s_delay_alu instid0(VALU_DEP_2) | instskip(SKIP_2) | instid1(VALU_DEP_1)
	v_rcp_f64_e32 v[7:8], v[5:6]
	s_waitcnt_depctr 0xfff
	v_fma_f64 v[9:10], -v[5:6], v[7:8], 1.0
	v_fma_f64 v[7:8], v[7:8], v[9:10], v[7:8]
	s_delay_alu instid0(VALU_DEP_1) | instskip(NEXT) | instid1(VALU_DEP_1)
	v_fma_f64 v[9:10], -v[5:6], v[7:8], 1.0
	v_fma_f64 v[7:8], v[7:8], v[9:10], v[7:8]
	s_delay_alu instid0(VALU_DEP_1) | instskip(NEXT) | instid1(VALU_DEP_1)
	v_mul_f64 v[9:10], v[11:12], v[7:8]
	v_fma_f64 v[5:6], -v[5:6], v[9:10], v[11:12]
	s_delay_alu instid0(VALU_DEP_1) | instskip(NEXT) | instid1(VALU_DEP_1)
	v_div_fmas_f64 v[5:6], v[5:6], v[7:8], v[9:10]
	v_div_fixup_f64 v[7:8], v[5:6], v[1:2], v[3:4]
	s_delay_alu instid0(VALU_DEP_1) | instskip(NEXT) | instid1(VALU_DEP_1)
	v_fma_f64 v[1:2], v[3:4], v[7:8], v[1:2]
	v_div_scale_f64 v[3:4], null, v[1:2], v[1:2], 1.0
	s_delay_alu instid0(VALU_DEP_1) | instskip(SKIP_2) | instid1(VALU_DEP_1)
	v_rcp_f64_e32 v[5:6], v[3:4]
	s_waitcnt_depctr 0xfff
	v_fma_f64 v[9:10], -v[3:4], v[5:6], 1.0
	v_fma_f64 v[5:6], v[5:6], v[9:10], v[5:6]
	s_delay_alu instid0(VALU_DEP_1) | instskip(NEXT) | instid1(VALU_DEP_1)
	v_fma_f64 v[9:10], -v[3:4], v[5:6], 1.0
	v_fma_f64 v[5:6], v[5:6], v[9:10], v[5:6]
	v_div_scale_f64 v[9:10], vcc_lo, 1.0, v[1:2], 1.0
	s_delay_alu instid0(VALU_DEP_1) | instskip(NEXT) | instid1(VALU_DEP_1)
	v_mul_f64 v[11:12], v[9:10], v[5:6]
	v_fma_f64 v[3:4], -v[3:4], v[11:12], v[9:10]
	s_delay_alu instid0(VALU_DEP_1) | instskip(NEXT) | instid1(VALU_DEP_1)
	v_div_fmas_f64 v[3:4], v[3:4], v[5:6], v[11:12]
	v_div_fixup_f64 v[5:6], v[3:4], v[1:2], 1.0
	s_delay_alu instid0(VALU_DEP_1)
	v_mul_f64 v[7:8], v[7:8], -v[5:6]
	v_xor_b32_e32 v10, 0x80000000, v6
	v_mov_b32_e32 v9, v5
.LBB104_17:
	s_or_b32 exec_lo, exec_lo, s3
	scratch_store_b128 v14, v[5:8], off
	scratch_load_b128 v[1:4], v146, off
	v_xor_b32_e32 v12, 0x80000000, v8
	v_mov_b32_e32 v11, v7
	v_add_nc_u32_e32 v5, 0x290, v13
	ds_store_b128 v13, v[9:12]
	s_waitcnt vmcnt(0)
	ds_store_b128 v13, v[1:4] offset:656
	s_waitcnt lgkmcnt(0)
	s_waitcnt_vscnt null, 0x0
	s_barrier
	buffer_gl0_inv
	s_and_saveexec_b32 s3, s2
	s_cbranch_execz .LBB104_19
; %bb.18:
	scratch_load_b128 v[1:4], v14, off
	ds_load_b128 v[6:9], v5
	v_mov_b32_e32 v10, 0
	ds_load_b128 v[15:18], v10 offset:16
	s_waitcnt vmcnt(0) lgkmcnt(1)
	v_mul_f64 v[10:11], v[6:7], v[3:4]
	v_mul_f64 v[3:4], v[8:9], v[3:4]
	s_delay_alu instid0(VALU_DEP_2) | instskip(NEXT) | instid1(VALU_DEP_2)
	v_fma_f64 v[8:9], v[8:9], v[1:2], v[10:11]
	v_fma_f64 v[1:2], v[6:7], v[1:2], -v[3:4]
	s_delay_alu instid0(VALU_DEP_2) | instskip(NEXT) | instid1(VALU_DEP_2)
	v_add_f64 v[3:4], v[8:9], 0
	v_add_f64 v[1:2], v[1:2], 0
	s_waitcnt lgkmcnt(0)
	s_delay_alu instid0(VALU_DEP_2) | instskip(NEXT) | instid1(VALU_DEP_2)
	v_mul_f64 v[6:7], v[3:4], v[17:18]
	v_mul_f64 v[8:9], v[1:2], v[17:18]
	s_delay_alu instid0(VALU_DEP_2) | instskip(NEXT) | instid1(VALU_DEP_2)
	v_fma_f64 v[1:2], v[1:2], v[15:16], -v[6:7]
	v_fma_f64 v[3:4], v[3:4], v[15:16], v[8:9]
	scratch_store_b128 off, v[1:4], off offset:16
.LBB104_19:
	s_or_b32 exec_lo, exec_lo, s3
	s_waitcnt_vscnt null, 0x0
	s_barrier
	buffer_gl0_inv
	scratch_load_b128 v[1:4], v145, off
	s_mov_b32 s3, exec_lo
	s_waitcnt vmcnt(0)
	ds_store_b128 v5, v[1:4]
	s_waitcnt lgkmcnt(0)
	s_barrier
	buffer_gl0_inv
	v_cmpx_gt_u32_e32 2, v124
	s_cbranch_execz .LBB104_23
; %bb.20:
	scratch_load_b128 v[1:4], v14, off
	ds_load_b128 v[6:9], v5
	s_waitcnt vmcnt(0) lgkmcnt(0)
	v_mul_f64 v[10:11], v[8:9], v[3:4]
	v_mul_f64 v[3:4], v[6:7], v[3:4]
	s_delay_alu instid0(VALU_DEP_2) | instskip(NEXT) | instid1(VALU_DEP_2)
	v_fma_f64 v[6:7], v[6:7], v[1:2], -v[10:11]
	v_fma_f64 v[3:4], v[8:9], v[1:2], v[3:4]
	s_delay_alu instid0(VALU_DEP_2) | instskip(NEXT) | instid1(VALU_DEP_2)
	v_add_f64 v[1:2], v[6:7], 0
	v_add_f64 v[3:4], v[3:4], 0
	s_and_saveexec_b32 s4, s2
	s_cbranch_execz .LBB104_22
; %bb.21:
	scratch_load_b128 v[6:9], off, off offset:16
	v_mov_b32_e32 v10, 0
	ds_load_b128 v[15:18], v10 offset:672
	s_waitcnt vmcnt(0) lgkmcnt(0)
	v_mul_f64 v[10:11], v[15:16], v[8:9]
	v_mul_f64 v[8:9], v[17:18], v[8:9]
	s_delay_alu instid0(VALU_DEP_2) | instskip(NEXT) | instid1(VALU_DEP_2)
	v_fma_f64 v[10:11], v[17:18], v[6:7], v[10:11]
	v_fma_f64 v[6:7], v[15:16], v[6:7], -v[8:9]
	s_delay_alu instid0(VALU_DEP_2) | instskip(NEXT) | instid1(VALU_DEP_2)
	v_add_f64 v[3:4], v[3:4], v[10:11]
	v_add_f64 v[1:2], v[1:2], v[6:7]
.LBB104_22:
	s_or_b32 exec_lo, exec_lo, s4
	v_mov_b32_e32 v6, 0
	ds_load_b128 v[6:9], v6 offset:32
	s_waitcnt lgkmcnt(0)
	v_mul_f64 v[10:11], v[3:4], v[8:9]
	v_mul_f64 v[8:9], v[1:2], v[8:9]
	s_delay_alu instid0(VALU_DEP_2) | instskip(NEXT) | instid1(VALU_DEP_2)
	v_fma_f64 v[1:2], v[1:2], v[6:7], -v[10:11]
	v_fma_f64 v[3:4], v[3:4], v[6:7], v[8:9]
	scratch_store_b128 off, v[1:4], off offset:32
.LBB104_23:
	s_or_b32 exec_lo, exec_lo, s3
	s_waitcnt_vscnt null, 0x0
	s_barrier
	buffer_gl0_inv
	scratch_load_b128 v[1:4], v144, off
	v_add_nc_u32_e32 v6, -1, v124
	s_mov_b32 s2, exec_lo
	s_waitcnt vmcnt(0)
	ds_store_b128 v5, v[1:4]
	s_waitcnt lgkmcnt(0)
	s_barrier
	buffer_gl0_inv
	v_cmpx_gt_u32_e32 3, v124
	s_cbranch_execz .LBB104_27
; %bb.24:
	v_dual_mov_b32 v1, 0 :: v_dual_add_nc_u32 v8, 0x290, v13
	v_dual_mov_b32 v2, 0 :: v_dual_add_nc_u32 v7, -1, v124
	v_or_b32_e32 v9, 8, v14
	s_mov_b32 s3, 0
	s_delay_alu instid0(VALU_DEP_2)
	v_dual_mov_b32 v4, v2 :: v_dual_mov_b32 v3, v1
	.p2align	6
.LBB104_25:                             ; =>This Inner Loop Header: Depth=1
	scratch_load_b128 v[15:18], v9, off offset:-8
	ds_load_b128 v[19:22], v8
	v_add_nc_u32_e32 v7, 1, v7
	v_add_nc_u32_e32 v8, 16, v8
	;; [unrolled: 1-line block ×3, first 2 shown]
	s_delay_alu instid0(VALU_DEP_3) | instskip(SKIP_4) | instid1(VALU_DEP_2)
	v_cmp_lt_u32_e32 vcc_lo, 1, v7
	s_or_b32 s3, vcc_lo, s3
	s_waitcnt vmcnt(0) lgkmcnt(0)
	v_mul_f64 v[10:11], v[21:22], v[17:18]
	v_mul_f64 v[17:18], v[19:20], v[17:18]
	v_fma_f64 v[10:11], v[19:20], v[15:16], -v[10:11]
	s_delay_alu instid0(VALU_DEP_2) | instskip(NEXT) | instid1(VALU_DEP_2)
	v_fma_f64 v[15:16], v[21:22], v[15:16], v[17:18]
	v_add_f64 v[3:4], v[3:4], v[10:11]
	s_delay_alu instid0(VALU_DEP_2)
	v_add_f64 v[1:2], v[1:2], v[15:16]
	s_and_not1_b32 exec_lo, exec_lo, s3
	s_cbranch_execnz .LBB104_25
; %bb.26:
	s_or_b32 exec_lo, exec_lo, s3
	v_mov_b32_e32 v7, 0
	ds_load_b128 v[7:10], v7 offset:48
	s_waitcnt lgkmcnt(0)
	v_mul_f64 v[11:12], v[1:2], v[9:10]
	v_mul_f64 v[15:16], v[3:4], v[9:10]
	s_delay_alu instid0(VALU_DEP_2) | instskip(NEXT) | instid1(VALU_DEP_2)
	v_fma_f64 v[9:10], v[3:4], v[7:8], -v[11:12]
	v_fma_f64 v[11:12], v[1:2], v[7:8], v[15:16]
	scratch_store_b128 off, v[9:12], off offset:48
.LBB104_27:
	s_or_b32 exec_lo, exec_lo, s2
	s_waitcnt_vscnt null, 0x0
	s_barrier
	buffer_gl0_inv
	scratch_load_b128 v[1:4], v143, off
	s_mov_b32 s2, exec_lo
	s_waitcnt vmcnt(0)
	ds_store_b128 v5, v[1:4]
	s_waitcnt lgkmcnt(0)
	s_barrier
	buffer_gl0_inv
	v_cmpx_gt_u32_e32 4, v124
	s_cbranch_execz .LBB104_31
; %bb.28:
	v_dual_mov_b32 v1, 0 :: v_dual_add_nc_u32 v8, 0x290, v13
	v_dual_mov_b32 v2, 0 :: v_dual_add_nc_u32 v7, -1, v124
	v_or_b32_e32 v9, 8, v14
	s_mov_b32 s3, 0
	s_delay_alu instid0(VALU_DEP_2)
	v_dual_mov_b32 v4, v2 :: v_dual_mov_b32 v3, v1
	.p2align	6
.LBB104_29:                             ; =>This Inner Loop Header: Depth=1
	scratch_load_b128 v[15:18], v9, off offset:-8
	ds_load_b128 v[19:22], v8
	v_add_nc_u32_e32 v7, 1, v7
	v_add_nc_u32_e32 v8, 16, v8
	;; [unrolled: 1-line block ×3, first 2 shown]
	s_delay_alu instid0(VALU_DEP_3) | instskip(SKIP_4) | instid1(VALU_DEP_2)
	v_cmp_lt_u32_e32 vcc_lo, 2, v7
	s_or_b32 s3, vcc_lo, s3
	s_waitcnt vmcnt(0) lgkmcnt(0)
	v_mul_f64 v[10:11], v[21:22], v[17:18]
	v_mul_f64 v[17:18], v[19:20], v[17:18]
	v_fma_f64 v[10:11], v[19:20], v[15:16], -v[10:11]
	s_delay_alu instid0(VALU_DEP_2) | instskip(NEXT) | instid1(VALU_DEP_2)
	v_fma_f64 v[15:16], v[21:22], v[15:16], v[17:18]
	v_add_f64 v[3:4], v[3:4], v[10:11]
	s_delay_alu instid0(VALU_DEP_2)
	v_add_f64 v[1:2], v[1:2], v[15:16]
	s_and_not1_b32 exec_lo, exec_lo, s3
	s_cbranch_execnz .LBB104_29
; %bb.30:
	s_or_b32 exec_lo, exec_lo, s3
	v_mov_b32_e32 v7, 0
	ds_load_b128 v[7:10], v7 offset:64
	s_waitcnt lgkmcnt(0)
	v_mul_f64 v[11:12], v[1:2], v[9:10]
	v_mul_f64 v[15:16], v[3:4], v[9:10]
	s_delay_alu instid0(VALU_DEP_2) | instskip(NEXT) | instid1(VALU_DEP_2)
	v_fma_f64 v[9:10], v[3:4], v[7:8], -v[11:12]
	v_fma_f64 v[11:12], v[1:2], v[7:8], v[15:16]
	scratch_store_b128 off, v[9:12], off offset:64
.LBB104_31:
	s_or_b32 exec_lo, exec_lo, s2
	s_waitcnt_vscnt null, 0x0
	s_barrier
	buffer_gl0_inv
	scratch_load_b128 v[1:4], v164, off
	s_mov_b32 s2, exec_lo
	s_waitcnt vmcnt(0)
	ds_store_b128 v5, v[1:4]
	s_waitcnt lgkmcnt(0)
	s_barrier
	buffer_gl0_inv
	v_cmpx_gt_u32_e32 5, v124
	s_cbranch_execz .LBB104_35
; %bb.32:
	v_dual_mov_b32 v1, 0 :: v_dual_add_nc_u32 v8, 0x290, v13
	v_dual_mov_b32 v2, 0 :: v_dual_add_nc_u32 v7, -1, v124
	v_or_b32_e32 v9, 8, v14
	s_mov_b32 s3, 0
	s_delay_alu instid0(VALU_DEP_2)
	v_dual_mov_b32 v4, v2 :: v_dual_mov_b32 v3, v1
	.p2align	6
.LBB104_33:                             ; =>This Inner Loop Header: Depth=1
	scratch_load_b128 v[15:18], v9, off offset:-8
	ds_load_b128 v[19:22], v8
	v_add_nc_u32_e32 v7, 1, v7
	v_add_nc_u32_e32 v8, 16, v8
	v_add_nc_u32_e32 v9, 16, v9
	s_delay_alu instid0(VALU_DEP_3) | instskip(SKIP_4) | instid1(VALU_DEP_2)
	v_cmp_lt_u32_e32 vcc_lo, 3, v7
	s_or_b32 s3, vcc_lo, s3
	s_waitcnt vmcnt(0) lgkmcnt(0)
	v_mul_f64 v[10:11], v[21:22], v[17:18]
	v_mul_f64 v[17:18], v[19:20], v[17:18]
	v_fma_f64 v[10:11], v[19:20], v[15:16], -v[10:11]
	s_delay_alu instid0(VALU_DEP_2) | instskip(NEXT) | instid1(VALU_DEP_2)
	v_fma_f64 v[15:16], v[21:22], v[15:16], v[17:18]
	v_add_f64 v[3:4], v[3:4], v[10:11]
	s_delay_alu instid0(VALU_DEP_2)
	v_add_f64 v[1:2], v[1:2], v[15:16]
	s_and_not1_b32 exec_lo, exec_lo, s3
	s_cbranch_execnz .LBB104_33
; %bb.34:
	s_or_b32 exec_lo, exec_lo, s3
	v_mov_b32_e32 v7, 0
	ds_load_b128 v[7:10], v7 offset:80
	s_waitcnt lgkmcnt(0)
	v_mul_f64 v[11:12], v[1:2], v[9:10]
	v_mul_f64 v[15:16], v[3:4], v[9:10]
	s_delay_alu instid0(VALU_DEP_2) | instskip(NEXT) | instid1(VALU_DEP_2)
	v_fma_f64 v[9:10], v[3:4], v[7:8], -v[11:12]
	v_fma_f64 v[11:12], v[1:2], v[7:8], v[15:16]
	scratch_store_b128 off, v[9:12], off offset:80
.LBB104_35:
	s_or_b32 exec_lo, exec_lo, s2
	s_waitcnt_vscnt null, 0x0
	s_barrier
	buffer_gl0_inv
	scratch_load_b128 v[1:4], v163, off
	s_mov_b32 s2, exec_lo
	s_waitcnt vmcnt(0)
	ds_store_b128 v5, v[1:4]
	s_waitcnt lgkmcnt(0)
	s_barrier
	buffer_gl0_inv
	v_cmpx_gt_u32_e32 6, v124
	s_cbranch_execz .LBB104_39
; %bb.36:
	v_dual_mov_b32 v1, 0 :: v_dual_add_nc_u32 v8, 0x290, v13
	v_dual_mov_b32 v2, 0 :: v_dual_add_nc_u32 v7, -1, v124
	v_or_b32_e32 v9, 8, v14
	s_mov_b32 s3, 0
	s_delay_alu instid0(VALU_DEP_2)
	v_dual_mov_b32 v4, v2 :: v_dual_mov_b32 v3, v1
	.p2align	6
.LBB104_37:                             ; =>This Inner Loop Header: Depth=1
	scratch_load_b128 v[15:18], v9, off offset:-8
	ds_load_b128 v[19:22], v8
	v_add_nc_u32_e32 v7, 1, v7
	v_add_nc_u32_e32 v8, 16, v8
	;; [unrolled: 1-line block ×3, first 2 shown]
	s_delay_alu instid0(VALU_DEP_3) | instskip(SKIP_4) | instid1(VALU_DEP_2)
	v_cmp_lt_u32_e32 vcc_lo, 4, v7
	s_or_b32 s3, vcc_lo, s3
	s_waitcnt vmcnt(0) lgkmcnt(0)
	v_mul_f64 v[10:11], v[21:22], v[17:18]
	v_mul_f64 v[17:18], v[19:20], v[17:18]
	v_fma_f64 v[10:11], v[19:20], v[15:16], -v[10:11]
	s_delay_alu instid0(VALU_DEP_2) | instskip(NEXT) | instid1(VALU_DEP_2)
	v_fma_f64 v[15:16], v[21:22], v[15:16], v[17:18]
	v_add_f64 v[3:4], v[3:4], v[10:11]
	s_delay_alu instid0(VALU_DEP_2)
	v_add_f64 v[1:2], v[1:2], v[15:16]
	s_and_not1_b32 exec_lo, exec_lo, s3
	s_cbranch_execnz .LBB104_37
; %bb.38:
	s_or_b32 exec_lo, exec_lo, s3
	v_mov_b32_e32 v7, 0
	ds_load_b128 v[7:10], v7 offset:96
	s_waitcnt lgkmcnt(0)
	v_mul_f64 v[11:12], v[1:2], v[9:10]
	v_mul_f64 v[15:16], v[3:4], v[9:10]
	s_delay_alu instid0(VALU_DEP_2) | instskip(NEXT) | instid1(VALU_DEP_2)
	v_fma_f64 v[9:10], v[3:4], v[7:8], -v[11:12]
	v_fma_f64 v[11:12], v[1:2], v[7:8], v[15:16]
	scratch_store_b128 off, v[9:12], off offset:96
.LBB104_39:
	s_or_b32 exec_lo, exec_lo, s2
	s_waitcnt_vscnt null, 0x0
	s_barrier
	buffer_gl0_inv
	scratch_load_b128 v[1:4], v162, off
	s_mov_b32 s2, exec_lo
	s_waitcnt vmcnt(0)
	ds_store_b128 v5, v[1:4]
	s_waitcnt lgkmcnt(0)
	s_barrier
	buffer_gl0_inv
	v_cmpx_gt_u32_e32 7, v124
	s_cbranch_execz .LBB104_43
; %bb.40:
	v_dual_mov_b32 v1, 0 :: v_dual_add_nc_u32 v8, 0x290, v13
	v_dual_mov_b32 v2, 0 :: v_dual_add_nc_u32 v7, -1, v124
	v_or_b32_e32 v9, 8, v14
	s_mov_b32 s3, 0
	s_delay_alu instid0(VALU_DEP_2)
	v_dual_mov_b32 v4, v2 :: v_dual_mov_b32 v3, v1
	.p2align	6
.LBB104_41:                             ; =>This Inner Loop Header: Depth=1
	scratch_load_b128 v[15:18], v9, off offset:-8
	ds_load_b128 v[19:22], v8
	v_add_nc_u32_e32 v7, 1, v7
	v_add_nc_u32_e32 v8, 16, v8
	;; [unrolled: 1-line block ×3, first 2 shown]
	s_delay_alu instid0(VALU_DEP_3) | instskip(SKIP_4) | instid1(VALU_DEP_2)
	v_cmp_lt_u32_e32 vcc_lo, 5, v7
	s_or_b32 s3, vcc_lo, s3
	s_waitcnt vmcnt(0) lgkmcnt(0)
	v_mul_f64 v[10:11], v[21:22], v[17:18]
	v_mul_f64 v[17:18], v[19:20], v[17:18]
	v_fma_f64 v[10:11], v[19:20], v[15:16], -v[10:11]
	s_delay_alu instid0(VALU_DEP_2) | instskip(NEXT) | instid1(VALU_DEP_2)
	v_fma_f64 v[15:16], v[21:22], v[15:16], v[17:18]
	v_add_f64 v[3:4], v[3:4], v[10:11]
	s_delay_alu instid0(VALU_DEP_2)
	v_add_f64 v[1:2], v[1:2], v[15:16]
	s_and_not1_b32 exec_lo, exec_lo, s3
	s_cbranch_execnz .LBB104_41
; %bb.42:
	s_or_b32 exec_lo, exec_lo, s3
	v_mov_b32_e32 v7, 0
	ds_load_b128 v[7:10], v7 offset:112
	s_waitcnt lgkmcnt(0)
	v_mul_f64 v[11:12], v[1:2], v[9:10]
	v_mul_f64 v[15:16], v[3:4], v[9:10]
	s_delay_alu instid0(VALU_DEP_2) | instskip(NEXT) | instid1(VALU_DEP_2)
	v_fma_f64 v[9:10], v[3:4], v[7:8], -v[11:12]
	v_fma_f64 v[11:12], v[1:2], v[7:8], v[15:16]
	scratch_store_b128 off, v[9:12], off offset:112
.LBB104_43:
	s_or_b32 exec_lo, exec_lo, s2
	s_waitcnt_vscnt null, 0x0
	s_barrier
	buffer_gl0_inv
	scratch_load_b128 v[1:4], v160, off
	s_mov_b32 s2, exec_lo
	s_waitcnt vmcnt(0)
	ds_store_b128 v5, v[1:4]
	s_waitcnt lgkmcnt(0)
	s_barrier
	buffer_gl0_inv
	v_cmpx_gt_u32_e32 8, v124
	s_cbranch_execz .LBB104_47
; %bb.44:
	v_dual_mov_b32 v1, 0 :: v_dual_add_nc_u32 v8, 0x290, v13
	v_dual_mov_b32 v2, 0 :: v_dual_add_nc_u32 v7, -1, v124
	v_or_b32_e32 v9, 8, v14
	s_mov_b32 s3, 0
	s_delay_alu instid0(VALU_DEP_2)
	v_dual_mov_b32 v4, v2 :: v_dual_mov_b32 v3, v1
	.p2align	6
.LBB104_45:                             ; =>This Inner Loop Header: Depth=1
	scratch_load_b128 v[15:18], v9, off offset:-8
	ds_load_b128 v[19:22], v8
	v_add_nc_u32_e32 v7, 1, v7
	v_add_nc_u32_e32 v8, 16, v8
	;; [unrolled: 1-line block ×3, first 2 shown]
	s_delay_alu instid0(VALU_DEP_3) | instskip(SKIP_4) | instid1(VALU_DEP_2)
	v_cmp_lt_u32_e32 vcc_lo, 6, v7
	s_or_b32 s3, vcc_lo, s3
	s_waitcnt vmcnt(0) lgkmcnt(0)
	v_mul_f64 v[10:11], v[21:22], v[17:18]
	v_mul_f64 v[17:18], v[19:20], v[17:18]
	v_fma_f64 v[10:11], v[19:20], v[15:16], -v[10:11]
	s_delay_alu instid0(VALU_DEP_2) | instskip(NEXT) | instid1(VALU_DEP_2)
	v_fma_f64 v[15:16], v[21:22], v[15:16], v[17:18]
	v_add_f64 v[3:4], v[3:4], v[10:11]
	s_delay_alu instid0(VALU_DEP_2)
	v_add_f64 v[1:2], v[1:2], v[15:16]
	s_and_not1_b32 exec_lo, exec_lo, s3
	s_cbranch_execnz .LBB104_45
; %bb.46:
	s_or_b32 exec_lo, exec_lo, s3
	v_mov_b32_e32 v7, 0
	ds_load_b128 v[7:10], v7 offset:128
	s_waitcnt lgkmcnt(0)
	v_mul_f64 v[11:12], v[1:2], v[9:10]
	v_mul_f64 v[15:16], v[3:4], v[9:10]
	s_delay_alu instid0(VALU_DEP_2) | instskip(NEXT) | instid1(VALU_DEP_2)
	v_fma_f64 v[9:10], v[3:4], v[7:8], -v[11:12]
	v_fma_f64 v[11:12], v[1:2], v[7:8], v[15:16]
	scratch_store_b128 off, v[9:12], off offset:128
.LBB104_47:
	s_or_b32 exec_lo, exec_lo, s2
	s_waitcnt_vscnt null, 0x0
	s_barrier
	buffer_gl0_inv
	scratch_load_b128 v[1:4], v161, off
	s_mov_b32 s2, exec_lo
	s_waitcnt vmcnt(0)
	ds_store_b128 v5, v[1:4]
	s_waitcnt lgkmcnt(0)
	s_barrier
	buffer_gl0_inv
	v_cmpx_gt_u32_e32 9, v124
	s_cbranch_execz .LBB104_51
; %bb.48:
	v_dual_mov_b32 v1, 0 :: v_dual_add_nc_u32 v8, 0x290, v13
	v_dual_mov_b32 v2, 0 :: v_dual_add_nc_u32 v7, -1, v124
	v_or_b32_e32 v9, 8, v14
	s_mov_b32 s3, 0
	s_delay_alu instid0(VALU_DEP_2)
	v_dual_mov_b32 v4, v2 :: v_dual_mov_b32 v3, v1
	.p2align	6
.LBB104_49:                             ; =>This Inner Loop Header: Depth=1
	scratch_load_b128 v[15:18], v9, off offset:-8
	ds_load_b128 v[19:22], v8
	v_add_nc_u32_e32 v7, 1, v7
	v_add_nc_u32_e32 v8, 16, v8
	;; [unrolled: 1-line block ×3, first 2 shown]
	s_delay_alu instid0(VALU_DEP_3) | instskip(SKIP_4) | instid1(VALU_DEP_2)
	v_cmp_lt_u32_e32 vcc_lo, 7, v7
	s_or_b32 s3, vcc_lo, s3
	s_waitcnt vmcnt(0) lgkmcnt(0)
	v_mul_f64 v[10:11], v[21:22], v[17:18]
	v_mul_f64 v[17:18], v[19:20], v[17:18]
	v_fma_f64 v[10:11], v[19:20], v[15:16], -v[10:11]
	s_delay_alu instid0(VALU_DEP_2) | instskip(NEXT) | instid1(VALU_DEP_2)
	v_fma_f64 v[15:16], v[21:22], v[15:16], v[17:18]
	v_add_f64 v[3:4], v[3:4], v[10:11]
	s_delay_alu instid0(VALU_DEP_2)
	v_add_f64 v[1:2], v[1:2], v[15:16]
	s_and_not1_b32 exec_lo, exec_lo, s3
	s_cbranch_execnz .LBB104_49
; %bb.50:
	s_or_b32 exec_lo, exec_lo, s3
	v_mov_b32_e32 v7, 0
	ds_load_b128 v[7:10], v7 offset:144
	s_waitcnt lgkmcnt(0)
	v_mul_f64 v[11:12], v[1:2], v[9:10]
	v_mul_f64 v[15:16], v[3:4], v[9:10]
	s_delay_alu instid0(VALU_DEP_2) | instskip(NEXT) | instid1(VALU_DEP_2)
	v_fma_f64 v[9:10], v[3:4], v[7:8], -v[11:12]
	v_fma_f64 v[11:12], v[1:2], v[7:8], v[15:16]
	scratch_store_b128 off, v[9:12], off offset:144
.LBB104_51:
	s_or_b32 exec_lo, exec_lo, s2
	s_waitcnt_vscnt null, 0x0
	s_barrier
	buffer_gl0_inv
	scratch_load_b128 v[1:4], v159, off
	s_mov_b32 s2, exec_lo
	s_waitcnt vmcnt(0)
	ds_store_b128 v5, v[1:4]
	s_waitcnt lgkmcnt(0)
	s_barrier
	buffer_gl0_inv
	v_cmpx_gt_u32_e32 10, v124
	s_cbranch_execz .LBB104_55
; %bb.52:
	v_dual_mov_b32 v1, 0 :: v_dual_add_nc_u32 v8, 0x290, v13
	v_dual_mov_b32 v2, 0 :: v_dual_add_nc_u32 v7, -1, v124
	v_or_b32_e32 v9, 8, v14
	s_mov_b32 s3, 0
	s_delay_alu instid0(VALU_DEP_2)
	v_dual_mov_b32 v4, v2 :: v_dual_mov_b32 v3, v1
	.p2align	6
.LBB104_53:                             ; =>This Inner Loop Header: Depth=1
	scratch_load_b128 v[15:18], v9, off offset:-8
	ds_load_b128 v[19:22], v8
	v_add_nc_u32_e32 v7, 1, v7
	v_add_nc_u32_e32 v8, 16, v8
	;; [unrolled: 1-line block ×3, first 2 shown]
	s_delay_alu instid0(VALU_DEP_3) | instskip(SKIP_4) | instid1(VALU_DEP_2)
	v_cmp_lt_u32_e32 vcc_lo, 8, v7
	s_or_b32 s3, vcc_lo, s3
	s_waitcnt vmcnt(0) lgkmcnt(0)
	v_mul_f64 v[10:11], v[21:22], v[17:18]
	v_mul_f64 v[17:18], v[19:20], v[17:18]
	v_fma_f64 v[10:11], v[19:20], v[15:16], -v[10:11]
	s_delay_alu instid0(VALU_DEP_2) | instskip(NEXT) | instid1(VALU_DEP_2)
	v_fma_f64 v[15:16], v[21:22], v[15:16], v[17:18]
	v_add_f64 v[3:4], v[3:4], v[10:11]
	s_delay_alu instid0(VALU_DEP_2)
	v_add_f64 v[1:2], v[1:2], v[15:16]
	s_and_not1_b32 exec_lo, exec_lo, s3
	s_cbranch_execnz .LBB104_53
; %bb.54:
	s_or_b32 exec_lo, exec_lo, s3
	v_mov_b32_e32 v7, 0
	ds_load_b128 v[7:10], v7 offset:160
	s_waitcnt lgkmcnt(0)
	v_mul_f64 v[11:12], v[1:2], v[9:10]
	v_mul_f64 v[15:16], v[3:4], v[9:10]
	s_delay_alu instid0(VALU_DEP_2) | instskip(NEXT) | instid1(VALU_DEP_2)
	v_fma_f64 v[9:10], v[3:4], v[7:8], -v[11:12]
	v_fma_f64 v[11:12], v[1:2], v[7:8], v[15:16]
	scratch_store_b128 off, v[9:12], off offset:160
.LBB104_55:
	s_or_b32 exec_lo, exec_lo, s2
	s_waitcnt_vscnt null, 0x0
	s_barrier
	buffer_gl0_inv
	scratch_load_b128 v[1:4], v158, off
	s_mov_b32 s2, exec_lo
	s_waitcnt vmcnt(0)
	ds_store_b128 v5, v[1:4]
	s_waitcnt lgkmcnt(0)
	s_barrier
	buffer_gl0_inv
	v_cmpx_gt_u32_e32 11, v124
	s_cbranch_execz .LBB104_59
; %bb.56:
	v_dual_mov_b32 v1, 0 :: v_dual_add_nc_u32 v8, 0x290, v13
	v_dual_mov_b32 v2, 0 :: v_dual_add_nc_u32 v7, -1, v124
	v_or_b32_e32 v9, 8, v14
	s_mov_b32 s3, 0
	s_delay_alu instid0(VALU_DEP_2)
	v_dual_mov_b32 v4, v2 :: v_dual_mov_b32 v3, v1
	.p2align	6
.LBB104_57:                             ; =>This Inner Loop Header: Depth=1
	scratch_load_b128 v[15:18], v9, off offset:-8
	ds_load_b128 v[19:22], v8
	v_add_nc_u32_e32 v7, 1, v7
	v_add_nc_u32_e32 v8, 16, v8
	;; [unrolled: 1-line block ×3, first 2 shown]
	s_delay_alu instid0(VALU_DEP_3) | instskip(SKIP_4) | instid1(VALU_DEP_2)
	v_cmp_lt_u32_e32 vcc_lo, 9, v7
	s_or_b32 s3, vcc_lo, s3
	s_waitcnt vmcnt(0) lgkmcnt(0)
	v_mul_f64 v[10:11], v[21:22], v[17:18]
	v_mul_f64 v[17:18], v[19:20], v[17:18]
	v_fma_f64 v[10:11], v[19:20], v[15:16], -v[10:11]
	s_delay_alu instid0(VALU_DEP_2) | instskip(NEXT) | instid1(VALU_DEP_2)
	v_fma_f64 v[15:16], v[21:22], v[15:16], v[17:18]
	v_add_f64 v[3:4], v[3:4], v[10:11]
	s_delay_alu instid0(VALU_DEP_2)
	v_add_f64 v[1:2], v[1:2], v[15:16]
	s_and_not1_b32 exec_lo, exec_lo, s3
	s_cbranch_execnz .LBB104_57
; %bb.58:
	s_or_b32 exec_lo, exec_lo, s3
	v_mov_b32_e32 v7, 0
	ds_load_b128 v[7:10], v7 offset:176
	s_waitcnt lgkmcnt(0)
	v_mul_f64 v[11:12], v[1:2], v[9:10]
	v_mul_f64 v[15:16], v[3:4], v[9:10]
	s_delay_alu instid0(VALU_DEP_2) | instskip(NEXT) | instid1(VALU_DEP_2)
	v_fma_f64 v[9:10], v[3:4], v[7:8], -v[11:12]
	v_fma_f64 v[11:12], v[1:2], v[7:8], v[15:16]
	scratch_store_b128 off, v[9:12], off offset:176
.LBB104_59:
	s_or_b32 exec_lo, exec_lo, s2
	s_waitcnt_vscnt null, 0x0
	s_barrier
	buffer_gl0_inv
	scratch_load_b128 v[1:4], v157, off
	s_mov_b32 s2, exec_lo
	s_waitcnt vmcnt(0)
	ds_store_b128 v5, v[1:4]
	s_waitcnt lgkmcnt(0)
	s_barrier
	buffer_gl0_inv
	v_cmpx_gt_u32_e32 12, v124
	s_cbranch_execz .LBB104_63
; %bb.60:
	v_dual_mov_b32 v1, 0 :: v_dual_add_nc_u32 v8, 0x290, v13
	v_dual_mov_b32 v2, 0 :: v_dual_add_nc_u32 v7, -1, v124
	v_or_b32_e32 v9, 8, v14
	s_mov_b32 s3, 0
	s_delay_alu instid0(VALU_DEP_2)
	v_dual_mov_b32 v4, v2 :: v_dual_mov_b32 v3, v1
	.p2align	6
.LBB104_61:                             ; =>This Inner Loop Header: Depth=1
	scratch_load_b128 v[15:18], v9, off offset:-8
	ds_load_b128 v[19:22], v8
	v_add_nc_u32_e32 v7, 1, v7
	v_add_nc_u32_e32 v8, 16, v8
	;; [unrolled: 1-line block ×3, first 2 shown]
	s_delay_alu instid0(VALU_DEP_3) | instskip(SKIP_4) | instid1(VALU_DEP_2)
	v_cmp_lt_u32_e32 vcc_lo, 10, v7
	s_or_b32 s3, vcc_lo, s3
	s_waitcnt vmcnt(0) lgkmcnt(0)
	v_mul_f64 v[10:11], v[21:22], v[17:18]
	v_mul_f64 v[17:18], v[19:20], v[17:18]
	v_fma_f64 v[10:11], v[19:20], v[15:16], -v[10:11]
	s_delay_alu instid0(VALU_DEP_2) | instskip(NEXT) | instid1(VALU_DEP_2)
	v_fma_f64 v[15:16], v[21:22], v[15:16], v[17:18]
	v_add_f64 v[3:4], v[3:4], v[10:11]
	s_delay_alu instid0(VALU_DEP_2)
	v_add_f64 v[1:2], v[1:2], v[15:16]
	s_and_not1_b32 exec_lo, exec_lo, s3
	s_cbranch_execnz .LBB104_61
; %bb.62:
	s_or_b32 exec_lo, exec_lo, s3
	v_mov_b32_e32 v7, 0
	ds_load_b128 v[7:10], v7 offset:192
	s_waitcnt lgkmcnt(0)
	v_mul_f64 v[11:12], v[1:2], v[9:10]
	v_mul_f64 v[15:16], v[3:4], v[9:10]
	s_delay_alu instid0(VALU_DEP_2) | instskip(NEXT) | instid1(VALU_DEP_2)
	v_fma_f64 v[9:10], v[3:4], v[7:8], -v[11:12]
	v_fma_f64 v[11:12], v[1:2], v[7:8], v[15:16]
	scratch_store_b128 off, v[9:12], off offset:192
.LBB104_63:
	s_or_b32 exec_lo, exec_lo, s2
	s_waitcnt_vscnt null, 0x0
	s_barrier
	buffer_gl0_inv
	scratch_load_b128 v[1:4], v156, off
	s_mov_b32 s2, exec_lo
	s_waitcnt vmcnt(0)
	ds_store_b128 v5, v[1:4]
	s_waitcnt lgkmcnt(0)
	s_barrier
	buffer_gl0_inv
	v_cmpx_gt_u32_e32 13, v124
	s_cbranch_execz .LBB104_67
; %bb.64:
	v_dual_mov_b32 v1, 0 :: v_dual_add_nc_u32 v8, 0x290, v13
	v_dual_mov_b32 v2, 0 :: v_dual_add_nc_u32 v7, -1, v124
	v_or_b32_e32 v9, 8, v14
	s_mov_b32 s3, 0
	s_delay_alu instid0(VALU_DEP_2)
	v_dual_mov_b32 v4, v2 :: v_dual_mov_b32 v3, v1
	.p2align	6
.LBB104_65:                             ; =>This Inner Loop Header: Depth=1
	scratch_load_b128 v[15:18], v9, off offset:-8
	ds_load_b128 v[19:22], v8
	v_add_nc_u32_e32 v7, 1, v7
	v_add_nc_u32_e32 v8, 16, v8
	;; [unrolled: 1-line block ×3, first 2 shown]
	s_delay_alu instid0(VALU_DEP_3) | instskip(SKIP_4) | instid1(VALU_DEP_2)
	v_cmp_lt_u32_e32 vcc_lo, 11, v7
	s_or_b32 s3, vcc_lo, s3
	s_waitcnt vmcnt(0) lgkmcnt(0)
	v_mul_f64 v[10:11], v[21:22], v[17:18]
	v_mul_f64 v[17:18], v[19:20], v[17:18]
	v_fma_f64 v[10:11], v[19:20], v[15:16], -v[10:11]
	s_delay_alu instid0(VALU_DEP_2) | instskip(NEXT) | instid1(VALU_DEP_2)
	v_fma_f64 v[15:16], v[21:22], v[15:16], v[17:18]
	v_add_f64 v[3:4], v[3:4], v[10:11]
	s_delay_alu instid0(VALU_DEP_2)
	v_add_f64 v[1:2], v[1:2], v[15:16]
	s_and_not1_b32 exec_lo, exec_lo, s3
	s_cbranch_execnz .LBB104_65
; %bb.66:
	s_or_b32 exec_lo, exec_lo, s3
	v_mov_b32_e32 v7, 0
	ds_load_b128 v[7:10], v7 offset:208
	s_waitcnt lgkmcnt(0)
	v_mul_f64 v[11:12], v[1:2], v[9:10]
	v_mul_f64 v[15:16], v[3:4], v[9:10]
	s_delay_alu instid0(VALU_DEP_2) | instskip(NEXT) | instid1(VALU_DEP_2)
	v_fma_f64 v[9:10], v[3:4], v[7:8], -v[11:12]
	v_fma_f64 v[11:12], v[1:2], v[7:8], v[15:16]
	scratch_store_b128 off, v[9:12], off offset:208
.LBB104_67:
	s_or_b32 exec_lo, exec_lo, s2
	s_waitcnt_vscnt null, 0x0
	s_barrier
	buffer_gl0_inv
	scratch_load_b128 v[1:4], v155, off
	s_mov_b32 s2, exec_lo
	s_waitcnt vmcnt(0)
	ds_store_b128 v5, v[1:4]
	s_waitcnt lgkmcnt(0)
	s_barrier
	buffer_gl0_inv
	v_cmpx_gt_u32_e32 14, v124
	s_cbranch_execz .LBB104_71
; %bb.68:
	v_dual_mov_b32 v1, 0 :: v_dual_add_nc_u32 v8, 0x290, v13
	v_dual_mov_b32 v2, 0 :: v_dual_add_nc_u32 v7, -1, v124
	v_or_b32_e32 v9, 8, v14
	s_mov_b32 s3, 0
	s_delay_alu instid0(VALU_DEP_2)
	v_dual_mov_b32 v4, v2 :: v_dual_mov_b32 v3, v1
	.p2align	6
.LBB104_69:                             ; =>This Inner Loop Header: Depth=1
	scratch_load_b128 v[15:18], v9, off offset:-8
	ds_load_b128 v[19:22], v8
	v_add_nc_u32_e32 v7, 1, v7
	v_add_nc_u32_e32 v8, 16, v8
	;; [unrolled: 1-line block ×3, first 2 shown]
	s_delay_alu instid0(VALU_DEP_3) | instskip(SKIP_4) | instid1(VALU_DEP_2)
	v_cmp_lt_u32_e32 vcc_lo, 12, v7
	s_or_b32 s3, vcc_lo, s3
	s_waitcnt vmcnt(0) lgkmcnt(0)
	v_mul_f64 v[10:11], v[21:22], v[17:18]
	v_mul_f64 v[17:18], v[19:20], v[17:18]
	v_fma_f64 v[10:11], v[19:20], v[15:16], -v[10:11]
	s_delay_alu instid0(VALU_DEP_2) | instskip(NEXT) | instid1(VALU_DEP_2)
	v_fma_f64 v[15:16], v[21:22], v[15:16], v[17:18]
	v_add_f64 v[3:4], v[3:4], v[10:11]
	s_delay_alu instid0(VALU_DEP_2)
	v_add_f64 v[1:2], v[1:2], v[15:16]
	s_and_not1_b32 exec_lo, exec_lo, s3
	s_cbranch_execnz .LBB104_69
; %bb.70:
	s_or_b32 exec_lo, exec_lo, s3
	v_mov_b32_e32 v7, 0
	ds_load_b128 v[7:10], v7 offset:224
	s_waitcnt lgkmcnt(0)
	v_mul_f64 v[11:12], v[1:2], v[9:10]
	v_mul_f64 v[15:16], v[3:4], v[9:10]
	s_delay_alu instid0(VALU_DEP_2) | instskip(NEXT) | instid1(VALU_DEP_2)
	v_fma_f64 v[9:10], v[3:4], v[7:8], -v[11:12]
	v_fma_f64 v[11:12], v[1:2], v[7:8], v[15:16]
	scratch_store_b128 off, v[9:12], off offset:224
.LBB104_71:
	s_or_b32 exec_lo, exec_lo, s2
	s_waitcnt_vscnt null, 0x0
	s_barrier
	buffer_gl0_inv
	scratch_load_b128 v[1:4], v154, off
	s_mov_b32 s2, exec_lo
	s_waitcnt vmcnt(0)
	ds_store_b128 v5, v[1:4]
	s_waitcnt lgkmcnt(0)
	s_barrier
	buffer_gl0_inv
	v_cmpx_gt_u32_e32 15, v124
	s_cbranch_execz .LBB104_75
; %bb.72:
	v_dual_mov_b32 v1, 0 :: v_dual_add_nc_u32 v8, 0x290, v13
	v_dual_mov_b32 v2, 0 :: v_dual_add_nc_u32 v7, -1, v124
	v_or_b32_e32 v9, 8, v14
	s_mov_b32 s3, 0
	s_delay_alu instid0(VALU_DEP_2)
	v_dual_mov_b32 v4, v2 :: v_dual_mov_b32 v3, v1
	.p2align	6
.LBB104_73:                             ; =>This Inner Loop Header: Depth=1
	scratch_load_b128 v[15:18], v9, off offset:-8
	ds_load_b128 v[19:22], v8
	v_add_nc_u32_e32 v7, 1, v7
	v_add_nc_u32_e32 v8, 16, v8
	v_add_nc_u32_e32 v9, 16, v9
	s_delay_alu instid0(VALU_DEP_3) | instskip(SKIP_4) | instid1(VALU_DEP_2)
	v_cmp_lt_u32_e32 vcc_lo, 13, v7
	s_or_b32 s3, vcc_lo, s3
	s_waitcnt vmcnt(0) lgkmcnt(0)
	v_mul_f64 v[10:11], v[21:22], v[17:18]
	v_mul_f64 v[17:18], v[19:20], v[17:18]
	v_fma_f64 v[10:11], v[19:20], v[15:16], -v[10:11]
	s_delay_alu instid0(VALU_DEP_2) | instskip(NEXT) | instid1(VALU_DEP_2)
	v_fma_f64 v[15:16], v[21:22], v[15:16], v[17:18]
	v_add_f64 v[3:4], v[3:4], v[10:11]
	s_delay_alu instid0(VALU_DEP_2)
	v_add_f64 v[1:2], v[1:2], v[15:16]
	s_and_not1_b32 exec_lo, exec_lo, s3
	s_cbranch_execnz .LBB104_73
; %bb.74:
	s_or_b32 exec_lo, exec_lo, s3
	v_mov_b32_e32 v7, 0
	ds_load_b128 v[7:10], v7 offset:240
	s_waitcnt lgkmcnt(0)
	v_mul_f64 v[11:12], v[1:2], v[9:10]
	v_mul_f64 v[15:16], v[3:4], v[9:10]
	s_delay_alu instid0(VALU_DEP_2) | instskip(NEXT) | instid1(VALU_DEP_2)
	v_fma_f64 v[9:10], v[3:4], v[7:8], -v[11:12]
	v_fma_f64 v[11:12], v[1:2], v[7:8], v[15:16]
	scratch_store_b128 off, v[9:12], off offset:240
.LBB104_75:
	s_or_b32 exec_lo, exec_lo, s2
	s_waitcnt_vscnt null, 0x0
	s_barrier
	buffer_gl0_inv
	scratch_load_b128 v[1:4], v153, off
	s_mov_b32 s2, exec_lo
	s_waitcnt vmcnt(0)
	ds_store_b128 v5, v[1:4]
	s_waitcnt lgkmcnt(0)
	s_barrier
	buffer_gl0_inv
	v_cmpx_gt_u32_e32 16, v124
	s_cbranch_execz .LBB104_79
; %bb.76:
	v_dual_mov_b32 v1, 0 :: v_dual_add_nc_u32 v8, 0x290, v13
	v_dual_mov_b32 v2, 0 :: v_dual_add_nc_u32 v7, -1, v124
	v_or_b32_e32 v9, 8, v14
	s_mov_b32 s3, 0
	s_delay_alu instid0(VALU_DEP_2)
	v_dual_mov_b32 v4, v2 :: v_dual_mov_b32 v3, v1
	.p2align	6
.LBB104_77:                             ; =>This Inner Loop Header: Depth=1
	scratch_load_b128 v[15:18], v9, off offset:-8
	ds_load_b128 v[19:22], v8
	v_add_nc_u32_e32 v7, 1, v7
	v_add_nc_u32_e32 v8, 16, v8
	;; [unrolled: 1-line block ×3, first 2 shown]
	s_delay_alu instid0(VALU_DEP_3) | instskip(SKIP_4) | instid1(VALU_DEP_2)
	v_cmp_lt_u32_e32 vcc_lo, 14, v7
	s_or_b32 s3, vcc_lo, s3
	s_waitcnt vmcnt(0) lgkmcnt(0)
	v_mul_f64 v[10:11], v[21:22], v[17:18]
	v_mul_f64 v[17:18], v[19:20], v[17:18]
	v_fma_f64 v[10:11], v[19:20], v[15:16], -v[10:11]
	s_delay_alu instid0(VALU_DEP_2) | instskip(NEXT) | instid1(VALU_DEP_2)
	v_fma_f64 v[15:16], v[21:22], v[15:16], v[17:18]
	v_add_f64 v[3:4], v[3:4], v[10:11]
	s_delay_alu instid0(VALU_DEP_2)
	v_add_f64 v[1:2], v[1:2], v[15:16]
	s_and_not1_b32 exec_lo, exec_lo, s3
	s_cbranch_execnz .LBB104_77
; %bb.78:
	s_or_b32 exec_lo, exec_lo, s3
	v_mov_b32_e32 v7, 0
	ds_load_b128 v[7:10], v7 offset:256
	s_waitcnt lgkmcnt(0)
	v_mul_f64 v[11:12], v[1:2], v[9:10]
	v_mul_f64 v[15:16], v[3:4], v[9:10]
	s_delay_alu instid0(VALU_DEP_2) | instskip(NEXT) | instid1(VALU_DEP_2)
	v_fma_f64 v[9:10], v[3:4], v[7:8], -v[11:12]
	v_fma_f64 v[11:12], v[1:2], v[7:8], v[15:16]
	scratch_store_b128 off, v[9:12], off offset:256
.LBB104_79:
	s_or_b32 exec_lo, exec_lo, s2
	s_waitcnt_vscnt null, 0x0
	s_barrier
	buffer_gl0_inv
	scratch_load_b128 v[1:4], v152, off
	s_mov_b32 s2, exec_lo
	s_waitcnt vmcnt(0)
	ds_store_b128 v5, v[1:4]
	s_waitcnt lgkmcnt(0)
	s_barrier
	buffer_gl0_inv
	v_cmpx_gt_u32_e32 17, v124
	s_cbranch_execz .LBB104_83
; %bb.80:
	v_dual_mov_b32 v1, 0 :: v_dual_add_nc_u32 v8, 0x290, v13
	v_dual_mov_b32 v2, 0 :: v_dual_add_nc_u32 v7, -1, v124
	v_or_b32_e32 v9, 8, v14
	s_mov_b32 s3, 0
	s_delay_alu instid0(VALU_DEP_2)
	v_dual_mov_b32 v4, v2 :: v_dual_mov_b32 v3, v1
	.p2align	6
.LBB104_81:                             ; =>This Inner Loop Header: Depth=1
	scratch_load_b128 v[15:18], v9, off offset:-8
	ds_load_b128 v[19:22], v8
	v_add_nc_u32_e32 v7, 1, v7
	v_add_nc_u32_e32 v8, 16, v8
	;; [unrolled: 1-line block ×3, first 2 shown]
	s_delay_alu instid0(VALU_DEP_3) | instskip(SKIP_4) | instid1(VALU_DEP_2)
	v_cmp_lt_u32_e32 vcc_lo, 15, v7
	s_or_b32 s3, vcc_lo, s3
	s_waitcnt vmcnt(0) lgkmcnt(0)
	v_mul_f64 v[10:11], v[21:22], v[17:18]
	v_mul_f64 v[17:18], v[19:20], v[17:18]
	v_fma_f64 v[10:11], v[19:20], v[15:16], -v[10:11]
	s_delay_alu instid0(VALU_DEP_2) | instskip(NEXT) | instid1(VALU_DEP_2)
	v_fma_f64 v[15:16], v[21:22], v[15:16], v[17:18]
	v_add_f64 v[3:4], v[3:4], v[10:11]
	s_delay_alu instid0(VALU_DEP_2)
	v_add_f64 v[1:2], v[1:2], v[15:16]
	s_and_not1_b32 exec_lo, exec_lo, s3
	s_cbranch_execnz .LBB104_81
; %bb.82:
	s_or_b32 exec_lo, exec_lo, s3
	v_mov_b32_e32 v7, 0
	ds_load_b128 v[7:10], v7 offset:272
	s_waitcnt lgkmcnt(0)
	v_mul_f64 v[11:12], v[1:2], v[9:10]
	v_mul_f64 v[15:16], v[3:4], v[9:10]
	s_delay_alu instid0(VALU_DEP_2) | instskip(NEXT) | instid1(VALU_DEP_2)
	v_fma_f64 v[9:10], v[3:4], v[7:8], -v[11:12]
	v_fma_f64 v[11:12], v[1:2], v[7:8], v[15:16]
	scratch_store_b128 off, v[9:12], off offset:272
.LBB104_83:
	s_or_b32 exec_lo, exec_lo, s2
	s_waitcnt_vscnt null, 0x0
	s_barrier
	buffer_gl0_inv
	scratch_load_b128 v[1:4], v151, off
	s_mov_b32 s2, exec_lo
	s_waitcnt vmcnt(0)
	ds_store_b128 v5, v[1:4]
	s_waitcnt lgkmcnt(0)
	s_barrier
	buffer_gl0_inv
	v_cmpx_gt_u32_e32 18, v124
	s_cbranch_execz .LBB104_87
; %bb.84:
	v_dual_mov_b32 v1, 0 :: v_dual_add_nc_u32 v8, 0x290, v13
	v_dual_mov_b32 v2, 0 :: v_dual_add_nc_u32 v7, -1, v124
	v_or_b32_e32 v9, 8, v14
	s_mov_b32 s3, 0
	s_delay_alu instid0(VALU_DEP_2)
	v_dual_mov_b32 v4, v2 :: v_dual_mov_b32 v3, v1
	.p2align	6
.LBB104_85:                             ; =>This Inner Loop Header: Depth=1
	scratch_load_b128 v[15:18], v9, off offset:-8
	ds_load_b128 v[19:22], v8
	v_add_nc_u32_e32 v7, 1, v7
	v_add_nc_u32_e32 v8, 16, v8
	;; [unrolled: 1-line block ×3, first 2 shown]
	s_delay_alu instid0(VALU_DEP_3) | instskip(SKIP_4) | instid1(VALU_DEP_2)
	v_cmp_lt_u32_e32 vcc_lo, 16, v7
	s_or_b32 s3, vcc_lo, s3
	s_waitcnt vmcnt(0) lgkmcnt(0)
	v_mul_f64 v[10:11], v[21:22], v[17:18]
	v_mul_f64 v[17:18], v[19:20], v[17:18]
	v_fma_f64 v[10:11], v[19:20], v[15:16], -v[10:11]
	s_delay_alu instid0(VALU_DEP_2) | instskip(NEXT) | instid1(VALU_DEP_2)
	v_fma_f64 v[15:16], v[21:22], v[15:16], v[17:18]
	v_add_f64 v[3:4], v[3:4], v[10:11]
	s_delay_alu instid0(VALU_DEP_2)
	v_add_f64 v[1:2], v[1:2], v[15:16]
	s_and_not1_b32 exec_lo, exec_lo, s3
	s_cbranch_execnz .LBB104_85
; %bb.86:
	s_or_b32 exec_lo, exec_lo, s3
	v_mov_b32_e32 v7, 0
	ds_load_b128 v[7:10], v7 offset:288
	s_waitcnt lgkmcnt(0)
	v_mul_f64 v[11:12], v[1:2], v[9:10]
	v_mul_f64 v[15:16], v[3:4], v[9:10]
	s_delay_alu instid0(VALU_DEP_2) | instskip(NEXT) | instid1(VALU_DEP_2)
	v_fma_f64 v[9:10], v[3:4], v[7:8], -v[11:12]
	v_fma_f64 v[11:12], v[1:2], v[7:8], v[15:16]
	scratch_store_b128 off, v[9:12], off offset:288
.LBB104_87:
	s_or_b32 exec_lo, exec_lo, s2
	s_waitcnt_vscnt null, 0x0
	s_barrier
	buffer_gl0_inv
	scratch_load_b128 v[1:4], v150, off
	s_mov_b32 s2, exec_lo
	s_waitcnt vmcnt(0)
	ds_store_b128 v5, v[1:4]
	s_waitcnt lgkmcnt(0)
	s_barrier
	buffer_gl0_inv
	v_cmpx_gt_u32_e32 19, v124
	s_cbranch_execz .LBB104_91
; %bb.88:
	v_dual_mov_b32 v1, 0 :: v_dual_add_nc_u32 v8, 0x290, v13
	v_dual_mov_b32 v2, 0 :: v_dual_add_nc_u32 v7, -1, v124
	v_or_b32_e32 v9, 8, v14
	s_mov_b32 s3, 0
	s_delay_alu instid0(VALU_DEP_2)
	v_dual_mov_b32 v4, v2 :: v_dual_mov_b32 v3, v1
	.p2align	6
.LBB104_89:                             ; =>This Inner Loop Header: Depth=1
	scratch_load_b128 v[15:18], v9, off offset:-8
	ds_load_b128 v[19:22], v8
	v_add_nc_u32_e32 v7, 1, v7
	v_add_nc_u32_e32 v8, 16, v8
	;; [unrolled: 1-line block ×3, first 2 shown]
	s_delay_alu instid0(VALU_DEP_3) | instskip(SKIP_4) | instid1(VALU_DEP_2)
	v_cmp_lt_u32_e32 vcc_lo, 17, v7
	s_or_b32 s3, vcc_lo, s3
	s_waitcnt vmcnt(0) lgkmcnt(0)
	v_mul_f64 v[10:11], v[21:22], v[17:18]
	v_mul_f64 v[17:18], v[19:20], v[17:18]
	v_fma_f64 v[10:11], v[19:20], v[15:16], -v[10:11]
	s_delay_alu instid0(VALU_DEP_2) | instskip(NEXT) | instid1(VALU_DEP_2)
	v_fma_f64 v[15:16], v[21:22], v[15:16], v[17:18]
	v_add_f64 v[3:4], v[3:4], v[10:11]
	s_delay_alu instid0(VALU_DEP_2)
	v_add_f64 v[1:2], v[1:2], v[15:16]
	s_and_not1_b32 exec_lo, exec_lo, s3
	s_cbranch_execnz .LBB104_89
; %bb.90:
	s_or_b32 exec_lo, exec_lo, s3
	v_mov_b32_e32 v7, 0
	ds_load_b128 v[7:10], v7 offset:304
	s_waitcnt lgkmcnt(0)
	v_mul_f64 v[11:12], v[1:2], v[9:10]
	v_mul_f64 v[15:16], v[3:4], v[9:10]
	s_delay_alu instid0(VALU_DEP_2) | instskip(NEXT) | instid1(VALU_DEP_2)
	v_fma_f64 v[9:10], v[3:4], v[7:8], -v[11:12]
	v_fma_f64 v[11:12], v[1:2], v[7:8], v[15:16]
	scratch_store_b128 off, v[9:12], off offset:304
.LBB104_91:
	s_or_b32 exec_lo, exec_lo, s2
	s_waitcnt_vscnt null, 0x0
	s_barrier
	buffer_gl0_inv
	scratch_load_b128 v[1:4], v149, off
	s_mov_b32 s2, exec_lo
	s_waitcnt vmcnt(0)
	ds_store_b128 v5, v[1:4]
	s_waitcnt lgkmcnt(0)
	s_barrier
	buffer_gl0_inv
	v_cmpx_gt_u32_e32 20, v124
	s_cbranch_execz .LBB104_95
; %bb.92:
	v_dual_mov_b32 v1, 0 :: v_dual_add_nc_u32 v8, 0x290, v13
	v_dual_mov_b32 v2, 0 :: v_dual_add_nc_u32 v7, -1, v124
	v_or_b32_e32 v9, 8, v14
	s_mov_b32 s3, 0
	s_delay_alu instid0(VALU_DEP_2)
	v_dual_mov_b32 v4, v2 :: v_dual_mov_b32 v3, v1
	.p2align	6
.LBB104_93:                             ; =>This Inner Loop Header: Depth=1
	scratch_load_b128 v[15:18], v9, off offset:-8
	ds_load_b128 v[19:22], v8
	v_add_nc_u32_e32 v7, 1, v7
	v_add_nc_u32_e32 v8, 16, v8
	;; [unrolled: 1-line block ×3, first 2 shown]
	s_delay_alu instid0(VALU_DEP_3) | instskip(SKIP_4) | instid1(VALU_DEP_2)
	v_cmp_lt_u32_e32 vcc_lo, 18, v7
	s_or_b32 s3, vcc_lo, s3
	s_waitcnt vmcnt(0) lgkmcnt(0)
	v_mul_f64 v[10:11], v[21:22], v[17:18]
	v_mul_f64 v[17:18], v[19:20], v[17:18]
	v_fma_f64 v[10:11], v[19:20], v[15:16], -v[10:11]
	s_delay_alu instid0(VALU_DEP_2) | instskip(NEXT) | instid1(VALU_DEP_2)
	v_fma_f64 v[15:16], v[21:22], v[15:16], v[17:18]
	v_add_f64 v[3:4], v[3:4], v[10:11]
	s_delay_alu instid0(VALU_DEP_2)
	v_add_f64 v[1:2], v[1:2], v[15:16]
	s_and_not1_b32 exec_lo, exec_lo, s3
	s_cbranch_execnz .LBB104_93
; %bb.94:
	s_or_b32 exec_lo, exec_lo, s3
	v_mov_b32_e32 v7, 0
	ds_load_b128 v[7:10], v7 offset:320
	s_waitcnt lgkmcnt(0)
	v_mul_f64 v[11:12], v[1:2], v[9:10]
	v_mul_f64 v[15:16], v[3:4], v[9:10]
	s_delay_alu instid0(VALU_DEP_2) | instskip(NEXT) | instid1(VALU_DEP_2)
	v_fma_f64 v[9:10], v[3:4], v[7:8], -v[11:12]
	v_fma_f64 v[11:12], v[1:2], v[7:8], v[15:16]
	scratch_store_b128 off, v[9:12], off offset:320
.LBB104_95:
	s_or_b32 exec_lo, exec_lo, s2
	s_waitcnt_vscnt null, 0x0
	s_barrier
	buffer_gl0_inv
	scratch_load_b128 v[1:4], v148, off
	s_mov_b32 s2, exec_lo
	s_waitcnt vmcnt(0)
	ds_store_b128 v5, v[1:4]
	s_waitcnt lgkmcnt(0)
	s_barrier
	buffer_gl0_inv
	v_cmpx_gt_u32_e32 21, v124
	s_cbranch_execz .LBB104_99
; %bb.96:
	v_dual_mov_b32 v1, 0 :: v_dual_add_nc_u32 v8, 0x290, v13
	v_dual_mov_b32 v2, 0 :: v_dual_add_nc_u32 v7, -1, v124
	v_or_b32_e32 v9, 8, v14
	s_mov_b32 s3, 0
	s_delay_alu instid0(VALU_DEP_2)
	v_dual_mov_b32 v4, v2 :: v_dual_mov_b32 v3, v1
	.p2align	6
.LBB104_97:                             ; =>This Inner Loop Header: Depth=1
	scratch_load_b128 v[15:18], v9, off offset:-8
	ds_load_b128 v[19:22], v8
	v_add_nc_u32_e32 v7, 1, v7
	v_add_nc_u32_e32 v8, 16, v8
	;; [unrolled: 1-line block ×3, first 2 shown]
	s_delay_alu instid0(VALU_DEP_3) | instskip(SKIP_4) | instid1(VALU_DEP_2)
	v_cmp_lt_u32_e32 vcc_lo, 19, v7
	s_or_b32 s3, vcc_lo, s3
	s_waitcnt vmcnt(0) lgkmcnt(0)
	v_mul_f64 v[10:11], v[21:22], v[17:18]
	v_mul_f64 v[17:18], v[19:20], v[17:18]
	v_fma_f64 v[10:11], v[19:20], v[15:16], -v[10:11]
	s_delay_alu instid0(VALU_DEP_2) | instskip(NEXT) | instid1(VALU_DEP_2)
	v_fma_f64 v[15:16], v[21:22], v[15:16], v[17:18]
	v_add_f64 v[3:4], v[3:4], v[10:11]
	s_delay_alu instid0(VALU_DEP_2)
	v_add_f64 v[1:2], v[1:2], v[15:16]
	s_and_not1_b32 exec_lo, exec_lo, s3
	s_cbranch_execnz .LBB104_97
; %bb.98:
	s_or_b32 exec_lo, exec_lo, s3
	v_mov_b32_e32 v7, 0
	ds_load_b128 v[7:10], v7 offset:336
	s_waitcnt lgkmcnt(0)
	v_mul_f64 v[11:12], v[1:2], v[9:10]
	v_mul_f64 v[15:16], v[3:4], v[9:10]
	s_delay_alu instid0(VALU_DEP_2) | instskip(NEXT) | instid1(VALU_DEP_2)
	v_fma_f64 v[9:10], v[3:4], v[7:8], -v[11:12]
	v_fma_f64 v[11:12], v[1:2], v[7:8], v[15:16]
	scratch_store_b128 off, v[9:12], off offset:336
.LBB104_99:
	s_or_b32 exec_lo, exec_lo, s2
	s_waitcnt_vscnt null, 0x0
	s_barrier
	buffer_gl0_inv
	scratch_load_b128 v[1:4], v147, off
	s_mov_b32 s2, exec_lo
	s_waitcnt vmcnt(0)
	ds_store_b128 v5, v[1:4]
	s_waitcnt lgkmcnt(0)
	s_barrier
	buffer_gl0_inv
	v_cmpx_gt_u32_e32 22, v124
	s_cbranch_execz .LBB104_103
; %bb.100:
	v_dual_mov_b32 v1, 0 :: v_dual_add_nc_u32 v8, 0x290, v13
	v_dual_mov_b32 v2, 0 :: v_dual_add_nc_u32 v7, -1, v124
	v_or_b32_e32 v9, 8, v14
	s_mov_b32 s3, 0
	s_delay_alu instid0(VALU_DEP_2)
	v_dual_mov_b32 v4, v2 :: v_dual_mov_b32 v3, v1
	.p2align	6
.LBB104_101:                            ; =>This Inner Loop Header: Depth=1
	scratch_load_b128 v[15:18], v9, off offset:-8
	ds_load_b128 v[19:22], v8
	v_add_nc_u32_e32 v7, 1, v7
	v_add_nc_u32_e32 v8, 16, v8
	v_add_nc_u32_e32 v9, 16, v9
	s_delay_alu instid0(VALU_DEP_3) | instskip(SKIP_4) | instid1(VALU_DEP_2)
	v_cmp_lt_u32_e32 vcc_lo, 20, v7
	s_or_b32 s3, vcc_lo, s3
	s_waitcnt vmcnt(0) lgkmcnt(0)
	v_mul_f64 v[10:11], v[21:22], v[17:18]
	v_mul_f64 v[17:18], v[19:20], v[17:18]
	v_fma_f64 v[10:11], v[19:20], v[15:16], -v[10:11]
	s_delay_alu instid0(VALU_DEP_2) | instskip(NEXT) | instid1(VALU_DEP_2)
	v_fma_f64 v[15:16], v[21:22], v[15:16], v[17:18]
	v_add_f64 v[3:4], v[3:4], v[10:11]
	s_delay_alu instid0(VALU_DEP_2)
	v_add_f64 v[1:2], v[1:2], v[15:16]
	s_and_not1_b32 exec_lo, exec_lo, s3
	s_cbranch_execnz .LBB104_101
; %bb.102:
	s_or_b32 exec_lo, exec_lo, s3
	v_mov_b32_e32 v7, 0
	ds_load_b128 v[7:10], v7 offset:352
	s_waitcnt lgkmcnt(0)
	v_mul_f64 v[11:12], v[1:2], v[9:10]
	v_mul_f64 v[15:16], v[3:4], v[9:10]
	s_delay_alu instid0(VALU_DEP_2) | instskip(NEXT) | instid1(VALU_DEP_2)
	v_fma_f64 v[9:10], v[3:4], v[7:8], -v[11:12]
	v_fma_f64 v[11:12], v[1:2], v[7:8], v[15:16]
	scratch_store_b128 off, v[9:12], off offset:352
.LBB104_103:
	s_or_b32 exec_lo, exec_lo, s2
	s_waitcnt_vscnt null, 0x0
	s_barrier
	buffer_gl0_inv
	scratch_load_b128 v[1:4], v142, off
	s_mov_b32 s2, exec_lo
	s_waitcnt vmcnt(0)
	ds_store_b128 v5, v[1:4]
	s_waitcnt lgkmcnt(0)
	s_barrier
	buffer_gl0_inv
	v_cmpx_gt_u32_e32 23, v124
	s_cbranch_execz .LBB104_107
; %bb.104:
	v_dual_mov_b32 v1, 0 :: v_dual_add_nc_u32 v8, 0x290, v13
	v_dual_mov_b32 v2, 0 :: v_dual_add_nc_u32 v7, -1, v124
	v_or_b32_e32 v9, 8, v14
	s_mov_b32 s3, 0
	s_delay_alu instid0(VALU_DEP_2)
	v_dual_mov_b32 v4, v2 :: v_dual_mov_b32 v3, v1
	.p2align	6
.LBB104_105:                            ; =>This Inner Loop Header: Depth=1
	scratch_load_b128 v[15:18], v9, off offset:-8
	ds_load_b128 v[19:22], v8
	v_add_nc_u32_e32 v7, 1, v7
	v_add_nc_u32_e32 v8, 16, v8
	;; [unrolled: 1-line block ×3, first 2 shown]
	s_delay_alu instid0(VALU_DEP_3) | instskip(SKIP_4) | instid1(VALU_DEP_2)
	v_cmp_lt_u32_e32 vcc_lo, 21, v7
	s_or_b32 s3, vcc_lo, s3
	s_waitcnt vmcnt(0) lgkmcnt(0)
	v_mul_f64 v[10:11], v[21:22], v[17:18]
	v_mul_f64 v[17:18], v[19:20], v[17:18]
	v_fma_f64 v[10:11], v[19:20], v[15:16], -v[10:11]
	s_delay_alu instid0(VALU_DEP_2) | instskip(NEXT) | instid1(VALU_DEP_2)
	v_fma_f64 v[15:16], v[21:22], v[15:16], v[17:18]
	v_add_f64 v[3:4], v[3:4], v[10:11]
	s_delay_alu instid0(VALU_DEP_2)
	v_add_f64 v[1:2], v[1:2], v[15:16]
	s_and_not1_b32 exec_lo, exec_lo, s3
	s_cbranch_execnz .LBB104_105
; %bb.106:
	s_or_b32 exec_lo, exec_lo, s3
	v_mov_b32_e32 v7, 0
	ds_load_b128 v[7:10], v7 offset:368
	s_waitcnt lgkmcnt(0)
	v_mul_f64 v[11:12], v[1:2], v[9:10]
	v_mul_f64 v[15:16], v[3:4], v[9:10]
	s_delay_alu instid0(VALU_DEP_2) | instskip(NEXT) | instid1(VALU_DEP_2)
	v_fma_f64 v[9:10], v[3:4], v[7:8], -v[11:12]
	v_fma_f64 v[11:12], v[1:2], v[7:8], v[15:16]
	scratch_store_b128 off, v[9:12], off offset:368
.LBB104_107:
	s_or_b32 exec_lo, exec_lo, s2
	s_waitcnt_vscnt null, 0x0
	s_barrier
	buffer_gl0_inv
	scratch_load_b128 v[1:4], v141, off
	s_mov_b32 s2, exec_lo
	s_waitcnt vmcnt(0)
	ds_store_b128 v5, v[1:4]
	s_waitcnt lgkmcnt(0)
	s_barrier
	buffer_gl0_inv
	v_cmpx_gt_u32_e32 24, v124
	s_cbranch_execz .LBB104_111
; %bb.108:
	v_dual_mov_b32 v1, 0 :: v_dual_add_nc_u32 v8, 0x290, v13
	v_dual_mov_b32 v2, 0 :: v_dual_add_nc_u32 v7, -1, v124
	v_or_b32_e32 v9, 8, v14
	s_mov_b32 s3, 0
	s_delay_alu instid0(VALU_DEP_2)
	v_dual_mov_b32 v4, v2 :: v_dual_mov_b32 v3, v1
	.p2align	6
.LBB104_109:                            ; =>This Inner Loop Header: Depth=1
	scratch_load_b128 v[15:18], v9, off offset:-8
	ds_load_b128 v[19:22], v8
	v_add_nc_u32_e32 v7, 1, v7
	v_add_nc_u32_e32 v8, 16, v8
	v_add_nc_u32_e32 v9, 16, v9
	s_delay_alu instid0(VALU_DEP_3) | instskip(SKIP_4) | instid1(VALU_DEP_2)
	v_cmp_lt_u32_e32 vcc_lo, 22, v7
	s_or_b32 s3, vcc_lo, s3
	s_waitcnt vmcnt(0) lgkmcnt(0)
	v_mul_f64 v[10:11], v[21:22], v[17:18]
	v_mul_f64 v[17:18], v[19:20], v[17:18]
	v_fma_f64 v[10:11], v[19:20], v[15:16], -v[10:11]
	s_delay_alu instid0(VALU_DEP_2) | instskip(NEXT) | instid1(VALU_DEP_2)
	v_fma_f64 v[15:16], v[21:22], v[15:16], v[17:18]
	v_add_f64 v[3:4], v[3:4], v[10:11]
	s_delay_alu instid0(VALU_DEP_2)
	v_add_f64 v[1:2], v[1:2], v[15:16]
	s_and_not1_b32 exec_lo, exec_lo, s3
	s_cbranch_execnz .LBB104_109
; %bb.110:
	s_or_b32 exec_lo, exec_lo, s3
	v_mov_b32_e32 v7, 0
	ds_load_b128 v[7:10], v7 offset:384
	s_waitcnt lgkmcnt(0)
	v_mul_f64 v[11:12], v[1:2], v[9:10]
	v_mul_f64 v[15:16], v[3:4], v[9:10]
	s_delay_alu instid0(VALU_DEP_2) | instskip(NEXT) | instid1(VALU_DEP_2)
	v_fma_f64 v[9:10], v[3:4], v[7:8], -v[11:12]
	v_fma_f64 v[11:12], v[1:2], v[7:8], v[15:16]
	scratch_store_b128 off, v[9:12], off offset:384
.LBB104_111:
	s_or_b32 exec_lo, exec_lo, s2
	s_waitcnt_vscnt null, 0x0
	s_barrier
	buffer_gl0_inv
	scratch_load_b128 v[1:4], v139, off
	s_mov_b32 s2, exec_lo
	s_waitcnt vmcnt(0)
	ds_store_b128 v5, v[1:4]
	s_waitcnt lgkmcnt(0)
	s_barrier
	buffer_gl0_inv
	v_cmpx_gt_u32_e32 25, v124
	s_cbranch_execz .LBB104_115
; %bb.112:
	v_dual_mov_b32 v1, 0 :: v_dual_add_nc_u32 v8, 0x290, v13
	v_dual_mov_b32 v2, 0 :: v_dual_add_nc_u32 v7, -1, v124
	v_or_b32_e32 v9, 8, v14
	s_mov_b32 s3, 0
	s_delay_alu instid0(VALU_DEP_2)
	v_dual_mov_b32 v4, v2 :: v_dual_mov_b32 v3, v1
	.p2align	6
.LBB104_113:                            ; =>This Inner Loop Header: Depth=1
	scratch_load_b128 v[15:18], v9, off offset:-8
	ds_load_b128 v[19:22], v8
	v_add_nc_u32_e32 v7, 1, v7
	v_add_nc_u32_e32 v8, 16, v8
	;; [unrolled: 1-line block ×3, first 2 shown]
	s_delay_alu instid0(VALU_DEP_3) | instskip(SKIP_4) | instid1(VALU_DEP_2)
	v_cmp_lt_u32_e32 vcc_lo, 23, v7
	s_or_b32 s3, vcc_lo, s3
	s_waitcnt vmcnt(0) lgkmcnt(0)
	v_mul_f64 v[10:11], v[21:22], v[17:18]
	v_mul_f64 v[17:18], v[19:20], v[17:18]
	v_fma_f64 v[10:11], v[19:20], v[15:16], -v[10:11]
	s_delay_alu instid0(VALU_DEP_2) | instskip(NEXT) | instid1(VALU_DEP_2)
	v_fma_f64 v[15:16], v[21:22], v[15:16], v[17:18]
	v_add_f64 v[3:4], v[3:4], v[10:11]
	s_delay_alu instid0(VALU_DEP_2)
	v_add_f64 v[1:2], v[1:2], v[15:16]
	s_and_not1_b32 exec_lo, exec_lo, s3
	s_cbranch_execnz .LBB104_113
; %bb.114:
	s_or_b32 exec_lo, exec_lo, s3
	v_mov_b32_e32 v7, 0
	ds_load_b128 v[7:10], v7 offset:400
	s_waitcnt lgkmcnt(0)
	v_mul_f64 v[11:12], v[1:2], v[9:10]
	v_mul_f64 v[15:16], v[3:4], v[9:10]
	s_delay_alu instid0(VALU_DEP_2) | instskip(NEXT) | instid1(VALU_DEP_2)
	v_fma_f64 v[9:10], v[3:4], v[7:8], -v[11:12]
	v_fma_f64 v[11:12], v[1:2], v[7:8], v[15:16]
	scratch_store_b128 off, v[9:12], off offset:400
.LBB104_115:
	s_or_b32 exec_lo, exec_lo, s2
	s_waitcnt_vscnt null, 0x0
	s_barrier
	buffer_gl0_inv
	scratch_load_b128 v[1:4], v138, off
	s_mov_b32 s2, exec_lo
	s_waitcnt vmcnt(0)
	ds_store_b128 v5, v[1:4]
	s_waitcnt lgkmcnt(0)
	s_barrier
	buffer_gl0_inv
	v_cmpx_gt_u32_e32 26, v124
	s_cbranch_execz .LBB104_119
; %bb.116:
	v_dual_mov_b32 v1, 0 :: v_dual_add_nc_u32 v8, 0x290, v13
	v_dual_mov_b32 v2, 0 :: v_dual_add_nc_u32 v7, -1, v124
	v_or_b32_e32 v9, 8, v14
	s_mov_b32 s3, 0
	s_delay_alu instid0(VALU_DEP_2)
	v_dual_mov_b32 v4, v2 :: v_dual_mov_b32 v3, v1
	.p2align	6
.LBB104_117:                            ; =>This Inner Loop Header: Depth=1
	scratch_load_b128 v[15:18], v9, off offset:-8
	ds_load_b128 v[19:22], v8
	v_add_nc_u32_e32 v7, 1, v7
	v_add_nc_u32_e32 v8, 16, v8
	v_add_nc_u32_e32 v9, 16, v9
	s_delay_alu instid0(VALU_DEP_3) | instskip(SKIP_4) | instid1(VALU_DEP_2)
	v_cmp_lt_u32_e32 vcc_lo, 24, v7
	s_or_b32 s3, vcc_lo, s3
	s_waitcnt vmcnt(0) lgkmcnt(0)
	v_mul_f64 v[10:11], v[21:22], v[17:18]
	v_mul_f64 v[17:18], v[19:20], v[17:18]
	v_fma_f64 v[10:11], v[19:20], v[15:16], -v[10:11]
	s_delay_alu instid0(VALU_DEP_2) | instskip(NEXT) | instid1(VALU_DEP_2)
	v_fma_f64 v[15:16], v[21:22], v[15:16], v[17:18]
	v_add_f64 v[3:4], v[3:4], v[10:11]
	s_delay_alu instid0(VALU_DEP_2)
	v_add_f64 v[1:2], v[1:2], v[15:16]
	s_and_not1_b32 exec_lo, exec_lo, s3
	s_cbranch_execnz .LBB104_117
; %bb.118:
	s_or_b32 exec_lo, exec_lo, s3
	v_mov_b32_e32 v7, 0
	ds_load_b128 v[7:10], v7 offset:416
	s_waitcnt lgkmcnt(0)
	v_mul_f64 v[11:12], v[1:2], v[9:10]
	v_mul_f64 v[15:16], v[3:4], v[9:10]
	s_delay_alu instid0(VALU_DEP_2) | instskip(NEXT) | instid1(VALU_DEP_2)
	v_fma_f64 v[9:10], v[3:4], v[7:8], -v[11:12]
	v_fma_f64 v[11:12], v[1:2], v[7:8], v[15:16]
	scratch_store_b128 off, v[9:12], off offset:416
.LBB104_119:
	s_or_b32 exec_lo, exec_lo, s2
	s_waitcnt_vscnt null, 0x0
	s_barrier
	buffer_gl0_inv
	scratch_load_b128 v[1:4], v133, off
	s_mov_b32 s2, exec_lo
	s_waitcnt vmcnt(0)
	ds_store_b128 v5, v[1:4]
	s_waitcnt lgkmcnt(0)
	s_barrier
	buffer_gl0_inv
	v_cmpx_gt_u32_e32 27, v124
	s_cbranch_execz .LBB104_123
; %bb.120:
	v_dual_mov_b32 v1, 0 :: v_dual_add_nc_u32 v8, 0x290, v13
	v_dual_mov_b32 v2, 0 :: v_dual_add_nc_u32 v7, -1, v124
	v_or_b32_e32 v9, 8, v14
	s_mov_b32 s3, 0
	s_delay_alu instid0(VALU_DEP_2)
	v_dual_mov_b32 v4, v2 :: v_dual_mov_b32 v3, v1
	.p2align	6
.LBB104_121:                            ; =>This Inner Loop Header: Depth=1
	scratch_load_b128 v[15:18], v9, off offset:-8
	ds_load_b128 v[19:22], v8
	v_add_nc_u32_e32 v7, 1, v7
	v_add_nc_u32_e32 v8, 16, v8
	;; [unrolled: 1-line block ×3, first 2 shown]
	s_delay_alu instid0(VALU_DEP_3) | instskip(SKIP_4) | instid1(VALU_DEP_2)
	v_cmp_lt_u32_e32 vcc_lo, 25, v7
	s_or_b32 s3, vcc_lo, s3
	s_waitcnt vmcnt(0) lgkmcnt(0)
	v_mul_f64 v[10:11], v[21:22], v[17:18]
	v_mul_f64 v[17:18], v[19:20], v[17:18]
	v_fma_f64 v[10:11], v[19:20], v[15:16], -v[10:11]
	s_delay_alu instid0(VALU_DEP_2) | instskip(NEXT) | instid1(VALU_DEP_2)
	v_fma_f64 v[15:16], v[21:22], v[15:16], v[17:18]
	v_add_f64 v[3:4], v[3:4], v[10:11]
	s_delay_alu instid0(VALU_DEP_2)
	v_add_f64 v[1:2], v[1:2], v[15:16]
	s_and_not1_b32 exec_lo, exec_lo, s3
	s_cbranch_execnz .LBB104_121
; %bb.122:
	s_or_b32 exec_lo, exec_lo, s3
	v_mov_b32_e32 v7, 0
	ds_load_b128 v[7:10], v7 offset:432
	s_waitcnt lgkmcnt(0)
	v_mul_f64 v[11:12], v[1:2], v[9:10]
	v_mul_f64 v[15:16], v[3:4], v[9:10]
	s_delay_alu instid0(VALU_DEP_2) | instskip(NEXT) | instid1(VALU_DEP_2)
	v_fma_f64 v[9:10], v[3:4], v[7:8], -v[11:12]
	v_fma_f64 v[11:12], v[1:2], v[7:8], v[15:16]
	scratch_store_b128 off, v[9:12], off offset:432
.LBB104_123:
	s_or_b32 exec_lo, exec_lo, s2
	s_waitcnt_vscnt null, 0x0
	s_barrier
	buffer_gl0_inv
	scratch_load_b128 v[1:4], v132, off
	s_mov_b32 s2, exec_lo
	s_waitcnt vmcnt(0)
	ds_store_b128 v5, v[1:4]
	s_waitcnt lgkmcnt(0)
	s_barrier
	buffer_gl0_inv
	v_cmpx_gt_u32_e32 28, v124
	s_cbranch_execz .LBB104_127
; %bb.124:
	v_dual_mov_b32 v1, 0 :: v_dual_add_nc_u32 v8, 0x290, v13
	v_dual_mov_b32 v2, 0 :: v_dual_add_nc_u32 v7, -1, v124
	v_or_b32_e32 v9, 8, v14
	s_mov_b32 s3, 0
	s_delay_alu instid0(VALU_DEP_2)
	v_dual_mov_b32 v4, v2 :: v_dual_mov_b32 v3, v1
	.p2align	6
.LBB104_125:                            ; =>This Inner Loop Header: Depth=1
	scratch_load_b128 v[15:18], v9, off offset:-8
	ds_load_b128 v[19:22], v8
	v_add_nc_u32_e32 v7, 1, v7
	v_add_nc_u32_e32 v8, 16, v8
	;; [unrolled: 1-line block ×3, first 2 shown]
	s_delay_alu instid0(VALU_DEP_3) | instskip(SKIP_4) | instid1(VALU_DEP_2)
	v_cmp_lt_u32_e32 vcc_lo, 26, v7
	s_or_b32 s3, vcc_lo, s3
	s_waitcnt vmcnt(0) lgkmcnt(0)
	v_mul_f64 v[10:11], v[21:22], v[17:18]
	v_mul_f64 v[17:18], v[19:20], v[17:18]
	v_fma_f64 v[10:11], v[19:20], v[15:16], -v[10:11]
	s_delay_alu instid0(VALU_DEP_2) | instskip(NEXT) | instid1(VALU_DEP_2)
	v_fma_f64 v[15:16], v[21:22], v[15:16], v[17:18]
	v_add_f64 v[3:4], v[3:4], v[10:11]
	s_delay_alu instid0(VALU_DEP_2)
	v_add_f64 v[1:2], v[1:2], v[15:16]
	s_and_not1_b32 exec_lo, exec_lo, s3
	s_cbranch_execnz .LBB104_125
; %bb.126:
	s_or_b32 exec_lo, exec_lo, s3
	v_mov_b32_e32 v7, 0
	ds_load_b128 v[7:10], v7 offset:448
	s_waitcnt lgkmcnt(0)
	v_mul_f64 v[11:12], v[1:2], v[9:10]
	v_mul_f64 v[15:16], v[3:4], v[9:10]
	s_delay_alu instid0(VALU_DEP_2) | instskip(NEXT) | instid1(VALU_DEP_2)
	v_fma_f64 v[9:10], v[3:4], v[7:8], -v[11:12]
	v_fma_f64 v[11:12], v[1:2], v[7:8], v[15:16]
	scratch_store_b128 off, v[9:12], off offset:448
.LBB104_127:
	s_or_b32 exec_lo, exec_lo, s2
	s_waitcnt_vscnt null, 0x0
	s_barrier
	buffer_gl0_inv
	scratch_load_b128 v[1:4], v125, off
	s_mov_b32 s2, exec_lo
	s_waitcnt vmcnt(0)
	ds_store_b128 v5, v[1:4]
	s_waitcnt lgkmcnt(0)
	s_barrier
	buffer_gl0_inv
	v_cmpx_gt_u32_e32 29, v124
	s_cbranch_execz .LBB104_131
; %bb.128:
	v_dual_mov_b32 v1, 0 :: v_dual_add_nc_u32 v8, 0x290, v13
	v_dual_mov_b32 v2, 0 :: v_dual_add_nc_u32 v7, -1, v124
	v_or_b32_e32 v9, 8, v14
	s_mov_b32 s3, 0
	s_delay_alu instid0(VALU_DEP_2)
	v_dual_mov_b32 v4, v2 :: v_dual_mov_b32 v3, v1
	.p2align	6
.LBB104_129:                            ; =>This Inner Loop Header: Depth=1
	scratch_load_b128 v[15:18], v9, off offset:-8
	ds_load_b128 v[19:22], v8
	v_add_nc_u32_e32 v7, 1, v7
	v_add_nc_u32_e32 v8, 16, v8
	;; [unrolled: 1-line block ×3, first 2 shown]
	s_delay_alu instid0(VALU_DEP_3) | instskip(SKIP_4) | instid1(VALU_DEP_2)
	v_cmp_lt_u32_e32 vcc_lo, 27, v7
	s_or_b32 s3, vcc_lo, s3
	s_waitcnt vmcnt(0) lgkmcnt(0)
	v_mul_f64 v[10:11], v[21:22], v[17:18]
	v_mul_f64 v[17:18], v[19:20], v[17:18]
	v_fma_f64 v[10:11], v[19:20], v[15:16], -v[10:11]
	s_delay_alu instid0(VALU_DEP_2) | instskip(NEXT) | instid1(VALU_DEP_2)
	v_fma_f64 v[15:16], v[21:22], v[15:16], v[17:18]
	v_add_f64 v[3:4], v[3:4], v[10:11]
	s_delay_alu instid0(VALU_DEP_2)
	v_add_f64 v[1:2], v[1:2], v[15:16]
	s_and_not1_b32 exec_lo, exec_lo, s3
	s_cbranch_execnz .LBB104_129
; %bb.130:
	s_or_b32 exec_lo, exec_lo, s3
	v_mov_b32_e32 v7, 0
	ds_load_b128 v[7:10], v7 offset:464
	s_waitcnt lgkmcnt(0)
	v_mul_f64 v[11:12], v[1:2], v[9:10]
	v_mul_f64 v[15:16], v[3:4], v[9:10]
	s_delay_alu instid0(VALU_DEP_2) | instskip(NEXT) | instid1(VALU_DEP_2)
	v_fma_f64 v[9:10], v[3:4], v[7:8], -v[11:12]
	v_fma_f64 v[11:12], v[1:2], v[7:8], v[15:16]
	scratch_store_b128 off, v[9:12], off offset:464
.LBB104_131:
	s_or_b32 exec_lo, exec_lo, s2
	s_waitcnt_vscnt null, 0x0
	s_barrier
	buffer_gl0_inv
	scratch_load_b128 v[1:4], v140, off
	s_mov_b32 s2, exec_lo
	s_waitcnt vmcnt(0)
	ds_store_b128 v5, v[1:4]
	s_waitcnt lgkmcnt(0)
	s_barrier
	buffer_gl0_inv
	v_cmpx_gt_u32_e32 30, v124
	s_cbranch_execz .LBB104_135
; %bb.132:
	v_dual_mov_b32 v1, 0 :: v_dual_add_nc_u32 v8, 0x290, v13
	v_dual_mov_b32 v2, 0 :: v_dual_add_nc_u32 v7, -1, v124
	v_or_b32_e32 v9, 8, v14
	s_mov_b32 s3, 0
	s_delay_alu instid0(VALU_DEP_2)
	v_dual_mov_b32 v4, v2 :: v_dual_mov_b32 v3, v1
	.p2align	6
.LBB104_133:                            ; =>This Inner Loop Header: Depth=1
	scratch_load_b128 v[15:18], v9, off offset:-8
	ds_load_b128 v[19:22], v8
	v_add_nc_u32_e32 v7, 1, v7
	v_add_nc_u32_e32 v8, 16, v8
	;; [unrolled: 1-line block ×3, first 2 shown]
	s_delay_alu instid0(VALU_DEP_3) | instskip(SKIP_4) | instid1(VALU_DEP_2)
	v_cmp_lt_u32_e32 vcc_lo, 28, v7
	s_or_b32 s3, vcc_lo, s3
	s_waitcnt vmcnt(0) lgkmcnt(0)
	v_mul_f64 v[10:11], v[21:22], v[17:18]
	v_mul_f64 v[17:18], v[19:20], v[17:18]
	v_fma_f64 v[10:11], v[19:20], v[15:16], -v[10:11]
	s_delay_alu instid0(VALU_DEP_2) | instskip(NEXT) | instid1(VALU_DEP_2)
	v_fma_f64 v[15:16], v[21:22], v[15:16], v[17:18]
	v_add_f64 v[3:4], v[3:4], v[10:11]
	s_delay_alu instid0(VALU_DEP_2)
	v_add_f64 v[1:2], v[1:2], v[15:16]
	s_and_not1_b32 exec_lo, exec_lo, s3
	s_cbranch_execnz .LBB104_133
; %bb.134:
	s_or_b32 exec_lo, exec_lo, s3
	v_mov_b32_e32 v7, 0
	ds_load_b128 v[7:10], v7 offset:480
	s_waitcnt lgkmcnt(0)
	v_mul_f64 v[11:12], v[1:2], v[9:10]
	v_mul_f64 v[15:16], v[3:4], v[9:10]
	s_delay_alu instid0(VALU_DEP_2) | instskip(NEXT) | instid1(VALU_DEP_2)
	v_fma_f64 v[9:10], v[3:4], v[7:8], -v[11:12]
	v_fma_f64 v[11:12], v[1:2], v[7:8], v[15:16]
	scratch_store_b128 off, v[9:12], off offset:480
.LBB104_135:
	s_or_b32 exec_lo, exec_lo, s2
	s_waitcnt_vscnt null, 0x0
	s_barrier
	buffer_gl0_inv
	scratch_load_b128 v[1:4], v137, off
	s_mov_b32 s2, exec_lo
	s_waitcnt vmcnt(0)
	ds_store_b128 v5, v[1:4]
	s_waitcnt lgkmcnt(0)
	s_barrier
	buffer_gl0_inv
	v_cmpx_gt_u32_e32 31, v124
	s_cbranch_execz .LBB104_139
; %bb.136:
	v_dual_mov_b32 v1, 0 :: v_dual_add_nc_u32 v8, 0x290, v13
	v_dual_mov_b32 v2, 0 :: v_dual_add_nc_u32 v7, -1, v124
	v_or_b32_e32 v9, 8, v14
	s_mov_b32 s3, 0
	s_delay_alu instid0(VALU_DEP_2)
	v_dual_mov_b32 v4, v2 :: v_dual_mov_b32 v3, v1
	.p2align	6
.LBB104_137:                            ; =>This Inner Loop Header: Depth=1
	scratch_load_b128 v[15:18], v9, off offset:-8
	ds_load_b128 v[19:22], v8
	v_add_nc_u32_e32 v7, 1, v7
	v_add_nc_u32_e32 v8, 16, v8
	;; [unrolled: 1-line block ×3, first 2 shown]
	s_delay_alu instid0(VALU_DEP_3) | instskip(SKIP_4) | instid1(VALU_DEP_2)
	v_cmp_lt_u32_e32 vcc_lo, 29, v7
	s_or_b32 s3, vcc_lo, s3
	s_waitcnt vmcnt(0) lgkmcnt(0)
	v_mul_f64 v[10:11], v[21:22], v[17:18]
	v_mul_f64 v[17:18], v[19:20], v[17:18]
	v_fma_f64 v[10:11], v[19:20], v[15:16], -v[10:11]
	s_delay_alu instid0(VALU_DEP_2) | instskip(NEXT) | instid1(VALU_DEP_2)
	v_fma_f64 v[15:16], v[21:22], v[15:16], v[17:18]
	v_add_f64 v[3:4], v[3:4], v[10:11]
	s_delay_alu instid0(VALU_DEP_2)
	v_add_f64 v[1:2], v[1:2], v[15:16]
	s_and_not1_b32 exec_lo, exec_lo, s3
	s_cbranch_execnz .LBB104_137
; %bb.138:
	s_or_b32 exec_lo, exec_lo, s3
	v_mov_b32_e32 v7, 0
	ds_load_b128 v[7:10], v7 offset:496
	s_waitcnt lgkmcnt(0)
	v_mul_f64 v[11:12], v[1:2], v[9:10]
	v_mul_f64 v[15:16], v[3:4], v[9:10]
	s_delay_alu instid0(VALU_DEP_2) | instskip(NEXT) | instid1(VALU_DEP_2)
	v_fma_f64 v[9:10], v[3:4], v[7:8], -v[11:12]
	v_fma_f64 v[11:12], v[1:2], v[7:8], v[15:16]
	scratch_store_b128 off, v[9:12], off offset:496
.LBB104_139:
	s_or_b32 exec_lo, exec_lo, s2
	s_waitcnt_vscnt null, 0x0
	s_barrier
	buffer_gl0_inv
	scratch_load_b128 v[1:4], v136, off
	s_mov_b32 s2, exec_lo
	s_waitcnt vmcnt(0)
	ds_store_b128 v5, v[1:4]
	s_waitcnt lgkmcnt(0)
	s_barrier
	buffer_gl0_inv
	v_cmpx_gt_u32_e32 32, v124
	s_cbranch_execz .LBB104_143
; %bb.140:
	v_dual_mov_b32 v1, 0 :: v_dual_add_nc_u32 v8, 0x290, v13
	v_dual_mov_b32 v2, 0 :: v_dual_add_nc_u32 v7, -1, v124
	v_or_b32_e32 v9, 8, v14
	s_mov_b32 s3, 0
	s_delay_alu instid0(VALU_DEP_2)
	v_dual_mov_b32 v4, v2 :: v_dual_mov_b32 v3, v1
	.p2align	6
.LBB104_141:                            ; =>This Inner Loop Header: Depth=1
	scratch_load_b128 v[15:18], v9, off offset:-8
	ds_load_b128 v[19:22], v8
	v_add_nc_u32_e32 v7, 1, v7
	v_add_nc_u32_e32 v8, 16, v8
	;; [unrolled: 1-line block ×3, first 2 shown]
	s_delay_alu instid0(VALU_DEP_3) | instskip(SKIP_4) | instid1(VALU_DEP_2)
	v_cmp_lt_u32_e32 vcc_lo, 30, v7
	s_or_b32 s3, vcc_lo, s3
	s_waitcnt vmcnt(0) lgkmcnt(0)
	v_mul_f64 v[10:11], v[21:22], v[17:18]
	v_mul_f64 v[17:18], v[19:20], v[17:18]
	v_fma_f64 v[10:11], v[19:20], v[15:16], -v[10:11]
	s_delay_alu instid0(VALU_DEP_2) | instskip(NEXT) | instid1(VALU_DEP_2)
	v_fma_f64 v[15:16], v[21:22], v[15:16], v[17:18]
	v_add_f64 v[3:4], v[3:4], v[10:11]
	s_delay_alu instid0(VALU_DEP_2)
	v_add_f64 v[1:2], v[1:2], v[15:16]
	s_and_not1_b32 exec_lo, exec_lo, s3
	s_cbranch_execnz .LBB104_141
; %bb.142:
	s_or_b32 exec_lo, exec_lo, s3
	v_mov_b32_e32 v7, 0
	ds_load_b128 v[7:10], v7 offset:512
	s_waitcnt lgkmcnt(0)
	v_mul_f64 v[11:12], v[1:2], v[9:10]
	v_mul_f64 v[15:16], v[3:4], v[9:10]
	s_delay_alu instid0(VALU_DEP_2) | instskip(NEXT) | instid1(VALU_DEP_2)
	v_fma_f64 v[9:10], v[3:4], v[7:8], -v[11:12]
	v_fma_f64 v[11:12], v[1:2], v[7:8], v[15:16]
	scratch_store_b128 off, v[9:12], off offset:512
.LBB104_143:
	s_or_b32 exec_lo, exec_lo, s2
	s_waitcnt_vscnt null, 0x0
	s_barrier
	buffer_gl0_inv
	scratch_load_b128 v[1:4], v135, off
	s_mov_b32 s2, exec_lo
	s_waitcnt vmcnt(0)
	ds_store_b128 v5, v[1:4]
	s_waitcnt lgkmcnt(0)
	s_barrier
	buffer_gl0_inv
	v_cmpx_gt_u32_e32 33, v124
	s_cbranch_execz .LBB104_147
; %bb.144:
	v_dual_mov_b32 v1, 0 :: v_dual_add_nc_u32 v8, 0x290, v13
	v_dual_mov_b32 v2, 0 :: v_dual_add_nc_u32 v7, -1, v124
	v_or_b32_e32 v9, 8, v14
	s_mov_b32 s3, 0
	s_delay_alu instid0(VALU_DEP_2)
	v_dual_mov_b32 v4, v2 :: v_dual_mov_b32 v3, v1
	.p2align	6
.LBB104_145:                            ; =>This Inner Loop Header: Depth=1
	scratch_load_b128 v[15:18], v9, off offset:-8
	ds_load_b128 v[19:22], v8
	v_add_nc_u32_e32 v7, 1, v7
	v_add_nc_u32_e32 v8, 16, v8
	;; [unrolled: 1-line block ×3, first 2 shown]
	s_delay_alu instid0(VALU_DEP_3) | instskip(SKIP_4) | instid1(VALU_DEP_2)
	v_cmp_lt_u32_e32 vcc_lo, 31, v7
	s_or_b32 s3, vcc_lo, s3
	s_waitcnt vmcnt(0) lgkmcnt(0)
	v_mul_f64 v[10:11], v[21:22], v[17:18]
	v_mul_f64 v[17:18], v[19:20], v[17:18]
	v_fma_f64 v[10:11], v[19:20], v[15:16], -v[10:11]
	s_delay_alu instid0(VALU_DEP_2) | instskip(NEXT) | instid1(VALU_DEP_2)
	v_fma_f64 v[15:16], v[21:22], v[15:16], v[17:18]
	v_add_f64 v[3:4], v[3:4], v[10:11]
	s_delay_alu instid0(VALU_DEP_2)
	v_add_f64 v[1:2], v[1:2], v[15:16]
	s_and_not1_b32 exec_lo, exec_lo, s3
	s_cbranch_execnz .LBB104_145
; %bb.146:
	s_or_b32 exec_lo, exec_lo, s3
	v_mov_b32_e32 v7, 0
	ds_load_b128 v[7:10], v7 offset:528
	s_waitcnt lgkmcnt(0)
	v_mul_f64 v[11:12], v[1:2], v[9:10]
	v_mul_f64 v[15:16], v[3:4], v[9:10]
	s_delay_alu instid0(VALU_DEP_2) | instskip(NEXT) | instid1(VALU_DEP_2)
	v_fma_f64 v[9:10], v[3:4], v[7:8], -v[11:12]
	v_fma_f64 v[11:12], v[1:2], v[7:8], v[15:16]
	scratch_store_b128 off, v[9:12], off offset:528
.LBB104_147:
	s_or_b32 exec_lo, exec_lo, s2
	s_waitcnt_vscnt null, 0x0
	s_barrier
	buffer_gl0_inv
	scratch_load_b128 v[1:4], v134, off
	s_mov_b32 s2, exec_lo
	s_waitcnt vmcnt(0)
	ds_store_b128 v5, v[1:4]
	s_waitcnt lgkmcnt(0)
	s_barrier
	buffer_gl0_inv
	v_cmpx_gt_u32_e32 34, v124
	s_cbranch_execz .LBB104_151
; %bb.148:
	v_dual_mov_b32 v1, 0 :: v_dual_add_nc_u32 v8, 0x290, v13
	v_dual_mov_b32 v2, 0 :: v_dual_add_nc_u32 v7, -1, v124
	v_or_b32_e32 v9, 8, v14
	s_mov_b32 s3, 0
	s_delay_alu instid0(VALU_DEP_2)
	v_dual_mov_b32 v4, v2 :: v_dual_mov_b32 v3, v1
	.p2align	6
.LBB104_149:                            ; =>This Inner Loop Header: Depth=1
	scratch_load_b128 v[15:18], v9, off offset:-8
	ds_load_b128 v[19:22], v8
	v_add_nc_u32_e32 v7, 1, v7
	v_add_nc_u32_e32 v8, 16, v8
	;; [unrolled: 1-line block ×3, first 2 shown]
	s_delay_alu instid0(VALU_DEP_3) | instskip(SKIP_4) | instid1(VALU_DEP_2)
	v_cmp_lt_u32_e32 vcc_lo, 32, v7
	s_or_b32 s3, vcc_lo, s3
	s_waitcnt vmcnt(0) lgkmcnt(0)
	v_mul_f64 v[10:11], v[21:22], v[17:18]
	v_mul_f64 v[17:18], v[19:20], v[17:18]
	v_fma_f64 v[10:11], v[19:20], v[15:16], -v[10:11]
	s_delay_alu instid0(VALU_DEP_2) | instskip(NEXT) | instid1(VALU_DEP_2)
	v_fma_f64 v[15:16], v[21:22], v[15:16], v[17:18]
	v_add_f64 v[3:4], v[3:4], v[10:11]
	s_delay_alu instid0(VALU_DEP_2)
	v_add_f64 v[1:2], v[1:2], v[15:16]
	s_and_not1_b32 exec_lo, exec_lo, s3
	s_cbranch_execnz .LBB104_149
; %bb.150:
	s_or_b32 exec_lo, exec_lo, s3
	v_mov_b32_e32 v7, 0
	ds_load_b128 v[7:10], v7 offset:544
	s_waitcnt lgkmcnt(0)
	v_mul_f64 v[11:12], v[1:2], v[9:10]
	v_mul_f64 v[15:16], v[3:4], v[9:10]
	s_delay_alu instid0(VALU_DEP_2) | instskip(NEXT) | instid1(VALU_DEP_2)
	v_fma_f64 v[9:10], v[3:4], v[7:8], -v[11:12]
	v_fma_f64 v[11:12], v[1:2], v[7:8], v[15:16]
	scratch_store_b128 off, v[9:12], off offset:544
.LBB104_151:
	s_or_b32 exec_lo, exec_lo, s2
	s_waitcnt_vscnt null, 0x0
	s_barrier
	buffer_gl0_inv
	scratch_load_b128 v[1:4], v131, off
	s_mov_b32 s2, exec_lo
	s_waitcnt vmcnt(0)
	ds_store_b128 v5, v[1:4]
	s_waitcnt lgkmcnt(0)
	s_barrier
	buffer_gl0_inv
	v_cmpx_gt_u32_e32 35, v124
	s_cbranch_execz .LBB104_155
; %bb.152:
	v_dual_mov_b32 v1, 0 :: v_dual_add_nc_u32 v8, 0x290, v13
	v_dual_mov_b32 v2, 0 :: v_dual_add_nc_u32 v7, -1, v124
	v_or_b32_e32 v9, 8, v14
	s_mov_b32 s3, 0
	s_delay_alu instid0(VALU_DEP_2)
	v_dual_mov_b32 v4, v2 :: v_dual_mov_b32 v3, v1
	.p2align	6
.LBB104_153:                            ; =>This Inner Loop Header: Depth=1
	scratch_load_b128 v[15:18], v9, off offset:-8
	ds_load_b128 v[19:22], v8
	v_add_nc_u32_e32 v7, 1, v7
	v_add_nc_u32_e32 v8, 16, v8
	;; [unrolled: 1-line block ×3, first 2 shown]
	s_delay_alu instid0(VALU_DEP_3) | instskip(SKIP_4) | instid1(VALU_DEP_2)
	v_cmp_lt_u32_e32 vcc_lo, 33, v7
	s_or_b32 s3, vcc_lo, s3
	s_waitcnt vmcnt(0) lgkmcnt(0)
	v_mul_f64 v[10:11], v[21:22], v[17:18]
	v_mul_f64 v[17:18], v[19:20], v[17:18]
	v_fma_f64 v[10:11], v[19:20], v[15:16], -v[10:11]
	s_delay_alu instid0(VALU_DEP_2) | instskip(NEXT) | instid1(VALU_DEP_2)
	v_fma_f64 v[15:16], v[21:22], v[15:16], v[17:18]
	v_add_f64 v[3:4], v[3:4], v[10:11]
	s_delay_alu instid0(VALU_DEP_2)
	v_add_f64 v[1:2], v[1:2], v[15:16]
	s_and_not1_b32 exec_lo, exec_lo, s3
	s_cbranch_execnz .LBB104_153
; %bb.154:
	s_or_b32 exec_lo, exec_lo, s3
	v_mov_b32_e32 v7, 0
	ds_load_b128 v[7:10], v7 offset:560
	s_waitcnt lgkmcnt(0)
	v_mul_f64 v[11:12], v[1:2], v[9:10]
	v_mul_f64 v[15:16], v[3:4], v[9:10]
	s_delay_alu instid0(VALU_DEP_2) | instskip(NEXT) | instid1(VALU_DEP_2)
	v_fma_f64 v[9:10], v[3:4], v[7:8], -v[11:12]
	v_fma_f64 v[11:12], v[1:2], v[7:8], v[15:16]
	scratch_store_b128 off, v[9:12], off offset:560
.LBB104_155:
	s_or_b32 exec_lo, exec_lo, s2
	s_waitcnt_vscnt null, 0x0
	s_barrier
	buffer_gl0_inv
	scratch_load_b128 v[1:4], v130, off
	s_mov_b32 s2, exec_lo
	s_waitcnt vmcnt(0)
	ds_store_b128 v5, v[1:4]
	s_waitcnt lgkmcnt(0)
	s_barrier
	buffer_gl0_inv
	v_cmpx_gt_u32_e32 36, v124
	s_cbranch_execz .LBB104_159
; %bb.156:
	v_dual_mov_b32 v1, 0 :: v_dual_add_nc_u32 v8, 0x290, v13
	v_dual_mov_b32 v2, 0 :: v_dual_add_nc_u32 v7, -1, v124
	v_or_b32_e32 v9, 8, v14
	s_mov_b32 s3, 0
	s_delay_alu instid0(VALU_DEP_2)
	v_dual_mov_b32 v4, v2 :: v_dual_mov_b32 v3, v1
	.p2align	6
.LBB104_157:                            ; =>This Inner Loop Header: Depth=1
	scratch_load_b128 v[15:18], v9, off offset:-8
	ds_load_b128 v[19:22], v8
	v_add_nc_u32_e32 v7, 1, v7
	v_add_nc_u32_e32 v8, 16, v8
	;; [unrolled: 1-line block ×3, first 2 shown]
	s_delay_alu instid0(VALU_DEP_3) | instskip(SKIP_4) | instid1(VALU_DEP_2)
	v_cmp_lt_u32_e32 vcc_lo, 34, v7
	s_or_b32 s3, vcc_lo, s3
	s_waitcnt vmcnt(0) lgkmcnt(0)
	v_mul_f64 v[10:11], v[21:22], v[17:18]
	v_mul_f64 v[17:18], v[19:20], v[17:18]
	v_fma_f64 v[10:11], v[19:20], v[15:16], -v[10:11]
	s_delay_alu instid0(VALU_DEP_2) | instskip(NEXT) | instid1(VALU_DEP_2)
	v_fma_f64 v[15:16], v[21:22], v[15:16], v[17:18]
	v_add_f64 v[3:4], v[3:4], v[10:11]
	s_delay_alu instid0(VALU_DEP_2)
	v_add_f64 v[1:2], v[1:2], v[15:16]
	s_and_not1_b32 exec_lo, exec_lo, s3
	s_cbranch_execnz .LBB104_157
; %bb.158:
	s_or_b32 exec_lo, exec_lo, s3
	v_mov_b32_e32 v7, 0
	ds_load_b128 v[7:10], v7 offset:576
	s_waitcnt lgkmcnt(0)
	v_mul_f64 v[11:12], v[1:2], v[9:10]
	v_mul_f64 v[15:16], v[3:4], v[9:10]
	s_delay_alu instid0(VALU_DEP_2) | instskip(NEXT) | instid1(VALU_DEP_2)
	v_fma_f64 v[9:10], v[3:4], v[7:8], -v[11:12]
	v_fma_f64 v[11:12], v[1:2], v[7:8], v[15:16]
	scratch_store_b128 off, v[9:12], off offset:576
.LBB104_159:
	s_or_b32 exec_lo, exec_lo, s2
	s_waitcnt_vscnt null, 0x0
	s_barrier
	buffer_gl0_inv
	scratch_load_b128 v[1:4], v129, off
	s_mov_b32 s2, exec_lo
	s_waitcnt vmcnt(0)
	ds_store_b128 v5, v[1:4]
	s_waitcnt lgkmcnt(0)
	s_barrier
	buffer_gl0_inv
	v_cmpx_gt_u32_e32 37, v124
	s_cbranch_execz .LBB104_163
; %bb.160:
	v_dual_mov_b32 v1, 0 :: v_dual_add_nc_u32 v8, 0x290, v13
	v_dual_mov_b32 v2, 0 :: v_dual_add_nc_u32 v7, -1, v124
	v_or_b32_e32 v9, 8, v14
	s_mov_b32 s3, 0
	s_delay_alu instid0(VALU_DEP_2)
	v_dual_mov_b32 v4, v2 :: v_dual_mov_b32 v3, v1
	.p2align	6
.LBB104_161:                            ; =>This Inner Loop Header: Depth=1
	scratch_load_b128 v[15:18], v9, off offset:-8
	ds_load_b128 v[19:22], v8
	v_add_nc_u32_e32 v7, 1, v7
	v_add_nc_u32_e32 v8, 16, v8
	;; [unrolled: 1-line block ×3, first 2 shown]
	s_delay_alu instid0(VALU_DEP_3) | instskip(SKIP_4) | instid1(VALU_DEP_2)
	v_cmp_lt_u32_e32 vcc_lo, 35, v7
	s_or_b32 s3, vcc_lo, s3
	s_waitcnt vmcnt(0) lgkmcnt(0)
	v_mul_f64 v[10:11], v[21:22], v[17:18]
	v_mul_f64 v[17:18], v[19:20], v[17:18]
	v_fma_f64 v[10:11], v[19:20], v[15:16], -v[10:11]
	s_delay_alu instid0(VALU_DEP_2) | instskip(NEXT) | instid1(VALU_DEP_2)
	v_fma_f64 v[15:16], v[21:22], v[15:16], v[17:18]
	v_add_f64 v[3:4], v[3:4], v[10:11]
	s_delay_alu instid0(VALU_DEP_2)
	v_add_f64 v[1:2], v[1:2], v[15:16]
	s_and_not1_b32 exec_lo, exec_lo, s3
	s_cbranch_execnz .LBB104_161
; %bb.162:
	s_or_b32 exec_lo, exec_lo, s3
	v_mov_b32_e32 v7, 0
	ds_load_b128 v[7:10], v7 offset:592
	s_waitcnt lgkmcnt(0)
	v_mul_f64 v[11:12], v[1:2], v[9:10]
	v_mul_f64 v[15:16], v[3:4], v[9:10]
	s_delay_alu instid0(VALU_DEP_2) | instskip(NEXT) | instid1(VALU_DEP_2)
	v_fma_f64 v[9:10], v[3:4], v[7:8], -v[11:12]
	v_fma_f64 v[11:12], v[1:2], v[7:8], v[15:16]
	scratch_store_b128 off, v[9:12], off offset:592
.LBB104_163:
	s_or_b32 exec_lo, exec_lo, s2
	s_waitcnt_vscnt null, 0x0
	s_barrier
	buffer_gl0_inv
	scratch_load_b128 v[1:4], v128, off
	s_mov_b32 s2, exec_lo
	s_waitcnt vmcnt(0)
	ds_store_b128 v5, v[1:4]
	s_waitcnt lgkmcnt(0)
	s_barrier
	buffer_gl0_inv
	v_cmpx_gt_u32_e32 38, v124
	s_cbranch_execz .LBB104_167
; %bb.164:
	v_dual_mov_b32 v1, 0 :: v_dual_add_nc_u32 v8, 0x290, v13
	v_dual_mov_b32 v2, 0 :: v_dual_add_nc_u32 v7, -1, v124
	v_or_b32_e32 v9, 8, v14
	s_mov_b32 s3, 0
	s_delay_alu instid0(VALU_DEP_2)
	v_dual_mov_b32 v4, v2 :: v_dual_mov_b32 v3, v1
	.p2align	6
.LBB104_165:                            ; =>This Inner Loop Header: Depth=1
	scratch_load_b128 v[15:18], v9, off offset:-8
	ds_load_b128 v[19:22], v8
	v_add_nc_u32_e32 v7, 1, v7
	v_add_nc_u32_e32 v8, 16, v8
	;; [unrolled: 1-line block ×3, first 2 shown]
	s_delay_alu instid0(VALU_DEP_3) | instskip(SKIP_4) | instid1(VALU_DEP_2)
	v_cmp_lt_u32_e32 vcc_lo, 36, v7
	s_or_b32 s3, vcc_lo, s3
	s_waitcnt vmcnt(0) lgkmcnt(0)
	v_mul_f64 v[10:11], v[21:22], v[17:18]
	v_mul_f64 v[17:18], v[19:20], v[17:18]
	v_fma_f64 v[10:11], v[19:20], v[15:16], -v[10:11]
	s_delay_alu instid0(VALU_DEP_2) | instskip(NEXT) | instid1(VALU_DEP_2)
	v_fma_f64 v[15:16], v[21:22], v[15:16], v[17:18]
	v_add_f64 v[3:4], v[3:4], v[10:11]
	s_delay_alu instid0(VALU_DEP_2)
	v_add_f64 v[1:2], v[1:2], v[15:16]
	s_and_not1_b32 exec_lo, exec_lo, s3
	s_cbranch_execnz .LBB104_165
; %bb.166:
	s_or_b32 exec_lo, exec_lo, s3
	v_mov_b32_e32 v7, 0
	ds_load_b128 v[7:10], v7 offset:608
	s_waitcnt lgkmcnt(0)
	v_mul_f64 v[11:12], v[1:2], v[9:10]
	v_mul_f64 v[15:16], v[3:4], v[9:10]
	s_delay_alu instid0(VALU_DEP_2) | instskip(NEXT) | instid1(VALU_DEP_2)
	v_fma_f64 v[9:10], v[3:4], v[7:8], -v[11:12]
	v_fma_f64 v[11:12], v[1:2], v[7:8], v[15:16]
	scratch_store_b128 off, v[9:12], off offset:608
.LBB104_167:
	s_or_b32 exec_lo, exec_lo, s2
	s_waitcnt_vscnt null, 0x0
	s_barrier
	buffer_gl0_inv
	scratch_load_b128 v[1:4], v127, off
	s_mov_b32 s2, exec_lo
	s_waitcnt vmcnt(0)
	ds_store_b128 v5, v[1:4]
	s_waitcnt lgkmcnt(0)
	s_barrier
	buffer_gl0_inv
	v_cmpx_gt_u32_e32 39, v124
	s_cbranch_execz .LBB104_171
; %bb.168:
	v_dual_mov_b32 v1, 0 :: v_dual_add_nc_u32 v8, 0x290, v13
	v_dual_mov_b32 v2, 0 :: v_dual_add_nc_u32 v7, -1, v124
	v_or_b32_e32 v9, 8, v14
	s_mov_b32 s3, 0
	s_delay_alu instid0(VALU_DEP_2)
	v_dual_mov_b32 v4, v2 :: v_dual_mov_b32 v3, v1
	.p2align	6
.LBB104_169:                            ; =>This Inner Loop Header: Depth=1
	scratch_load_b128 v[10:13], v9, off offset:-8
	ds_load_b128 v[15:18], v8
	v_add_nc_u32_e32 v7, 1, v7
	v_add_nc_u32_e32 v8, 16, v8
	;; [unrolled: 1-line block ×3, first 2 shown]
	s_delay_alu instid0(VALU_DEP_3) | instskip(SKIP_4) | instid1(VALU_DEP_2)
	v_cmp_lt_u32_e32 vcc_lo, 37, v7
	s_or_b32 s3, vcc_lo, s3
	s_waitcnt vmcnt(0) lgkmcnt(0)
	v_mul_f64 v[19:20], v[17:18], v[12:13]
	v_mul_f64 v[12:13], v[15:16], v[12:13]
	v_fma_f64 v[15:16], v[15:16], v[10:11], -v[19:20]
	s_delay_alu instid0(VALU_DEP_2) | instskip(NEXT) | instid1(VALU_DEP_2)
	v_fma_f64 v[10:11], v[17:18], v[10:11], v[12:13]
	v_add_f64 v[3:4], v[3:4], v[15:16]
	s_delay_alu instid0(VALU_DEP_2)
	v_add_f64 v[1:2], v[1:2], v[10:11]
	s_and_not1_b32 exec_lo, exec_lo, s3
	s_cbranch_execnz .LBB104_169
; %bb.170:
	s_or_b32 exec_lo, exec_lo, s3
	v_mov_b32_e32 v7, 0
	ds_load_b128 v[7:10], v7 offset:624
	s_waitcnt lgkmcnt(0)
	v_mul_f64 v[11:12], v[1:2], v[9:10]
	v_mul_f64 v[15:16], v[3:4], v[9:10]
	s_delay_alu instid0(VALU_DEP_2) | instskip(NEXT) | instid1(VALU_DEP_2)
	v_fma_f64 v[9:10], v[3:4], v[7:8], -v[11:12]
	v_fma_f64 v[11:12], v[1:2], v[7:8], v[15:16]
	scratch_store_b128 off, v[9:12], off offset:624
.LBB104_171:
	s_or_b32 exec_lo, exec_lo, s2
	s_waitcnt_vscnt null, 0x0
	s_barrier
	buffer_gl0_inv
	scratch_load_b128 v[1:4], v126, off
	s_mov_b32 s2, exec_lo
	s_waitcnt vmcnt(0)
	ds_store_b128 v5, v[1:4]
	s_waitcnt lgkmcnt(0)
	s_barrier
	buffer_gl0_inv
	v_cmpx_ne_u32_e32 40, v124
	s_cbranch_execz .LBB104_175
; %bb.172:
	v_mov_b32_e32 v1, 0
	v_mov_b32_e32 v2, 0
	v_or_b32_e32 v7, 8, v14
	s_mov_b32 s3, 0
	s_delay_alu instid0(VALU_DEP_2)
	v_dual_mov_b32 v4, v2 :: v_dual_mov_b32 v3, v1
	.p2align	6
.LBB104_173:                            ; =>This Inner Loop Header: Depth=1
	scratch_load_b128 v[8:11], v7, off offset:-8
	ds_load_b128 v[12:15], v5
	v_add_nc_u32_e32 v6, 1, v6
	v_add_nc_u32_e32 v5, 16, v5
	;; [unrolled: 1-line block ×3, first 2 shown]
	s_delay_alu instid0(VALU_DEP_3) | instskip(SKIP_4) | instid1(VALU_DEP_2)
	v_cmp_lt_u32_e32 vcc_lo, 38, v6
	s_or_b32 s3, vcc_lo, s3
	s_waitcnt vmcnt(0) lgkmcnt(0)
	v_mul_f64 v[16:17], v[14:15], v[10:11]
	v_mul_f64 v[10:11], v[12:13], v[10:11]
	v_fma_f64 v[12:13], v[12:13], v[8:9], -v[16:17]
	s_delay_alu instid0(VALU_DEP_2) | instskip(NEXT) | instid1(VALU_DEP_2)
	v_fma_f64 v[8:9], v[14:15], v[8:9], v[10:11]
	v_add_f64 v[3:4], v[3:4], v[12:13]
	s_delay_alu instid0(VALU_DEP_2)
	v_add_f64 v[1:2], v[1:2], v[8:9]
	s_and_not1_b32 exec_lo, exec_lo, s3
	s_cbranch_execnz .LBB104_173
; %bb.174:
	s_or_b32 exec_lo, exec_lo, s3
	v_mov_b32_e32 v5, 0
	ds_load_b128 v[5:8], v5 offset:640
	s_waitcnt lgkmcnt(0)
	v_mul_f64 v[9:10], v[1:2], v[7:8]
	v_mul_f64 v[7:8], v[3:4], v[7:8]
	s_delay_alu instid0(VALU_DEP_2) | instskip(NEXT) | instid1(VALU_DEP_2)
	v_fma_f64 v[3:4], v[3:4], v[5:6], -v[9:10]
	v_fma_f64 v[5:6], v[1:2], v[5:6], v[7:8]
	scratch_store_b128 off, v[3:6], off offset:640
.LBB104_175:
	s_or_b32 exec_lo, exec_lo, s2
	s_mov_b32 s3, -1
	s_waitcnt_vscnt null, 0x0
	s_barrier
	buffer_gl0_inv
.LBB104_176:
	s_and_b32 vcc_lo, exec_lo, s3
	s_cbranch_vccz .LBB104_178
; %bb.177:
	s_lshl_b64 s[2:3], s[10:11], 2
	v_mov_b32_e32 v1, 0
	s_add_u32 s2, s6, s2
	s_addc_u32 s3, s7, s3
	global_load_b32 v1, v1, s[2:3]
	s_waitcnt vmcnt(0)
	v_cmp_ne_u32_e32 vcc_lo, 0, v1
	s_cbranch_vccz .LBB104_179
.LBB104_178:
	s_endpgm
.LBB104_179:
	v_lshl_add_u32 v165, v124, 4, 0x290
	s_mov_b32 s2, exec_lo
	v_cmpx_eq_u32_e32 40, v124
	s_cbranch_execz .LBB104_181
; %bb.180:
	scratch_load_b128 v[1:4], v127, off
	v_mov_b32_e32 v5, 0
	s_delay_alu instid0(VALU_DEP_1)
	v_mov_b32_e32 v6, v5
	v_mov_b32_e32 v7, v5
	;; [unrolled: 1-line block ×3, first 2 shown]
	scratch_store_b128 off, v[5:8], off offset:624
	s_waitcnt vmcnt(0)
	ds_store_b128 v165, v[1:4]
.LBB104_181:
	s_or_b32 exec_lo, exec_lo, s2
	s_waitcnt lgkmcnt(0)
	s_waitcnt_vscnt null, 0x0
	s_barrier
	buffer_gl0_inv
	s_clause 0x1
	scratch_load_b128 v[2:5], off, off offset:640
	scratch_load_b128 v[6:9], off, off offset:624
	v_mov_b32_e32 v1, 0
	s_mov_b32 s2, exec_lo
	ds_load_b128 v[10:13], v1 offset:1296
	s_waitcnt vmcnt(1) lgkmcnt(0)
	v_mul_f64 v[14:15], v[12:13], v[4:5]
	v_mul_f64 v[4:5], v[10:11], v[4:5]
	s_delay_alu instid0(VALU_DEP_2) | instskip(NEXT) | instid1(VALU_DEP_2)
	v_fma_f64 v[10:11], v[10:11], v[2:3], -v[14:15]
	v_fma_f64 v[2:3], v[12:13], v[2:3], v[4:5]
	s_delay_alu instid0(VALU_DEP_2) | instskip(NEXT) | instid1(VALU_DEP_2)
	v_add_f64 v[4:5], v[10:11], 0
	v_add_f64 v[10:11], v[2:3], 0
	s_waitcnt vmcnt(0)
	s_delay_alu instid0(VALU_DEP_2) | instskip(NEXT) | instid1(VALU_DEP_2)
	v_add_f64 v[2:3], v[6:7], -v[4:5]
	v_add_f64 v[4:5], v[8:9], -v[10:11]
	scratch_store_b128 off, v[2:5], off offset:624
	v_cmpx_lt_u32_e32 38, v124
	s_cbranch_execz .LBB104_183
; %bb.182:
	scratch_load_b128 v[5:8], v128, off
	v_mov_b32_e32 v2, v1
	v_mov_b32_e32 v3, v1
	;; [unrolled: 1-line block ×3, first 2 shown]
	scratch_store_b128 off, v[1:4], off offset:608
	s_waitcnt vmcnt(0)
	ds_store_b128 v165, v[5:8]
.LBB104_183:
	s_or_b32 exec_lo, exec_lo, s2
	s_waitcnt lgkmcnt(0)
	s_waitcnt_vscnt null, 0x0
	s_barrier
	buffer_gl0_inv
	s_clause 0x2
	scratch_load_b128 v[2:5], off, off offset:624
	scratch_load_b128 v[6:9], off, off offset:640
	scratch_load_b128 v[10:13], off, off offset:608
	ds_load_b128 v[14:17], v1 offset:1280
	ds_load_b128 v[18:21], v1 offset:1296
	s_mov_b32 s2, exec_lo
	s_waitcnt vmcnt(2) lgkmcnt(1)
	v_mul_f64 v[22:23], v[16:17], v[4:5]
	v_mul_f64 v[4:5], v[14:15], v[4:5]
	s_waitcnt vmcnt(1) lgkmcnt(0)
	v_mul_f64 v[24:25], v[18:19], v[8:9]
	v_mul_f64 v[8:9], v[20:21], v[8:9]
	s_delay_alu instid0(VALU_DEP_4) | instskip(NEXT) | instid1(VALU_DEP_4)
	v_fma_f64 v[14:15], v[14:15], v[2:3], -v[22:23]
	v_fma_f64 v[1:2], v[16:17], v[2:3], v[4:5]
	s_delay_alu instid0(VALU_DEP_4) | instskip(NEXT) | instid1(VALU_DEP_4)
	v_fma_f64 v[3:4], v[20:21], v[6:7], v[24:25]
	v_fma_f64 v[5:6], v[18:19], v[6:7], -v[8:9]
	s_delay_alu instid0(VALU_DEP_4) | instskip(NEXT) | instid1(VALU_DEP_4)
	v_add_f64 v[7:8], v[14:15], 0
	v_add_f64 v[1:2], v[1:2], 0
	s_delay_alu instid0(VALU_DEP_2) | instskip(NEXT) | instid1(VALU_DEP_2)
	v_add_f64 v[5:6], v[7:8], v[5:6]
	v_add_f64 v[3:4], v[1:2], v[3:4]
	s_waitcnt vmcnt(0)
	s_delay_alu instid0(VALU_DEP_2) | instskip(NEXT) | instid1(VALU_DEP_2)
	v_add_f64 v[1:2], v[10:11], -v[5:6]
	v_add_f64 v[3:4], v[12:13], -v[3:4]
	scratch_store_b128 off, v[1:4], off offset:608
	v_cmpx_lt_u32_e32 37, v124
	s_cbranch_execz .LBB104_185
; %bb.184:
	scratch_load_b128 v[1:4], v129, off
	v_mov_b32_e32 v5, 0
	s_delay_alu instid0(VALU_DEP_1)
	v_mov_b32_e32 v6, v5
	v_mov_b32_e32 v7, v5
	;; [unrolled: 1-line block ×3, first 2 shown]
	scratch_store_b128 off, v[5:8], off offset:592
	s_waitcnt vmcnt(0)
	ds_store_b128 v165, v[1:4]
.LBB104_185:
	s_or_b32 exec_lo, exec_lo, s2
	s_waitcnt lgkmcnt(0)
	s_waitcnt_vscnt null, 0x0
	s_barrier
	buffer_gl0_inv
	s_clause 0x3
	scratch_load_b128 v[2:5], off, off offset:608
	scratch_load_b128 v[6:9], off, off offset:624
	scratch_load_b128 v[10:13], off, off offset:640
	scratch_load_b128 v[14:17], off, off offset:592
	v_mov_b32_e32 v1, 0
	ds_load_b128 v[18:21], v1 offset:1264
	ds_load_b128 v[22:25], v1 offset:1280
	s_mov_b32 s2, exec_lo
	s_waitcnt vmcnt(3) lgkmcnt(1)
	v_mul_f64 v[26:27], v[20:21], v[4:5]
	v_mul_f64 v[4:5], v[18:19], v[4:5]
	s_waitcnt vmcnt(2) lgkmcnt(0)
	v_mul_f64 v[28:29], v[22:23], v[8:9]
	v_mul_f64 v[8:9], v[24:25], v[8:9]
	s_delay_alu instid0(VALU_DEP_4) | instskip(NEXT) | instid1(VALU_DEP_4)
	v_fma_f64 v[18:19], v[18:19], v[2:3], -v[26:27]
	v_fma_f64 v[20:21], v[20:21], v[2:3], v[4:5]
	ds_load_b128 v[2:5], v1 offset:1296
	v_fma_f64 v[24:25], v[24:25], v[6:7], v[28:29]
	v_fma_f64 v[6:7], v[22:23], v[6:7], -v[8:9]
	s_waitcnt vmcnt(1) lgkmcnt(0)
	v_mul_f64 v[26:27], v[2:3], v[12:13]
	v_mul_f64 v[12:13], v[4:5], v[12:13]
	v_add_f64 v[8:9], v[18:19], 0
	v_add_f64 v[18:19], v[20:21], 0
	s_delay_alu instid0(VALU_DEP_4) | instskip(NEXT) | instid1(VALU_DEP_4)
	v_fma_f64 v[4:5], v[4:5], v[10:11], v[26:27]
	v_fma_f64 v[2:3], v[2:3], v[10:11], -v[12:13]
	s_delay_alu instid0(VALU_DEP_4) | instskip(NEXT) | instid1(VALU_DEP_4)
	v_add_f64 v[6:7], v[8:9], v[6:7]
	v_add_f64 v[8:9], v[18:19], v[24:25]
	s_delay_alu instid0(VALU_DEP_2) | instskip(NEXT) | instid1(VALU_DEP_2)
	v_add_f64 v[2:3], v[6:7], v[2:3]
	v_add_f64 v[4:5], v[8:9], v[4:5]
	s_waitcnt vmcnt(0)
	s_delay_alu instid0(VALU_DEP_2) | instskip(NEXT) | instid1(VALU_DEP_2)
	v_add_f64 v[2:3], v[14:15], -v[2:3]
	v_add_f64 v[4:5], v[16:17], -v[4:5]
	scratch_store_b128 off, v[2:5], off offset:592
	v_cmpx_lt_u32_e32 36, v124
	s_cbranch_execz .LBB104_187
; %bb.186:
	scratch_load_b128 v[5:8], v130, off
	v_mov_b32_e32 v2, v1
	v_mov_b32_e32 v3, v1
	;; [unrolled: 1-line block ×3, first 2 shown]
	scratch_store_b128 off, v[1:4], off offset:576
	s_waitcnt vmcnt(0)
	ds_store_b128 v165, v[5:8]
.LBB104_187:
	s_or_b32 exec_lo, exec_lo, s2
	s_waitcnt lgkmcnt(0)
	s_waitcnt_vscnt null, 0x0
	s_barrier
	buffer_gl0_inv
	s_clause 0x4
	scratch_load_b128 v[2:5], off, off offset:592
	scratch_load_b128 v[6:9], off, off offset:608
	;; [unrolled: 1-line block ×5, first 2 shown]
	ds_load_b128 v[22:25], v1 offset:1248
	ds_load_b128 v[26:29], v1 offset:1264
	s_mov_b32 s2, exec_lo
	s_waitcnt vmcnt(4) lgkmcnt(1)
	v_mul_f64 v[30:31], v[24:25], v[4:5]
	v_mul_f64 v[4:5], v[22:23], v[4:5]
	s_waitcnt vmcnt(3) lgkmcnt(0)
	v_mul_f64 v[32:33], v[26:27], v[8:9]
	v_mul_f64 v[8:9], v[28:29], v[8:9]
	s_delay_alu instid0(VALU_DEP_4) | instskip(NEXT) | instid1(VALU_DEP_4)
	v_fma_f64 v[30:31], v[22:23], v[2:3], -v[30:31]
	v_fma_f64 v[34:35], v[24:25], v[2:3], v[4:5]
	ds_load_b128 v[2:5], v1 offset:1280
	ds_load_b128 v[22:25], v1 offset:1296
	v_fma_f64 v[28:29], v[28:29], v[6:7], v[32:33]
	v_fma_f64 v[6:7], v[26:27], v[6:7], -v[8:9]
	s_waitcnt vmcnt(2) lgkmcnt(1)
	v_mul_f64 v[36:37], v[2:3], v[12:13]
	v_mul_f64 v[12:13], v[4:5], v[12:13]
	v_add_f64 v[8:9], v[30:31], 0
	v_add_f64 v[26:27], v[34:35], 0
	s_waitcnt vmcnt(1) lgkmcnt(0)
	v_mul_f64 v[30:31], v[22:23], v[16:17]
	v_mul_f64 v[16:17], v[24:25], v[16:17]
	v_fma_f64 v[4:5], v[4:5], v[10:11], v[36:37]
	v_fma_f64 v[1:2], v[2:3], v[10:11], -v[12:13]
	v_add_f64 v[6:7], v[8:9], v[6:7]
	v_add_f64 v[8:9], v[26:27], v[28:29]
	v_fma_f64 v[10:11], v[24:25], v[14:15], v[30:31]
	v_fma_f64 v[12:13], v[22:23], v[14:15], -v[16:17]
	s_delay_alu instid0(VALU_DEP_4) | instskip(NEXT) | instid1(VALU_DEP_4)
	v_add_f64 v[1:2], v[6:7], v[1:2]
	v_add_f64 v[3:4], v[8:9], v[4:5]
	s_delay_alu instid0(VALU_DEP_2) | instskip(NEXT) | instid1(VALU_DEP_2)
	v_add_f64 v[1:2], v[1:2], v[12:13]
	v_add_f64 v[3:4], v[3:4], v[10:11]
	s_waitcnt vmcnt(0)
	s_delay_alu instid0(VALU_DEP_2) | instskip(NEXT) | instid1(VALU_DEP_2)
	v_add_f64 v[1:2], v[18:19], -v[1:2]
	v_add_f64 v[3:4], v[20:21], -v[3:4]
	scratch_store_b128 off, v[1:4], off offset:576
	v_cmpx_lt_u32_e32 35, v124
	s_cbranch_execz .LBB104_189
; %bb.188:
	scratch_load_b128 v[1:4], v131, off
	v_mov_b32_e32 v5, 0
	s_delay_alu instid0(VALU_DEP_1)
	v_mov_b32_e32 v6, v5
	v_mov_b32_e32 v7, v5
	;; [unrolled: 1-line block ×3, first 2 shown]
	scratch_store_b128 off, v[5:8], off offset:560
	s_waitcnt vmcnt(0)
	ds_store_b128 v165, v[1:4]
.LBB104_189:
	s_or_b32 exec_lo, exec_lo, s2
	s_waitcnt lgkmcnt(0)
	s_waitcnt_vscnt null, 0x0
	s_barrier
	buffer_gl0_inv
	s_clause 0x5
	scratch_load_b128 v[2:5], off, off offset:576
	scratch_load_b128 v[6:9], off, off offset:592
	scratch_load_b128 v[10:13], off, off offset:608
	scratch_load_b128 v[14:17], off, off offset:624
	scratch_load_b128 v[18:21], off, off offset:640
	scratch_load_b128 v[22:25], off, off offset:560
	v_mov_b32_e32 v1, 0
	ds_load_b128 v[26:29], v1 offset:1232
	ds_load_b128 v[30:33], v1 offset:1248
	s_mov_b32 s2, exec_lo
	s_waitcnt vmcnt(5) lgkmcnt(1)
	v_mul_f64 v[34:35], v[28:29], v[4:5]
	v_mul_f64 v[4:5], v[26:27], v[4:5]
	s_waitcnt vmcnt(4) lgkmcnt(0)
	v_mul_f64 v[36:37], v[30:31], v[8:9]
	v_mul_f64 v[8:9], v[32:33], v[8:9]
	s_delay_alu instid0(VALU_DEP_4) | instskip(NEXT) | instid1(VALU_DEP_4)
	v_fma_f64 v[34:35], v[26:27], v[2:3], -v[34:35]
	v_fma_f64 v[38:39], v[28:29], v[2:3], v[4:5]
	ds_load_b128 v[2:5], v1 offset:1264
	ds_load_b128 v[26:29], v1 offset:1280
	v_fma_f64 v[32:33], v[32:33], v[6:7], v[36:37]
	v_fma_f64 v[6:7], v[30:31], v[6:7], -v[8:9]
	s_waitcnt vmcnt(3) lgkmcnt(1)
	v_mul_f64 v[40:41], v[2:3], v[12:13]
	v_mul_f64 v[12:13], v[4:5], v[12:13]
	v_add_f64 v[8:9], v[34:35], 0
	v_add_f64 v[30:31], v[38:39], 0
	s_waitcnt vmcnt(2) lgkmcnt(0)
	v_mul_f64 v[34:35], v[26:27], v[16:17]
	v_mul_f64 v[16:17], v[28:29], v[16:17]
	v_fma_f64 v[36:37], v[4:5], v[10:11], v[40:41]
	v_fma_f64 v[10:11], v[2:3], v[10:11], -v[12:13]
	ds_load_b128 v[2:5], v1 offset:1296
	v_add_f64 v[6:7], v[8:9], v[6:7]
	v_add_f64 v[8:9], v[30:31], v[32:33]
	v_fma_f64 v[28:29], v[28:29], v[14:15], v[34:35]
	v_fma_f64 v[14:15], v[26:27], v[14:15], -v[16:17]
	s_waitcnt vmcnt(1) lgkmcnt(0)
	v_mul_f64 v[12:13], v[2:3], v[20:21]
	v_mul_f64 v[20:21], v[4:5], v[20:21]
	v_add_f64 v[6:7], v[6:7], v[10:11]
	v_add_f64 v[8:9], v[8:9], v[36:37]
	s_delay_alu instid0(VALU_DEP_4) | instskip(NEXT) | instid1(VALU_DEP_4)
	v_fma_f64 v[4:5], v[4:5], v[18:19], v[12:13]
	v_fma_f64 v[2:3], v[2:3], v[18:19], -v[20:21]
	s_delay_alu instid0(VALU_DEP_4) | instskip(NEXT) | instid1(VALU_DEP_4)
	v_add_f64 v[6:7], v[6:7], v[14:15]
	v_add_f64 v[8:9], v[8:9], v[28:29]
	s_delay_alu instid0(VALU_DEP_2) | instskip(NEXT) | instid1(VALU_DEP_2)
	v_add_f64 v[2:3], v[6:7], v[2:3]
	v_add_f64 v[4:5], v[8:9], v[4:5]
	s_waitcnt vmcnt(0)
	s_delay_alu instid0(VALU_DEP_2) | instskip(NEXT) | instid1(VALU_DEP_2)
	v_add_f64 v[2:3], v[22:23], -v[2:3]
	v_add_f64 v[4:5], v[24:25], -v[4:5]
	scratch_store_b128 off, v[2:5], off offset:560
	v_cmpx_lt_u32_e32 34, v124
	s_cbranch_execz .LBB104_191
; %bb.190:
	scratch_load_b128 v[5:8], v134, off
	v_mov_b32_e32 v2, v1
	v_mov_b32_e32 v3, v1
	v_mov_b32_e32 v4, v1
	scratch_store_b128 off, v[1:4], off offset:544
	s_waitcnt vmcnt(0)
	ds_store_b128 v165, v[5:8]
.LBB104_191:
	s_or_b32 exec_lo, exec_lo, s2
	s_waitcnt lgkmcnt(0)
	s_waitcnt_vscnt null, 0x0
	s_barrier
	buffer_gl0_inv
	s_clause 0x5
	scratch_load_b128 v[2:5], off, off offset:560
	scratch_load_b128 v[6:9], off, off offset:576
	;; [unrolled: 1-line block ×6, first 2 shown]
	ds_load_b128 v[26:29], v1 offset:1216
	ds_load_b128 v[34:37], v1 offset:1232
	scratch_load_b128 v[30:33], off, off offset:544
	s_mov_b32 s2, exec_lo
	s_waitcnt vmcnt(6) lgkmcnt(1)
	v_mul_f64 v[38:39], v[28:29], v[4:5]
	v_mul_f64 v[4:5], v[26:27], v[4:5]
	s_waitcnt vmcnt(5) lgkmcnt(0)
	v_mul_f64 v[40:41], v[34:35], v[8:9]
	v_mul_f64 v[8:9], v[36:37], v[8:9]
	s_delay_alu instid0(VALU_DEP_4) | instskip(NEXT) | instid1(VALU_DEP_4)
	v_fma_f64 v[38:39], v[26:27], v[2:3], -v[38:39]
	v_fma_f64 v[166:167], v[28:29], v[2:3], v[4:5]
	ds_load_b128 v[2:5], v1 offset:1248
	ds_load_b128 v[26:29], v1 offset:1264
	v_fma_f64 v[36:37], v[36:37], v[6:7], v[40:41]
	v_fma_f64 v[6:7], v[34:35], v[6:7], -v[8:9]
	s_waitcnt vmcnt(4) lgkmcnt(1)
	v_mul_f64 v[168:169], v[2:3], v[12:13]
	v_mul_f64 v[12:13], v[4:5], v[12:13]
	v_add_f64 v[8:9], v[38:39], 0
	v_add_f64 v[34:35], v[166:167], 0
	s_waitcnt vmcnt(3) lgkmcnt(0)
	v_mul_f64 v[38:39], v[26:27], v[16:17]
	v_mul_f64 v[16:17], v[28:29], v[16:17]
	v_fma_f64 v[40:41], v[4:5], v[10:11], v[168:169]
	v_fma_f64 v[10:11], v[2:3], v[10:11], -v[12:13]
	v_add_f64 v[12:13], v[8:9], v[6:7]
	v_add_f64 v[34:35], v[34:35], v[36:37]
	ds_load_b128 v[2:5], v1 offset:1280
	ds_load_b128 v[6:9], v1 offset:1296
	v_fma_f64 v[28:29], v[28:29], v[14:15], v[38:39]
	v_fma_f64 v[14:15], v[26:27], v[14:15], -v[16:17]
	s_waitcnt vmcnt(2) lgkmcnt(1)
	v_mul_f64 v[36:37], v[2:3], v[20:21]
	v_mul_f64 v[20:21], v[4:5], v[20:21]
	s_waitcnt vmcnt(1) lgkmcnt(0)
	v_mul_f64 v[16:17], v[6:7], v[24:25]
	v_mul_f64 v[24:25], v[8:9], v[24:25]
	v_add_f64 v[10:11], v[12:13], v[10:11]
	v_add_f64 v[12:13], v[34:35], v[40:41]
	v_fma_f64 v[4:5], v[4:5], v[18:19], v[36:37]
	v_fma_f64 v[1:2], v[2:3], v[18:19], -v[20:21]
	v_fma_f64 v[8:9], v[8:9], v[22:23], v[16:17]
	v_fma_f64 v[6:7], v[6:7], v[22:23], -v[24:25]
	v_add_f64 v[10:11], v[10:11], v[14:15]
	v_add_f64 v[12:13], v[12:13], v[28:29]
	s_delay_alu instid0(VALU_DEP_2) | instskip(NEXT) | instid1(VALU_DEP_2)
	v_add_f64 v[1:2], v[10:11], v[1:2]
	v_add_f64 v[3:4], v[12:13], v[4:5]
	s_delay_alu instid0(VALU_DEP_2) | instskip(NEXT) | instid1(VALU_DEP_2)
	v_add_f64 v[1:2], v[1:2], v[6:7]
	v_add_f64 v[3:4], v[3:4], v[8:9]
	s_waitcnt vmcnt(0)
	s_delay_alu instid0(VALU_DEP_2) | instskip(NEXT) | instid1(VALU_DEP_2)
	v_add_f64 v[1:2], v[30:31], -v[1:2]
	v_add_f64 v[3:4], v[32:33], -v[3:4]
	scratch_store_b128 off, v[1:4], off offset:544
	v_cmpx_lt_u32_e32 33, v124
	s_cbranch_execz .LBB104_193
; %bb.192:
	scratch_load_b128 v[1:4], v135, off
	v_mov_b32_e32 v5, 0
	s_delay_alu instid0(VALU_DEP_1)
	v_mov_b32_e32 v6, v5
	v_mov_b32_e32 v7, v5
	;; [unrolled: 1-line block ×3, first 2 shown]
	scratch_store_b128 off, v[5:8], off offset:528
	s_waitcnt vmcnt(0)
	ds_store_b128 v165, v[1:4]
.LBB104_193:
	s_or_b32 exec_lo, exec_lo, s2
	s_waitcnt lgkmcnt(0)
	s_waitcnt_vscnt null, 0x0
	s_barrier
	buffer_gl0_inv
	s_clause 0x6
	scratch_load_b128 v[2:5], off, off offset:544
	scratch_load_b128 v[6:9], off, off offset:560
	;; [unrolled: 1-line block ×7, first 2 shown]
	v_mov_b32_e32 v1, 0
	scratch_load_b128 v[34:37], off, off offset:528
	s_mov_b32 s2, exec_lo
	ds_load_b128 v[30:33], v1 offset:1200
	ds_load_b128 v[38:41], v1 offset:1216
	s_waitcnt vmcnt(7) lgkmcnt(1)
	v_mul_f64 v[166:167], v[32:33], v[4:5]
	v_mul_f64 v[4:5], v[30:31], v[4:5]
	s_waitcnt vmcnt(6) lgkmcnt(0)
	v_mul_f64 v[168:169], v[38:39], v[8:9]
	v_mul_f64 v[8:9], v[40:41], v[8:9]
	s_delay_alu instid0(VALU_DEP_4) | instskip(NEXT) | instid1(VALU_DEP_4)
	v_fma_f64 v[166:167], v[30:31], v[2:3], -v[166:167]
	v_fma_f64 v[170:171], v[32:33], v[2:3], v[4:5]
	ds_load_b128 v[2:5], v1 offset:1232
	ds_load_b128 v[30:33], v1 offset:1248
	v_fma_f64 v[40:41], v[40:41], v[6:7], v[168:169]
	v_fma_f64 v[6:7], v[38:39], v[6:7], -v[8:9]
	s_waitcnt vmcnt(5) lgkmcnt(1)
	v_mul_f64 v[172:173], v[2:3], v[12:13]
	v_mul_f64 v[12:13], v[4:5], v[12:13]
	v_add_f64 v[8:9], v[166:167], 0
	v_add_f64 v[38:39], v[170:171], 0
	s_waitcnt vmcnt(4) lgkmcnt(0)
	v_mul_f64 v[166:167], v[30:31], v[16:17]
	v_mul_f64 v[16:17], v[32:33], v[16:17]
	v_fma_f64 v[168:169], v[4:5], v[10:11], v[172:173]
	v_fma_f64 v[10:11], v[2:3], v[10:11], -v[12:13]
	v_add_f64 v[12:13], v[8:9], v[6:7]
	v_add_f64 v[38:39], v[38:39], v[40:41]
	ds_load_b128 v[2:5], v1 offset:1264
	ds_load_b128 v[6:9], v1 offset:1280
	v_fma_f64 v[32:33], v[32:33], v[14:15], v[166:167]
	v_fma_f64 v[14:15], v[30:31], v[14:15], -v[16:17]
	s_waitcnt vmcnt(3) lgkmcnt(1)
	v_mul_f64 v[40:41], v[2:3], v[20:21]
	v_mul_f64 v[20:21], v[4:5], v[20:21]
	s_waitcnt vmcnt(2) lgkmcnt(0)
	v_mul_f64 v[16:17], v[6:7], v[24:25]
	v_mul_f64 v[24:25], v[8:9], v[24:25]
	v_add_f64 v[10:11], v[12:13], v[10:11]
	v_add_f64 v[12:13], v[38:39], v[168:169]
	v_fma_f64 v[30:31], v[4:5], v[18:19], v[40:41]
	v_fma_f64 v[18:19], v[2:3], v[18:19], -v[20:21]
	ds_load_b128 v[2:5], v1 offset:1296
	v_fma_f64 v[8:9], v[8:9], v[22:23], v[16:17]
	v_fma_f64 v[6:7], v[6:7], v[22:23], -v[24:25]
	v_add_f64 v[10:11], v[10:11], v[14:15]
	v_add_f64 v[12:13], v[12:13], v[32:33]
	s_waitcnt vmcnt(1) lgkmcnt(0)
	v_mul_f64 v[14:15], v[2:3], v[28:29]
	v_mul_f64 v[20:21], v[4:5], v[28:29]
	s_delay_alu instid0(VALU_DEP_4) | instskip(NEXT) | instid1(VALU_DEP_4)
	v_add_f64 v[10:11], v[10:11], v[18:19]
	v_add_f64 v[12:13], v[12:13], v[30:31]
	s_delay_alu instid0(VALU_DEP_4) | instskip(NEXT) | instid1(VALU_DEP_4)
	v_fma_f64 v[4:5], v[4:5], v[26:27], v[14:15]
	v_fma_f64 v[2:3], v[2:3], v[26:27], -v[20:21]
	s_delay_alu instid0(VALU_DEP_4) | instskip(NEXT) | instid1(VALU_DEP_4)
	v_add_f64 v[6:7], v[10:11], v[6:7]
	v_add_f64 v[8:9], v[12:13], v[8:9]
	s_delay_alu instid0(VALU_DEP_2) | instskip(NEXT) | instid1(VALU_DEP_2)
	v_add_f64 v[2:3], v[6:7], v[2:3]
	v_add_f64 v[4:5], v[8:9], v[4:5]
	s_waitcnt vmcnt(0)
	s_delay_alu instid0(VALU_DEP_2) | instskip(NEXT) | instid1(VALU_DEP_2)
	v_add_f64 v[2:3], v[34:35], -v[2:3]
	v_add_f64 v[4:5], v[36:37], -v[4:5]
	scratch_store_b128 off, v[2:5], off offset:528
	v_cmpx_lt_u32_e32 32, v124
	s_cbranch_execz .LBB104_195
; %bb.194:
	scratch_load_b128 v[5:8], v136, off
	v_mov_b32_e32 v2, v1
	v_mov_b32_e32 v3, v1
	;; [unrolled: 1-line block ×3, first 2 shown]
	scratch_store_b128 off, v[1:4], off offset:512
	s_waitcnt vmcnt(0)
	ds_store_b128 v165, v[5:8]
.LBB104_195:
	s_or_b32 exec_lo, exec_lo, s2
	s_waitcnt lgkmcnt(0)
	s_waitcnt_vscnt null, 0x0
	s_barrier
	buffer_gl0_inv
	s_clause 0x7
	scratch_load_b128 v[2:5], off, off offset:528
	scratch_load_b128 v[6:9], off, off offset:544
	;; [unrolled: 1-line block ×8, first 2 shown]
	ds_load_b128 v[34:37], v1 offset:1184
	ds_load_b128 v[38:41], v1 offset:1200
	scratch_load_b128 v[166:169], off, off offset:512
	s_mov_b32 s2, exec_lo
	s_waitcnt vmcnt(8) lgkmcnt(1)
	v_mul_f64 v[170:171], v[36:37], v[4:5]
	v_mul_f64 v[4:5], v[34:35], v[4:5]
	s_waitcnt vmcnt(7) lgkmcnt(0)
	v_mul_f64 v[172:173], v[38:39], v[8:9]
	v_mul_f64 v[8:9], v[40:41], v[8:9]
	s_delay_alu instid0(VALU_DEP_4) | instskip(NEXT) | instid1(VALU_DEP_4)
	v_fma_f64 v[170:171], v[34:35], v[2:3], -v[170:171]
	v_fma_f64 v[174:175], v[36:37], v[2:3], v[4:5]
	ds_load_b128 v[2:5], v1 offset:1216
	ds_load_b128 v[34:37], v1 offset:1232
	v_fma_f64 v[40:41], v[40:41], v[6:7], v[172:173]
	v_fma_f64 v[6:7], v[38:39], v[6:7], -v[8:9]
	s_waitcnt vmcnt(6) lgkmcnt(1)
	v_mul_f64 v[176:177], v[2:3], v[12:13]
	v_mul_f64 v[12:13], v[4:5], v[12:13]
	v_add_f64 v[8:9], v[170:171], 0
	v_add_f64 v[38:39], v[174:175], 0
	s_waitcnt vmcnt(5) lgkmcnt(0)
	v_mul_f64 v[170:171], v[34:35], v[16:17]
	v_mul_f64 v[16:17], v[36:37], v[16:17]
	v_fma_f64 v[172:173], v[4:5], v[10:11], v[176:177]
	v_fma_f64 v[10:11], v[2:3], v[10:11], -v[12:13]
	v_add_f64 v[12:13], v[8:9], v[6:7]
	v_add_f64 v[38:39], v[38:39], v[40:41]
	ds_load_b128 v[2:5], v1 offset:1248
	ds_load_b128 v[6:9], v1 offset:1264
	v_fma_f64 v[36:37], v[36:37], v[14:15], v[170:171]
	v_fma_f64 v[14:15], v[34:35], v[14:15], -v[16:17]
	s_waitcnt vmcnt(4) lgkmcnt(1)
	v_mul_f64 v[40:41], v[2:3], v[20:21]
	v_mul_f64 v[20:21], v[4:5], v[20:21]
	s_waitcnt vmcnt(3) lgkmcnt(0)
	v_mul_f64 v[16:17], v[6:7], v[24:25]
	v_mul_f64 v[24:25], v[8:9], v[24:25]
	v_add_f64 v[10:11], v[12:13], v[10:11]
	v_add_f64 v[12:13], v[38:39], v[172:173]
	v_fma_f64 v[34:35], v[4:5], v[18:19], v[40:41]
	v_fma_f64 v[18:19], v[2:3], v[18:19], -v[20:21]
	v_fma_f64 v[8:9], v[8:9], v[22:23], v[16:17]
	v_fma_f64 v[6:7], v[6:7], v[22:23], -v[24:25]
	v_add_f64 v[14:15], v[10:11], v[14:15]
	v_add_f64 v[20:21], v[12:13], v[36:37]
	ds_load_b128 v[2:5], v1 offset:1280
	ds_load_b128 v[10:13], v1 offset:1296
	s_waitcnt vmcnt(2) lgkmcnt(1)
	v_mul_f64 v[36:37], v[2:3], v[28:29]
	v_mul_f64 v[28:29], v[4:5], v[28:29]
	v_add_f64 v[14:15], v[14:15], v[18:19]
	v_add_f64 v[16:17], v[20:21], v[34:35]
	s_waitcnt vmcnt(1) lgkmcnt(0)
	v_mul_f64 v[18:19], v[10:11], v[32:33]
	v_mul_f64 v[20:21], v[12:13], v[32:33]
	v_fma_f64 v[4:5], v[4:5], v[26:27], v[36:37]
	v_fma_f64 v[1:2], v[2:3], v[26:27], -v[28:29]
	v_add_f64 v[6:7], v[14:15], v[6:7]
	v_add_f64 v[8:9], v[16:17], v[8:9]
	v_fma_f64 v[12:13], v[12:13], v[30:31], v[18:19]
	v_fma_f64 v[10:11], v[10:11], v[30:31], -v[20:21]
	s_delay_alu instid0(VALU_DEP_4) | instskip(NEXT) | instid1(VALU_DEP_4)
	v_add_f64 v[1:2], v[6:7], v[1:2]
	v_add_f64 v[3:4], v[8:9], v[4:5]
	s_delay_alu instid0(VALU_DEP_2) | instskip(NEXT) | instid1(VALU_DEP_2)
	v_add_f64 v[1:2], v[1:2], v[10:11]
	v_add_f64 v[3:4], v[3:4], v[12:13]
	s_waitcnt vmcnt(0)
	s_delay_alu instid0(VALU_DEP_2) | instskip(NEXT) | instid1(VALU_DEP_2)
	v_add_f64 v[1:2], v[166:167], -v[1:2]
	v_add_f64 v[3:4], v[168:169], -v[3:4]
	scratch_store_b128 off, v[1:4], off offset:512
	v_cmpx_lt_u32_e32 31, v124
	s_cbranch_execz .LBB104_197
; %bb.196:
	scratch_load_b128 v[1:4], v137, off
	v_mov_b32_e32 v5, 0
	s_delay_alu instid0(VALU_DEP_1)
	v_mov_b32_e32 v6, v5
	v_mov_b32_e32 v7, v5
	;; [unrolled: 1-line block ×3, first 2 shown]
	scratch_store_b128 off, v[5:8], off offset:496
	s_waitcnt vmcnt(0)
	ds_store_b128 v165, v[1:4]
.LBB104_197:
	s_or_b32 exec_lo, exec_lo, s2
	s_waitcnt lgkmcnt(0)
	s_waitcnt_vscnt null, 0x0
	s_barrier
	buffer_gl0_inv
	s_clause 0x7
	scratch_load_b128 v[2:5], off, off offset:512
	scratch_load_b128 v[6:9], off, off offset:528
	;; [unrolled: 1-line block ×8, first 2 shown]
	v_mov_b32_e32 v1, 0
	s_mov_b32 s2, exec_lo
	ds_load_b128 v[34:37], v1 offset:1168
	s_clause 0x1
	scratch_load_b128 v[38:41], off, off offset:640
	scratch_load_b128 v[166:169], off, off offset:496
	ds_load_b128 v[170:173], v1 offset:1184
	s_waitcnt vmcnt(9) lgkmcnt(1)
	v_mul_f64 v[174:175], v[36:37], v[4:5]
	v_mul_f64 v[4:5], v[34:35], v[4:5]
	s_waitcnt vmcnt(8) lgkmcnt(0)
	v_mul_f64 v[176:177], v[170:171], v[8:9]
	v_mul_f64 v[8:9], v[172:173], v[8:9]
	s_delay_alu instid0(VALU_DEP_4) | instskip(NEXT) | instid1(VALU_DEP_4)
	v_fma_f64 v[174:175], v[34:35], v[2:3], -v[174:175]
	v_fma_f64 v[178:179], v[36:37], v[2:3], v[4:5]
	ds_load_b128 v[2:5], v1 offset:1200
	ds_load_b128 v[34:37], v1 offset:1216
	v_fma_f64 v[172:173], v[172:173], v[6:7], v[176:177]
	v_fma_f64 v[6:7], v[170:171], v[6:7], -v[8:9]
	s_waitcnt vmcnt(7) lgkmcnt(1)
	v_mul_f64 v[180:181], v[2:3], v[12:13]
	v_mul_f64 v[12:13], v[4:5], v[12:13]
	v_add_f64 v[8:9], v[174:175], 0
	v_add_f64 v[170:171], v[178:179], 0
	s_waitcnt vmcnt(6) lgkmcnt(0)
	v_mul_f64 v[174:175], v[34:35], v[16:17]
	v_mul_f64 v[16:17], v[36:37], v[16:17]
	v_fma_f64 v[176:177], v[4:5], v[10:11], v[180:181]
	v_fma_f64 v[10:11], v[2:3], v[10:11], -v[12:13]
	v_add_f64 v[12:13], v[8:9], v[6:7]
	v_add_f64 v[170:171], v[170:171], v[172:173]
	ds_load_b128 v[2:5], v1 offset:1232
	ds_load_b128 v[6:9], v1 offset:1248
	v_fma_f64 v[36:37], v[36:37], v[14:15], v[174:175]
	v_fma_f64 v[14:15], v[34:35], v[14:15], -v[16:17]
	s_waitcnt vmcnt(5) lgkmcnt(1)
	v_mul_f64 v[172:173], v[2:3], v[20:21]
	v_mul_f64 v[20:21], v[4:5], v[20:21]
	s_waitcnt vmcnt(4) lgkmcnt(0)
	v_mul_f64 v[16:17], v[6:7], v[24:25]
	v_mul_f64 v[24:25], v[8:9], v[24:25]
	v_add_f64 v[10:11], v[12:13], v[10:11]
	v_add_f64 v[12:13], v[170:171], v[176:177]
	v_fma_f64 v[34:35], v[4:5], v[18:19], v[172:173]
	v_fma_f64 v[18:19], v[2:3], v[18:19], -v[20:21]
	v_fma_f64 v[8:9], v[8:9], v[22:23], v[16:17]
	v_fma_f64 v[6:7], v[6:7], v[22:23], -v[24:25]
	v_add_f64 v[14:15], v[10:11], v[14:15]
	v_add_f64 v[20:21], v[12:13], v[36:37]
	ds_load_b128 v[2:5], v1 offset:1264
	ds_load_b128 v[10:13], v1 offset:1280
	s_waitcnt vmcnt(3) lgkmcnt(1)
	v_mul_f64 v[36:37], v[2:3], v[28:29]
	v_mul_f64 v[28:29], v[4:5], v[28:29]
	v_add_f64 v[14:15], v[14:15], v[18:19]
	v_add_f64 v[16:17], v[20:21], v[34:35]
	s_waitcnt vmcnt(2) lgkmcnt(0)
	v_mul_f64 v[18:19], v[10:11], v[32:33]
	v_mul_f64 v[20:21], v[12:13], v[32:33]
	v_fma_f64 v[22:23], v[4:5], v[26:27], v[36:37]
	v_fma_f64 v[24:25], v[2:3], v[26:27], -v[28:29]
	ds_load_b128 v[2:5], v1 offset:1296
	v_add_f64 v[6:7], v[14:15], v[6:7]
	v_add_f64 v[8:9], v[16:17], v[8:9]
	v_fma_f64 v[12:13], v[12:13], v[30:31], v[18:19]
	v_fma_f64 v[10:11], v[10:11], v[30:31], -v[20:21]
	s_waitcnt vmcnt(1) lgkmcnt(0)
	v_mul_f64 v[14:15], v[2:3], v[40:41]
	v_mul_f64 v[16:17], v[4:5], v[40:41]
	v_add_f64 v[6:7], v[6:7], v[24:25]
	v_add_f64 v[8:9], v[8:9], v[22:23]
	s_delay_alu instid0(VALU_DEP_4) | instskip(NEXT) | instid1(VALU_DEP_4)
	v_fma_f64 v[4:5], v[4:5], v[38:39], v[14:15]
	v_fma_f64 v[2:3], v[2:3], v[38:39], -v[16:17]
	s_delay_alu instid0(VALU_DEP_4) | instskip(NEXT) | instid1(VALU_DEP_4)
	v_add_f64 v[6:7], v[6:7], v[10:11]
	v_add_f64 v[8:9], v[8:9], v[12:13]
	s_delay_alu instid0(VALU_DEP_2) | instskip(NEXT) | instid1(VALU_DEP_2)
	v_add_f64 v[2:3], v[6:7], v[2:3]
	v_add_f64 v[4:5], v[8:9], v[4:5]
	s_waitcnt vmcnt(0)
	s_delay_alu instid0(VALU_DEP_2) | instskip(NEXT) | instid1(VALU_DEP_2)
	v_add_f64 v[2:3], v[166:167], -v[2:3]
	v_add_f64 v[4:5], v[168:169], -v[4:5]
	scratch_store_b128 off, v[2:5], off offset:496
	v_cmpx_lt_u32_e32 30, v124
	s_cbranch_execz .LBB104_199
; %bb.198:
	scratch_load_b128 v[5:8], v140, off
	v_mov_b32_e32 v2, v1
	v_mov_b32_e32 v3, v1
	v_mov_b32_e32 v4, v1
	scratch_store_b128 off, v[1:4], off offset:480
	s_waitcnt vmcnt(0)
	ds_store_b128 v165, v[5:8]
.LBB104_199:
	s_or_b32 exec_lo, exec_lo, s2
	s_waitcnt lgkmcnt(0)
	s_waitcnt_vscnt null, 0x0
	s_barrier
	buffer_gl0_inv
	s_clause 0x8
	scratch_load_b128 v[2:5], off, off offset:496
	scratch_load_b128 v[6:9], off, off offset:512
	scratch_load_b128 v[10:13], off, off offset:528
	scratch_load_b128 v[14:17], off, off offset:544
	scratch_load_b128 v[18:21], off, off offset:560
	scratch_load_b128 v[22:25], off, off offset:576
	scratch_load_b128 v[26:29], off, off offset:592
	scratch_load_b128 v[30:33], off, off offset:608
	scratch_load_b128 v[34:37], off, off offset:624
	ds_load_b128 v[38:41], v1 offset:1152
	ds_load_b128 v[166:169], v1 offset:1168
	s_clause 0x1
	scratch_load_b128 v[170:173], off, off offset:480
	scratch_load_b128 v[174:177], off, off offset:640
	s_mov_b32 s2, exec_lo
	s_waitcnt vmcnt(10) lgkmcnt(1)
	v_mul_f64 v[178:179], v[40:41], v[4:5]
	v_mul_f64 v[4:5], v[38:39], v[4:5]
	s_waitcnt vmcnt(9) lgkmcnt(0)
	v_mul_f64 v[180:181], v[166:167], v[8:9]
	v_mul_f64 v[8:9], v[168:169], v[8:9]
	s_delay_alu instid0(VALU_DEP_4) | instskip(NEXT) | instid1(VALU_DEP_4)
	v_fma_f64 v[178:179], v[38:39], v[2:3], -v[178:179]
	v_fma_f64 v[182:183], v[40:41], v[2:3], v[4:5]
	ds_load_b128 v[2:5], v1 offset:1184
	ds_load_b128 v[38:41], v1 offset:1200
	v_fma_f64 v[168:169], v[168:169], v[6:7], v[180:181]
	v_fma_f64 v[6:7], v[166:167], v[6:7], -v[8:9]
	s_waitcnt vmcnt(8) lgkmcnt(1)
	v_mul_f64 v[184:185], v[2:3], v[12:13]
	v_mul_f64 v[12:13], v[4:5], v[12:13]
	v_add_f64 v[8:9], v[178:179], 0
	v_add_f64 v[166:167], v[182:183], 0
	s_waitcnt vmcnt(7) lgkmcnt(0)
	v_mul_f64 v[178:179], v[38:39], v[16:17]
	v_mul_f64 v[16:17], v[40:41], v[16:17]
	v_fma_f64 v[180:181], v[4:5], v[10:11], v[184:185]
	v_fma_f64 v[10:11], v[2:3], v[10:11], -v[12:13]
	v_add_f64 v[12:13], v[8:9], v[6:7]
	v_add_f64 v[166:167], v[166:167], v[168:169]
	ds_load_b128 v[2:5], v1 offset:1216
	ds_load_b128 v[6:9], v1 offset:1232
	v_fma_f64 v[40:41], v[40:41], v[14:15], v[178:179]
	v_fma_f64 v[14:15], v[38:39], v[14:15], -v[16:17]
	s_waitcnt vmcnt(6) lgkmcnt(1)
	v_mul_f64 v[168:169], v[2:3], v[20:21]
	v_mul_f64 v[20:21], v[4:5], v[20:21]
	s_waitcnt vmcnt(5) lgkmcnt(0)
	v_mul_f64 v[16:17], v[6:7], v[24:25]
	v_mul_f64 v[24:25], v[8:9], v[24:25]
	v_add_f64 v[10:11], v[12:13], v[10:11]
	v_add_f64 v[12:13], v[166:167], v[180:181]
	v_fma_f64 v[38:39], v[4:5], v[18:19], v[168:169]
	v_fma_f64 v[18:19], v[2:3], v[18:19], -v[20:21]
	v_fma_f64 v[8:9], v[8:9], v[22:23], v[16:17]
	v_fma_f64 v[6:7], v[6:7], v[22:23], -v[24:25]
	v_add_f64 v[14:15], v[10:11], v[14:15]
	v_add_f64 v[20:21], v[12:13], v[40:41]
	ds_load_b128 v[2:5], v1 offset:1248
	ds_load_b128 v[10:13], v1 offset:1264
	s_waitcnt vmcnt(4) lgkmcnt(1)
	v_mul_f64 v[40:41], v[2:3], v[28:29]
	v_mul_f64 v[28:29], v[4:5], v[28:29]
	v_add_f64 v[14:15], v[14:15], v[18:19]
	v_add_f64 v[16:17], v[20:21], v[38:39]
	s_waitcnt vmcnt(3) lgkmcnt(0)
	v_mul_f64 v[18:19], v[10:11], v[32:33]
	v_mul_f64 v[20:21], v[12:13], v[32:33]
	v_fma_f64 v[22:23], v[4:5], v[26:27], v[40:41]
	v_fma_f64 v[24:25], v[2:3], v[26:27], -v[28:29]
	v_add_f64 v[14:15], v[14:15], v[6:7]
	v_add_f64 v[16:17], v[16:17], v[8:9]
	ds_load_b128 v[2:5], v1 offset:1280
	ds_load_b128 v[6:9], v1 offset:1296
	v_fma_f64 v[12:13], v[12:13], v[30:31], v[18:19]
	v_fma_f64 v[10:11], v[10:11], v[30:31], -v[20:21]
	s_waitcnt vmcnt(2) lgkmcnt(1)
	v_mul_f64 v[26:27], v[2:3], v[36:37]
	v_mul_f64 v[28:29], v[4:5], v[36:37]
	s_waitcnt vmcnt(0) lgkmcnt(0)
	v_mul_f64 v[18:19], v[6:7], v[176:177]
	v_mul_f64 v[20:21], v[8:9], v[176:177]
	v_add_f64 v[14:15], v[14:15], v[24:25]
	v_add_f64 v[16:17], v[16:17], v[22:23]
	v_fma_f64 v[4:5], v[4:5], v[34:35], v[26:27]
	v_fma_f64 v[1:2], v[2:3], v[34:35], -v[28:29]
	v_fma_f64 v[8:9], v[8:9], v[174:175], v[18:19]
	v_fma_f64 v[6:7], v[6:7], v[174:175], -v[20:21]
	v_add_f64 v[10:11], v[14:15], v[10:11]
	v_add_f64 v[12:13], v[16:17], v[12:13]
	s_delay_alu instid0(VALU_DEP_2) | instskip(NEXT) | instid1(VALU_DEP_2)
	v_add_f64 v[1:2], v[10:11], v[1:2]
	v_add_f64 v[3:4], v[12:13], v[4:5]
	s_delay_alu instid0(VALU_DEP_2) | instskip(NEXT) | instid1(VALU_DEP_2)
	v_add_f64 v[1:2], v[1:2], v[6:7]
	v_add_f64 v[3:4], v[3:4], v[8:9]
	s_delay_alu instid0(VALU_DEP_2) | instskip(NEXT) | instid1(VALU_DEP_2)
	v_add_f64 v[1:2], v[170:171], -v[1:2]
	v_add_f64 v[3:4], v[172:173], -v[3:4]
	scratch_store_b128 off, v[1:4], off offset:480
	v_cmpx_lt_u32_e32 29, v124
	s_cbranch_execz .LBB104_201
; %bb.200:
	scratch_load_b128 v[1:4], v125, off
	v_mov_b32_e32 v5, 0
	s_delay_alu instid0(VALU_DEP_1)
	v_mov_b32_e32 v6, v5
	v_mov_b32_e32 v7, v5
	;; [unrolled: 1-line block ×3, first 2 shown]
	scratch_store_b128 off, v[5:8], off offset:464
	s_waitcnt vmcnt(0)
	ds_store_b128 v165, v[1:4]
.LBB104_201:
	s_or_b32 exec_lo, exec_lo, s2
	s_waitcnt lgkmcnt(0)
	s_waitcnt_vscnt null, 0x0
	s_barrier
	buffer_gl0_inv
	s_clause 0x7
	scratch_load_b128 v[2:5], off, off offset:480
	scratch_load_b128 v[6:9], off, off offset:496
	;; [unrolled: 1-line block ×8, first 2 shown]
	v_mov_b32_e32 v1, 0
	s_mov_b32 s2, exec_lo
	ds_load_b128 v[34:37], v1 offset:1136
	s_clause 0x1
	scratch_load_b128 v[38:41], off, off offset:608
	scratch_load_b128 v[166:169], off, off offset:464
	ds_load_b128 v[170:173], v1 offset:1152
	scratch_load_b128 v[174:177], off, off offset:624
	s_waitcnt vmcnt(10) lgkmcnt(1)
	v_mul_f64 v[178:179], v[36:37], v[4:5]
	v_mul_f64 v[4:5], v[34:35], v[4:5]
	s_delay_alu instid0(VALU_DEP_2) | instskip(NEXT) | instid1(VALU_DEP_2)
	v_fma_f64 v[184:185], v[34:35], v[2:3], -v[178:179]
	v_fma_f64 v[186:187], v[36:37], v[2:3], v[4:5]
	scratch_load_b128 v[34:37], off, off offset:640
	ds_load_b128 v[2:5], v1 offset:1168
	s_waitcnt vmcnt(10) lgkmcnt(1)
	v_mul_f64 v[182:183], v[170:171], v[8:9]
	v_mul_f64 v[8:9], v[172:173], v[8:9]
	ds_load_b128 v[178:181], v1 offset:1184
	s_waitcnt vmcnt(9) lgkmcnt(1)
	v_mul_f64 v[188:189], v[2:3], v[12:13]
	v_mul_f64 v[12:13], v[4:5], v[12:13]
	v_fma_f64 v[172:173], v[172:173], v[6:7], v[182:183]
	v_fma_f64 v[6:7], v[170:171], v[6:7], -v[8:9]
	v_add_f64 v[8:9], v[184:185], 0
	v_add_f64 v[170:171], v[186:187], 0
	s_waitcnt vmcnt(8) lgkmcnt(0)
	v_mul_f64 v[182:183], v[178:179], v[16:17]
	v_mul_f64 v[16:17], v[180:181], v[16:17]
	v_fma_f64 v[184:185], v[4:5], v[10:11], v[188:189]
	v_fma_f64 v[10:11], v[2:3], v[10:11], -v[12:13]
	v_add_f64 v[12:13], v[8:9], v[6:7]
	v_add_f64 v[170:171], v[170:171], v[172:173]
	ds_load_b128 v[2:5], v1 offset:1200
	ds_load_b128 v[6:9], v1 offset:1216
	v_fma_f64 v[180:181], v[180:181], v[14:15], v[182:183]
	v_fma_f64 v[14:15], v[178:179], v[14:15], -v[16:17]
	s_waitcnt vmcnt(7) lgkmcnt(1)
	v_mul_f64 v[172:173], v[2:3], v[20:21]
	v_mul_f64 v[20:21], v[4:5], v[20:21]
	s_waitcnt vmcnt(6) lgkmcnt(0)
	v_mul_f64 v[16:17], v[6:7], v[24:25]
	v_mul_f64 v[24:25], v[8:9], v[24:25]
	v_add_f64 v[10:11], v[12:13], v[10:11]
	v_add_f64 v[12:13], v[170:171], v[184:185]
	v_fma_f64 v[170:171], v[4:5], v[18:19], v[172:173]
	v_fma_f64 v[18:19], v[2:3], v[18:19], -v[20:21]
	v_fma_f64 v[8:9], v[8:9], v[22:23], v[16:17]
	v_fma_f64 v[6:7], v[6:7], v[22:23], -v[24:25]
	v_add_f64 v[14:15], v[10:11], v[14:15]
	v_add_f64 v[20:21], v[12:13], v[180:181]
	ds_load_b128 v[2:5], v1 offset:1232
	ds_load_b128 v[10:13], v1 offset:1248
	s_waitcnt vmcnt(5) lgkmcnt(1)
	v_mul_f64 v[172:173], v[2:3], v[28:29]
	v_mul_f64 v[28:29], v[4:5], v[28:29]
	v_add_f64 v[14:15], v[14:15], v[18:19]
	v_add_f64 v[16:17], v[20:21], v[170:171]
	s_waitcnt vmcnt(4) lgkmcnt(0)
	v_mul_f64 v[18:19], v[10:11], v[32:33]
	v_mul_f64 v[20:21], v[12:13], v[32:33]
	v_fma_f64 v[22:23], v[4:5], v[26:27], v[172:173]
	v_fma_f64 v[24:25], v[2:3], v[26:27], -v[28:29]
	v_add_f64 v[14:15], v[14:15], v[6:7]
	v_add_f64 v[16:17], v[16:17], v[8:9]
	ds_load_b128 v[2:5], v1 offset:1264
	ds_load_b128 v[6:9], v1 offset:1280
	v_fma_f64 v[12:13], v[12:13], v[30:31], v[18:19]
	v_fma_f64 v[10:11], v[10:11], v[30:31], -v[20:21]
	s_waitcnt vmcnt(3) lgkmcnt(1)
	v_mul_f64 v[26:27], v[2:3], v[40:41]
	v_mul_f64 v[28:29], v[4:5], v[40:41]
	s_waitcnt vmcnt(1) lgkmcnt(0)
	v_mul_f64 v[18:19], v[6:7], v[176:177]
	v_mul_f64 v[20:21], v[8:9], v[176:177]
	v_add_f64 v[14:15], v[14:15], v[24:25]
	v_add_f64 v[16:17], v[16:17], v[22:23]
	v_fma_f64 v[22:23], v[4:5], v[38:39], v[26:27]
	v_fma_f64 v[24:25], v[2:3], v[38:39], -v[28:29]
	ds_load_b128 v[2:5], v1 offset:1296
	v_fma_f64 v[8:9], v[8:9], v[174:175], v[18:19]
	v_fma_f64 v[6:7], v[6:7], v[174:175], -v[20:21]
	v_add_f64 v[10:11], v[14:15], v[10:11]
	v_add_f64 v[12:13], v[16:17], v[12:13]
	s_waitcnt vmcnt(0) lgkmcnt(0)
	v_mul_f64 v[14:15], v[2:3], v[36:37]
	v_mul_f64 v[16:17], v[4:5], v[36:37]
	s_delay_alu instid0(VALU_DEP_4) | instskip(NEXT) | instid1(VALU_DEP_4)
	v_add_f64 v[10:11], v[10:11], v[24:25]
	v_add_f64 v[12:13], v[12:13], v[22:23]
	s_delay_alu instid0(VALU_DEP_4) | instskip(NEXT) | instid1(VALU_DEP_4)
	v_fma_f64 v[4:5], v[4:5], v[34:35], v[14:15]
	v_fma_f64 v[2:3], v[2:3], v[34:35], -v[16:17]
	s_delay_alu instid0(VALU_DEP_4) | instskip(NEXT) | instid1(VALU_DEP_4)
	v_add_f64 v[6:7], v[10:11], v[6:7]
	v_add_f64 v[8:9], v[12:13], v[8:9]
	s_delay_alu instid0(VALU_DEP_2) | instskip(NEXT) | instid1(VALU_DEP_2)
	v_add_f64 v[2:3], v[6:7], v[2:3]
	v_add_f64 v[4:5], v[8:9], v[4:5]
	s_delay_alu instid0(VALU_DEP_2) | instskip(NEXT) | instid1(VALU_DEP_2)
	v_add_f64 v[2:3], v[166:167], -v[2:3]
	v_add_f64 v[4:5], v[168:169], -v[4:5]
	scratch_store_b128 off, v[2:5], off offset:464
	v_cmpx_lt_u32_e32 28, v124
	s_cbranch_execz .LBB104_203
; %bb.202:
	scratch_load_b128 v[5:8], v132, off
	v_mov_b32_e32 v2, v1
	v_mov_b32_e32 v3, v1
	;; [unrolled: 1-line block ×3, first 2 shown]
	scratch_store_b128 off, v[1:4], off offset:448
	s_waitcnt vmcnt(0)
	ds_store_b128 v165, v[5:8]
.LBB104_203:
	s_or_b32 exec_lo, exec_lo, s2
	s_waitcnt lgkmcnt(0)
	s_waitcnt_vscnt null, 0x0
	s_barrier
	buffer_gl0_inv
	s_clause 0x8
	scratch_load_b128 v[2:5], off, off offset:464
	scratch_load_b128 v[6:9], off, off offset:480
	;; [unrolled: 1-line block ×9, first 2 shown]
	ds_load_b128 v[38:41], v1 offset:1120
	ds_load_b128 v[166:169], v1 offset:1136
	s_clause 0x1
	scratch_load_b128 v[170:173], off, off offset:448
	scratch_load_b128 v[174:177], off, off offset:608
	s_mov_b32 s2, exec_lo
	s_waitcnt vmcnt(10) lgkmcnt(1)
	v_mul_f64 v[178:179], v[40:41], v[4:5]
	v_mul_f64 v[4:5], v[38:39], v[4:5]
	s_waitcnt vmcnt(9) lgkmcnt(0)
	v_mul_f64 v[182:183], v[166:167], v[8:9]
	v_mul_f64 v[8:9], v[168:169], v[8:9]
	s_delay_alu instid0(VALU_DEP_4) | instskip(NEXT) | instid1(VALU_DEP_4)
	v_fma_f64 v[184:185], v[38:39], v[2:3], -v[178:179]
	v_fma_f64 v[186:187], v[40:41], v[2:3], v[4:5]
	ds_load_b128 v[2:5], v1 offset:1152
	ds_load_b128 v[178:181], v1 offset:1168
	scratch_load_b128 v[38:41], off, off offset:624
	v_fma_f64 v[168:169], v[168:169], v[6:7], v[182:183]
	v_fma_f64 v[166:167], v[166:167], v[6:7], -v[8:9]
	scratch_load_b128 v[6:9], off, off offset:640
	s_waitcnt vmcnt(10) lgkmcnt(1)
	v_mul_f64 v[188:189], v[2:3], v[12:13]
	v_mul_f64 v[12:13], v[4:5], v[12:13]
	v_add_f64 v[182:183], v[184:185], 0
	v_add_f64 v[184:185], v[186:187], 0
	s_waitcnt vmcnt(9) lgkmcnt(0)
	v_mul_f64 v[186:187], v[178:179], v[16:17]
	v_mul_f64 v[16:17], v[180:181], v[16:17]
	v_fma_f64 v[188:189], v[4:5], v[10:11], v[188:189]
	v_fma_f64 v[190:191], v[2:3], v[10:11], -v[12:13]
	ds_load_b128 v[2:5], v1 offset:1184
	ds_load_b128 v[10:13], v1 offset:1200
	v_add_f64 v[166:167], v[182:183], v[166:167]
	v_add_f64 v[168:169], v[184:185], v[168:169]
	v_fma_f64 v[180:181], v[180:181], v[14:15], v[186:187]
	v_fma_f64 v[14:15], v[178:179], v[14:15], -v[16:17]
	s_waitcnt vmcnt(8) lgkmcnt(1)
	v_mul_f64 v[182:183], v[2:3], v[20:21]
	v_mul_f64 v[20:21], v[4:5], v[20:21]
	v_add_f64 v[16:17], v[166:167], v[190:191]
	v_add_f64 v[166:167], v[168:169], v[188:189]
	s_waitcnt vmcnt(7) lgkmcnt(0)
	v_mul_f64 v[168:169], v[10:11], v[24:25]
	v_mul_f64 v[24:25], v[12:13], v[24:25]
	v_fma_f64 v[178:179], v[4:5], v[18:19], v[182:183]
	v_fma_f64 v[18:19], v[2:3], v[18:19], -v[20:21]
	v_add_f64 v[20:21], v[16:17], v[14:15]
	v_add_f64 v[166:167], v[166:167], v[180:181]
	ds_load_b128 v[2:5], v1 offset:1216
	ds_load_b128 v[14:17], v1 offset:1232
	v_fma_f64 v[12:13], v[12:13], v[22:23], v[168:169]
	v_fma_f64 v[10:11], v[10:11], v[22:23], -v[24:25]
	s_waitcnt vmcnt(6) lgkmcnt(1)
	v_mul_f64 v[180:181], v[2:3], v[28:29]
	v_mul_f64 v[28:29], v[4:5], v[28:29]
	s_waitcnt vmcnt(5) lgkmcnt(0)
	v_mul_f64 v[22:23], v[14:15], v[32:33]
	v_mul_f64 v[24:25], v[16:17], v[32:33]
	v_add_f64 v[18:19], v[20:21], v[18:19]
	v_add_f64 v[20:21], v[166:167], v[178:179]
	v_fma_f64 v[32:33], v[4:5], v[26:27], v[180:181]
	v_fma_f64 v[26:27], v[2:3], v[26:27], -v[28:29]
	v_fma_f64 v[16:17], v[16:17], v[30:31], v[22:23]
	v_fma_f64 v[14:15], v[14:15], v[30:31], -v[24:25]
	v_add_f64 v[18:19], v[18:19], v[10:11]
	v_add_f64 v[20:21], v[20:21], v[12:13]
	ds_load_b128 v[2:5], v1 offset:1248
	ds_load_b128 v[10:13], v1 offset:1264
	s_waitcnt vmcnt(4) lgkmcnt(1)
	v_mul_f64 v[28:29], v[2:3], v[36:37]
	v_mul_f64 v[36:37], v[4:5], v[36:37]
	s_waitcnt vmcnt(2) lgkmcnt(0)
	v_mul_f64 v[22:23], v[10:11], v[176:177]
	v_mul_f64 v[24:25], v[12:13], v[176:177]
	v_add_f64 v[18:19], v[18:19], v[26:27]
	v_add_f64 v[20:21], v[20:21], v[32:33]
	v_fma_f64 v[26:27], v[4:5], v[34:35], v[28:29]
	v_fma_f64 v[28:29], v[2:3], v[34:35], -v[36:37]
	v_fma_f64 v[12:13], v[12:13], v[174:175], v[22:23]
	v_fma_f64 v[10:11], v[10:11], v[174:175], -v[24:25]
	v_add_f64 v[18:19], v[18:19], v[14:15]
	v_add_f64 v[20:21], v[20:21], v[16:17]
	ds_load_b128 v[2:5], v1 offset:1280
	ds_load_b128 v[14:17], v1 offset:1296
	s_waitcnt vmcnt(1) lgkmcnt(1)
	v_mul_f64 v[30:31], v[2:3], v[40:41]
	v_mul_f64 v[32:33], v[4:5], v[40:41]
	s_waitcnt vmcnt(0) lgkmcnt(0)
	v_mul_f64 v[22:23], v[14:15], v[8:9]
	v_mul_f64 v[8:9], v[16:17], v[8:9]
	v_add_f64 v[18:19], v[18:19], v[28:29]
	v_add_f64 v[20:21], v[20:21], v[26:27]
	v_fma_f64 v[4:5], v[4:5], v[38:39], v[30:31]
	v_fma_f64 v[1:2], v[2:3], v[38:39], -v[32:33]
	v_fma_f64 v[16:17], v[16:17], v[6:7], v[22:23]
	v_fma_f64 v[6:7], v[14:15], v[6:7], -v[8:9]
	v_add_f64 v[10:11], v[18:19], v[10:11]
	v_add_f64 v[12:13], v[20:21], v[12:13]
	s_delay_alu instid0(VALU_DEP_2) | instskip(NEXT) | instid1(VALU_DEP_2)
	v_add_f64 v[1:2], v[10:11], v[1:2]
	v_add_f64 v[3:4], v[12:13], v[4:5]
	s_delay_alu instid0(VALU_DEP_2) | instskip(NEXT) | instid1(VALU_DEP_2)
	;; [unrolled: 3-line block ×3, first 2 shown]
	v_add_f64 v[1:2], v[170:171], -v[1:2]
	v_add_f64 v[3:4], v[172:173], -v[3:4]
	scratch_store_b128 off, v[1:4], off offset:448
	v_cmpx_lt_u32_e32 27, v124
	s_cbranch_execz .LBB104_205
; %bb.204:
	scratch_load_b128 v[1:4], v133, off
	v_mov_b32_e32 v5, 0
	s_delay_alu instid0(VALU_DEP_1)
	v_mov_b32_e32 v6, v5
	v_mov_b32_e32 v7, v5
	;; [unrolled: 1-line block ×3, first 2 shown]
	scratch_store_b128 off, v[5:8], off offset:432
	s_waitcnt vmcnt(0)
	ds_store_b128 v165, v[1:4]
.LBB104_205:
	s_or_b32 exec_lo, exec_lo, s2
	s_waitcnt lgkmcnt(0)
	s_waitcnt_vscnt null, 0x0
	s_barrier
	buffer_gl0_inv
	s_clause 0x7
	scratch_load_b128 v[2:5], off, off offset:448
	scratch_load_b128 v[6:9], off, off offset:464
	;; [unrolled: 1-line block ×8, first 2 shown]
	v_mov_b32_e32 v1, 0
	s_clause 0x1
	scratch_load_b128 v[38:41], off, off offset:576
	scratch_load_b128 v[170:173], off, off offset:592
	s_mov_b32 s2, exec_lo
	ds_load_b128 v[34:37], v1 offset:1104
	ds_load_b128 v[166:169], v1 offset:1120
	s_waitcnt vmcnt(9) lgkmcnt(1)
	v_mul_f64 v[174:175], v[36:37], v[4:5]
	v_mul_f64 v[4:5], v[34:35], v[4:5]
	s_waitcnt vmcnt(8) lgkmcnt(0)
	v_mul_f64 v[176:177], v[166:167], v[8:9]
	v_mul_f64 v[8:9], v[168:169], v[8:9]
	s_delay_alu instid0(VALU_DEP_4) | instskip(NEXT) | instid1(VALU_DEP_4)
	v_fma_f64 v[174:175], v[34:35], v[2:3], -v[174:175]
	v_fma_f64 v[178:179], v[36:37], v[2:3], v[4:5]
	ds_load_b128 v[2:5], v1 offset:1136
	scratch_load_b128 v[34:37], off, off offset:608
	v_fma_f64 v[176:177], v[168:169], v[6:7], v[176:177]
	v_fma_f64 v[182:183], v[166:167], v[6:7], -v[8:9]
	ds_load_b128 v[6:9], v1 offset:1152
	scratch_load_b128 v[166:169], off, off offset:624
	s_waitcnt vmcnt(9) lgkmcnt(1)
	v_mul_f64 v[180:181], v[2:3], v[12:13]
	v_mul_f64 v[12:13], v[4:5], v[12:13]
	s_waitcnt vmcnt(8) lgkmcnt(0)
	v_mul_f64 v[184:185], v[6:7], v[16:17]
	v_mul_f64 v[16:17], v[8:9], v[16:17]
	v_add_f64 v[174:175], v[174:175], 0
	v_add_f64 v[178:179], v[178:179], 0
	v_fma_f64 v[180:181], v[4:5], v[10:11], v[180:181]
	v_fma_f64 v[186:187], v[2:3], v[10:11], -v[12:13]
	scratch_load_b128 v[10:13], off, off offset:640
	ds_load_b128 v[2:5], v1 offset:1168
	v_add_f64 v[174:175], v[174:175], v[182:183]
	v_add_f64 v[176:177], v[178:179], v[176:177]
	v_fma_f64 v[182:183], v[8:9], v[14:15], v[184:185]
	v_fma_f64 v[14:15], v[6:7], v[14:15], -v[16:17]
	ds_load_b128 v[6:9], v1 offset:1184
	s_waitcnt vmcnt(8) lgkmcnt(1)
	v_mul_f64 v[178:179], v[2:3], v[20:21]
	v_mul_f64 v[20:21], v[4:5], v[20:21]
	v_add_f64 v[16:17], v[174:175], v[186:187]
	v_add_f64 v[174:175], v[176:177], v[180:181]
	s_waitcnt vmcnt(7) lgkmcnt(0)
	v_mul_f64 v[176:177], v[6:7], v[24:25]
	v_mul_f64 v[24:25], v[8:9], v[24:25]
	v_fma_f64 v[178:179], v[4:5], v[18:19], v[178:179]
	v_fma_f64 v[18:19], v[2:3], v[18:19], -v[20:21]
	ds_load_b128 v[2:5], v1 offset:1200
	v_add_f64 v[14:15], v[16:17], v[14:15]
	v_add_f64 v[16:17], v[174:175], v[182:183]
	v_fma_f64 v[174:175], v[8:9], v[22:23], v[176:177]
	v_fma_f64 v[22:23], v[6:7], v[22:23], -v[24:25]
	ds_load_b128 v[6:9], v1 offset:1216
	s_waitcnt vmcnt(6) lgkmcnt(1)
	v_mul_f64 v[20:21], v[2:3], v[28:29]
	v_mul_f64 v[28:29], v[4:5], v[28:29]
	s_waitcnt vmcnt(5) lgkmcnt(0)
	v_mul_f64 v[176:177], v[6:7], v[32:33]
	v_mul_f64 v[32:33], v[8:9], v[32:33]
	v_add_f64 v[18:19], v[14:15], v[18:19]
	v_add_f64 v[24:25], v[16:17], v[178:179]
	scratch_load_b128 v[14:17], off, off offset:432
	v_fma_f64 v[20:21], v[4:5], v[26:27], v[20:21]
	v_fma_f64 v[26:27], v[2:3], v[26:27], -v[28:29]
	ds_load_b128 v[2:5], v1 offset:1232
	s_waitcnt vmcnt(5) lgkmcnt(0)
	v_mul_f64 v[28:29], v[4:5], v[40:41]
	v_add_f64 v[18:19], v[18:19], v[22:23]
	v_add_f64 v[22:23], v[24:25], v[174:175]
	v_mul_f64 v[24:25], v[2:3], v[40:41]
	v_fma_f64 v[40:41], v[8:9], v[30:31], v[176:177]
	v_fma_f64 v[30:31], v[6:7], v[30:31], -v[32:33]
	ds_load_b128 v[6:9], v1 offset:1248
	v_fma_f64 v[28:29], v[2:3], v[38:39], -v[28:29]
	v_add_f64 v[18:19], v[18:19], v[26:27]
	v_add_f64 v[20:21], v[22:23], v[20:21]
	v_fma_f64 v[24:25], v[4:5], v[38:39], v[24:25]
	ds_load_b128 v[2:5], v1 offset:1264
	s_waitcnt vmcnt(4) lgkmcnt(1)
	v_mul_f64 v[22:23], v[6:7], v[172:173]
	v_mul_f64 v[26:27], v[8:9], v[172:173]
	v_add_f64 v[18:19], v[18:19], v[30:31]
	v_add_f64 v[20:21], v[20:21], v[40:41]
	s_delay_alu instid0(VALU_DEP_4) | instskip(NEXT) | instid1(VALU_DEP_4)
	v_fma_f64 v[22:23], v[8:9], v[170:171], v[22:23]
	v_fma_f64 v[26:27], v[6:7], v[170:171], -v[26:27]
	ds_load_b128 v[6:9], v1 offset:1280
	s_waitcnt vmcnt(3) lgkmcnt(1)
	v_mul_f64 v[30:31], v[2:3], v[36:37]
	v_mul_f64 v[32:33], v[4:5], v[36:37]
	v_add_f64 v[18:19], v[18:19], v[28:29]
	v_add_f64 v[20:21], v[20:21], v[24:25]
	s_delay_alu instid0(VALU_DEP_4) | instskip(NEXT) | instid1(VALU_DEP_4)
	v_fma_f64 v[30:31], v[4:5], v[34:35], v[30:31]
	v_fma_f64 v[32:33], v[2:3], v[34:35], -v[32:33]
	ds_load_b128 v[2:5], v1 offset:1296
	s_waitcnt vmcnt(2) lgkmcnt(1)
	v_mul_f64 v[24:25], v[6:7], v[168:169]
	v_mul_f64 v[28:29], v[8:9], v[168:169]
	v_add_f64 v[18:19], v[18:19], v[26:27]
	v_add_f64 v[20:21], v[20:21], v[22:23]
	s_waitcnt vmcnt(1) lgkmcnt(0)
	v_mul_f64 v[22:23], v[2:3], v[12:13]
	v_mul_f64 v[12:13], v[4:5], v[12:13]
	v_fma_f64 v[8:9], v[8:9], v[166:167], v[24:25]
	v_fma_f64 v[6:7], v[6:7], v[166:167], -v[28:29]
	v_add_f64 v[18:19], v[18:19], v[32:33]
	v_add_f64 v[20:21], v[20:21], v[30:31]
	v_fma_f64 v[4:5], v[4:5], v[10:11], v[22:23]
	v_fma_f64 v[2:3], v[2:3], v[10:11], -v[12:13]
	s_delay_alu instid0(VALU_DEP_4) | instskip(NEXT) | instid1(VALU_DEP_4)
	v_add_f64 v[6:7], v[18:19], v[6:7]
	v_add_f64 v[8:9], v[20:21], v[8:9]
	s_delay_alu instid0(VALU_DEP_2) | instskip(NEXT) | instid1(VALU_DEP_2)
	v_add_f64 v[2:3], v[6:7], v[2:3]
	v_add_f64 v[4:5], v[8:9], v[4:5]
	s_waitcnt vmcnt(0)
	s_delay_alu instid0(VALU_DEP_2) | instskip(NEXT) | instid1(VALU_DEP_2)
	v_add_f64 v[2:3], v[14:15], -v[2:3]
	v_add_f64 v[4:5], v[16:17], -v[4:5]
	scratch_store_b128 off, v[2:5], off offset:432
	v_cmpx_lt_u32_e32 26, v124
	s_cbranch_execz .LBB104_207
; %bb.206:
	scratch_load_b128 v[5:8], v138, off
	v_mov_b32_e32 v2, v1
	v_mov_b32_e32 v3, v1
	;; [unrolled: 1-line block ×3, first 2 shown]
	scratch_store_b128 off, v[1:4], off offset:416
	s_waitcnt vmcnt(0)
	ds_store_b128 v165, v[5:8]
.LBB104_207:
	s_or_b32 exec_lo, exec_lo, s2
	s_waitcnt lgkmcnt(0)
	s_waitcnt_vscnt null, 0x0
	s_barrier
	buffer_gl0_inv
	s_clause 0x7
	scratch_load_b128 v[2:5], off, off offset:432
	scratch_load_b128 v[6:9], off, off offset:448
	;; [unrolled: 1-line block ×8, first 2 shown]
	ds_load_b128 v[34:37], v1 offset:1088
	ds_load_b128 v[166:169], v1 offset:1104
	s_clause 0x1
	scratch_load_b128 v[38:41], off, off offset:560
	scratch_load_b128 v[170:173], off, off offset:576
	s_mov_b32 s2, exec_lo
	s_waitcnt vmcnt(9) lgkmcnt(1)
	v_mul_f64 v[174:175], v[36:37], v[4:5]
	v_mul_f64 v[4:5], v[34:35], v[4:5]
	s_waitcnt vmcnt(8) lgkmcnt(0)
	v_mul_f64 v[176:177], v[166:167], v[8:9]
	v_mul_f64 v[8:9], v[168:169], v[8:9]
	s_delay_alu instid0(VALU_DEP_4) | instskip(NEXT) | instid1(VALU_DEP_4)
	v_fma_f64 v[174:175], v[34:35], v[2:3], -v[174:175]
	v_fma_f64 v[178:179], v[36:37], v[2:3], v[4:5]
	scratch_load_b128 v[34:37], off, off offset:592
	ds_load_b128 v[2:5], v1 offset:1120
	v_fma_f64 v[176:177], v[168:169], v[6:7], v[176:177]
	v_fma_f64 v[182:183], v[166:167], v[6:7], -v[8:9]
	ds_load_b128 v[6:9], v1 offset:1136
	scratch_load_b128 v[166:169], off, off offset:608
	s_waitcnt vmcnt(9) lgkmcnt(1)
	v_mul_f64 v[180:181], v[2:3], v[12:13]
	v_mul_f64 v[12:13], v[4:5], v[12:13]
	s_waitcnt vmcnt(8) lgkmcnt(0)
	v_mul_f64 v[184:185], v[6:7], v[16:17]
	v_mul_f64 v[16:17], v[8:9], v[16:17]
	v_add_f64 v[174:175], v[174:175], 0
	v_add_f64 v[178:179], v[178:179], 0
	v_fma_f64 v[180:181], v[4:5], v[10:11], v[180:181]
	v_fma_f64 v[186:187], v[2:3], v[10:11], -v[12:13]
	scratch_load_b128 v[10:13], off, off offset:624
	ds_load_b128 v[2:5], v1 offset:1152
	v_add_f64 v[174:175], v[174:175], v[182:183]
	v_add_f64 v[176:177], v[178:179], v[176:177]
	v_fma_f64 v[182:183], v[8:9], v[14:15], v[184:185]
	v_fma_f64 v[184:185], v[6:7], v[14:15], -v[16:17]
	ds_load_b128 v[6:9], v1 offset:1168
	scratch_load_b128 v[14:17], off, off offset:640
	s_waitcnt vmcnt(9) lgkmcnt(1)
	v_mul_f64 v[178:179], v[2:3], v[20:21]
	v_mul_f64 v[20:21], v[4:5], v[20:21]
	v_add_f64 v[174:175], v[174:175], v[186:187]
	v_add_f64 v[176:177], v[176:177], v[180:181]
	s_waitcnt vmcnt(8) lgkmcnt(0)
	v_mul_f64 v[180:181], v[6:7], v[24:25]
	v_mul_f64 v[24:25], v[8:9], v[24:25]
	v_fma_f64 v[178:179], v[4:5], v[18:19], v[178:179]
	v_fma_f64 v[18:19], v[2:3], v[18:19], -v[20:21]
	ds_load_b128 v[2:5], v1 offset:1184
	v_add_f64 v[20:21], v[174:175], v[184:185]
	v_add_f64 v[174:175], v[176:177], v[182:183]
	v_fma_f64 v[180:181], v[8:9], v[22:23], v[180:181]
	v_fma_f64 v[22:23], v[6:7], v[22:23], -v[24:25]
	ds_load_b128 v[6:9], v1 offset:1200
	s_waitcnt vmcnt(7) lgkmcnt(1)
	v_mul_f64 v[176:177], v[2:3], v[28:29]
	v_mul_f64 v[28:29], v[4:5], v[28:29]
	s_waitcnt vmcnt(6) lgkmcnt(0)
	v_mul_f64 v[24:25], v[6:7], v[32:33]
	v_mul_f64 v[32:33], v[8:9], v[32:33]
	v_add_f64 v[18:19], v[20:21], v[18:19]
	v_add_f64 v[20:21], v[174:175], v[178:179]
	v_fma_f64 v[174:175], v[4:5], v[26:27], v[176:177]
	v_fma_f64 v[26:27], v[2:3], v[26:27], -v[28:29]
	ds_load_b128 v[2:5], v1 offset:1216
	v_fma_f64 v[24:25], v[8:9], v[30:31], v[24:25]
	v_fma_f64 v[30:31], v[6:7], v[30:31], -v[32:33]
	ds_load_b128 v[6:9], v1 offset:1232
	v_add_f64 v[22:23], v[18:19], v[22:23]
	v_add_f64 v[28:29], v[20:21], v[180:181]
	scratch_load_b128 v[18:21], off, off offset:416
	s_waitcnt vmcnt(6) lgkmcnt(1)
	v_mul_f64 v[176:177], v[2:3], v[40:41]
	v_mul_f64 v[40:41], v[4:5], v[40:41]
	s_waitcnt vmcnt(5) lgkmcnt(0)
	v_mul_f64 v[32:33], v[8:9], v[172:173]
	v_add_f64 v[22:23], v[22:23], v[26:27]
	v_add_f64 v[26:27], v[28:29], v[174:175]
	v_mul_f64 v[28:29], v[6:7], v[172:173]
	v_fma_f64 v[172:173], v[4:5], v[38:39], v[176:177]
	v_fma_f64 v[38:39], v[2:3], v[38:39], -v[40:41]
	ds_load_b128 v[2:5], v1 offset:1248
	v_fma_f64 v[32:33], v[6:7], v[170:171], -v[32:33]
	v_add_f64 v[22:23], v[22:23], v[30:31]
	v_add_f64 v[24:25], v[26:27], v[24:25]
	v_fma_f64 v[28:29], v[8:9], v[170:171], v[28:29]
	ds_load_b128 v[6:9], v1 offset:1264
	s_waitcnt vmcnt(4) lgkmcnt(1)
	v_mul_f64 v[26:27], v[2:3], v[36:37]
	v_mul_f64 v[30:31], v[4:5], v[36:37]
	s_waitcnt vmcnt(3) lgkmcnt(0)
	v_mul_f64 v[36:37], v[6:7], v[168:169]
	v_add_f64 v[22:23], v[22:23], v[38:39]
	v_add_f64 v[24:25], v[24:25], v[172:173]
	v_mul_f64 v[38:39], v[8:9], v[168:169]
	v_fma_f64 v[26:27], v[4:5], v[34:35], v[26:27]
	v_fma_f64 v[30:31], v[2:3], v[34:35], -v[30:31]
	ds_load_b128 v[2:5], v1 offset:1280
	v_add_f64 v[22:23], v[22:23], v[32:33]
	v_add_f64 v[24:25], v[24:25], v[28:29]
	v_fma_f64 v[32:33], v[8:9], v[166:167], v[36:37]
	v_fma_f64 v[34:35], v[6:7], v[166:167], -v[38:39]
	ds_load_b128 v[6:9], v1 offset:1296
	s_waitcnt vmcnt(2) lgkmcnt(1)
	v_mul_f64 v[28:29], v[2:3], v[12:13]
	v_mul_f64 v[12:13], v[4:5], v[12:13]
	v_add_f64 v[22:23], v[22:23], v[30:31]
	v_add_f64 v[24:25], v[24:25], v[26:27]
	s_waitcnt vmcnt(1) lgkmcnt(0)
	v_mul_f64 v[26:27], v[6:7], v[16:17]
	v_mul_f64 v[16:17], v[8:9], v[16:17]
	v_fma_f64 v[4:5], v[4:5], v[10:11], v[28:29]
	v_fma_f64 v[1:2], v[2:3], v[10:11], -v[12:13]
	v_add_f64 v[10:11], v[22:23], v[34:35]
	v_add_f64 v[12:13], v[24:25], v[32:33]
	v_fma_f64 v[8:9], v[8:9], v[14:15], v[26:27]
	v_fma_f64 v[6:7], v[6:7], v[14:15], -v[16:17]
	s_delay_alu instid0(VALU_DEP_4) | instskip(NEXT) | instid1(VALU_DEP_4)
	v_add_f64 v[1:2], v[10:11], v[1:2]
	v_add_f64 v[3:4], v[12:13], v[4:5]
	s_delay_alu instid0(VALU_DEP_2) | instskip(NEXT) | instid1(VALU_DEP_2)
	v_add_f64 v[1:2], v[1:2], v[6:7]
	v_add_f64 v[3:4], v[3:4], v[8:9]
	s_waitcnt vmcnt(0)
	s_delay_alu instid0(VALU_DEP_2) | instskip(NEXT) | instid1(VALU_DEP_2)
	v_add_f64 v[1:2], v[18:19], -v[1:2]
	v_add_f64 v[3:4], v[20:21], -v[3:4]
	scratch_store_b128 off, v[1:4], off offset:416
	v_cmpx_lt_u32_e32 25, v124
	s_cbranch_execz .LBB104_209
; %bb.208:
	scratch_load_b128 v[1:4], v139, off
	v_mov_b32_e32 v5, 0
	s_delay_alu instid0(VALU_DEP_1)
	v_mov_b32_e32 v6, v5
	v_mov_b32_e32 v7, v5
	;; [unrolled: 1-line block ×3, first 2 shown]
	scratch_store_b128 off, v[5:8], off offset:400
	s_waitcnt vmcnt(0)
	ds_store_b128 v165, v[1:4]
.LBB104_209:
	s_or_b32 exec_lo, exec_lo, s2
	s_waitcnt lgkmcnt(0)
	s_waitcnt_vscnt null, 0x0
	s_barrier
	buffer_gl0_inv
	s_clause 0x7
	scratch_load_b128 v[2:5], off, off offset:416
	scratch_load_b128 v[6:9], off, off offset:432
	;; [unrolled: 1-line block ×8, first 2 shown]
	v_mov_b32_e32 v1, 0
	s_clause 0x1
	scratch_load_b128 v[38:41], off, off offset:544
	scratch_load_b128 v[170:173], off, off offset:560
	s_mov_b32 s2, exec_lo
	ds_load_b128 v[34:37], v1 offset:1072
	ds_load_b128 v[166:169], v1 offset:1088
	s_waitcnt vmcnt(9) lgkmcnt(1)
	v_mul_f64 v[174:175], v[36:37], v[4:5]
	v_mul_f64 v[4:5], v[34:35], v[4:5]
	s_waitcnt vmcnt(8) lgkmcnt(0)
	v_mul_f64 v[176:177], v[166:167], v[8:9]
	v_mul_f64 v[8:9], v[168:169], v[8:9]
	s_delay_alu instid0(VALU_DEP_4) | instskip(NEXT) | instid1(VALU_DEP_4)
	v_fma_f64 v[174:175], v[34:35], v[2:3], -v[174:175]
	v_fma_f64 v[178:179], v[36:37], v[2:3], v[4:5]
	ds_load_b128 v[2:5], v1 offset:1104
	scratch_load_b128 v[34:37], off, off offset:576
	v_fma_f64 v[176:177], v[168:169], v[6:7], v[176:177]
	v_fma_f64 v[182:183], v[166:167], v[6:7], -v[8:9]
	ds_load_b128 v[6:9], v1 offset:1120
	scratch_load_b128 v[166:169], off, off offset:592
	s_waitcnt vmcnt(9) lgkmcnt(1)
	v_mul_f64 v[180:181], v[2:3], v[12:13]
	v_mul_f64 v[12:13], v[4:5], v[12:13]
	s_waitcnt vmcnt(8) lgkmcnt(0)
	v_mul_f64 v[184:185], v[6:7], v[16:17]
	v_mul_f64 v[16:17], v[8:9], v[16:17]
	v_add_f64 v[174:175], v[174:175], 0
	v_add_f64 v[178:179], v[178:179], 0
	v_fma_f64 v[180:181], v[4:5], v[10:11], v[180:181]
	v_fma_f64 v[186:187], v[2:3], v[10:11], -v[12:13]
	scratch_load_b128 v[10:13], off, off offset:608
	ds_load_b128 v[2:5], v1 offset:1136
	v_add_f64 v[174:175], v[174:175], v[182:183]
	v_add_f64 v[176:177], v[178:179], v[176:177]
	v_fma_f64 v[182:183], v[8:9], v[14:15], v[184:185]
	v_fma_f64 v[184:185], v[6:7], v[14:15], -v[16:17]
	ds_load_b128 v[6:9], v1 offset:1152
	scratch_load_b128 v[14:17], off, off offset:624
	s_waitcnt vmcnt(9) lgkmcnt(1)
	v_mul_f64 v[178:179], v[2:3], v[20:21]
	v_mul_f64 v[20:21], v[4:5], v[20:21]
	v_add_f64 v[174:175], v[174:175], v[186:187]
	v_add_f64 v[176:177], v[176:177], v[180:181]
	s_waitcnt vmcnt(8) lgkmcnt(0)
	v_mul_f64 v[180:181], v[6:7], v[24:25]
	v_mul_f64 v[24:25], v[8:9], v[24:25]
	v_fma_f64 v[178:179], v[4:5], v[18:19], v[178:179]
	v_fma_f64 v[186:187], v[2:3], v[18:19], -v[20:21]
	scratch_load_b128 v[18:21], off, off offset:640
	ds_load_b128 v[2:5], v1 offset:1168
	v_add_f64 v[174:175], v[174:175], v[184:185]
	v_add_f64 v[176:177], v[176:177], v[182:183]
	v_fma_f64 v[180:181], v[8:9], v[22:23], v[180:181]
	v_fma_f64 v[22:23], v[6:7], v[22:23], -v[24:25]
	ds_load_b128 v[6:9], v1 offset:1184
	s_waitcnt vmcnt(8) lgkmcnt(1)
	v_mul_f64 v[182:183], v[2:3], v[28:29]
	v_mul_f64 v[28:29], v[4:5], v[28:29]
	v_add_f64 v[24:25], v[174:175], v[186:187]
	v_add_f64 v[174:175], v[176:177], v[178:179]
	s_waitcnt vmcnt(7) lgkmcnt(0)
	v_mul_f64 v[176:177], v[6:7], v[32:33]
	v_mul_f64 v[32:33], v[8:9], v[32:33]
	v_fma_f64 v[178:179], v[4:5], v[26:27], v[182:183]
	v_fma_f64 v[26:27], v[2:3], v[26:27], -v[28:29]
	ds_load_b128 v[2:5], v1 offset:1200
	v_add_f64 v[22:23], v[24:25], v[22:23]
	v_add_f64 v[24:25], v[174:175], v[180:181]
	v_fma_f64 v[174:175], v[8:9], v[30:31], v[176:177]
	v_fma_f64 v[30:31], v[6:7], v[30:31], -v[32:33]
	ds_load_b128 v[6:9], v1 offset:1216
	s_waitcnt vmcnt(5) lgkmcnt(0)
	v_mul_f64 v[176:177], v[6:7], v[172:173]
	v_mul_f64 v[172:173], v[8:9], v[172:173]
	v_add_f64 v[26:27], v[22:23], v[26:27]
	v_add_f64 v[32:33], v[24:25], v[178:179]
	scratch_load_b128 v[22:25], off, off offset:400
	v_mul_f64 v[28:29], v[2:3], v[40:41]
	v_mul_f64 v[40:41], v[4:5], v[40:41]
	v_add_f64 v[26:27], v[26:27], v[30:31]
	v_add_f64 v[30:31], v[32:33], v[174:175]
	s_delay_alu instid0(VALU_DEP_4) | instskip(NEXT) | instid1(VALU_DEP_4)
	v_fma_f64 v[28:29], v[4:5], v[38:39], v[28:29]
	v_fma_f64 v[38:39], v[2:3], v[38:39], -v[40:41]
	ds_load_b128 v[2:5], v1 offset:1232
	v_fma_f64 v[40:41], v[8:9], v[170:171], v[176:177]
	v_fma_f64 v[170:171], v[6:7], v[170:171], -v[172:173]
	ds_load_b128 v[6:9], v1 offset:1248
	s_waitcnt vmcnt(5) lgkmcnt(1)
	v_mul_f64 v[32:33], v[2:3], v[36:37]
	v_mul_f64 v[36:37], v[4:5], v[36:37]
	v_add_f64 v[28:29], v[30:31], v[28:29]
	v_add_f64 v[26:27], v[26:27], v[38:39]
	s_waitcnt vmcnt(4) lgkmcnt(0)
	v_mul_f64 v[30:31], v[6:7], v[168:169]
	v_mul_f64 v[38:39], v[8:9], v[168:169]
	v_fma_f64 v[32:33], v[4:5], v[34:35], v[32:33]
	v_fma_f64 v[34:35], v[2:3], v[34:35], -v[36:37]
	ds_load_b128 v[2:5], v1 offset:1264
	v_add_f64 v[28:29], v[28:29], v[40:41]
	v_add_f64 v[26:27], v[26:27], v[170:171]
	v_fma_f64 v[30:31], v[8:9], v[166:167], v[30:31]
	v_fma_f64 v[38:39], v[6:7], v[166:167], -v[38:39]
	ds_load_b128 v[6:9], v1 offset:1280
	s_waitcnt vmcnt(3) lgkmcnt(1)
	v_mul_f64 v[36:37], v[2:3], v[12:13]
	v_mul_f64 v[12:13], v[4:5], v[12:13]
	v_add_f64 v[28:29], v[28:29], v[32:33]
	v_add_f64 v[26:27], v[26:27], v[34:35]
	s_waitcnt vmcnt(2) lgkmcnt(0)
	v_mul_f64 v[32:33], v[6:7], v[16:17]
	v_mul_f64 v[16:17], v[8:9], v[16:17]
	v_fma_f64 v[34:35], v[4:5], v[10:11], v[36:37]
	v_fma_f64 v[10:11], v[2:3], v[10:11], -v[12:13]
	ds_load_b128 v[2:5], v1 offset:1296
	v_add_f64 v[12:13], v[26:27], v[38:39]
	v_add_f64 v[26:27], v[28:29], v[30:31]
	s_waitcnt vmcnt(1) lgkmcnt(0)
	v_mul_f64 v[28:29], v[2:3], v[20:21]
	v_mul_f64 v[20:21], v[4:5], v[20:21]
	v_fma_f64 v[8:9], v[8:9], v[14:15], v[32:33]
	v_fma_f64 v[6:7], v[6:7], v[14:15], -v[16:17]
	v_add_f64 v[10:11], v[12:13], v[10:11]
	v_add_f64 v[12:13], v[26:27], v[34:35]
	v_fma_f64 v[4:5], v[4:5], v[18:19], v[28:29]
	v_fma_f64 v[2:3], v[2:3], v[18:19], -v[20:21]
	s_delay_alu instid0(VALU_DEP_4) | instskip(NEXT) | instid1(VALU_DEP_4)
	v_add_f64 v[6:7], v[10:11], v[6:7]
	v_add_f64 v[8:9], v[12:13], v[8:9]
	s_delay_alu instid0(VALU_DEP_2) | instskip(NEXT) | instid1(VALU_DEP_2)
	v_add_f64 v[2:3], v[6:7], v[2:3]
	v_add_f64 v[4:5], v[8:9], v[4:5]
	s_waitcnt vmcnt(0)
	s_delay_alu instid0(VALU_DEP_2) | instskip(NEXT) | instid1(VALU_DEP_2)
	v_add_f64 v[2:3], v[22:23], -v[2:3]
	v_add_f64 v[4:5], v[24:25], -v[4:5]
	scratch_store_b128 off, v[2:5], off offset:400
	v_cmpx_lt_u32_e32 24, v124
	s_cbranch_execz .LBB104_211
; %bb.210:
	scratch_load_b128 v[5:8], v141, off
	v_mov_b32_e32 v2, v1
	v_mov_b32_e32 v3, v1
	;; [unrolled: 1-line block ×3, first 2 shown]
	scratch_store_b128 off, v[1:4], off offset:384
	s_waitcnt vmcnt(0)
	ds_store_b128 v165, v[5:8]
.LBB104_211:
	s_or_b32 exec_lo, exec_lo, s2
	s_waitcnt lgkmcnt(0)
	s_waitcnt_vscnt null, 0x0
	s_barrier
	buffer_gl0_inv
	s_clause 0x7
	scratch_load_b128 v[2:5], off, off offset:400
	scratch_load_b128 v[6:9], off, off offset:416
	;; [unrolled: 1-line block ×8, first 2 shown]
	ds_load_b128 v[34:37], v1 offset:1056
	ds_load_b128 v[166:169], v1 offset:1072
	s_clause 0x1
	scratch_load_b128 v[38:41], off, off offset:528
	scratch_load_b128 v[170:173], off, off offset:544
	s_mov_b32 s2, exec_lo
	s_waitcnt vmcnt(9) lgkmcnt(1)
	v_mul_f64 v[174:175], v[36:37], v[4:5]
	v_mul_f64 v[4:5], v[34:35], v[4:5]
	s_waitcnt vmcnt(8) lgkmcnt(0)
	v_mul_f64 v[176:177], v[166:167], v[8:9]
	v_mul_f64 v[8:9], v[168:169], v[8:9]
	s_delay_alu instid0(VALU_DEP_4) | instskip(NEXT) | instid1(VALU_DEP_4)
	v_fma_f64 v[174:175], v[34:35], v[2:3], -v[174:175]
	v_fma_f64 v[178:179], v[36:37], v[2:3], v[4:5]
	ds_load_b128 v[2:5], v1 offset:1088
	scratch_load_b128 v[34:37], off, off offset:560
	v_fma_f64 v[176:177], v[168:169], v[6:7], v[176:177]
	v_fma_f64 v[182:183], v[166:167], v[6:7], -v[8:9]
	ds_load_b128 v[6:9], v1 offset:1104
	scratch_load_b128 v[166:169], off, off offset:576
	s_waitcnt vmcnt(9) lgkmcnt(1)
	v_mul_f64 v[180:181], v[2:3], v[12:13]
	v_mul_f64 v[12:13], v[4:5], v[12:13]
	s_waitcnt vmcnt(8) lgkmcnt(0)
	v_mul_f64 v[184:185], v[6:7], v[16:17]
	v_mul_f64 v[16:17], v[8:9], v[16:17]
	v_add_f64 v[174:175], v[174:175], 0
	v_add_f64 v[178:179], v[178:179], 0
	v_fma_f64 v[180:181], v[4:5], v[10:11], v[180:181]
	v_fma_f64 v[186:187], v[2:3], v[10:11], -v[12:13]
	scratch_load_b128 v[10:13], off, off offset:592
	ds_load_b128 v[2:5], v1 offset:1120
	v_add_f64 v[174:175], v[174:175], v[182:183]
	v_add_f64 v[176:177], v[178:179], v[176:177]
	v_fma_f64 v[182:183], v[8:9], v[14:15], v[184:185]
	v_fma_f64 v[184:185], v[6:7], v[14:15], -v[16:17]
	ds_load_b128 v[6:9], v1 offset:1136
	scratch_load_b128 v[14:17], off, off offset:608
	s_waitcnt vmcnt(9) lgkmcnt(1)
	v_mul_f64 v[178:179], v[2:3], v[20:21]
	v_mul_f64 v[20:21], v[4:5], v[20:21]
	v_add_f64 v[174:175], v[174:175], v[186:187]
	v_add_f64 v[176:177], v[176:177], v[180:181]
	s_waitcnt vmcnt(8) lgkmcnt(0)
	v_mul_f64 v[180:181], v[6:7], v[24:25]
	v_mul_f64 v[24:25], v[8:9], v[24:25]
	v_fma_f64 v[178:179], v[4:5], v[18:19], v[178:179]
	v_fma_f64 v[186:187], v[2:3], v[18:19], -v[20:21]
	scratch_load_b128 v[18:21], off, off offset:624
	ds_load_b128 v[2:5], v1 offset:1152
	v_add_f64 v[174:175], v[174:175], v[184:185]
	v_add_f64 v[176:177], v[176:177], v[182:183]
	v_fma_f64 v[180:181], v[8:9], v[22:23], v[180:181]
	v_fma_f64 v[184:185], v[6:7], v[22:23], -v[24:25]
	ds_load_b128 v[6:9], v1 offset:1168
	s_waitcnt vmcnt(8) lgkmcnt(1)
	v_mul_f64 v[182:183], v[2:3], v[28:29]
	v_mul_f64 v[28:29], v[4:5], v[28:29]
	scratch_load_b128 v[22:25], off, off offset:640
	v_add_f64 v[174:175], v[174:175], v[186:187]
	v_add_f64 v[176:177], v[176:177], v[178:179]
	s_waitcnt vmcnt(8) lgkmcnt(0)
	v_mul_f64 v[178:179], v[6:7], v[32:33]
	v_mul_f64 v[32:33], v[8:9], v[32:33]
	v_fma_f64 v[182:183], v[4:5], v[26:27], v[182:183]
	v_fma_f64 v[26:27], v[2:3], v[26:27], -v[28:29]
	ds_load_b128 v[2:5], v1 offset:1184
	v_add_f64 v[28:29], v[174:175], v[184:185]
	v_add_f64 v[174:175], v[176:177], v[180:181]
	v_fma_f64 v[178:179], v[8:9], v[30:31], v[178:179]
	v_fma_f64 v[30:31], v[6:7], v[30:31], -v[32:33]
	ds_load_b128 v[6:9], v1 offset:1200
	s_waitcnt vmcnt(7) lgkmcnt(1)
	v_mul_f64 v[176:177], v[2:3], v[40:41]
	v_mul_f64 v[40:41], v[4:5], v[40:41]
	v_add_f64 v[26:27], v[28:29], v[26:27]
	v_add_f64 v[28:29], v[174:175], v[182:183]
	s_delay_alu instid0(VALU_DEP_4) | instskip(NEXT) | instid1(VALU_DEP_4)
	v_fma_f64 v[174:175], v[4:5], v[38:39], v[176:177]
	v_fma_f64 v[38:39], v[2:3], v[38:39], -v[40:41]
	ds_load_b128 v[2:5], v1 offset:1216
	v_add_f64 v[30:31], v[26:27], v[30:31]
	v_add_f64 v[40:41], v[28:29], v[178:179]
	scratch_load_b128 v[26:29], off, off offset:384
	s_waitcnt vmcnt(7) lgkmcnt(1)
	v_mul_f64 v[32:33], v[6:7], v[172:173]
	v_mul_f64 v[172:173], v[8:9], v[172:173]
	v_add_f64 v[30:31], v[30:31], v[38:39]
	v_add_f64 v[38:39], v[40:41], v[174:175]
	s_delay_alu instid0(VALU_DEP_4) | instskip(NEXT) | instid1(VALU_DEP_4)
	v_fma_f64 v[32:33], v[8:9], v[170:171], v[32:33]
	v_fma_f64 v[170:171], v[6:7], v[170:171], -v[172:173]
	ds_load_b128 v[6:9], v1 offset:1232
	s_waitcnt vmcnt(6) lgkmcnt(1)
	v_mul_f64 v[176:177], v[2:3], v[36:37]
	v_mul_f64 v[36:37], v[4:5], v[36:37]
	s_waitcnt vmcnt(5) lgkmcnt(0)
	v_mul_f64 v[40:41], v[6:7], v[168:169]
	v_mul_f64 v[168:169], v[8:9], v[168:169]
	v_add_f64 v[32:33], v[38:39], v[32:33]
	v_add_f64 v[30:31], v[30:31], v[170:171]
	v_fma_f64 v[172:173], v[4:5], v[34:35], v[176:177]
	v_fma_f64 v[34:35], v[2:3], v[34:35], -v[36:37]
	ds_load_b128 v[2:5], v1 offset:1248
	v_fma_f64 v[38:39], v[8:9], v[166:167], v[40:41]
	v_fma_f64 v[40:41], v[6:7], v[166:167], -v[168:169]
	ds_load_b128 v[6:9], v1 offset:1264
	s_waitcnt vmcnt(4) lgkmcnt(1)
	v_mul_f64 v[36:37], v[2:3], v[12:13]
	v_mul_f64 v[12:13], v[4:5], v[12:13]
	v_add_f64 v[32:33], v[32:33], v[172:173]
	v_add_f64 v[30:31], v[30:31], v[34:35]
	s_waitcnt vmcnt(3) lgkmcnt(0)
	v_mul_f64 v[34:35], v[6:7], v[16:17]
	v_mul_f64 v[16:17], v[8:9], v[16:17]
	v_fma_f64 v[36:37], v[4:5], v[10:11], v[36:37]
	v_fma_f64 v[10:11], v[2:3], v[10:11], -v[12:13]
	ds_load_b128 v[2:5], v1 offset:1280
	v_add_f64 v[12:13], v[30:31], v[40:41]
	v_add_f64 v[30:31], v[32:33], v[38:39]
	v_fma_f64 v[34:35], v[8:9], v[14:15], v[34:35]
	v_fma_f64 v[14:15], v[6:7], v[14:15], -v[16:17]
	ds_load_b128 v[6:9], v1 offset:1296
	s_waitcnt vmcnt(2) lgkmcnt(1)
	v_mul_f64 v[32:33], v[2:3], v[20:21]
	v_mul_f64 v[20:21], v[4:5], v[20:21]
	s_waitcnt vmcnt(1) lgkmcnt(0)
	v_mul_f64 v[16:17], v[6:7], v[24:25]
	v_mul_f64 v[24:25], v[8:9], v[24:25]
	v_add_f64 v[10:11], v[12:13], v[10:11]
	v_add_f64 v[12:13], v[30:31], v[36:37]
	v_fma_f64 v[4:5], v[4:5], v[18:19], v[32:33]
	v_fma_f64 v[1:2], v[2:3], v[18:19], -v[20:21]
	v_fma_f64 v[8:9], v[8:9], v[22:23], v[16:17]
	v_fma_f64 v[6:7], v[6:7], v[22:23], -v[24:25]
	v_add_f64 v[10:11], v[10:11], v[14:15]
	v_add_f64 v[12:13], v[12:13], v[34:35]
	s_delay_alu instid0(VALU_DEP_2) | instskip(NEXT) | instid1(VALU_DEP_2)
	v_add_f64 v[1:2], v[10:11], v[1:2]
	v_add_f64 v[3:4], v[12:13], v[4:5]
	s_delay_alu instid0(VALU_DEP_2) | instskip(NEXT) | instid1(VALU_DEP_2)
	v_add_f64 v[1:2], v[1:2], v[6:7]
	v_add_f64 v[3:4], v[3:4], v[8:9]
	s_waitcnt vmcnt(0)
	s_delay_alu instid0(VALU_DEP_2) | instskip(NEXT) | instid1(VALU_DEP_2)
	v_add_f64 v[1:2], v[26:27], -v[1:2]
	v_add_f64 v[3:4], v[28:29], -v[3:4]
	scratch_store_b128 off, v[1:4], off offset:384
	v_cmpx_lt_u32_e32 23, v124
	s_cbranch_execz .LBB104_213
; %bb.212:
	scratch_load_b128 v[1:4], v142, off
	v_mov_b32_e32 v5, 0
	s_delay_alu instid0(VALU_DEP_1)
	v_mov_b32_e32 v6, v5
	v_mov_b32_e32 v7, v5
	;; [unrolled: 1-line block ×3, first 2 shown]
	scratch_store_b128 off, v[5:8], off offset:368
	s_waitcnt vmcnt(0)
	ds_store_b128 v165, v[1:4]
.LBB104_213:
	s_or_b32 exec_lo, exec_lo, s2
	s_waitcnt lgkmcnt(0)
	s_waitcnt_vscnt null, 0x0
	s_barrier
	buffer_gl0_inv
	s_clause 0x7
	scratch_load_b128 v[2:5], off, off offset:384
	scratch_load_b128 v[6:9], off, off offset:400
	;; [unrolled: 1-line block ×8, first 2 shown]
	v_mov_b32_e32 v1, 0
	s_clause 0x1
	scratch_load_b128 v[38:41], off, off offset:512
	scratch_load_b128 v[170:173], off, off offset:528
	s_mov_b32 s2, exec_lo
	ds_load_b128 v[34:37], v1 offset:1040
	ds_load_b128 v[166:169], v1 offset:1056
	s_waitcnt vmcnt(9) lgkmcnt(1)
	v_mul_f64 v[174:175], v[36:37], v[4:5]
	v_mul_f64 v[4:5], v[34:35], v[4:5]
	s_waitcnt vmcnt(8) lgkmcnt(0)
	v_mul_f64 v[176:177], v[166:167], v[8:9]
	v_mul_f64 v[8:9], v[168:169], v[8:9]
	s_delay_alu instid0(VALU_DEP_4) | instskip(NEXT) | instid1(VALU_DEP_4)
	v_fma_f64 v[174:175], v[34:35], v[2:3], -v[174:175]
	v_fma_f64 v[178:179], v[36:37], v[2:3], v[4:5]
	ds_load_b128 v[2:5], v1 offset:1072
	scratch_load_b128 v[34:37], off, off offset:544
	v_fma_f64 v[176:177], v[168:169], v[6:7], v[176:177]
	v_fma_f64 v[182:183], v[166:167], v[6:7], -v[8:9]
	ds_load_b128 v[6:9], v1 offset:1088
	scratch_load_b128 v[166:169], off, off offset:560
	s_waitcnt vmcnt(9) lgkmcnt(1)
	v_mul_f64 v[180:181], v[2:3], v[12:13]
	v_mul_f64 v[12:13], v[4:5], v[12:13]
	s_waitcnt vmcnt(8) lgkmcnt(0)
	v_mul_f64 v[184:185], v[6:7], v[16:17]
	v_mul_f64 v[16:17], v[8:9], v[16:17]
	v_add_f64 v[174:175], v[174:175], 0
	v_add_f64 v[178:179], v[178:179], 0
	v_fma_f64 v[180:181], v[4:5], v[10:11], v[180:181]
	v_fma_f64 v[186:187], v[2:3], v[10:11], -v[12:13]
	scratch_load_b128 v[10:13], off, off offset:576
	ds_load_b128 v[2:5], v1 offset:1104
	v_add_f64 v[174:175], v[174:175], v[182:183]
	v_add_f64 v[176:177], v[178:179], v[176:177]
	v_fma_f64 v[182:183], v[8:9], v[14:15], v[184:185]
	v_fma_f64 v[184:185], v[6:7], v[14:15], -v[16:17]
	ds_load_b128 v[6:9], v1 offset:1120
	scratch_load_b128 v[14:17], off, off offset:592
	s_waitcnt vmcnt(9) lgkmcnt(1)
	v_mul_f64 v[178:179], v[2:3], v[20:21]
	v_mul_f64 v[20:21], v[4:5], v[20:21]
	v_add_f64 v[174:175], v[174:175], v[186:187]
	v_add_f64 v[176:177], v[176:177], v[180:181]
	s_waitcnt vmcnt(8) lgkmcnt(0)
	v_mul_f64 v[180:181], v[6:7], v[24:25]
	v_mul_f64 v[24:25], v[8:9], v[24:25]
	v_fma_f64 v[178:179], v[4:5], v[18:19], v[178:179]
	v_fma_f64 v[186:187], v[2:3], v[18:19], -v[20:21]
	scratch_load_b128 v[18:21], off, off offset:608
	ds_load_b128 v[2:5], v1 offset:1136
	v_add_f64 v[174:175], v[174:175], v[184:185]
	v_add_f64 v[176:177], v[176:177], v[182:183]
	v_fma_f64 v[180:181], v[8:9], v[22:23], v[180:181]
	v_fma_f64 v[184:185], v[6:7], v[22:23], -v[24:25]
	ds_load_b128 v[6:9], v1 offset:1152
	s_waitcnt vmcnt(8) lgkmcnt(1)
	v_mul_f64 v[182:183], v[2:3], v[28:29]
	v_mul_f64 v[28:29], v[4:5], v[28:29]
	scratch_load_b128 v[22:25], off, off offset:624
	v_add_f64 v[174:175], v[174:175], v[186:187]
	v_add_f64 v[176:177], v[176:177], v[178:179]
	s_waitcnt vmcnt(8) lgkmcnt(0)
	v_mul_f64 v[178:179], v[6:7], v[32:33]
	v_mul_f64 v[32:33], v[8:9], v[32:33]
	v_fma_f64 v[182:183], v[4:5], v[26:27], v[182:183]
	v_fma_f64 v[186:187], v[2:3], v[26:27], -v[28:29]
	scratch_load_b128 v[26:29], off, off offset:640
	ds_load_b128 v[2:5], v1 offset:1168
	v_add_f64 v[174:175], v[174:175], v[184:185]
	v_add_f64 v[176:177], v[176:177], v[180:181]
	v_fma_f64 v[178:179], v[8:9], v[30:31], v[178:179]
	v_fma_f64 v[30:31], v[6:7], v[30:31], -v[32:33]
	ds_load_b128 v[6:9], v1 offset:1184
	s_waitcnt vmcnt(8) lgkmcnt(1)
	v_mul_f64 v[180:181], v[2:3], v[40:41]
	v_mul_f64 v[40:41], v[4:5], v[40:41]
	v_add_f64 v[32:33], v[174:175], v[186:187]
	v_add_f64 v[174:175], v[176:177], v[182:183]
	s_waitcnt vmcnt(7) lgkmcnt(0)
	v_mul_f64 v[176:177], v[6:7], v[172:173]
	v_mul_f64 v[172:173], v[8:9], v[172:173]
	v_fma_f64 v[180:181], v[4:5], v[38:39], v[180:181]
	v_fma_f64 v[38:39], v[2:3], v[38:39], -v[40:41]
	ds_load_b128 v[2:5], v1 offset:1200
	v_add_f64 v[30:31], v[32:33], v[30:31]
	v_add_f64 v[32:33], v[174:175], v[178:179]
	v_fma_f64 v[174:175], v[8:9], v[170:171], v[176:177]
	v_fma_f64 v[170:171], v[6:7], v[170:171], -v[172:173]
	ds_load_b128 v[6:9], v1 offset:1216
	s_waitcnt vmcnt(5) lgkmcnt(0)
	v_mul_f64 v[176:177], v[6:7], v[168:169]
	v_mul_f64 v[168:169], v[8:9], v[168:169]
	v_add_f64 v[38:39], v[30:31], v[38:39]
	v_add_f64 v[172:173], v[32:33], v[180:181]
	scratch_load_b128 v[30:33], off, off offset:368
	v_mul_f64 v[40:41], v[2:3], v[36:37]
	v_mul_f64 v[36:37], v[4:5], v[36:37]
	s_delay_alu instid0(VALU_DEP_2) | instskip(NEXT) | instid1(VALU_DEP_2)
	v_fma_f64 v[40:41], v[4:5], v[34:35], v[40:41]
	v_fma_f64 v[34:35], v[2:3], v[34:35], -v[36:37]
	v_add_f64 v[36:37], v[38:39], v[170:171]
	v_add_f64 v[38:39], v[172:173], v[174:175]
	ds_load_b128 v[2:5], v1 offset:1232
	v_fma_f64 v[172:173], v[8:9], v[166:167], v[176:177]
	v_fma_f64 v[166:167], v[6:7], v[166:167], -v[168:169]
	ds_load_b128 v[6:9], v1 offset:1248
	s_waitcnt vmcnt(5) lgkmcnt(1)
	v_mul_f64 v[170:171], v[2:3], v[12:13]
	v_mul_f64 v[12:13], v[4:5], v[12:13]
	v_add_f64 v[34:35], v[36:37], v[34:35]
	v_add_f64 v[36:37], v[38:39], v[40:41]
	s_waitcnt vmcnt(4) lgkmcnt(0)
	v_mul_f64 v[38:39], v[6:7], v[16:17]
	v_mul_f64 v[16:17], v[8:9], v[16:17]
	v_fma_f64 v[40:41], v[4:5], v[10:11], v[170:171]
	v_fma_f64 v[10:11], v[2:3], v[10:11], -v[12:13]
	ds_load_b128 v[2:5], v1 offset:1264
	v_add_f64 v[12:13], v[34:35], v[166:167]
	v_add_f64 v[34:35], v[36:37], v[172:173]
	v_fma_f64 v[38:39], v[8:9], v[14:15], v[38:39]
	v_fma_f64 v[14:15], v[6:7], v[14:15], -v[16:17]
	ds_load_b128 v[6:9], v1 offset:1280
	s_waitcnt vmcnt(3) lgkmcnt(1)
	v_mul_f64 v[36:37], v[2:3], v[20:21]
	v_mul_f64 v[20:21], v[4:5], v[20:21]
	s_waitcnt vmcnt(2) lgkmcnt(0)
	v_mul_f64 v[16:17], v[6:7], v[24:25]
	v_mul_f64 v[24:25], v[8:9], v[24:25]
	v_add_f64 v[10:11], v[12:13], v[10:11]
	v_add_f64 v[12:13], v[34:35], v[40:41]
	v_fma_f64 v[34:35], v[4:5], v[18:19], v[36:37]
	v_fma_f64 v[18:19], v[2:3], v[18:19], -v[20:21]
	ds_load_b128 v[2:5], v1 offset:1296
	v_fma_f64 v[8:9], v[8:9], v[22:23], v[16:17]
	v_fma_f64 v[6:7], v[6:7], v[22:23], -v[24:25]
	s_waitcnt vmcnt(1) lgkmcnt(0)
	v_mul_f64 v[20:21], v[4:5], v[28:29]
	v_add_f64 v[10:11], v[10:11], v[14:15]
	v_add_f64 v[12:13], v[12:13], v[38:39]
	v_mul_f64 v[14:15], v[2:3], v[28:29]
	s_delay_alu instid0(VALU_DEP_4) | instskip(NEXT) | instid1(VALU_DEP_4)
	v_fma_f64 v[2:3], v[2:3], v[26:27], -v[20:21]
	v_add_f64 v[10:11], v[10:11], v[18:19]
	s_delay_alu instid0(VALU_DEP_4) | instskip(NEXT) | instid1(VALU_DEP_4)
	v_add_f64 v[12:13], v[12:13], v[34:35]
	v_fma_f64 v[4:5], v[4:5], v[26:27], v[14:15]
	s_delay_alu instid0(VALU_DEP_3) | instskip(NEXT) | instid1(VALU_DEP_3)
	v_add_f64 v[6:7], v[10:11], v[6:7]
	v_add_f64 v[8:9], v[12:13], v[8:9]
	s_delay_alu instid0(VALU_DEP_2) | instskip(NEXT) | instid1(VALU_DEP_2)
	v_add_f64 v[2:3], v[6:7], v[2:3]
	v_add_f64 v[4:5], v[8:9], v[4:5]
	s_waitcnt vmcnt(0)
	s_delay_alu instid0(VALU_DEP_2) | instskip(NEXT) | instid1(VALU_DEP_2)
	v_add_f64 v[2:3], v[30:31], -v[2:3]
	v_add_f64 v[4:5], v[32:33], -v[4:5]
	scratch_store_b128 off, v[2:5], off offset:368
	v_cmpx_lt_u32_e32 22, v124
	s_cbranch_execz .LBB104_215
; %bb.214:
	scratch_load_b128 v[5:8], v147, off
	v_mov_b32_e32 v2, v1
	v_mov_b32_e32 v3, v1
	;; [unrolled: 1-line block ×3, first 2 shown]
	scratch_store_b128 off, v[1:4], off offset:352
	s_waitcnt vmcnt(0)
	ds_store_b128 v165, v[5:8]
.LBB104_215:
	s_or_b32 exec_lo, exec_lo, s2
	s_waitcnt lgkmcnt(0)
	s_waitcnt_vscnt null, 0x0
	s_barrier
	buffer_gl0_inv
	s_clause 0x7
	scratch_load_b128 v[2:5], off, off offset:368
	scratch_load_b128 v[6:9], off, off offset:384
	;; [unrolled: 1-line block ×8, first 2 shown]
	ds_load_b128 v[34:37], v1 offset:1024
	ds_load_b128 v[166:169], v1 offset:1040
	s_clause 0x1
	scratch_load_b128 v[38:41], off, off offset:496
	scratch_load_b128 v[170:173], off, off offset:512
	s_mov_b32 s2, exec_lo
	s_waitcnt vmcnt(9) lgkmcnt(1)
	v_mul_f64 v[174:175], v[36:37], v[4:5]
	v_mul_f64 v[4:5], v[34:35], v[4:5]
	s_waitcnt vmcnt(8) lgkmcnt(0)
	v_mul_f64 v[176:177], v[166:167], v[8:9]
	v_mul_f64 v[8:9], v[168:169], v[8:9]
	s_delay_alu instid0(VALU_DEP_4) | instskip(NEXT) | instid1(VALU_DEP_4)
	v_fma_f64 v[174:175], v[34:35], v[2:3], -v[174:175]
	v_fma_f64 v[178:179], v[36:37], v[2:3], v[4:5]
	scratch_load_b128 v[34:37], off, off offset:528
	ds_load_b128 v[2:5], v1 offset:1056
	v_fma_f64 v[176:177], v[168:169], v[6:7], v[176:177]
	v_fma_f64 v[182:183], v[166:167], v[6:7], -v[8:9]
	ds_load_b128 v[6:9], v1 offset:1072
	scratch_load_b128 v[166:169], off, off offset:544
	s_waitcnt vmcnt(9) lgkmcnt(1)
	v_mul_f64 v[180:181], v[2:3], v[12:13]
	v_mul_f64 v[12:13], v[4:5], v[12:13]
	s_waitcnt vmcnt(8) lgkmcnt(0)
	v_mul_f64 v[184:185], v[6:7], v[16:17]
	v_mul_f64 v[16:17], v[8:9], v[16:17]
	v_add_f64 v[174:175], v[174:175], 0
	v_add_f64 v[178:179], v[178:179], 0
	v_fma_f64 v[180:181], v[4:5], v[10:11], v[180:181]
	v_fma_f64 v[186:187], v[2:3], v[10:11], -v[12:13]
	scratch_load_b128 v[10:13], off, off offset:560
	ds_load_b128 v[2:5], v1 offset:1088
	v_add_f64 v[174:175], v[174:175], v[182:183]
	v_add_f64 v[176:177], v[178:179], v[176:177]
	v_fma_f64 v[182:183], v[8:9], v[14:15], v[184:185]
	v_fma_f64 v[184:185], v[6:7], v[14:15], -v[16:17]
	ds_load_b128 v[6:9], v1 offset:1104
	scratch_load_b128 v[14:17], off, off offset:576
	s_waitcnt vmcnt(9) lgkmcnt(1)
	v_mul_f64 v[178:179], v[2:3], v[20:21]
	v_mul_f64 v[20:21], v[4:5], v[20:21]
	v_add_f64 v[174:175], v[174:175], v[186:187]
	v_add_f64 v[176:177], v[176:177], v[180:181]
	s_waitcnt vmcnt(8) lgkmcnt(0)
	v_mul_f64 v[180:181], v[6:7], v[24:25]
	v_mul_f64 v[24:25], v[8:9], v[24:25]
	v_fma_f64 v[178:179], v[4:5], v[18:19], v[178:179]
	v_fma_f64 v[186:187], v[2:3], v[18:19], -v[20:21]
	scratch_load_b128 v[18:21], off, off offset:592
	ds_load_b128 v[2:5], v1 offset:1120
	v_add_f64 v[174:175], v[174:175], v[184:185]
	v_add_f64 v[176:177], v[176:177], v[182:183]
	v_fma_f64 v[180:181], v[8:9], v[22:23], v[180:181]
	v_fma_f64 v[184:185], v[6:7], v[22:23], -v[24:25]
	ds_load_b128 v[6:9], v1 offset:1136
	s_waitcnt vmcnt(8) lgkmcnt(1)
	v_mul_f64 v[182:183], v[2:3], v[28:29]
	v_mul_f64 v[28:29], v[4:5], v[28:29]
	scratch_load_b128 v[22:25], off, off offset:608
	v_add_f64 v[174:175], v[174:175], v[186:187]
	v_add_f64 v[176:177], v[176:177], v[178:179]
	s_waitcnt vmcnt(8) lgkmcnt(0)
	v_mul_f64 v[178:179], v[6:7], v[32:33]
	v_mul_f64 v[32:33], v[8:9], v[32:33]
	v_fma_f64 v[182:183], v[4:5], v[26:27], v[182:183]
	v_fma_f64 v[186:187], v[2:3], v[26:27], -v[28:29]
	scratch_load_b128 v[26:29], off, off offset:624
	ds_load_b128 v[2:5], v1 offset:1152
	v_add_f64 v[174:175], v[174:175], v[184:185]
	v_add_f64 v[176:177], v[176:177], v[180:181]
	v_fma_f64 v[178:179], v[8:9], v[30:31], v[178:179]
	v_fma_f64 v[184:185], v[6:7], v[30:31], -v[32:33]
	ds_load_b128 v[6:9], v1 offset:1168
	s_waitcnt vmcnt(8) lgkmcnt(1)
	v_mul_f64 v[180:181], v[2:3], v[40:41]
	v_mul_f64 v[40:41], v[4:5], v[40:41]
	scratch_load_b128 v[30:33], off, off offset:640
	v_add_f64 v[174:175], v[174:175], v[186:187]
	v_add_f64 v[176:177], v[176:177], v[182:183]
	v_fma_f64 v[180:181], v[4:5], v[38:39], v[180:181]
	v_fma_f64 v[38:39], v[2:3], v[38:39], -v[40:41]
	ds_load_b128 v[2:5], v1 offset:1184
	v_add_f64 v[40:41], v[174:175], v[184:185]
	v_add_f64 v[174:175], v[176:177], v[178:179]
	s_waitcnt vmcnt(7) lgkmcnt(0)
	v_mul_f64 v[176:177], v[2:3], v[36:37]
	v_mul_f64 v[36:37], v[4:5], v[36:37]
	s_delay_alu instid0(VALU_DEP_4) | instskip(NEXT) | instid1(VALU_DEP_4)
	v_add_f64 v[38:39], v[40:41], v[38:39]
	v_add_f64 v[40:41], v[174:175], v[180:181]
	s_delay_alu instid0(VALU_DEP_4) | instskip(NEXT) | instid1(VALU_DEP_4)
	v_fma_f64 v[174:175], v[4:5], v[34:35], v[176:177]
	v_fma_f64 v[176:177], v[2:3], v[34:35], -v[36:37]
	scratch_load_b128 v[34:37], off, off offset:352
	v_mul_f64 v[182:183], v[6:7], v[172:173]
	v_mul_f64 v[172:173], v[8:9], v[172:173]
	ds_load_b128 v[2:5], v1 offset:1216
	v_fma_f64 v[178:179], v[8:9], v[170:171], v[182:183]
	v_fma_f64 v[170:171], v[6:7], v[170:171], -v[172:173]
	ds_load_b128 v[6:9], v1 offset:1200
	s_waitcnt vmcnt(7) lgkmcnt(0)
	v_mul_f64 v[172:173], v[6:7], v[168:169]
	v_mul_f64 v[168:169], v[8:9], v[168:169]
	v_add_f64 v[40:41], v[40:41], v[178:179]
	v_add_f64 v[38:39], v[38:39], v[170:171]
	s_waitcnt vmcnt(6)
	v_mul_f64 v[170:171], v[2:3], v[12:13]
	v_mul_f64 v[12:13], v[4:5], v[12:13]
	v_fma_f64 v[172:173], v[8:9], v[166:167], v[172:173]
	v_fma_f64 v[166:167], v[6:7], v[166:167], -v[168:169]
	ds_load_b128 v[6:9], v1 offset:1232
	v_add_f64 v[40:41], v[40:41], v[174:175]
	v_add_f64 v[38:39], v[38:39], v[176:177]
	v_fma_f64 v[170:171], v[4:5], v[10:11], v[170:171]
	v_fma_f64 v[10:11], v[2:3], v[10:11], -v[12:13]
	ds_load_b128 v[2:5], v1 offset:1248
	s_waitcnt vmcnt(5) lgkmcnt(1)
	v_mul_f64 v[168:169], v[6:7], v[16:17]
	v_mul_f64 v[16:17], v[8:9], v[16:17]
	v_add_f64 v[12:13], v[38:39], v[166:167]
	v_add_f64 v[38:39], v[40:41], v[172:173]
	s_waitcnt vmcnt(4) lgkmcnt(0)
	v_mul_f64 v[40:41], v[2:3], v[20:21]
	v_mul_f64 v[20:21], v[4:5], v[20:21]
	v_fma_f64 v[166:167], v[8:9], v[14:15], v[168:169]
	v_fma_f64 v[14:15], v[6:7], v[14:15], -v[16:17]
	ds_load_b128 v[6:9], v1 offset:1264
	v_add_f64 v[10:11], v[12:13], v[10:11]
	v_add_f64 v[12:13], v[38:39], v[170:171]
	v_fma_f64 v[38:39], v[4:5], v[18:19], v[40:41]
	v_fma_f64 v[18:19], v[2:3], v[18:19], -v[20:21]
	ds_load_b128 v[2:5], v1 offset:1280
	s_waitcnt vmcnt(3) lgkmcnt(1)
	v_mul_f64 v[16:17], v[6:7], v[24:25]
	v_mul_f64 v[24:25], v[8:9], v[24:25]
	s_waitcnt vmcnt(2) lgkmcnt(0)
	v_mul_f64 v[20:21], v[4:5], v[28:29]
	v_add_f64 v[10:11], v[10:11], v[14:15]
	v_add_f64 v[12:13], v[12:13], v[166:167]
	v_mul_f64 v[14:15], v[2:3], v[28:29]
	v_fma_f64 v[16:17], v[8:9], v[22:23], v[16:17]
	v_fma_f64 v[22:23], v[6:7], v[22:23], -v[24:25]
	ds_load_b128 v[6:9], v1 offset:1296
	v_fma_f64 v[1:2], v[2:3], v[26:27], -v[20:21]
	s_waitcnt vmcnt(1) lgkmcnt(0)
	v_mul_f64 v[24:25], v[8:9], v[32:33]
	v_add_f64 v[10:11], v[10:11], v[18:19]
	v_add_f64 v[12:13], v[12:13], v[38:39]
	v_mul_f64 v[18:19], v[6:7], v[32:33]
	v_fma_f64 v[4:5], v[4:5], v[26:27], v[14:15]
	v_fma_f64 v[6:7], v[6:7], v[30:31], -v[24:25]
	v_add_f64 v[10:11], v[10:11], v[22:23]
	v_add_f64 v[12:13], v[12:13], v[16:17]
	v_fma_f64 v[8:9], v[8:9], v[30:31], v[18:19]
	s_delay_alu instid0(VALU_DEP_3) | instskip(NEXT) | instid1(VALU_DEP_3)
	v_add_f64 v[1:2], v[10:11], v[1:2]
	v_add_f64 v[3:4], v[12:13], v[4:5]
	s_delay_alu instid0(VALU_DEP_2) | instskip(NEXT) | instid1(VALU_DEP_2)
	v_add_f64 v[1:2], v[1:2], v[6:7]
	v_add_f64 v[3:4], v[3:4], v[8:9]
	s_waitcnt vmcnt(0)
	s_delay_alu instid0(VALU_DEP_2) | instskip(NEXT) | instid1(VALU_DEP_2)
	v_add_f64 v[1:2], v[34:35], -v[1:2]
	v_add_f64 v[3:4], v[36:37], -v[3:4]
	scratch_store_b128 off, v[1:4], off offset:352
	v_cmpx_lt_u32_e32 21, v124
	s_cbranch_execz .LBB104_217
; %bb.216:
	scratch_load_b128 v[1:4], v148, off
	v_mov_b32_e32 v5, 0
	s_delay_alu instid0(VALU_DEP_1)
	v_mov_b32_e32 v6, v5
	v_mov_b32_e32 v7, v5
	;; [unrolled: 1-line block ×3, first 2 shown]
	scratch_store_b128 off, v[5:8], off offset:336
	s_waitcnt vmcnt(0)
	ds_store_b128 v165, v[1:4]
.LBB104_217:
	s_or_b32 exec_lo, exec_lo, s2
	s_waitcnt lgkmcnt(0)
	s_waitcnt_vscnt null, 0x0
	s_barrier
	buffer_gl0_inv
	s_clause 0x7
	scratch_load_b128 v[2:5], off, off offset:352
	scratch_load_b128 v[6:9], off, off offset:368
	;; [unrolled: 1-line block ×8, first 2 shown]
	v_mov_b32_e32 v1, 0
	s_clause 0x1
	scratch_load_b128 v[38:41], off, off offset:480
	scratch_load_b128 v[170:173], off, off offset:496
	s_mov_b32 s2, exec_lo
	ds_load_b128 v[34:37], v1 offset:1008
	ds_load_b128 v[166:169], v1 offset:1024
	s_waitcnt vmcnt(9) lgkmcnt(1)
	v_mul_f64 v[174:175], v[36:37], v[4:5]
	v_mul_f64 v[4:5], v[34:35], v[4:5]
	s_waitcnt vmcnt(8) lgkmcnt(0)
	v_mul_f64 v[176:177], v[166:167], v[8:9]
	v_mul_f64 v[8:9], v[168:169], v[8:9]
	s_delay_alu instid0(VALU_DEP_4) | instskip(NEXT) | instid1(VALU_DEP_4)
	v_fma_f64 v[174:175], v[34:35], v[2:3], -v[174:175]
	v_fma_f64 v[178:179], v[36:37], v[2:3], v[4:5]
	ds_load_b128 v[2:5], v1 offset:1040
	scratch_load_b128 v[34:37], off, off offset:512
	v_fma_f64 v[176:177], v[168:169], v[6:7], v[176:177]
	v_fma_f64 v[182:183], v[166:167], v[6:7], -v[8:9]
	scratch_load_b128 v[166:169], off, off offset:528
	ds_load_b128 v[6:9], v1 offset:1056
	s_waitcnt vmcnt(9) lgkmcnt(1)
	v_mul_f64 v[180:181], v[2:3], v[12:13]
	v_mul_f64 v[12:13], v[4:5], v[12:13]
	s_waitcnt vmcnt(8) lgkmcnt(0)
	v_mul_f64 v[184:185], v[6:7], v[16:17]
	v_mul_f64 v[16:17], v[8:9], v[16:17]
	v_add_f64 v[174:175], v[174:175], 0
	v_add_f64 v[178:179], v[178:179], 0
	v_fma_f64 v[180:181], v[4:5], v[10:11], v[180:181]
	v_fma_f64 v[186:187], v[2:3], v[10:11], -v[12:13]
	ds_load_b128 v[2:5], v1 offset:1072
	scratch_load_b128 v[10:13], off, off offset:544
	v_add_f64 v[174:175], v[174:175], v[182:183]
	v_add_f64 v[176:177], v[178:179], v[176:177]
	v_fma_f64 v[182:183], v[8:9], v[14:15], v[184:185]
	v_fma_f64 v[184:185], v[6:7], v[14:15], -v[16:17]
	ds_load_b128 v[6:9], v1 offset:1088
	scratch_load_b128 v[14:17], off, off offset:560
	s_waitcnt vmcnt(9) lgkmcnt(1)
	v_mul_f64 v[178:179], v[2:3], v[20:21]
	v_mul_f64 v[20:21], v[4:5], v[20:21]
	v_add_f64 v[174:175], v[174:175], v[186:187]
	v_add_f64 v[176:177], v[176:177], v[180:181]
	s_waitcnt vmcnt(8) lgkmcnt(0)
	v_mul_f64 v[180:181], v[6:7], v[24:25]
	v_mul_f64 v[24:25], v[8:9], v[24:25]
	v_fma_f64 v[178:179], v[4:5], v[18:19], v[178:179]
	v_fma_f64 v[186:187], v[2:3], v[18:19], -v[20:21]
	scratch_load_b128 v[18:21], off, off offset:576
	ds_load_b128 v[2:5], v1 offset:1104
	v_add_f64 v[174:175], v[174:175], v[184:185]
	v_add_f64 v[176:177], v[176:177], v[182:183]
	v_fma_f64 v[180:181], v[8:9], v[22:23], v[180:181]
	v_fma_f64 v[184:185], v[6:7], v[22:23], -v[24:25]
	ds_load_b128 v[6:9], v1 offset:1120
	s_waitcnt vmcnt(8) lgkmcnt(1)
	v_mul_f64 v[182:183], v[2:3], v[28:29]
	v_mul_f64 v[28:29], v[4:5], v[28:29]
	scratch_load_b128 v[22:25], off, off offset:592
	v_add_f64 v[174:175], v[174:175], v[186:187]
	v_add_f64 v[176:177], v[176:177], v[178:179]
	s_waitcnt vmcnt(8) lgkmcnt(0)
	v_mul_f64 v[178:179], v[6:7], v[32:33]
	v_mul_f64 v[32:33], v[8:9], v[32:33]
	v_fma_f64 v[182:183], v[4:5], v[26:27], v[182:183]
	v_fma_f64 v[186:187], v[2:3], v[26:27], -v[28:29]
	scratch_load_b128 v[26:29], off, off offset:608
	ds_load_b128 v[2:5], v1 offset:1136
	v_add_f64 v[174:175], v[174:175], v[184:185]
	v_add_f64 v[176:177], v[176:177], v[180:181]
	v_fma_f64 v[178:179], v[8:9], v[30:31], v[178:179]
	v_fma_f64 v[184:185], v[6:7], v[30:31], -v[32:33]
	ds_load_b128 v[6:9], v1 offset:1152
	s_waitcnt vmcnt(8) lgkmcnt(1)
	v_mul_f64 v[180:181], v[2:3], v[40:41]
	v_mul_f64 v[40:41], v[4:5], v[40:41]
	scratch_load_b128 v[30:33], off, off offset:624
	v_add_f64 v[174:175], v[174:175], v[186:187]
	v_add_f64 v[176:177], v[176:177], v[182:183]
	s_waitcnt vmcnt(8) lgkmcnt(0)
	v_mul_f64 v[182:183], v[6:7], v[172:173]
	v_mul_f64 v[172:173], v[8:9], v[172:173]
	v_fma_f64 v[180:181], v[4:5], v[38:39], v[180:181]
	v_fma_f64 v[186:187], v[2:3], v[38:39], -v[40:41]
	scratch_load_b128 v[38:41], off, off offset:640
	ds_load_b128 v[2:5], v1 offset:1168
	v_add_f64 v[174:175], v[174:175], v[184:185]
	v_add_f64 v[176:177], v[176:177], v[178:179]
	v_fma_f64 v[182:183], v[8:9], v[170:171], v[182:183]
	v_fma_f64 v[170:171], v[6:7], v[170:171], -v[172:173]
	ds_load_b128 v[6:9], v1 offset:1184
	s_waitcnt vmcnt(8) lgkmcnt(1)
	v_mul_f64 v[178:179], v[2:3], v[36:37]
	v_mul_f64 v[36:37], v[4:5], v[36:37]
	v_add_f64 v[172:173], v[174:175], v[186:187]
	v_add_f64 v[174:175], v[176:177], v[180:181]
	s_waitcnt vmcnt(7) lgkmcnt(0)
	v_mul_f64 v[176:177], v[6:7], v[168:169]
	v_mul_f64 v[168:169], v[8:9], v[168:169]
	v_fma_f64 v[178:179], v[4:5], v[34:35], v[178:179]
	v_fma_f64 v[34:35], v[2:3], v[34:35], -v[36:37]
	ds_load_b128 v[2:5], v1 offset:1200
	v_add_f64 v[36:37], v[172:173], v[170:171]
	v_add_f64 v[170:171], v[174:175], v[182:183]
	v_fma_f64 v[174:175], v[8:9], v[166:167], v[176:177]
	v_fma_f64 v[166:167], v[6:7], v[166:167], -v[168:169]
	ds_load_b128 v[6:9], v1 offset:1216
	s_waitcnt vmcnt(5) lgkmcnt(0)
	v_mul_f64 v[176:177], v[6:7], v[16:17]
	v_mul_f64 v[16:17], v[8:9], v[16:17]
	v_add_f64 v[168:169], v[36:37], v[34:35]
	v_add_f64 v[170:171], v[170:171], v[178:179]
	scratch_load_b128 v[34:37], off, off offset:336
	v_mul_f64 v[172:173], v[2:3], v[12:13]
	v_mul_f64 v[12:13], v[4:5], v[12:13]
	s_delay_alu instid0(VALU_DEP_2) | instskip(NEXT) | instid1(VALU_DEP_2)
	v_fma_f64 v[172:173], v[4:5], v[10:11], v[172:173]
	v_fma_f64 v[10:11], v[2:3], v[10:11], -v[12:13]
	v_add_f64 v[12:13], v[168:169], v[166:167]
	v_add_f64 v[166:167], v[170:171], v[174:175]
	ds_load_b128 v[2:5], v1 offset:1232
	v_fma_f64 v[170:171], v[8:9], v[14:15], v[176:177]
	v_fma_f64 v[14:15], v[6:7], v[14:15], -v[16:17]
	ds_load_b128 v[6:9], v1 offset:1248
	s_waitcnt vmcnt(5) lgkmcnt(1)
	v_mul_f64 v[168:169], v[2:3], v[20:21]
	v_mul_f64 v[20:21], v[4:5], v[20:21]
	s_waitcnt vmcnt(4) lgkmcnt(0)
	v_mul_f64 v[16:17], v[6:7], v[24:25]
	v_mul_f64 v[24:25], v[8:9], v[24:25]
	v_add_f64 v[10:11], v[12:13], v[10:11]
	v_add_f64 v[12:13], v[166:167], v[172:173]
	v_fma_f64 v[166:167], v[4:5], v[18:19], v[168:169]
	v_fma_f64 v[18:19], v[2:3], v[18:19], -v[20:21]
	ds_load_b128 v[2:5], v1 offset:1264
	v_fma_f64 v[16:17], v[8:9], v[22:23], v[16:17]
	v_fma_f64 v[22:23], v[6:7], v[22:23], -v[24:25]
	ds_load_b128 v[6:9], v1 offset:1280
	v_add_f64 v[10:11], v[10:11], v[14:15]
	v_add_f64 v[12:13], v[12:13], v[170:171]
	s_waitcnt vmcnt(3) lgkmcnt(1)
	v_mul_f64 v[14:15], v[2:3], v[28:29]
	v_mul_f64 v[20:21], v[4:5], v[28:29]
	s_waitcnt vmcnt(2) lgkmcnt(0)
	v_mul_f64 v[24:25], v[8:9], v[32:33]
	v_add_f64 v[10:11], v[10:11], v[18:19]
	v_add_f64 v[12:13], v[12:13], v[166:167]
	v_mul_f64 v[18:19], v[6:7], v[32:33]
	v_fma_f64 v[14:15], v[4:5], v[26:27], v[14:15]
	v_fma_f64 v[20:21], v[2:3], v[26:27], -v[20:21]
	ds_load_b128 v[2:5], v1 offset:1296
	v_fma_f64 v[6:7], v[6:7], v[30:31], -v[24:25]
	v_add_f64 v[10:11], v[10:11], v[22:23]
	v_add_f64 v[12:13], v[12:13], v[16:17]
	s_waitcnt vmcnt(1) lgkmcnt(0)
	v_mul_f64 v[16:17], v[2:3], v[40:41]
	v_mul_f64 v[22:23], v[4:5], v[40:41]
	v_fma_f64 v[8:9], v[8:9], v[30:31], v[18:19]
	v_add_f64 v[10:11], v[10:11], v[20:21]
	v_add_f64 v[12:13], v[12:13], v[14:15]
	v_fma_f64 v[4:5], v[4:5], v[38:39], v[16:17]
	v_fma_f64 v[2:3], v[2:3], v[38:39], -v[22:23]
	s_delay_alu instid0(VALU_DEP_4) | instskip(NEXT) | instid1(VALU_DEP_4)
	v_add_f64 v[6:7], v[10:11], v[6:7]
	v_add_f64 v[8:9], v[12:13], v[8:9]
	s_delay_alu instid0(VALU_DEP_2) | instskip(NEXT) | instid1(VALU_DEP_2)
	v_add_f64 v[2:3], v[6:7], v[2:3]
	v_add_f64 v[4:5], v[8:9], v[4:5]
	s_waitcnt vmcnt(0)
	s_delay_alu instid0(VALU_DEP_2) | instskip(NEXT) | instid1(VALU_DEP_2)
	v_add_f64 v[2:3], v[34:35], -v[2:3]
	v_add_f64 v[4:5], v[36:37], -v[4:5]
	scratch_store_b128 off, v[2:5], off offset:336
	v_cmpx_lt_u32_e32 20, v124
	s_cbranch_execz .LBB104_219
; %bb.218:
	scratch_load_b128 v[5:8], v149, off
	v_mov_b32_e32 v2, v1
	v_mov_b32_e32 v3, v1
	;; [unrolled: 1-line block ×3, first 2 shown]
	scratch_store_b128 off, v[1:4], off offset:320
	s_waitcnt vmcnt(0)
	ds_store_b128 v165, v[5:8]
.LBB104_219:
	s_or_b32 exec_lo, exec_lo, s2
	s_waitcnt lgkmcnt(0)
	s_waitcnt_vscnt null, 0x0
	s_barrier
	buffer_gl0_inv
	s_clause 0x7
	scratch_load_b128 v[2:5], off, off offset:336
	scratch_load_b128 v[6:9], off, off offset:352
	;; [unrolled: 1-line block ×8, first 2 shown]
	ds_load_b128 v[34:37], v1 offset:992
	ds_load_b128 v[166:169], v1 offset:1008
	s_clause 0x1
	scratch_load_b128 v[38:41], off, off offset:464
	scratch_load_b128 v[170:173], off, off offset:480
	s_mov_b32 s2, exec_lo
	s_waitcnt vmcnt(9) lgkmcnt(1)
	v_mul_f64 v[174:175], v[36:37], v[4:5]
	v_mul_f64 v[4:5], v[34:35], v[4:5]
	s_waitcnt vmcnt(8) lgkmcnt(0)
	v_mul_f64 v[176:177], v[166:167], v[8:9]
	v_mul_f64 v[8:9], v[168:169], v[8:9]
	s_delay_alu instid0(VALU_DEP_4) | instskip(NEXT) | instid1(VALU_DEP_4)
	v_fma_f64 v[174:175], v[34:35], v[2:3], -v[174:175]
	v_fma_f64 v[178:179], v[36:37], v[2:3], v[4:5]
	ds_load_b128 v[2:5], v1 offset:1024
	scratch_load_b128 v[34:37], off, off offset:496
	v_fma_f64 v[176:177], v[168:169], v[6:7], v[176:177]
	v_fma_f64 v[182:183], v[166:167], v[6:7], -v[8:9]
	ds_load_b128 v[6:9], v1 offset:1040
	scratch_load_b128 v[166:169], off, off offset:512
	s_waitcnt vmcnt(9) lgkmcnt(1)
	v_mul_f64 v[180:181], v[2:3], v[12:13]
	v_mul_f64 v[12:13], v[4:5], v[12:13]
	s_waitcnt vmcnt(8) lgkmcnt(0)
	v_mul_f64 v[184:185], v[6:7], v[16:17]
	v_mul_f64 v[16:17], v[8:9], v[16:17]
	v_add_f64 v[174:175], v[174:175], 0
	v_add_f64 v[178:179], v[178:179], 0
	v_fma_f64 v[180:181], v[4:5], v[10:11], v[180:181]
	v_fma_f64 v[186:187], v[2:3], v[10:11], -v[12:13]
	scratch_load_b128 v[10:13], off, off offset:528
	ds_load_b128 v[2:5], v1 offset:1056
	v_add_f64 v[174:175], v[174:175], v[182:183]
	v_add_f64 v[176:177], v[178:179], v[176:177]
	v_fma_f64 v[182:183], v[8:9], v[14:15], v[184:185]
	v_fma_f64 v[184:185], v[6:7], v[14:15], -v[16:17]
	ds_load_b128 v[6:9], v1 offset:1072
	scratch_load_b128 v[14:17], off, off offset:544
	s_waitcnt vmcnt(9) lgkmcnt(1)
	v_mul_f64 v[178:179], v[2:3], v[20:21]
	v_mul_f64 v[20:21], v[4:5], v[20:21]
	v_add_f64 v[174:175], v[174:175], v[186:187]
	v_add_f64 v[176:177], v[176:177], v[180:181]
	s_waitcnt vmcnt(8) lgkmcnt(0)
	v_mul_f64 v[180:181], v[6:7], v[24:25]
	v_mul_f64 v[24:25], v[8:9], v[24:25]
	v_fma_f64 v[178:179], v[4:5], v[18:19], v[178:179]
	v_fma_f64 v[186:187], v[2:3], v[18:19], -v[20:21]
	scratch_load_b128 v[18:21], off, off offset:560
	ds_load_b128 v[2:5], v1 offset:1088
	v_add_f64 v[174:175], v[174:175], v[184:185]
	v_add_f64 v[176:177], v[176:177], v[182:183]
	v_fma_f64 v[180:181], v[8:9], v[22:23], v[180:181]
	v_fma_f64 v[184:185], v[6:7], v[22:23], -v[24:25]
	ds_load_b128 v[6:9], v1 offset:1104
	s_waitcnt vmcnt(8) lgkmcnt(1)
	v_mul_f64 v[182:183], v[2:3], v[28:29]
	v_mul_f64 v[28:29], v[4:5], v[28:29]
	scratch_load_b128 v[22:25], off, off offset:576
	v_add_f64 v[174:175], v[174:175], v[186:187]
	v_add_f64 v[176:177], v[176:177], v[178:179]
	s_waitcnt vmcnt(8) lgkmcnt(0)
	v_mul_f64 v[178:179], v[6:7], v[32:33]
	v_mul_f64 v[32:33], v[8:9], v[32:33]
	v_fma_f64 v[182:183], v[4:5], v[26:27], v[182:183]
	v_fma_f64 v[186:187], v[2:3], v[26:27], -v[28:29]
	scratch_load_b128 v[26:29], off, off offset:592
	ds_load_b128 v[2:5], v1 offset:1120
	v_add_f64 v[174:175], v[174:175], v[184:185]
	v_add_f64 v[176:177], v[176:177], v[180:181]
	v_fma_f64 v[178:179], v[8:9], v[30:31], v[178:179]
	v_fma_f64 v[184:185], v[6:7], v[30:31], -v[32:33]
	ds_load_b128 v[6:9], v1 offset:1136
	s_waitcnt vmcnt(8) lgkmcnt(1)
	v_mul_f64 v[180:181], v[2:3], v[40:41]
	v_mul_f64 v[40:41], v[4:5], v[40:41]
	scratch_load_b128 v[30:33], off, off offset:608
	v_add_f64 v[174:175], v[174:175], v[186:187]
	v_add_f64 v[176:177], v[176:177], v[182:183]
	s_waitcnt vmcnt(8) lgkmcnt(0)
	v_mul_f64 v[182:183], v[6:7], v[172:173]
	v_mul_f64 v[172:173], v[8:9], v[172:173]
	v_fma_f64 v[180:181], v[4:5], v[38:39], v[180:181]
	v_fma_f64 v[186:187], v[2:3], v[38:39], -v[40:41]
	scratch_load_b128 v[38:41], off, off offset:624
	ds_load_b128 v[2:5], v1 offset:1152
	v_add_f64 v[174:175], v[174:175], v[184:185]
	v_add_f64 v[176:177], v[176:177], v[178:179]
	v_fma_f64 v[182:183], v[8:9], v[170:171], v[182:183]
	v_fma_f64 v[184:185], v[6:7], v[170:171], -v[172:173]
	ds_load_b128 v[6:9], v1 offset:1168
	scratch_load_b128 v[170:173], off, off offset:640
	s_waitcnt vmcnt(9) lgkmcnt(1)
	v_mul_f64 v[178:179], v[2:3], v[36:37]
	v_mul_f64 v[36:37], v[4:5], v[36:37]
	v_add_f64 v[174:175], v[174:175], v[186:187]
	v_add_f64 v[176:177], v[176:177], v[180:181]
	s_delay_alu instid0(VALU_DEP_4) | instskip(NEXT) | instid1(VALU_DEP_4)
	v_fma_f64 v[178:179], v[4:5], v[34:35], v[178:179]
	v_fma_f64 v[34:35], v[2:3], v[34:35], -v[36:37]
	ds_load_b128 v[2:5], v1 offset:1184
	v_add_f64 v[36:37], v[174:175], v[184:185]
	v_add_f64 v[174:175], v[176:177], v[182:183]
	s_waitcnt vmcnt(7) lgkmcnt(0)
	v_mul_f64 v[176:177], v[2:3], v[12:13]
	v_mul_f64 v[12:13], v[4:5], v[12:13]
	s_delay_alu instid0(VALU_DEP_4) | instskip(NEXT) | instid1(VALU_DEP_4)
	v_add_f64 v[34:35], v[36:37], v[34:35]
	v_add_f64 v[36:37], v[174:175], v[178:179]
	s_delay_alu instid0(VALU_DEP_4) | instskip(NEXT) | instid1(VALU_DEP_4)
	v_fma_f64 v[174:175], v[4:5], v[10:11], v[176:177]
	v_fma_f64 v[176:177], v[2:3], v[10:11], -v[12:13]
	scratch_load_b128 v[10:13], off, off offset:320
	v_mul_f64 v[180:181], v[6:7], v[168:169]
	v_mul_f64 v[168:169], v[8:9], v[168:169]
	ds_load_b128 v[2:5], v1 offset:1216
	v_fma_f64 v[180:181], v[8:9], v[166:167], v[180:181]
	v_fma_f64 v[166:167], v[6:7], v[166:167], -v[168:169]
	ds_load_b128 v[6:9], v1 offset:1200
	s_waitcnt vmcnt(7) lgkmcnt(0)
	v_mul_f64 v[168:169], v[6:7], v[16:17]
	v_mul_f64 v[16:17], v[8:9], v[16:17]
	v_add_f64 v[36:37], v[36:37], v[180:181]
	v_add_f64 v[34:35], v[34:35], v[166:167]
	s_waitcnt vmcnt(6)
	v_mul_f64 v[166:167], v[2:3], v[20:21]
	v_mul_f64 v[20:21], v[4:5], v[20:21]
	v_fma_f64 v[168:169], v[8:9], v[14:15], v[168:169]
	v_fma_f64 v[14:15], v[6:7], v[14:15], -v[16:17]
	ds_load_b128 v[6:9], v1 offset:1232
	v_add_f64 v[16:17], v[34:35], v[176:177]
	v_add_f64 v[34:35], v[36:37], v[174:175]
	v_fma_f64 v[166:167], v[4:5], v[18:19], v[166:167]
	v_fma_f64 v[18:19], v[2:3], v[18:19], -v[20:21]
	ds_load_b128 v[2:5], v1 offset:1248
	s_waitcnt vmcnt(5) lgkmcnt(1)
	v_mul_f64 v[36:37], v[6:7], v[24:25]
	v_mul_f64 v[24:25], v[8:9], v[24:25]
	s_waitcnt vmcnt(4) lgkmcnt(0)
	v_mul_f64 v[20:21], v[2:3], v[28:29]
	v_mul_f64 v[28:29], v[4:5], v[28:29]
	v_add_f64 v[14:15], v[16:17], v[14:15]
	v_add_f64 v[16:17], v[34:35], v[168:169]
	v_fma_f64 v[34:35], v[8:9], v[22:23], v[36:37]
	v_fma_f64 v[22:23], v[6:7], v[22:23], -v[24:25]
	ds_load_b128 v[6:9], v1 offset:1264
	v_fma_f64 v[20:21], v[4:5], v[26:27], v[20:21]
	v_fma_f64 v[26:27], v[2:3], v[26:27], -v[28:29]
	ds_load_b128 v[2:5], v1 offset:1280
	s_waitcnt vmcnt(3) lgkmcnt(1)
	v_mul_f64 v[24:25], v[8:9], v[32:33]
	v_add_f64 v[14:15], v[14:15], v[18:19]
	v_add_f64 v[16:17], v[16:17], v[166:167]
	v_mul_f64 v[18:19], v[6:7], v[32:33]
	s_waitcnt vmcnt(2) lgkmcnt(0)
	v_mul_f64 v[28:29], v[4:5], v[40:41]
	v_fma_f64 v[24:25], v[6:7], v[30:31], -v[24:25]
	v_add_f64 v[14:15], v[14:15], v[22:23]
	v_add_f64 v[16:17], v[16:17], v[34:35]
	v_mul_f64 v[22:23], v[2:3], v[40:41]
	v_fma_f64 v[18:19], v[8:9], v[30:31], v[18:19]
	ds_load_b128 v[6:9], v1 offset:1296
	v_fma_f64 v[1:2], v[2:3], v[38:39], -v[28:29]
	v_add_f64 v[14:15], v[14:15], v[26:27]
	v_add_f64 v[16:17], v[16:17], v[20:21]
	s_waitcnt vmcnt(1) lgkmcnt(0)
	v_mul_f64 v[20:21], v[6:7], v[172:173]
	v_mul_f64 v[26:27], v[8:9], v[172:173]
	v_fma_f64 v[4:5], v[4:5], v[38:39], v[22:23]
	v_add_f64 v[14:15], v[14:15], v[24:25]
	v_add_f64 v[16:17], v[16:17], v[18:19]
	v_fma_f64 v[8:9], v[8:9], v[170:171], v[20:21]
	v_fma_f64 v[6:7], v[6:7], v[170:171], -v[26:27]
	s_delay_alu instid0(VALU_DEP_4) | instskip(NEXT) | instid1(VALU_DEP_4)
	v_add_f64 v[1:2], v[14:15], v[1:2]
	v_add_f64 v[3:4], v[16:17], v[4:5]
	s_delay_alu instid0(VALU_DEP_2) | instskip(NEXT) | instid1(VALU_DEP_2)
	v_add_f64 v[1:2], v[1:2], v[6:7]
	v_add_f64 v[3:4], v[3:4], v[8:9]
	s_waitcnt vmcnt(0)
	s_delay_alu instid0(VALU_DEP_2) | instskip(NEXT) | instid1(VALU_DEP_2)
	v_add_f64 v[1:2], v[10:11], -v[1:2]
	v_add_f64 v[3:4], v[12:13], -v[3:4]
	scratch_store_b128 off, v[1:4], off offset:320
	v_cmpx_lt_u32_e32 19, v124
	s_cbranch_execz .LBB104_221
; %bb.220:
	scratch_load_b128 v[1:4], v150, off
	v_mov_b32_e32 v5, 0
	s_delay_alu instid0(VALU_DEP_1)
	v_mov_b32_e32 v6, v5
	v_mov_b32_e32 v7, v5
	;; [unrolled: 1-line block ×3, first 2 shown]
	scratch_store_b128 off, v[5:8], off offset:304
	s_waitcnt vmcnt(0)
	ds_store_b128 v165, v[1:4]
.LBB104_221:
	s_or_b32 exec_lo, exec_lo, s2
	s_waitcnt lgkmcnt(0)
	s_waitcnt_vscnt null, 0x0
	s_barrier
	buffer_gl0_inv
	s_clause 0x7
	scratch_load_b128 v[2:5], off, off offset:320
	scratch_load_b128 v[6:9], off, off offset:336
	scratch_load_b128 v[10:13], off, off offset:352
	scratch_load_b128 v[14:17], off, off offset:368
	scratch_load_b128 v[18:21], off, off offset:384
	scratch_load_b128 v[22:25], off, off offset:400
	scratch_load_b128 v[26:29], off, off offset:416
	scratch_load_b128 v[30:33], off, off offset:432
	v_mov_b32_e32 v1, 0
	s_clause 0x1
	scratch_load_b128 v[38:41], off, off offset:448
	scratch_load_b128 v[170:173], off, off offset:464
	s_mov_b32 s2, exec_lo
	ds_load_b128 v[34:37], v1 offset:976
	ds_load_b128 v[166:169], v1 offset:992
	s_waitcnt vmcnt(9) lgkmcnt(1)
	v_mul_f64 v[174:175], v[36:37], v[4:5]
	v_mul_f64 v[4:5], v[34:35], v[4:5]
	s_waitcnt vmcnt(8) lgkmcnt(0)
	v_mul_f64 v[176:177], v[166:167], v[8:9]
	v_mul_f64 v[8:9], v[168:169], v[8:9]
	s_delay_alu instid0(VALU_DEP_4) | instskip(NEXT) | instid1(VALU_DEP_4)
	v_fma_f64 v[174:175], v[34:35], v[2:3], -v[174:175]
	v_fma_f64 v[178:179], v[36:37], v[2:3], v[4:5]
	ds_load_b128 v[2:5], v1 offset:1008
	scratch_load_b128 v[34:37], off, off offset:480
	v_fma_f64 v[176:177], v[168:169], v[6:7], v[176:177]
	v_fma_f64 v[182:183], v[166:167], v[6:7], -v[8:9]
	scratch_load_b128 v[166:169], off, off offset:496
	ds_load_b128 v[6:9], v1 offset:1024
	s_waitcnt vmcnt(9) lgkmcnt(1)
	v_mul_f64 v[180:181], v[2:3], v[12:13]
	v_mul_f64 v[12:13], v[4:5], v[12:13]
	s_waitcnt vmcnt(8) lgkmcnt(0)
	v_mul_f64 v[184:185], v[6:7], v[16:17]
	v_mul_f64 v[16:17], v[8:9], v[16:17]
	v_add_f64 v[174:175], v[174:175], 0
	v_add_f64 v[178:179], v[178:179], 0
	v_fma_f64 v[180:181], v[4:5], v[10:11], v[180:181]
	v_fma_f64 v[186:187], v[2:3], v[10:11], -v[12:13]
	ds_load_b128 v[2:5], v1 offset:1040
	scratch_load_b128 v[10:13], off, off offset:512
	v_add_f64 v[174:175], v[174:175], v[182:183]
	v_add_f64 v[176:177], v[178:179], v[176:177]
	v_fma_f64 v[182:183], v[8:9], v[14:15], v[184:185]
	v_fma_f64 v[184:185], v[6:7], v[14:15], -v[16:17]
	scratch_load_b128 v[14:17], off, off offset:528
	ds_load_b128 v[6:9], v1 offset:1056
	s_waitcnt vmcnt(9) lgkmcnt(1)
	v_mul_f64 v[178:179], v[2:3], v[20:21]
	v_mul_f64 v[20:21], v[4:5], v[20:21]
	v_add_f64 v[174:175], v[174:175], v[186:187]
	v_add_f64 v[176:177], v[176:177], v[180:181]
	s_waitcnt vmcnt(8) lgkmcnt(0)
	v_mul_f64 v[180:181], v[6:7], v[24:25]
	v_mul_f64 v[24:25], v[8:9], v[24:25]
	v_fma_f64 v[178:179], v[4:5], v[18:19], v[178:179]
	v_fma_f64 v[186:187], v[2:3], v[18:19], -v[20:21]
	ds_load_b128 v[2:5], v1 offset:1072
	scratch_load_b128 v[18:21], off, off offset:544
	v_add_f64 v[174:175], v[174:175], v[184:185]
	v_add_f64 v[176:177], v[176:177], v[182:183]
	v_fma_f64 v[180:181], v[8:9], v[22:23], v[180:181]
	v_fma_f64 v[184:185], v[6:7], v[22:23], -v[24:25]
	ds_load_b128 v[6:9], v1 offset:1088
	s_waitcnt vmcnt(8) lgkmcnt(1)
	v_mul_f64 v[182:183], v[2:3], v[28:29]
	v_mul_f64 v[28:29], v[4:5], v[28:29]
	scratch_load_b128 v[22:25], off, off offset:560
	v_add_f64 v[174:175], v[174:175], v[186:187]
	v_add_f64 v[176:177], v[176:177], v[178:179]
	s_waitcnt vmcnt(8) lgkmcnt(0)
	v_mul_f64 v[178:179], v[6:7], v[32:33]
	v_mul_f64 v[32:33], v[8:9], v[32:33]
	v_fma_f64 v[182:183], v[4:5], v[26:27], v[182:183]
	v_fma_f64 v[186:187], v[2:3], v[26:27], -v[28:29]
	scratch_load_b128 v[26:29], off, off offset:576
	ds_load_b128 v[2:5], v1 offset:1104
	v_add_f64 v[174:175], v[174:175], v[184:185]
	v_add_f64 v[176:177], v[176:177], v[180:181]
	v_fma_f64 v[178:179], v[8:9], v[30:31], v[178:179]
	v_fma_f64 v[184:185], v[6:7], v[30:31], -v[32:33]
	ds_load_b128 v[6:9], v1 offset:1120
	s_waitcnt vmcnt(8) lgkmcnt(1)
	v_mul_f64 v[180:181], v[2:3], v[40:41]
	v_mul_f64 v[40:41], v[4:5], v[40:41]
	scratch_load_b128 v[30:33], off, off offset:592
	v_add_f64 v[174:175], v[174:175], v[186:187]
	v_add_f64 v[176:177], v[176:177], v[182:183]
	s_waitcnt vmcnt(8) lgkmcnt(0)
	v_mul_f64 v[182:183], v[6:7], v[172:173]
	v_mul_f64 v[172:173], v[8:9], v[172:173]
	v_fma_f64 v[180:181], v[4:5], v[38:39], v[180:181]
	v_fma_f64 v[186:187], v[2:3], v[38:39], -v[40:41]
	scratch_load_b128 v[38:41], off, off offset:608
	ds_load_b128 v[2:5], v1 offset:1136
	v_add_f64 v[174:175], v[174:175], v[184:185]
	v_add_f64 v[176:177], v[176:177], v[178:179]
	v_fma_f64 v[182:183], v[8:9], v[170:171], v[182:183]
	v_fma_f64 v[184:185], v[6:7], v[170:171], -v[172:173]
	ds_load_b128 v[6:9], v1 offset:1152
	scratch_load_b128 v[170:173], off, off offset:624
	s_waitcnt vmcnt(9) lgkmcnt(1)
	v_mul_f64 v[178:179], v[2:3], v[36:37]
	v_mul_f64 v[36:37], v[4:5], v[36:37]
	v_add_f64 v[174:175], v[174:175], v[186:187]
	v_add_f64 v[176:177], v[176:177], v[180:181]
	s_waitcnt vmcnt(8) lgkmcnt(0)
	v_mul_f64 v[180:181], v[6:7], v[168:169]
	v_mul_f64 v[168:169], v[8:9], v[168:169]
	v_fma_f64 v[178:179], v[4:5], v[34:35], v[178:179]
	v_fma_f64 v[186:187], v[2:3], v[34:35], -v[36:37]
	scratch_load_b128 v[34:37], off, off offset:640
	ds_load_b128 v[2:5], v1 offset:1168
	v_add_f64 v[174:175], v[174:175], v[184:185]
	v_add_f64 v[176:177], v[176:177], v[182:183]
	v_fma_f64 v[180:181], v[8:9], v[166:167], v[180:181]
	v_fma_f64 v[166:167], v[6:7], v[166:167], -v[168:169]
	ds_load_b128 v[6:9], v1 offset:1184
	s_waitcnt vmcnt(8) lgkmcnt(1)
	v_mul_f64 v[182:183], v[2:3], v[12:13]
	v_mul_f64 v[12:13], v[4:5], v[12:13]
	v_add_f64 v[168:169], v[174:175], v[186:187]
	v_add_f64 v[174:175], v[176:177], v[178:179]
	s_waitcnt vmcnt(7) lgkmcnt(0)
	v_mul_f64 v[176:177], v[6:7], v[16:17]
	v_mul_f64 v[16:17], v[8:9], v[16:17]
	v_fma_f64 v[178:179], v[4:5], v[10:11], v[182:183]
	v_fma_f64 v[10:11], v[2:3], v[10:11], -v[12:13]
	ds_load_b128 v[2:5], v1 offset:1200
	v_add_f64 v[12:13], v[168:169], v[166:167]
	v_add_f64 v[166:167], v[174:175], v[180:181]
	v_fma_f64 v[174:175], v[8:9], v[14:15], v[176:177]
	v_fma_f64 v[14:15], v[6:7], v[14:15], -v[16:17]
	ds_load_b128 v[6:9], v1 offset:1216
	s_waitcnt vmcnt(5) lgkmcnt(0)
	v_mul_f64 v[176:177], v[6:7], v[24:25]
	v_mul_f64 v[24:25], v[8:9], v[24:25]
	v_add_f64 v[16:17], v[12:13], v[10:11]
	v_add_f64 v[166:167], v[166:167], v[178:179]
	scratch_load_b128 v[10:13], off, off offset:304
	v_mul_f64 v[168:169], v[2:3], v[20:21]
	v_mul_f64 v[20:21], v[4:5], v[20:21]
	v_add_f64 v[14:15], v[16:17], v[14:15]
	v_add_f64 v[16:17], v[166:167], v[174:175]
	v_fma_f64 v[166:167], v[8:9], v[22:23], v[176:177]
	v_fma_f64 v[168:169], v[4:5], v[18:19], v[168:169]
	v_fma_f64 v[18:19], v[2:3], v[18:19], -v[20:21]
	ds_load_b128 v[2:5], v1 offset:1232
	v_fma_f64 v[22:23], v[6:7], v[22:23], -v[24:25]
	ds_load_b128 v[6:9], v1 offset:1248
	s_waitcnt vmcnt(5) lgkmcnt(1)
	v_mul_f64 v[20:21], v[2:3], v[28:29]
	v_mul_f64 v[28:29], v[4:5], v[28:29]
	s_waitcnt vmcnt(4) lgkmcnt(0)
	v_mul_f64 v[24:25], v[8:9], v[32:33]
	v_add_f64 v[16:17], v[16:17], v[168:169]
	v_add_f64 v[14:15], v[14:15], v[18:19]
	v_mul_f64 v[18:19], v[6:7], v[32:33]
	v_fma_f64 v[20:21], v[4:5], v[26:27], v[20:21]
	v_fma_f64 v[26:27], v[2:3], v[26:27], -v[28:29]
	ds_load_b128 v[2:5], v1 offset:1264
	v_fma_f64 v[24:25], v[6:7], v[30:31], -v[24:25]
	v_add_f64 v[16:17], v[16:17], v[166:167]
	v_add_f64 v[14:15], v[14:15], v[22:23]
	v_fma_f64 v[18:19], v[8:9], v[30:31], v[18:19]
	ds_load_b128 v[6:9], v1 offset:1280
	s_waitcnt vmcnt(3) lgkmcnt(1)
	v_mul_f64 v[22:23], v[2:3], v[40:41]
	v_mul_f64 v[28:29], v[4:5], v[40:41]
	v_add_f64 v[16:17], v[16:17], v[20:21]
	v_add_f64 v[14:15], v[14:15], v[26:27]
	s_waitcnt vmcnt(2) lgkmcnt(0)
	v_mul_f64 v[20:21], v[6:7], v[172:173]
	v_mul_f64 v[26:27], v[8:9], v[172:173]
	v_fma_f64 v[22:23], v[4:5], v[38:39], v[22:23]
	v_fma_f64 v[28:29], v[2:3], v[38:39], -v[28:29]
	ds_load_b128 v[2:5], v1 offset:1296
	v_add_f64 v[16:17], v[16:17], v[18:19]
	v_add_f64 v[14:15], v[14:15], v[24:25]
	s_waitcnt vmcnt(1) lgkmcnt(0)
	v_mul_f64 v[18:19], v[2:3], v[36:37]
	v_mul_f64 v[24:25], v[4:5], v[36:37]
	v_fma_f64 v[8:9], v[8:9], v[170:171], v[20:21]
	v_fma_f64 v[6:7], v[6:7], v[170:171], -v[26:27]
	v_add_f64 v[16:17], v[16:17], v[22:23]
	v_add_f64 v[14:15], v[14:15], v[28:29]
	v_fma_f64 v[4:5], v[4:5], v[34:35], v[18:19]
	v_fma_f64 v[2:3], v[2:3], v[34:35], -v[24:25]
	s_delay_alu instid0(VALU_DEP_4) | instskip(NEXT) | instid1(VALU_DEP_4)
	v_add_f64 v[8:9], v[16:17], v[8:9]
	v_add_f64 v[6:7], v[14:15], v[6:7]
	s_delay_alu instid0(VALU_DEP_2) | instskip(NEXT) | instid1(VALU_DEP_2)
	v_add_f64 v[4:5], v[8:9], v[4:5]
	v_add_f64 v[2:3], v[6:7], v[2:3]
	s_waitcnt vmcnt(0)
	s_delay_alu instid0(VALU_DEP_2) | instskip(NEXT) | instid1(VALU_DEP_2)
	v_add_f64 v[4:5], v[12:13], -v[4:5]
	v_add_f64 v[2:3], v[10:11], -v[2:3]
	scratch_store_b128 off, v[2:5], off offset:304
	v_cmpx_lt_u32_e32 18, v124
	s_cbranch_execz .LBB104_223
; %bb.222:
	scratch_load_b128 v[5:8], v151, off
	v_mov_b32_e32 v2, v1
	v_mov_b32_e32 v3, v1
	;; [unrolled: 1-line block ×3, first 2 shown]
	scratch_store_b128 off, v[1:4], off offset:288
	s_waitcnt vmcnt(0)
	ds_store_b128 v165, v[5:8]
.LBB104_223:
	s_or_b32 exec_lo, exec_lo, s2
	s_waitcnt lgkmcnt(0)
	s_waitcnt_vscnt null, 0x0
	s_barrier
	buffer_gl0_inv
	s_clause 0x7
	scratch_load_b128 v[2:5], off, off offset:304
	scratch_load_b128 v[6:9], off, off offset:320
	;; [unrolled: 1-line block ×8, first 2 shown]
	ds_load_b128 v[34:37], v1 offset:960
	ds_load_b128 v[166:169], v1 offset:976
	s_clause 0x1
	scratch_load_b128 v[38:41], off, off offset:432
	scratch_load_b128 v[170:173], off, off offset:448
	s_mov_b32 s2, exec_lo
	s_waitcnt vmcnt(9) lgkmcnt(1)
	v_mul_f64 v[174:175], v[36:37], v[4:5]
	v_mul_f64 v[4:5], v[34:35], v[4:5]
	s_waitcnt vmcnt(8) lgkmcnt(0)
	v_mul_f64 v[176:177], v[166:167], v[8:9]
	v_mul_f64 v[8:9], v[168:169], v[8:9]
	s_delay_alu instid0(VALU_DEP_4) | instskip(NEXT) | instid1(VALU_DEP_4)
	v_fma_f64 v[174:175], v[34:35], v[2:3], -v[174:175]
	v_fma_f64 v[178:179], v[36:37], v[2:3], v[4:5]
	ds_load_b128 v[2:5], v1 offset:992
	scratch_load_b128 v[34:37], off, off offset:464
	v_fma_f64 v[176:177], v[168:169], v[6:7], v[176:177]
	v_fma_f64 v[182:183], v[166:167], v[6:7], -v[8:9]
	scratch_load_b128 v[166:169], off, off offset:480
	ds_load_b128 v[6:9], v1 offset:1008
	s_waitcnt vmcnt(9) lgkmcnt(1)
	v_mul_f64 v[180:181], v[2:3], v[12:13]
	v_mul_f64 v[12:13], v[4:5], v[12:13]
	s_waitcnt vmcnt(8) lgkmcnt(0)
	v_mul_f64 v[184:185], v[6:7], v[16:17]
	v_mul_f64 v[16:17], v[8:9], v[16:17]
	v_add_f64 v[174:175], v[174:175], 0
	v_add_f64 v[178:179], v[178:179], 0
	v_fma_f64 v[180:181], v[4:5], v[10:11], v[180:181]
	v_fma_f64 v[186:187], v[2:3], v[10:11], -v[12:13]
	ds_load_b128 v[2:5], v1 offset:1024
	scratch_load_b128 v[10:13], off, off offset:496
	v_add_f64 v[174:175], v[174:175], v[182:183]
	v_add_f64 v[176:177], v[178:179], v[176:177]
	v_fma_f64 v[182:183], v[8:9], v[14:15], v[184:185]
	v_fma_f64 v[184:185], v[6:7], v[14:15], -v[16:17]
	scratch_load_b128 v[14:17], off, off offset:512
	ds_load_b128 v[6:9], v1 offset:1040
	s_waitcnt vmcnt(9) lgkmcnt(1)
	v_mul_f64 v[178:179], v[2:3], v[20:21]
	v_mul_f64 v[20:21], v[4:5], v[20:21]
	v_add_f64 v[174:175], v[174:175], v[186:187]
	v_add_f64 v[176:177], v[176:177], v[180:181]
	s_waitcnt vmcnt(8) lgkmcnt(0)
	v_mul_f64 v[180:181], v[6:7], v[24:25]
	v_mul_f64 v[24:25], v[8:9], v[24:25]
	v_fma_f64 v[178:179], v[4:5], v[18:19], v[178:179]
	v_fma_f64 v[186:187], v[2:3], v[18:19], -v[20:21]
	ds_load_b128 v[2:5], v1 offset:1056
	scratch_load_b128 v[18:21], off, off offset:528
	v_add_f64 v[174:175], v[174:175], v[184:185]
	v_add_f64 v[176:177], v[176:177], v[182:183]
	v_fma_f64 v[180:181], v[8:9], v[22:23], v[180:181]
	v_fma_f64 v[184:185], v[6:7], v[22:23], -v[24:25]
	ds_load_b128 v[6:9], v1 offset:1072
	s_waitcnt vmcnt(8) lgkmcnt(1)
	v_mul_f64 v[182:183], v[2:3], v[28:29]
	v_mul_f64 v[28:29], v[4:5], v[28:29]
	scratch_load_b128 v[22:25], off, off offset:544
	v_add_f64 v[174:175], v[174:175], v[186:187]
	v_add_f64 v[176:177], v[176:177], v[178:179]
	s_waitcnt vmcnt(8) lgkmcnt(0)
	v_mul_f64 v[178:179], v[6:7], v[32:33]
	v_mul_f64 v[32:33], v[8:9], v[32:33]
	v_fma_f64 v[182:183], v[4:5], v[26:27], v[182:183]
	v_fma_f64 v[186:187], v[2:3], v[26:27], -v[28:29]
	ds_load_b128 v[2:5], v1 offset:1088
	scratch_load_b128 v[26:29], off, off offset:560
	v_add_f64 v[174:175], v[174:175], v[184:185]
	v_add_f64 v[176:177], v[176:177], v[180:181]
	v_fma_f64 v[178:179], v[8:9], v[30:31], v[178:179]
	v_fma_f64 v[184:185], v[6:7], v[30:31], -v[32:33]
	ds_load_b128 v[6:9], v1 offset:1104
	s_waitcnt vmcnt(8) lgkmcnt(1)
	v_mul_f64 v[180:181], v[2:3], v[40:41]
	v_mul_f64 v[40:41], v[4:5], v[40:41]
	scratch_load_b128 v[30:33], off, off offset:576
	v_add_f64 v[174:175], v[174:175], v[186:187]
	v_add_f64 v[176:177], v[176:177], v[182:183]
	s_waitcnt vmcnt(8) lgkmcnt(0)
	v_mul_f64 v[182:183], v[6:7], v[172:173]
	v_mul_f64 v[172:173], v[8:9], v[172:173]
	v_fma_f64 v[180:181], v[4:5], v[38:39], v[180:181]
	v_fma_f64 v[186:187], v[2:3], v[38:39], -v[40:41]
	scratch_load_b128 v[38:41], off, off offset:592
	ds_load_b128 v[2:5], v1 offset:1120
	v_add_f64 v[174:175], v[174:175], v[184:185]
	v_add_f64 v[176:177], v[176:177], v[178:179]
	v_fma_f64 v[182:183], v[8:9], v[170:171], v[182:183]
	v_fma_f64 v[184:185], v[6:7], v[170:171], -v[172:173]
	ds_load_b128 v[6:9], v1 offset:1136
	scratch_load_b128 v[170:173], off, off offset:608
	s_waitcnt vmcnt(9) lgkmcnt(1)
	v_mul_f64 v[178:179], v[2:3], v[36:37]
	v_mul_f64 v[36:37], v[4:5], v[36:37]
	v_add_f64 v[174:175], v[174:175], v[186:187]
	v_add_f64 v[176:177], v[176:177], v[180:181]
	s_waitcnt vmcnt(8) lgkmcnt(0)
	v_mul_f64 v[180:181], v[6:7], v[168:169]
	v_mul_f64 v[168:169], v[8:9], v[168:169]
	v_fma_f64 v[178:179], v[4:5], v[34:35], v[178:179]
	v_fma_f64 v[186:187], v[2:3], v[34:35], -v[36:37]
	scratch_load_b128 v[34:37], off, off offset:624
	ds_load_b128 v[2:5], v1 offset:1152
	v_add_f64 v[174:175], v[174:175], v[184:185]
	v_add_f64 v[176:177], v[176:177], v[182:183]
	v_fma_f64 v[180:181], v[8:9], v[166:167], v[180:181]
	v_fma_f64 v[184:185], v[6:7], v[166:167], -v[168:169]
	ds_load_b128 v[6:9], v1 offset:1168
	s_waitcnt vmcnt(8) lgkmcnt(1)
	v_mul_f64 v[182:183], v[2:3], v[12:13]
	v_mul_f64 v[12:13], v[4:5], v[12:13]
	scratch_load_b128 v[166:169], off, off offset:640
	v_add_f64 v[174:175], v[174:175], v[186:187]
	v_add_f64 v[176:177], v[176:177], v[178:179]
	s_waitcnt vmcnt(8) lgkmcnt(0)
	v_mul_f64 v[178:179], v[6:7], v[16:17]
	v_mul_f64 v[16:17], v[8:9], v[16:17]
	v_fma_f64 v[182:183], v[4:5], v[10:11], v[182:183]
	v_fma_f64 v[10:11], v[2:3], v[10:11], -v[12:13]
	ds_load_b128 v[2:5], v1 offset:1184
	v_add_f64 v[12:13], v[174:175], v[184:185]
	v_add_f64 v[174:175], v[176:177], v[180:181]
	v_fma_f64 v[178:179], v[8:9], v[14:15], v[178:179]
	v_fma_f64 v[14:15], v[6:7], v[14:15], -v[16:17]
	ds_load_b128 v[6:9], v1 offset:1200
	s_waitcnt vmcnt(7) lgkmcnt(1)
	v_mul_f64 v[176:177], v[2:3], v[20:21]
	v_mul_f64 v[20:21], v[4:5], v[20:21]
	v_add_f64 v[10:11], v[12:13], v[10:11]
	v_add_f64 v[12:13], v[174:175], v[182:183]
	s_delay_alu instid0(VALU_DEP_4) | instskip(NEXT) | instid1(VALU_DEP_4)
	v_fma_f64 v[174:175], v[4:5], v[18:19], v[176:177]
	v_fma_f64 v[18:19], v[2:3], v[18:19], -v[20:21]
	ds_load_b128 v[2:5], v1 offset:1216
	v_add_f64 v[14:15], v[10:11], v[14:15]
	v_add_f64 v[20:21], v[12:13], v[178:179]
	scratch_load_b128 v[10:13], off, off offset:288
	s_waitcnt vmcnt(7) lgkmcnt(1)
	v_mul_f64 v[16:17], v[6:7], v[24:25]
	v_mul_f64 v[24:25], v[8:9], v[24:25]
	v_add_f64 v[14:15], v[14:15], v[18:19]
	v_add_f64 v[18:19], v[20:21], v[174:175]
	s_delay_alu instid0(VALU_DEP_4) | instskip(NEXT) | instid1(VALU_DEP_4)
	v_fma_f64 v[16:17], v[8:9], v[22:23], v[16:17]
	v_fma_f64 v[22:23], v[6:7], v[22:23], -v[24:25]
	ds_load_b128 v[6:9], v1 offset:1232
	s_waitcnt vmcnt(6) lgkmcnt(1)
	v_mul_f64 v[176:177], v[2:3], v[28:29]
	v_mul_f64 v[28:29], v[4:5], v[28:29]
	s_waitcnt vmcnt(5) lgkmcnt(0)
	v_mul_f64 v[20:21], v[6:7], v[32:33]
	v_mul_f64 v[24:25], v[8:9], v[32:33]
	v_add_f64 v[16:17], v[18:19], v[16:17]
	v_add_f64 v[14:15], v[14:15], v[22:23]
	v_fma_f64 v[32:33], v[4:5], v[26:27], v[176:177]
	v_fma_f64 v[26:27], v[2:3], v[26:27], -v[28:29]
	ds_load_b128 v[2:5], v1 offset:1248
	v_fma_f64 v[20:21], v[8:9], v[30:31], v[20:21]
	v_fma_f64 v[24:25], v[6:7], v[30:31], -v[24:25]
	ds_load_b128 v[6:9], v1 offset:1264
	s_waitcnt vmcnt(4) lgkmcnt(1)
	v_mul_f64 v[18:19], v[2:3], v[40:41]
	v_mul_f64 v[22:23], v[4:5], v[40:41]
	v_add_f64 v[16:17], v[16:17], v[32:33]
	v_add_f64 v[14:15], v[14:15], v[26:27]
	s_waitcnt vmcnt(3) lgkmcnt(0)
	v_mul_f64 v[26:27], v[6:7], v[172:173]
	v_mul_f64 v[28:29], v[8:9], v[172:173]
	v_fma_f64 v[18:19], v[4:5], v[38:39], v[18:19]
	v_fma_f64 v[22:23], v[2:3], v[38:39], -v[22:23]
	ds_load_b128 v[2:5], v1 offset:1280
	v_add_f64 v[16:17], v[16:17], v[20:21]
	v_add_f64 v[14:15], v[14:15], v[24:25]
	v_fma_f64 v[26:27], v[8:9], v[170:171], v[26:27]
	v_fma_f64 v[28:29], v[6:7], v[170:171], -v[28:29]
	ds_load_b128 v[6:9], v1 offset:1296
	s_waitcnt vmcnt(2) lgkmcnt(1)
	v_mul_f64 v[20:21], v[2:3], v[36:37]
	v_mul_f64 v[24:25], v[4:5], v[36:37]
	v_add_f64 v[16:17], v[16:17], v[18:19]
	v_add_f64 v[14:15], v[14:15], v[22:23]
	s_waitcnt vmcnt(1) lgkmcnt(0)
	v_mul_f64 v[18:19], v[6:7], v[168:169]
	v_mul_f64 v[22:23], v[8:9], v[168:169]
	v_fma_f64 v[4:5], v[4:5], v[34:35], v[20:21]
	v_fma_f64 v[1:2], v[2:3], v[34:35], -v[24:25]
	v_add_f64 v[16:17], v[16:17], v[26:27]
	v_add_f64 v[14:15], v[14:15], v[28:29]
	v_fma_f64 v[8:9], v[8:9], v[166:167], v[18:19]
	v_fma_f64 v[6:7], v[6:7], v[166:167], -v[22:23]
	s_delay_alu instid0(VALU_DEP_4) | instskip(NEXT) | instid1(VALU_DEP_4)
	v_add_f64 v[3:4], v[16:17], v[4:5]
	v_add_f64 v[1:2], v[14:15], v[1:2]
	s_delay_alu instid0(VALU_DEP_2) | instskip(NEXT) | instid1(VALU_DEP_2)
	v_add_f64 v[3:4], v[3:4], v[8:9]
	v_add_f64 v[1:2], v[1:2], v[6:7]
	s_waitcnt vmcnt(0)
	s_delay_alu instid0(VALU_DEP_2) | instskip(NEXT) | instid1(VALU_DEP_2)
	v_add_f64 v[3:4], v[12:13], -v[3:4]
	v_add_f64 v[1:2], v[10:11], -v[1:2]
	scratch_store_b128 off, v[1:4], off offset:288
	v_cmpx_lt_u32_e32 17, v124
	s_cbranch_execz .LBB104_225
; %bb.224:
	scratch_load_b128 v[1:4], v152, off
	v_mov_b32_e32 v5, 0
	s_delay_alu instid0(VALU_DEP_1)
	v_mov_b32_e32 v6, v5
	v_mov_b32_e32 v7, v5
	;; [unrolled: 1-line block ×3, first 2 shown]
	scratch_store_b128 off, v[5:8], off offset:272
	s_waitcnt vmcnt(0)
	ds_store_b128 v165, v[1:4]
.LBB104_225:
	s_or_b32 exec_lo, exec_lo, s2
	s_waitcnt lgkmcnt(0)
	s_waitcnt_vscnt null, 0x0
	s_barrier
	buffer_gl0_inv
	s_clause 0x7
	scratch_load_b128 v[2:5], off, off offset:288
	scratch_load_b128 v[6:9], off, off offset:304
	;; [unrolled: 1-line block ×8, first 2 shown]
	v_mov_b32_e32 v1, 0
	s_clause 0x1
	scratch_load_b128 v[38:41], off, off offset:416
	scratch_load_b128 v[170:173], off, off offset:432
	s_mov_b32 s2, exec_lo
	ds_load_b128 v[34:37], v1 offset:944
	ds_load_b128 v[166:169], v1 offset:960
	s_waitcnt vmcnt(9) lgkmcnt(1)
	v_mul_f64 v[174:175], v[36:37], v[4:5]
	v_mul_f64 v[4:5], v[34:35], v[4:5]
	s_waitcnt vmcnt(8) lgkmcnt(0)
	v_mul_f64 v[176:177], v[166:167], v[8:9]
	v_mul_f64 v[8:9], v[168:169], v[8:9]
	s_delay_alu instid0(VALU_DEP_4) | instskip(NEXT) | instid1(VALU_DEP_4)
	v_fma_f64 v[174:175], v[34:35], v[2:3], -v[174:175]
	v_fma_f64 v[178:179], v[36:37], v[2:3], v[4:5]
	ds_load_b128 v[2:5], v1 offset:976
	scratch_load_b128 v[34:37], off, off offset:448
	v_fma_f64 v[176:177], v[168:169], v[6:7], v[176:177]
	v_fma_f64 v[182:183], v[166:167], v[6:7], -v[8:9]
	scratch_load_b128 v[166:169], off, off offset:464
	ds_load_b128 v[6:9], v1 offset:992
	s_waitcnt vmcnt(9) lgkmcnt(1)
	v_mul_f64 v[180:181], v[2:3], v[12:13]
	v_mul_f64 v[12:13], v[4:5], v[12:13]
	s_waitcnt vmcnt(8) lgkmcnt(0)
	v_mul_f64 v[184:185], v[6:7], v[16:17]
	v_mul_f64 v[16:17], v[8:9], v[16:17]
	v_add_f64 v[174:175], v[174:175], 0
	v_add_f64 v[178:179], v[178:179], 0
	v_fma_f64 v[180:181], v[4:5], v[10:11], v[180:181]
	v_fma_f64 v[186:187], v[2:3], v[10:11], -v[12:13]
	ds_load_b128 v[2:5], v1 offset:1008
	scratch_load_b128 v[10:13], off, off offset:480
	v_add_f64 v[174:175], v[174:175], v[182:183]
	v_add_f64 v[176:177], v[178:179], v[176:177]
	v_fma_f64 v[182:183], v[8:9], v[14:15], v[184:185]
	v_fma_f64 v[184:185], v[6:7], v[14:15], -v[16:17]
	scratch_load_b128 v[14:17], off, off offset:496
	ds_load_b128 v[6:9], v1 offset:1024
	s_waitcnt vmcnt(9) lgkmcnt(1)
	v_mul_f64 v[178:179], v[2:3], v[20:21]
	v_mul_f64 v[20:21], v[4:5], v[20:21]
	v_add_f64 v[174:175], v[174:175], v[186:187]
	v_add_f64 v[176:177], v[176:177], v[180:181]
	s_waitcnt vmcnt(8) lgkmcnt(0)
	v_mul_f64 v[180:181], v[6:7], v[24:25]
	v_mul_f64 v[24:25], v[8:9], v[24:25]
	v_fma_f64 v[178:179], v[4:5], v[18:19], v[178:179]
	v_fma_f64 v[186:187], v[2:3], v[18:19], -v[20:21]
	ds_load_b128 v[2:5], v1 offset:1040
	scratch_load_b128 v[18:21], off, off offset:512
	v_add_f64 v[174:175], v[174:175], v[184:185]
	v_add_f64 v[176:177], v[176:177], v[182:183]
	v_fma_f64 v[180:181], v[8:9], v[22:23], v[180:181]
	v_fma_f64 v[184:185], v[6:7], v[22:23], -v[24:25]
	scratch_load_b128 v[22:25], off, off offset:528
	ds_load_b128 v[6:9], v1 offset:1056
	s_waitcnt vmcnt(9) lgkmcnt(1)
	v_mul_f64 v[182:183], v[2:3], v[28:29]
	v_mul_f64 v[28:29], v[4:5], v[28:29]
	v_add_f64 v[174:175], v[174:175], v[186:187]
	v_add_f64 v[176:177], v[176:177], v[178:179]
	s_waitcnt vmcnt(8) lgkmcnt(0)
	v_mul_f64 v[178:179], v[6:7], v[32:33]
	v_mul_f64 v[32:33], v[8:9], v[32:33]
	v_fma_f64 v[182:183], v[4:5], v[26:27], v[182:183]
	v_fma_f64 v[186:187], v[2:3], v[26:27], -v[28:29]
	ds_load_b128 v[2:5], v1 offset:1072
	scratch_load_b128 v[26:29], off, off offset:544
	v_add_f64 v[174:175], v[174:175], v[184:185]
	v_add_f64 v[176:177], v[176:177], v[180:181]
	v_fma_f64 v[178:179], v[8:9], v[30:31], v[178:179]
	v_fma_f64 v[184:185], v[6:7], v[30:31], -v[32:33]
	ds_load_b128 v[6:9], v1 offset:1088
	s_waitcnt vmcnt(8) lgkmcnt(1)
	v_mul_f64 v[180:181], v[2:3], v[40:41]
	v_mul_f64 v[40:41], v[4:5], v[40:41]
	scratch_load_b128 v[30:33], off, off offset:560
	v_add_f64 v[174:175], v[174:175], v[186:187]
	v_add_f64 v[176:177], v[176:177], v[182:183]
	s_waitcnt vmcnt(8) lgkmcnt(0)
	v_mul_f64 v[182:183], v[6:7], v[172:173]
	v_mul_f64 v[172:173], v[8:9], v[172:173]
	v_fma_f64 v[180:181], v[4:5], v[38:39], v[180:181]
	v_fma_f64 v[186:187], v[2:3], v[38:39], -v[40:41]
	scratch_load_b128 v[38:41], off, off offset:576
	ds_load_b128 v[2:5], v1 offset:1104
	v_add_f64 v[174:175], v[174:175], v[184:185]
	v_add_f64 v[176:177], v[176:177], v[178:179]
	v_fma_f64 v[182:183], v[8:9], v[170:171], v[182:183]
	v_fma_f64 v[184:185], v[6:7], v[170:171], -v[172:173]
	ds_load_b128 v[6:9], v1 offset:1120
	scratch_load_b128 v[170:173], off, off offset:592
	s_waitcnt vmcnt(9) lgkmcnt(1)
	v_mul_f64 v[178:179], v[2:3], v[36:37]
	v_mul_f64 v[36:37], v[4:5], v[36:37]
	v_add_f64 v[174:175], v[174:175], v[186:187]
	v_add_f64 v[176:177], v[176:177], v[180:181]
	s_waitcnt vmcnt(8) lgkmcnt(0)
	v_mul_f64 v[180:181], v[6:7], v[168:169]
	v_mul_f64 v[168:169], v[8:9], v[168:169]
	v_fma_f64 v[178:179], v[4:5], v[34:35], v[178:179]
	v_fma_f64 v[186:187], v[2:3], v[34:35], -v[36:37]
	scratch_load_b128 v[34:37], off, off offset:608
	ds_load_b128 v[2:5], v1 offset:1136
	v_add_f64 v[174:175], v[174:175], v[184:185]
	v_add_f64 v[176:177], v[176:177], v[182:183]
	v_fma_f64 v[180:181], v[8:9], v[166:167], v[180:181]
	v_fma_f64 v[184:185], v[6:7], v[166:167], -v[168:169]
	ds_load_b128 v[6:9], v1 offset:1152
	s_waitcnt vmcnt(8) lgkmcnt(1)
	v_mul_f64 v[182:183], v[2:3], v[12:13]
	v_mul_f64 v[12:13], v[4:5], v[12:13]
	scratch_load_b128 v[166:169], off, off offset:624
	v_add_f64 v[174:175], v[174:175], v[186:187]
	v_add_f64 v[176:177], v[176:177], v[178:179]
	s_waitcnt vmcnt(8) lgkmcnt(0)
	v_mul_f64 v[178:179], v[6:7], v[16:17]
	v_mul_f64 v[16:17], v[8:9], v[16:17]
	v_fma_f64 v[182:183], v[4:5], v[10:11], v[182:183]
	v_fma_f64 v[186:187], v[2:3], v[10:11], -v[12:13]
	scratch_load_b128 v[10:13], off, off offset:640
	ds_load_b128 v[2:5], v1 offset:1168
	v_add_f64 v[174:175], v[174:175], v[184:185]
	v_add_f64 v[176:177], v[176:177], v[180:181]
	v_fma_f64 v[178:179], v[8:9], v[14:15], v[178:179]
	v_fma_f64 v[14:15], v[6:7], v[14:15], -v[16:17]
	ds_load_b128 v[6:9], v1 offset:1184
	s_waitcnt vmcnt(8) lgkmcnt(1)
	v_mul_f64 v[180:181], v[2:3], v[20:21]
	v_mul_f64 v[20:21], v[4:5], v[20:21]
	v_add_f64 v[16:17], v[174:175], v[186:187]
	v_add_f64 v[174:175], v[176:177], v[182:183]
	s_waitcnt vmcnt(7) lgkmcnt(0)
	v_mul_f64 v[176:177], v[6:7], v[24:25]
	v_mul_f64 v[24:25], v[8:9], v[24:25]
	v_fma_f64 v[180:181], v[4:5], v[18:19], v[180:181]
	v_fma_f64 v[18:19], v[2:3], v[18:19], -v[20:21]
	ds_load_b128 v[2:5], v1 offset:1200
	v_add_f64 v[14:15], v[16:17], v[14:15]
	v_add_f64 v[16:17], v[174:175], v[178:179]
	v_fma_f64 v[174:175], v[8:9], v[22:23], v[176:177]
	v_fma_f64 v[22:23], v[6:7], v[22:23], -v[24:25]
	ds_load_b128 v[6:9], v1 offset:1216
	s_waitcnt vmcnt(5) lgkmcnt(0)
	v_mul_f64 v[176:177], v[6:7], v[32:33]
	v_mul_f64 v[32:33], v[8:9], v[32:33]
	v_add_f64 v[18:19], v[14:15], v[18:19]
	v_add_f64 v[24:25], v[16:17], v[180:181]
	scratch_load_b128 v[14:17], off, off offset:272
	v_mul_f64 v[20:21], v[2:3], v[28:29]
	v_mul_f64 v[28:29], v[4:5], v[28:29]
	v_add_f64 v[18:19], v[18:19], v[22:23]
	v_add_f64 v[22:23], v[24:25], v[174:175]
	s_delay_alu instid0(VALU_DEP_4) | instskip(NEXT) | instid1(VALU_DEP_4)
	v_fma_f64 v[20:21], v[4:5], v[26:27], v[20:21]
	v_fma_f64 v[26:27], v[2:3], v[26:27], -v[28:29]
	ds_load_b128 v[2:5], v1 offset:1232
	s_waitcnt vmcnt(5) lgkmcnt(0)
	v_mul_f64 v[24:25], v[2:3], v[40:41]
	v_mul_f64 v[28:29], v[4:5], v[40:41]
	v_fma_f64 v[40:41], v[8:9], v[30:31], v[176:177]
	v_fma_f64 v[30:31], v[6:7], v[30:31], -v[32:33]
	ds_load_b128 v[6:9], v1 offset:1248
	v_add_f64 v[20:21], v[22:23], v[20:21]
	v_add_f64 v[18:19], v[18:19], v[26:27]
	v_fma_f64 v[24:25], v[4:5], v[38:39], v[24:25]
	v_fma_f64 v[28:29], v[2:3], v[38:39], -v[28:29]
	ds_load_b128 v[2:5], v1 offset:1264
	s_waitcnt vmcnt(4) lgkmcnt(1)
	v_mul_f64 v[22:23], v[6:7], v[172:173]
	v_mul_f64 v[26:27], v[8:9], v[172:173]
	v_add_f64 v[20:21], v[20:21], v[40:41]
	v_add_f64 v[18:19], v[18:19], v[30:31]
	s_waitcnt vmcnt(3) lgkmcnt(0)
	v_mul_f64 v[30:31], v[2:3], v[36:37]
	v_mul_f64 v[32:33], v[4:5], v[36:37]
	v_fma_f64 v[22:23], v[8:9], v[170:171], v[22:23]
	v_fma_f64 v[26:27], v[6:7], v[170:171], -v[26:27]
	ds_load_b128 v[6:9], v1 offset:1280
	v_add_f64 v[20:21], v[20:21], v[24:25]
	v_add_f64 v[18:19], v[18:19], v[28:29]
	v_fma_f64 v[30:31], v[4:5], v[34:35], v[30:31]
	v_fma_f64 v[32:33], v[2:3], v[34:35], -v[32:33]
	ds_load_b128 v[2:5], v1 offset:1296
	s_waitcnt vmcnt(2) lgkmcnt(1)
	v_mul_f64 v[24:25], v[6:7], v[168:169]
	v_mul_f64 v[28:29], v[8:9], v[168:169]
	v_add_f64 v[20:21], v[20:21], v[22:23]
	v_add_f64 v[18:19], v[18:19], v[26:27]
	s_waitcnt vmcnt(1) lgkmcnt(0)
	v_mul_f64 v[22:23], v[2:3], v[12:13]
	v_mul_f64 v[12:13], v[4:5], v[12:13]
	v_fma_f64 v[8:9], v[8:9], v[166:167], v[24:25]
	v_fma_f64 v[6:7], v[6:7], v[166:167], -v[28:29]
	v_add_f64 v[20:21], v[20:21], v[30:31]
	v_add_f64 v[18:19], v[18:19], v[32:33]
	v_fma_f64 v[4:5], v[4:5], v[10:11], v[22:23]
	v_fma_f64 v[2:3], v[2:3], v[10:11], -v[12:13]
	s_delay_alu instid0(VALU_DEP_4) | instskip(NEXT) | instid1(VALU_DEP_4)
	v_add_f64 v[8:9], v[20:21], v[8:9]
	v_add_f64 v[6:7], v[18:19], v[6:7]
	s_delay_alu instid0(VALU_DEP_2) | instskip(NEXT) | instid1(VALU_DEP_2)
	v_add_f64 v[4:5], v[8:9], v[4:5]
	v_add_f64 v[2:3], v[6:7], v[2:3]
	s_waitcnt vmcnt(0)
	s_delay_alu instid0(VALU_DEP_2) | instskip(NEXT) | instid1(VALU_DEP_2)
	v_add_f64 v[4:5], v[16:17], -v[4:5]
	v_add_f64 v[2:3], v[14:15], -v[2:3]
	scratch_store_b128 off, v[2:5], off offset:272
	v_cmpx_lt_u32_e32 16, v124
	s_cbranch_execz .LBB104_227
; %bb.226:
	scratch_load_b128 v[5:8], v153, off
	v_mov_b32_e32 v2, v1
	v_mov_b32_e32 v3, v1
	;; [unrolled: 1-line block ×3, first 2 shown]
	scratch_store_b128 off, v[1:4], off offset:256
	s_waitcnt vmcnt(0)
	ds_store_b128 v165, v[5:8]
.LBB104_227:
	s_or_b32 exec_lo, exec_lo, s2
	s_waitcnt lgkmcnt(0)
	s_waitcnt_vscnt null, 0x0
	s_barrier
	buffer_gl0_inv
	s_clause 0x7
	scratch_load_b128 v[2:5], off, off offset:272
	scratch_load_b128 v[6:9], off, off offset:288
	;; [unrolled: 1-line block ×8, first 2 shown]
	ds_load_b128 v[34:37], v1 offset:928
	ds_load_b128 v[166:169], v1 offset:944
	s_clause 0x1
	scratch_load_b128 v[38:41], off, off offset:400
	scratch_load_b128 v[170:173], off, off offset:416
	s_mov_b32 s2, exec_lo
	s_waitcnt vmcnt(9) lgkmcnt(1)
	v_mul_f64 v[174:175], v[36:37], v[4:5]
	v_mul_f64 v[4:5], v[34:35], v[4:5]
	s_waitcnt vmcnt(8) lgkmcnt(0)
	v_mul_f64 v[176:177], v[166:167], v[8:9]
	v_mul_f64 v[8:9], v[168:169], v[8:9]
	s_delay_alu instid0(VALU_DEP_4) | instskip(NEXT) | instid1(VALU_DEP_4)
	v_fma_f64 v[174:175], v[34:35], v[2:3], -v[174:175]
	v_fma_f64 v[178:179], v[36:37], v[2:3], v[4:5]
	ds_load_b128 v[2:5], v1 offset:960
	scratch_load_b128 v[34:37], off, off offset:432
	v_fma_f64 v[176:177], v[168:169], v[6:7], v[176:177]
	v_fma_f64 v[182:183], v[166:167], v[6:7], -v[8:9]
	scratch_load_b128 v[166:169], off, off offset:448
	ds_load_b128 v[6:9], v1 offset:976
	s_waitcnt vmcnt(9) lgkmcnt(1)
	v_mul_f64 v[180:181], v[2:3], v[12:13]
	v_mul_f64 v[12:13], v[4:5], v[12:13]
	s_waitcnt vmcnt(8) lgkmcnt(0)
	v_mul_f64 v[184:185], v[6:7], v[16:17]
	v_mul_f64 v[16:17], v[8:9], v[16:17]
	v_add_f64 v[174:175], v[174:175], 0
	v_add_f64 v[178:179], v[178:179], 0
	v_fma_f64 v[180:181], v[4:5], v[10:11], v[180:181]
	v_fma_f64 v[186:187], v[2:3], v[10:11], -v[12:13]
	ds_load_b128 v[2:5], v1 offset:992
	scratch_load_b128 v[10:13], off, off offset:464
	v_add_f64 v[174:175], v[174:175], v[182:183]
	v_add_f64 v[176:177], v[178:179], v[176:177]
	v_fma_f64 v[182:183], v[8:9], v[14:15], v[184:185]
	v_fma_f64 v[184:185], v[6:7], v[14:15], -v[16:17]
	scratch_load_b128 v[14:17], off, off offset:480
	ds_load_b128 v[6:9], v1 offset:1008
	s_waitcnt vmcnt(9) lgkmcnt(1)
	v_mul_f64 v[178:179], v[2:3], v[20:21]
	v_mul_f64 v[20:21], v[4:5], v[20:21]
	v_add_f64 v[174:175], v[174:175], v[186:187]
	v_add_f64 v[176:177], v[176:177], v[180:181]
	s_waitcnt vmcnt(8) lgkmcnt(0)
	v_mul_f64 v[180:181], v[6:7], v[24:25]
	v_mul_f64 v[24:25], v[8:9], v[24:25]
	v_fma_f64 v[178:179], v[4:5], v[18:19], v[178:179]
	v_fma_f64 v[186:187], v[2:3], v[18:19], -v[20:21]
	ds_load_b128 v[2:5], v1 offset:1024
	scratch_load_b128 v[18:21], off, off offset:496
	v_add_f64 v[174:175], v[174:175], v[184:185]
	v_add_f64 v[176:177], v[176:177], v[182:183]
	v_fma_f64 v[180:181], v[8:9], v[22:23], v[180:181]
	v_fma_f64 v[184:185], v[6:7], v[22:23], -v[24:25]
	scratch_load_b128 v[22:25], off, off offset:512
	ds_load_b128 v[6:9], v1 offset:1040
	s_waitcnt vmcnt(9) lgkmcnt(1)
	v_mul_f64 v[182:183], v[2:3], v[28:29]
	v_mul_f64 v[28:29], v[4:5], v[28:29]
	v_add_f64 v[174:175], v[174:175], v[186:187]
	v_add_f64 v[176:177], v[176:177], v[178:179]
	s_waitcnt vmcnt(8) lgkmcnt(0)
	v_mul_f64 v[178:179], v[6:7], v[32:33]
	v_mul_f64 v[32:33], v[8:9], v[32:33]
	v_fma_f64 v[182:183], v[4:5], v[26:27], v[182:183]
	v_fma_f64 v[186:187], v[2:3], v[26:27], -v[28:29]
	ds_load_b128 v[2:5], v1 offset:1056
	scratch_load_b128 v[26:29], off, off offset:528
	v_add_f64 v[174:175], v[174:175], v[184:185]
	v_add_f64 v[176:177], v[176:177], v[180:181]
	v_fma_f64 v[178:179], v[8:9], v[30:31], v[178:179]
	v_fma_f64 v[184:185], v[6:7], v[30:31], -v[32:33]
	ds_load_b128 v[6:9], v1 offset:1072
	s_waitcnt vmcnt(8) lgkmcnt(1)
	v_mul_f64 v[180:181], v[2:3], v[40:41]
	v_mul_f64 v[40:41], v[4:5], v[40:41]
	scratch_load_b128 v[30:33], off, off offset:544
	v_add_f64 v[174:175], v[174:175], v[186:187]
	v_add_f64 v[176:177], v[176:177], v[182:183]
	s_waitcnt vmcnt(8) lgkmcnt(0)
	v_mul_f64 v[182:183], v[6:7], v[172:173]
	v_mul_f64 v[172:173], v[8:9], v[172:173]
	v_fma_f64 v[180:181], v[4:5], v[38:39], v[180:181]
	v_fma_f64 v[186:187], v[2:3], v[38:39], -v[40:41]
	ds_load_b128 v[2:5], v1 offset:1088
	scratch_load_b128 v[38:41], off, off offset:560
	v_add_f64 v[174:175], v[174:175], v[184:185]
	v_add_f64 v[176:177], v[176:177], v[178:179]
	v_fma_f64 v[182:183], v[8:9], v[170:171], v[182:183]
	v_fma_f64 v[184:185], v[6:7], v[170:171], -v[172:173]
	ds_load_b128 v[6:9], v1 offset:1104
	scratch_load_b128 v[170:173], off, off offset:576
	s_waitcnt vmcnt(9) lgkmcnt(1)
	v_mul_f64 v[178:179], v[2:3], v[36:37]
	v_mul_f64 v[36:37], v[4:5], v[36:37]
	v_add_f64 v[174:175], v[174:175], v[186:187]
	v_add_f64 v[176:177], v[176:177], v[180:181]
	s_waitcnt vmcnt(8) lgkmcnt(0)
	v_mul_f64 v[180:181], v[6:7], v[168:169]
	v_mul_f64 v[168:169], v[8:9], v[168:169]
	v_fma_f64 v[178:179], v[4:5], v[34:35], v[178:179]
	v_fma_f64 v[186:187], v[2:3], v[34:35], -v[36:37]
	scratch_load_b128 v[34:37], off, off offset:592
	ds_load_b128 v[2:5], v1 offset:1120
	v_add_f64 v[174:175], v[174:175], v[184:185]
	v_add_f64 v[176:177], v[176:177], v[182:183]
	v_fma_f64 v[180:181], v[8:9], v[166:167], v[180:181]
	v_fma_f64 v[184:185], v[6:7], v[166:167], -v[168:169]
	ds_load_b128 v[6:9], v1 offset:1136
	s_waitcnt vmcnt(8) lgkmcnt(1)
	v_mul_f64 v[182:183], v[2:3], v[12:13]
	v_mul_f64 v[12:13], v[4:5], v[12:13]
	scratch_load_b128 v[166:169], off, off offset:608
	v_add_f64 v[174:175], v[174:175], v[186:187]
	v_add_f64 v[176:177], v[176:177], v[178:179]
	s_waitcnt vmcnt(8) lgkmcnt(0)
	v_mul_f64 v[178:179], v[6:7], v[16:17]
	v_mul_f64 v[16:17], v[8:9], v[16:17]
	v_fma_f64 v[182:183], v[4:5], v[10:11], v[182:183]
	v_fma_f64 v[186:187], v[2:3], v[10:11], -v[12:13]
	scratch_load_b128 v[10:13], off, off offset:624
	ds_load_b128 v[2:5], v1 offset:1152
	v_add_f64 v[174:175], v[174:175], v[184:185]
	v_add_f64 v[176:177], v[176:177], v[180:181]
	v_fma_f64 v[178:179], v[8:9], v[14:15], v[178:179]
	v_fma_f64 v[184:185], v[6:7], v[14:15], -v[16:17]
	ds_load_b128 v[6:9], v1 offset:1168
	s_waitcnt vmcnt(8) lgkmcnt(1)
	v_mul_f64 v[180:181], v[2:3], v[20:21]
	v_mul_f64 v[20:21], v[4:5], v[20:21]
	scratch_load_b128 v[14:17], off, off offset:640
	v_add_f64 v[174:175], v[174:175], v[186:187]
	v_add_f64 v[176:177], v[176:177], v[182:183]
	s_waitcnt vmcnt(8) lgkmcnt(0)
	v_mul_f64 v[182:183], v[6:7], v[24:25]
	v_mul_f64 v[24:25], v[8:9], v[24:25]
	v_fma_f64 v[180:181], v[4:5], v[18:19], v[180:181]
	v_fma_f64 v[18:19], v[2:3], v[18:19], -v[20:21]
	ds_load_b128 v[2:5], v1 offset:1184
	v_add_f64 v[20:21], v[174:175], v[184:185]
	v_add_f64 v[174:175], v[176:177], v[178:179]
	v_fma_f64 v[178:179], v[8:9], v[22:23], v[182:183]
	v_fma_f64 v[22:23], v[6:7], v[22:23], -v[24:25]
	ds_load_b128 v[6:9], v1 offset:1200
	s_waitcnt vmcnt(7) lgkmcnt(1)
	v_mul_f64 v[176:177], v[2:3], v[28:29]
	v_mul_f64 v[28:29], v[4:5], v[28:29]
	v_add_f64 v[18:19], v[20:21], v[18:19]
	v_add_f64 v[20:21], v[174:175], v[180:181]
	s_delay_alu instid0(VALU_DEP_4) | instskip(NEXT) | instid1(VALU_DEP_4)
	v_fma_f64 v[174:175], v[4:5], v[26:27], v[176:177]
	v_fma_f64 v[26:27], v[2:3], v[26:27], -v[28:29]
	ds_load_b128 v[2:5], v1 offset:1216
	v_add_f64 v[22:23], v[18:19], v[22:23]
	v_add_f64 v[28:29], v[20:21], v[178:179]
	scratch_load_b128 v[18:21], off, off offset:256
	s_waitcnt vmcnt(7) lgkmcnt(1)
	v_mul_f64 v[24:25], v[6:7], v[32:33]
	v_mul_f64 v[32:33], v[8:9], v[32:33]
	v_add_f64 v[22:23], v[22:23], v[26:27]
	v_add_f64 v[26:27], v[28:29], v[174:175]
	s_delay_alu instid0(VALU_DEP_4) | instskip(NEXT) | instid1(VALU_DEP_4)
	v_fma_f64 v[24:25], v[8:9], v[30:31], v[24:25]
	v_fma_f64 v[30:31], v[6:7], v[30:31], -v[32:33]
	ds_load_b128 v[6:9], v1 offset:1232
	s_waitcnt vmcnt(6) lgkmcnt(1)
	v_mul_f64 v[176:177], v[2:3], v[40:41]
	v_mul_f64 v[40:41], v[4:5], v[40:41]
	s_waitcnt vmcnt(5) lgkmcnt(0)
	v_mul_f64 v[28:29], v[6:7], v[172:173]
	v_mul_f64 v[32:33], v[8:9], v[172:173]
	v_add_f64 v[24:25], v[26:27], v[24:25]
	v_add_f64 v[22:23], v[22:23], v[30:31]
	v_fma_f64 v[172:173], v[4:5], v[38:39], v[176:177]
	v_fma_f64 v[38:39], v[2:3], v[38:39], -v[40:41]
	ds_load_b128 v[2:5], v1 offset:1248
	v_fma_f64 v[28:29], v[8:9], v[170:171], v[28:29]
	v_fma_f64 v[32:33], v[6:7], v[170:171], -v[32:33]
	ds_load_b128 v[6:9], v1 offset:1264
	s_waitcnt vmcnt(4) lgkmcnt(1)
	v_mul_f64 v[26:27], v[2:3], v[36:37]
	v_mul_f64 v[30:31], v[4:5], v[36:37]
	v_add_f64 v[24:25], v[24:25], v[172:173]
	v_add_f64 v[22:23], v[22:23], v[38:39]
	s_waitcnt vmcnt(3) lgkmcnt(0)
	v_mul_f64 v[36:37], v[6:7], v[168:169]
	v_mul_f64 v[38:39], v[8:9], v[168:169]
	v_fma_f64 v[26:27], v[4:5], v[34:35], v[26:27]
	v_fma_f64 v[30:31], v[2:3], v[34:35], -v[30:31]
	ds_load_b128 v[2:5], v1 offset:1280
	v_add_f64 v[24:25], v[24:25], v[28:29]
	v_add_f64 v[22:23], v[22:23], v[32:33]
	v_fma_f64 v[32:33], v[8:9], v[166:167], v[36:37]
	v_fma_f64 v[34:35], v[6:7], v[166:167], -v[38:39]
	ds_load_b128 v[6:9], v1 offset:1296
	s_waitcnt vmcnt(2) lgkmcnt(1)
	v_mul_f64 v[28:29], v[2:3], v[12:13]
	v_mul_f64 v[12:13], v[4:5], v[12:13]
	v_add_f64 v[24:25], v[24:25], v[26:27]
	v_add_f64 v[22:23], v[22:23], v[30:31]
	s_waitcnt vmcnt(1) lgkmcnt(0)
	v_mul_f64 v[26:27], v[6:7], v[16:17]
	v_mul_f64 v[16:17], v[8:9], v[16:17]
	v_fma_f64 v[4:5], v[4:5], v[10:11], v[28:29]
	v_fma_f64 v[1:2], v[2:3], v[10:11], -v[12:13]
	v_add_f64 v[12:13], v[24:25], v[32:33]
	v_add_f64 v[10:11], v[22:23], v[34:35]
	v_fma_f64 v[8:9], v[8:9], v[14:15], v[26:27]
	v_fma_f64 v[6:7], v[6:7], v[14:15], -v[16:17]
	s_delay_alu instid0(VALU_DEP_4) | instskip(NEXT) | instid1(VALU_DEP_4)
	v_add_f64 v[3:4], v[12:13], v[4:5]
	v_add_f64 v[1:2], v[10:11], v[1:2]
	s_delay_alu instid0(VALU_DEP_2) | instskip(NEXT) | instid1(VALU_DEP_2)
	v_add_f64 v[3:4], v[3:4], v[8:9]
	v_add_f64 v[1:2], v[1:2], v[6:7]
	s_waitcnt vmcnt(0)
	s_delay_alu instid0(VALU_DEP_2) | instskip(NEXT) | instid1(VALU_DEP_2)
	v_add_f64 v[3:4], v[20:21], -v[3:4]
	v_add_f64 v[1:2], v[18:19], -v[1:2]
	scratch_store_b128 off, v[1:4], off offset:256
	v_cmpx_lt_u32_e32 15, v124
	s_cbranch_execz .LBB104_229
; %bb.228:
	scratch_load_b128 v[1:4], v154, off
	v_mov_b32_e32 v5, 0
	s_delay_alu instid0(VALU_DEP_1)
	v_mov_b32_e32 v6, v5
	v_mov_b32_e32 v7, v5
	;; [unrolled: 1-line block ×3, first 2 shown]
	scratch_store_b128 off, v[5:8], off offset:240
	s_waitcnt vmcnt(0)
	ds_store_b128 v165, v[1:4]
.LBB104_229:
	s_or_b32 exec_lo, exec_lo, s2
	s_waitcnt lgkmcnt(0)
	s_waitcnt_vscnt null, 0x0
	s_barrier
	buffer_gl0_inv
	s_clause 0x7
	scratch_load_b128 v[2:5], off, off offset:256
	scratch_load_b128 v[6:9], off, off offset:272
	;; [unrolled: 1-line block ×8, first 2 shown]
	v_mov_b32_e32 v1, 0
	s_clause 0x1
	scratch_load_b128 v[38:41], off, off offset:384
	scratch_load_b128 v[170:173], off, off offset:400
	s_mov_b32 s2, exec_lo
	ds_load_b128 v[34:37], v1 offset:912
	ds_load_b128 v[166:169], v1 offset:928
	s_waitcnt vmcnt(9) lgkmcnt(1)
	v_mul_f64 v[174:175], v[36:37], v[4:5]
	v_mul_f64 v[4:5], v[34:35], v[4:5]
	s_waitcnt vmcnt(8) lgkmcnt(0)
	v_mul_f64 v[176:177], v[166:167], v[8:9]
	v_mul_f64 v[8:9], v[168:169], v[8:9]
	s_delay_alu instid0(VALU_DEP_4) | instskip(NEXT) | instid1(VALU_DEP_4)
	v_fma_f64 v[174:175], v[34:35], v[2:3], -v[174:175]
	v_fma_f64 v[178:179], v[36:37], v[2:3], v[4:5]
	ds_load_b128 v[2:5], v1 offset:944
	scratch_load_b128 v[34:37], off, off offset:416
	v_fma_f64 v[176:177], v[168:169], v[6:7], v[176:177]
	v_fma_f64 v[182:183], v[166:167], v[6:7], -v[8:9]
	scratch_load_b128 v[166:169], off, off offset:432
	ds_load_b128 v[6:9], v1 offset:960
	s_waitcnt vmcnt(9) lgkmcnt(1)
	v_mul_f64 v[180:181], v[2:3], v[12:13]
	v_mul_f64 v[12:13], v[4:5], v[12:13]
	s_waitcnt vmcnt(8) lgkmcnt(0)
	v_mul_f64 v[184:185], v[6:7], v[16:17]
	v_mul_f64 v[16:17], v[8:9], v[16:17]
	v_add_f64 v[174:175], v[174:175], 0
	v_add_f64 v[178:179], v[178:179], 0
	v_fma_f64 v[180:181], v[4:5], v[10:11], v[180:181]
	v_fma_f64 v[186:187], v[2:3], v[10:11], -v[12:13]
	ds_load_b128 v[2:5], v1 offset:976
	scratch_load_b128 v[10:13], off, off offset:448
	v_add_f64 v[174:175], v[174:175], v[182:183]
	v_add_f64 v[176:177], v[178:179], v[176:177]
	v_fma_f64 v[182:183], v[8:9], v[14:15], v[184:185]
	v_fma_f64 v[184:185], v[6:7], v[14:15], -v[16:17]
	scratch_load_b128 v[14:17], off, off offset:464
	ds_load_b128 v[6:9], v1 offset:992
	s_waitcnt vmcnt(9) lgkmcnt(1)
	v_mul_f64 v[178:179], v[2:3], v[20:21]
	v_mul_f64 v[20:21], v[4:5], v[20:21]
	v_add_f64 v[174:175], v[174:175], v[186:187]
	v_add_f64 v[176:177], v[176:177], v[180:181]
	s_waitcnt vmcnt(8) lgkmcnt(0)
	v_mul_f64 v[180:181], v[6:7], v[24:25]
	v_mul_f64 v[24:25], v[8:9], v[24:25]
	v_fma_f64 v[178:179], v[4:5], v[18:19], v[178:179]
	v_fma_f64 v[186:187], v[2:3], v[18:19], -v[20:21]
	ds_load_b128 v[2:5], v1 offset:1008
	scratch_load_b128 v[18:21], off, off offset:480
	v_add_f64 v[174:175], v[174:175], v[184:185]
	v_add_f64 v[176:177], v[176:177], v[182:183]
	v_fma_f64 v[180:181], v[8:9], v[22:23], v[180:181]
	v_fma_f64 v[184:185], v[6:7], v[22:23], -v[24:25]
	scratch_load_b128 v[22:25], off, off offset:496
	ds_load_b128 v[6:9], v1 offset:1024
	s_waitcnt vmcnt(9) lgkmcnt(1)
	v_mul_f64 v[182:183], v[2:3], v[28:29]
	v_mul_f64 v[28:29], v[4:5], v[28:29]
	v_add_f64 v[174:175], v[174:175], v[186:187]
	v_add_f64 v[176:177], v[176:177], v[178:179]
	s_waitcnt vmcnt(8) lgkmcnt(0)
	v_mul_f64 v[178:179], v[6:7], v[32:33]
	v_mul_f64 v[32:33], v[8:9], v[32:33]
	;; [unrolled: 18-line block ×3, first 2 shown]
	v_fma_f64 v[180:181], v[4:5], v[38:39], v[180:181]
	v_fma_f64 v[186:187], v[2:3], v[38:39], -v[40:41]
	ds_load_b128 v[2:5], v1 offset:1072
	scratch_load_b128 v[38:41], off, off offset:544
	v_add_f64 v[174:175], v[174:175], v[184:185]
	v_add_f64 v[176:177], v[176:177], v[178:179]
	v_fma_f64 v[182:183], v[8:9], v[170:171], v[182:183]
	v_fma_f64 v[184:185], v[6:7], v[170:171], -v[172:173]
	ds_load_b128 v[6:9], v1 offset:1088
	scratch_load_b128 v[170:173], off, off offset:560
	s_waitcnt vmcnt(9) lgkmcnt(1)
	v_mul_f64 v[178:179], v[2:3], v[36:37]
	v_mul_f64 v[36:37], v[4:5], v[36:37]
	v_add_f64 v[174:175], v[174:175], v[186:187]
	v_add_f64 v[176:177], v[176:177], v[180:181]
	s_waitcnt vmcnt(8) lgkmcnt(0)
	v_mul_f64 v[180:181], v[6:7], v[168:169]
	v_mul_f64 v[168:169], v[8:9], v[168:169]
	v_fma_f64 v[178:179], v[4:5], v[34:35], v[178:179]
	v_fma_f64 v[186:187], v[2:3], v[34:35], -v[36:37]
	scratch_load_b128 v[34:37], off, off offset:576
	ds_load_b128 v[2:5], v1 offset:1104
	v_add_f64 v[174:175], v[174:175], v[184:185]
	v_add_f64 v[176:177], v[176:177], v[182:183]
	v_fma_f64 v[180:181], v[8:9], v[166:167], v[180:181]
	v_fma_f64 v[184:185], v[6:7], v[166:167], -v[168:169]
	ds_load_b128 v[6:9], v1 offset:1120
	s_waitcnt vmcnt(8) lgkmcnt(1)
	v_mul_f64 v[182:183], v[2:3], v[12:13]
	v_mul_f64 v[12:13], v[4:5], v[12:13]
	scratch_load_b128 v[166:169], off, off offset:592
	v_add_f64 v[174:175], v[174:175], v[186:187]
	v_add_f64 v[176:177], v[176:177], v[178:179]
	s_waitcnt vmcnt(8) lgkmcnt(0)
	v_mul_f64 v[178:179], v[6:7], v[16:17]
	v_mul_f64 v[16:17], v[8:9], v[16:17]
	v_fma_f64 v[182:183], v[4:5], v[10:11], v[182:183]
	v_fma_f64 v[186:187], v[2:3], v[10:11], -v[12:13]
	scratch_load_b128 v[10:13], off, off offset:608
	ds_load_b128 v[2:5], v1 offset:1136
	v_add_f64 v[174:175], v[174:175], v[184:185]
	v_add_f64 v[176:177], v[176:177], v[180:181]
	v_fma_f64 v[178:179], v[8:9], v[14:15], v[178:179]
	v_fma_f64 v[184:185], v[6:7], v[14:15], -v[16:17]
	ds_load_b128 v[6:9], v1 offset:1152
	s_waitcnt vmcnt(8) lgkmcnt(1)
	v_mul_f64 v[180:181], v[2:3], v[20:21]
	v_mul_f64 v[20:21], v[4:5], v[20:21]
	scratch_load_b128 v[14:17], off, off offset:624
	v_add_f64 v[174:175], v[174:175], v[186:187]
	v_add_f64 v[176:177], v[176:177], v[182:183]
	s_waitcnt vmcnt(8) lgkmcnt(0)
	v_mul_f64 v[182:183], v[6:7], v[24:25]
	v_mul_f64 v[24:25], v[8:9], v[24:25]
	v_fma_f64 v[180:181], v[4:5], v[18:19], v[180:181]
	v_fma_f64 v[186:187], v[2:3], v[18:19], -v[20:21]
	scratch_load_b128 v[18:21], off, off offset:640
	ds_load_b128 v[2:5], v1 offset:1168
	v_add_f64 v[174:175], v[174:175], v[184:185]
	v_add_f64 v[176:177], v[176:177], v[178:179]
	v_fma_f64 v[182:183], v[8:9], v[22:23], v[182:183]
	v_fma_f64 v[22:23], v[6:7], v[22:23], -v[24:25]
	ds_load_b128 v[6:9], v1 offset:1184
	s_waitcnt vmcnt(8) lgkmcnt(1)
	v_mul_f64 v[178:179], v[2:3], v[28:29]
	v_mul_f64 v[28:29], v[4:5], v[28:29]
	v_add_f64 v[24:25], v[174:175], v[186:187]
	v_add_f64 v[174:175], v[176:177], v[180:181]
	s_waitcnt vmcnt(7) lgkmcnt(0)
	v_mul_f64 v[176:177], v[6:7], v[32:33]
	v_mul_f64 v[32:33], v[8:9], v[32:33]
	v_fma_f64 v[178:179], v[4:5], v[26:27], v[178:179]
	v_fma_f64 v[26:27], v[2:3], v[26:27], -v[28:29]
	ds_load_b128 v[2:5], v1 offset:1200
	v_add_f64 v[22:23], v[24:25], v[22:23]
	v_add_f64 v[24:25], v[174:175], v[182:183]
	v_fma_f64 v[174:175], v[8:9], v[30:31], v[176:177]
	v_fma_f64 v[30:31], v[6:7], v[30:31], -v[32:33]
	ds_load_b128 v[6:9], v1 offset:1216
	s_waitcnt vmcnt(5) lgkmcnt(0)
	v_mul_f64 v[176:177], v[6:7], v[172:173]
	v_mul_f64 v[172:173], v[8:9], v[172:173]
	v_add_f64 v[26:27], v[22:23], v[26:27]
	v_add_f64 v[32:33], v[24:25], v[178:179]
	scratch_load_b128 v[22:25], off, off offset:240
	v_mul_f64 v[28:29], v[2:3], v[40:41]
	v_mul_f64 v[40:41], v[4:5], v[40:41]
	v_add_f64 v[26:27], v[26:27], v[30:31]
	v_add_f64 v[30:31], v[32:33], v[174:175]
	s_delay_alu instid0(VALU_DEP_4) | instskip(NEXT) | instid1(VALU_DEP_4)
	v_fma_f64 v[28:29], v[4:5], v[38:39], v[28:29]
	v_fma_f64 v[38:39], v[2:3], v[38:39], -v[40:41]
	ds_load_b128 v[2:5], v1 offset:1232
	v_fma_f64 v[40:41], v[8:9], v[170:171], v[176:177]
	v_fma_f64 v[170:171], v[6:7], v[170:171], -v[172:173]
	ds_load_b128 v[6:9], v1 offset:1248
	s_waitcnt vmcnt(5) lgkmcnt(1)
	v_mul_f64 v[32:33], v[2:3], v[36:37]
	v_mul_f64 v[36:37], v[4:5], v[36:37]
	v_add_f64 v[28:29], v[30:31], v[28:29]
	v_add_f64 v[26:27], v[26:27], v[38:39]
	s_waitcnt vmcnt(4) lgkmcnt(0)
	v_mul_f64 v[30:31], v[6:7], v[168:169]
	v_mul_f64 v[38:39], v[8:9], v[168:169]
	v_fma_f64 v[32:33], v[4:5], v[34:35], v[32:33]
	v_fma_f64 v[34:35], v[2:3], v[34:35], -v[36:37]
	ds_load_b128 v[2:5], v1 offset:1264
	v_add_f64 v[28:29], v[28:29], v[40:41]
	v_add_f64 v[26:27], v[26:27], v[170:171]
	v_fma_f64 v[30:31], v[8:9], v[166:167], v[30:31]
	v_fma_f64 v[38:39], v[6:7], v[166:167], -v[38:39]
	ds_load_b128 v[6:9], v1 offset:1280
	s_waitcnt vmcnt(3) lgkmcnt(1)
	v_mul_f64 v[36:37], v[2:3], v[12:13]
	v_mul_f64 v[12:13], v[4:5], v[12:13]
	v_add_f64 v[28:29], v[28:29], v[32:33]
	v_add_f64 v[26:27], v[26:27], v[34:35]
	s_waitcnt vmcnt(2) lgkmcnt(0)
	v_mul_f64 v[32:33], v[6:7], v[16:17]
	v_mul_f64 v[16:17], v[8:9], v[16:17]
	v_fma_f64 v[34:35], v[4:5], v[10:11], v[36:37]
	v_fma_f64 v[10:11], v[2:3], v[10:11], -v[12:13]
	ds_load_b128 v[2:5], v1 offset:1296
	v_add_f64 v[12:13], v[26:27], v[38:39]
	v_add_f64 v[26:27], v[28:29], v[30:31]
	s_waitcnt vmcnt(1) lgkmcnt(0)
	v_mul_f64 v[28:29], v[2:3], v[20:21]
	v_mul_f64 v[20:21], v[4:5], v[20:21]
	v_fma_f64 v[8:9], v[8:9], v[14:15], v[32:33]
	v_fma_f64 v[6:7], v[6:7], v[14:15], -v[16:17]
	v_add_f64 v[10:11], v[12:13], v[10:11]
	v_add_f64 v[12:13], v[26:27], v[34:35]
	v_fma_f64 v[4:5], v[4:5], v[18:19], v[28:29]
	v_fma_f64 v[2:3], v[2:3], v[18:19], -v[20:21]
	s_delay_alu instid0(VALU_DEP_4) | instskip(NEXT) | instid1(VALU_DEP_4)
	v_add_f64 v[6:7], v[10:11], v[6:7]
	v_add_f64 v[8:9], v[12:13], v[8:9]
	s_delay_alu instid0(VALU_DEP_2) | instskip(NEXT) | instid1(VALU_DEP_2)
	v_add_f64 v[2:3], v[6:7], v[2:3]
	v_add_f64 v[4:5], v[8:9], v[4:5]
	s_waitcnt vmcnt(0)
	s_delay_alu instid0(VALU_DEP_2) | instskip(NEXT) | instid1(VALU_DEP_2)
	v_add_f64 v[2:3], v[22:23], -v[2:3]
	v_add_f64 v[4:5], v[24:25], -v[4:5]
	scratch_store_b128 off, v[2:5], off offset:240
	v_cmpx_lt_u32_e32 14, v124
	s_cbranch_execz .LBB104_231
; %bb.230:
	scratch_load_b128 v[5:8], v155, off
	v_mov_b32_e32 v2, v1
	v_mov_b32_e32 v3, v1
	;; [unrolled: 1-line block ×3, first 2 shown]
	scratch_store_b128 off, v[1:4], off offset:224
	s_waitcnt vmcnt(0)
	ds_store_b128 v165, v[5:8]
.LBB104_231:
	s_or_b32 exec_lo, exec_lo, s2
	s_waitcnt lgkmcnt(0)
	s_waitcnt_vscnt null, 0x0
	s_barrier
	buffer_gl0_inv
	s_clause 0x7
	scratch_load_b128 v[2:5], off, off offset:240
	scratch_load_b128 v[6:9], off, off offset:256
	;; [unrolled: 1-line block ×8, first 2 shown]
	ds_load_b128 v[38:41], v1 offset:896
	ds_load_b128 v[166:169], v1 offset:912
	s_clause 0x1
	scratch_load_b128 v[34:37], off, off offset:368
	scratch_load_b128 v[170:173], off, off offset:384
	s_mov_b32 s2, exec_lo
	s_waitcnt vmcnt(9) lgkmcnt(1)
	v_mul_f64 v[174:175], v[40:41], v[4:5]
	v_mul_f64 v[4:5], v[38:39], v[4:5]
	s_waitcnt vmcnt(8) lgkmcnt(0)
	v_mul_f64 v[176:177], v[166:167], v[8:9]
	v_mul_f64 v[8:9], v[168:169], v[8:9]
	s_delay_alu instid0(VALU_DEP_4) | instskip(NEXT) | instid1(VALU_DEP_4)
	v_fma_f64 v[174:175], v[38:39], v[2:3], -v[174:175]
	v_fma_f64 v[178:179], v[40:41], v[2:3], v[4:5]
	ds_load_b128 v[2:5], v1 offset:928
	scratch_load_b128 v[38:41], off, off offset:400
	v_fma_f64 v[176:177], v[168:169], v[6:7], v[176:177]
	v_fma_f64 v[182:183], v[166:167], v[6:7], -v[8:9]
	scratch_load_b128 v[166:169], off, off offset:416
	ds_load_b128 v[6:9], v1 offset:944
	s_waitcnt vmcnt(9) lgkmcnt(1)
	v_mul_f64 v[180:181], v[2:3], v[12:13]
	v_mul_f64 v[12:13], v[4:5], v[12:13]
	s_waitcnt vmcnt(8) lgkmcnt(0)
	v_mul_f64 v[184:185], v[6:7], v[16:17]
	v_mul_f64 v[16:17], v[8:9], v[16:17]
	v_add_f64 v[174:175], v[174:175], 0
	v_add_f64 v[178:179], v[178:179], 0
	v_fma_f64 v[180:181], v[4:5], v[10:11], v[180:181]
	v_fma_f64 v[186:187], v[2:3], v[10:11], -v[12:13]
	ds_load_b128 v[2:5], v1 offset:960
	scratch_load_b128 v[10:13], off, off offset:432
	v_add_f64 v[174:175], v[174:175], v[182:183]
	v_add_f64 v[176:177], v[178:179], v[176:177]
	v_fma_f64 v[182:183], v[8:9], v[14:15], v[184:185]
	v_fma_f64 v[184:185], v[6:7], v[14:15], -v[16:17]
	scratch_load_b128 v[14:17], off, off offset:448
	ds_load_b128 v[6:9], v1 offset:976
	s_waitcnt vmcnt(9) lgkmcnt(1)
	v_mul_f64 v[178:179], v[2:3], v[20:21]
	v_mul_f64 v[20:21], v[4:5], v[20:21]
	v_add_f64 v[174:175], v[174:175], v[186:187]
	v_add_f64 v[176:177], v[176:177], v[180:181]
	s_waitcnt vmcnt(8) lgkmcnt(0)
	v_mul_f64 v[180:181], v[6:7], v[24:25]
	v_mul_f64 v[24:25], v[8:9], v[24:25]
	v_fma_f64 v[178:179], v[4:5], v[18:19], v[178:179]
	v_fma_f64 v[186:187], v[2:3], v[18:19], -v[20:21]
	ds_load_b128 v[2:5], v1 offset:992
	scratch_load_b128 v[18:21], off, off offset:464
	v_add_f64 v[174:175], v[174:175], v[184:185]
	v_add_f64 v[176:177], v[176:177], v[182:183]
	v_fma_f64 v[180:181], v[8:9], v[22:23], v[180:181]
	v_fma_f64 v[184:185], v[6:7], v[22:23], -v[24:25]
	scratch_load_b128 v[22:25], off, off offset:480
	ds_load_b128 v[6:9], v1 offset:1008
	s_waitcnt vmcnt(9) lgkmcnt(1)
	v_mul_f64 v[182:183], v[2:3], v[28:29]
	v_mul_f64 v[28:29], v[4:5], v[28:29]
	v_add_f64 v[174:175], v[174:175], v[186:187]
	v_add_f64 v[176:177], v[176:177], v[178:179]
	s_waitcnt vmcnt(8) lgkmcnt(0)
	v_mul_f64 v[178:179], v[6:7], v[32:33]
	v_mul_f64 v[32:33], v[8:9], v[32:33]
	;; [unrolled: 18-line block ×3, first 2 shown]
	v_fma_f64 v[180:181], v[4:5], v[34:35], v[180:181]
	v_fma_f64 v[186:187], v[2:3], v[34:35], -v[36:37]
	ds_load_b128 v[2:5], v1 offset:1056
	scratch_load_b128 v[34:37], off, off offset:528
	v_add_f64 v[174:175], v[174:175], v[184:185]
	v_add_f64 v[176:177], v[176:177], v[178:179]
	v_fma_f64 v[182:183], v[8:9], v[170:171], v[182:183]
	v_fma_f64 v[184:185], v[6:7], v[170:171], -v[172:173]
	ds_load_b128 v[6:9], v1 offset:1072
	scratch_load_b128 v[170:173], off, off offset:544
	s_waitcnt vmcnt(9) lgkmcnt(1)
	v_mul_f64 v[178:179], v[2:3], v[40:41]
	v_mul_f64 v[40:41], v[4:5], v[40:41]
	v_add_f64 v[174:175], v[174:175], v[186:187]
	v_add_f64 v[176:177], v[176:177], v[180:181]
	s_waitcnt vmcnt(8) lgkmcnt(0)
	v_mul_f64 v[180:181], v[6:7], v[168:169]
	v_mul_f64 v[168:169], v[8:9], v[168:169]
	v_fma_f64 v[178:179], v[4:5], v[38:39], v[178:179]
	v_fma_f64 v[186:187], v[2:3], v[38:39], -v[40:41]
	ds_load_b128 v[2:5], v1 offset:1088
	scratch_load_b128 v[38:41], off, off offset:560
	v_add_f64 v[174:175], v[174:175], v[184:185]
	v_add_f64 v[176:177], v[176:177], v[182:183]
	v_fma_f64 v[180:181], v[8:9], v[166:167], v[180:181]
	v_fma_f64 v[184:185], v[6:7], v[166:167], -v[168:169]
	ds_load_b128 v[6:9], v1 offset:1104
	s_waitcnt vmcnt(8) lgkmcnt(1)
	v_mul_f64 v[182:183], v[2:3], v[12:13]
	v_mul_f64 v[12:13], v[4:5], v[12:13]
	scratch_load_b128 v[166:169], off, off offset:576
	v_add_f64 v[174:175], v[174:175], v[186:187]
	v_add_f64 v[176:177], v[176:177], v[178:179]
	s_waitcnt vmcnt(8) lgkmcnt(0)
	v_mul_f64 v[178:179], v[6:7], v[16:17]
	v_mul_f64 v[16:17], v[8:9], v[16:17]
	v_fma_f64 v[182:183], v[4:5], v[10:11], v[182:183]
	v_fma_f64 v[186:187], v[2:3], v[10:11], -v[12:13]
	scratch_load_b128 v[10:13], off, off offset:592
	ds_load_b128 v[2:5], v1 offset:1120
	v_add_f64 v[174:175], v[174:175], v[184:185]
	v_add_f64 v[176:177], v[176:177], v[180:181]
	v_fma_f64 v[178:179], v[8:9], v[14:15], v[178:179]
	v_fma_f64 v[184:185], v[6:7], v[14:15], -v[16:17]
	ds_load_b128 v[6:9], v1 offset:1136
	s_waitcnt vmcnt(8) lgkmcnt(1)
	v_mul_f64 v[180:181], v[2:3], v[20:21]
	v_mul_f64 v[20:21], v[4:5], v[20:21]
	scratch_load_b128 v[14:17], off, off offset:608
	v_add_f64 v[174:175], v[174:175], v[186:187]
	v_add_f64 v[176:177], v[176:177], v[182:183]
	s_waitcnt vmcnt(8) lgkmcnt(0)
	v_mul_f64 v[182:183], v[6:7], v[24:25]
	v_mul_f64 v[24:25], v[8:9], v[24:25]
	v_fma_f64 v[180:181], v[4:5], v[18:19], v[180:181]
	v_fma_f64 v[186:187], v[2:3], v[18:19], -v[20:21]
	scratch_load_b128 v[18:21], off, off offset:624
	ds_load_b128 v[2:5], v1 offset:1152
	v_add_f64 v[174:175], v[174:175], v[184:185]
	v_add_f64 v[176:177], v[176:177], v[178:179]
	v_fma_f64 v[182:183], v[8:9], v[22:23], v[182:183]
	v_fma_f64 v[184:185], v[6:7], v[22:23], -v[24:25]
	ds_load_b128 v[6:9], v1 offset:1168
	s_waitcnt vmcnt(8) lgkmcnt(1)
	v_mul_f64 v[178:179], v[2:3], v[28:29]
	v_mul_f64 v[28:29], v[4:5], v[28:29]
	scratch_load_b128 v[22:25], off, off offset:640
	v_add_f64 v[174:175], v[174:175], v[186:187]
	v_add_f64 v[176:177], v[176:177], v[180:181]
	s_waitcnt vmcnt(8) lgkmcnt(0)
	v_mul_f64 v[180:181], v[6:7], v[32:33]
	v_mul_f64 v[32:33], v[8:9], v[32:33]
	v_fma_f64 v[178:179], v[4:5], v[26:27], v[178:179]
	v_fma_f64 v[26:27], v[2:3], v[26:27], -v[28:29]
	ds_load_b128 v[2:5], v1 offset:1184
	v_add_f64 v[28:29], v[174:175], v[184:185]
	v_add_f64 v[174:175], v[176:177], v[182:183]
	v_fma_f64 v[180:181], v[8:9], v[30:31], v[180:181]
	v_fma_f64 v[30:31], v[6:7], v[30:31], -v[32:33]
	ds_load_b128 v[6:9], v1 offset:1200
	s_waitcnt vmcnt(7) lgkmcnt(1)
	v_mul_f64 v[176:177], v[2:3], v[36:37]
	v_mul_f64 v[36:37], v[4:5], v[36:37]
	v_add_f64 v[26:27], v[28:29], v[26:27]
	v_add_f64 v[28:29], v[174:175], v[178:179]
	s_delay_alu instid0(VALU_DEP_4) | instskip(NEXT) | instid1(VALU_DEP_4)
	v_fma_f64 v[174:175], v[4:5], v[34:35], v[176:177]
	v_fma_f64 v[34:35], v[2:3], v[34:35], -v[36:37]
	ds_load_b128 v[2:5], v1 offset:1216
	v_add_f64 v[30:31], v[26:27], v[30:31]
	v_add_f64 v[36:37], v[28:29], v[180:181]
	scratch_load_b128 v[26:29], off, off offset:224
	s_waitcnt vmcnt(7) lgkmcnt(1)
	v_mul_f64 v[32:33], v[6:7], v[172:173]
	v_mul_f64 v[172:173], v[8:9], v[172:173]
	v_add_f64 v[30:31], v[30:31], v[34:35]
	v_add_f64 v[34:35], v[36:37], v[174:175]
	s_delay_alu instid0(VALU_DEP_4) | instskip(NEXT) | instid1(VALU_DEP_4)
	v_fma_f64 v[32:33], v[8:9], v[170:171], v[32:33]
	v_fma_f64 v[170:171], v[6:7], v[170:171], -v[172:173]
	ds_load_b128 v[6:9], v1 offset:1232
	s_waitcnt vmcnt(6) lgkmcnt(1)
	v_mul_f64 v[176:177], v[2:3], v[40:41]
	v_mul_f64 v[40:41], v[4:5], v[40:41]
	s_waitcnt vmcnt(5) lgkmcnt(0)
	v_mul_f64 v[36:37], v[6:7], v[168:169]
	v_mul_f64 v[168:169], v[8:9], v[168:169]
	v_add_f64 v[32:33], v[34:35], v[32:33]
	v_add_f64 v[30:31], v[30:31], v[170:171]
	v_fma_f64 v[172:173], v[4:5], v[38:39], v[176:177]
	v_fma_f64 v[38:39], v[2:3], v[38:39], -v[40:41]
	ds_load_b128 v[2:5], v1 offset:1248
	v_fma_f64 v[36:37], v[8:9], v[166:167], v[36:37]
	v_fma_f64 v[40:41], v[6:7], v[166:167], -v[168:169]
	ds_load_b128 v[6:9], v1 offset:1264
	s_waitcnt vmcnt(4) lgkmcnt(1)
	v_mul_f64 v[34:35], v[2:3], v[12:13]
	v_mul_f64 v[12:13], v[4:5], v[12:13]
	v_add_f64 v[32:33], v[32:33], v[172:173]
	v_add_f64 v[30:31], v[30:31], v[38:39]
	s_waitcnt vmcnt(3) lgkmcnt(0)
	v_mul_f64 v[38:39], v[6:7], v[16:17]
	v_mul_f64 v[16:17], v[8:9], v[16:17]
	v_fma_f64 v[34:35], v[4:5], v[10:11], v[34:35]
	v_fma_f64 v[10:11], v[2:3], v[10:11], -v[12:13]
	ds_load_b128 v[2:5], v1 offset:1280
	v_add_f64 v[12:13], v[30:31], v[40:41]
	v_add_f64 v[30:31], v[32:33], v[36:37]
	v_fma_f64 v[36:37], v[8:9], v[14:15], v[38:39]
	v_fma_f64 v[14:15], v[6:7], v[14:15], -v[16:17]
	ds_load_b128 v[6:9], v1 offset:1296
	s_waitcnt vmcnt(2) lgkmcnt(1)
	v_mul_f64 v[32:33], v[2:3], v[20:21]
	v_mul_f64 v[20:21], v[4:5], v[20:21]
	s_waitcnt vmcnt(1) lgkmcnt(0)
	v_mul_f64 v[16:17], v[6:7], v[24:25]
	v_mul_f64 v[24:25], v[8:9], v[24:25]
	v_add_f64 v[10:11], v[12:13], v[10:11]
	v_add_f64 v[12:13], v[30:31], v[34:35]
	v_fma_f64 v[4:5], v[4:5], v[18:19], v[32:33]
	v_fma_f64 v[1:2], v[2:3], v[18:19], -v[20:21]
	v_fma_f64 v[8:9], v[8:9], v[22:23], v[16:17]
	v_fma_f64 v[6:7], v[6:7], v[22:23], -v[24:25]
	v_add_f64 v[10:11], v[10:11], v[14:15]
	v_add_f64 v[12:13], v[12:13], v[36:37]
	s_delay_alu instid0(VALU_DEP_2) | instskip(NEXT) | instid1(VALU_DEP_2)
	v_add_f64 v[1:2], v[10:11], v[1:2]
	v_add_f64 v[3:4], v[12:13], v[4:5]
	s_delay_alu instid0(VALU_DEP_2) | instskip(NEXT) | instid1(VALU_DEP_2)
	v_add_f64 v[1:2], v[1:2], v[6:7]
	v_add_f64 v[3:4], v[3:4], v[8:9]
	s_waitcnt vmcnt(0)
	s_delay_alu instid0(VALU_DEP_2) | instskip(NEXT) | instid1(VALU_DEP_2)
	v_add_f64 v[1:2], v[26:27], -v[1:2]
	v_add_f64 v[3:4], v[28:29], -v[3:4]
	scratch_store_b128 off, v[1:4], off offset:224
	v_cmpx_lt_u32_e32 13, v124
	s_cbranch_execz .LBB104_233
; %bb.232:
	scratch_load_b128 v[1:4], v156, off
	v_mov_b32_e32 v5, 0
	s_delay_alu instid0(VALU_DEP_1)
	v_mov_b32_e32 v6, v5
	v_mov_b32_e32 v7, v5
	;; [unrolled: 1-line block ×3, first 2 shown]
	scratch_store_b128 off, v[5:8], off offset:208
	s_waitcnt vmcnt(0)
	ds_store_b128 v165, v[1:4]
.LBB104_233:
	s_or_b32 exec_lo, exec_lo, s2
	s_waitcnt lgkmcnt(0)
	s_waitcnt_vscnt null, 0x0
	s_barrier
	buffer_gl0_inv
	s_clause 0x7
	scratch_load_b128 v[2:5], off, off offset:224
	scratch_load_b128 v[6:9], off, off offset:240
	;; [unrolled: 1-line block ×8, first 2 shown]
	v_mov_b32_e32 v1, 0
	s_clause 0x1
	scratch_load_b128 v[34:37], off, off offset:352
	scratch_load_b128 v[170:173], off, off offset:368
	s_mov_b32 s2, exec_lo
	ds_load_b128 v[38:41], v1 offset:880
	ds_load_b128 v[166:169], v1 offset:896
	s_waitcnt vmcnt(9) lgkmcnt(1)
	v_mul_f64 v[174:175], v[40:41], v[4:5]
	v_mul_f64 v[4:5], v[38:39], v[4:5]
	s_waitcnt vmcnt(8) lgkmcnt(0)
	v_mul_f64 v[176:177], v[166:167], v[8:9]
	v_mul_f64 v[8:9], v[168:169], v[8:9]
	s_delay_alu instid0(VALU_DEP_4) | instskip(NEXT) | instid1(VALU_DEP_4)
	v_fma_f64 v[174:175], v[38:39], v[2:3], -v[174:175]
	v_fma_f64 v[178:179], v[40:41], v[2:3], v[4:5]
	ds_load_b128 v[2:5], v1 offset:912
	scratch_load_b128 v[38:41], off, off offset:384
	v_fma_f64 v[176:177], v[168:169], v[6:7], v[176:177]
	v_fma_f64 v[182:183], v[166:167], v[6:7], -v[8:9]
	scratch_load_b128 v[166:169], off, off offset:400
	ds_load_b128 v[6:9], v1 offset:928
	s_waitcnt vmcnt(9) lgkmcnt(1)
	v_mul_f64 v[180:181], v[2:3], v[12:13]
	v_mul_f64 v[12:13], v[4:5], v[12:13]
	s_waitcnt vmcnt(8) lgkmcnt(0)
	v_mul_f64 v[184:185], v[6:7], v[16:17]
	v_mul_f64 v[16:17], v[8:9], v[16:17]
	v_add_f64 v[174:175], v[174:175], 0
	v_add_f64 v[178:179], v[178:179], 0
	v_fma_f64 v[180:181], v[4:5], v[10:11], v[180:181]
	v_fma_f64 v[186:187], v[2:3], v[10:11], -v[12:13]
	ds_load_b128 v[2:5], v1 offset:944
	scratch_load_b128 v[10:13], off, off offset:416
	v_add_f64 v[174:175], v[174:175], v[182:183]
	v_add_f64 v[176:177], v[178:179], v[176:177]
	v_fma_f64 v[182:183], v[8:9], v[14:15], v[184:185]
	v_fma_f64 v[184:185], v[6:7], v[14:15], -v[16:17]
	scratch_load_b128 v[14:17], off, off offset:432
	ds_load_b128 v[6:9], v1 offset:960
	s_waitcnt vmcnt(9) lgkmcnt(1)
	v_mul_f64 v[178:179], v[2:3], v[20:21]
	v_mul_f64 v[20:21], v[4:5], v[20:21]
	v_add_f64 v[174:175], v[174:175], v[186:187]
	v_add_f64 v[176:177], v[176:177], v[180:181]
	s_waitcnt vmcnt(8) lgkmcnt(0)
	v_mul_f64 v[180:181], v[6:7], v[24:25]
	v_mul_f64 v[24:25], v[8:9], v[24:25]
	v_fma_f64 v[178:179], v[4:5], v[18:19], v[178:179]
	v_fma_f64 v[186:187], v[2:3], v[18:19], -v[20:21]
	ds_load_b128 v[2:5], v1 offset:976
	scratch_load_b128 v[18:21], off, off offset:448
	v_add_f64 v[174:175], v[174:175], v[184:185]
	v_add_f64 v[176:177], v[176:177], v[182:183]
	v_fma_f64 v[180:181], v[8:9], v[22:23], v[180:181]
	v_fma_f64 v[184:185], v[6:7], v[22:23], -v[24:25]
	scratch_load_b128 v[22:25], off, off offset:464
	ds_load_b128 v[6:9], v1 offset:992
	s_waitcnt vmcnt(9) lgkmcnt(1)
	v_mul_f64 v[182:183], v[2:3], v[28:29]
	v_mul_f64 v[28:29], v[4:5], v[28:29]
	v_add_f64 v[174:175], v[174:175], v[186:187]
	v_add_f64 v[176:177], v[176:177], v[178:179]
	s_waitcnt vmcnt(8) lgkmcnt(0)
	v_mul_f64 v[178:179], v[6:7], v[32:33]
	v_mul_f64 v[32:33], v[8:9], v[32:33]
	;; [unrolled: 18-line block ×4, first 2 shown]
	v_fma_f64 v[178:179], v[4:5], v[38:39], v[178:179]
	v_fma_f64 v[186:187], v[2:3], v[38:39], -v[40:41]
	ds_load_b128 v[2:5], v1 offset:1072
	scratch_load_b128 v[38:41], off, off offset:544
	v_add_f64 v[174:175], v[174:175], v[184:185]
	v_add_f64 v[176:177], v[176:177], v[182:183]
	v_fma_f64 v[180:181], v[8:9], v[166:167], v[180:181]
	v_fma_f64 v[184:185], v[6:7], v[166:167], -v[168:169]
	ds_load_b128 v[6:9], v1 offset:1088
	s_waitcnt vmcnt(8) lgkmcnt(1)
	v_mul_f64 v[182:183], v[2:3], v[12:13]
	v_mul_f64 v[12:13], v[4:5], v[12:13]
	scratch_load_b128 v[166:169], off, off offset:560
	v_add_f64 v[174:175], v[174:175], v[186:187]
	v_add_f64 v[176:177], v[176:177], v[178:179]
	s_waitcnt vmcnt(8) lgkmcnt(0)
	v_mul_f64 v[178:179], v[6:7], v[16:17]
	v_mul_f64 v[16:17], v[8:9], v[16:17]
	v_fma_f64 v[182:183], v[4:5], v[10:11], v[182:183]
	v_fma_f64 v[186:187], v[2:3], v[10:11], -v[12:13]
	scratch_load_b128 v[10:13], off, off offset:576
	ds_load_b128 v[2:5], v1 offset:1104
	v_add_f64 v[174:175], v[174:175], v[184:185]
	v_add_f64 v[176:177], v[176:177], v[180:181]
	v_fma_f64 v[178:179], v[8:9], v[14:15], v[178:179]
	v_fma_f64 v[184:185], v[6:7], v[14:15], -v[16:17]
	ds_load_b128 v[6:9], v1 offset:1120
	s_waitcnt vmcnt(8) lgkmcnt(1)
	v_mul_f64 v[180:181], v[2:3], v[20:21]
	v_mul_f64 v[20:21], v[4:5], v[20:21]
	scratch_load_b128 v[14:17], off, off offset:592
	v_add_f64 v[174:175], v[174:175], v[186:187]
	v_add_f64 v[176:177], v[176:177], v[182:183]
	s_waitcnt vmcnt(8) lgkmcnt(0)
	v_mul_f64 v[182:183], v[6:7], v[24:25]
	v_mul_f64 v[24:25], v[8:9], v[24:25]
	v_fma_f64 v[180:181], v[4:5], v[18:19], v[180:181]
	v_fma_f64 v[186:187], v[2:3], v[18:19], -v[20:21]
	scratch_load_b128 v[18:21], off, off offset:608
	ds_load_b128 v[2:5], v1 offset:1136
	;; [unrolled: 18-line block ×3, first 2 shown]
	v_add_f64 v[174:175], v[174:175], v[184:185]
	v_add_f64 v[176:177], v[176:177], v[182:183]
	v_fma_f64 v[180:181], v[8:9], v[30:31], v[180:181]
	v_fma_f64 v[30:31], v[6:7], v[30:31], -v[32:33]
	ds_load_b128 v[6:9], v1 offset:1184
	s_waitcnt vmcnt(8) lgkmcnt(1)
	v_mul_f64 v[182:183], v[2:3], v[36:37]
	v_mul_f64 v[36:37], v[4:5], v[36:37]
	v_add_f64 v[32:33], v[174:175], v[186:187]
	v_add_f64 v[174:175], v[176:177], v[178:179]
	s_waitcnt vmcnt(7) lgkmcnt(0)
	v_mul_f64 v[176:177], v[6:7], v[172:173]
	v_mul_f64 v[172:173], v[8:9], v[172:173]
	v_fma_f64 v[178:179], v[4:5], v[34:35], v[182:183]
	v_fma_f64 v[34:35], v[2:3], v[34:35], -v[36:37]
	ds_load_b128 v[2:5], v1 offset:1200
	v_add_f64 v[30:31], v[32:33], v[30:31]
	v_add_f64 v[32:33], v[174:175], v[180:181]
	v_fma_f64 v[174:175], v[8:9], v[170:171], v[176:177]
	v_fma_f64 v[170:171], v[6:7], v[170:171], -v[172:173]
	ds_load_b128 v[6:9], v1 offset:1216
	s_waitcnt vmcnt(5) lgkmcnt(0)
	v_mul_f64 v[176:177], v[6:7], v[168:169]
	v_mul_f64 v[168:169], v[8:9], v[168:169]
	v_add_f64 v[34:35], v[30:31], v[34:35]
	v_add_f64 v[172:173], v[32:33], v[178:179]
	scratch_load_b128 v[30:33], off, off offset:208
	v_mul_f64 v[36:37], v[2:3], v[40:41]
	v_mul_f64 v[40:41], v[4:5], v[40:41]
	v_add_f64 v[34:35], v[34:35], v[170:171]
	s_delay_alu instid0(VALU_DEP_3) | instskip(NEXT) | instid1(VALU_DEP_3)
	v_fma_f64 v[36:37], v[4:5], v[38:39], v[36:37]
	v_fma_f64 v[38:39], v[2:3], v[38:39], -v[40:41]
	v_add_f64 v[40:41], v[172:173], v[174:175]
	ds_load_b128 v[2:5], v1 offset:1232
	v_fma_f64 v[172:173], v[8:9], v[166:167], v[176:177]
	v_fma_f64 v[166:167], v[6:7], v[166:167], -v[168:169]
	ds_load_b128 v[6:9], v1 offset:1248
	s_waitcnt vmcnt(5) lgkmcnt(1)
	v_mul_f64 v[170:171], v[2:3], v[12:13]
	v_mul_f64 v[12:13], v[4:5], v[12:13]
	v_add_f64 v[34:35], v[34:35], v[38:39]
	v_add_f64 v[36:37], v[40:41], v[36:37]
	s_waitcnt vmcnt(4) lgkmcnt(0)
	v_mul_f64 v[38:39], v[6:7], v[16:17]
	v_mul_f64 v[16:17], v[8:9], v[16:17]
	v_fma_f64 v[40:41], v[4:5], v[10:11], v[170:171]
	v_fma_f64 v[10:11], v[2:3], v[10:11], -v[12:13]
	ds_load_b128 v[2:5], v1 offset:1264
	v_add_f64 v[12:13], v[34:35], v[166:167]
	v_add_f64 v[34:35], v[36:37], v[172:173]
	v_fma_f64 v[38:39], v[8:9], v[14:15], v[38:39]
	v_fma_f64 v[14:15], v[6:7], v[14:15], -v[16:17]
	ds_load_b128 v[6:9], v1 offset:1280
	s_waitcnt vmcnt(3) lgkmcnt(1)
	v_mul_f64 v[36:37], v[2:3], v[20:21]
	v_mul_f64 v[20:21], v[4:5], v[20:21]
	s_waitcnt vmcnt(2) lgkmcnt(0)
	v_mul_f64 v[16:17], v[6:7], v[24:25]
	v_mul_f64 v[24:25], v[8:9], v[24:25]
	v_add_f64 v[10:11], v[12:13], v[10:11]
	v_add_f64 v[12:13], v[34:35], v[40:41]
	v_fma_f64 v[34:35], v[4:5], v[18:19], v[36:37]
	v_fma_f64 v[18:19], v[2:3], v[18:19], -v[20:21]
	ds_load_b128 v[2:5], v1 offset:1296
	v_fma_f64 v[8:9], v[8:9], v[22:23], v[16:17]
	v_fma_f64 v[6:7], v[6:7], v[22:23], -v[24:25]
	s_waitcnt vmcnt(1) lgkmcnt(0)
	v_mul_f64 v[20:21], v[4:5], v[28:29]
	v_add_f64 v[10:11], v[10:11], v[14:15]
	v_add_f64 v[12:13], v[12:13], v[38:39]
	v_mul_f64 v[14:15], v[2:3], v[28:29]
	s_delay_alu instid0(VALU_DEP_4) | instskip(NEXT) | instid1(VALU_DEP_4)
	v_fma_f64 v[2:3], v[2:3], v[26:27], -v[20:21]
	v_add_f64 v[10:11], v[10:11], v[18:19]
	s_delay_alu instid0(VALU_DEP_4) | instskip(NEXT) | instid1(VALU_DEP_4)
	v_add_f64 v[12:13], v[12:13], v[34:35]
	v_fma_f64 v[4:5], v[4:5], v[26:27], v[14:15]
	s_delay_alu instid0(VALU_DEP_3) | instskip(NEXT) | instid1(VALU_DEP_3)
	v_add_f64 v[6:7], v[10:11], v[6:7]
	v_add_f64 v[8:9], v[12:13], v[8:9]
	s_delay_alu instid0(VALU_DEP_2) | instskip(NEXT) | instid1(VALU_DEP_2)
	v_add_f64 v[2:3], v[6:7], v[2:3]
	v_add_f64 v[4:5], v[8:9], v[4:5]
	s_waitcnt vmcnt(0)
	s_delay_alu instid0(VALU_DEP_2) | instskip(NEXT) | instid1(VALU_DEP_2)
	v_add_f64 v[2:3], v[30:31], -v[2:3]
	v_add_f64 v[4:5], v[32:33], -v[4:5]
	scratch_store_b128 off, v[2:5], off offset:208
	v_cmpx_lt_u32_e32 12, v124
	s_cbranch_execz .LBB104_235
; %bb.234:
	scratch_load_b128 v[5:8], v157, off
	v_mov_b32_e32 v2, v1
	v_mov_b32_e32 v3, v1
	;; [unrolled: 1-line block ×3, first 2 shown]
	scratch_store_b128 off, v[1:4], off offset:192
	s_waitcnt vmcnt(0)
	ds_store_b128 v165, v[5:8]
.LBB104_235:
	s_or_b32 exec_lo, exec_lo, s2
	s_waitcnt lgkmcnt(0)
	s_waitcnt_vscnt null, 0x0
	s_barrier
	buffer_gl0_inv
	s_clause 0x7
	scratch_load_b128 v[2:5], off, off offset:208
	scratch_load_b128 v[6:9], off, off offset:224
	;; [unrolled: 1-line block ×8, first 2 shown]
	ds_load_b128 v[38:41], v1 offset:864
	ds_load_b128 v[166:169], v1 offset:880
	s_clause 0x1
	scratch_load_b128 v[34:37], off, off offset:336
	scratch_load_b128 v[170:173], off, off offset:352
	s_mov_b32 s2, exec_lo
	s_waitcnt vmcnt(9) lgkmcnt(1)
	v_mul_f64 v[174:175], v[40:41], v[4:5]
	v_mul_f64 v[4:5], v[38:39], v[4:5]
	s_waitcnt vmcnt(8) lgkmcnt(0)
	v_mul_f64 v[176:177], v[166:167], v[8:9]
	v_mul_f64 v[8:9], v[168:169], v[8:9]
	s_delay_alu instid0(VALU_DEP_4) | instskip(NEXT) | instid1(VALU_DEP_4)
	v_fma_f64 v[174:175], v[38:39], v[2:3], -v[174:175]
	v_fma_f64 v[178:179], v[40:41], v[2:3], v[4:5]
	ds_load_b128 v[2:5], v1 offset:896
	scratch_load_b128 v[38:41], off, off offset:368
	v_fma_f64 v[176:177], v[168:169], v[6:7], v[176:177]
	v_fma_f64 v[182:183], v[166:167], v[6:7], -v[8:9]
	scratch_load_b128 v[166:169], off, off offset:384
	ds_load_b128 v[6:9], v1 offset:912
	s_waitcnt vmcnt(9) lgkmcnt(1)
	v_mul_f64 v[180:181], v[2:3], v[12:13]
	v_mul_f64 v[12:13], v[4:5], v[12:13]
	s_waitcnt vmcnt(8) lgkmcnt(0)
	v_mul_f64 v[184:185], v[6:7], v[16:17]
	v_mul_f64 v[16:17], v[8:9], v[16:17]
	v_add_f64 v[174:175], v[174:175], 0
	v_add_f64 v[178:179], v[178:179], 0
	v_fma_f64 v[180:181], v[4:5], v[10:11], v[180:181]
	v_fma_f64 v[186:187], v[2:3], v[10:11], -v[12:13]
	ds_load_b128 v[2:5], v1 offset:928
	scratch_load_b128 v[10:13], off, off offset:400
	v_add_f64 v[174:175], v[174:175], v[182:183]
	v_add_f64 v[176:177], v[178:179], v[176:177]
	v_fma_f64 v[182:183], v[8:9], v[14:15], v[184:185]
	v_fma_f64 v[184:185], v[6:7], v[14:15], -v[16:17]
	scratch_load_b128 v[14:17], off, off offset:416
	ds_load_b128 v[6:9], v1 offset:944
	s_waitcnt vmcnt(9) lgkmcnt(1)
	v_mul_f64 v[178:179], v[2:3], v[20:21]
	v_mul_f64 v[20:21], v[4:5], v[20:21]
	v_add_f64 v[174:175], v[174:175], v[186:187]
	v_add_f64 v[176:177], v[176:177], v[180:181]
	s_waitcnt vmcnt(8) lgkmcnt(0)
	v_mul_f64 v[180:181], v[6:7], v[24:25]
	v_mul_f64 v[24:25], v[8:9], v[24:25]
	v_fma_f64 v[178:179], v[4:5], v[18:19], v[178:179]
	v_fma_f64 v[186:187], v[2:3], v[18:19], -v[20:21]
	ds_load_b128 v[2:5], v1 offset:960
	scratch_load_b128 v[18:21], off, off offset:432
	v_add_f64 v[174:175], v[174:175], v[184:185]
	v_add_f64 v[176:177], v[176:177], v[182:183]
	v_fma_f64 v[180:181], v[8:9], v[22:23], v[180:181]
	v_fma_f64 v[184:185], v[6:7], v[22:23], -v[24:25]
	scratch_load_b128 v[22:25], off, off offset:448
	ds_load_b128 v[6:9], v1 offset:976
	s_waitcnt vmcnt(9) lgkmcnt(1)
	v_mul_f64 v[182:183], v[2:3], v[28:29]
	v_mul_f64 v[28:29], v[4:5], v[28:29]
	v_add_f64 v[174:175], v[174:175], v[186:187]
	v_add_f64 v[176:177], v[176:177], v[178:179]
	s_waitcnt vmcnt(8) lgkmcnt(0)
	v_mul_f64 v[178:179], v[6:7], v[32:33]
	v_mul_f64 v[32:33], v[8:9], v[32:33]
	v_fma_f64 v[182:183], v[4:5], v[26:27], v[182:183]
	v_fma_f64 v[186:187], v[2:3], v[26:27], -v[28:29]
	ds_load_b128 v[2:5], v1 offset:992
	scratch_load_b128 v[26:29], off, off offset:464
	v_add_f64 v[174:175], v[174:175], v[184:185]
	v_add_f64 v[176:177], v[176:177], v[180:181]
	v_fma_f64 v[178:179], v[8:9], v[30:31], v[178:179]
	v_fma_f64 v[184:185], v[6:7], v[30:31], -v[32:33]
	scratch_load_b128 v[30:33], off, off offset:480
	ds_load_b128 v[6:9], v1 offset:1008
	s_waitcnt vmcnt(9) lgkmcnt(1)
	v_mul_f64 v[180:181], v[2:3], v[36:37]
	v_mul_f64 v[36:37], v[4:5], v[36:37]
	v_add_f64 v[174:175], v[174:175], v[186:187]
	v_add_f64 v[176:177], v[176:177], v[182:183]
	s_waitcnt vmcnt(8) lgkmcnt(0)
	v_mul_f64 v[182:183], v[6:7], v[172:173]
	v_mul_f64 v[172:173], v[8:9], v[172:173]
	v_fma_f64 v[180:181], v[4:5], v[34:35], v[180:181]
	v_fma_f64 v[186:187], v[2:3], v[34:35], -v[36:37]
	ds_load_b128 v[2:5], v1 offset:1024
	scratch_load_b128 v[34:37], off, off offset:496
	v_add_f64 v[174:175], v[174:175], v[184:185]
	v_add_f64 v[176:177], v[176:177], v[178:179]
	v_fma_f64 v[182:183], v[8:9], v[170:171], v[182:183]
	v_fma_f64 v[184:185], v[6:7], v[170:171], -v[172:173]
	scratch_load_b128 v[170:173], off, off offset:512
	ds_load_b128 v[6:9], v1 offset:1040
	s_waitcnt vmcnt(9) lgkmcnt(1)
	v_mul_f64 v[178:179], v[2:3], v[40:41]
	v_mul_f64 v[40:41], v[4:5], v[40:41]
	v_add_f64 v[174:175], v[174:175], v[186:187]
	v_add_f64 v[176:177], v[176:177], v[180:181]
	s_waitcnt vmcnt(8) lgkmcnt(0)
	v_mul_f64 v[180:181], v[6:7], v[168:169]
	v_mul_f64 v[168:169], v[8:9], v[168:169]
	v_fma_f64 v[178:179], v[4:5], v[38:39], v[178:179]
	v_fma_f64 v[186:187], v[2:3], v[38:39], -v[40:41]
	ds_load_b128 v[2:5], v1 offset:1056
	scratch_load_b128 v[38:41], off, off offset:528
	v_add_f64 v[174:175], v[174:175], v[184:185]
	v_add_f64 v[176:177], v[176:177], v[182:183]
	v_fma_f64 v[180:181], v[8:9], v[166:167], v[180:181]
	v_fma_f64 v[184:185], v[6:7], v[166:167], -v[168:169]
	ds_load_b128 v[6:9], v1 offset:1072
	s_waitcnt vmcnt(8) lgkmcnt(1)
	v_mul_f64 v[182:183], v[2:3], v[12:13]
	v_mul_f64 v[12:13], v[4:5], v[12:13]
	scratch_load_b128 v[166:169], off, off offset:544
	v_add_f64 v[174:175], v[174:175], v[186:187]
	v_add_f64 v[176:177], v[176:177], v[178:179]
	s_waitcnt vmcnt(8) lgkmcnt(0)
	v_mul_f64 v[178:179], v[6:7], v[16:17]
	v_mul_f64 v[16:17], v[8:9], v[16:17]
	v_fma_f64 v[182:183], v[4:5], v[10:11], v[182:183]
	v_fma_f64 v[186:187], v[2:3], v[10:11], -v[12:13]
	ds_load_b128 v[2:5], v1 offset:1088
	scratch_load_b128 v[10:13], off, off offset:560
	v_add_f64 v[174:175], v[174:175], v[184:185]
	v_add_f64 v[176:177], v[176:177], v[180:181]
	v_fma_f64 v[178:179], v[8:9], v[14:15], v[178:179]
	v_fma_f64 v[184:185], v[6:7], v[14:15], -v[16:17]
	ds_load_b128 v[6:9], v1 offset:1104
	s_waitcnt vmcnt(8) lgkmcnt(1)
	v_mul_f64 v[180:181], v[2:3], v[20:21]
	v_mul_f64 v[20:21], v[4:5], v[20:21]
	scratch_load_b128 v[14:17], off, off offset:576
	v_add_f64 v[174:175], v[174:175], v[186:187]
	v_add_f64 v[176:177], v[176:177], v[182:183]
	s_waitcnt vmcnt(8) lgkmcnt(0)
	v_mul_f64 v[182:183], v[6:7], v[24:25]
	v_mul_f64 v[24:25], v[8:9], v[24:25]
	v_fma_f64 v[180:181], v[4:5], v[18:19], v[180:181]
	v_fma_f64 v[186:187], v[2:3], v[18:19], -v[20:21]
	scratch_load_b128 v[18:21], off, off offset:592
	ds_load_b128 v[2:5], v1 offset:1120
	v_add_f64 v[174:175], v[174:175], v[184:185]
	v_add_f64 v[176:177], v[176:177], v[178:179]
	v_fma_f64 v[182:183], v[8:9], v[22:23], v[182:183]
	v_fma_f64 v[184:185], v[6:7], v[22:23], -v[24:25]
	ds_load_b128 v[6:9], v1 offset:1136
	s_waitcnt vmcnt(8) lgkmcnt(1)
	v_mul_f64 v[178:179], v[2:3], v[28:29]
	v_mul_f64 v[28:29], v[4:5], v[28:29]
	scratch_load_b128 v[22:25], off, off offset:608
	v_add_f64 v[174:175], v[174:175], v[186:187]
	v_add_f64 v[176:177], v[176:177], v[180:181]
	s_waitcnt vmcnt(8) lgkmcnt(0)
	v_mul_f64 v[180:181], v[6:7], v[32:33]
	v_mul_f64 v[32:33], v[8:9], v[32:33]
	v_fma_f64 v[178:179], v[4:5], v[26:27], v[178:179]
	v_fma_f64 v[186:187], v[2:3], v[26:27], -v[28:29]
	scratch_load_b128 v[26:29], off, off offset:624
	ds_load_b128 v[2:5], v1 offset:1152
	v_add_f64 v[174:175], v[174:175], v[184:185]
	v_add_f64 v[176:177], v[176:177], v[182:183]
	v_fma_f64 v[180:181], v[8:9], v[30:31], v[180:181]
	v_fma_f64 v[184:185], v[6:7], v[30:31], -v[32:33]
	ds_load_b128 v[6:9], v1 offset:1168
	s_waitcnt vmcnt(8) lgkmcnt(1)
	v_mul_f64 v[182:183], v[2:3], v[36:37]
	v_mul_f64 v[36:37], v[4:5], v[36:37]
	scratch_load_b128 v[30:33], off, off offset:640
	v_add_f64 v[174:175], v[174:175], v[186:187]
	v_add_f64 v[176:177], v[176:177], v[178:179]
	s_waitcnt vmcnt(8) lgkmcnt(0)
	v_mul_f64 v[178:179], v[6:7], v[172:173]
	v_mul_f64 v[172:173], v[8:9], v[172:173]
	v_fma_f64 v[182:183], v[4:5], v[34:35], v[182:183]
	v_fma_f64 v[34:35], v[2:3], v[34:35], -v[36:37]
	ds_load_b128 v[2:5], v1 offset:1184
	v_add_f64 v[36:37], v[174:175], v[184:185]
	v_add_f64 v[174:175], v[176:177], v[180:181]
	v_fma_f64 v[178:179], v[8:9], v[170:171], v[178:179]
	v_fma_f64 v[170:171], v[6:7], v[170:171], -v[172:173]
	ds_load_b128 v[6:9], v1 offset:1200
	s_waitcnt vmcnt(7) lgkmcnt(1)
	v_mul_f64 v[176:177], v[2:3], v[40:41]
	v_mul_f64 v[40:41], v[4:5], v[40:41]
	v_add_f64 v[34:35], v[36:37], v[34:35]
	v_add_f64 v[36:37], v[174:175], v[182:183]
	s_delay_alu instid0(VALU_DEP_4) | instskip(NEXT) | instid1(VALU_DEP_4)
	v_fma_f64 v[174:175], v[4:5], v[38:39], v[176:177]
	v_fma_f64 v[38:39], v[2:3], v[38:39], -v[40:41]
	ds_load_b128 v[2:5], v1 offset:1216
	v_add_f64 v[40:41], v[34:35], v[170:171]
	v_add_f64 v[170:171], v[36:37], v[178:179]
	scratch_load_b128 v[34:37], off, off offset:192
	s_waitcnt vmcnt(7) lgkmcnt(1)
	v_mul_f64 v[172:173], v[6:7], v[168:169]
	v_mul_f64 v[168:169], v[8:9], v[168:169]
	v_add_f64 v[38:39], v[40:41], v[38:39]
	v_add_f64 v[40:41], v[170:171], v[174:175]
	s_delay_alu instid0(VALU_DEP_4) | instskip(NEXT) | instid1(VALU_DEP_4)
	v_fma_f64 v[172:173], v[8:9], v[166:167], v[172:173]
	v_fma_f64 v[166:167], v[6:7], v[166:167], -v[168:169]
	ds_load_b128 v[6:9], v1 offset:1232
	s_waitcnt vmcnt(6) lgkmcnt(1)
	v_mul_f64 v[176:177], v[2:3], v[12:13]
	v_mul_f64 v[12:13], v[4:5], v[12:13]
	s_waitcnt vmcnt(5) lgkmcnt(0)
	v_mul_f64 v[168:169], v[6:7], v[16:17]
	v_mul_f64 v[16:17], v[8:9], v[16:17]
	s_delay_alu instid0(VALU_DEP_4) | instskip(NEXT) | instid1(VALU_DEP_4)
	v_fma_f64 v[170:171], v[4:5], v[10:11], v[176:177]
	v_fma_f64 v[10:11], v[2:3], v[10:11], -v[12:13]
	v_add_f64 v[12:13], v[38:39], v[166:167]
	v_add_f64 v[38:39], v[40:41], v[172:173]
	ds_load_b128 v[2:5], v1 offset:1248
	v_fma_f64 v[166:167], v[8:9], v[14:15], v[168:169]
	v_fma_f64 v[14:15], v[6:7], v[14:15], -v[16:17]
	ds_load_b128 v[6:9], v1 offset:1264
	s_waitcnt vmcnt(4) lgkmcnt(1)
	v_mul_f64 v[40:41], v[2:3], v[20:21]
	v_mul_f64 v[20:21], v[4:5], v[20:21]
	v_add_f64 v[10:11], v[12:13], v[10:11]
	v_add_f64 v[12:13], v[38:39], v[170:171]
	s_waitcnt vmcnt(3) lgkmcnt(0)
	v_mul_f64 v[16:17], v[6:7], v[24:25]
	v_mul_f64 v[24:25], v[8:9], v[24:25]
	v_fma_f64 v[38:39], v[4:5], v[18:19], v[40:41]
	v_fma_f64 v[18:19], v[2:3], v[18:19], -v[20:21]
	ds_load_b128 v[2:5], v1 offset:1280
	v_add_f64 v[10:11], v[10:11], v[14:15]
	v_add_f64 v[12:13], v[12:13], v[166:167]
	v_fma_f64 v[16:17], v[8:9], v[22:23], v[16:17]
	v_fma_f64 v[22:23], v[6:7], v[22:23], -v[24:25]
	ds_load_b128 v[6:9], v1 offset:1296
	s_waitcnt vmcnt(2) lgkmcnt(1)
	v_mul_f64 v[14:15], v[2:3], v[28:29]
	v_mul_f64 v[20:21], v[4:5], v[28:29]
	s_waitcnt vmcnt(1) lgkmcnt(0)
	v_mul_f64 v[24:25], v[8:9], v[32:33]
	v_add_f64 v[10:11], v[10:11], v[18:19]
	v_add_f64 v[12:13], v[12:13], v[38:39]
	v_mul_f64 v[18:19], v[6:7], v[32:33]
	v_fma_f64 v[4:5], v[4:5], v[26:27], v[14:15]
	v_fma_f64 v[1:2], v[2:3], v[26:27], -v[20:21]
	v_fma_f64 v[6:7], v[6:7], v[30:31], -v[24:25]
	v_add_f64 v[10:11], v[10:11], v[22:23]
	v_add_f64 v[12:13], v[12:13], v[16:17]
	v_fma_f64 v[8:9], v[8:9], v[30:31], v[18:19]
	s_delay_alu instid0(VALU_DEP_3) | instskip(NEXT) | instid1(VALU_DEP_3)
	v_add_f64 v[1:2], v[10:11], v[1:2]
	v_add_f64 v[3:4], v[12:13], v[4:5]
	s_delay_alu instid0(VALU_DEP_2) | instskip(NEXT) | instid1(VALU_DEP_2)
	v_add_f64 v[1:2], v[1:2], v[6:7]
	v_add_f64 v[3:4], v[3:4], v[8:9]
	s_waitcnt vmcnt(0)
	s_delay_alu instid0(VALU_DEP_2) | instskip(NEXT) | instid1(VALU_DEP_2)
	v_add_f64 v[1:2], v[34:35], -v[1:2]
	v_add_f64 v[3:4], v[36:37], -v[3:4]
	scratch_store_b128 off, v[1:4], off offset:192
	v_cmpx_lt_u32_e32 11, v124
	s_cbranch_execz .LBB104_237
; %bb.236:
	scratch_load_b128 v[1:4], v158, off
	v_mov_b32_e32 v5, 0
	s_delay_alu instid0(VALU_DEP_1)
	v_mov_b32_e32 v6, v5
	v_mov_b32_e32 v7, v5
	;; [unrolled: 1-line block ×3, first 2 shown]
	scratch_store_b128 off, v[5:8], off offset:176
	s_waitcnt vmcnt(0)
	ds_store_b128 v165, v[1:4]
.LBB104_237:
	s_or_b32 exec_lo, exec_lo, s2
	s_waitcnt lgkmcnt(0)
	s_waitcnt_vscnt null, 0x0
	s_barrier
	buffer_gl0_inv
	s_clause 0x7
	scratch_load_b128 v[2:5], off, off offset:192
	scratch_load_b128 v[6:9], off, off offset:208
	;; [unrolled: 1-line block ×8, first 2 shown]
	v_mov_b32_e32 v1, 0
	s_clause 0x1
	scratch_load_b128 v[34:37], off, off offset:320
	scratch_load_b128 v[170:173], off, off offset:336
	s_mov_b32 s2, exec_lo
	ds_load_b128 v[38:41], v1 offset:848
	ds_load_b128 v[166:169], v1 offset:864
	s_waitcnt vmcnt(9) lgkmcnt(1)
	v_mul_f64 v[174:175], v[40:41], v[4:5]
	v_mul_f64 v[4:5], v[38:39], v[4:5]
	s_waitcnt vmcnt(8) lgkmcnt(0)
	v_mul_f64 v[176:177], v[166:167], v[8:9]
	v_mul_f64 v[8:9], v[168:169], v[8:9]
	s_delay_alu instid0(VALU_DEP_4) | instskip(NEXT) | instid1(VALU_DEP_4)
	v_fma_f64 v[174:175], v[38:39], v[2:3], -v[174:175]
	v_fma_f64 v[178:179], v[40:41], v[2:3], v[4:5]
	ds_load_b128 v[2:5], v1 offset:880
	scratch_load_b128 v[38:41], off, off offset:352
	v_fma_f64 v[176:177], v[168:169], v[6:7], v[176:177]
	v_fma_f64 v[182:183], v[166:167], v[6:7], -v[8:9]
	scratch_load_b128 v[166:169], off, off offset:368
	ds_load_b128 v[6:9], v1 offset:896
	s_waitcnt vmcnt(9) lgkmcnt(1)
	v_mul_f64 v[180:181], v[2:3], v[12:13]
	v_mul_f64 v[12:13], v[4:5], v[12:13]
	s_waitcnt vmcnt(8) lgkmcnt(0)
	v_mul_f64 v[184:185], v[6:7], v[16:17]
	v_mul_f64 v[16:17], v[8:9], v[16:17]
	v_add_f64 v[174:175], v[174:175], 0
	v_add_f64 v[178:179], v[178:179], 0
	v_fma_f64 v[180:181], v[4:5], v[10:11], v[180:181]
	v_fma_f64 v[186:187], v[2:3], v[10:11], -v[12:13]
	ds_load_b128 v[2:5], v1 offset:912
	scratch_load_b128 v[10:13], off, off offset:384
	v_add_f64 v[174:175], v[174:175], v[182:183]
	v_add_f64 v[176:177], v[178:179], v[176:177]
	v_fma_f64 v[182:183], v[8:9], v[14:15], v[184:185]
	v_fma_f64 v[184:185], v[6:7], v[14:15], -v[16:17]
	scratch_load_b128 v[14:17], off, off offset:400
	ds_load_b128 v[6:9], v1 offset:928
	s_waitcnt vmcnt(9) lgkmcnt(1)
	v_mul_f64 v[178:179], v[2:3], v[20:21]
	v_mul_f64 v[20:21], v[4:5], v[20:21]
	v_add_f64 v[174:175], v[174:175], v[186:187]
	v_add_f64 v[176:177], v[176:177], v[180:181]
	s_waitcnt vmcnt(8) lgkmcnt(0)
	v_mul_f64 v[180:181], v[6:7], v[24:25]
	v_mul_f64 v[24:25], v[8:9], v[24:25]
	v_fma_f64 v[178:179], v[4:5], v[18:19], v[178:179]
	v_fma_f64 v[186:187], v[2:3], v[18:19], -v[20:21]
	ds_load_b128 v[2:5], v1 offset:944
	scratch_load_b128 v[18:21], off, off offset:416
	v_add_f64 v[174:175], v[174:175], v[184:185]
	v_add_f64 v[176:177], v[176:177], v[182:183]
	v_fma_f64 v[180:181], v[8:9], v[22:23], v[180:181]
	v_fma_f64 v[184:185], v[6:7], v[22:23], -v[24:25]
	scratch_load_b128 v[22:25], off, off offset:432
	ds_load_b128 v[6:9], v1 offset:960
	s_waitcnt vmcnt(9) lgkmcnt(1)
	v_mul_f64 v[182:183], v[2:3], v[28:29]
	v_mul_f64 v[28:29], v[4:5], v[28:29]
	v_add_f64 v[174:175], v[174:175], v[186:187]
	v_add_f64 v[176:177], v[176:177], v[178:179]
	s_waitcnt vmcnt(8) lgkmcnt(0)
	v_mul_f64 v[178:179], v[6:7], v[32:33]
	v_mul_f64 v[32:33], v[8:9], v[32:33]
	;; [unrolled: 18-line block ×5, first 2 shown]
	v_fma_f64 v[182:183], v[4:5], v[10:11], v[182:183]
	v_fma_f64 v[186:187], v[2:3], v[10:11], -v[12:13]
	ds_load_b128 v[2:5], v1 offset:1072
	scratch_load_b128 v[10:13], off, off offset:544
	v_add_f64 v[174:175], v[174:175], v[184:185]
	v_add_f64 v[176:177], v[176:177], v[180:181]
	v_fma_f64 v[178:179], v[8:9], v[14:15], v[178:179]
	v_fma_f64 v[184:185], v[6:7], v[14:15], -v[16:17]
	ds_load_b128 v[6:9], v1 offset:1088
	s_waitcnt vmcnt(8) lgkmcnt(1)
	v_mul_f64 v[180:181], v[2:3], v[20:21]
	v_mul_f64 v[20:21], v[4:5], v[20:21]
	scratch_load_b128 v[14:17], off, off offset:560
	v_add_f64 v[174:175], v[174:175], v[186:187]
	v_add_f64 v[176:177], v[176:177], v[182:183]
	s_waitcnt vmcnt(8) lgkmcnt(0)
	v_mul_f64 v[182:183], v[6:7], v[24:25]
	v_mul_f64 v[24:25], v[8:9], v[24:25]
	v_fma_f64 v[180:181], v[4:5], v[18:19], v[180:181]
	v_fma_f64 v[186:187], v[2:3], v[18:19], -v[20:21]
	scratch_load_b128 v[18:21], off, off offset:576
	ds_load_b128 v[2:5], v1 offset:1104
	v_add_f64 v[174:175], v[174:175], v[184:185]
	v_add_f64 v[176:177], v[176:177], v[178:179]
	v_fma_f64 v[182:183], v[8:9], v[22:23], v[182:183]
	v_fma_f64 v[184:185], v[6:7], v[22:23], -v[24:25]
	ds_load_b128 v[6:9], v1 offset:1120
	s_waitcnt vmcnt(8) lgkmcnt(1)
	v_mul_f64 v[178:179], v[2:3], v[28:29]
	v_mul_f64 v[28:29], v[4:5], v[28:29]
	scratch_load_b128 v[22:25], off, off offset:592
	v_add_f64 v[174:175], v[174:175], v[186:187]
	v_add_f64 v[176:177], v[176:177], v[180:181]
	s_waitcnt vmcnt(8) lgkmcnt(0)
	v_mul_f64 v[180:181], v[6:7], v[32:33]
	v_mul_f64 v[32:33], v[8:9], v[32:33]
	v_fma_f64 v[178:179], v[4:5], v[26:27], v[178:179]
	v_fma_f64 v[186:187], v[2:3], v[26:27], -v[28:29]
	scratch_load_b128 v[26:29], off, off offset:608
	ds_load_b128 v[2:5], v1 offset:1136
	;; [unrolled: 18-line block ×3, first 2 shown]
	v_add_f64 v[174:175], v[174:175], v[184:185]
	v_add_f64 v[176:177], v[176:177], v[180:181]
	v_fma_f64 v[178:179], v[8:9], v[170:171], v[178:179]
	v_fma_f64 v[170:171], v[6:7], v[170:171], -v[172:173]
	ds_load_b128 v[6:9], v1 offset:1184
	s_waitcnt vmcnt(8) lgkmcnt(1)
	v_mul_f64 v[180:181], v[2:3], v[40:41]
	v_mul_f64 v[40:41], v[4:5], v[40:41]
	v_add_f64 v[172:173], v[174:175], v[186:187]
	v_add_f64 v[174:175], v[176:177], v[182:183]
	s_waitcnt vmcnt(7) lgkmcnt(0)
	v_mul_f64 v[176:177], v[6:7], v[168:169]
	v_mul_f64 v[168:169], v[8:9], v[168:169]
	v_fma_f64 v[180:181], v[4:5], v[38:39], v[180:181]
	v_fma_f64 v[38:39], v[2:3], v[38:39], -v[40:41]
	ds_load_b128 v[2:5], v1 offset:1200
	v_add_f64 v[40:41], v[172:173], v[170:171]
	v_add_f64 v[170:171], v[174:175], v[178:179]
	v_fma_f64 v[174:175], v[8:9], v[166:167], v[176:177]
	v_fma_f64 v[166:167], v[6:7], v[166:167], -v[168:169]
	ds_load_b128 v[6:9], v1 offset:1216
	s_waitcnt vmcnt(5) lgkmcnt(0)
	v_mul_f64 v[176:177], v[6:7], v[16:17]
	v_mul_f64 v[16:17], v[8:9], v[16:17]
	v_add_f64 v[168:169], v[40:41], v[38:39]
	v_add_f64 v[170:171], v[170:171], v[180:181]
	scratch_load_b128 v[38:41], off, off offset:176
	v_mul_f64 v[172:173], v[2:3], v[12:13]
	v_mul_f64 v[12:13], v[4:5], v[12:13]
	s_delay_alu instid0(VALU_DEP_2) | instskip(NEXT) | instid1(VALU_DEP_2)
	v_fma_f64 v[172:173], v[4:5], v[10:11], v[172:173]
	v_fma_f64 v[10:11], v[2:3], v[10:11], -v[12:13]
	v_add_f64 v[12:13], v[168:169], v[166:167]
	v_add_f64 v[166:167], v[170:171], v[174:175]
	ds_load_b128 v[2:5], v1 offset:1232
	v_fma_f64 v[170:171], v[8:9], v[14:15], v[176:177]
	v_fma_f64 v[14:15], v[6:7], v[14:15], -v[16:17]
	ds_load_b128 v[6:9], v1 offset:1248
	s_waitcnt vmcnt(5) lgkmcnt(1)
	v_mul_f64 v[168:169], v[2:3], v[20:21]
	v_mul_f64 v[20:21], v[4:5], v[20:21]
	s_waitcnt vmcnt(4) lgkmcnt(0)
	v_mul_f64 v[16:17], v[6:7], v[24:25]
	v_mul_f64 v[24:25], v[8:9], v[24:25]
	v_add_f64 v[10:11], v[12:13], v[10:11]
	v_add_f64 v[12:13], v[166:167], v[172:173]
	v_fma_f64 v[166:167], v[4:5], v[18:19], v[168:169]
	v_fma_f64 v[18:19], v[2:3], v[18:19], -v[20:21]
	ds_load_b128 v[2:5], v1 offset:1264
	v_fma_f64 v[16:17], v[8:9], v[22:23], v[16:17]
	v_fma_f64 v[22:23], v[6:7], v[22:23], -v[24:25]
	ds_load_b128 v[6:9], v1 offset:1280
	v_add_f64 v[10:11], v[10:11], v[14:15]
	v_add_f64 v[12:13], v[12:13], v[170:171]
	s_waitcnt vmcnt(3) lgkmcnt(1)
	v_mul_f64 v[14:15], v[2:3], v[28:29]
	v_mul_f64 v[20:21], v[4:5], v[28:29]
	s_waitcnt vmcnt(2) lgkmcnt(0)
	v_mul_f64 v[24:25], v[8:9], v[32:33]
	v_add_f64 v[10:11], v[10:11], v[18:19]
	v_add_f64 v[12:13], v[12:13], v[166:167]
	v_mul_f64 v[18:19], v[6:7], v[32:33]
	v_fma_f64 v[14:15], v[4:5], v[26:27], v[14:15]
	v_fma_f64 v[20:21], v[2:3], v[26:27], -v[20:21]
	ds_load_b128 v[2:5], v1 offset:1296
	v_fma_f64 v[6:7], v[6:7], v[30:31], -v[24:25]
	v_add_f64 v[10:11], v[10:11], v[22:23]
	v_add_f64 v[12:13], v[12:13], v[16:17]
	s_waitcnt vmcnt(1) lgkmcnt(0)
	v_mul_f64 v[16:17], v[2:3], v[36:37]
	v_mul_f64 v[22:23], v[4:5], v[36:37]
	v_fma_f64 v[8:9], v[8:9], v[30:31], v[18:19]
	v_add_f64 v[10:11], v[10:11], v[20:21]
	v_add_f64 v[12:13], v[12:13], v[14:15]
	v_fma_f64 v[4:5], v[4:5], v[34:35], v[16:17]
	v_fma_f64 v[2:3], v[2:3], v[34:35], -v[22:23]
	s_delay_alu instid0(VALU_DEP_4) | instskip(NEXT) | instid1(VALU_DEP_4)
	v_add_f64 v[6:7], v[10:11], v[6:7]
	v_add_f64 v[8:9], v[12:13], v[8:9]
	s_delay_alu instid0(VALU_DEP_2) | instskip(NEXT) | instid1(VALU_DEP_2)
	v_add_f64 v[2:3], v[6:7], v[2:3]
	v_add_f64 v[4:5], v[8:9], v[4:5]
	s_waitcnt vmcnt(0)
	s_delay_alu instid0(VALU_DEP_2) | instskip(NEXT) | instid1(VALU_DEP_2)
	v_add_f64 v[2:3], v[38:39], -v[2:3]
	v_add_f64 v[4:5], v[40:41], -v[4:5]
	scratch_store_b128 off, v[2:5], off offset:176
	v_cmpx_lt_u32_e32 10, v124
	s_cbranch_execz .LBB104_239
; %bb.238:
	scratch_load_b128 v[5:8], v159, off
	v_mov_b32_e32 v2, v1
	v_mov_b32_e32 v3, v1
	v_mov_b32_e32 v4, v1
	scratch_store_b128 off, v[1:4], off offset:160
	s_waitcnt vmcnt(0)
	ds_store_b128 v165, v[5:8]
.LBB104_239:
	s_or_b32 exec_lo, exec_lo, s2
	s_waitcnt lgkmcnt(0)
	s_waitcnt_vscnt null, 0x0
	s_barrier
	buffer_gl0_inv
	s_clause 0x7
	scratch_load_b128 v[2:5], off, off offset:176
	scratch_load_b128 v[6:9], off, off offset:192
	;; [unrolled: 1-line block ×8, first 2 shown]
	ds_load_b128 v[38:41], v1 offset:832
	ds_load_b128 v[166:169], v1 offset:848
	s_clause 0x1
	scratch_load_b128 v[34:37], off, off offset:304
	scratch_load_b128 v[170:173], off, off offset:320
	s_mov_b32 s2, exec_lo
	s_waitcnt vmcnt(9) lgkmcnt(1)
	v_mul_f64 v[174:175], v[40:41], v[4:5]
	v_mul_f64 v[4:5], v[38:39], v[4:5]
	s_waitcnt vmcnt(8) lgkmcnt(0)
	v_mul_f64 v[176:177], v[166:167], v[8:9]
	v_mul_f64 v[8:9], v[168:169], v[8:9]
	s_delay_alu instid0(VALU_DEP_4) | instskip(NEXT) | instid1(VALU_DEP_4)
	v_fma_f64 v[174:175], v[38:39], v[2:3], -v[174:175]
	v_fma_f64 v[178:179], v[40:41], v[2:3], v[4:5]
	ds_load_b128 v[2:5], v1 offset:864
	scratch_load_b128 v[38:41], off, off offset:336
	v_fma_f64 v[176:177], v[168:169], v[6:7], v[176:177]
	v_fma_f64 v[182:183], v[166:167], v[6:7], -v[8:9]
	scratch_load_b128 v[166:169], off, off offset:352
	ds_load_b128 v[6:9], v1 offset:880
	s_waitcnt vmcnt(9) lgkmcnt(1)
	v_mul_f64 v[180:181], v[2:3], v[12:13]
	v_mul_f64 v[12:13], v[4:5], v[12:13]
	s_waitcnt vmcnt(8) lgkmcnt(0)
	v_mul_f64 v[184:185], v[6:7], v[16:17]
	v_mul_f64 v[16:17], v[8:9], v[16:17]
	v_add_f64 v[174:175], v[174:175], 0
	v_add_f64 v[178:179], v[178:179], 0
	v_fma_f64 v[180:181], v[4:5], v[10:11], v[180:181]
	v_fma_f64 v[186:187], v[2:3], v[10:11], -v[12:13]
	scratch_load_b128 v[10:13], off, off offset:368
	ds_load_b128 v[2:5], v1 offset:896
	v_add_f64 v[174:175], v[174:175], v[182:183]
	v_add_f64 v[176:177], v[178:179], v[176:177]
	v_fma_f64 v[182:183], v[8:9], v[14:15], v[184:185]
	v_fma_f64 v[184:185], v[6:7], v[14:15], -v[16:17]
	ds_load_b128 v[6:9], v1 offset:912
	scratch_load_b128 v[14:17], off, off offset:384
	s_waitcnt vmcnt(9) lgkmcnt(1)
	v_mul_f64 v[178:179], v[2:3], v[20:21]
	v_mul_f64 v[20:21], v[4:5], v[20:21]
	v_add_f64 v[174:175], v[174:175], v[186:187]
	v_add_f64 v[176:177], v[176:177], v[180:181]
	s_waitcnt vmcnt(8) lgkmcnt(0)
	v_mul_f64 v[180:181], v[6:7], v[24:25]
	v_mul_f64 v[24:25], v[8:9], v[24:25]
	v_fma_f64 v[178:179], v[4:5], v[18:19], v[178:179]
	v_fma_f64 v[186:187], v[2:3], v[18:19], -v[20:21]
	ds_load_b128 v[2:5], v1 offset:928
	scratch_load_b128 v[18:21], off, off offset:400
	v_add_f64 v[174:175], v[174:175], v[184:185]
	v_add_f64 v[176:177], v[176:177], v[182:183]
	v_fma_f64 v[180:181], v[8:9], v[22:23], v[180:181]
	v_fma_f64 v[184:185], v[6:7], v[22:23], -v[24:25]
	scratch_load_b128 v[22:25], off, off offset:416
	ds_load_b128 v[6:9], v1 offset:944
	s_waitcnt vmcnt(9) lgkmcnt(1)
	v_mul_f64 v[182:183], v[2:3], v[28:29]
	v_mul_f64 v[28:29], v[4:5], v[28:29]
	v_add_f64 v[174:175], v[174:175], v[186:187]
	v_add_f64 v[176:177], v[176:177], v[178:179]
	s_waitcnt vmcnt(8) lgkmcnt(0)
	v_mul_f64 v[178:179], v[6:7], v[32:33]
	v_mul_f64 v[32:33], v[8:9], v[32:33]
	v_fma_f64 v[182:183], v[4:5], v[26:27], v[182:183]
	v_fma_f64 v[186:187], v[2:3], v[26:27], -v[28:29]
	ds_load_b128 v[2:5], v1 offset:960
	scratch_load_b128 v[26:29], off, off offset:432
	v_add_f64 v[174:175], v[174:175], v[184:185]
	v_add_f64 v[176:177], v[176:177], v[180:181]
	v_fma_f64 v[178:179], v[8:9], v[30:31], v[178:179]
	v_fma_f64 v[184:185], v[6:7], v[30:31], -v[32:33]
	scratch_load_b128 v[30:33], off, off offset:448
	ds_load_b128 v[6:9], v1 offset:976
	;; [unrolled: 18-line block ×3, first 2 shown]
	s_waitcnt vmcnt(9) lgkmcnt(1)
	v_mul_f64 v[178:179], v[2:3], v[40:41]
	v_mul_f64 v[40:41], v[4:5], v[40:41]
	v_add_f64 v[174:175], v[174:175], v[186:187]
	v_add_f64 v[176:177], v[176:177], v[180:181]
	s_waitcnt vmcnt(8) lgkmcnt(0)
	v_mul_f64 v[180:181], v[6:7], v[168:169]
	v_mul_f64 v[168:169], v[8:9], v[168:169]
	v_fma_f64 v[178:179], v[4:5], v[38:39], v[178:179]
	v_fma_f64 v[186:187], v[2:3], v[38:39], -v[40:41]
	ds_load_b128 v[2:5], v1 offset:1024
	scratch_load_b128 v[38:41], off, off offset:496
	v_add_f64 v[174:175], v[174:175], v[184:185]
	v_add_f64 v[176:177], v[176:177], v[182:183]
	v_fma_f64 v[180:181], v[8:9], v[166:167], v[180:181]
	v_fma_f64 v[184:185], v[6:7], v[166:167], -v[168:169]
	ds_load_b128 v[6:9], v1 offset:1040
	s_waitcnt vmcnt(8) lgkmcnt(1)
	v_mul_f64 v[182:183], v[2:3], v[12:13]
	v_mul_f64 v[12:13], v[4:5], v[12:13]
	scratch_load_b128 v[166:169], off, off offset:512
	v_add_f64 v[174:175], v[174:175], v[186:187]
	v_add_f64 v[176:177], v[176:177], v[178:179]
	s_waitcnt vmcnt(8) lgkmcnt(0)
	v_mul_f64 v[178:179], v[6:7], v[16:17]
	v_mul_f64 v[16:17], v[8:9], v[16:17]
	v_fma_f64 v[182:183], v[4:5], v[10:11], v[182:183]
	v_fma_f64 v[186:187], v[2:3], v[10:11], -v[12:13]
	scratch_load_b128 v[10:13], off, off offset:528
	ds_load_b128 v[2:5], v1 offset:1056
	v_add_f64 v[174:175], v[174:175], v[184:185]
	v_add_f64 v[176:177], v[176:177], v[180:181]
	v_fma_f64 v[178:179], v[8:9], v[14:15], v[178:179]
	v_fma_f64 v[184:185], v[6:7], v[14:15], -v[16:17]
	ds_load_b128 v[6:9], v1 offset:1072
	s_waitcnt vmcnt(8) lgkmcnt(1)
	v_mul_f64 v[180:181], v[2:3], v[20:21]
	v_mul_f64 v[20:21], v[4:5], v[20:21]
	scratch_load_b128 v[14:17], off, off offset:544
	v_add_f64 v[174:175], v[174:175], v[186:187]
	v_add_f64 v[176:177], v[176:177], v[182:183]
	s_waitcnt vmcnt(8) lgkmcnt(0)
	v_mul_f64 v[182:183], v[6:7], v[24:25]
	v_mul_f64 v[24:25], v[8:9], v[24:25]
	v_fma_f64 v[180:181], v[4:5], v[18:19], v[180:181]
	v_fma_f64 v[186:187], v[2:3], v[18:19], -v[20:21]
	scratch_load_b128 v[18:21], off, off offset:560
	ds_load_b128 v[2:5], v1 offset:1088
	;; [unrolled: 18-line block ×4, first 2 shown]
	v_add_f64 v[174:175], v[174:175], v[184:185]
	v_add_f64 v[176:177], v[176:177], v[180:181]
	v_fma_f64 v[178:179], v[8:9], v[170:171], v[178:179]
	v_fma_f64 v[184:185], v[6:7], v[170:171], -v[172:173]
	ds_load_b128 v[6:9], v1 offset:1168
	s_waitcnt vmcnt(8) lgkmcnt(1)
	v_mul_f64 v[180:181], v[2:3], v[40:41]
	v_mul_f64 v[40:41], v[4:5], v[40:41]
	scratch_load_b128 v[170:173], off, off offset:640
	v_add_f64 v[174:175], v[174:175], v[186:187]
	v_add_f64 v[176:177], v[176:177], v[182:183]
	v_fma_f64 v[180:181], v[4:5], v[38:39], v[180:181]
	v_fma_f64 v[38:39], v[2:3], v[38:39], -v[40:41]
	ds_load_b128 v[2:5], v1 offset:1184
	v_add_f64 v[40:41], v[174:175], v[184:185]
	v_add_f64 v[174:175], v[176:177], v[178:179]
	s_waitcnt vmcnt(7) lgkmcnt(0)
	v_mul_f64 v[176:177], v[2:3], v[12:13]
	v_mul_f64 v[12:13], v[4:5], v[12:13]
	s_delay_alu instid0(VALU_DEP_4) | instskip(NEXT) | instid1(VALU_DEP_4)
	v_add_f64 v[38:39], v[40:41], v[38:39]
	v_add_f64 v[40:41], v[174:175], v[180:181]
	s_delay_alu instid0(VALU_DEP_4) | instskip(NEXT) | instid1(VALU_DEP_4)
	v_fma_f64 v[174:175], v[4:5], v[10:11], v[176:177]
	v_fma_f64 v[176:177], v[2:3], v[10:11], -v[12:13]
	scratch_load_b128 v[10:13], off, off offset:160
	v_mul_f64 v[182:183], v[6:7], v[168:169]
	v_mul_f64 v[168:169], v[8:9], v[168:169]
	ds_load_b128 v[2:5], v1 offset:1216
	v_fma_f64 v[178:179], v[8:9], v[166:167], v[182:183]
	v_fma_f64 v[166:167], v[6:7], v[166:167], -v[168:169]
	ds_load_b128 v[6:9], v1 offset:1200
	s_waitcnt vmcnt(7) lgkmcnt(0)
	v_mul_f64 v[168:169], v[6:7], v[16:17]
	v_mul_f64 v[16:17], v[8:9], v[16:17]
	v_add_f64 v[40:41], v[40:41], v[178:179]
	v_add_f64 v[38:39], v[38:39], v[166:167]
	s_waitcnt vmcnt(6)
	v_mul_f64 v[166:167], v[2:3], v[20:21]
	v_mul_f64 v[20:21], v[4:5], v[20:21]
	v_fma_f64 v[168:169], v[8:9], v[14:15], v[168:169]
	v_fma_f64 v[14:15], v[6:7], v[14:15], -v[16:17]
	ds_load_b128 v[6:9], v1 offset:1232
	v_add_f64 v[16:17], v[38:39], v[176:177]
	v_add_f64 v[38:39], v[40:41], v[174:175]
	v_fma_f64 v[166:167], v[4:5], v[18:19], v[166:167]
	v_fma_f64 v[18:19], v[2:3], v[18:19], -v[20:21]
	ds_load_b128 v[2:5], v1 offset:1248
	s_waitcnt vmcnt(5) lgkmcnt(1)
	v_mul_f64 v[40:41], v[6:7], v[24:25]
	v_mul_f64 v[24:25], v[8:9], v[24:25]
	s_waitcnt vmcnt(4) lgkmcnt(0)
	v_mul_f64 v[20:21], v[2:3], v[28:29]
	v_mul_f64 v[28:29], v[4:5], v[28:29]
	v_add_f64 v[14:15], v[16:17], v[14:15]
	v_add_f64 v[16:17], v[38:39], v[168:169]
	v_fma_f64 v[38:39], v[8:9], v[22:23], v[40:41]
	v_fma_f64 v[22:23], v[6:7], v[22:23], -v[24:25]
	ds_load_b128 v[6:9], v1 offset:1264
	v_fma_f64 v[20:21], v[4:5], v[26:27], v[20:21]
	v_fma_f64 v[26:27], v[2:3], v[26:27], -v[28:29]
	ds_load_b128 v[2:5], v1 offset:1280
	s_waitcnt vmcnt(3) lgkmcnt(1)
	v_mul_f64 v[24:25], v[8:9], v[32:33]
	v_add_f64 v[14:15], v[14:15], v[18:19]
	v_add_f64 v[16:17], v[16:17], v[166:167]
	v_mul_f64 v[18:19], v[6:7], v[32:33]
	s_waitcnt vmcnt(2) lgkmcnt(0)
	v_mul_f64 v[28:29], v[4:5], v[36:37]
	v_fma_f64 v[24:25], v[6:7], v[30:31], -v[24:25]
	v_add_f64 v[14:15], v[14:15], v[22:23]
	v_add_f64 v[16:17], v[16:17], v[38:39]
	v_mul_f64 v[22:23], v[2:3], v[36:37]
	v_fma_f64 v[18:19], v[8:9], v[30:31], v[18:19]
	ds_load_b128 v[6:9], v1 offset:1296
	v_fma_f64 v[1:2], v[2:3], v[34:35], -v[28:29]
	v_add_f64 v[14:15], v[14:15], v[26:27]
	v_add_f64 v[16:17], v[16:17], v[20:21]
	s_waitcnt vmcnt(1) lgkmcnt(0)
	v_mul_f64 v[20:21], v[6:7], v[172:173]
	v_mul_f64 v[26:27], v[8:9], v[172:173]
	v_fma_f64 v[4:5], v[4:5], v[34:35], v[22:23]
	v_add_f64 v[14:15], v[14:15], v[24:25]
	v_add_f64 v[16:17], v[16:17], v[18:19]
	v_fma_f64 v[8:9], v[8:9], v[170:171], v[20:21]
	v_fma_f64 v[6:7], v[6:7], v[170:171], -v[26:27]
	s_delay_alu instid0(VALU_DEP_4) | instskip(NEXT) | instid1(VALU_DEP_4)
	v_add_f64 v[1:2], v[14:15], v[1:2]
	v_add_f64 v[3:4], v[16:17], v[4:5]
	s_delay_alu instid0(VALU_DEP_2) | instskip(NEXT) | instid1(VALU_DEP_2)
	v_add_f64 v[1:2], v[1:2], v[6:7]
	v_add_f64 v[3:4], v[3:4], v[8:9]
	s_waitcnt vmcnt(0)
	s_delay_alu instid0(VALU_DEP_2) | instskip(NEXT) | instid1(VALU_DEP_2)
	v_add_f64 v[1:2], v[10:11], -v[1:2]
	v_add_f64 v[3:4], v[12:13], -v[3:4]
	scratch_store_b128 off, v[1:4], off offset:160
	v_cmpx_lt_u32_e32 9, v124
	s_cbranch_execz .LBB104_241
; %bb.240:
	scratch_load_b128 v[1:4], v161, off
	v_mov_b32_e32 v5, 0
	s_delay_alu instid0(VALU_DEP_1)
	v_mov_b32_e32 v6, v5
	v_mov_b32_e32 v7, v5
	;; [unrolled: 1-line block ×3, first 2 shown]
	scratch_store_b128 off, v[5:8], off offset:144
	s_waitcnt vmcnt(0)
	ds_store_b128 v165, v[1:4]
.LBB104_241:
	s_or_b32 exec_lo, exec_lo, s2
	s_waitcnt lgkmcnt(0)
	s_waitcnt_vscnt null, 0x0
	s_barrier
	buffer_gl0_inv
	s_clause 0x7
	scratch_load_b128 v[2:5], off, off offset:160
	scratch_load_b128 v[6:9], off, off offset:176
	;; [unrolled: 1-line block ×8, first 2 shown]
	v_mov_b32_e32 v1, 0
	s_clause 0x1
	scratch_load_b128 v[34:37], off, off offset:288
	scratch_load_b128 v[170:173], off, off offset:304
	s_mov_b32 s2, exec_lo
	ds_load_b128 v[38:41], v1 offset:816
	ds_load_b128 v[166:169], v1 offset:832
	s_waitcnt vmcnt(9) lgkmcnt(1)
	v_mul_f64 v[174:175], v[40:41], v[4:5]
	v_mul_f64 v[4:5], v[38:39], v[4:5]
	s_waitcnt vmcnt(8) lgkmcnt(0)
	v_mul_f64 v[176:177], v[166:167], v[8:9]
	v_mul_f64 v[8:9], v[168:169], v[8:9]
	s_delay_alu instid0(VALU_DEP_4) | instskip(NEXT) | instid1(VALU_DEP_4)
	v_fma_f64 v[174:175], v[38:39], v[2:3], -v[174:175]
	v_fma_f64 v[178:179], v[40:41], v[2:3], v[4:5]
	ds_load_b128 v[2:5], v1 offset:848
	scratch_load_b128 v[38:41], off, off offset:320
	v_fma_f64 v[176:177], v[168:169], v[6:7], v[176:177]
	v_fma_f64 v[182:183], v[166:167], v[6:7], -v[8:9]
	scratch_load_b128 v[166:169], off, off offset:336
	ds_load_b128 v[6:9], v1 offset:864
	s_waitcnt vmcnt(9) lgkmcnt(1)
	v_mul_f64 v[180:181], v[2:3], v[12:13]
	v_mul_f64 v[12:13], v[4:5], v[12:13]
	s_waitcnt vmcnt(8) lgkmcnt(0)
	v_mul_f64 v[184:185], v[6:7], v[16:17]
	v_mul_f64 v[16:17], v[8:9], v[16:17]
	v_add_f64 v[174:175], v[174:175], 0
	v_add_f64 v[178:179], v[178:179], 0
	v_fma_f64 v[180:181], v[4:5], v[10:11], v[180:181]
	v_fma_f64 v[186:187], v[2:3], v[10:11], -v[12:13]
	ds_load_b128 v[2:5], v1 offset:880
	scratch_load_b128 v[10:13], off, off offset:352
	v_add_f64 v[174:175], v[174:175], v[182:183]
	v_add_f64 v[176:177], v[178:179], v[176:177]
	v_fma_f64 v[182:183], v[8:9], v[14:15], v[184:185]
	v_fma_f64 v[184:185], v[6:7], v[14:15], -v[16:17]
	scratch_load_b128 v[14:17], off, off offset:368
	ds_load_b128 v[6:9], v1 offset:896
	s_waitcnt vmcnt(9) lgkmcnt(1)
	v_mul_f64 v[178:179], v[2:3], v[20:21]
	v_mul_f64 v[20:21], v[4:5], v[20:21]
	v_add_f64 v[174:175], v[174:175], v[186:187]
	v_add_f64 v[176:177], v[176:177], v[180:181]
	s_waitcnt vmcnt(8) lgkmcnt(0)
	v_mul_f64 v[180:181], v[6:7], v[24:25]
	v_mul_f64 v[24:25], v[8:9], v[24:25]
	v_fma_f64 v[178:179], v[4:5], v[18:19], v[178:179]
	v_fma_f64 v[186:187], v[2:3], v[18:19], -v[20:21]
	ds_load_b128 v[2:5], v1 offset:912
	scratch_load_b128 v[18:21], off, off offset:384
	v_add_f64 v[174:175], v[174:175], v[184:185]
	v_add_f64 v[176:177], v[176:177], v[182:183]
	v_fma_f64 v[180:181], v[8:9], v[22:23], v[180:181]
	v_fma_f64 v[184:185], v[6:7], v[22:23], -v[24:25]
	scratch_load_b128 v[22:25], off, off offset:400
	ds_load_b128 v[6:9], v1 offset:928
	s_waitcnt vmcnt(9) lgkmcnt(1)
	v_mul_f64 v[182:183], v[2:3], v[28:29]
	v_mul_f64 v[28:29], v[4:5], v[28:29]
	v_add_f64 v[174:175], v[174:175], v[186:187]
	v_add_f64 v[176:177], v[176:177], v[178:179]
	s_waitcnt vmcnt(8) lgkmcnt(0)
	v_mul_f64 v[178:179], v[6:7], v[32:33]
	v_mul_f64 v[32:33], v[8:9], v[32:33]
	;; [unrolled: 18-line block ×6, first 2 shown]
	v_fma_f64 v[180:181], v[4:5], v[18:19], v[180:181]
	v_fma_f64 v[186:187], v[2:3], v[18:19], -v[20:21]
	ds_load_b128 v[2:5], v1 offset:1072
	scratch_load_b128 v[18:21], off, off offset:544
	v_add_f64 v[174:175], v[174:175], v[184:185]
	v_add_f64 v[176:177], v[176:177], v[178:179]
	v_fma_f64 v[182:183], v[8:9], v[22:23], v[182:183]
	v_fma_f64 v[184:185], v[6:7], v[22:23], -v[24:25]
	ds_load_b128 v[6:9], v1 offset:1088
	s_waitcnt vmcnt(8) lgkmcnt(1)
	v_mul_f64 v[178:179], v[2:3], v[28:29]
	v_mul_f64 v[28:29], v[4:5], v[28:29]
	scratch_load_b128 v[22:25], off, off offset:560
	v_add_f64 v[174:175], v[174:175], v[186:187]
	v_add_f64 v[176:177], v[176:177], v[180:181]
	s_waitcnt vmcnt(8) lgkmcnt(0)
	v_mul_f64 v[180:181], v[6:7], v[32:33]
	v_mul_f64 v[32:33], v[8:9], v[32:33]
	v_fma_f64 v[178:179], v[4:5], v[26:27], v[178:179]
	v_fma_f64 v[186:187], v[2:3], v[26:27], -v[28:29]
	scratch_load_b128 v[26:29], off, off offset:576
	ds_load_b128 v[2:5], v1 offset:1104
	v_add_f64 v[174:175], v[174:175], v[184:185]
	v_add_f64 v[176:177], v[176:177], v[182:183]
	v_fma_f64 v[180:181], v[8:9], v[30:31], v[180:181]
	v_fma_f64 v[184:185], v[6:7], v[30:31], -v[32:33]
	ds_load_b128 v[6:9], v1 offset:1120
	s_waitcnt vmcnt(8) lgkmcnt(1)
	v_mul_f64 v[182:183], v[2:3], v[36:37]
	v_mul_f64 v[36:37], v[4:5], v[36:37]
	scratch_load_b128 v[30:33], off, off offset:592
	v_add_f64 v[174:175], v[174:175], v[186:187]
	v_add_f64 v[176:177], v[176:177], v[178:179]
	s_waitcnt vmcnt(8) lgkmcnt(0)
	v_mul_f64 v[178:179], v[6:7], v[172:173]
	v_mul_f64 v[172:173], v[8:9], v[172:173]
	v_fma_f64 v[182:183], v[4:5], v[34:35], v[182:183]
	v_fma_f64 v[186:187], v[2:3], v[34:35], -v[36:37]
	scratch_load_b128 v[34:37], off, off offset:608
	ds_load_b128 v[2:5], v1 offset:1136
	;; [unrolled: 18-line block ×3, first 2 shown]
	v_add_f64 v[174:175], v[174:175], v[184:185]
	v_add_f64 v[176:177], v[176:177], v[178:179]
	v_fma_f64 v[182:183], v[8:9], v[166:167], v[182:183]
	v_fma_f64 v[166:167], v[6:7], v[166:167], -v[168:169]
	ds_load_b128 v[6:9], v1 offset:1184
	s_waitcnt vmcnt(8) lgkmcnt(1)
	v_mul_f64 v[178:179], v[2:3], v[12:13]
	v_mul_f64 v[12:13], v[4:5], v[12:13]
	v_add_f64 v[168:169], v[174:175], v[186:187]
	v_add_f64 v[174:175], v[176:177], v[180:181]
	s_waitcnt vmcnt(7) lgkmcnt(0)
	v_mul_f64 v[176:177], v[6:7], v[16:17]
	v_mul_f64 v[16:17], v[8:9], v[16:17]
	v_fma_f64 v[178:179], v[4:5], v[10:11], v[178:179]
	v_fma_f64 v[10:11], v[2:3], v[10:11], -v[12:13]
	ds_load_b128 v[2:5], v1 offset:1200
	v_add_f64 v[12:13], v[168:169], v[166:167]
	v_add_f64 v[166:167], v[174:175], v[182:183]
	v_fma_f64 v[174:175], v[8:9], v[14:15], v[176:177]
	v_fma_f64 v[14:15], v[6:7], v[14:15], -v[16:17]
	ds_load_b128 v[6:9], v1 offset:1216
	s_waitcnt vmcnt(5) lgkmcnt(0)
	v_mul_f64 v[176:177], v[6:7], v[24:25]
	v_mul_f64 v[24:25], v[8:9], v[24:25]
	v_add_f64 v[16:17], v[12:13], v[10:11]
	v_add_f64 v[166:167], v[166:167], v[178:179]
	scratch_load_b128 v[10:13], off, off offset:144
	v_mul_f64 v[168:169], v[2:3], v[20:21]
	v_mul_f64 v[20:21], v[4:5], v[20:21]
	v_add_f64 v[14:15], v[16:17], v[14:15]
	v_add_f64 v[16:17], v[166:167], v[174:175]
	v_fma_f64 v[166:167], v[8:9], v[22:23], v[176:177]
	v_fma_f64 v[168:169], v[4:5], v[18:19], v[168:169]
	v_fma_f64 v[18:19], v[2:3], v[18:19], -v[20:21]
	ds_load_b128 v[2:5], v1 offset:1232
	v_fma_f64 v[22:23], v[6:7], v[22:23], -v[24:25]
	ds_load_b128 v[6:9], v1 offset:1248
	s_waitcnt vmcnt(5) lgkmcnt(1)
	v_mul_f64 v[20:21], v[2:3], v[28:29]
	v_mul_f64 v[28:29], v[4:5], v[28:29]
	s_waitcnt vmcnt(4) lgkmcnt(0)
	v_mul_f64 v[24:25], v[8:9], v[32:33]
	v_add_f64 v[16:17], v[16:17], v[168:169]
	v_add_f64 v[14:15], v[14:15], v[18:19]
	v_mul_f64 v[18:19], v[6:7], v[32:33]
	v_fma_f64 v[20:21], v[4:5], v[26:27], v[20:21]
	v_fma_f64 v[26:27], v[2:3], v[26:27], -v[28:29]
	ds_load_b128 v[2:5], v1 offset:1264
	v_fma_f64 v[24:25], v[6:7], v[30:31], -v[24:25]
	v_add_f64 v[16:17], v[16:17], v[166:167]
	v_add_f64 v[14:15], v[14:15], v[22:23]
	v_fma_f64 v[18:19], v[8:9], v[30:31], v[18:19]
	ds_load_b128 v[6:9], v1 offset:1280
	s_waitcnt vmcnt(3) lgkmcnt(1)
	v_mul_f64 v[22:23], v[2:3], v[36:37]
	v_mul_f64 v[28:29], v[4:5], v[36:37]
	v_add_f64 v[16:17], v[16:17], v[20:21]
	v_add_f64 v[14:15], v[14:15], v[26:27]
	s_waitcnt vmcnt(2) lgkmcnt(0)
	v_mul_f64 v[20:21], v[6:7], v[172:173]
	v_mul_f64 v[26:27], v[8:9], v[172:173]
	v_fma_f64 v[22:23], v[4:5], v[34:35], v[22:23]
	v_fma_f64 v[28:29], v[2:3], v[34:35], -v[28:29]
	ds_load_b128 v[2:5], v1 offset:1296
	v_add_f64 v[16:17], v[16:17], v[18:19]
	v_add_f64 v[14:15], v[14:15], v[24:25]
	s_waitcnt vmcnt(1) lgkmcnt(0)
	v_mul_f64 v[18:19], v[2:3], v[40:41]
	v_mul_f64 v[24:25], v[4:5], v[40:41]
	v_fma_f64 v[8:9], v[8:9], v[170:171], v[20:21]
	v_fma_f64 v[6:7], v[6:7], v[170:171], -v[26:27]
	v_add_f64 v[16:17], v[16:17], v[22:23]
	v_add_f64 v[14:15], v[14:15], v[28:29]
	v_fma_f64 v[4:5], v[4:5], v[38:39], v[18:19]
	v_fma_f64 v[2:3], v[2:3], v[38:39], -v[24:25]
	s_delay_alu instid0(VALU_DEP_4) | instskip(NEXT) | instid1(VALU_DEP_4)
	v_add_f64 v[8:9], v[16:17], v[8:9]
	v_add_f64 v[6:7], v[14:15], v[6:7]
	s_delay_alu instid0(VALU_DEP_2) | instskip(NEXT) | instid1(VALU_DEP_2)
	v_add_f64 v[4:5], v[8:9], v[4:5]
	v_add_f64 v[2:3], v[6:7], v[2:3]
	s_waitcnt vmcnt(0)
	s_delay_alu instid0(VALU_DEP_2) | instskip(NEXT) | instid1(VALU_DEP_2)
	v_add_f64 v[4:5], v[12:13], -v[4:5]
	v_add_f64 v[2:3], v[10:11], -v[2:3]
	scratch_store_b128 off, v[2:5], off offset:144
	v_cmpx_lt_u32_e32 8, v124
	s_cbranch_execz .LBB104_243
; %bb.242:
	scratch_load_b128 v[5:8], v160, off
	v_mov_b32_e32 v2, v1
	v_mov_b32_e32 v3, v1
	;; [unrolled: 1-line block ×3, first 2 shown]
	scratch_store_b128 off, v[1:4], off offset:128
	s_waitcnt vmcnt(0)
	ds_store_b128 v165, v[5:8]
.LBB104_243:
	s_or_b32 exec_lo, exec_lo, s2
	s_waitcnt lgkmcnt(0)
	s_waitcnt_vscnt null, 0x0
	s_barrier
	buffer_gl0_inv
	s_clause 0x7
	scratch_load_b128 v[2:5], off, off offset:144
	scratch_load_b128 v[6:9], off, off offset:160
	;; [unrolled: 1-line block ×8, first 2 shown]
	ds_load_b128 v[38:41], v1 offset:800
	ds_load_b128 v[166:169], v1 offset:816
	s_clause 0x1
	scratch_load_b128 v[34:37], off, off offset:272
	scratch_load_b128 v[170:173], off, off offset:288
	s_mov_b32 s2, exec_lo
	s_waitcnt vmcnt(9) lgkmcnt(1)
	v_mul_f64 v[174:175], v[40:41], v[4:5]
	v_mul_f64 v[4:5], v[38:39], v[4:5]
	s_waitcnt vmcnt(8) lgkmcnt(0)
	v_mul_f64 v[176:177], v[166:167], v[8:9]
	v_mul_f64 v[8:9], v[168:169], v[8:9]
	s_delay_alu instid0(VALU_DEP_4) | instskip(NEXT) | instid1(VALU_DEP_4)
	v_fma_f64 v[174:175], v[38:39], v[2:3], -v[174:175]
	v_fma_f64 v[178:179], v[40:41], v[2:3], v[4:5]
	ds_load_b128 v[2:5], v1 offset:832
	scratch_load_b128 v[38:41], off, off offset:304
	v_fma_f64 v[176:177], v[168:169], v[6:7], v[176:177]
	v_fma_f64 v[182:183], v[166:167], v[6:7], -v[8:9]
	scratch_load_b128 v[166:169], off, off offset:320
	ds_load_b128 v[6:9], v1 offset:848
	s_waitcnt vmcnt(9) lgkmcnt(1)
	v_mul_f64 v[180:181], v[2:3], v[12:13]
	v_mul_f64 v[12:13], v[4:5], v[12:13]
	s_waitcnt vmcnt(8) lgkmcnt(0)
	v_mul_f64 v[184:185], v[6:7], v[16:17]
	v_mul_f64 v[16:17], v[8:9], v[16:17]
	v_add_f64 v[174:175], v[174:175], 0
	v_add_f64 v[178:179], v[178:179], 0
	v_fma_f64 v[180:181], v[4:5], v[10:11], v[180:181]
	v_fma_f64 v[186:187], v[2:3], v[10:11], -v[12:13]
	ds_load_b128 v[2:5], v1 offset:864
	scratch_load_b128 v[10:13], off, off offset:336
	v_add_f64 v[174:175], v[174:175], v[182:183]
	v_add_f64 v[176:177], v[178:179], v[176:177]
	v_fma_f64 v[182:183], v[8:9], v[14:15], v[184:185]
	v_fma_f64 v[184:185], v[6:7], v[14:15], -v[16:17]
	scratch_load_b128 v[14:17], off, off offset:352
	ds_load_b128 v[6:9], v1 offset:880
	s_waitcnt vmcnt(9) lgkmcnt(1)
	v_mul_f64 v[178:179], v[2:3], v[20:21]
	v_mul_f64 v[20:21], v[4:5], v[20:21]
	v_add_f64 v[174:175], v[174:175], v[186:187]
	v_add_f64 v[176:177], v[176:177], v[180:181]
	s_waitcnt vmcnt(8) lgkmcnt(0)
	v_mul_f64 v[180:181], v[6:7], v[24:25]
	v_mul_f64 v[24:25], v[8:9], v[24:25]
	v_fma_f64 v[178:179], v[4:5], v[18:19], v[178:179]
	v_fma_f64 v[186:187], v[2:3], v[18:19], -v[20:21]
	ds_load_b128 v[2:5], v1 offset:896
	scratch_load_b128 v[18:21], off, off offset:368
	v_add_f64 v[174:175], v[174:175], v[184:185]
	v_add_f64 v[176:177], v[176:177], v[182:183]
	v_fma_f64 v[180:181], v[8:9], v[22:23], v[180:181]
	v_fma_f64 v[184:185], v[6:7], v[22:23], -v[24:25]
	scratch_load_b128 v[22:25], off, off offset:384
	ds_load_b128 v[6:9], v1 offset:912
	s_waitcnt vmcnt(9) lgkmcnt(1)
	v_mul_f64 v[182:183], v[2:3], v[28:29]
	v_mul_f64 v[28:29], v[4:5], v[28:29]
	v_add_f64 v[174:175], v[174:175], v[186:187]
	v_add_f64 v[176:177], v[176:177], v[178:179]
	s_waitcnt vmcnt(8) lgkmcnt(0)
	v_mul_f64 v[178:179], v[6:7], v[32:33]
	v_mul_f64 v[32:33], v[8:9], v[32:33]
	;; [unrolled: 18-line block ×6, first 2 shown]
	v_fma_f64 v[180:181], v[4:5], v[18:19], v[180:181]
	v_fma_f64 v[186:187], v[2:3], v[18:19], -v[20:21]
	ds_load_b128 v[2:5], v1 offset:1056
	scratch_load_b128 v[18:21], off, off offset:528
	v_add_f64 v[174:175], v[174:175], v[184:185]
	v_add_f64 v[176:177], v[176:177], v[178:179]
	v_fma_f64 v[182:183], v[8:9], v[22:23], v[182:183]
	v_fma_f64 v[184:185], v[6:7], v[22:23], -v[24:25]
	ds_load_b128 v[6:9], v1 offset:1072
	s_waitcnt vmcnt(8) lgkmcnt(1)
	v_mul_f64 v[178:179], v[2:3], v[28:29]
	v_mul_f64 v[28:29], v[4:5], v[28:29]
	scratch_load_b128 v[22:25], off, off offset:544
	v_add_f64 v[174:175], v[174:175], v[186:187]
	v_add_f64 v[176:177], v[176:177], v[180:181]
	s_waitcnt vmcnt(8) lgkmcnt(0)
	v_mul_f64 v[180:181], v[6:7], v[32:33]
	v_mul_f64 v[32:33], v[8:9], v[32:33]
	v_fma_f64 v[178:179], v[4:5], v[26:27], v[178:179]
	v_fma_f64 v[186:187], v[2:3], v[26:27], -v[28:29]
	ds_load_b128 v[2:5], v1 offset:1088
	scratch_load_b128 v[26:29], off, off offset:560
	v_add_f64 v[174:175], v[174:175], v[184:185]
	v_add_f64 v[176:177], v[176:177], v[182:183]
	v_fma_f64 v[180:181], v[8:9], v[30:31], v[180:181]
	v_fma_f64 v[184:185], v[6:7], v[30:31], -v[32:33]
	ds_load_b128 v[6:9], v1 offset:1104
	s_waitcnt vmcnt(8) lgkmcnt(1)
	v_mul_f64 v[182:183], v[2:3], v[36:37]
	v_mul_f64 v[36:37], v[4:5], v[36:37]
	scratch_load_b128 v[30:33], off, off offset:576
	v_add_f64 v[174:175], v[174:175], v[186:187]
	v_add_f64 v[176:177], v[176:177], v[178:179]
	s_waitcnt vmcnt(8) lgkmcnt(0)
	v_mul_f64 v[178:179], v[6:7], v[172:173]
	v_mul_f64 v[172:173], v[8:9], v[172:173]
	v_fma_f64 v[182:183], v[4:5], v[34:35], v[182:183]
	v_fma_f64 v[186:187], v[2:3], v[34:35], -v[36:37]
	scratch_load_b128 v[34:37], off, off offset:592
	ds_load_b128 v[2:5], v1 offset:1120
	v_add_f64 v[174:175], v[174:175], v[184:185]
	v_add_f64 v[176:177], v[176:177], v[180:181]
	v_fma_f64 v[178:179], v[8:9], v[170:171], v[178:179]
	v_fma_f64 v[184:185], v[6:7], v[170:171], -v[172:173]
	ds_load_b128 v[6:9], v1 offset:1136
	s_waitcnt vmcnt(8) lgkmcnt(1)
	v_mul_f64 v[180:181], v[2:3], v[40:41]
	v_mul_f64 v[40:41], v[4:5], v[40:41]
	scratch_load_b128 v[170:173], off, off offset:608
	v_add_f64 v[174:175], v[174:175], v[186:187]
	v_add_f64 v[176:177], v[176:177], v[182:183]
	s_waitcnt vmcnt(8) lgkmcnt(0)
	v_mul_f64 v[182:183], v[6:7], v[168:169]
	v_mul_f64 v[168:169], v[8:9], v[168:169]
	v_fma_f64 v[180:181], v[4:5], v[38:39], v[180:181]
	v_fma_f64 v[186:187], v[2:3], v[38:39], -v[40:41]
	scratch_load_b128 v[38:41], off, off offset:624
	ds_load_b128 v[2:5], v1 offset:1152
	v_add_f64 v[174:175], v[174:175], v[184:185]
	v_add_f64 v[176:177], v[176:177], v[178:179]
	v_fma_f64 v[182:183], v[8:9], v[166:167], v[182:183]
	v_fma_f64 v[184:185], v[6:7], v[166:167], -v[168:169]
	ds_load_b128 v[6:9], v1 offset:1168
	s_waitcnt vmcnt(8) lgkmcnt(1)
	v_mul_f64 v[178:179], v[2:3], v[12:13]
	v_mul_f64 v[12:13], v[4:5], v[12:13]
	scratch_load_b128 v[166:169], off, off offset:640
	v_add_f64 v[174:175], v[174:175], v[186:187]
	v_add_f64 v[176:177], v[176:177], v[180:181]
	s_waitcnt vmcnt(8) lgkmcnt(0)
	v_mul_f64 v[180:181], v[6:7], v[16:17]
	v_mul_f64 v[16:17], v[8:9], v[16:17]
	v_fma_f64 v[178:179], v[4:5], v[10:11], v[178:179]
	v_fma_f64 v[10:11], v[2:3], v[10:11], -v[12:13]
	ds_load_b128 v[2:5], v1 offset:1184
	v_add_f64 v[12:13], v[174:175], v[184:185]
	v_add_f64 v[174:175], v[176:177], v[182:183]
	v_fma_f64 v[180:181], v[8:9], v[14:15], v[180:181]
	v_fma_f64 v[14:15], v[6:7], v[14:15], -v[16:17]
	ds_load_b128 v[6:9], v1 offset:1200
	s_waitcnt vmcnt(7) lgkmcnt(1)
	v_mul_f64 v[176:177], v[2:3], v[20:21]
	v_mul_f64 v[20:21], v[4:5], v[20:21]
	v_add_f64 v[10:11], v[12:13], v[10:11]
	v_add_f64 v[12:13], v[174:175], v[178:179]
	s_delay_alu instid0(VALU_DEP_4) | instskip(NEXT) | instid1(VALU_DEP_4)
	v_fma_f64 v[174:175], v[4:5], v[18:19], v[176:177]
	v_fma_f64 v[18:19], v[2:3], v[18:19], -v[20:21]
	ds_load_b128 v[2:5], v1 offset:1216
	v_add_f64 v[14:15], v[10:11], v[14:15]
	v_add_f64 v[20:21], v[12:13], v[180:181]
	scratch_load_b128 v[10:13], off, off offset:128
	s_waitcnt vmcnt(7) lgkmcnt(1)
	v_mul_f64 v[16:17], v[6:7], v[24:25]
	v_mul_f64 v[24:25], v[8:9], v[24:25]
	v_add_f64 v[14:15], v[14:15], v[18:19]
	v_add_f64 v[18:19], v[20:21], v[174:175]
	s_delay_alu instid0(VALU_DEP_4) | instskip(NEXT) | instid1(VALU_DEP_4)
	v_fma_f64 v[16:17], v[8:9], v[22:23], v[16:17]
	v_fma_f64 v[22:23], v[6:7], v[22:23], -v[24:25]
	ds_load_b128 v[6:9], v1 offset:1232
	s_waitcnt vmcnt(6) lgkmcnt(1)
	v_mul_f64 v[176:177], v[2:3], v[28:29]
	v_mul_f64 v[28:29], v[4:5], v[28:29]
	s_waitcnt vmcnt(5) lgkmcnt(0)
	v_mul_f64 v[20:21], v[6:7], v[32:33]
	v_mul_f64 v[24:25], v[8:9], v[32:33]
	v_add_f64 v[16:17], v[18:19], v[16:17]
	v_add_f64 v[14:15], v[14:15], v[22:23]
	v_fma_f64 v[32:33], v[4:5], v[26:27], v[176:177]
	v_fma_f64 v[26:27], v[2:3], v[26:27], -v[28:29]
	ds_load_b128 v[2:5], v1 offset:1248
	v_fma_f64 v[20:21], v[8:9], v[30:31], v[20:21]
	v_fma_f64 v[24:25], v[6:7], v[30:31], -v[24:25]
	ds_load_b128 v[6:9], v1 offset:1264
	s_waitcnt vmcnt(4) lgkmcnt(1)
	v_mul_f64 v[18:19], v[2:3], v[36:37]
	v_mul_f64 v[22:23], v[4:5], v[36:37]
	v_add_f64 v[16:17], v[16:17], v[32:33]
	v_add_f64 v[14:15], v[14:15], v[26:27]
	s_waitcnt vmcnt(3) lgkmcnt(0)
	v_mul_f64 v[26:27], v[6:7], v[172:173]
	v_mul_f64 v[28:29], v[8:9], v[172:173]
	v_fma_f64 v[18:19], v[4:5], v[34:35], v[18:19]
	v_fma_f64 v[22:23], v[2:3], v[34:35], -v[22:23]
	ds_load_b128 v[2:5], v1 offset:1280
	v_add_f64 v[16:17], v[16:17], v[20:21]
	v_add_f64 v[14:15], v[14:15], v[24:25]
	v_fma_f64 v[26:27], v[8:9], v[170:171], v[26:27]
	v_fma_f64 v[28:29], v[6:7], v[170:171], -v[28:29]
	ds_load_b128 v[6:9], v1 offset:1296
	s_waitcnt vmcnt(2) lgkmcnt(1)
	v_mul_f64 v[20:21], v[2:3], v[40:41]
	v_mul_f64 v[24:25], v[4:5], v[40:41]
	v_add_f64 v[16:17], v[16:17], v[18:19]
	v_add_f64 v[14:15], v[14:15], v[22:23]
	s_waitcnt vmcnt(1) lgkmcnt(0)
	v_mul_f64 v[18:19], v[6:7], v[168:169]
	v_mul_f64 v[22:23], v[8:9], v[168:169]
	v_fma_f64 v[4:5], v[4:5], v[38:39], v[20:21]
	v_fma_f64 v[1:2], v[2:3], v[38:39], -v[24:25]
	v_add_f64 v[16:17], v[16:17], v[26:27]
	v_add_f64 v[14:15], v[14:15], v[28:29]
	v_fma_f64 v[8:9], v[8:9], v[166:167], v[18:19]
	v_fma_f64 v[6:7], v[6:7], v[166:167], -v[22:23]
	s_delay_alu instid0(VALU_DEP_4) | instskip(NEXT) | instid1(VALU_DEP_4)
	v_add_f64 v[3:4], v[16:17], v[4:5]
	v_add_f64 v[1:2], v[14:15], v[1:2]
	s_delay_alu instid0(VALU_DEP_2) | instskip(NEXT) | instid1(VALU_DEP_2)
	v_add_f64 v[3:4], v[3:4], v[8:9]
	v_add_f64 v[1:2], v[1:2], v[6:7]
	s_waitcnt vmcnt(0)
	s_delay_alu instid0(VALU_DEP_2) | instskip(NEXT) | instid1(VALU_DEP_2)
	v_add_f64 v[3:4], v[12:13], -v[3:4]
	v_add_f64 v[1:2], v[10:11], -v[1:2]
	scratch_store_b128 off, v[1:4], off offset:128
	v_cmpx_lt_u32_e32 7, v124
	s_cbranch_execz .LBB104_245
; %bb.244:
	scratch_load_b128 v[1:4], v162, off
	v_mov_b32_e32 v5, 0
	s_delay_alu instid0(VALU_DEP_1)
	v_mov_b32_e32 v6, v5
	v_mov_b32_e32 v7, v5
	;; [unrolled: 1-line block ×3, first 2 shown]
	scratch_store_b128 off, v[5:8], off offset:112
	s_waitcnt vmcnt(0)
	ds_store_b128 v165, v[1:4]
.LBB104_245:
	s_or_b32 exec_lo, exec_lo, s2
	s_waitcnt lgkmcnt(0)
	s_waitcnt_vscnt null, 0x0
	s_barrier
	buffer_gl0_inv
	s_clause 0x7
	scratch_load_b128 v[2:5], off, off offset:128
	scratch_load_b128 v[6:9], off, off offset:144
	;; [unrolled: 1-line block ×8, first 2 shown]
	v_mov_b32_e32 v1, 0
	s_clause 0x1
	scratch_load_b128 v[34:37], off, off offset:256
	scratch_load_b128 v[170:173], off, off offset:272
	s_mov_b32 s2, exec_lo
	ds_load_b128 v[38:41], v1 offset:784
	ds_load_b128 v[166:169], v1 offset:800
	s_waitcnt vmcnt(9) lgkmcnt(1)
	v_mul_f64 v[174:175], v[40:41], v[4:5]
	v_mul_f64 v[4:5], v[38:39], v[4:5]
	s_waitcnt vmcnt(8) lgkmcnt(0)
	v_mul_f64 v[176:177], v[166:167], v[8:9]
	v_mul_f64 v[8:9], v[168:169], v[8:9]
	s_delay_alu instid0(VALU_DEP_4) | instskip(NEXT) | instid1(VALU_DEP_4)
	v_fma_f64 v[174:175], v[38:39], v[2:3], -v[174:175]
	v_fma_f64 v[178:179], v[40:41], v[2:3], v[4:5]
	ds_load_b128 v[2:5], v1 offset:816
	scratch_load_b128 v[38:41], off, off offset:288
	v_fma_f64 v[176:177], v[168:169], v[6:7], v[176:177]
	v_fma_f64 v[182:183], v[166:167], v[6:7], -v[8:9]
	scratch_load_b128 v[166:169], off, off offset:304
	ds_load_b128 v[6:9], v1 offset:832
	s_waitcnt vmcnt(9) lgkmcnt(1)
	v_mul_f64 v[180:181], v[2:3], v[12:13]
	v_mul_f64 v[12:13], v[4:5], v[12:13]
	s_waitcnt vmcnt(8) lgkmcnt(0)
	v_mul_f64 v[184:185], v[6:7], v[16:17]
	v_mul_f64 v[16:17], v[8:9], v[16:17]
	v_add_f64 v[174:175], v[174:175], 0
	v_add_f64 v[178:179], v[178:179], 0
	v_fma_f64 v[180:181], v[4:5], v[10:11], v[180:181]
	v_fma_f64 v[186:187], v[2:3], v[10:11], -v[12:13]
	ds_load_b128 v[2:5], v1 offset:848
	scratch_load_b128 v[10:13], off, off offset:320
	v_add_f64 v[174:175], v[174:175], v[182:183]
	v_add_f64 v[176:177], v[178:179], v[176:177]
	v_fma_f64 v[182:183], v[8:9], v[14:15], v[184:185]
	v_fma_f64 v[184:185], v[6:7], v[14:15], -v[16:17]
	scratch_load_b128 v[14:17], off, off offset:336
	ds_load_b128 v[6:9], v1 offset:864
	s_waitcnt vmcnt(9) lgkmcnt(1)
	v_mul_f64 v[178:179], v[2:3], v[20:21]
	v_mul_f64 v[20:21], v[4:5], v[20:21]
	v_add_f64 v[174:175], v[174:175], v[186:187]
	v_add_f64 v[176:177], v[176:177], v[180:181]
	s_waitcnt vmcnt(8) lgkmcnt(0)
	v_mul_f64 v[180:181], v[6:7], v[24:25]
	v_mul_f64 v[24:25], v[8:9], v[24:25]
	v_fma_f64 v[178:179], v[4:5], v[18:19], v[178:179]
	v_fma_f64 v[186:187], v[2:3], v[18:19], -v[20:21]
	ds_load_b128 v[2:5], v1 offset:880
	scratch_load_b128 v[18:21], off, off offset:352
	v_add_f64 v[174:175], v[174:175], v[184:185]
	v_add_f64 v[176:177], v[176:177], v[182:183]
	v_fma_f64 v[180:181], v[8:9], v[22:23], v[180:181]
	v_fma_f64 v[184:185], v[6:7], v[22:23], -v[24:25]
	scratch_load_b128 v[22:25], off, off offset:368
	ds_load_b128 v[6:9], v1 offset:896
	s_waitcnt vmcnt(9) lgkmcnt(1)
	v_mul_f64 v[182:183], v[2:3], v[28:29]
	v_mul_f64 v[28:29], v[4:5], v[28:29]
	v_add_f64 v[174:175], v[174:175], v[186:187]
	v_add_f64 v[176:177], v[176:177], v[178:179]
	s_waitcnt vmcnt(8) lgkmcnt(0)
	v_mul_f64 v[178:179], v[6:7], v[32:33]
	v_mul_f64 v[32:33], v[8:9], v[32:33]
	;; [unrolled: 18-line block ×7, first 2 shown]
	v_fma_f64 v[178:179], v[4:5], v[26:27], v[178:179]
	v_fma_f64 v[186:187], v[2:3], v[26:27], -v[28:29]
	ds_load_b128 v[2:5], v1 offset:1072
	scratch_load_b128 v[26:29], off, off offset:544
	v_add_f64 v[174:175], v[174:175], v[184:185]
	v_add_f64 v[176:177], v[176:177], v[182:183]
	v_fma_f64 v[180:181], v[8:9], v[30:31], v[180:181]
	v_fma_f64 v[184:185], v[6:7], v[30:31], -v[32:33]
	ds_load_b128 v[6:9], v1 offset:1088
	s_waitcnt vmcnt(8) lgkmcnt(1)
	v_mul_f64 v[182:183], v[2:3], v[36:37]
	v_mul_f64 v[36:37], v[4:5], v[36:37]
	scratch_load_b128 v[30:33], off, off offset:560
	v_add_f64 v[174:175], v[174:175], v[186:187]
	v_add_f64 v[176:177], v[176:177], v[178:179]
	s_waitcnt vmcnt(8) lgkmcnt(0)
	v_mul_f64 v[178:179], v[6:7], v[172:173]
	v_mul_f64 v[172:173], v[8:9], v[172:173]
	v_fma_f64 v[182:183], v[4:5], v[34:35], v[182:183]
	v_fma_f64 v[186:187], v[2:3], v[34:35], -v[36:37]
	scratch_load_b128 v[34:37], off, off offset:576
	ds_load_b128 v[2:5], v1 offset:1104
	v_add_f64 v[174:175], v[174:175], v[184:185]
	v_add_f64 v[176:177], v[176:177], v[180:181]
	v_fma_f64 v[178:179], v[8:9], v[170:171], v[178:179]
	v_fma_f64 v[184:185], v[6:7], v[170:171], -v[172:173]
	ds_load_b128 v[6:9], v1 offset:1120
	s_waitcnt vmcnt(8) lgkmcnt(1)
	v_mul_f64 v[180:181], v[2:3], v[40:41]
	v_mul_f64 v[40:41], v[4:5], v[40:41]
	scratch_load_b128 v[170:173], off, off offset:592
	v_add_f64 v[174:175], v[174:175], v[186:187]
	v_add_f64 v[176:177], v[176:177], v[182:183]
	s_waitcnt vmcnt(8) lgkmcnt(0)
	v_mul_f64 v[182:183], v[6:7], v[168:169]
	v_mul_f64 v[168:169], v[8:9], v[168:169]
	v_fma_f64 v[180:181], v[4:5], v[38:39], v[180:181]
	v_fma_f64 v[186:187], v[2:3], v[38:39], -v[40:41]
	scratch_load_b128 v[38:41], off, off offset:608
	ds_load_b128 v[2:5], v1 offset:1136
	;; [unrolled: 18-line block ×3, first 2 shown]
	v_add_f64 v[174:175], v[174:175], v[184:185]
	v_add_f64 v[176:177], v[176:177], v[182:183]
	v_fma_f64 v[180:181], v[8:9], v[14:15], v[180:181]
	v_fma_f64 v[14:15], v[6:7], v[14:15], -v[16:17]
	ds_load_b128 v[6:9], v1 offset:1184
	s_waitcnt vmcnt(8) lgkmcnt(1)
	v_mul_f64 v[182:183], v[2:3], v[20:21]
	v_mul_f64 v[20:21], v[4:5], v[20:21]
	v_add_f64 v[16:17], v[174:175], v[186:187]
	v_add_f64 v[174:175], v[176:177], v[178:179]
	s_waitcnt vmcnt(7) lgkmcnt(0)
	v_mul_f64 v[176:177], v[6:7], v[24:25]
	v_mul_f64 v[24:25], v[8:9], v[24:25]
	v_fma_f64 v[178:179], v[4:5], v[18:19], v[182:183]
	v_fma_f64 v[18:19], v[2:3], v[18:19], -v[20:21]
	ds_load_b128 v[2:5], v1 offset:1200
	v_add_f64 v[14:15], v[16:17], v[14:15]
	v_add_f64 v[16:17], v[174:175], v[180:181]
	v_fma_f64 v[174:175], v[8:9], v[22:23], v[176:177]
	v_fma_f64 v[22:23], v[6:7], v[22:23], -v[24:25]
	ds_load_b128 v[6:9], v1 offset:1216
	s_waitcnt vmcnt(5) lgkmcnt(0)
	v_mul_f64 v[176:177], v[6:7], v[32:33]
	v_mul_f64 v[32:33], v[8:9], v[32:33]
	v_add_f64 v[18:19], v[14:15], v[18:19]
	v_add_f64 v[24:25], v[16:17], v[178:179]
	scratch_load_b128 v[14:17], off, off offset:112
	v_mul_f64 v[20:21], v[2:3], v[28:29]
	v_mul_f64 v[28:29], v[4:5], v[28:29]
	v_add_f64 v[18:19], v[18:19], v[22:23]
	v_add_f64 v[22:23], v[24:25], v[174:175]
	s_delay_alu instid0(VALU_DEP_4) | instskip(NEXT) | instid1(VALU_DEP_4)
	v_fma_f64 v[20:21], v[4:5], v[26:27], v[20:21]
	v_fma_f64 v[26:27], v[2:3], v[26:27], -v[28:29]
	ds_load_b128 v[2:5], v1 offset:1232
	s_waitcnt vmcnt(5) lgkmcnt(0)
	v_mul_f64 v[24:25], v[2:3], v[36:37]
	v_mul_f64 v[28:29], v[4:5], v[36:37]
	v_fma_f64 v[36:37], v[8:9], v[30:31], v[176:177]
	v_fma_f64 v[30:31], v[6:7], v[30:31], -v[32:33]
	ds_load_b128 v[6:9], v1 offset:1248
	v_add_f64 v[20:21], v[22:23], v[20:21]
	v_add_f64 v[18:19], v[18:19], v[26:27]
	v_fma_f64 v[24:25], v[4:5], v[34:35], v[24:25]
	v_fma_f64 v[28:29], v[2:3], v[34:35], -v[28:29]
	ds_load_b128 v[2:5], v1 offset:1264
	s_waitcnt vmcnt(4) lgkmcnt(1)
	v_mul_f64 v[22:23], v[6:7], v[172:173]
	v_mul_f64 v[26:27], v[8:9], v[172:173]
	v_add_f64 v[20:21], v[20:21], v[36:37]
	v_add_f64 v[18:19], v[18:19], v[30:31]
	s_waitcnt vmcnt(3) lgkmcnt(0)
	v_mul_f64 v[30:31], v[2:3], v[40:41]
	v_mul_f64 v[32:33], v[4:5], v[40:41]
	v_fma_f64 v[22:23], v[8:9], v[170:171], v[22:23]
	v_fma_f64 v[26:27], v[6:7], v[170:171], -v[26:27]
	ds_load_b128 v[6:9], v1 offset:1280
	v_add_f64 v[20:21], v[20:21], v[24:25]
	v_add_f64 v[18:19], v[18:19], v[28:29]
	v_fma_f64 v[30:31], v[4:5], v[38:39], v[30:31]
	v_fma_f64 v[32:33], v[2:3], v[38:39], -v[32:33]
	ds_load_b128 v[2:5], v1 offset:1296
	s_waitcnt vmcnt(2) lgkmcnt(1)
	v_mul_f64 v[24:25], v[6:7], v[168:169]
	v_mul_f64 v[28:29], v[8:9], v[168:169]
	v_add_f64 v[20:21], v[20:21], v[22:23]
	v_add_f64 v[18:19], v[18:19], v[26:27]
	s_waitcnt vmcnt(1) lgkmcnt(0)
	v_mul_f64 v[22:23], v[2:3], v[12:13]
	v_mul_f64 v[12:13], v[4:5], v[12:13]
	v_fma_f64 v[8:9], v[8:9], v[166:167], v[24:25]
	v_fma_f64 v[6:7], v[6:7], v[166:167], -v[28:29]
	v_add_f64 v[20:21], v[20:21], v[30:31]
	v_add_f64 v[18:19], v[18:19], v[32:33]
	v_fma_f64 v[4:5], v[4:5], v[10:11], v[22:23]
	v_fma_f64 v[2:3], v[2:3], v[10:11], -v[12:13]
	s_delay_alu instid0(VALU_DEP_4) | instskip(NEXT) | instid1(VALU_DEP_4)
	v_add_f64 v[8:9], v[20:21], v[8:9]
	v_add_f64 v[6:7], v[18:19], v[6:7]
	s_delay_alu instid0(VALU_DEP_2) | instskip(NEXT) | instid1(VALU_DEP_2)
	v_add_f64 v[4:5], v[8:9], v[4:5]
	v_add_f64 v[2:3], v[6:7], v[2:3]
	s_waitcnt vmcnt(0)
	s_delay_alu instid0(VALU_DEP_2) | instskip(NEXT) | instid1(VALU_DEP_2)
	v_add_f64 v[4:5], v[16:17], -v[4:5]
	v_add_f64 v[2:3], v[14:15], -v[2:3]
	scratch_store_b128 off, v[2:5], off offset:112
	v_cmpx_lt_u32_e32 6, v124
	s_cbranch_execz .LBB104_247
; %bb.246:
	scratch_load_b128 v[5:8], v163, off
	v_mov_b32_e32 v2, v1
	v_mov_b32_e32 v3, v1
	v_mov_b32_e32 v4, v1
	scratch_store_b128 off, v[1:4], off offset:96
	s_waitcnt vmcnt(0)
	ds_store_b128 v165, v[5:8]
.LBB104_247:
	s_or_b32 exec_lo, exec_lo, s2
	s_waitcnt lgkmcnt(0)
	s_waitcnt_vscnt null, 0x0
	s_barrier
	buffer_gl0_inv
	s_clause 0x7
	scratch_load_b128 v[2:5], off, off offset:112
	scratch_load_b128 v[6:9], off, off offset:128
	scratch_load_b128 v[10:13], off, off offset:144
	scratch_load_b128 v[14:17], off, off offset:160
	scratch_load_b128 v[18:21], off, off offset:176
	scratch_load_b128 v[22:25], off, off offset:192
	scratch_load_b128 v[26:29], off, off offset:208
	scratch_load_b128 v[30:33], off, off offset:224
	ds_load_b128 v[38:41], v1 offset:768
	ds_load_b128 v[166:169], v1 offset:784
	s_clause 0x1
	scratch_load_b128 v[34:37], off, off offset:240
	scratch_load_b128 v[170:173], off, off offset:256
	s_mov_b32 s2, exec_lo
	s_waitcnt vmcnt(9) lgkmcnt(1)
	v_mul_f64 v[174:175], v[40:41], v[4:5]
	v_mul_f64 v[4:5], v[38:39], v[4:5]
	s_waitcnt vmcnt(8) lgkmcnt(0)
	v_mul_f64 v[176:177], v[166:167], v[8:9]
	v_mul_f64 v[8:9], v[168:169], v[8:9]
	s_delay_alu instid0(VALU_DEP_4) | instskip(NEXT) | instid1(VALU_DEP_4)
	v_fma_f64 v[174:175], v[38:39], v[2:3], -v[174:175]
	v_fma_f64 v[178:179], v[40:41], v[2:3], v[4:5]
	ds_load_b128 v[2:5], v1 offset:800
	scratch_load_b128 v[38:41], off, off offset:272
	v_fma_f64 v[176:177], v[168:169], v[6:7], v[176:177]
	v_fma_f64 v[182:183], v[166:167], v[6:7], -v[8:9]
	scratch_load_b128 v[166:169], off, off offset:288
	ds_load_b128 v[6:9], v1 offset:816
	s_waitcnt vmcnt(9) lgkmcnt(1)
	v_mul_f64 v[180:181], v[2:3], v[12:13]
	v_mul_f64 v[12:13], v[4:5], v[12:13]
	s_waitcnt vmcnt(8) lgkmcnt(0)
	v_mul_f64 v[184:185], v[6:7], v[16:17]
	v_mul_f64 v[16:17], v[8:9], v[16:17]
	v_add_f64 v[174:175], v[174:175], 0
	v_add_f64 v[178:179], v[178:179], 0
	v_fma_f64 v[180:181], v[4:5], v[10:11], v[180:181]
	v_fma_f64 v[186:187], v[2:3], v[10:11], -v[12:13]
	ds_load_b128 v[2:5], v1 offset:832
	scratch_load_b128 v[10:13], off, off offset:304
	v_add_f64 v[174:175], v[174:175], v[182:183]
	v_add_f64 v[176:177], v[178:179], v[176:177]
	v_fma_f64 v[182:183], v[8:9], v[14:15], v[184:185]
	v_fma_f64 v[184:185], v[6:7], v[14:15], -v[16:17]
	scratch_load_b128 v[14:17], off, off offset:320
	ds_load_b128 v[6:9], v1 offset:848
	s_waitcnt vmcnt(9) lgkmcnt(1)
	v_mul_f64 v[178:179], v[2:3], v[20:21]
	v_mul_f64 v[20:21], v[4:5], v[20:21]
	v_add_f64 v[174:175], v[174:175], v[186:187]
	v_add_f64 v[176:177], v[176:177], v[180:181]
	s_waitcnt vmcnt(8) lgkmcnt(0)
	v_mul_f64 v[180:181], v[6:7], v[24:25]
	v_mul_f64 v[24:25], v[8:9], v[24:25]
	v_fma_f64 v[178:179], v[4:5], v[18:19], v[178:179]
	v_fma_f64 v[186:187], v[2:3], v[18:19], -v[20:21]
	ds_load_b128 v[2:5], v1 offset:864
	scratch_load_b128 v[18:21], off, off offset:336
	v_add_f64 v[174:175], v[174:175], v[184:185]
	v_add_f64 v[176:177], v[176:177], v[182:183]
	v_fma_f64 v[180:181], v[8:9], v[22:23], v[180:181]
	v_fma_f64 v[184:185], v[6:7], v[22:23], -v[24:25]
	scratch_load_b128 v[22:25], off, off offset:352
	ds_load_b128 v[6:9], v1 offset:880
	s_waitcnt vmcnt(9) lgkmcnt(1)
	v_mul_f64 v[182:183], v[2:3], v[28:29]
	v_mul_f64 v[28:29], v[4:5], v[28:29]
	v_add_f64 v[174:175], v[174:175], v[186:187]
	v_add_f64 v[176:177], v[176:177], v[178:179]
	s_waitcnt vmcnt(8) lgkmcnt(0)
	v_mul_f64 v[178:179], v[6:7], v[32:33]
	v_mul_f64 v[32:33], v[8:9], v[32:33]
	;; [unrolled: 18-line block ×7, first 2 shown]
	v_fma_f64 v[178:179], v[4:5], v[26:27], v[178:179]
	v_fma_f64 v[186:187], v[2:3], v[26:27], -v[28:29]
	ds_load_b128 v[2:5], v1 offset:1056
	scratch_load_b128 v[26:29], off, off offset:528
	v_add_f64 v[174:175], v[174:175], v[184:185]
	v_add_f64 v[176:177], v[176:177], v[182:183]
	v_fma_f64 v[180:181], v[8:9], v[30:31], v[180:181]
	v_fma_f64 v[184:185], v[6:7], v[30:31], -v[32:33]
	ds_load_b128 v[6:9], v1 offset:1072
	s_waitcnt vmcnt(8) lgkmcnt(1)
	v_mul_f64 v[182:183], v[2:3], v[36:37]
	v_mul_f64 v[36:37], v[4:5], v[36:37]
	scratch_load_b128 v[30:33], off, off offset:544
	v_add_f64 v[174:175], v[174:175], v[186:187]
	v_add_f64 v[176:177], v[176:177], v[178:179]
	s_waitcnt vmcnt(8) lgkmcnt(0)
	v_mul_f64 v[178:179], v[6:7], v[172:173]
	v_mul_f64 v[172:173], v[8:9], v[172:173]
	v_fma_f64 v[182:183], v[4:5], v[34:35], v[182:183]
	v_fma_f64 v[186:187], v[2:3], v[34:35], -v[36:37]
	ds_load_b128 v[2:5], v1 offset:1088
	scratch_load_b128 v[34:37], off, off offset:560
	v_add_f64 v[174:175], v[174:175], v[184:185]
	v_add_f64 v[176:177], v[176:177], v[180:181]
	v_fma_f64 v[178:179], v[8:9], v[170:171], v[178:179]
	v_fma_f64 v[184:185], v[6:7], v[170:171], -v[172:173]
	ds_load_b128 v[6:9], v1 offset:1104
	s_waitcnt vmcnt(8) lgkmcnt(1)
	v_mul_f64 v[180:181], v[2:3], v[40:41]
	v_mul_f64 v[40:41], v[4:5], v[40:41]
	scratch_load_b128 v[170:173], off, off offset:576
	v_add_f64 v[174:175], v[174:175], v[186:187]
	v_add_f64 v[176:177], v[176:177], v[182:183]
	s_waitcnt vmcnt(8) lgkmcnt(0)
	v_mul_f64 v[182:183], v[6:7], v[168:169]
	v_mul_f64 v[168:169], v[8:9], v[168:169]
	v_fma_f64 v[180:181], v[4:5], v[38:39], v[180:181]
	v_fma_f64 v[186:187], v[2:3], v[38:39], -v[40:41]
	scratch_load_b128 v[38:41], off, off offset:592
	ds_load_b128 v[2:5], v1 offset:1120
	v_add_f64 v[174:175], v[174:175], v[184:185]
	v_add_f64 v[176:177], v[176:177], v[178:179]
	v_fma_f64 v[182:183], v[8:9], v[166:167], v[182:183]
	v_fma_f64 v[184:185], v[6:7], v[166:167], -v[168:169]
	ds_load_b128 v[6:9], v1 offset:1136
	s_waitcnt vmcnt(8) lgkmcnt(1)
	v_mul_f64 v[178:179], v[2:3], v[12:13]
	v_mul_f64 v[12:13], v[4:5], v[12:13]
	scratch_load_b128 v[166:169], off, off offset:608
	v_add_f64 v[174:175], v[174:175], v[186:187]
	v_add_f64 v[176:177], v[176:177], v[180:181]
	s_waitcnt vmcnt(8) lgkmcnt(0)
	v_mul_f64 v[180:181], v[6:7], v[16:17]
	v_mul_f64 v[16:17], v[8:9], v[16:17]
	v_fma_f64 v[178:179], v[4:5], v[10:11], v[178:179]
	v_fma_f64 v[186:187], v[2:3], v[10:11], -v[12:13]
	scratch_load_b128 v[10:13], off, off offset:624
	ds_load_b128 v[2:5], v1 offset:1152
	v_add_f64 v[174:175], v[174:175], v[184:185]
	v_add_f64 v[176:177], v[176:177], v[182:183]
	v_fma_f64 v[180:181], v[8:9], v[14:15], v[180:181]
	v_fma_f64 v[184:185], v[6:7], v[14:15], -v[16:17]
	ds_load_b128 v[6:9], v1 offset:1168
	s_waitcnt vmcnt(8) lgkmcnt(1)
	v_mul_f64 v[182:183], v[2:3], v[20:21]
	v_mul_f64 v[20:21], v[4:5], v[20:21]
	scratch_load_b128 v[14:17], off, off offset:640
	v_add_f64 v[174:175], v[174:175], v[186:187]
	v_add_f64 v[176:177], v[176:177], v[178:179]
	s_waitcnt vmcnt(8) lgkmcnt(0)
	v_mul_f64 v[178:179], v[6:7], v[24:25]
	v_mul_f64 v[24:25], v[8:9], v[24:25]
	v_fma_f64 v[182:183], v[4:5], v[18:19], v[182:183]
	v_fma_f64 v[18:19], v[2:3], v[18:19], -v[20:21]
	ds_load_b128 v[2:5], v1 offset:1184
	v_add_f64 v[20:21], v[174:175], v[184:185]
	v_add_f64 v[174:175], v[176:177], v[180:181]
	v_fma_f64 v[178:179], v[8:9], v[22:23], v[178:179]
	v_fma_f64 v[22:23], v[6:7], v[22:23], -v[24:25]
	ds_load_b128 v[6:9], v1 offset:1200
	s_waitcnt vmcnt(7) lgkmcnt(1)
	v_mul_f64 v[176:177], v[2:3], v[28:29]
	v_mul_f64 v[28:29], v[4:5], v[28:29]
	v_add_f64 v[18:19], v[20:21], v[18:19]
	v_add_f64 v[20:21], v[174:175], v[182:183]
	s_delay_alu instid0(VALU_DEP_4) | instskip(NEXT) | instid1(VALU_DEP_4)
	v_fma_f64 v[174:175], v[4:5], v[26:27], v[176:177]
	v_fma_f64 v[26:27], v[2:3], v[26:27], -v[28:29]
	ds_load_b128 v[2:5], v1 offset:1216
	v_add_f64 v[22:23], v[18:19], v[22:23]
	v_add_f64 v[28:29], v[20:21], v[178:179]
	scratch_load_b128 v[18:21], off, off offset:96
	s_waitcnt vmcnt(7) lgkmcnt(1)
	v_mul_f64 v[24:25], v[6:7], v[32:33]
	v_mul_f64 v[32:33], v[8:9], v[32:33]
	v_add_f64 v[22:23], v[22:23], v[26:27]
	v_add_f64 v[26:27], v[28:29], v[174:175]
	s_delay_alu instid0(VALU_DEP_4) | instskip(NEXT) | instid1(VALU_DEP_4)
	v_fma_f64 v[24:25], v[8:9], v[30:31], v[24:25]
	v_fma_f64 v[30:31], v[6:7], v[30:31], -v[32:33]
	ds_load_b128 v[6:9], v1 offset:1232
	s_waitcnt vmcnt(6) lgkmcnt(1)
	v_mul_f64 v[176:177], v[2:3], v[36:37]
	v_mul_f64 v[36:37], v[4:5], v[36:37]
	s_waitcnt vmcnt(5) lgkmcnt(0)
	v_mul_f64 v[28:29], v[6:7], v[172:173]
	v_mul_f64 v[32:33], v[8:9], v[172:173]
	v_add_f64 v[24:25], v[26:27], v[24:25]
	v_add_f64 v[22:23], v[22:23], v[30:31]
	v_fma_f64 v[172:173], v[4:5], v[34:35], v[176:177]
	v_fma_f64 v[34:35], v[2:3], v[34:35], -v[36:37]
	ds_load_b128 v[2:5], v1 offset:1248
	v_fma_f64 v[28:29], v[8:9], v[170:171], v[28:29]
	v_fma_f64 v[32:33], v[6:7], v[170:171], -v[32:33]
	ds_load_b128 v[6:9], v1 offset:1264
	s_waitcnt vmcnt(4) lgkmcnt(1)
	v_mul_f64 v[26:27], v[2:3], v[40:41]
	v_mul_f64 v[30:31], v[4:5], v[40:41]
	v_add_f64 v[24:25], v[24:25], v[172:173]
	v_add_f64 v[22:23], v[22:23], v[34:35]
	s_waitcnt vmcnt(3) lgkmcnt(0)
	v_mul_f64 v[34:35], v[6:7], v[168:169]
	v_mul_f64 v[36:37], v[8:9], v[168:169]
	v_fma_f64 v[26:27], v[4:5], v[38:39], v[26:27]
	v_fma_f64 v[30:31], v[2:3], v[38:39], -v[30:31]
	ds_load_b128 v[2:5], v1 offset:1280
	v_add_f64 v[24:25], v[24:25], v[28:29]
	v_add_f64 v[22:23], v[22:23], v[32:33]
	v_fma_f64 v[32:33], v[8:9], v[166:167], v[34:35]
	v_fma_f64 v[34:35], v[6:7], v[166:167], -v[36:37]
	ds_load_b128 v[6:9], v1 offset:1296
	s_waitcnt vmcnt(2) lgkmcnt(1)
	v_mul_f64 v[28:29], v[2:3], v[12:13]
	v_mul_f64 v[12:13], v[4:5], v[12:13]
	v_add_f64 v[24:25], v[24:25], v[26:27]
	v_add_f64 v[22:23], v[22:23], v[30:31]
	s_waitcnt vmcnt(1) lgkmcnt(0)
	v_mul_f64 v[26:27], v[6:7], v[16:17]
	v_mul_f64 v[16:17], v[8:9], v[16:17]
	v_fma_f64 v[4:5], v[4:5], v[10:11], v[28:29]
	v_fma_f64 v[1:2], v[2:3], v[10:11], -v[12:13]
	v_add_f64 v[12:13], v[24:25], v[32:33]
	v_add_f64 v[10:11], v[22:23], v[34:35]
	v_fma_f64 v[8:9], v[8:9], v[14:15], v[26:27]
	v_fma_f64 v[6:7], v[6:7], v[14:15], -v[16:17]
	s_delay_alu instid0(VALU_DEP_4) | instskip(NEXT) | instid1(VALU_DEP_4)
	v_add_f64 v[3:4], v[12:13], v[4:5]
	v_add_f64 v[1:2], v[10:11], v[1:2]
	s_delay_alu instid0(VALU_DEP_2) | instskip(NEXT) | instid1(VALU_DEP_2)
	v_add_f64 v[3:4], v[3:4], v[8:9]
	v_add_f64 v[1:2], v[1:2], v[6:7]
	s_waitcnt vmcnt(0)
	s_delay_alu instid0(VALU_DEP_2) | instskip(NEXT) | instid1(VALU_DEP_2)
	v_add_f64 v[3:4], v[20:21], -v[3:4]
	v_add_f64 v[1:2], v[18:19], -v[1:2]
	scratch_store_b128 off, v[1:4], off offset:96
	v_cmpx_lt_u32_e32 5, v124
	s_cbranch_execz .LBB104_249
; %bb.248:
	scratch_load_b128 v[1:4], v164, off
	v_mov_b32_e32 v5, 0
	s_delay_alu instid0(VALU_DEP_1)
	v_mov_b32_e32 v6, v5
	v_mov_b32_e32 v7, v5
	;; [unrolled: 1-line block ×3, first 2 shown]
	scratch_store_b128 off, v[5:8], off offset:80
	s_waitcnt vmcnt(0)
	ds_store_b128 v165, v[1:4]
.LBB104_249:
	s_or_b32 exec_lo, exec_lo, s2
	s_waitcnt lgkmcnt(0)
	s_waitcnt_vscnt null, 0x0
	s_barrier
	buffer_gl0_inv
	s_clause 0x7
	scratch_load_b128 v[2:5], off, off offset:96
	scratch_load_b128 v[6:9], off, off offset:112
	;; [unrolled: 1-line block ×8, first 2 shown]
	v_mov_b32_e32 v1, 0
	s_clause 0x1
	scratch_load_b128 v[34:37], off, off offset:224
	scratch_load_b128 v[170:173], off, off offset:240
	s_mov_b32 s2, exec_lo
	ds_load_b128 v[38:41], v1 offset:752
	ds_load_b128 v[166:169], v1 offset:768
	s_waitcnt vmcnt(9) lgkmcnt(1)
	v_mul_f64 v[174:175], v[40:41], v[4:5]
	v_mul_f64 v[4:5], v[38:39], v[4:5]
	s_waitcnt vmcnt(8) lgkmcnt(0)
	v_mul_f64 v[176:177], v[166:167], v[8:9]
	v_mul_f64 v[8:9], v[168:169], v[8:9]
	s_delay_alu instid0(VALU_DEP_4) | instskip(NEXT) | instid1(VALU_DEP_4)
	v_fma_f64 v[174:175], v[38:39], v[2:3], -v[174:175]
	v_fma_f64 v[178:179], v[40:41], v[2:3], v[4:5]
	ds_load_b128 v[2:5], v1 offset:784
	scratch_load_b128 v[38:41], off, off offset:256
	v_fma_f64 v[176:177], v[168:169], v[6:7], v[176:177]
	v_fma_f64 v[182:183], v[166:167], v[6:7], -v[8:9]
	scratch_load_b128 v[166:169], off, off offset:272
	ds_load_b128 v[6:9], v1 offset:800
	s_waitcnt vmcnt(9) lgkmcnt(1)
	v_mul_f64 v[180:181], v[2:3], v[12:13]
	v_mul_f64 v[12:13], v[4:5], v[12:13]
	s_waitcnt vmcnt(8) lgkmcnt(0)
	v_mul_f64 v[184:185], v[6:7], v[16:17]
	v_mul_f64 v[16:17], v[8:9], v[16:17]
	v_add_f64 v[174:175], v[174:175], 0
	v_add_f64 v[178:179], v[178:179], 0
	v_fma_f64 v[180:181], v[4:5], v[10:11], v[180:181]
	v_fma_f64 v[186:187], v[2:3], v[10:11], -v[12:13]
	ds_load_b128 v[2:5], v1 offset:816
	scratch_load_b128 v[10:13], off, off offset:288
	v_add_f64 v[174:175], v[174:175], v[182:183]
	v_add_f64 v[176:177], v[178:179], v[176:177]
	v_fma_f64 v[182:183], v[8:9], v[14:15], v[184:185]
	v_fma_f64 v[184:185], v[6:7], v[14:15], -v[16:17]
	scratch_load_b128 v[14:17], off, off offset:304
	ds_load_b128 v[6:9], v1 offset:832
	s_waitcnt vmcnt(9) lgkmcnt(1)
	v_mul_f64 v[178:179], v[2:3], v[20:21]
	v_mul_f64 v[20:21], v[4:5], v[20:21]
	v_add_f64 v[174:175], v[174:175], v[186:187]
	v_add_f64 v[176:177], v[176:177], v[180:181]
	s_waitcnt vmcnt(8) lgkmcnt(0)
	v_mul_f64 v[180:181], v[6:7], v[24:25]
	v_mul_f64 v[24:25], v[8:9], v[24:25]
	v_fma_f64 v[178:179], v[4:5], v[18:19], v[178:179]
	v_fma_f64 v[186:187], v[2:3], v[18:19], -v[20:21]
	ds_load_b128 v[2:5], v1 offset:848
	scratch_load_b128 v[18:21], off, off offset:320
	v_add_f64 v[174:175], v[174:175], v[184:185]
	v_add_f64 v[176:177], v[176:177], v[182:183]
	v_fma_f64 v[180:181], v[8:9], v[22:23], v[180:181]
	v_fma_f64 v[184:185], v[6:7], v[22:23], -v[24:25]
	scratch_load_b128 v[22:25], off, off offset:336
	ds_load_b128 v[6:9], v1 offset:864
	s_waitcnt vmcnt(9) lgkmcnt(1)
	v_mul_f64 v[182:183], v[2:3], v[28:29]
	v_mul_f64 v[28:29], v[4:5], v[28:29]
	v_add_f64 v[174:175], v[174:175], v[186:187]
	v_add_f64 v[176:177], v[176:177], v[178:179]
	s_waitcnt vmcnt(8) lgkmcnt(0)
	v_mul_f64 v[178:179], v[6:7], v[32:33]
	v_mul_f64 v[32:33], v[8:9], v[32:33]
	;; [unrolled: 18-line block ×8, first 2 shown]
	v_fma_f64 v[182:183], v[4:5], v[34:35], v[182:183]
	v_fma_f64 v[186:187], v[2:3], v[34:35], -v[36:37]
	ds_load_b128 v[2:5], v1 offset:1072
	scratch_load_b128 v[34:37], off, off offset:544
	v_add_f64 v[174:175], v[174:175], v[184:185]
	v_add_f64 v[176:177], v[176:177], v[180:181]
	v_fma_f64 v[178:179], v[8:9], v[170:171], v[178:179]
	v_fma_f64 v[184:185], v[6:7], v[170:171], -v[172:173]
	ds_load_b128 v[6:9], v1 offset:1088
	s_waitcnt vmcnt(8) lgkmcnt(1)
	v_mul_f64 v[180:181], v[2:3], v[40:41]
	v_mul_f64 v[40:41], v[4:5], v[40:41]
	scratch_load_b128 v[170:173], off, off offset:560
	v_add_f64 v[174:175], v[174:175], v[186:187]
	v_add_f64 v[176:177], v[176:177], v[182:183]
	s_waitcnt vmcnt(8) lgkmcnt(0)
	v_mul_f64 v[182:183], v[6:7], v[168:169]
	v_mul_f64 v[168:169], v[8:9], v[168:169]
	v_fma_f64 v[180:181], v[4:5], v[38:39], v[180:181]
	v_fma_f64 v[186:187], v[2:3], v[38:39], -v[40:41]
	scratch_load_b128 v[38:41], off, off offset:576
	ds_load_b128 v[2:5], v1 offset:1104
	v_add_f64 v[174:175], v[174:175], v[184:185]
	v_add_f64 v[176:177], v[176:177], v[178:179]
	v_fma_f64 v[182:183], v[8:9], v[166:167], v[182:183]
	v_fma_f64 v[184:185], v[6:7], v[166:167], -v[168:169]
	ds_load_b128 v[6:9], v1 offset:1120
	s_waitcnt vmcnt(8) lgkmcnt(1)
	v_mul_f64 v[178:179], v[2:3], v[12:13]
	v_mul_f64 v[12:13], v[4:5], v[12:13]
	scratch_load_b128 v[166:169], off, off offset:592
	v_add_f64 v[174:175], v[174:175], v[186:187]
	v_add_f64 v[176:177], v[176:177], v[180:181]
	s_waitcnt vmcnt(8) lgkmcnt(0)
	v_mul_f64 v[180:181], v[6:7], v[16:17]
	v_mul_f64 v[16:17], v[8:9], v[16:17]
	v_fma_f64 v[178:179], v[4:5], v[10:11], v[178:179]
	v_fma_f64 v[186:187], v[2:3], v[10:11], -v[12:13]
	scratch_load_b128 v[10:13], off, off offset:608
	ds_load_b128 v[2:5], v1 offset:1136
	;; [unrolled: 18-line block ×3, first 2 shown]
	v_add_f64 v[174:175], v[174:175], v[184:185]
	v_add_f64 v[176:177], v[176:177], v[180:181]
	v_fma_f64 v[178:179], v[8:9], v[22:23], v[178:179]
	v_fma_f64 v[22:23], v[6:7], v[22:23], -v[24:25]
	ds_load_b128 v[6:9], v1 offset:1184
	s_waitcnt vmcnt(8) lgkmcnt(1)
	v_mul_f64 v[180:181], v[2:3], v[28:29]
	v_mul_f64 v[28:29], v[4:5], v[28:29]
	v_add_f64 v[24:25], v[174:175], v[186:187]
	v_add_f64 v[174:175], v[176:177], v[182:183]
	s_waitcnt vmcnt(7) lgkmcnt(0)
	v_mul_f64 v[176:177], v[6:7], v[32:33]
	v_mul_f64 v[32:33], v[8:9], v[32:33]
	v_fma_f64 v[180:181], v[4:5], v[26:27], v[180:181]
	v_fma_f64 v[26:27], v[2:3], v[26:27], -v[28:29]
	ds_load_b128 v[2:5], v1 offset:1200
	v_add_f64 v[22:23], v[24:25], v[22:23]
	v_add_f64 v[24:25], v[174:175], v[178:179]
	v_fma_f64 v[174:175], v[8:9], v[30:31], v[176:177]
	v_fma_f64 v[30:31], v[6:7], v[30:31], -v[32:33]
	ds_load_b128 v[6:9], v1 offset:1216
	s_waitcnt vmcnt(5) lgkmcnt(0)
	v_mul_f64 v[176:177], v[6:7], v[172:173]
	v_mul_f64 v[172:173], v[8:9], v[172:173]
	v_add_f64 v[26:27], v[22:23], v[26:27]
	v_add_f64 v[32:33], v[24:25], v[180:181]
	scratch_load_b128 v[22:25], off, off offset:80
	v_mul_f64 v[28:29], v[2:3], v[36:37]
	v_mul_f64 v[36:37], v[4:5], v[36:37]
	v_add_f64 v[26:27], v[26:27], v[30:31]
	v_add_f64 v[30:31], v[32:33], v[174:175]
	s_delay_alu instid0(VALU_DEP_4) | instskip(NEXT) | instid1(VALU_DEP_4)
	v_fma_f64 v[28:29], v[4:5], v[34:35], v[28:29]
	v_fma_f64 v[34:35], v[2:3], v[34:35], -v[36:37]
	ds_load_b128 v[2:5], v1 offset:1232
	s_waitcnt vmcnt(5) lgkmcnt(0)
	v_mul_f64 v[32:33], v[2:3], v[40:41]
	v_mul_f64 v[36:37], v[4:5], v[40:41]
	v_fma_f64 v[40:41], v[8:9], v[170:171], v[176:177]
	v_fma_f64 v[170:171], v[6:7], v[170:171], -v[172:173]
	ds_load_b128 v[6:9], v1 offset:1248
	v_add_f64 v[28:29], v[30:31], v[28:29]
	v_add_f64 v[26:27], v[26:27], v[34:35]
	v_fma_f64 v[32:33], v[4:5], v[38:39], v[32:33]
	v_fma_f64 v[36:37], v[2:3], v[38:39], -v[36:37]
	ds_load_b128 v[2:5], v1 offset:1264
	s_waitcnt vmcnt(4) lgkmcnt(1)
	v_mul_f64 v[30:31], v[6:7], v[168:169]
	v_mul_f64 v[34:35], v[8:9], v[168:169]
	v_add_f64 v[28:29], v[28:29], v[40:41]
	v_add_f64 v[26:27], v[26:27], v[170:171]
	s_waitcnt vmcnt(3) lgkmcnt(0)
	v_mul_f64 v[38:39], v[2:3], v[12:13]
	v_mul_f64 v[12:13], v[4:5], v[12:13]
	v_fma_f64 v[30:31], v[8:9], v[166:167], v[30:31]
	v_fma_f64 v[34:35], v[6:7], v[166:167], -v[34:35]
	ds_load_b128 v[6:9], v1 offset:1280
	v_add_f64 v[28:29], v[28:29], v[32:33]
	v_add_f64 v[26:27], v[26:27], v[36:37]
	v_fma_f64 v[36:37], v[4:5], v[10:11], v[38:39]
	v_fma_f64 v[10:11], v[2:3], v[10:11], -v[12:13]
	ds_load_b128 v[2:5], v1 offset:1296
	s_waitcnt vmcnt(2) lgkmcnt(1)
	v_mul_f64 v[32:33], v[6:7], v[16:17]
	v_mul_f64 v[16:17], v[8:9], v[16:17]
	v_add_f64 v[12:13], v[26:27], v[34:35]
	v_add_f64 v[26:27], v[28:29], v[30:31]
	s_waitcnt vmcnt(1) lgkmcnt(0)
	v_mul_f64 v[28:29], v[2:3], v[20:21]
	v_mul_f64 v[20:21], v[4:5], v[20:21]
	v_fma_f64 v[8:9], v[8:9], v[14:15], v[32:33]
	v_fma_f64 v[6:7], v[6:7], v[14:15], -v[16:17]
	v_add_f64 v[10:11], v[12:13], v[10:11]
	v_add_f64 v[12:13], v[26:27], v[36:37]
	v_fma_f64 v[4:5], v[4:5], v[18:19], v[28:29]
	v_fma_f64 v[2:3], v[2:3], v[18:19], -v[20:21]
	s_delay_alu instid0(VALU_DEP_4) | instskip(NEXT) | instid1(VALU_DEP_4)
	v_add_f64 v[6:7], v[10:11], v[6:7]
	v_add_f64 v[8:9], v[12:13], v[8:9]
	s_delay_alu instid0(VALU_DEP_2) | instskip(NEXT) | instid1(VALU_DEP_2)
	v_add_f64 v[2:3], v[6:7], v[2:3]
	v_add_f64 v[4:5], v[8:9], v[4:5]
	s_waitcnt vmcnt(0)
	s_delay_alu instid0(VALU_DEP_2) | instskip(NEXT) | instid1(VALU_DEP_2)
	v_add_f64 v[2:3], v[22:23], -v[2:3]
	v_add_f64 v[4:5], v[24:25], -v[4:5]
	scratch_store_b128 off, v[2:5], off offset:80
	v_cmpx_lt_u32_e32 4, v124
	s_cbranch_execz .LBB104_251
; %bb.250:
	scratch_load_b128 v[5:8], v143, off
	v_mov_b32_e32 v2, v1
	v_mov_b32_e32 v3, v1
	;; [unrolled: 1-line block ×3, first 2 shown]
	scratch_store_b128 off, v[1:4], off offset:64
	s_waitcnt vmcnt(0)
	ds_store_b128 v165, v[5:8]
.LBB104_251:
	s_or_b32 exec_lo, exec_lo, s2
	s_waitcnt lgkmcnt(0)
	s_waitcnt_vscnt null, 0x0
	s_barrier
	buffer_gl0_inv
	s_clause 0x7
	scratch_load_b128 v[2:5], off, off offset:80
	scratch_load_b128 v[6:9], off, off offset:96
	;; [unrolled: 1-line block ×8, first 2 shown]
	ds_load_b128 v[38:41], v1 offset:736
	ds_load_b128 v[166:169], v1 offset:752
	s_clause 0x1
	scratch_load_b128 v[34:37], off, off offset:208
	scratch_load_b128 v[170:173], off, off offset:224
	s_mov_b32 s2, exec_lo
	s_waitcnt vmcnt(9) lgkmcnt(1)
	v_mul_f64 v[174:175], v[40:41], v[4:5]
	v_mul_f64 v[4:5], v[38:39], v[4:5]
	s_waitcnt vmcnt(8) lgkmcnt(0)
	v_mul_f64 v[176:177], v[166:167], v[8:9]
	v_mul_f64 v[8:9], v[168:169], v[8:9]
	s_delay_alu instid0(VALU_DEP_4) | instskip(NEXT) | instid1(VALU_DEP_4)
	v_fma_f64 v[174:175], v[38:39], v[2:3], -v[174:175]
	v_fma_f64 v[178:179], v[40:41], v[2:3], v[4:5]
	ds_load_b128 v[2:5], v1 offset:768
	scratch_load_b128 v[38:41], off, off offset:240
	v_fma_f64 v[176:177], v[168:169], v[6:7], v[176:177]
	v_fma_f64 v[182:183], v[166:167], v[6:7], -v[8:9]
	scratch_load_b128 v[166:169], off, off offset:256
	ds_load_b128 v[6:9], v1 offset:784
	s_waitcnt vmcnt(9) lgkmcnt(1)
	v_mul_f64 v[180:181], v[2:3], v[12:13]
	v_mul_f64 v[12:13], v[4:5], v[12:13]
	s_waitcnt vmcnt(8) lgkmcnt(0)
	v_mul_f64 v[184:185], v[6:7], v[16:17]
	v_mul_f64 v[16:17], v[8:9], v[16:17]
	v_add_f64 v[174:175], v[174:175], 0
	v_add_f64 v[178:179], v[178:179], 0
	v_fma_f64 v[180:181], v[4:5], v[10:11], v[180:181]
	v_fma_f64 v[186:187], v[2:3], v[10:11], -v[12:13]
	ds_load_b128 v[2:5], v1 offset:800
	scratch_load_b128 v[10:13], off, off offset:272
	v_add_f64 v[174:175], v[174:175], v[182:183]
	v_add_f64 v[176:177], v[178:179], v[176:177]
	v_fma_f64 v[182:183], v[8:9], v[14:15], v[184:185]
	v_fma_f64 v[184:185], v[6:7], v[14:15], -v[16:17]
	scratch_load_b128 v[14:17], off, off offset:288
	ds_load_b128 v[6:9], v1 offset:816
	s_waitcnt vmcnt(9) lgkmcnt(1)
	v_mul_f64 v[178:179], v[2:3], v[20:21]
	v_mul_f64 v[20:21], v[4:5], v[20:21]
	v_add_f64 v[174:175], v[174:175], v[186:187]
	v_add_f64 v[176:177], v[176:177], v[180:181]
	s_waitcnt vmcnt(8) lgkmcnt(0)
	v_mul_f64 v[180:181], v[6:7], v[24:25]
	v_mul_f64 v[24:25], v[8:9], v[24:25]
	v_fma_f64 v[178:179], v[4:5], v[18:19], v[178:179]
	v_fma_f64 v[186:187], v[2:3], v[18:19], -v[20:21]
	ds_load_b128 v[2:5], v1 offset:832
	scratch_load_b128 v[18:21], off, off offset:304
	v_add_f64 v[174:175], v[174:175], v[184:185]
	v_add_f64 v[176:177], v[176:177], v[182:183]
	v_fma_f64 v[180:181], v[8:9], v[22:23], v[180:181]
	v_fma_f64 v[184:185], v[6:7], v[22:23], -v[24:25]
	scratch_load_b128 v[22:25], off, off offset:320
	ds_load_b128 v[6:9], v1 offset:848
	s_waitcnt vmcnt(9) lgkmcnt(1)
	v_mul_f64 v[182:183], v[2:3], v[28:29]
	v_mul_f64 v[28:29], v[4:5], v[28:29]
	v_add_f64 v[174:175], v[174:175], v[186:187]
	v_add_f64 v[176:177], v[176:177], v[178:179]
	s_waitcnt vmcnt(8) lgkmcnt(0)
	v_mul_f64 v[178:179], v[6:7], v[32:33]
	v_mul_f64 v[32:33], v[8:9], v[32:33]
	;; [unrolled: 18-line block ×8, first 2 shown]
	v_fma_f64 v[182:183], v[4:5], v[34:35], v[182:183]
	v_fma_f64 v[186:187], v[2:3], v[34:35], -v[36:37]
	ds_load_b128 v[2:5], v1 offset:1056
	scratch_load_b128 v[34:37], off, off offset:528
	v_add_f64 v[174:175], v[174:175], v[184:185]
	v_add_f64 v[176:177], v[176:177], v[180:181]
	v_fma_f64 v[178:179], v[8:9], v[170:171], v[178:179]
	v_fma_f64 v[184:185], v[6:7], v[170:171], -v[172:173]
	ds_load_b128 v[6:9], v1 offset:1072
	s_waitcnt vmcnt(8) lgkmcnt(1)
	v_mul_f64 v[180:181], v[2:3], v[40:41]
	v_mul_f64 v[40:41], v[4:5], v[40:41]
	scratch_load_b128 v[170:173], off, off offset:544
	v_add_f64 v[174:175], v[174:175], v[186:187]
	v_add_f64 v[176:177], v[176:177], v[182:183]
	s_waitcnt vmcnt(8) lgkmcnt(0)
	v_mul_f64 v[182:183], v[6:7], v[168:169]
	v_mul_f64 v[168:169], v[8:9], v[168:169]
	v_fma_f64 v[180:181], v[4:5], v[38:39], v[180:181]
	v_fma_f64 v[186:187], v[2:3], v[38:39], -v[40:41]
	ds_load_b128 v[2:5], v1 offset:1088
	scratch_load_b128 v[38:41], off, off offset:560
	v_add_f64 v[174:175], v[174:175], v[184:185]
	v_add_f64 v[176:177], v[176:177], v[178:179]
	v_fma_f64 v[182:183], v[8:9], v[166:167], v[182:183]
	v_fma_f64 v[184:185], v[6:7], v[166:167], -v[168:169]
	ds_load_b128 v[6:9], v1 offset:1104
	s_waitcnt vmcnt(8) lgkmcnt(1)
	v_mul_f64 v[178:179], v[2:3], v[12:13]
	v_mul_f64 v[12:13], v[4:5], v[12:13]
	scratch_load_b128 v[166:169], off, off offset:576
	v_add_f64 v[174:175], v[174:175], v[186:187]
	v_add_f64 v[176:177], v[176:177], v[180:181]
	s_waitcnt vmcnt(8) lgkmcnt(0)
	v_mul_f64 v[180:181], v[6:7], v[16:17]
	v_mul_f64 v[16:17], v[8:9], v[16:17]
	v_fma_f64 v[178:179], v[4:5], v[10:11], v[178:179]
	v_fma_f64 v[186:187], v[2:3], v[10:11], -v[12:13]
	scratch_load_b128 v[10:13], off, off offset:592
	ds_load_b128 v[2:5], v1 offset:1120
	v_add_f64 v[174:175], v[174:175], v[184:185]
	v_add_f64 v[176:177], v[176:177], v[182:183]
	v_fma_f64 v[180:181], v[8:9], v[14:15], v[180:181]
	v_fma_f64 v[184:185], v[6:7], v[14:15], -v[16:17]
	ds_load_b128 v[6:9], v1 offset:1136
	s_waitcnt vmcnt(8) lgkmcnt(1)
	v_mul_f64 v[182:183], v[2:3], v[20:21]
	v_mul_f64 v[20:21], v[4:5], v[20:21]
	scratch_load_b128 v[14:17], off, off offset:608
	v_add_f64 v[174:175], v[174:175], v[186:187]
	v_add_f64 v[176:177], v[176:177], v[178:179]
	s_waitcnt vmcnt(8) lgkmcnt(0)
	v_mul_f64 v[178:179], v[6:7], v[24:25]
	v_mul_f64 v[24:25], v[8:9], v[24:25]
	v_fma_f64 v[182:183], v[4:5], v[18:19], v[182:183]
	v_fma_f64 v[186:187], v[2:3], v[18:19], -v[20:21]
	scratch_load_b128 v[18:21], off, off offset:624
	ds_load_b128 v[2:5], v1 offset:1152
	v_add_f64 v[174:175], v[174:175], v[184:185]
	v_add_f64 v[176:177], v[176:177], v[180:181]
	v_fma_f64 v[178:179], v[8:9], v[22:23], v[178:179]
	v_fma_f64 v[184:185], v[6:7], v[22:23], -v[24:25]
	ds_load_b128 v[6:9], v1 offset:1168
	s_waitcnt vmcnt(8) lgkmcnt(1)
	v_mul_f64 v[180:181], v[2:3], v[28:29]
	v_mul_f64 v[28:29], v[4:5], v[28:29]
	scratch_load_b128 v[22:25], off, off offset:640
	v_add_f64 v[174:175], v[174:175], v[186:187]
	v_add_f64 v[176:177], v[176:177], v[182:183]
	s_waitcnt vmcnt(8) lgkmcnt(0)
	v_mul_f64 v[182:183], v[6:7], v[32:33]
	v_mul_f64 v[32:33], v[8:9], v[32:33]
	v_fma_f64 v[180:181], v[4:5], v[26:27], v[180:181]
	v_fma_f64 v[26:27], v[2:3], v[26:27], -v[28:29]
	ds_load_b128 v[2:5], v1 offset:1184
	v_add_f64 v[28:29], v[174:175], v[184:185]
	v_add_f64 v[174:175], v[176:177], v[178:179]
	v_fma_f64 v[178:179], v[8:9], v[30:31], v[182:183]
	v_fma_f64 v[30:31], v[6:7], v[30:31], -v[32:33]
	ds_load_b128 v[6:9], v1 offset:1200
	s_waitcnt vmcnt(7) lgkmcnt(1)
	v_mul_f64 v[176:177], v[2:3], v[36:37]
	v_mul_f64 v[36:37], v[4:5], v[36:37]
	v_add_f64 v[26:27], v[28:29], v[26:27]
	v_add_f64 v[28:29], v[174:175], v[180:181]
	s_delay_alu instid0(VALU_DEP_4) | instskip(NEXT) | instid1(VALU_DEP_4)
	v_fma_f64 v[174:175], v[4:5], v[34:35], v[176:177]
	v_fma_f64 v[34:35], v[2:3], v[34:35], -v[36:37]
	ds_load_b128 v[2:5], v1 offset:1216
	v_add_f64 v[30:31], v[26:27], v[30:31]
	v_add_f64 v[36:37], v[28:29], v[178:179]
	scratch_load_b128 v[26:29], off, off offset:64
	s_waitcnt vmcnt(7) lgkmcnt(1)
	v_mul_f64 v[32:33], v[6:7], v[172:173]
	v_mul_f64 v[172:173], v[8:9], v[172:173]
	v_add_f64 v[30:31], v[30:31], v[34:35]
	v_add_f64 v[34:35], v[36:37], v[174:175]
	s_delay_alu instid0(VALU_DEP_4) | instskip(NEXT) | instid1(VALU_DEP_4)
	v_fma_f64 v[32:33], v[8:9], v[170:171], v[32:33]
	v_fma_f64 v[170:171], v[6:7], v[170:171], -v[172:173]
	ds_load_b128 v[6:9], v1 offset:1232
	s_waitcnt vmcnt(6) lgkmcnt(1)
	v_mul_f64 v[176:177], v[2:3], v[40:41]
	v_mul_f64 v[40:41], v[4:5], v[40:41]
	s_waitcnt vmcnt(5) lgkmcnt(0)
	v_mul_f64 v[36:37], v[6:7], v[168:169]
	v_mul_f64 v[168:169], v[8:9], v[168:169]
	v_add_f64 v[32:33], v[34:35], v[32:33]
	v_add_f64 v[30:31], v[30:31], v[170:171]
	v_fma_f64 v[172:173], v[4:5], v[38:39], v[176:177]
	v_fma_f64 v[38:39], v[2:3], v[38:39], -v[40:41]
	ds_load_b128 v[2:5], v1 offset:1248
	v_fma_f64 v[36:37], v[8:9], v[166:167], v[36:37]
	v_fma_f64 v[40:41], v[6:7], v[166:167], -v[168:169]
	ds_load_b128 v[6:9], v1 offset:1264
	s_waitcnt vmcnt(4) lgkmcnt(1)
	v_mul_f64 v[34:35], v[2:3], v[12:13]
	v_mul_f64 v[12:13], v[4:5], v[12:13]
	v_add_f64 v[32:33], v[32:33], v[172:173]
	v_add_f64 v[30:31], v[30:31], v[38:39]
	s_waitcnt vmcnt(3) lgkmcnt(0)
	v_mul_f64 v[38:39], v[6:7], v[16:17]
	v_mul_f64 v[16:17], v[8:9], v[16:17]
	v_fma_f64 v[34:35], v[4:5], v[10:11], v[34:35]
	v_fma_f64 v[10:11], v[2:3], v[10:11], -v[12:13]
	ds_load_b128 v[2:5], v1 offset:1280
	v_add_f64 v[12:13], v[30:31], v[40:41]
	v_add_f64 v[30:31], v[32:33], v[36:37]
	v_fma_f64 v[36:37], v[8:9], v[14:15], v[38:39]
	v_fma_f64 v[14:15], v[6:7], v[14:15], -v[16:17]
	ds_load_b128 v[6:9], v1 offset:1296
	s_waitcnt vmcnt(2) lgkmcnt(1)
	v_mul_f64 v[32:33], v[2:3], v[20:21]
	v_mul_f64 v[20:21], v[4:5], v[20:21]
	s_waitcnt vmcnt(1) lgkmcnt(0)
	v_mul_f64 v[16:17], v[6:7], v[24:25]
	v_mul_f64 v[24:25], v[8:9], v[24:25]
	v_add_f64 v[10:11], v[12:13], v[10:11]
	v_add_f64 v[12:13], v[30:31], v[34:35]
	v_fma_f64 v[4:5], v[4:5], v[18:19], v[32:33]
	v_fma_f64 v[1:2], v[2:3], v[18:19], -v[20:21]
	v_fma_f64 v[8:9], v[8:9], v[22:23], v[16:17]
	v_fma_f64 v[6:7], v[6:7], v[22:23], -v[24:25]
	v_add_f64 v[10:11], v[10:11], v[14:15]
	v_add_f64 v[12:13], v[12:13], v[36:37]
	s_delay_alu instid0(VALU_DEP_2) | instskip(NEXT) | instid1(VALU_DEP_2)
	v_add_f64 v[1:2], v[10:11], v[1:2]
	v_add_f64 v[3:4], v[12:13], v[4:5]
	s_delay_alu instid0(VALU_DEP_2) | instskip(NEXT) | instid1(VALU_DEP_2)
	v_add_f64 v[1:2], v[1:2], v[6:7]
	v_add_f64 v[3:4], v[3:4], v[8:9]
	s_waitcnt vmcnt(0)
	s_delay_alu instid0(VALU_DEP_2) | instskip(NEXT) | instid1(VALU_DEP_2)
	v_add_f64 v[1:2], v[26:27], -v[1:2]
	v_add_f64 v[3:4], v[28:29], -v[3:4]
	scratch_store_b128 off, v[1:4], off offset:64
	v_cmpx_lt_u32_e32 3, v124
	s_cbranch_execz .LBB104_253
; %bb.252:
	scratch_load_b128 v[1:4], v144, off
	v_mov_b32_e32 v5, 0
	s_delay_alu instid0(VALU_DEP_1)
	v_mov_b32_e32 v6, v5
	v_mov_b32_e32 v7, v5
	;; [unrolled: 1-line block ×3, first 2 shown]
	scratch_store_b128 off, v[5:8], off offset:48
	s_waitcnt vmcnt(0)
	ds_store_b128 v165, v[1:4]
.LBB104_253:
	s_or_b32 exec_lo, exec_lo, s2
	s_waitcnt lgkmcnt(0)
	s_waitcnt_vscnt null, 0x0
	s_barrier
	buffer_gl0_inv
	s_clause 0x7
	scratch_load_b128 v[2:5], off, off offset:64
	scratch_load_b128 v[6:9], off, off offset:80
	;; [unrolled: 1-line block ×8, first 2 shown]
	v_mov_b32_e32 v1, 0
	s_clause 0x1
	scratch_load_b128 v[34:37], off, off offset:192
	scratch_load_b128 v[170:173], off, off offset:208
	s_mov_b32 s2, exec_lo
	ds_load_b128 v[38:41], v1 offset:720
	ds_load_b128 v[166:169], v1 offset:736
	s_waitcnt vmcnt(9) lgkmcnt(1)
	v_mul_f64 v[174:175], v[40:41], v[4:5]
	v_mul_f64 v[4:5], v[38:39], v[4:5]
	s_waitcnt vmcnt(8) lgkmcnt(0)
	v_mul_f64 v[176:177], v[166:167], v[8:9]
	v_mul_f64 v[8:9], v[168:169], v[8:9]
	s_delay_alu instid0(VALU_DEP_4) | instskip(NEXT) | instid1(VALU_DEP_4)
	v_fma_f64 v[174:175], v[38:39], v[2:3], -v[174:175]
	v_fma_f64 v[178:179], v[40:41], v[2:3], v[4:5]
	ds_load_b128 v[2:5], v1 offset:752
	scratch_load_b128 v[38:41], off, off offset:224
	v_fma_f64 v[176:177], v[168:169], v[6:7], v[176:177]
	v_fma_f64 v[182:183], v[166:167], v[6:7], -v[8:9]
	scratch_load_b128 v[166:169], off, off offset:240
	ds_load_b128 v[6:9], v1 offset:768
	s_waitcnt vmcnt(9) lgkmcnt(1)
	v_mul_f64 v[180:181], v[2:3], v[12:13]
	v_mul_f64 v[12:13], v[4:5], v[12:13]
	s_waitcnt vmcnt(8) lgkmcnt(0)
	v_mul_f64 v[184:185], v[6:7], v[16:17]
	v_mul_f64 v[16:17], v[8:9], v[16:17]
	v_add_f64 v[174:175], v[174:175], 0
	v_add_f64 v[178:179], v[178:179], 0
	v_fma_f64 v[180:181], v[4:5], v[10:11], v[180:181]
	v_fma_f64 v[186:187], v[2:3], v[10:11], -v[12:13]
	ds_load_b128 v[2:5], v1 offset:784
	scratch_load_b128 v[10:13], off, off offset:256
	v_add_f64 v[174:175], v[174:175], v[182:183]
	v_add_f64 v[176:177], v[178:179], v[176:177]
	v_fma_f64 v[182:183], v[8:9], v[14:15], v[184:185]
	v_fma_f64 v[184:185], v[6:7], v[14:15], -v[16:17]
	scratch_load_b128 v[14:17], off, off offset:272
	ds_load_b128 v[6:9], v1 offset:800
	s_waitcnt vmcnt(9) lgkmcnt(1)
	v_mul_f64 v[178:179], v[2:3], v[20:21]
	v_mul_f64 v[20:21], v[4:5], v[20:21]
	v_add_f64 v[174:175], v[174:175], v[186:187]
	v_add_f64 v[176:177], v[176:177], v[180:181]
	s_waitcnt vmcnt(8) lgkmcnt(0)
	v_mul_f64 v[180:181], v[6:7], v[24:25]
	v_mul_f64 v[24:25], v[8:9], v[24:25]
	v_fma_f64 v[178:179], v[4:5], v[18:19], v[178:179]
	v_fma_f64 v[186:187], v[2:3], v[18:19], -v[20:21]
	ds_load_b128 v[2:5], v1 offset:816
	scratch_load_b128 v[18:21], off, off offset:288
	v_add_f64 v[174:175], v[174:175], v[184:185]
	v_add_f64 v[176:177], v[176:177], v[182:183]
	v_fma_f64 v[180:181], v[8:9], v[22:23], v[180:181]
	v_fma_f64 v[184:185], v[6:7], v[22:23], -v[24:25]
	scratch_load_b128 v[22:25], off, off offset:304
	ds_load_b128 v[6:9], v1 offset:832
	s_waitcnt vmcnt(9) lgkmcnt(1)
	v_mul_f64 v[182:183], v[2:3], v[28:29]
	v_mul_f64 v[28:29], v[4:5], v[28:29]
	v_add_f64 v[174:175], v[174:175], v[186:187]
	v_add_f64 v[176:177], v[176:177], v[178:179]
	s_waitcnt vmcnt(8) lgkmcnt(0)
	v_mul_f64 v[178:179], v[6:7], v[32:33]
	v_mul_f64 v[32:33], v[8:9], v[32:33]
	;; [unrolled: 18-line block ×9, first 2 shown]
	v_fma_f64 v[180:181], v[4:5], v[38:39], v[180:181]
	v_fma_f64 v[186:187], v[2:3], v[38:39], -v[40:41]
	ds_load_b128 v[2:5], v1 offset:1072
	scratch_load_b128 v[38:41], off, off offset:544
	v_add_f64 v[174:175], v[174:175], v[184:185]
	v_add_f64 v[176:177], v[176:177], v[178:179]
	v_fma_f64 v[182:183], v[8:9], v[166:167], v[182:183]
	v_fma_f64 v[184:185], v[6:7], v[166:167], -v[168:169]
	ds_load_b128 v[6:9], v1 offset:1088
	s_waitcnt vmcnt(8) lgkmcnt(1)
	v_mul_f64 v[178:179], v[2:3], v[12:13]
	v_mul_f64 v[12:13], v[4:5], v[12:13]
	scratch_load_b128 v[166:169], off, off offset:560
	v_add_f64 v[174:175], v[174:175], v[186:187]
	v_add_f64 v[176:177], v[176:177], v[180:181]
	s_waitcnt vmcnt(8) lgkmcnt(0)
	v_mul_f64 v[180:181], v[6:7], v[16:17]
	v_mul_f64 v[16:17], v[8:9], v[16:17]
	v_fma_f64 v[178:179], v[4:5], v[10:11], v[178:179]
	v_fma_f64 v[186:187], v[2:3], v[10:11], -v[12:13]
	scratch_load_b128 v[10:13], off, off offset:576
	ds_load_b128 v[2:5], v1 offset:1104
	v_add_f64 v[174:175], v[174:175], v[184:185]
	v_add_f64 v[176:177], v[176:177], v[182:183]
	v_fma_f64 v[180:181], v[8:9], v[14:15], v[180:181]
	v_fma_f64 v[184:185], v[6:7], v[14:15], -v[16:17]
	ds_load_b128 v[6:9], v1 offset:1120
	s_waitcnt vmcnt(8) lgkmcnt(1)
	v_mul_f64 v[182:183], v[2:3], v[20:21]
	v_mul_f64 v[20:21], v[4:5], v[20:21]
	scratch_load_b128 v[14:17], off, off offset:592
	v_add_f64 v[174:175], v[174:175], v[186:187]
	v_add_f64 v[176:177], v[176:177], v[178:179]
	s_waitcnt vmcnt(8) lgkmcnt(0)
	v_mul_f64 v[178:179], v[6:7], v[24:25]
	v_mul_f64 v[24:25], v[8:9], v[24:25]
	v_fma_f64 v[182:183], v[4:5], v[18:19], v[182:183]
	v_fma_f64 v[186:187], v[2:3], v[18:19], -v[20:21]
	scratch_load_b128 v[18:21], off, off offset:608
	ds_load_b128 v[2:5], v1 offset:1136
	;; [unrolled: 18-line block ×3, first 2 shown]
	v_add_f64 v[174:175], v[174:175], v[184:185]
	v_add_f64 v[176:177], v[176:177], v[178:179]
	v_fma_f64 v[182:183], v[8:9], v[30:31], v[182:183]
	v_fma_f64 v[30:31], v[6:7], v[30:31], -v[32:33]
	ds_load_b128 v[6:9], v1 offset:1184
	s_waitcnt vmcnt(8) lgkmcnt(1)
	v_mul_f64 v[178:179], v[2:3], v[36:37]
	v_mul_f64 v[36:37], v[4:5], v[36:37]
	v_add_f64 v[32:33], v[174:175], v[186:187]
	v_add_f64 v[174:175], v[176:177], v[180:181]
	s_waitcnt vmcnt(7) lgkmcnt(0)
	v_mul_f64 v[176:177], v[6:7], v[172:173]
	v_mul_f64 v[172:173], v[8:9], v[172:173]
	v_fma_f64 v[178:179], v[4:5], v[34:35], v[178:179]
	v_fma_f64 v[34:35], v[2:3], v[34:35], -v[36:37]
	ds_load_b128 v[2:5], v1 offset:1200
	v_add_f64 v[30:31], v[32:33], v[30:31]
	v_add_f64 v[32:33], v[174:175], v[182:183]
	v_fma_f64 v[174:175], v[8:9], v[170:171], v[176:177]
	v_fma_f64 v[170:171], v[6:7], v[170:171], -v[172:173]
	ds_load_b128 v[6:9], v1 offset:1216
	s_waitcnt vmcnt(5) lgkmcnt(0)
	v_mul_f64 v[176:177], v[6:7], v[168:169]
	v_mul_f64 v[168:169], v[8:9], v[168:169]
	v_add_f64 v[34:35], v[30:31], v[34:35]
	v_add_f64 v[172:173], v[32:33], v[178:179]
	scratch_load_b128 v[30:33], off, off offset:48
	v_mul_f64 v[36:37], v[2:3], v[40:41]
	v_mul_f64 v[40:41], v[4:5], v[40:41]
	v_add_f64 v[34:35], v[34:35], v[170:171]
	s_delay_alu instid0(VALU_DEP_3) | instskip(NEXT) | instid1(VALU_DEP_3)
	v_fma_f64 v[36:37], v[4:5], v[38:39], v[36:37]
	v_fma_f64 v[38:39], v[2:3], v[38:39], -v[40:41]
	v_add_f64 v[40:41], v[172:173], v[174:175]
	ds_load_b128 v[2:5], v1 offset:1232
	v_fma_f64 v[172:173], v[8:9], v[166:167], v[176:177]
	v_fma_f64 v[166:167], v[6:7], v[166:167], -v[168:169]
	ds_load_b128 v[6:9], v1 offset:1248
	s_waitcnt vmcnt(5) lgkmcnt(1)
	v_mul_f64 v[170:171], v[2:3], v[12:13]
	v_mul_f64 v[12:13], v[4:5], v[12:13]
	v_add_f64 v[34:35], v[34:35], v[38:39]
	v_add_f64 v[36:37], v[40:41], v[36:37]
	s_waitcnt vmcnt(4) lgkmcnt(0)
	v_mul_f64 v[38:39], v[6:7], v[16:17]
	v_mul_f64 v[16:17], v[8:9], v[16:17]
	v_fma_f64 v[40:41], v[4:5], v[10:11], v[170:171]
	v_fma_f64 v[10:11], v[2:3], v[10:11], -v[12:13]
	ds_load_b128 v[2:5], v1 offset:1264
	v_add_f64 v[12:13], v[34:35], v[166:167]
	v_add_f64 v[34:35], v[36:37], v[172:173]
	v_fma_f64 v[38:39], v[8:9], v[14:15], v[38:39]
	v_fma_f64 v[14:15], v[6:7], v[14:15], -v[16:17]
	ds_load_b128 v[6:9], v1 offset:1280
	s_waitcnt vmcnt(3) lgkmcnt(1)
	v_mul_f64 v[36:37], v[2:3], v[20:21]
	v_mul_f64 v[20:21], v[4:5], v[20:21]
	s_waitcnt vmcnt(2) lgkmcnt(0)
	v_mul_f64 v[16:17], v[6:7], v[24:25]
	v_mul_f64 v[24:25], v[8:9], v[24:25]
	v_add_f64 v[10:11], v[12:13], v[10:11]
	v_add_f64 v[12:13], v[34:35], v[40:41]
	v_fma_f64 v[34:35], v[4:5], v[18:19], v[36:37]
	v_fma_f64 v[18:19], v[2:3], v[18:19], -v[20:21]
	ds_load_b128 v[2:5], v1 offset:1296
	v_fma_f64 v[8:9], v[8:9], v[22:23], v[16:17]
	v_fma_f64 v[6:7], v[6:7], v[22:23], -v[24:25]
	s_waitcnt vmcnt(1) lgkmcnt(0)
	v_mul_f64 v[20:21], v[4:5], v[28:29]
	v_add_f64 v[10:11], v[10:11], v[14:15]
	v_add_f64 v[12:13], v[12:13], v[38:39]
	v_mul_f64 v[14:15], v[2:3], v[28:29]
	s_delay_alu instid0(VALU_DEP_4) | instskip(NEXT) | instid1(VALU_DEP_4)
	v_fma_f64 v[2:3], v[2:3], v[26:27], -v[20:21]
	v_add_f64 v[10:11], v[10:11], v[18:19]
	s_delay_alu instid0(VALU_DEP_4) | instskip(NEXT) | instid1(VALU_DEP_4)
	v_add_f64 v[12:13], v[12:13], v[34:35]
	v_fma_f64 v[4:5], v[4:5], v[26:27], v[14:15]
	s_delay_alu instid0(VALU_DEP_3) | instskip(NEXT) | instid1(VALU_DEP_3)
	v_add_f64 v[6:7], v[10:11], v[6:7]
	v_add_f64 v[8:9], v[12:13], v[8:9]
	s_delay_alu instid0(VALU_DEP_2) | instskip(NEXT) | instid1(VALU_DEP_2)
	v_add_f64 v[2:3], v[6:7], v[2:3]
	v_add_f64 v[4:5], v[8:9], v[4:5]
	s_waitcnt vmcnt(0)
	s_delay_alu instid0(VALU_DEP_2) | instskip(NEXT) | instid1(VALU_DEP_2)
	v_add_f64 v[2:3], v[30:31], -v[2:3]
	v_add_f64 v[4:5], v[32:33], -v[4:5]
	scratch_store_b128 off, v[2:5], off offset:48
	v_cmpx_lt_u32_e32 2, v124
	s_cbranch_execz .LBB104_255
; %bb.254:
	scratch_load_b128 v[5:8], v145, off
	v_mov_b32_e32 v2, v1
	v_mov_b32_e32 v3, v1
	;; [unrolled: 1-line block ×3, first 2 shown]
	scratch_store_b128 off, v[1:4], off offset:32
	s_waitcnt vmcnt(0)
	ds_store_b128 v165, v[5:8]
.LBB104_255:
	s_or_b32 exec_lo, exec_lo, s2
	s_waitcnt lgkmcnt(0)
	s_waitcnt_vscnt null, 0x0
	s_barrier
	buffer_gl0_inv
	s_clause 0x7
	scratch_load_b128 v[2:5], off, off offset:48
	scratch_load_b128 v[6:9], off, off offset:64
	;; [unrolled: 1-line block ×8, first 2 shown]
	ds_load_b128 v[38:41], v1 offset:704
	ds_load_b128 v[166:169], v1 offset:720
	s_clause 0x1
	scratch_load_b128 v[34:37], off, off offset:176
	scratch_load_b128 v[170:173], off, off offset:192
	s_mov_b32 s2, exec_lo
	s_waitcnt vmcnt(9) lgkmcnt(1)
	v_mul_f64 v[174:175], v[40:41], v[4:5]
	v_mul_f64 v[4:5], v[38:39], v[4:5]
	s_waitcnt vmcnt(8) lgkmcnt(0)
	v_mul_f64 v[176:177], v[166:167], v[8:9]
	v_mul_f64 v[8:9], v[168:169], v[8:9]
	s_delay_alu instid0(VALU_DEP_4) | instskip(NEXT) | instid1(VALU_DEP_4)
	v_fma_f64 v[174:175], v[38:39], v[2:3], -v[174:175]
	v_fma_f64 v[178:179], v[40:41], v[2:3], v[4:5]
	ds_load_b128 v[2:5], v1 offset:736
	scratch_load_b128 v[38:41], off, off offset:208
	v_fma_f64 v[176:177], v[168:169], v[6:7], v[176:177]
	v_fma_f64 v[182:183], v[166:167], v[6:7], -v[8:9]
	scratch_load_b128 v[166:169], off, off offset:224
	ds_load_b128 v[6:9], v1 offset:752
	s_waitcnt vmcnt(9) lgkmcnt(1)
	v_mul_f64 v[180:181], v[2:3], v[12:13]
	v_mul_f64 v[12:13], v[4:5], v[12:13]
	s_waitcnt vmcnt(8) lgkmcnt(0)
	v_mul_f64 v[184:185], v[6:7], v[16:17]
	v_mul_f64 v[16:17], v[8:9], v[16:17]
	v_add_f64 v[174:175], v[174:175], 0
	v_add_f64 v[178:179], v[178:179], 0
	v_fma_f64 v[180:181], v[4:5], v[10:11], v[180:181]
	v_fma_f64 v[186:187], v[2:3], v[10:11], -v[12:13]
	ds_load_b128 v[2:5], v1 offset:768
	scratch_load_b128 v[10:13], off, off offset:240
	v_add_f64 v[174:175], v[174:175], v[182:183]
	v_add_f64 v[176:177], v[178:179], v[176:177]
	v_fma_f64 v[182:183], v[8:9], v[14:15], v[184:185]
	v_fma_f64 v[184:185], v[6:7], v[14:15], -v[16:17]
	scratch_load_b128 v[14:17], off, off offset:256
	ds_load_b128 v[6:9], v1 offset:784
	s_waitcnt vmcnt(9) lgkmcnt(1)
	v_mul_f64 v[178:179], v[2:3], v[20:21]
	v_mul_f64 v[20:21], v[4:5], v[20:21]
	v_add_f64 v[174:175], v[174:175], v[186:187]
	v_add_f64 v[176:177], v[176:177], v[180:181]
	s_waitcnt vmcnt(8) lgkmcnt(0)
	v_mul_f64 v[180:181], v[6:7], v[24:25]
	v_mul_f64 v[24:25], v[8:9], v[24:25]
	v_fma_f64 v[178:179], v[4:5], v[18:19], v[178:179]
	v_fma_f64 v[186:187], v[2:3], v[18:19], -v[20:21]
	ds_load_b128 v[2:5], v1 offset:800
	scratch_load_b128 v[18:21], off, off offset:272
	v_add_f64 v[174:175], v[174:175], v[184:185]
	v_add_f64 v[176:177], v[176:177], v[182:183]
	v_fma_f64 v[180:181], v[8:9], v[22:23], v[180:181]
	v_fma_f64 v[184:185], v[6:7], v[22:23], -v[24:25]
	scratch_load_b128 v[22:25], off, off offset:288
	ds_load_b128 v[6:9], v1 offset:816
	s_waitcnt vmcnt(9) lgkmcnt(1)
	v_mul_f64 v[182:183], v[2:3], v[28:29]
	v_mul_f64 v[28:29], v[4:5], v[28:29]
	v_add_f64 v[174:175], v[174:175], v[186:187]
	v_add_f64 v[176:177], v[176:177], v[178:179]
	s_waitcnt vmcnt(8) lgkmcnt(0)
	v_mul_f64 v[178:179], v[6:7], v[32:33]
	v_mul_f64 v[32:33], v[8:9], v[32:33]
	;; [unrolled: 18-line block ×9, first 2 shown]
	v_fma_f64 v[180:181], v[4:5], v[38:39], v[180:181]
	v_fma_f64 v[186:187], v[2:3], v[38:39], -v[40:41]
	ds_load_b128 v[2:5], v1 offset:1056
	scratch_load_b128 v[38:41], off, off offset:528
	v_add_f64 v[174:175], v[174:175], v[184:185]
	v_add_f64 v[176:177], v[176:177], v[178:179]
	v_fma_f64 v[182:183], v[8:9], v[166:167], v[182:183]
	v_fma_f64 v[184:185], v[6:7], v[166:167], -v[168:169]
	ds_load_b128 v[6:9], v1 offset:1072
	s_waitcnt vmcnt(8) lgkmcnt(1)
	v_mul_f64 v[178:179], v[2:3], v[12:13]
	v_mul_f64 v[12:13], v[4:5], v[12:13]
	scratch_load_b128 v[166:169], off, off offset:544
	v_add_f64 v[174:175], v[174:175], v[186:187]
	v_add_f64 v[176:177], v[176:177], v[180:181]
	s_waitcnt vmcnt(8) lgkmcnt(0)
	v_mul_f64 v[180:181], v[6:7], v[16:17]
	v_mul_f64 v[16:17], v[8:9], v[16:17]
	v_fma_f64 v[178:179], v[4:5], v[10:11], v[178:179]
	v_fma_f64 v[186:187], v[2:3], v[10:11], -v[12:13]
	ds_load_b128 v[2:5], v1 offset:1088
	scratch_load_b128 v[10:13], off, off offset:560
	v_add_f64 v[174:175], v[174:175], v[184:185]
	v_add_f64 v[176:177], v[176:177], v[182:183]
	v_fma_f64 v[180:181], v[8:9], v[14:15], v[180:181]
	v_fma_f64 v[184:185], v[6:7], v[14:15], -v[16:17]
	ds_load_b128 v[6:9], v1 offset:1104
	s_waitcnt vmcnt(8) lgkmcnt(1)
	v_mul_f64 v[182:183], v[2:3], v[20:21]
	v_mul_f64 v[20:21], v[4:5], v[20:21]
	scratch_load_b128 v[14:17], off, off offset:576
	v_add_f64 v[174:175], v[174:175], v[186:187]
	v_add_f64 v[176:177], v[176:177], v[178:179]
	s_waitcnt vmcnt(8) lgkmcnt(0)
	v_mul_f64 v[178:179], v[6:7], v[24:25]
	v_mul_f64 v[24:25], v[8:9], v[24:25]
	v_fma_f64 v[182:183], v[4:5], v[18:19], v[182:183]
	v_fma_f64 v[186:187], v[2:3], v[18:19], -v[20:21]
	scratch_load_b128 v[18:21], off, off offset:592
	ds_load_b128 v[2:5], v1 offset:1120
	v_add_f64 v[174:175], v[174:175], v[184:185]
	v_add_f64 v[176:177], v[176:177], v[180:181]
	v_fma_f64 v[178:179], v[8:9], v[22:23], v[178:179]
	v_fma_f64 v[184:185], v[6:7], v[22:23], -v[24:25]
	ds_load_b128 v[6:9], v1 offset:1136
	s_waitcnt vmcnt(8) lgkmcnt(1)
	v_mul_f64 v[180:181], v[2:3], v[28:29]
	v_mul_f64 v[28:29], v[4:5], v[28:29]
	scratch_load_b128 v[22:25], off, off offset:608
	v_add_f64 v[174:175], v[174:175], v[186:187]
	v_add_f64 v[176:177], v[176:177], v[182:183]
	s_waitcnt vmcnt(8) lgkmcnt(0)
	v_mul_f64 v[182:183], v[6:7], v[32:33]
	v_mul_f64 v[32:33], v[8:9], v[32:33]
	v_fma_f64 v[180:181], v[4:5], v[26:27], v[180:181]
	v_fma_f64 v[186:187], v[2:3], v[26:27], -v[28:29]
	scratch_load_b128 v[26:29], off, off offset:624
	ds_load_b128 v[2:5], v1 offset:1152
	v_add_f64 v[174:175], v[174:175], v[184:185]
	v_add_f64 v[176:177], v[176:177], v[178:179]
	v_fma_f64 v[182:183], v[8:9], v[30:31], v[182:183]
	v_fma_f64 v[184:185], v[6:7], v[30:31], -v[32:33]
	ds_load_b128 v[6:9], v1 offset:1168
	s_waitcnt vmcnt(8) lgkmcnt(1)
	v_mul_f64 v[178:179], v[2:3], v[36:37]
	v_mul_f64 v[36:37], v[4:5], v[36:37]
	scratch_load_b128 v[30:33], off, off offset:640
	v_add_f64 v[174:175], v[174:175], v[186:187]
	v_add_f64 v[176:177], v[176:177], v[180:181]
	s_waitcnt vmcnt(8) lgkmcnt(0)
	v_mul_f64 v[180:181], v[6:7], v[172:173]
	v_mul_f64 v[172:173], v[8:9], v[172:173]
	v_fma_f64 v[178:179], v[4:5], v[34:35], v[178:179]
	v_fma_f64 v[34:35], v[2:3], v[34:35], -v[36:37]
	ds_load_b128 v[2:5], v1 offset:1184
	v_add_f64 v[36:37], v[174:175], v[184:185]
	v_add_f64 v[174:175], v[176:177], v[182:183]
	v_fma_f64 v[180:181], v[8:9], v[170:171], v[180:181]
	v_fma_f64 v[170:171], v[6:7], v[170:171], -v[172:173]
	ds_load_b128 v[6:9], v1 offset:1200
	s_waitcnt vmcnt(7) lgkmcnt(1)
	v_mul_f64 v[176:177], v[2:3], v[40:41]
	v_mul_f64 v[40:41], v[4:5], v[40:41]
	v_add_f64 v[34:35], v[36:37], v[34:35]
	v_add_f64 v[36:37], v[174:175], v[178:179]
	s_delay_alu instid0(VALU_DEP_4) | instskip(NEXT) | instid1(VALU_DEP_4)
	v_fma_f64 v[174:175], v[4:5], v[38:39], v[176:177]
	v_fma_f64 v[38:39], v[2:3], v[38:39], -v[40:41]
	ds_load_b128 v[2:5], v1 offset:1216
	v_add_f64 v[40:41], v[34:35], v[170:171]
	v_add_f64 v[170:171], v[36:37], v[180:181]
	scratch_load_b128 v[34:37], off, off offset:32
	s_waitcnt vmcnt(7) lgkmcnt(1)
	v_mul_f64 v[172:173], v[6:7], v[168:169]
	v_mul_f64 v[168:169], v[8:9], v[168:169]
	v_add_f64 v[38:39], v[40:41], v[38:39]
	v_add_f64 v[40:41], v[170:171], v[174:175]
	s_delay_alu instid0(VALU_DEP_4) | instskip(NEXT) | instid1(VALU_DEP_4)
	v_fma_f64 v[172:173], v[8:9], v[166:167], v[172:173]
	v_fma_f64 v[166:167], v[6:7], v[166:167], -v[168:169]
	ds_load_b128 v[6:9], v1 offset:1232
	s_waitcnt vmcnt(6) lgkmcnt(1)
	v_mul_f64 v[176:177], v[2:3], v[12:13]
	v_mul_f64 v[12:13], v[4:5], v[12:13]
	s_waitcnt vmcnt(5) lgkmcnt(0)
	v_mul_f64 v[168:169], v[6:7], v[16:17]
	v_mul_f64 v[16:17], v[8:9], v[16:17]
	s_delay_alu instid0(VALU_DEP_4) | instskip(NEXT) | instid1(VALU_DEP_4)
	v_fma_f64 v[170:171], v[4:5], v[10:11], v[176:177]
	v_fma_f64 v[10:11], v[2:3], v[10:11], -v[12:13]
	v_add_f64 v[12:13], v[38:39], v[166:167]
	v_add_f64 v[38:39], v[40:41], v[172:173]
	ds_load_b128 v[2:5], v1 offset:1248
	v_fma_f64 v[166:167], v[8:9], v[14:15], v[168:169]
	v_fma_f64 v[14:15], v[6:7], v[14:15], -v[16:17]
	ds_load_b128 v[6:9], v1 offset:1264
	s_waitcnt vmcnt(4) lgkmcnt(1)
	v_mul_f64 v[40:41], v[2:3], v[20:21]
	v_mul_f64 v[20:21], v[4:5], v[20:21]
	v_add_f64 v[10:11], v[12:13], v[10:11]
	v_add_f64 v[12:13], v[38:39], v[170:171]
	s_waitcnt vmcnt(3) lgkmcnt(0)
	v_mul_f64 v[16:17], v[6:7], v[24:25]
	v_mul_f64 v[24:25], v[8:9], v[24:25]
	v_fma_f64 v[38:39], v[4:5], v[18:19], v[40:41]
	v_fma_f64 v[18:19], v[2:3], v[18:19], -v[20:21]
	ds_load_b128 v[2:5], v1 offset:1280
	v_add_f64 v[10:11], v[10:11], v[14:15]
	v_add_f64 v[12:13], v[12:13], v[166:167]
	v_fma_f64 v[16:17], v[8:9], v[22:23], v[16:17]
	v_fma_f64 v[22:23], v[6:7], v[22:23], -v[24:25]
	ds_load_b128 v[6:9], v1 offset:1296
	s_waitcnt vmcnt(2) lgkmcnt(1)
	v_mul_f64 v[14:15], v[2:3], v[28:29]
	v_mul_f64 v[20:21], v[4:5], v[28:29]
	s_waitcnt vmcnt(1) lgkmcnt(0)
	v_mul_f64 v[24:25], v[8:9], v[32:33]
	v_add_f64 v[10:11], v[10:11], v[18:19]
	v_add_f64 v[12:13], v[12:13], v[38:39]
	v_mul_f64 v[18:19], v[6:7], v[32:33]
	v_fma_f64 v[4:5], v[4:5], v[26:27], v[14:15]
	v_fma_f64 v[1:2], v[2:3], v[26:27], -v[20:21]
	v_fma_f64 v[6:7], v[6:7], v[30:31], -v[24:25]
	v_add_f64 v[10:11], v[10:11], v[22:23]
	v_add_f64 v[12:13], v[12:13], v[16:17]
	v_fma_f64 v[8:9], v[8:9], v[30:31], v[18:19]
	s_delay_alu instid0(VALU_DEP_3) | instskip(NEXT) | instid1(VALU_DEP_3)
	v_add_f64 v[1:2], v[10:11], v[1:2]
	v_add_f64 v[3:4], v[12:13], v[4:5]
	s_delay_alu instid0(VALU_DEP_2) | instskip(NEXT) | instid1(VALU_DEP_2)
	v_add_f64 v[1:2], v[1:2], v[6:7]
	v_add_f64 v[3:4], v[3:4], v[8:9]
	s_waitcnt vmcnt(0)
	s_delay_alu instid0(VALU_DEP_2) | instskip(NEXT) | instid1(VALU_DEP_2)
	v_add_f64 v[1:2], v[34:35], -v[1:2]
	v_add_f64 v[3:4], v[36:37], -v[3:4]
	scratch_store_b128 off, v[1:4], off offset:32
	v_cmpx_lt_u32_e32 1, v124
	s_cbranch_execz .LBB104_257
; %bb.256:
	scratch_load_b128 v[1:4], v146, off
	v_mov_b32_e32 v5, 0
	s_delay_alu instid0(VALU_DEP_1)
	v_mov_b32_e32 v6, v5
	v_mov_b32_e32 v7, v5
	;; [unrolled: 1-line block ×3, first 2 shown]
	scratch_store_b128 off, v[5:8], off offset:16
	s_waitcnt vmcnt(0)
	ds_store_b128 v165, v[1:4]
.LBB104_257:
	s_or_b32 exec_lo, exec_lo, s2
	s_waitcnt lgkmcnt(0)
	s_waitcnt_vscnt null, 0x0
	s_barrier
	buffer_gl0_inv
	s_clause 0x7
	scratch_load_b128 v[2:5], off, off offset:32
	scratch_load_b128 v[6:9], off, off offset:48
	scratch_load_b128 v[10:13], off, off offset:64
	scratch_load_b128 v[14:17], off, off offset:80
	scratch_load_b128 v[18:21], off, off offset:96
	scratch_load_b128 v[22:25], off, off offset:112
	scratch_load_b128 v[26:29], off, off offset:128
	scratch_load_b128 v[30:33], off, off offset:144
	v_mov_b32_e32 v1, 0
	s_clause 0x1
	scratch_load_b128 v[34:37], off, off offset:160
	scratch_load_b128 v[170:173], off, off offset:176
	s_mov_b32 s2, exec_lo
	ds_load_b128 v[38:41], v1 offset:688
	ds_load_b128 v[166:169], v1 offset:704
	s_waitcnt vmcnt(9) lgkmcnt(1)
	v_mul_f64 v[174:175], v[40:41], v[4:5]
	v_mul_f64 v[4:5], v[38:39], v[4:5]
	s_waitcnt vmcnt(8) lgkmcnt(0)
	v_mul_f64 v[176:177], v[166:167], v[8:9]
	v_mul_f64 v[8:9], v[168:169], v[8:9]
	s_delay_alu instid0(VALU_DEP_4) | instskip(NEXT) | instid1(VALU_DEP_4)
	v_fma_f64 v[174:175], v[38:39], v[2:3], -v[174:175]
	v_fma_f64 v[178:179], v[40:41], v[2:3], v[4:5]
	ds_load_b128 v[2:5], v1 offset:720
	scratch_load_b128 v[38:41], off, off offset:192
	v_fma_f64 v[176:177], v[168:169], v[6:7], v[176:177]
	v_fma_f64 v[182:183], v[166:167], v[6:7], -v[8:9]
	scratch_load_b128 v[166:169], off, off offset:208
	ds_load_b128 v[6:9], v1 offset:736
	s_waitcnt vmcnt(9) lgkmcnt(1)
	v_mul_f64 v[180:181], v[2:3], v[12:13]
	v_mul_f64 v[12:13], v[4:5], v[12:13]
	s_waitcnt vmcnt(8) lgkmcnt(0)
	v_mul_f64 v[184:185], v[6:7], v[16:17]
	v_mul_f64 v[16:17], v[8:9], v[16:17]
	v_add_f64 v[174:175], v[174:175], 0
	v_add_f64 v[178:179], v[178:179], 0
	v_fma_f64 v[180:181], v[4:5], v[10:11], v[180:181]
	v_fma_f64 v[186:187], v[2:3], v[10:11], -v[12:13]
	ds_load_b128 v[2:5], v1 offset:752
	scratch_load_b128 v[10:13], off, off offset:224
	v_add_f64 v[174:175], v[174:175], v[182:183]
	v_add_f64 v[176:177], v[178:179], v[176:177]
	v_fma_f64 v[182:183], v[8:9], v[14:15], v[184:185]
	v_fma_f64 v[184:185], v[6:7], v[14:15], -v[16:17]
	scratch_load_b128 v[14:17], off, off offset:240
	ds_load_b128 v[6:9], v1 offset:768
	s_waitcnt vmcnt(9) lgkmcnt(1)
	v_mul_f64 v[178:179], v[2:3], v[20:21]
	v_mul_f64 v[20:21], v[4:5], v[20:21]
	v_add_f64 v[174:175], v[174:175], v[186:187]
	v_add_f64 v[176:177], v[176:177], v[180:181]
	s_waitcnt vmcnt(8) lgkmcnt(0)
	v_mul_f64 v[180:181], v[6:7], v[24:25]
	v_mul_f64 v[24:25], v[8:9], v[24:25]
	v_fma_f64 v[178:179], v[4:5], v[18:19], v[178:179]
	v_fma_f64 v[186:187], v[2:3], v[18:19], -v[20:21]
	ds_load_b128 v[2:5], v1 offset:784
	scratch_load_b128 v[18:21], off, off offset:256
	v_add_f64 v[174:175], v[174:175], v[184:185]
	v_add_f64 v[176:177], v[176:177], v[182:183]
	v_fma_f64 v[180:181], v[8:9], v[22:23], v[180:181]
	v_fma_f64 v[184:185], v[6:7], v[22:23], -v[24:25]
	scratch_load_b128 v[22:25], off, off offset:272
	ds_load_b128 v[6:9], v1 offset:800
	s_waitcnt vmcnt(9) lgkmcnt(1)
	v_mul_f64 v[182:183], v[2:3], v[28:29]
	v_mul_f64 v[28:29], v[4:5], v[28:29]
	v_add_f64 v[174:175], v[174:175], v[186:187]
	v_add_f64 v[176:177], v[176:177], v[178:179]
	s_waitcnt vmcnt(8) lgkmcnt(0)
	v_mul_f64 v[178:179], v[6:7], v[32:33]
	v_mul_f64 v[32:33], v[8:9], v[32:33]
	;; [unrolled: 18-line block ×10, first 2 shown]
	v_fma_f64 v[178:179], v[4:5], v[10:11], v[178:179]
	v_fma_f64 v[186:187], v[2:3], v[10:11], -v[12:13]
	ds_load_b128 v[2:5], v1 offset:1072
	scratch_load_b128 v[10:13], off, off offset:544
	v_add_f64 v[174:175], v[174:175], v[184:185]
	v_add_f64 v[176:177], v[176:177], v[182:183]
	v_fma_f64 v[180:181], v[8:9], v[14:15], v[180:181]
	v_fma_f64 v[184:185], v[6:7], v[14:15], -v[16:17]
	ds_load_b128 v[6:9], v1 offset:1088
	s_waitcnt vmcnt(8) lgkmcnt(1)
	v_mul_f64 v[182:183], v[2:3], v[20:21]
	v_mul_f64 v[20:21], v[4:5], v[20:21]
	scratch_load_b128 v[14:17], off, off offset:560
	v_add_f64 v[174:175], v[174:175], v[186:187]
	v_add_f64 v[176:177], v[176:177], v[178:179]
	s_waitcnt vmcnt(8) lgkmcnt(0)
	v_mul_f64 v[178:179], v[6:7], v[24:25]
	v_mul_f64 v[24:25], v[8:9], v[24:25]
	v_fma_f64 v[182:183], v[4:5], v[18:19], v[182:183]
	v_fma_f64 v[186:187], v[2:3], v[18:19], -v[20:21]
	scratch_load_b128 v[18:21], off, off offset:576
	ds_load_b128 v[2:5], v1 offset:1104
	v_add_f64 v[174:175], v[174:175], v[184:185]
	v_add_f64 v[176:177], v[176:177], v[180:181]
	v_fma_f64 v[178:179], v[8:9], v[22:23], v[178:179]
	v_fma_f64 v[184:185], v[6:7], v[22:23], -v[24:25]
	ds_load_b128 v[6:9], v1 offset:1120
	s_waitcnt vmcnt(8) lgkmcnt(1)
	v_mul_f64 v[180:181], v[2:3], v[28:29]
	v_mul_f64 v[28:29], v[4:5], v[28:29]
	scratch_load_b128 v[22:25], off, off offset:592
	v_add_f64 v[174:175], v[174:175], v[186:187]
	v_add_f64 v[176:177], v[176:177], v[182:183]
	s_waitcnt vmcnt(8) lgkmcnt(0)
	v_mul_f64 v[182:183], v[6:7], v[32:33]
	v_mul_f64 v[32:33], v[8:9], v[32:33]
	v_fma_f64 v[180:181], v[4:5], v[26:27], v[180:181]
	v_fma_f64 v[186:187], v[2:3], v[26:27], -v[28:29]
	scratch_load_b128 v[26:29], off, off offset:608
	ds_load_b128 v[2:5], v1 offset:1136
	;; [unrolled: 18-line block ×3, first 2 shown]
	v_add_f64 v[174:175], v[174:175], v[184:185]
	v_add_f64 v[176:177], v[176:177], v[182:183]
	v_fma_f64 v[180:181], v[8:9], v[170:171], v[180:181]
	v_fma_f64 v[170:171], v[6:7], v[170:171], -v[172:173]
	ds_load_b128 v[6:9], v1 offset:1184
	s_waitcnt vmcnt(8) lgkmcnt(1)
	v_mul_f64 v[182:183], v[2:3], v[40:41]
	v_mul_f64 v[40:41], v[4:5], v[40:41]
	v_add_f64 v[172:173], v[174:175], v[186:187]
	v_add_f64 v[174:175], v[176:177], v[178:179]
	s_waitcnt vmcnt(7) lgkmcnt(0)
	v_mul_f64 v[176:177], v[6:7], v[168:169]
	v_mul_f64 v[168:169], v[8:9], v[168:169]
	v_fma_f64 v[178:179], v[4:5], v[38:39], v[182:183]
	v_fma_f64 v[38:39], v[2:3], v[38:39], -v[40:41]
	ds_load_b128 v[2:5], v1 offset:1200
	v_add_f64 v[40:41], v[172:173], v[170:171]
	v_add_f64 v[170:171], v[174:175], v[180:181]
	v_fma_f64 v[174:175], v[8:9], v[166:167], v[176:177]
	v_fma_f64 v[166:167], v[6:7], v[166:167], -v[168:169]
	ds_load_b128 v[6:9], v1 offset:1216
	s_waitcnt vmcnt(5) lgkmcnt(0)
	v_mul_f64 v[176:177], v[6:7], v[16:17]
	v_mul_f64 v[16:17], v[8:9], v[16:17]
	v_add_f64 v[168:169], v[40:41], v[38:39]
	v_add_f64 v[170:171], v[170:171], v[178:179]
	scratch_load_b128 v[38:41], off, off offset:16
	v_mul_f64 v[172:173], v[2:3], v[12:13]
	v_mul_f64 v[12:13], v[4:5], v[12:13]
	s_delay_alu instid0(VALU_DEP_2) | instskip(NEXT) | instid1(VALU_DEP_2)
	v_fma_f64 v[172:173], v[4:5], v[10:11], v[172:173]
	v_fma_f64 v[10:11], v[2:3], v[10:11], -v[12:13]
	v_add_f64 v[12:13], v[168:169], v[166:167]
	v_add_f64 v[166:167], v[170:171], v[174:175]
	ds_load_b128 v[2:5], v1 offset:1232
	v_fma_f64 v[170:171], v[8:9], v[14:15], v[176:177]
	v_fma_f64 v[14:15], v[6:7], v[14:15], -v[16:17]
	ds_load_b128 v[6:9], v1 offset:1248
	s_waitcnt vmcnt(5) lgkmcnt(1)
	v_mul_f64 v[168:169], v[2:3], v[20:21]
	v_mul_f64 v[20:21], v[4:5], v[20:21]
	s_waitcnt vmcnt(4) lgkmcnt(0)
	v_mul_f64 v[16:17], v[6:7], v[24:25]
	v_mul_f64 v[24:25], v[8:9], v[24:25]
	v_add_f64 v[10:11], v[12:13], v[10:11]
	v_add_f64 v[12:13], v[166:167], v[172:173]
	v_fma_f64 v[166:167], v[4:5], v[18:19], v[168:169]
	v_fma_f64 v[18:19], v[2:3], v[18:19], -v[20:21]
	ds_load_b128 v[2:5], v1 offset:1264
	v_fma_f64 v[16:17], v[8:9], v[22:23], v[16:17]
	v_fma_f64 v[22:23], v[6:7], v[22:23], -v[24:25]
	ds_load_b128 v[6:9], v1 offset:1280
	v_add_f64 v[10:11], v[10:11], v[14:15]
	v_add_f64 v[12:13], v[12:13], v[170:171]
	s_waitcnt vmcnt(3) lgkmcnt(1)
	v_mul_f64 v[14:15], v[2:3], v[28:29]
	v_mul_f64 v[20:21], v[4:5], v[28:29]
	s_waitcnt vmcnt(2) lgkmcnt(0)
	v_mul_f64 v[24:25], v[8:9], v[32:33]
	v_add_f64 v[10:11], v[10:11], v[18:19]
	v_add_f64 v[12:13], v[12:13], v[166:167]
	v_mul_f64 v[18:19], v[6:7], v[32:33]
	v_fma_f64 v[14:15], v[4:5], v[26:27], v[14:15]
	v_fma_f64 v[20:21], v[2:3], v[26:27], -v[20:21]
	ds_load_b128 v[2:5], v1 offset:1296
	v_fma_f64 v[6:7], v[6:7], v[30:31], -v[24:25]
	v_add_f64 v[10:11], v[10:11], v[22:23]
	v_add_f64 v[12:13], v[12:13], v[16:17]
	s_waitcnt vmcnt(1) lgkmcnt(0)
	v_mul_f64 v[16:17], v[2:3], v[36:37]
	v_mul_f64 v[22:23], v[4:5], v[36:37]
	v_fma_f64 v[8:9], v[8:9], v[30:31], v[18:19]
	v_add_f64 v[10:11], v[10:11], v[20:21]
	v_add_f64 v[12:13], v[12:13], v[14:15]
	v_fma_f64 v[4:5], v[4:5], v[34:35], v[16:17]
	v_fma_f64 v[2:3], v[2:3], v[34:35], -v[22:23]
	s_delay_alu instid0(VALU_DEP_4) | instskip(NEXT) | instid1(VALU_DEP_4)
	v_add_f64 v[6:7], v[10:11], v[6:7]
	v_add_f64 v[8:9], v[12:13], v[8:9]
	s_delay_alu instid0(VALU_DEP_2) | instskip(NEXT) | instid1(VALU_DEP_2)
	v_add_f64 v[2:3], v[6:7], v[2:3]
	v_add_f64 v[4:5], v[8:9], v[4:5]
	s_waitcnt vmcnt(0)
	s_delay_alu instid0(VALU_DEP_2) | instskip(NEXT) | instid1(VALU_DEP_2)
	v_add_f64 v[2:3], v[38:39], -v[2:3]
	v_add_f64 v[4:5], v[40:41], -v[4:5]
	scratch_store_b128 off, v[2:5], off offset:16
	v_cmpx_ne_u32_e32 0, v124
	s_cbranch_execz .LBB104_259
; %bb.258:
	scratch_load_b128 v[5:8], off, off
	v_mov_b32_e32 v2, v1
	v_mov_b32_e32 v3, v1
	;; [unrolled: 1-line block ×3, first 2 shown]
	scratch_store_b128 off, v[1:4], off
	s_waitcnt vmcnt(0)
	ds_store_b128 v165, v[5:8]
.LBB104_259:
	s_or_b32 exec_lo, exec_lo, s2
	s_waitcnt lgkmcnt(0)
	s_waitcnt_vscnt null, 0x0
	s_barrier
	buffer_gl0_inv
	s_clause 0x7
	scratch_load_b128 v[2:5], off, off offset:16
	scratch_load_b128 v[6:9], off, off offset:32
	;; [unrolled: 1-line block ×8, first 2 shown]
	ds_load_b128 v[38:41], v1 offset:672
	ds_load_b128 v[165:168], v1 offset:688
	s_clause 0x1
	scratch_load_b128 v[34:37], off, off offset:144
	scratch_load_b128 v[169:172], off, off offset:160
	s_and_b32 vcc_lo, exec_lo, s14
	s_waitcnt vmcnt(9) lgkmcnt(1)
	v_mul_f64 v[173:174], v[40:41], v[4:5]
	v_mul_f64 v[4:5], v[38:39], v[4:5]
	s_waitcnt vmcnt(8) lgkmcnt(0)
	v_mul_f64 v[175:176], v[165:166], v[8:9]
	v_mul_f64 v[8:9], v[167:168], v[8:9]
	s_delay_alu instid0(VALU_DEP_4) | instskip(NEXT) | instid1(VALU_DEP_4)
	v_fma_f64 v[173:174], v[38:39], v[2:3], -v[173:174]
	v_fma_f64 v[177:178], v[40:41], v[2:3], v[4:5]
	ds_load_b128 v[2:5], v1 offset:704
	scratch_load_b128 v[38:41], off, off offset:176
	v_fma_f64 v[175:176], v[167:168], v[6:7], v[175:176]
	v_fma_f64 v[181:182], v[165:166], v[6:7], -v[8:9]
	scratch_load_b128 v[165:168], off, off offset:192
	ds_load_b128 v[6:9], v1 offset:720
	s_waitcnt vmcnt(9) lgkmcnt(1)
	v_mul_f64 v[179:180], v[2:3], v[12:13]
	v_mul_f64 v[12:13], v[4:5], v[12:13]
	s_waitcnt vmcnt(8) lgkmcnt(0)
	v_mul_f64 v[183:184], v[6:7], v[16:17]
	v_mul_f64 v[16:17], v[8:9], v[16:17]
	v_add_f64 v[173:174], v[173:174], 0
	v_add_f64 v[177:178], v[177:178], 0
	v_fma_f64 v[179:180], v[4:5], v[10:11], v[179:180]
	v_fma_f64 v[185:186], v[2:3], v[10:11], -v[12:13]
	ds_load_b128 v[2:5], v1 offset:736
	scratch_load_b128 v[10:13], off, off offset:208
	v_add_f64 v[173:174], v[173:174], v[181:182]
	v_add_f64 v[175:176], v[177:178], v[175:176]
	v_fma_f64 v[181:182], v[8:9], v[14:15], v[183:184]
	v_fma_f64 v[183:184], v[6:7], v[14:15], -v[16:17]
	scratch_load_b128 v[14:17], off, off offset:224
	ds_load_b128 v[6:9], v1 offset:752
	s_waitcnt vmcnt(9) lgkmcnt(1)
	v_mul_f64 v[177:178], v[2:3], v[20:21]
	v_mul_f64 v[20:21], v[4:5], v[20:21]
	v_add_f64 v[173:174], v[173:174], v[185:186]
	v_add_f64 v[175:176], v[175:176], v[179:180]
	s_waitcnt vmcnt(8) lgkmcnt(0)
	v_mul_f64 v[179:180], v[6:7], v[24:25]
	v_mul_f64 v[24:25], v[8:9], v[24:25]
	v_fma_f64 v[177:178], v[4:5], v[18:19], v[177:178]
	v_fma_f64 v[185:186], v[2:3], v[18:19], -v[20:21]
	ds_load_b128 v[2:5], v1 offset:768
	scratch_load_b128 v[18:21], off, off offset:240
	v_add_f64 v[173:174], v[173:174], v[183:184]
	v_add_f64 v[175:176], v[175:176], v[181:182]
	v_fma_f64 v[179:180], v[8:9], v[22:23], v[179:180]
	v_fma_f64 v[183:184], v[6:7], v[22:23], -v[24:25]
	scratch_load_b128 v[22:25], off, off offset:256
	ds_load_b128 v[6:9], v1 offset:784
	s_waitcnt vmcnt(9) lgkmcnt(1)
	v_mul_f64 v[181:182], v[2:3], v[28:29]
	v_mul_f64 v[28:29], v[4:5], v[28:29]
	v_add_f64 v[173:174], v[173:174], v[185:186]
	v_add_f64 v[175:176], v[175:176], v[177:178]
	s_waitcnt vmcnt(8) lgkmcnt(0)
	v_mul_f64 v[177:178], v[6:7], v[32:33]
	v_mul_f64 v[32:33], v[8:9], v[32:33]
	v_fma_f64 v[181:182], v[4:5], v[26:27], v[181:182]
	v_fma_f64 v[185:186], v[2:3], v[26:27], -v[28:29]
	ds_load_b128 v[2:5], v1 offset:800
	scratch_load_b128 v[26:29], off, off offset:272
	v_add_f64 v[173:174], v[173:174], v[183:184]
	v_add_f64 v[175:176], v[175:176], v[179:180]
	v_fma_f64 v[177:178], v[8:9], v[30:31], v[177:178]
	v_fma_f64 v[183:184], v[6:7], v[30:31], -v[32:33]
	scratch_load_b128 v[30:33], off, off offset:288
	ds_load_b128 v[6:9], v1 offset:816
	s_waitcnt vmcnt(9) lgkmcnt(1)
	v_mul_f64 v[179:180], v[2:3], v[36:37]
	v_mul_f64 v[36:37], v[4:5], v[36:37]
	v_add_f64 v[173:174], v[173:174], v[185:186]
	v_add_f64 v[175:176], v[175:176], v[181:182]
	s_waitcnt vmcnt(8) lgkmcnt(0)
	v_mul_f64 v[181:182], v[6:7], v[171:172]
	v_mul_f64 v[171:172], v[8:9], v[171:172]
	v_fma_f64 v[179:180], v[4:5], v[34:35], v[179:180]
	v_fma_f64 v[185:186], v[2:3], v[34:35], -v[36:37]
	ds_load_b128 v[2:5], v1 offset:832
	scratch_load_b128 v[34:37], off, off offset:304
	v_add_f64 v[173:174], v[173:174], v[183:184]
	v_add_f64 v[175:176], v[175:176], v[177:178]
	v_fma_f64 v[181:182], v[8:9], v[169:170], v[181:182]
	v_fma_f64 v[183:184], v[6:7], v[169:170], -v[171:172]
	scratch_load_b128 v[169:172], off, off offset:320
	ds_load_b128 v[6:9], v1 offset:848
	s_waitcnt vmcnt(9) lgkmcnt(1)
	v_mul_f64 v[177:178], v[2:3], v[40:41]
	v_mul_f64 v[40:41], v[4:5], v[40:41]
	v_add_f64 v[173:174], v[173:174], v[185:186]
	v_add_f64 v[175:176], v[175:176], v[179:180]
	s_waitcnt vmcnt(8) lgkmcnt(0)
	v_mul_f64 v[179:180], v[6:7], v[167:168]
	v_mul_f64 v[167:168], v[8:9], v[167:168]
	v_fma_f64 v[177:178], v[4:5], v[38:39], v[177:178]
	v_fma_f64 v[185:186], v[2:3], v[38:39], -v[40:41]
	ds_load_b128 v[2:5], v1 offset:864
	scratch_load_b128 v[38:41], off, off offset:336
	v_add_f64 v[173:174], v[173:174], v[183:184]
	v_add_f64 v[175:176], v[175:176], v[181:182]
	v_fma_f64 v[179:180], v[8:9], v[165:166], v[179:180]
	v_fma_f64 v[183:184], v[6:7], v[165:166], -v[167:168]
	scratch_load_b128 v[165:168], off, off offset:352
	ds_load_b128 v[6:9], v1 offset:880
	s_waitcnt vmcnt(9) lgkmcnt(1)
	v_mul_f64 v[181:182], v[2:3], v[12:13]
	v_mul_f64 v[12:13], v[4:5], v[12:13]
	v_add_f64 v[173:174], v[173:174], v[185:186]
	v_add_f64 v[175:176], v[175:176], v[177:178]
	s_waitcnt vmcnt(8) lgkmcnt(0)
	v_mul_f64 v[177:178], v[6:7], v[16:17]
	v_mul_f64 v[16:17], v[8:9], v[16:17]
	v_fma_f64 v[181:182], v[4:5], v[10:11], v[181:182]
	v_fma_f64 v[185:186], v[2:3], v[10:11], -v[12:13]
	scratch_load_b128 v[10:13], off, off offset:368
	ds_load_b128 v[2:5], v1 offset:896
	v_add_f64 v[173:174], v[173:174], v[183:184]
	v_add_f64 v[175:176], v[175:176], v[179:180]
	v_fma_f64 v[177:178], v[8:9], v[14:15], v[177:178]
	v_fma_f64 v[183:184], v[6:7], v[14:15], -v[16:17]
	ds_load_b128 v[6:9], v1 offset:912
	s_waitcnt vmcnt(8) lgkmcnt(1)
	v_mul_f64 v[179:180], v[2:3], v[20:21]
	v_mul_f64 v[20:21], v[4:5], v[20:21]
	scratch_load_b128 v[14:17], off, off offset:384
	v_add_f64 v[173:174], v[173:174], v[185:186]
	v_add_f64 v[175:176], v[175:176], v[181:182]
	s_waitcnt vmcnt(8) lgkmcnt(0)
	v_mul_f64 v[181:182], v[6:7], v[24:25]
	v_mul_f64 v[24:25], v[8:9], v[24:25]
	v_fma_f64 v[179:180], v[4:5], v[18:19], v[179:180]
	v_fma_f64 v[185:186], v[2:3], v[18:19], -v[20:21]
	ds_load_b128 v[2:5], v1 offset:928
	scratch_load_b128 v[18:21], off, off offset:400
	v_add_f64 v[173:174], v[173:174], v[183:184]
	v_add_f64 v[175:176], v[175:176], v[177:178]
	v_fma_f64 v[181:182], v[8:9], v[22:23], v[181:182]
	v_fma_f64 v[183:184], v[6:7], v[22:23], -v[24:25]
	scratch_load_b128 v[22:25], off, off offset:416
	ds_load_b128 v[6:9], v1 offset:944
	s_waitcnt vmcnt(9) lgkmcnt(1)
	v_mul_f64 v[177:178], v[2:3], v[28:29]
	v_mul_f64 v[28:29], v[4:5], v[28:29]
	v_add_f64 v[173:174], v[173:174], v[185:186]
	v_add_f64 v[175:176], v[175:176], v[179:180]
	s_waitcnt vmcnt(8) lgkmcnt(0)
	v_mul_f64 v[179:180], v[6:7], v[32:33]
	v_mul_f64 v[32:33], v[8:9], v[32:33]
	v_fma_f64 v[177:178], v[4:5], v[26:27], v[177:178]
	v_fma_f64 v[185:186], v[2:3], v[26:27], -v[28:29]
	ds_load_b128 v[2:5], v1 offset:960
	scratch_load_b128 v[26:29], off, off offset:432
	v_add_f64 v[173:174], v[173:174], v[183:184]
	v_add_f64 v[175:176], v[175:176], v[181:182]
	v_fma_f64 v[179:180], v[8:9], v[30:31], v[179:180]
	v_fma_f64 v[183:184], v[6:7], v[30:31], -v[32:33]
	scratch_load_b128 v[30:33], off, off offset:448
	ds_load_b128 v[6:9], v1 offset:976
	s_waitcnt vmcnt(9) lgkmcnt(1)
	v_mul_f64 v[181:182], v[2:3], v[36:37]
	v_mul_f64 v[36:37], v[4:5], v[36:37]
	;; [unrolled: 18-line block ×3, first 2 shown]
	v_add_f64 v[173:174], v[173:174], v[185:186]
	v_add_f64 v[175:176], v[175:176], v[181:182]
	s_waitcnt vmcnt(8) lgkmcnt(0)
	v_mul_f64 v[181:182], v[6:7], v[167:168]
	v_mul_f64 v[167:168], v[8:9], v[167:168]
	v_fma_f64 v[179:180], v[4:5], v[38:39], v[179:180]
	v_fma_f64 v[185:186], v[2:3], v[38:39], -v[40:41]
	ds_load_b128 v[2:5], v1 offset:1024
	scratch_load_b128 v[38:41], off, off offset:496
	v_add_f64 v[173:174], v[173:174], v[183:184]
	v_add_f64 v[175:176], v[175:176], v[177:178]
	v_fma_f64 v[181:182], v[8:9], v[165:166], v[181:182]
	v_fma_f64 v[183:184], v[6:7], v[165:166], -v[167:168]
	ds_load_b128 v[6:9], v1 offset:1040
	s_waitcnt vmcnt(8) lgkmcnt(1)
	v_mul_f64 v[177:178], v[2:3], v[12:13]
	v_mul_f64 v[12:13], v[4:5], v[12:13]
	scratch_load_b128 v[165:168], off, off offset:512
	v_add_f64 v[173:174], v[173:174], v[185:186]
	v_add_f64 v[175:176], v[175:176], v[179:180]
	s_waitcnt vmcnt(8) lgkmcnt(0)
	v_mul_f64 v[179:180], v[6:7], v[16:17]
	v_mul_f64 v[16:17], v[8:9], v[16:17]
	v_fma_f64 v[177:178], v[4:5], v[10:11], v[177:178]
	v_fma_f64 v[185:186], v[2:3], v[10:11], -v[12:13]
	scratch_load_b128 v[10:13], off, off offset:528
	ds_load_b128 v[2:5], v1 offset:1056
	v_add_f64 v[173:174], v[173:174], v[183:184]
	v_add_f64 v[175:176], v[175:176], v[181:182]
	v_fma_f64 v[179:180], v[8:9], v[14:15], v[179:180]
	v_fma_f64 v[183:184], v[6:7], v[14:15], -v[16:17]
	ds_load_b128 v[6:9], v1 offset:1072
	s_waitcnt vmcnt(8) lgkmcnt(1)
	v_mul_f64 v[181:182], v[2:3], v[20:21]
	v_mul_f64 v[20:21], v[4:5], v[20:21]
	scratch_load_b128 v[14:17], off, off offset:544
	v_add_f64 v[173:174], v[173:174], v[185:186]
	v_add_f64 v[175:176], v[175:176], v[177:178]
	s_waitcnt vmcnt(8) lgkmcnt(0)
	v_mul_f64 v[177:178], v[6:7], v[24:25]
	v_mul_f64 v[24:25], v[8:9], v[24:25]
	v_fma_f64 v[181:182], v[4:5], v[18:19], v[181:182]
	v_fma_f64 v[185:186], v[2:3], v[18:19], -v[20:21]
	scratch_load_b128 v[18:21], off, off offset:560
	ds_load_b128 v[2:5], v1 offset:1088
	v_add_f64 v[173:174], v[173:174], v[183:184]
	v_add_f64 v[175:176], v[175:176], v[179:180]
	v_fma_f64 v[177:178], v[8:9], v[22:23], v[177:178]
	v_fma_f64 v[183:184], v[6:7], v[22:23], -v[24:25]
	ds_load_b128 v[6:9], v1 offset:1104
	s_waitcnt vmcnt(8) lgkmcnt(1)
	v_mul_f64 v[179:180], v[2:3], v[28:29]
	v_mul_f64 v[28:29], v[4:5], v[28:29]
	scratch_load_b128 v[22:25], off, off offset:576
	v_add_f64 v[173:174], v[173:174], v[185:186]
	v_add_f64 v[175:176], v[175:176], v[181:182]
	s_waitcnt vmcnt(8) lgkmcnt(0)
	v_mul_f64 v[181:182], v[6:7], v[32:33]
	v_mul_f64 v[32:33], v[8:9], v[32:33]
	v_fma_f64 v[179:180], v[4:5], v[26:27], v[179:180]
	v_fma_f64 v[185:186], v[2:3], v[26:27], -v[28:29]
	scratch_load_b128 v[26:29], off, off offset:592
	ds_load_b128 v[2:5], v1 offset:1120
	v_add_f64 v[173:174], v[173:174], v[183:184]
	v_add_f64 v[175:176], v[175:176], v[177:178]
	v_fma_f64 v[181:182], v[8:9], v[30:31], v[181:182]
	v_fma_f64 v[183:184], v[6:7], v[30:31], -v[32:33]
	ds_load_b128 v[6:9], v1 offset:1136
	s_waitcnt vmcnt(8) lgkmcnt(1)
	v_mul_f64 v[177:178], v[2:3], v[36:37]
	v_mul_f64 v[36:37], v[4:5], v[36:37]
	scratch_load_b128 v[30:33], off, off offset:608
	v_add_f64 v[173:174], v[173:174], v[185:186]
	v_add_f64 v[175:176], v[175:176], v[179:180]
	s_waitcnt vmcnt(8) lgkmcnt(0)
	v_mul_f64 v[179:180], v[6:7], v[171:172]
	v_mul_f64 v[171:172], v[8:9], v[171:172]
	v_fma_f64 v[177:178], v[4:5], v[34:35], v[177:178]
	v_fma_f64 v[185:186], v[2:3], v[34:35], -v[36:37]
	scratch_load_b128 v[34:37], off, off offset:624
	ds_load_b128 v[2:5], v1 offset:1152
	v_add_f64 v[173:174], v[173:174], v[183:184]
	v_add_f64 v[175:176], v[175:176], v[181:182]
	v_fma_f64 v[179:180], v[8:9], v[169:170], v[179:180]
	v_fma_f64 v[183:184], v[6:7], v[169:170], -v[171:172]
	ds_load_b128 v[6:9], v1 offset:1168
	s_waitcnt vmcnt(8) lgkmcnt(1)
	v_mul_f64 v[181:182], v[2:3], v[40:41]
	v_mul_f64 v[40:41], v[4:5], v[40:41]
	scratch_load_b128 v[169:172], off, off offset:640
	v_add_f64 v[173:174], v[173:174], v[185:186]
	v_add_f64 v[175:176], v[175:176], v[177:178]
	v_fma_f64 v[181:182], v[4:5], v[38:39], v[181:182]
	v_fma_f64 v[38:39], v[2:3], v[38:39], -v[40:41]
	ds_load_b128 v[2:5], v1 offset:1184
	v_add_f64 v[40:41], v[173:174], v[183:184]
	v_add_f64 v[173:174], v[175:176], v[179:180]
	s_waitcnt vmcnt(7) lgkmcnt(0)
	v_mul_f64 v[175:176], v[2:3], v[12:13]
	v_mul_f64 v[12:13], v[4:5], v[12:13]
	s_delay_alu instid0(VALU_DEP_4) | instskip(NEXT) | instid1(VALU_DEP_4)
	v_add_f64 v[38:39], v[40:41], v[38:39]
	v_add_f64 v[40:41], v[173:174], v[181:182]
	s_delay_alu instid0(VALU_DEP_4) | instskip(NEXT) | instid1(VALU_DEP_4)
	v_fma_f64 v[173:174], v[4:5], v[10:11], v[175:176]
	v_fma_f64 v[175:176], v[2:3], v[10:11], -v[12:13]
	scratch_load_b128 v[10:13], off, off
	v_mul_f64 v[177:178], v[6:7], v[167:168]
	v_mul_f64 v[167:168], v[8:9], v[167:168]
	ds_load_b128 v[2:5], v1 offset:1216
	v_fma_f64 v[177:178], v[8:9], v[165:166], v[177:178]
	v_fma_f64 v[165:166], v[6:7], v[165:166], -v[167:168]
	ds_load_b128 v[6:9], v1 offset:1200
	s_waitcnt vmcnt(7) lgkmcnt(0)
	v_mul_f64 v[167:168], v[6:7], v[16:17]
	v_mul_f64 v[16:17], v[8:9], v[16:17]
	v_add_f64 v[40:41], v[40:41], v[177:178]
	v_add_f64 v[38:39], v[38:39], v[165:166]
	s_waitcnt vmcnt(6)
	v_mul_f64 v[165:166], v[2:3], v[20:21]
	v_mul_f64 v[20:21], v[4:5], v[20:21]
	v_fma_f64 v[167:168], v[8:9], v[14:15], v[167:168]
	v_fma_f64 v[14:15], v[6:7], v[14:15], -v[16:17]
	ds_load_b128 v[6:9], v1 offset:1232
	v_add_f64 v[16:17], v[38:39], v[175:176]
	v_add_f64 v[38:39], v[40:41], v[173:174]
	v_fma_f64 v[165:166], v[4:5], v[18:19], v[165:166]
	v_fma_f64 v[18:19], v[2:3], v[18:19], -v[20:21]
	ds_load_b128 v[2:5], v1 offset:1248
	s_waitcnt vmcnt(5) lgkmcnt(1)
	v_mul_f64 v[40:41], v[6:7], v[24:25]
	v_mul_f64 v[24:25], v[8:9], v[24:25]
	s_waitcnt vmcnt(4) lgkmcnt(0)
	v_mul_f64 v[20:21], v[2:3], v[28:29]
	v_mul_f64 v[28:29], v[4:5], v[28:29]
	v_add_f64 v[14:15], v[16:17], v[14:15]
	v_add_f64 v[16:17], v[38:39], v[167:168]
	v_fma_f64 v[38:39], v[8:9], v[22:23], v[40:41]
	v_fma_f64 v[22:23], v[6:7], v[22:23], -v[24:25]
	ds_load_b128 v[6:9], v1 offset:1264
	v_fma_f64 v[20:21], v[4:5], v[26:27], v[20:21]
	v_fma_f64 v[26:27], v[2:3], v[26:27], -v[28:29]
	ds_load_b128 v[2:5], v1 offset:1280
	s_waitcnt vmcnt(3) lgkmcnt(1)
	v_mul_f64 v[24:25], v[8:9], v[32:33]
	v_add_f64 v[14:15], v[14:15], v[18:19]
	v_add_f64 v[16:17], v[16:17], v[165:166]
	v_mul_f64 v[18:19], v[6:7], v[32:33]
	s_waitcnt vmcnt(2) lgkmcnt(0)
	v_mul_f64 v[28:29], v[4:5], v[36:37]
	v_fma_f64 v[24:25], v[6:7], v[30:31], -v[24:25]
	v_add_f64 v[14:15], v[14:15], v[22:23]
	v_add_f64 v[16:17], v[16:17], v[38:39]
	v_mul_f64 v[22:23], v[2:3], v[36:37]
	v_fma_f64 v[18:19], v[8:9], v[30:31], v[18:19]
	ds_load_b128 v[6:9], v1 offset:1296
	v_fma_f64 v[1:2], v[2:3], v[34:35], -v[28:29]
	v_add_f64 v[14:15], v[14:15], v[26:27]
	v_add_f64 v[16:17], v[16:17], v[20:21]
	s_waitcnt vmcnt(1) lgkmcnt(0)
	v_mul_f64 v[20:21], v[6:7], v[171:172]
	v_mul_f64 v[26:27], v[8:9], v[171:172]
	v_fma_f64 v[4:5], v[4:5], v[34:35], v[22:23]
	v_add_f64 v[14:15], v[14:15], v[24:25]
	v_add_f64 v[16:17], v[16:17], v[18:19]
	v_fma_f64 v[8:9], v[8:9], v[169:170], v[20:21]
	v_fma_f64 v[6:7], v[6:7], v[169:170], -v[26:27]
	s_delay_alu instid0(VALU_DEP_4) | instskip(NEXT) | instid1(VALU_DEP_4)
	v_add_f64 v[1:2], v[14:15], v[1:2]
	v_add_f64 v[3:4], v[16:17], v[4:5]
	s_delay_alu instid0(VALU_DEP_2) | instskip(NEXT) | instid1(VALU_DEP_2)
	v_add_f64 v[1:2], v[1:2], v[6:7]
	v_add_f64 v[3:4], v[3:4], v[8:9]
	s_waitcnt vmcnt(0)
	s_delay_alu instid0(VALU_DEP_2) | instskip(NEXT) | instid1(VALU_DEP_2)
	v_add_f64 v[1:2], v[10:11], -v[1:2]
	v_add_f64 v[3:4], v[12:13], -v[3:4]
	scratch_store_b128 off, v[1:4], off
	s_cbranch_vccz .LBB104_341
; %bb.260:
	v_dual_mov_b32 v1, s8 :: v_dual_mov_b32 v2, s9
	s_load_b64 s[0:1], s[0:1], 0x4
	flat_load_b32 v1, v[1:2] offset:156
	v_bfe_u32 v2, v0, 10, 10
	v_bfe_u32 v0, v0, 20, 10
	s_waitcnt lgkmcnt(0)
	s_lshr_b32 s0, s0, 16
	s_delay_alu instid0(VALU_DEP_2) | instskip(SKIP_1) | instid1(SALU_CYCLE_1)
	v_mul_u32_u24_e32 v2, s1, v2
	s_mul_i32 s0, s0, s1
	v_mul_u32_u24_e32 v3, s0, v124
	s_mov_b32 s0, exec_lo
	s_delay_alu instid0(VALU_DEP_1) | instskip(NEXT) | instid1(VALU_DEP_1)
	v_add3_u32 v0, v3, v2, v0
	v_lshl_add_u32 v0, v0, 4, 0x528
	s_waitcnt vmcnt(0)
	v_cmpx_ne_u32_e32 40, v1
	s_cbranch_execz .LBB104_262
; %bb.261:
	v_lshl_add_u32 v9, v1, 4, 0
	s_clause 0x1
	scratch_load_b128 v[1:4], v127, off
	scratch_load_b128 v[5:8], v9, off offset:-16
	s_waitcnt vmcnt(1)
	ds_store_2addr_b64 v0, v[1:2], v[3:4] offset1:1
	s_waitcnt vmcnt(0)
	s_clause 0x1
	scratch_store_b128 v127, v[5:8], off
	scratch_store_b128 v9, v[1:4], off offset:-16
.LBB104_262:
	s_or_b32 exec_lo, exec_lo, s0
	v_dual_mov_b32 v1, s8 :: v_dual_mov_b32 v2, s9
	s_mov_b32 s0, exec_lo
	flat_load_b32 v1, v[1:2] offset:152
	s_waitcnt vmcnt(0) lgkmcnt(0)
	v_cmpx_ne_u32_e32 39, v1
	s_cbranch_execz .LBB104_264
; %bb.263:
	v_lshl_add_u32 v9, v1, 4, 0
	s_clause 0x1
	scratch_load_b128 v[1:4], v128, off
	scratch_load_b128 v[5:8], v9, off offset:-16
	s_waitcnt vmcnt(1)
	ds_store_2addr_b64 v0, v[1:2], v[3:4] offset1:1
	s_waitcnt vmcnt(0)
	s_clause 0x1
	scratch_store_b128 v128, v[5:8], off
	scratch_store_b128 v9, v[1:4], off offset:-16
.LBB104_264:
	s_or_b32 exec_lo, exec_lo, s0
	v_dual_mov_b32 v1, s8 :: v_dual_mov_b32 v2, s9
	s_mov_b32 s0, exec_lo
	flat_load_b32 v1, v[1:2] offset:148
	s_waitcnt vmcnt(0) lgkmcnt(0)
	;; [unrolled: 19-line block ×38, first 2 shown]
	v_cmpx_ne_u32_e32 2, v1
	s_cbranch_execz .LBB104_338
; %bb.337:
	v_lshl_add_u32 v9, v1, 4, 0
	s_clause 0x1
	scratch_load_b128 v[1:4], v146, off
	scratch_load_b128 v[5:8], v9, off offset:-16
	s_waitcnt vmcnt(1)
	ds_store_2addr_b64 v0, v[1:2], v[3:4] offset1:1
	s_waitcnt vmcnt(0)
	s_clause 0x1
	scratch_store_b128 v146, v[5:8], off
	scratch_store_b128 v9, v[1:4], off offset:-16
.LBB104_338:
	s_or_b32 exec_lo, exec_lo, s0
	v_dual_mov_b32 v1, s8 :: v_dual_mov_b32 v2, s9
	s_mov_b32 s0, exec_lo
	flat_load_b32 v1, v[1:2]
	s_waitcnt vmcnt(0) lgkmcnt(0)
	v_cmpx_ne_u32_e32 1, v1
	s_cbranch_execz .LBB104_340
; %bb.339:
	v_lshl_add_u32 v9, v1, 4, 0
	scratch_load_b128 v[1:4], off, off
	scratch_load_b128 v[5:8], v9, off offset:-16
	s_waitcnt vmcnt(1)
	ds_store_2addr_b64 v0, v[1:2], v[3:4] offset1:1
	s_waitcnt vmcnt(0)
	scratch_store_b128 off, v[5:8], off
	scratch_store_b128 v9, v[1:4], off offset:-16
.LBB104_340:
	s_or_b32 exec_lo, exec_lo, s0
.LBB104_341:
	scratch_load_b128 v[0:3], off, off
	s_clause 0x13
	scratch_load_b128 v[4:7], v146, off
	scratch_load_b128 v[8:11], v145, off
	;; [unrolled: 1-line block ×20, first 2 shown]
	s_waitcnt vmcnt(20)
	global_store_b128 v[42:43], v[0:3], off
	s_clause 0x1
	scratch_load_b128 v[0:3], v148, off
	scratch_load_b128 v[40:43], v147, off
	s_waitcnt vmcnt(21)
	global_store_b128 v[44:45], v[4:7], off
	s_clause 0x1
	scratch_load_b128 v[4:7], v142, off
	scratch_load_b128 v[190:193], v141, off
	;; [unrolled: 5-line block ×10, first 2 shown]
	s_waitcnt vmcnt(30)
	global_store_b128 v[62:63], v[143:146], off
	s_waitcnt vmcnt(29)
	global_store_b128 v[64:65], v[158:161], off
	;; [unrolled: 2-line block ×31, first 2 shown]
	s_endpgm
	.section	.rodata,"a",@progbits
	.p2align	6, 0x0
	.amdhsa_kernel _ZN9rocsolver6v33100L18getri_kernel_smallILi41E19rocblas_complex_numIdEPKPS3_EEvT1_iilPiilS8_bb
		.amdhsa_group_segment_fixed_size 2344
		.amdhsa_private_segment_fixed_size 672
		.amdhsa_kernarg_size 60
		.amdhsa_user_sgpr_count 15
		.amdhsa_user_sgpr_dispatch_ptr 1
		.amdhsa_user_sgpr_queue_ptr 0
		.amdhsa_user_sgpr_kernarg_segment_ptr 1
		.amdhsa_user_sgpr_dispatch_id 0
		.amdhsa_user_sgpr_private_segment_size 0
		.amdhsa_wavefront_size32 1
		.amdhsa_uses_dynamic_stack 0
		.amdhsa_enable_private_segment 1
		.amdhsa_system_sgpr_workgroup_id_x 1
		.amdhsa_system_sgpr_workgroup_id_y 0
		.amdhsa_system_sgpr_workgroup_id_z 0
		.amdhsa_system_sgpr_workgroup_info 0
		.amdhsa_system_vgpr_workitem_id 2
		.amdhsa_next_free_vgpr 213
		.amdhsa_next_free_sgpr 47
		.amdhsa_reserve_vcc 1
		.amdhsa_float_round_mode_32 0
		.amdhsa_float_round_mode_16_64 0
		.amdhsa_float_denorm_mode_32 3
		.amdhsa_float_denorm_mode_16_64 3
		.amdhsa_dx10_clamp 1
		.amdhsa_ieee_mode 1
		.amdhsa_fp16_overflow 0
		.amdhsa_workgroup_processor_mode 1
		.amdhsa_memory_ordered 1
		.amdhsa_forward_progress 0
		.amdhsa_shared_vgpr_count 0
		.amdhsa_exception_fp_ieee_invalid_op 0
		.amdhsa_exception_fp_denorm_src 0
		.amdhsa_exception_fp_ieee_div_zero 0
		.amdhsa_exception_fp_ieee_overflow 0
		.amdhsa_exception_fp_ieee_underflow 0
		.amdhsa_exception_fp_ieee_inexact 0
		.amdhsa_exception_int_div_zero 0
	.end_amdhsa_kernel
	.section	.text._ZN9rocsolver6v33100L18getri_kernel_smallILi41E19rocblas_complex_numIdEPKPS3_EEvT1_iilPiilS8_bb,"axG",@progbits,_ZN9rocsolver6v33100L18getri_kernel_smallILi41E19rocblas_complex_numIdEPKPS3_EEvT1_iilPiilS8_bb,comdat
.Lfunc_end104:
	.size	_ZN9rocsolver6v33100L18getri_kernel_smallILi41E19rocblas_complex_numIdEPKPS3_EEvT1_iilPiilS8_bb, .Lfunc_end104-_ZN9rocsolver6v33100L18getri_kernel_smallILi41E19rocblas_complex_numIdEPKPS3_EEvT1_iilPiilS8_bb
                                        ; -- End function
	.section	.AMDGPU.csdata,"",@progbits
; Kernel info:
; codeLenInByte = 81400
; NumSgprs: 49
; NumVgprs: 213
; ScratchSize: 672
; MemoryBound: 0
; FloatMode: 240
; IeeeMode: 1
; LDSByteSize: 2344 bytes/workgroup (compile time only)
; SGPRBlocks: 6
; VGPRBlocks: 26
; NumSGPRsForWavesPerEU: 49
; NumVGPRsForWavesPerEU: 213
; Occupancy: 7
; WaveLimiterHint : 1
; COMPUTE_PGM_RSRC2:SCRATCH_EN: 1
; COMPUTE_PGM_RSRC2:USER_SGPR: 15
; COMPUTE_PGM_RSRC2:TRAP_HANDLER: 0
; COMPUTE_PGM_RSRC2:TGID_X_EN: 1
; COMPUTE_PGM_RSRC2:TGID_Y_EN: 0
; COMPUTE_PGM_RSRC2:TGID_Z_EN: 0
; COMPUTE_PGM_RSRC2:TIDIG_COMP_CNT: 2
	.section	.text._ZN9rocsolver6v33100L18getri_kernel_smallILi42E19rocblas_complex_numIdEPKPS3_EEvT1_iilPiilS8_bb,"axG",@progbits,_ZN9rocsolver6v33100L18getri_kernel_smallILi42E19rocblas_complex_numIdEPKPS3_EEvT1_iilPiilS8_bb,comdat
	.globl	_ZN9rocsolver6v33100L18getri_kernel_smallILi42E19rocblas_complex_numIdEPKPS3_EEvT1_iilPiilS8_bb ; -- Begin function _ZN9rocsolver6v33100L18getri_kernel_smallILi42E19rocblas_complex_numIdEPKPS3_EEvT1_iilPiilS8_bb
	.p2align	8
	.type	_ZN9rocsolver6v33100L18getri_kernel_smallILi42E19rocblas_complex_numIdEPKPS3_EEvT1_iilPiilS8_bb,@function
_ZN9rocsolver6v33100L18getri_kernel_smallILi42E19rocblas_complex_numIdEPKPS3_EEvT1_iilPiilS8_bb: ; @_ZN9rocsolver6v33100L18getri_kernel_smallILi42E19rocblas_complex_numIdEPKPS3_EEvT1_iilPiilS8_bb
; %bb.0:
	v_and_b32_e32 v126, 0x3ff, v0
	s_mov_b32 s4, exec_lo
	s_delay_alu instid0(VALU_DEP_1)
	v_cmpx_gt_u32_e32 42, v126
	s_cbranch_execz .LBB105_182
; %bb.1:
	s_mov_b32 s10, s15
	s_clause 0x2
	s_load_b32 s15, s[2:3], 0x38
	s_load_b64 s[8:9], s[2:3], 0x0
	s_load_b128 s[4:7], s[2:3], 0x28
	s_waitcnt lgkmcnt(0)
	s_bitcmp1_b32 s15, 8
	s_cselect_b32 s14, -1, 0
	s_ashr_i32 s11, s10, 31
	s_delay_alu instid0(SALU_CYCLE_1) | instskip(NEXT) | instid1(SALU_CYCLE_1)
	s_lshl_b64 s[12:13], s[10:11], 3
	s_add_u32 s8, s8, s12
	s_addc_u32 s9, s9, s13
	s_load_b64 s[12:13], s[8:9], 0x0
	s_bfe_u32 s8, s15, 0x10008
	s_delay_alu instid0(SALU_CYCLE_1)
	s_cmp_eq_u32 s8, 0
                                        ; implicit-def: $sgpr8_sgpr9
	s_cbranch_scc1 .LBB105_3
; %bb.2:
	s_clause 0x1
	s_load_b32 s8, s[2:3], 0x20
	s_load_b64 s[16:17], s[2:3], 0x18
	s_mul_i32 s5, s10, s5
	s_mul_hi_u32 s9, s10, s4
	s_mul_i32 s18, s11, s4
	s_add_i32 s5, s9, s5
	s_mul_i32 s4, s10, s4
	s_add_i32 s5, s5, s18
	s_delay_alu instid0(SALU_CYCLE_1)
	s_lshl_b64 s[4:5], s[4:5], 2
	s_waitcnt lgkmcnt(0)
	s_ashr_i32 s9, s8, 31
	s_add_u32 s16, s16, s4
	s_addc_u32 s17, s17, s5
	s_lshl_b64 s[4:5], s[8:9], 2
	s_delay_alu instid0(SALU_CYCLE_1)
	s_add_u32 s8, s16, s4
	s_addc_u32 s9, s17, s5
.LBB105_3:
	s_load_b64 s[2:3], s[2:3], 0x8
	v_lshlrev_b32_e32 v13, 4, v126
	s_movk_i32 s18, 0xd0
	s_movk_i32 s19, 0xe0
	;; [unrolled: 1-line block ×18, first 2 shown]
	s_waitcnt lgkmcnt(0)
	v_add3_u32 v1, s3, s3, v126
	s_ashr_i32 s5, s2, 31
	s_mov_b32 s4, s2
	s_mov_b32 s16, s3
	s_lshl_b64 s[4:5], s[4:5], 4
	v_add_nc_u32_e32 v7, s3, v1
	v_ashrrev_i32_e32 v2, 31, v1
	s_add_u32 s4, s12, s4
	s_addc_u32 s5, s13, s5
	v_add_co_u32 v42, s2, s4, v13
	s_ashr_i32 s17, s3, 31
	v_add_co_ci_u32_e64 v43, null, s5, 0, s2
	v_add_nc_u32_e32 v11, s3, v7
	v_lshlrev_b64 v[1:2], 4, v[1:2]
	s_lshl_b64 s[12:13], s[16:17], 4
	v_ashrrev_i32_e32 v8, 31, v7
	v_add_co_u32 v46, vcc_lo, v42, s12
	v_add_co_ci_u32_e32 v47, vcc_lo, s13, v43, vcc_lo
	v_add_nc_u32_e32 v18, s3, v11
	v_add_co_u32 v44, vcc_lo, s4, v1
	v_ashrrev_i32_e32 v12, 31, v11
	v_add_co_ci_u32_e32 v45, vcc_lo, s5, v2, vcc_lo
	v_lshlrev_b64 v[1:2], 4, v[7:8]
	v_add_nc_u32_e32 v26, s3, v18
	s_delay_alu instid0(VALU_DEP_4)
	v_lshlrev_b64 v[11:12], 4, v[11:12]
	v_ashrrev_i32_e32 v19, 31, v18
	s_clause 0x2
	global_load_b128 v[3:6], v13, s[4:5]
	global_load_b128 v[7:10], v[46:47], off
	global_load_b128 v[14:17], v[44:45], off
	v_add_co_u32 v50, vcc_lo, s4, v1
	v_add_nc_u32_e32 v1, s3, v26
	v_add_co_ci_u32_e32 v51, vcc_lo, s5, v2, vcc_lo
	v_add_co_u32 v48, vcc_lo, s4, v11
	v_add_co_ci_u32_e32 v49, vcc_lo, s5, v12, vcc_lo
	v_lshlrev_b64 v[11:12], 4, v[18:19]
	v_add_nc_u32_e32 v34, s3, v1
	v_ashrrev_i32_e32 v27, 31, v26
	v_ashrrev_i32_e32 v2, 31, v1
	s_clause 0x1
	global_load_b128 v[18:21], v[50:51], off
	global_load_b128 v[22:25], v[48:49], off
	s_movk_i32 s2, 0x50
	v_add_co_u32 v54, vcc_lo, s4, v11
	v_add_nc_u32_e32 v11, s3, v34
	v_lshlrev_b64 v[26:27], 4, v[26:27]
	v_lshlrev_b64 v[1:2], 4, v[1:2]
	v_add_co_ci_u32_e32 v55, vcc_lo, s5, v12, vcc_lo
	s_delay_alu instid0(VALU_DEP_4)
	v_add_nc_u32_e32 v60, s3, v11
	v_ashrrev_i32_e32 v35, 31, v34
	v_add_co_u32 v52, vcc_lo, s4, v26
	v_add_co_ci_u32_e32 v53, vcc_lo, s5, v27, vcc_lo
	v_ashrrev_i32_e32 v12, 31, v11
	v_add_co_u32 v58, vcc_lo, s4, v1
	v_add_nc_u32_e32 v1, s3, v60
	v_lshlrev_b64 v[34:35], 4, v[34:35]
	s_delay_alu instid0(VALU_DEP_4) | instskip(SKIP_1) | instid1(VALU_DEP_4)
	v_lshlrev_b64 v[11:12], 4, v[11:12]
	v_add_co_ci_u32_e32 v59, vcc_lo, s5, v2, vcc_lo
	v_add_nc_u32_e32 v64, s3, v1
	v_ashrrev_i32_e32 v61, 31, v60
	v_add_co_u32 v56, vcc_lo, s4, v34
	v_add_co_ci_u32_e32 v57, vcc_lo, s5, v35, vcc_lo
	v_ashrrev_i32_e32 v2, 31, v1
	v_add_co_u32 v62, vcc_lo, s4, v11
	v_add_nc_u32_e32 v11, s3, v64
	v_lshlrev_b64 v[60:61], 4, v[60:61]
	v_ashrrev_i32_e32 v65, 31, v64
	v_lshlrev_b64 v[1:2], 4, v[1:2]
	v_add_co_ci_u32_e32 v63, vcc_lo, s5, v12, vcc_lo
	v_add_nc_u32_e32 v68, s3, v11
	v_add_co_u32 v60, vcc_lo, s4, v60
	v_lshlrev_b64 v[66:67], 4, v[64:65]
	v_add_co_ci_u32_e32 v61, vcc_lo, s5, v61, vcc_lo
	v_ashrrev_i32_e32 v12, 31, v11
	v_add_co_u32 v64, vcc_lo, s4, v1
	v_add_nc_u32_e32 v1, s3, v68
	s_clause 0x1
	global_load_b128 v[26:29], v[54:55], off
	global_load_b128 v[30:33], v[52:53], off
	v_ashrrev_i32_e32 v69, 31, v68
	s_clause 0x1
	global_load_b128 v[34:37], v[58:59], off
	global_load_b128 v[38:41], v[56:57], off
	v_add_co_ci_u32_e32 v65, vcc_lo, s5, v2, vcc_lo
	s_clause 0x1
	global_load_b128 v[114:117], v[62:63], off
	global_load_b128 v[118:121], v[60:61], off
	v_add_co_u32 v66, vcc_lo, s4, v66
	v_lshlrev_b64 v[11:12], 4, v[11:12]
	v_ashrrev_i32_e32 v2, 31, v1
	v_add_co_ci_u32_e32 v67, vcc_lo, s5, v67, vcc_lo
	v_lshlrev_b64 v[70:71], 4, v[68:69]
	v_add_nc_u32_e32 v76, s3, v1
	s_clause 0x1
	global_load_b128 v[122:125], v[64:65], off
	global_load_b128 v[127:130], v[66:67], off
	v_add_co_u32 v68, vcc_lo, s4, v11
	v_lshlrev_b64 v[1:2], 4, v[1:2]
	v_add_co_ci_u32_e32 v69, vcc_lo, s5, v12, vcc_lo
	v_add_co_u32 v70, vcc_lo, s4, v70
	v_add_co_ci_u32_e32 v71, vcc_lo, s5, v71, vcc_lo
	s_delay_alu instid0(VALU_DEP_4)
	v_add_co_u32 v72, vcc_lo, s4, v1
	v_add_co_ci_u32_e32 v73, vcc_lo, s5, v2, vcc_lo
	s_clause 0x2
	global_load_b128 v[131:134], v[68:69], off
	global_load_b128 v[135:138], v[70:71], off
	;; [unrolled: 1-line block ×3, first 2 shown]
	v_ashrrev_i32_e32 v77, 31, v76
	v_add_nc_u32_e32 v1, s3, v76
	s_movk_i32 s12, 0x90
	s_movk_i32 s13, 0xa0
	;; [unrolled: 1-line block ×3, first 2 shown]
	v_lshlrev_b64 v[11:12], 4, v[76:77]
	v_ashrrev_i32_e32 v2, 31, v1
	s_movk_i32 s17, 0xc0
	s_movk_i32 s37, 0x1f0
	;; [unrolled: 1-line block ×4, first 2 shown]
	v_add_co_u32 v74, vcc_lo, s4, v11
	v_add_nc_u32_e32 v11, s3, v1
	v_add_co_ci_u32_e32 v75, vcc_lo, s5, v12, vcc_lo
	v_lshlrev_b64 v[1:2], 4, v[1:2]
	s_movk_i32 s40, 0x220
	s_delay_alu instid0(VALU_DEP_3)
	v_add_nc_u32_e32 v78, s3, v11
	v_ashrrev_i32_e32 v12, 31, v11
	global_load_b128 v[143:146], v[74:75], off
	s_movk_i32 s41, 0x230
	v_add_co_u32 v76, vcc_lo, s4, v1
	v_add_nc_u32_e32 v80, s3, v78
	v_lshlrev_b64 v[11:12], 4, v[11:12]
	v_ashrrev_i32_e32 v79, 31, v78
	v_add_co_ci_u32_e32 v77, vcc_lo, s5, v2, vcc_lo
	s_delay_alu instid0(VALU_DEP_4) | instskip(SKIP_1) | instid1(VALU_DEP_4)
	v_add_nc_u32_e32 v82, s3, v80
	v_ashrrev_i32_e32 v81, 31, v80
	v_lshlrev_b64 v[1:2], 4, v[78:79]
	v_add_co_u32 v78, vcc_lo, s4, v11
	s_delay_alu instid0(VALU_DEP_4) | instskip(SKIP_3) | instid1(VALU_DEP_4)
	v_add_nc_u32_e32 v84, s3, v82
	v_add_co_ci_u32_e32 v79, vcc_lo, s5, v12, vcc_lo
	v_lshlrev_b64 v[11:12], 4, v[80:81]
	v_ashrrev_i32_e32 v83, 31, v82
	v_add_nc_u32_e32 v86, s3, v84
	v_add_co_u32 v80, vcc_lo, s4, v1
	v_ashrrev_i32_e32 v85, 31, v84
	v_add_co_ci_u32_e32 v81, vcc_lo, s5, v2, vcc_lo
	s_delay_alu instid0(VALU_DEP_4) | instskip(SKIP_3) | instid1(VALU_DEP_4)
	v_add_nc_u32_e32 v88, s3, v86
	v_lshlrev_b64 v[1:2], 4, v[82:83]
	v_add_co_u32 v82, vcc_lo, s4, v11
	v_add_co_ci_u32_e32 v83, vcc_lo, s5, v12, vcc_lo
	v_add_nc_u32_e32 v92, s3, v88
	v_lshlrev_b64 v[11:12], 4, v[84:85]
	v_ashrrev_i32_e32 v87, 31, v86
	v_add_co_u32 v84, vcc_lo, s4, v1
	s_delay_alu instid0(VALU_DEP_4) | instskip(SKIP_3) | instid1(VALU_DEP_4)
	v_add_nc_u32_e32 v94, s3, v92
	v_ashrrev_i32_e32 v89, 31, v88
	v_add_co_ci_u32_e32 v85, vcc_lo, s5, v2, vcc_lo
	v_lshlrev_b64 v[1:2], 4, v[86:87]
	v_add_nc_u32_e32 v96, s3, v94
	v_add_co_u32 v86, vcc_lo, s4, v11
	v_add_co_ci_u32_e32 v87, vcc_lo, s5, v12, vcc_lo
	s_delay_alu instid0(VALU_DEP_3)
	v_add_nc_u32_e32 v98, s3, v96
	v_lshlrev_b64 v[11:12], 4, v[88:89]
	v_ashrrev_i32_e32 v93, 31, v92
	v_ashrrev_i32_e32 v95, 31, v94
	;; [unrolled: 1-line block ×3, first 2 shown]
	v_add_nc_u32_e32 v100, s3, v98
	v_ashrrev_i32_e32 v99, 31, v98
	v_lshlrev_b64 v[164:165], 4, v[92:93]
	s_clause 0x3
	global_load_b128 v[151:154], v[76:77], off
	global_load_b128 v[155:158], v[78:79], off
	;; [unrolled: 1-line block ×4, first 2 shown]
	v_add_nc_u32_e32 v102, s3, v100
	v_ashrrev_i32_e32 v101, 31, v100
	v_lshlrev_b64 v[166:167], 4, v[98:99]
	s_clause 0x1
	global_load_b128 v[176:179], v[84:85], off
	global_load_b128 v[180:183], v[86:87], off
	s_movk_i32 s42, 0x240
	v_add_nc_u32_e32 v104, s3, v102
	v_ashrrev_i32_e32 v103, 31, v102
	s_movk_i32 s43, 0x250
	s_movk_i32 s44, 0x260
	;; [unrolled: 1-line block ×3, first 2 shown]
	v_add_nc_u32_e32 v106, s3, v104
	v_ashrrev_i32_e32 v105, 31, v104
	s_movk_i32 s46, 0x280
	s_movk_i32 s47, 0x290
	s_bitcmp0_b32 s15, 0
	v_add_nc_u32_e32 v108, s3, v106
	v_ashrrev_i32_e32 v107, 31, v106
	s_delay_alu instid0(VALU_DEP_2) | instskip(SKIP_1) | instid1(VALU_DEP_2)
	v_add_nc_u32_e32 v110, s3, v108
	v_ashrrev_i32_e32 v109, 31, v108
	v_add_nc_u32_e32 v112, s3, v110
	v_ashrrev_i32_e32 v111, 31, v110
	s_delay_alu instid0(VALU_DEP_2) | instskip(SKIP_1) | instid1(VALU_DEP_2)
	v_add_nc_u32_e32 v147, s3, v112
	v_ashrrev_i32_e32 v113, 31, v112
	v_add_nc_u32_e32 v149, s3, v147
	v_ashrrev_i32_e32 v148, 31, v147
	s_delay_alu instid0(VALU_DEP_2) | instskip(SKIP_1) | instid1(VALU_DEP_3)
	v_add_nc_u32_e32 v159, s3, v149
	v_ashrrev_i32_e32 v150, 31, v149
	v_lshlrev_b64 v[147:148], 4, v[147:148]
	s_delay_alu instid0(VALU_DEP_3) | instskip(SKIP_1) | instid1(VALU_DEP_2)
	v_add_nc_u32_e32 v161, s3, v159
	v_ashrrev_i32_e32 v160, 31, v159
	v_add_nc_u32_e32 v163, s3, v161
	v_ashrrev_i32_e32 v162, 31, v161
	s_delay_alu instid0(VALU_DEP_2) | instskip(SKIP_1) | instid1(VALU_DEP_1)
	v_add_nc_u32_e32 v90, s3, v163
	s_movk_i32 s3, 0x60
	v_ashrrev_i32_e32 v91, 31, v90
	s_delay_alu instid0(VALU_DEP_1) | instskip(SKIP_2) | instid1(VALU_DEP_3)
	v_lshlrev_b64 v[88:89], 4, v[90:91]
	v_add_co_u32 v90, vcc_lo, s4, v1
	v_add_co_ci_u32_e32 v91, vcc_lo, s5, v2, vcc_lo
	v_add_co_u32 v88, vcc_lo, s4, v88
	s_delay_alu instid0(VALU_DEP_4)
	v_add_co_ci_u32_e32 v89, vcc_lo, s5, v89, vcc_lo
	v_add_co_u32 v92, vcc_lo, s4, v11
	v_add_co_ci_u32_e32 v93, vcc_lo, s5, v12, vcc_lo
	v_lshlrev_b64 v[11:12], 4, v[94:95]
	v_add_co_u32 v94, vcc_lo, s4, v164
	v_add_co_ci_u32_e32 v95, vcc_lo, s5, v165, vcc_lo
	v_lshlrev_b64 v[164:165], 4, v[96:97]
	s_delay_alu instid0(VALU_DEP_4)
	v_add_co_u32 v96, vcc_lo, s4, v11
	v_add_co_ci_u32_e32 v97, vcc_lo, s5, v12, vcc_lo
	global_load_b128 v[184:187], v[88:89], off
	v_add_co_u32 v98, vcc_lo, s4, v164
	v_add_co_ci_u32_e32 v99, vcc_lo, s5, v165, vcc_lo
	v_lshlrev_b64 v[164:165], 4, v[100:101]
	v_add_co_u32 v100, vcc_lo, s4, v166
	v_add_co_ci_u32_e32 v101, vcc_lo, s5, v167, vcc_lo
	v_lshlrev_b64 v[166:167], 4, v[102:103]
	s_delay_alu instid0(VALU_DEP_4) | instskip(SKIP_2) | instid1(VALU_DEP_4)
	v_add_co_u32 v102, vcc_lo, s4, v164
	v_add_co_ci_u32_e32 v103, vcc_lo, s5, v165, vcc_lo
	v_lshlrev_b64 v[164:165], 4, v[104:105]
	v_add_co_u32 v104, vcc_lo, s4, v166
	v_add_co_ci_u32_e32 v105, vcc_lo, s5, v167, vcc_lo
	v_lshlrev_b64 v[166:167], 4, v[106:107]
	s_delay_alu instid0(VALU_DEP_4) | instskip(SKIP_2) | instid1(VALU_DEP_4)
	;; [unrolled: 7-line block ×3, first 2 shown]
	v_add_co_u32 v110, vcc_lo, s4, v164
	v_add_co_ci_u32_e32 v111, vcc_lo, s5, v165, vcc_lo
	v_lshlrev_b64 v[164:165], 4, v[112:113]
	v_add_co_u32 v112, vcc_lo, s4, v166
	v_add_co_ci_u32_e32 v113, vcc_lo, s5, v167, vcc_lo
	v_add_nc_u32_e64 v167, s2, 0
	s_waitcnt vmcnt(23)
	scratch_store_b128 off, v[3:6], off
	s_clause 0x1
	global_load_b128 v[1:4], v[90:91], off
	global_load_b128 v[188:191], v[92:93], off
	s_waitcnt vmcnt(24)
	scratch_store_b128 off, v[7:10], off offset:16
	s_waitcnt vmcnt(23)
	scratch_store_b128 off, v[14:17], off offset:32
	s_clause 0x1
	global_load_b128 v[5:8], v[94:95], off
	global_load_b128 v[9:12], v[96:97], off
	s_waitcnt vmcnt(24)
	scratch_store_b128 off, v[18:21], off offset:48
	s_waitcnt vmcnt(23)
	scratch_store_b128 off, v[22:25], off offset:64
	;; [unrolled: 7-line block ×5, first 2 shown]
	v_add_co_u32 v114, vcc_lo, s4, v164
	v_lshlrev_b64 v[118:119], 4, v[149:150]
	v_add_co_ci_u32_e32 v115, vcc_lo, s5, v165, vcc_lo
	v_add_co_u32 v116, vcc_lo, s4, v147
	v_lshlrev_b64 v[120:121], 4, v[159:160]
	v_ashrrev_i32_e32 v164, 31, v163
	v_add_co_ci_u32_e32 v117, vcc_lo, s5, v148, vcc_lo
	s_clause 0x1
	global_load_b128 v[38:41], v[110:111], off
	global_load_b128 v[192:195], v[112:113], off
	s_waitcnt vmcnt(24)
	scratch_store_b128 off, v[122:125], off offset:176
	s_waitcnt vmcnt(23)
	scratch_store_b128 off, v[127:130], off offset:192
	v_add_co_u32 v118, vcc_lo, s4, v118
	v_lshlrev_b64 v[122:123], 4, v[161:162]
	v_add_co_ci_u32_e32 v119, vcc_lo, s5, v119, vcc_lo
	v_add_co_u32 v120, vcc_lo, s4, v120
	v_lshlrev_b64 v[124:125], 4, v[163:164]
	v_add_co_ci_u32_e32 v121, vcc_lo, s5, v121, vcc_lo
	v_add_co_u32 v122, vcc_lo, s4, v122
	v_add_co_ci_u32_e32 v123, vcc_lo, s5, v123, vcc_lo
	s_delay_alu instid0(VALU_DEP_4)
	v_add_co_u32 v124, vcc_lo, s4, v124
	s_clause 0x1
	global_load_b128 v[196:199], v[114:115], off
	global_load_b128 v[200:203], v[116:117], off
	s_waitcnt vmcnt(24)
	scratch_store_b128 off, v[131:134], off offset:208
	s_waitcnt vmcnt(23)
	scratch_store_b128 off, v[135:138], off offset:224
	s_clause 0x1
	global_load_b128 v[132:135], v[118:119], off
	global_load_b128 v[204:207], v[120:121], off
	v_add_co_ci_u32_e32 v125, vcc_lo, s5, v125, vcc_lo
	global_load_b128 v[208:211], v[122:123], off
	s_movk_i32 s4, 0x70
	s_movk_i32 s5, 0x80
	global_load_b128 v[212:215], v[124:125], off
	s_waitcnt vmcnt(26)
	scratch_store_b128 off, v[139:142], off offset:240
	v_add_nc_u32_e64 v150, 0, 16
	v_add_nc_u32_e64 v148, 0, 32
	;; [unrolled: 1-line block ×5, first 2 shown]
	s_waitcnt vmcnt(25)
	scratch_store_b128 off, v[143:146], off offset:256
	v_add_nc_u32_e64 v166, s4, 0
	v_add_nc_u32_e64 v164, s5, 0
	;; [unrolled: 1-line block ×23, first 2 shown]
	s_mov_b32 s3, -1
	s_waitcnt vmcnt(24)
	scratch_store_b128 off, v[151:154], off offset:272
	s_waitcnt vmcnt(23)
	scratch_store_b128 off, v[155:158], off offset:288
	;; [unrolled: 2-line block ×4, first 2 shown]
	v_add_nc_u32_e64 v158, s19, 0
	v_add_nc_u32_e64 v157, s20, 0
	;; [unrolled: 1-line block ×5, first 2 shown]
	s_waitcnt vmcnt(20)
	scratch_store_b128 off, v[176:179], off offset:336
	s_waitcnt vmcnt(19)
	scratch_store_b128 off, v[180:183], off offset:352
	v_add_nc_u32_e64 v154, s24, 0
	v_add_nc_u32_e64 v152, s25, 0
	;; [unrolled: 1-line block ×3, first 2 shown]
	s_waitcnt vmcnt(17)
	scratch_store_b128 off, v[1:4], off offset:368
	s_waitcnt vmcnt(16)
	scratch_store_b128 off, v[188:191], off offset:384
	s_waitcnt vmcnt(15)
	scratch_store_b128 off, v[5:8], off offset:400
	s_waitcnt vmcnt(14)
	scratch_store_b128 off, v[9:12], off offset:416
	s_waitcnt vmcnt(13)
	scratch_store_b128 off, v[14:17], off offset:432
	s_waitcnt vmcnt(12)
	scratch_store_b128 off, v[18:21], off offset:448
	s_waitcnt vmcnt(11)
	scratch_store_b128 off, v[22:25], off offset:464
	s_waitcnt vmcnt(10)
	scratch_store_b128 off, v[26:29], off offset:480
	s_waitcnt vmcnt(9)
	scratch_store_b128 off, v[30:33], off offset:496
	s_waitcnt vmcnt(8)
	scratch_store_b128 off, v[34:37], off offset:512
	s_waitcnt vmcnt(7)
	scratch_store_b128 off, v[38:41], off offset:528
	s_waitcnt vmcnt(6)
	scratch_store_b128 off, v[192:195], off offset:544
	s_waitcnt vmcnt(5)
	scratch_store_b128 off, v[196:199], off offset:560
	s_waitcnt vmcnt(4)
	scratch_store_b128 off, v[200:203], off offset:576
	s_waitcnt vmcnt(3)
	scratch_store_b128 off, v[132:135], off offset:592
	s_waitcnt vmcnt(2)
	scratch_store_b128 off, v[204:207], off offset:608
	s_waitcnt vmcnt(1)
	scratch_store_b128 off, v[208:211], off offset:624
	v_add_nc_u32_e64 v135, s44, 0
	v_add_nc_u32_e64 v134, s45, 0
	;; [unrolled: 1-line block ×4, first 2 shown]
	s_waitcnt vmcnt(0)
	s_clause 0x1
	scratch_store_b128 off, v[212:215], off offset:640
	scratch_store_b128 off, v[184:187], off offset:656
	s_cbranch_scc1 .LBB105_180
; %bb.4:
	v_cmp_eq_u32_e64 s2, 0, v126
	s_delay_alu instid0(VALU_DEP_1)
	s_and_saveexec_b32 s3, s2
	s_cbranch_execz .LBB105_6
; %bb.5:
	v_mov_b32_e32 v1, 0
	ds_store_b32 v1, v1 offset:1344
.LBB105_6:
	s_or_b32 exec_lo, exec_lo, s3
	s_waitcnt lgkmcnt(0)
	s_waitcnt_vscnt null, 0x0
	s_barrier
	buffer_gl0_inv
	scratch_load_b128 v[1:4], v13, off
	s_waitcnt vmcnt(0)
	v_cmp_eq_f64_e32 vcc_lo, 0, v[1:2]
	v_cmp_eq_f64_e64 s3, 0, v[3:4]
	s_delay_alu instid0(VALU_DEP_1) | instskip(NEXT) | instid1(SALU_CYCLE_1)
	s_and_b32 s3, vcc_lo, s3
	s_and_saveexec_b32 s4, s3
	s_cbranch_execz .LBB105_10
; %bb.7:
	v_mov_b32_e32 v1, 0
	s_mov_b32 s5, 0
	ds_load_b32 v2, v1 offset:1344
	s_waitcnt lgkmcnt(0)
	v_readfirstlane_b32 s3, v2
	v_add_nc_u32_e32 v2, 1, v126
	s_delay_alu instid0(VALU_DEP_2) | instskip(NEXT) | instid1(VALU_DEP_1)
	s_cmp_eq_u32 s3, 0
	v_cmp_gt_i32_e32 vcc_lo, s3, v2
	s_cselect_b32 s12, -1, 0
	s_delay_alu instid0(SALU_CYCLE_1) | instskip(NEXT) | instid1(SALU_CYCLE_1)
	s_or_b32 s12, s12, vcc_lo
	s_and_b32 exec_lo, exec_lo, s12
	s_cbranch_execz .LBB105_10
; %bb.8:
	v_mov_b32_e32 v3, s3
.LBB105_9:                              ; =>This Inner Loop Header: Depth=1
	ds_cmpstore_rtn_b32 v3, v1, v2, v3 offset:1344
	s_waitcnt lgkmcnt(0)
	v_cmp_ne_u32_e32 vcc_lo, 0, v3
	v_cmp_le_i32_e64 s3, v3, v2
	s_delay_alu instid0(VALU_DEP_1) | instskip(NEXT) | instid1(SALU_CYCLE_1)
	s_and_b32 s3, vcc_lo, s3
	s_and_b32 s3, exec_lo, s3
	s_delay_alu instid0(SALU_CYCLE_1) | instskip(NEXT) | instid1(SALU_CYCLE_1)
	s_or_b32 s5, s3, s5
	s_and_not1_b32 exec_lo, exec_lo, s5
	s_cbranch_execnz .LBB105_9
.LBB105_10:
	s_or_b32 exec_lo, exec_lo, s4
	v_mov_b32_e32 v1, 0
	s_barrier
	buffer_gl0_inv
	ds_load_b32 v2, v1 offset:1344
	s_and_saveexec_b32 s3, s2
	s_cbranch_execz .LBB105_12
; %bb.11:
	s_lshl_b64 s[4:5], s[10:11], 2
	s_delay_alu instid0(SALU_CYCLE_1)
	s_add_u32 s4, s6, s4
	s_addc_u32 s5, s7, s5
	s_waitcnt lgkmcnt(0)
	global_store_b32 v1, v2, s[4:5]
.LBB105_12:
	s_or_b32 exec_lo, exec_lo, s3
	s_waitcnt lgkmcnt(0)
	v_cmp_ne_u32_e32 vcc_lo, 0, v2
	s_mov_b32 s3, 0
	s_cbranch_vccnz .LBB105_180
; %bb.13:
	v_add_nc_u32_e32 v14, 0, v13
                                        ; implicit-def: $vgpr9_vgpr10
	scratch_load_b128 v[1:4], v14, off
	s_waitcnt vmcnt(0)
	v_mov_b32_e32 v5, v1
	v_cmp_gt_f64_e32 vcc_lo, 0, v[1:2]
	v_xor_b32_e32 v6, 0x80000000, v2
	v_xor_b32_e32 v7, 0x80000000, v4
	s_delay_alu instid0(VALU_DEP_2) | instskip(SKIP_1) | instid1(VALU_DEP_3)
	v_cndmask_b32_e32 v6, v2, v6, vcc_lo
	v_cmp_gt_f64_e32 vcc_lo, 0, v[3:4]
	v_dual_cndmask_b32 v8, v4, v7 :: v_dual_mov_b32 v7, v3
	s_delay_alu instid0(VALU_DEP_1) | instskip(SKIP_1) | instid1(SALU_CYCLE_1)
	v_cmp_ngt_f64_e32 vcc_lo, v[5:6], v[7:8]
                                        ; implicit-def: $vgpr5_vgpr6
	s_and_saveexec_b32 s3, vcc_lo
	s_xor_b32 s3, exec_lo, s3
	s_cbranch_execz .LBB105_15
; %bb.14:
	v_div_scale_f64 v[5:6], null, v[3:4], v[3:4], v[1:2]
	v_div_scale_f64 v[11:12], vcc_lo, v[1:2], v[3:4], v[1:2]
	s_delay_alu instid0(VALU_DEP_2) | instskip(SKIP_2) | instid1(VALU_DEP_1)
	v_rcp_f64_e32 v[7:8], v[5:6]
	s_waitcnt_depctr 0xfff
	v_fma_f64 v[9:10], -v[5:6], v[7:8], 1.0
	v_fma_f64 v[7:8], v[7:8], v[9:10], v[7:8]
	s_delay_alu instid0(VALU_DEP_1) | instskip(NEXT) | instid1(VALU_DEP_1)
	v_fma_f64 v[9:10], -v[5:6], v[7:8], 1.0
	v_fma_f64 v[7:8], v[7:8], v[9:10], v[7:8]
	s_delay_alu instid0(VALU_DEP_1) | instskip(NEXT) | instid1(VALU_DEP_1)
	v_mul_f64 v[9:10], v[11:12], v[7:8]
	v_fma_f64 v[5:6], -v[5:6], v[9:10], v[11:12]
	s_delay_alu instid0(VALU_DEP_1) | instskip(NEXT) | instid1(VALU_DEP_1)
	v_div_fmas_f64 v[5:6], v[5:6], v[7:8], v[9:10]
	v_div_fixup_f64 v[5:6], v[5:6], v[3:4], v[1:2]
	s_delay_alu instid0(VALU_DEP_1) | instskip(NEXT) | instid1(VALU_DEP_1)
	v_fma_f64 v[1:2], v[1:2], v[5:6], v[3:4]
	v_div_scale_f64 v[3:4], null, v[1:2], v[1:2], 1.0
	v_div_scale_f64 v[11:12], vcc_lo, 1.0, v[1:2], 1.0
	s_delay_alu instid0(VALU_DEP_2) | instskip(SKIP_2) | instid1(VALU_DEP_1)
	v_rcp_f64_e32 v[7:8], v[3:4]
	s_waitcnt_depctr 0xfff
	v_fma_f64 v[9:10], -v[3:4], v[7:8], 1.0
	v_fma_f64 v[7:8], v[7:8], v[9:10], v[7:8]
	s_delay_alu instid0(VALU_DEP_1) | instskip(NEXT) | instid1(VALU_DEP_1)
	v_fma_f64 v[9:10], -v[3:4], v[7:8], 1.0
	v_fma_f64 v[7:8], v[7:8], v[9:10], v[7:8]
	s_delay_alu instid0(VALU_DEP_1) | instskip(NEXT) | instid1(VALU_DEP_1)
	v_mul_f64 v[9:10], v[11:12], v[7:8]
	v_fma_f64 v[3:4], -v[3:4], v[9:10], v[11:12]
	s_delay_alu instid0(VALU_DEP_1) | instskip(NEXT) | instid1(VALU_DEP_1)
	v_div_fmas_f64 v[3:4], v[3:4], v[7:8], v[9:10]
	v_div_fixup_f64 v[7:8], v[3:4], v[1:2], 1.0
                                        ; implicit-def: $vgpr1_vgpr2
	s_delay_alu instid0(VALU_DEP_1) | instskip(SKIP_1) | instid1(VALU_DEP_2)
	v_mul_f64 v[5:6], v[5:6], v[7:8]
	v_xor_b32_e32 v8, 0x80000000, v8
	v_xor_b32_e32 v10, 0x80000000, v6
	s_delay_alu instid0(VALU_DEP_3)
	v_mov_b32_e32 v9, v5
.LBB105_15:
	s_and_not1_saveexec_b32 s3, s3
	s_cbranch_execz .LBB105_17
; %bb.16:
	v_div_scale_f64 v[5:6], null, v[1:2], v[1:2], v[3:4]
	v_div_scale_f64 v[11:12], vcc_lo, v[3:4], v[1:2], v[3:4]
	s_delay_alu instid0(VALU_DEP_2) | instskip(SKIP_2) | instid1(VALU_DEP_1)
	v_rcp_f64_e32 v[7:8], v[5:6]
	s_waitcnt_depctr 0xfff
	v_fma_f64 v[9:10], -v[5:6], v[7:8], 1.0
	v_fma_f64 v[7:8], v[7:8], v[9:10], v[7:8]
	s_delay_alu instid0(VALU_DEP_1) | instskip(NEXT) | instid1(VALU_DEP_1)
	v_fma_f64 v[9:10], -v[5:6], v[7:8], 1.0
	v_fma_f64 v[7:8], v[7:8], v[9:10], v[7:8]
	s_delay_alu instid0(VALU_DEP_1) | instskip(NEXT) | instid1(VALU_DEP_1)
	v_mul_f64 v[9:10], v[11:12], v[7:8]
	v_fma_f64 v[5:6], -v[5:6], v[9:10], v[11:12]
	s_delay_alu instid0(VALU_DEP_1) | instskip(NEXT) | instid1(VALU_DEP_1)
	v_div_fmas_f64 v[5:6], v[5:6], v[7:8], v[9:10]
	v_div_fixup_f64 v[7:8], v[5:6], v[1:2], v[3:4]
	s_delay_alu instid0(VALU_DEP_1) | instskip(NEXT) | instid1(VALU_DEP_1)
	v_fma_f64 v[1:2], v[3:4], v[7:8], v[1:2]
	v_div_scale_f64 v[3:4], null, v[1:2], v[1:2], 1.0
	s_delay_alu instid0(VALU_DEP_1) | instskip(SKIP_2) | instid1(VALU_DEP_1)
	v_rcp_f64_e32 v[5:6], v[3:4]
	s_waitcnt_depctr 0xfff
	v_fma_f64 v[9:10], -v[3:4], v[5:6], 1.0
	v_fma_f64 v[5:6], v[5:6], v[9:10], v[5:6]
	s_delay_alu instid0(VALU_DEP_1) | instskip(NEXT) | instid1(VALU_DEP_1)
	v_fma_f64 v[9:10], -v[3:4], v[5:6], 1.0
	v_fma_f64 v[5:6], v[5:6], v[9:10], v[5:6]
	v_div_scale_f64 v[9:10], vcc_lo, 1.0, v[1:2], 1.0
	s_delay_alu instid0(VALU_DEP_1) | instskip(NEXT) | instid1(VALU_DEP_1)
	v_mul_f64 v[11:12], v[9:10], v[5:6]
	v_fma_f64 v[3:4], -v[3:4], v[11:12], v[9:10]
	s_delay_alu instid0(VALU_DEP_1) | instskip(NEXT) | instid1(VALU_DEP_1)
	v_div_fmas_f64 v[3:4], v[3:4], v[5:6], v[11:12]
	v_div_fixup_f64 v[5:6], v[3:4], v[1:2], 1.0
	s_delay_alu instid0(VALU_DEP_1)
	v_mul_f64 v[7:8], v[7:8], -v[5:6]
	v_xor_b32_e32 v10, 0x80000000, v6
	v_mov_b32_e32 v9, v5
.LBB105_17:
	s_or_b32 exec_lo, exec_lo, s3
	scratch_store_b128 v14, v[5:8], off
	scratch_load_b128 v[1:4], v150, off
	v_xor_b32_e32 v12, 0x80000000, v8
	v_mov_b32_e32 v11, v7
	v_add_nc_u32_e32 v5, 0x2a0, v13
	ds_store_b128 v13, v[9:12]
	s_waitcnt vmcnt(0)
	ds_store_b128 v13, v[1:4] offset:672
	s_waitcnt lgkmcnt(0)
	s_waitcnt_vscnt null, 0x0
	s_barrier
	buffer_gl0_inv
	s_and_saveexec_b32 s3, s2
	s_cbranch_execz .LBB105_19
; %bb.18:
	scratch_load_b128 v[1:4], v14, off
	ds_load_b128 v[6:9], v5
	v_mov_b32_e32 v10, 0
	ds_load_b128 v[15:18], v10 offset:16
	s_waitcnt vmcnt(0) lgkmcnt(1)
	v_mul_f64 v[10:11], v[6:7], v[3:4]
	v_mul_f64 v[3:4], v[8:9], v[3:4]
	s_delay_alu instid0(VALU_DEP_2) | instskip(NEXT) | instid1(VALU_DEP_2)
	v_fma_f64 v[8:9], v[8:9], v[1:2], v[10:11]
	v_fma_f64 v[1:2], v[6:7], v[1:2], -v[3:4]
	s_delay_alu instid0(VALU_DEP_2) | instskip(NEXT) | instid1(VALU_DEP_2)
	v_add_f64 v[3:4], v[8:9], 0
	v_add_f64 v[1:2], v[1:2], 0
	s_waitcnt lgkmcnt(0)
	s_delay_alu instid0(VALU_DEP_2) | instskip(NEXT) | instid1(VALU_DEP_2)
	v_mul_f64 v[6:7], v[3:4], v[17:18]
	v_mul_f64 v[8:9], v[1:2], v[17:18]
	s_delay_alu instid0(VALU_DEP_2) | instskip(NEXT) | instid1(VALU_DEP_2)
	v_fma_f64 v[1:2], v[1:2], v[15:16], -v[6:7]
	v_fma_f64 v[3:4], v[3:4], v[15:16], v[8:9]
	scratch_store_b128 off, v[1:4], off offset:16
.LBB105_19:
	s_or_b32 exec_lo, exec_lo, s3
	s_waitcnt_vscnt null, 0x0
	s_barrier
	buffer_gl0_inv
	scratch_load_b128 v[1:4], v148, off
	s_mov_b32 s3, exec_lo
	s_waitcnt vmcnt(0)
	ds_store_b128 v5, v[1:4]
	s_waitcnt lgkmcnt(0)
	s_barrier
	buffer_gl0_inv
	v_cmpx_gt_u32_e32 2, v126
	s_cbranch_execz .LBB105_23
; %bb.20:
	scratch_load_b128 v[1:4], v14, off
	ds_load_b128 v[6:9], v5
	s_waitcnt vmcnt(0) lgkmcnt(0)
	v_mul_f64 v[10:11], v[8:9], v[3:4]
	v_mul_f64 v[3:4], v[6:7], v[3:4]
	s_delay_alu instid0(VALU_DEP_2) | instskip(NEXT) | instid1(VALU_DEP_2)
	v_fma_f64 v[6:7], v[6:7], v[1:2], -v[10:11]
	v_fma_f64 v[3:4], v[8:9], v[1:2], v[3:4]
	s_delay_alu instid0(VALU_DEP_2) | instskip(NEXT) | instid1(VALU_DEP_2)
	v_add_f64 v[1:2], v[6:7], 0
	v_add_f64 v[3:4], v[3:4], 0
	s_and_saveexec_b32 s4, s2
	s_cbranch_execz .LBB105_22
; %bb.21:
	scratch_load_b128 v[6:9], off, off offset:16
	v_mov_b32_e32 v10, 0
	ds_load_b128 v[15:18], v10 offset:688
	s_waitcnt vmcnt(0) lgkmcnt(0)
	v_mul_f64 v[10:11], v[15:16], v[8:9]
	v_mul_f64 v[8:9], v[17:18], v[8:9]
	s_delay_alu instid0(VALU_DEP_2) | instskip(NEXT) | instid1(VALU_DEP_2)
	v_fma_f64 v[10:11], v[17:18], v[6:7], v[10:11]
	v_fma_f64 v[6:7], v[15:16], v[6:7], -v[8:9]
	s_delay_alu instid0(VALU_DEP_2) | instskip(NEXT) | instid1(VALU_DEP_2)
	v_add_f64 v[3:4], v[3:4], v[10:11]
	v_add_f64 v[1:2], v[1:2], v[6:7]
.LBB105_22:
	s_or_b32 exec_lo, exec_lo, s4
	v_mov_b32_e32 v6, 0
	ds_load_b128 v[6:9], v6 offset:32
	s_waitcnt lgkmcnt(0)
	v_mul_f64 v[10:11], v[3:4], v[8:9]
	v_mul_f64 v[8:9], v[1:2], v[8:9]
	s_delay_alu instid0(VALU_DEP_2) | instskip(NEXT) | instid1(VALU_DEP_2)
	v_fma_f64 v[1:2], v[1:2], v[6:7], -v[10:11]
	v_fma_f64 v[3:4], v[3:4], v[6:7], v[8:9]
	scratch_store_b128 off, v[1:4], off offset:32
.LBB105_23:
	s_or_b32 exec_lo, exec_lo, s3
	s_waitcnt_vscnt null, 0x0
	s_barrier
	buffer_gl0_inv
	scratch_load_b128 v[1:4], v149, off
	v_add_nc_u32_e32 v6, -1, v126
	s_mov_b32 s2, exec_lo
	s_waitcnt vmcnt(0)
	ds_store_b128 v5, v[1:4]
	s_waitcnt lgkmcnt(0)
	s_barrier
	buffer_gl0_inv
	v_cmpx_gt_u32_e32 3, v126
	s_cbranch_execz .LBB105_27
; %bb.24:
	v_dual_mov_b32 v1, 0 :: v_dual_add_nc_u32 v8, 0x2a0, v13
	v_dual_mov_b32 v2, 0 :: v_dual_add_nc_u32 v7, -1, v126
	v_or_b32_e32 v9, 8, v14
	s_mov_b32 s3, 0
	s_delay_alu instid0(VALU_DEP_2)
	v_dual_mov_b32 v4, v2 :: v_dual_mov_b32 v3, v1
	.p2align	6
.LBB105_25:                             ; =>This Inner Loop Header: Depth=1
	scratch_load_b128 v[15:18], v9, off offset:-8
	ds_load_b128 v[19:22], v8
	v_add_nc_u32_e32 v7, 1, v7
	v_add_nc_u32_e32 v8, 16, v8
	;; [unrolled: 1-line block ×3, first 2 shown]
	s_delay_alu instid0(VALU_DEP_3) | instskip(SKIP_4) | instid1(VALU_DEP_2)
	v_cmp_lt_u32_e32 vcc_lo, 1, v7
	s_or_b32 s3, vcc_lo, s3
	s_waitcnt vmcnt(0) lgkmcnt(0)
	v_mul_f64 v[10:11], v[21:22], v[17:18]
	v_mul_f64 v[17:18], v[19:20], v[17:18]
	v_fma_f64 v[10:11], v[19:20], v[15:16], -v[10:11]
	s_delay_alu instid0(VALU_DEP_2) | instskip(NEXT) | instid1(VALU_DEP_2)
	v_fma_f64 v[15:16], v[21:22], v[15:16], v[17:18]
	v_add_f64 v[3:4], v[3:4], v[10:11]
	s_delay_alu instid0(VALU_DEP_2)
	v_add_f64 v[1:2], v[1:2], v[15:16]
	s_and_not1_b32 exec_lo, exec_lo, s3
	s_cbranch_execnz .LBB105_25
; %bb.26:
	s_or_b32 exec_lo, exec_lo, s3
	v_mov_b32_e32 v7, 0
	ds_load_b128 v[7:10], v7 offset:48
	s_waitcnt lgkmcnt(0)
	v_mul_f64 v[11:12], v[1:2], v[9:10]
	v_mul_f64 v[15:16], v[3:4], v[9:10]
	s_delay_alu instid0(VALU_DEP_2) | instskip(NEXT) | instid1(VALU_DEP_2)
	v_fma_f64 v[9:10], v[3:4], v[7:8], -v[11:12]
	v_fma_f64 v[11:12], v[1:2], v[7:8], v[15:16]
	scratch_store_b128 off, v[9:12], off offset:48
.LBB105_27:
	s_or_b32 exec_lo, exec_lo, s2
	s_waitcnt_vscnt null, 0x0
	s_barrier
	buffer_gl0_inv
	scratch_load_b128 v[1:4], v147, off
	s_mov_b32 s2, exec_lo
	s_waitcnt vmcnt(0)
	ds_store_b128 v5, v[1:4]
	s_waitcnt lgkmcnt(0)
	s_barrier
	buffer_gl0_inv
	v_cmpx_gt_u32_e32 4, v126
	s_cbranch_execz .LBB105_31
; %bb.28:
	v_dual_mov_b32 v1, 0 :: v_dual_add_nc_u32 v8, 0x2a0, v13
	v_dual_mov_b32 v2, 0 :: v_dual_add_nc_u32 v7, -1, v126
	v_or_b32_e32 v9, 8, v14
	s_mov_b32 s3, 0
	s_delay_alu instid0(VALU_DEP_2)
	v_dual_mov_b32 v4, v2 :: v_dual_mov_b32 v3, v1
	.p2align	6
.LBB105_29:                             ; =>This Inner Loop Header: Depth=1
	scratch_load_b128 v[15:18], v9, off offset:-8
	ds_load_b128 v[19:22], v8
	v_add_nc_u32_e32 v7, 1, v7
	v_add_nc_u32_e32 v8, 16, v8
	;; [unrolled: 1-line block ×3, first 2 shown]
	s_delay_alu instid0(VALU_DEP_3) | instskip(SKIP_4) | instid1(VALU_DEP_2)
	v_cmp_lt_u32_e32 vcc_lo, 2, v7
	s_or_b32 s3, vcc_lo, s3
	s_waitcnt vmcnt(0) lgkmcnt(0)
	v_mul_f64 v[10:11], v[21:22], v[17:18]
	v_mul_f64 v[17:18], v[19:20], v[17:18]
	v_fma_f64 v[10:11], v[19:20], v[15:16], -v[10:11]
	s_delay_alu instid0(VALU_DEP_2) | instskip(NEXT) | instid1(VALU_DEP_2)
	v_fma_f64 v[15:16], v[21:22], v[15:16], v[17:18]
	v_add_f64 v[3:4], v[3:4], v[10:11]
	s_delay_alu instid0(VALU_DEP_2)
	v_add_f64 v[1:2], v[1:2], v[15:16]
	s_and_not1_b32 exec_lo, exec_lo, s3
	s_cbranch_execnz .LBB105_29
; %bb.30:
	s_or_b32 exec_lo, exec_lo, s3
	v_mov_b32_e32 v7, 0
	ds_load_b128 v[7:10], v7 offset:64
	s_waitcnt lgkmcnt(0)
	v_mul_f64 v[11:12], v[1:2], v[9:10]
	v_mul_f64 v[15:16], v[3:4], v[9:10]
	s_delay_alu instid0(VALU_DEP_2) | instskip(NEXT) | instid1(VALU_DEP_2)
	v_fma_f64 v[9:10], v[3:4], v[7:8], -v[11:12]
	v_fma_f64 v[11:12], v[1:2], v[7:8], v[15:16]
	scratch_store_b128 off, v[9:12], off offset:64
.LBB105_31:
	s_or_b32 exec_lo, exec_lo, s2
	s_waitcnt_vscnt null, 0x0
	s_barrier
	buffer_gl0_inv
	scratch_load_b128 v[1:4], v167, off
	s_mov_b32 s2, exec_lo
	s_waitcnt vmcnt(0)
	ds_store_b128 v5, v[1:4]
	s_waitcnt lgkmcnt(0)
	s_barrier
	buffer_gl0_inv
	v_cmpx_gt_u32_e32 5, v126
	s_cbranch_execz .LBB105_35
; %bb.32:
	v_dual_mov_b32 v1, 0 :: v_dual_add_nc_u32 v8, 0x2a0, v13
	v_dual_mov_b32 v2, 0 :: v_dual_add_nc_u32 v7, -1, v126
	v_or_b32_e32 v9, 8, v14
	s_mov_b32 s3, 0
	s_delay_alu instid0(VALU_DEP_2)
	v_dual_mov_b32 v4, v2 :: v_dual_mov_b32 v3, v1
	.p2align	6
.LBB105_33:                             ; =>This Inner Loop Header: Depth=1
	scratch_load_b128 v[15:18], v9, off offset:-8
	ds_load_b128 v[19:22], v8
	v_add_nc_u32_e32 v7, 1, v7
	v_add_nc_u32_e32 v8, 16, v8
	;; [unrolled: 1-line block ×3, first 2 shown]
	s_delay_alu instid0(VALU_DEP_3) | instskip(SKIP_4) | instid1(VALU_DEP_2)
	v_cmp_lt_u32_e32 vcc_lo, 3, v7
	s_or_b32 s3, vcc_lo, s3
	s_waitcnt vmcnt(0) lgkmcnt(0)
	v_mul_f64 v[10:11], v[21:22], v[17:18]
	v_mul_f64 v[17:18], v[19:20], v[17:18]
	v_fma_f64 v[10:11], v[19:20], v[15:16], -v[10:11]
	s_delay_alu instid0(VALU_DEP_2) | instskip(NEXT) | instid1(VALU_DEP_2)
	v_fma_f64 v[15:16], v[21:22], v[15:16], v[17:18]
	v_add_f64 v[3:4], v[3:4], v[10:11]
	s_delay_alu instid0(VALU_DEP_2)
	v_add_f64 v[1:2], v[1:2], v[15:16]
	s_and_not1_b32 exec_lo, exec_lo, s3
	s_cbranch_execnz .LBB105_33
; %bb.34:
	s_or_b32 exec_lo, exec_lo, s3
	v_mov_b32_e32 v7, 0
	ds_load_b128 v[7:10], v7 offset:80
	s_waitcnt lgkmcnt(0)
	v_mul_f64 v[11:12], v[1:2], v[9:10]
	v_mul_f64 v[15:16], v[3:4], v[9:10]
	s_delay_alu instid0(VALU_DEP_2) | instskip(NEXT) | instid1(VALU_DEP_2)
	v_fma_f64 v[9:10], v[3:4], v[7:8], -v[11:12]
	v_fma_f64 v[11:12], v[1:2], v[7:8], v[15:16]
	scratch_store_b128 off, v[9:12], off offset:80
.LBB105_35:
	s_or_b32 exec_lo, exec_lo, s2
	s_waitcnt_vscnt null, 0x0
	s_barrier
	buffer_gl0_inv
	scratch_load_b128 v[1:4], v165, off
	s_mov_b32 s2, exec_lo
	s_waitcnt vmcnt(0)
	ds_store_b128 v5, v[1:4]
	s_waitcnt lgkmcnt(0)
	s_barrier
	buffer_gl0_inv
	v_cmpx_gt_u32_e32 6, v126
	s_cbranch_execz .LBB105_39
; %bb.36:
	v_dual_mov_b32 v1, 0 :: v_dual_add_nc_u32 v8, 0x2a0, v13
	v_dual_mov_b32 v2, 0 :: v_dual_add_nc_u32 v7, -1, v126
	v_or_b32_e32 v9, 8, v14
	s_mov_b32 s3, 0
	s_delay_alu instid0(VALU_DEP_2)
	v_dual_mov_b32 v4, v2 :: v_dual_mov_b32 v3, v1
	.p2align	6
.LBB105_37:                             ; =>This Inner Loop Header: Depth=1
	scratch_load_b128 v[15:18], v9, off offset:-8
	ds_load_b128 v[19:22], v8
	v_add_nc_u32_e32 v7, 1, v7
	v_add_nc_u32_e32 v8, 16, v8
	;; [unrolled: 1-line block ×3, first 2 shown]
	s_delay_alu instid0(VALU_DEP_3) | instskip(SKIP_4) | instid1(VALU_DEP_2)
	v_cmp_lt_u32_e32 vcc_lo, 4, v7
	s_or_b32 s3, vcc_lo, s3
	s_waitcnt vmcnt(0) lgkmcnt(0)
	v_mul_f64 v[10:11], v[21:22], v[17:18]
	v_mul_f64 v[17:18], v[19:20], v[17:18]
	v_fma_f64 v[10:11], v[19:20], v[15:16], -v[10:11]
	s_delay_alu instid0(VALU_DEP_2) | instskip(NEXT) | instid1(VALU_DEP_2)
	v_fma_f64 v[15:16], v[21:22], v[15:16], v[17:18]
	v_add_f64 v[3:4], v[3:4], v[10:11]
	s_delay_alu instid0(VALU_DEP_2)
	v_add_f64 v[1:2], v[1:2], v[15:16]
	s_and_not1_b32 exec_lo, exec_lo, s3
	s_cbranch_execnz .LBB105_37
; %bb.38:
	s_or_b32 exec_lo, exec_lo, s3
	v_mov_b32_e32 v7, 0
	ds_load_b128 v[7:10], v7 offset:96
	s_waitcnt lgkmcnt(0)
	v_mul_f64 v[11:12], v[1:2], v[9:10]
	v_mul_f64 v[15:16], v[3:4], v[9:10]
	s_delay_alu instid0(VALU_DEP_2) | instskip(NEXT) | instid1(VALU_DEP_2)
	v_fma_f64 v[9:10], v[3:4], v[7:8], -v[11:12]
	v_fma_f64 v[11:12], v[1:2], v[7:8], v[15:16]
	scratch_store_b128 off, v[9:12], off offset:96
.LBB105_39:
	s_or_b32 exec_lo, exec_lo, s2
	s_waitcnt_vscnt null, 0x0
	s_barrier
	buffer_gl0_inv
	scratch_load_b128 v[1:4], v166, off
	s_mov_b32 s2, exec_lo
	s_waitcnt vmcnt(0)
	ds_store_b128 v5, v[1:4]
	s_waitcnt lgkmcnt(0)
	s_barrier
	buffer_gl0_inv
	v_cmpx_gt_u32_e32 7, v126
	s_cbranch_execz .LBB105_43
; %bb.40:
	v_dual_mov_b32 v1, 0 :: v_dual_add_nc_u32 v8, 0x2a0, v13
	v_dual_mov_b32 v2, 0 :: v_dual_add_nc_u32 v7, -1, v126
	v_or_b32_e32 v9, 8, v14
	s_mov_b32 s3, 0
	s_delay_alu instid0(VALU_DEP_2)
	v_dual_mov_b32 v4, v2 :: v_dual_mov_b32 v3, v1
	.p2align	6
.LBB105_41:                             ; =>This Inner Loop Header: Depth=1
	scratch_load_b128 v[15:18], v9, off offset:-8
	ds_load_b128 v[19:22], v8
	v_add_nc_u32_e32 v7, 1, v7
	v_add_nc_u32_e32 v8, 16, v8
	;; [unrolled: 1-line block ×3, first 2 shown]
	s_delay_alu instid0(VALU_DEP_3) | instskip(SKIP_4) | instid1(VALU_DEP_2)
	v_cmp_lt_u32_e32 vcc_lo, 5, v7
	s_or_b32 s3, vcc_lo, s3
	s_waitcnt vmcnt(0) lgkmcnt(0)
	v_mul_f64 v[10:11], v[21:22], v[17:18]
	v_mul_f64 v[17:18], v[19:20], v[17:18]
	v_fma_f64 v[10:11], v[19:20], v[15:16], -v[10:11]
	s_delay_alu instid0(VALU_DEP_2) | instskip(NEXT) | instid1(VALU_DEP_2)
	v_fma_f64 v[15:16], v[21:22], v[15:16], v[17:18]
	v_add_f64 v[3:4], v[3:4], v[10:11]
	s_delay_alu instid0(VALU_DEP_2)
	v_add_f64 v[1:2], v[1:2], v[15:16]
	s_and_not1_b32 exec_lo, exec_lo, s3
	s_cbranch_execnz .LBB105_41
; %bb.42:
	s_or_b32 exec_lo, exec_lo, s3
	v_mov_b32_e32 v7, 0
	ds_load_b128 v[7:10], v7 offset:112
	s_waitcnt lgkmcnt(0)
	v_mul_f64 v[11:12], v[1:2], v[9:10]
	v_mul_f64 v[15:16], v[3:4], v[9:10]
	s_delay_alu instid0(VALU_DEP_2) | instskip(NEXT) | instid1(VALU_DEP_2)
	v_fma_f64 v[9:10], v[3:4], v[7:8], -v[11:12]
	v_fma_f64 v[11:12], v[1:2], v[7:8], v[15:16]
	scratch_store_b128 off, v[9:12], off offset:112
.LBB105_43:
	s_or_b32 exec_lo, exec_lo, s2
	s_waitcnt_vscnt null, 0x0
	s_barrier
	buffer_gl0_inv
	scratch_load_b128 v[1:4], v164, off
	s_mov_b32 s2, exec_lo
	s_waitcnt vmcnt(0)
	ds_store_b128 v5, v[1:4]
	s_waitcnt lgkmcnt(0)
	s_barrier
	buffer_gl0_inv
	v_cmpx_gt_u32_e32 8, v126
	s_cbranch_execz .LBB105_47
; %bb.44:
	v_dual_mov_b32 v1, 0 :: v_dual_add_nc_u32 v8, 0x2a0, v13
	v_dual_mov_b32 v2, 0 :: v_dual_add_nc_u32 v7, -1, v126
	v_or_b32_e32 v9, 8, v14
	s_mov_b32 s3, 0
	s_delay_alu instid0(VALU_DEP_2)
	v_dual_mov_b32 v4, v2 :: v_dual_mov_b32 v3, v1
	.p2align	6
.LBB105_45:                             ; =>This Inner Loop Header: Depth=1
	scratch_load_b128 v[15:18], v9, off offset:-8
	ds_load_b128 v[19:22], v8
	v_add_nc_u32_e32 v7, 1, v7
	v_add_nc_u32_e32 v8, 16, v8
	;; [unrolled: 1-line block ×3, first 2 shown]
	s_delay_alu instid0(VALU_DEP_3) | instskip(SKIP_4) | instid1(VALU_DEP_2)
	v_cmp_lt_u32_e32 vcc_lo, 6, v7
	s_or_b32 s3, vcc_lo, s3
	s_waitcnt vmcnt(0) lgkmcnt(0)
	v_mul_f64 v[10:11], v[21:22], v[17:18]
	v_mul_f64 v[17:18], v[19:20], v[17:18]
	v_fma_f64 v[10:11], v[19:20], v[15:16], -v[10:11]
	s_delay_alu instid0(VALU_DEP_2) | instskip(NEXT) | instid1(VALU_DEP_2)
	v_fma_f64 v[15:16], v[21:22], v[15:16], v[17:18]
	v_add_f64 v[3:4], v[3:4], v[10:11]
	s_delay_alu instid0(VALU_DEP_2)
	v_add_f64 v[1:2], v[1:2], v[15:16]
	s_and_not1_b32 exec_lo, exec_lo, s3
	s_cbranch_execnz .LBB105_45
; %bb.46:
	s_or_b32 exec_lo, exec_lo, s3
	v_mov_b32_e32 v7, 0
	ds_load_b128 v[7:10], v7 offset:128
	s_waitcnt lgkmcnt(0)
	v_mul_f64 v[11:12], v[1:2], v[9:10]
	v_mul_f64 v[15:16], v[3:4], v[9:10]
	s_delay_alu instid0(VALU_DEP_2) | instskip(NEXT) | instid1(VALU_DEP_2)
	v_fma_f64 v[9:10], v[3:4], v[7:8], -v[11:12]
	v_fma_f64 v[11:12], v[1:2], v[7:8], v[15:16]
	scratch_store_b128 off, v[9:12], off offset:128
.LBB105_47:
	s_or_b32 exec_lo, exec_lo, s2
	s_waitcnt_vscnt null, 0x0
	s_barrier
	buffer_gl0_inv
	scratch_load_b128 v[1:4], v163, off
	s_mov_b32 s2, exec_lo
	s_waitcnt vmcnt(0)
	ds_store_b128 v5, v[1:4]
	s_waitcnt lgkmcnt(0)
	s_barrier
	buffer_gl0_inv
	v_cmpx_gt_u32_e32 9, v126
	s_cbranch_execz .LBB105_51
; %bb.48:
	v_dual_mov_b32 v1, 0 :: v_dual_add_nc_u32 v8, 0x2a0, v13
	v_dual_mov_b32 v2, 0 :: v_dual_add_nc_u32 v7, -1, v126
	v_or_b32_e32 v9, 8, v14
	s_mov_b32 s3, 0
	s_delay_alu instid0(VALU_DEP_2)
	v_dual_mov_b32 v4, v2 :: v_dual_mov_b32 v3, v1
	.p2align	6
.LBB105_49:                             ; =>This Inner Loop Header: Depth=1
	scratch_load_b128 v[15:18], v9, off offset:-8
	ds_load_b128 v[19:22], v8
	v_add_nc_u32_e32 v7, 1, v7
	v_add_nc_u32_e32 v8, 16, v8
	;; [unrolled: 1-line block ×3, first 2 shown]
	s_delay_alu instid0(VALU_DEP_3) | instskip(SKIP_4) | instid1(VALU_DEP_2)
	v_cmp_lt_u32_e32 vcc_lo, 7, v7
	s_or_b32 s3, vcc_lo, s3
	s_waitcnt vmcnt(0) lgkmcnt(0)
	v_mul_f64 v[10:11], v[21:22], v[17:18]
	v_mul_f64 v[17:18], v[19:20], v[17:18]
	v_fma_f64 v[10:11], v[19:20], v[15:16], -v[10:11]
	s_delay_alu instid0(VALU_DEP_2) | instskip(NEXT) | instid1(VALU_DEP_2)
	v_fma_f64 v[15:16], v[21:22], v[15:16], v[17:18]
	v_add_f64 v[3:4], v[3:4], v[10:11]
	s_delay_alu instid0(VALU_DEP_2)
	v_add_f64 v[1:2], v[1:2], v[15:16]
	s_and_not1_b32 exec_lo, exec_lo, s3
	s_cbranch_execnz .LBB105_49
; %bb.50:
	s_or_b32 exec_lo, exec_lo, s3
	v_mov_b32_e32 v7, 0
	ds_load_b128 v[7:10], v7 offset:144
	s_waitcnt lgkmcnt(0)
	v_mul_f64 v[11:12], v[1:2], v[9:10]
	v_mul_f64 v[15:16], v[3:4], v[9:10]
	s_delay_alu instid0(VALU_DEP_2) | instskip(NEXT) | instid1(VALU_DEP_2)
	v_fma_f64 v[9:10], v[3:4], v[7:8], -v[11:12]
	v_fma_f64 v[11:12], v[1:2], v[7:8], v[15:16]
	scratch_store_b128 off, v[9:12], off offset:144
.LBB105_51:
	s_or_b32 exec_lo, exec_lo, s2
	s_waitcnt_vscnt null, 0x0
	s_barrier
	buffer_gl0_inv
	scratch_load_b128 v[1:4], v162, off
	s_mov_b32 s2, exec_lo
	s_waitcnt vmcnt(0)
	ds_store_b128 v5, v[1:4]
	s_waitcnt lgkmcnt(0)
	s_barrier
	buffer_gl0_inv
	v_cmpx_gt_u32_e32 10, v126
	s_cbranch_execz .LBB105_55
; %bb.52:
	v_dual_mov_b32 v1, 0 :: v_dual_add_nc_u32 v8, 0x2a0, v13
	v_dual_mov_b32 v2, 0 :: v_dual_add_nc_u32 v7, -1, v126
	v_or_b32_e32 v9, 8, v14
	s_mov_b32 s3, 0
	s_delay_alu instid0(VALU_DEP_2)
	v_dual_mov_b32 v4, v2 :: v_dual_mov_b32 v3, v1
	.p2align	6
.LBB105_53:                             ; =>This Inner Loop Header: Depth=1
	scratch_load_b128 v[15:18], v9, off offset:-8
	ds_load_b128 v[19:22], v8
	v_add_nc_u32_e32 v7, 1, v7
	v_add_nc_u32_e32 v8, 16, v8
	;; [unrolled: 1-line block ×3, first 2 shown]
	s_delay_alu instid0(VALU_DEP_3) | instskip(SKIP_4) | instid1(VALU_DEP_2)
	v_cmp_lt_u32_e32 vcc_lo, 8, v7
	s_or_b32 s3, vcc_lo, s3
	s_waitcnt vmcnt(0) lgkmcnt(0)
	v_mul_f64 v[10:11], v[21:22], v[17:18]
	v_mul_f64 v[17:18], v[19:20], v[17:18]
	v_fma_f64 v[10:11], v[19:20], v[15:16], -v[10:11]
	s_delay_alu instid0(VALU_DEP_2) | instskip(NEXT) | instid1(VALU_DEP_2)
	v_fma_f64 v[15:16], v[21:22], v[15:16], v[17:18]
	v_add_f64 v[3:4], v[3:4], v[10:11]
	s_delay_alu instid0(VALU_DEP_2)
	v_add_f64 v[1:2], v[1:2], v[15:16]
	s_and_not1_b32 exec_lo, exec_lo, s3
	s_cbranch_execnz .LBB105_53
; %bb.54:
	s_or_b32 exec_lo, exec_lo, s3
	v_mov_b32_e32 v7, 0
	ds_load_b128 v[7:10], v7 offset:160
	s_waitcnt lgkmcnt(0)
	v_mul_f64 v[11:12], v[1:2], v[9:10]
	v_mul_f64 v[15:16], v[3:4], v[9:10]
	s_delay_alu instid0(VALU_DEP_2) | instskip(NEXT) | instid1(VALU_DEP_2)
	v_fma_f64 v[9:10], v[3:4], v[7:8], -v[11:12]
	v_fma_f64 v[11:12], v[1:2], v[7:8], v[15:16]
	scratch_store_b128 off, v[9:12], off offset:160
.LBB105_55:
	s_or_b32 exec_lo, exec_lo, s2
	s_waitcnt_vscnt null, 0x0
	s_barrier
	buffer_gl0_inv
	scratch_load_b128 v[1:4], v161, off
	s_mov_b32 s2, exec_lo
	s_waitcnt vmcnt(0)
	ds_store_b128 v5, v[1:4]
	s_waitcnt lgkmcnt(0)
	s_barrier
	buffer_gl0_inv
	v_cmpx_gt_u32_e32 11, v126
	s_cbranch_execz .LBB105_59
; %bb.56:
	v_dual_mov_b32 v1, 0 :: v_dual_add_nc_u32 v8, 0x2a0, v13
	v_dual_mov_b32 v2, 0 :: v_dual_add_nc_u32 v7, -1, v126
	v_or_b32_e32 v9, 8, v14
	s_mov_b32 s3, 0
	s_delay_alu instid0(VALU_DEP_2)
	v_dual_mov_b32 v4, v2 :: v_dual_mov_b32 v3, v1
	.p2align	6
.LBB105_57:                             ; =>This Inner Loop Header: Depth=1
	scratch_load_b128 v[15:18], v9, off offset:-8
	ds_load_b128 v[19:22], v8
	v_add_nc_u32_e32 v7, 1, v7
	v_add_nc_u32_e32 v8, 16, v8
	;; [unrolled: 1-line block ×3, first 2 shown]
	s_delay_alu instid0(VALU_DEP_3) | instskip(SKIP_4) | instid1(VALU_DEP_2)
	v_cmp_lt_u32_e32 vcc_lo, 9, v7
	s_or_b32 s3, vcc_lo, s3
	s_waitcnt vmcnt(0) lgkmcnt(0)
	v_mul_f64 v[10:11], v[21:22], v[17:18]
	v_mul_f64 v[17:18], v[19:20], v[17:18]
	v_fma_f64 v[10:11], v[19:20], v[15:16], -v[10:11]
	s_delay_alu instid0(VALU_DEP_2) | instskip(NEXT) | instid1(VALU_DEP_2)
	v_fma_f64 v[15:16], v[21:22], v[15:16], v[17:18]
	v_add_f64 v[3:4], v[3:4], v[10:11]
	s_delay_alu instid0(VALU_DEP_2)
	v_add_f64 v[1:2], v[1:2], v[15:16]
	s_and_not1_b32 exec_lo, exec_lo, s3
	s_cbranch_execnz .LBB105_57
; %bb.58:
	s_or_b32 exec_lo, exec_lo, s3
	v_mov_b32_e32 v7, 0
	ds_load_b128 v[7:10], v7 offset:176
	s_waitcnt lgkmcnt(0)
	v_mul_f64 v[11:12], v[1:2], v[9:10]
	v_mul_f64 v[15:16], v[3:4], v[9:10]
	s_delay_alu instid0(VALU_DEP_2) | instskip(NEXT) | instid1(VALU_DEP_2)
	v_fma_f64 v[9:10], v[3:4], v[7:8], -v[11:12]
	v_fma_f64 v[11:12], v[1:2], v[7:8], v[15:16]
	scratch_store_b128 off, v[9:12], off offset:176
.LBB105_59:
	s_or_b32 exec_lo, exec_lo, s2
	s_waitcnt_vscnt null, 0x0
	s_barrier
	buffer_gl0_inv
	scratch_load_b128 v[1:4], v160, off
	s_mov_b32 s2, exec_lo
	s_waitcnt vmcnt(0)
	ds_store_b128 v5, v[1:4]
	s_waitcnt lgkmcnt(0)
	s_barrier
	buffer_gl0_inv
	v_cmpx_gt_u32_e32 12, v126
	s_cbranch_execz .LBB105_63
; %bb.60:
	v_dual_mov_b32 v1, 0 :: v_dual_add_nc_u32 v8, 0x2a0, v13
	v_dual_mov_b32 v2, 0 :: v_dual_add_nc_u32 v7, -1, v126
	v_or_b32_e32 v9, 8, v14
	s_mov_b32 s3, 0
	s_delay_alu instid0(VALU_DEP_2)
	v_dual_mov_b32 v4, v2 :: v_dual_mov_b32 v3, v1
	.p2align	6
.LBB105_61:                             ; =>This Inner Loop Header: Depth=1
	scratch_load_b128 v[15:18], v9, off offset:-8
	ds_load_b128 v[19:22], v8
	v_add_nc_u32_e32 v7, 1, v7
	v_add_nc_u32_e32 v8, 16, v8
	;; [unrolled: 1-line block ×3, first 2 shown]
	s_delay_alu instid0(VALU_DEP_3) | instskip(SKIP_4) | instid1(VALU_DEP_2)
	v_cmp_lt_u32_e32 vcc_lo, 10, v7
	s_or_b32 s3, vcc_lo, s3
	s_waitcnt vmcnt(0) lgkmcnt(0)
	v_mul_f64 v[10:11], v[21:22], v[17:18]
	v_mul_f64 v[17:18], v[19:20], v[17:18]
	v_fma_f64 v[10:11], v[19:20], v[15:16], -v[10:11]
	s_delay_alu instid0(VALU_DEP_2) | instskip(NEXT) | instid1(VALU_DEP_2)
	v_fma_f64 v[15:16], v[21:22], v[15:16], v[17:18]
	v_add_f64 v[3:4], v[3:4], v[10:11]
	s_delay_alu instid0(VALU_DEP_2)
	v_add_f64 v[1:2], v[1:2], v[15:16]
	s_and_not1_b32 exec_lo, exec_lo, s3
	s_cbranch_execnz .LBB105_61
; %bb.62:
	s_or_b32 exec_lo, exec_lo, s3
	v_mov_b32_e32 v7, 0
	ds_load_b128 v[7:10], v7 offset:192
	s_waitcnt lgkmcnt(0)
	v_mul_f64 v[11:12], v[1:2], v[9:10]
	v_mul_f64 v[15:16], v[3:4], v[9:10]
	s_delay_alu instid0(VALU_DEP_2) | instskip(NEXT) | instid1(VALU_DEP_2)
	v_fma_f64 v[9:10], v[3:4], v[7:8], -v[11:12]
	v_fma_f64 v[11:12], v[1:2], v[7:8], v[15:16]
	scratch_store_b128 off, v[9:12], off offset:192
.LBB105_63:
	s_or_b32 exec_lo, exec_lo, s2
	s_waitcnt_vscnt null, 0x0
	s_barrier
	buffer_gl0_inv
	scratch_load_b128 v[1:4], v159, off
	s_mov_b32 s2, exec_lo
	s_waitcnt vmcnt(0)
	ds_store_b128 v5, v[1:4]
	s_waitcnt lgkmcnt(0)
	s_barrier
	buffer_gl0_inv
	v_cmpx_gt_u32_e32 13, v126
	s_cbranch_execz .LBB105_67
; %bb.64:
	v_dual_mov_b32 v1, 0 :: v_dual_add_nc_u32 v8, 0x2a0, v13
	v_dual_mov_b32 v2, 0 :: v_dual_add_nc_u32 v7, -1, v126
	v_or_b32_e32 v9, 8, v14
	s_mov_b32 s3, 0
	s_delay_alu instid0(VALU_DEP_2)
	v_dual_mov_b32 v4, v2 :: v_dual_mov_b32 v3, v1
	.p2align	6
.LBB105_65:                             ; =>This Inner Loop Header: Depth=1
	scratch_load_b128 v[15:18], v9, off offset:-8
	ds_load_b128 v[19:22], v8
	v_add_nc_u32_e32 v7, 1, v7
	v_add_nc_u32_e32 v8, 16, v8
	;; [unrolled: 1-line block ×3, first 2 shown]
	s_delay_alu instid0(VALU_DEP_3) | instskip(SKIP_4) | instid1(VALU_DEP_2)
	v_cmp_lt_u32_e32 vcc_lo, 11, v7
	s_or_b32 s3, vcc_lo, s3
	s_waitcnt vmcnt(0) lgkmcnt(0)
	v_mul_f64 v[10:11], v[21:22], v[17:18]
	v_mul_f64 v[17:18], v[19:20], v[17:18]
	v_fma_f64 v[10:11], v[19:20], v[15:16], -v[10:11]
	s_delay_alu instid0(VALU_DEP_2) | instskip(NEXT) | instid1(VALU_DEP_2)
	v_fma_f64 v[15:16], v[21:22], v[15:16], v[17:18]
	v_add_f64 v[3:4], v[3:4], v[10:11]
	s_delay_alu instid0(VALU_DEP_2)
	v_add_f64 v[1:2], v[1:2], v[15:16]
	s_and_not1_b32 exec_lo, exec_lo, s3
	s_cbranch_execnz .LBB105_65
; %bb.66:
	s_or_b32 exec_lo, exec_lo, s3
	v_mov_b32_e32 v7, 0
	ds_load_b128 v[7:10], v7 offset:208
	s_waitcnt lgkmcnt(0)
	v_mul_f64 v[11:12], v[1:2], v[9:10]
	v_mul_f64 v[15:16], v[3:4], v[9:10]
	s_delay_alu instid0(VALU_DEP_2) | instskip(NEXT) | instid1(VALU_DEP_2)
	v_fma_f64 v[9:10], v[3:4], v[7:8], -v[11:12]
	v_fma_f64 v[11:12], v[1:2], v[7:8], v[15:16]
	scratch_store_b128 off, v[9:12], off offset:208
.LBB105_67:
	s_or_b32 exec_lo, exec_lo, s2
	s_waitcnt_vscnt null, 0x0
	s_barrier
	buffer_gl0_inv
	scratch_load_b128 v[1:4], v158, off
	s_mov_b32 s2, exec_lo
	s_waitcnt vmcnt(0)
	ds_store_b128 v5, v[1:4]
	s_waitcnt lgkmcnt(0)
	s_barrier
	buffer_gl0_inv
	v_cmpx_gt_u32_e32 14, v126
	s_cbranch_execz .LBB105_71
; %bb.68:
	v_dual_mov_b32 v1, 0 :: v_dual_add_nc_u32 v8, 0x2a0, v13
	v_dual_mov_b32 v2, 0 :: v_dual_add_nc_u32 v7, -1, v126
	v_or_b32_e32 v9, 8, v14
	s_mov_b32 s3, 0
	s_delay_alu instid0(VALU_DEP_2)
	v_dual_mov_b32 v4, v2 :: v_dual_mov_b32 v3, v1
	.p2align	6
.LBB105_69:                             ; =>This Inner Loop Header: Depth=1
	scratch_load_b128 v[15:18], v9, off offset:-8
	ds_load_b128 v[19:22], v8
	v_add_nc_u32_e32 v7, 1, v7
	v_add_nc_u32_e32 v8, 16, v8
	;; [unrolled: 1-line block ×3, first 2 shown]
	s_delay_alu instid0(VALU_DEP_3) | instskip(SKIP_4) | instid1(VALU_DEP_2)
	v_cmp_lt_u32_e32 vcc_lo, 12, v7
	s_or_b32 s3, vcc_lo, s3
	s_waitcnt vmcnt(0) lgkmcnt(0)
	v_mul_f64 v[10:11], v[21:22], v[17:18]
	v_mul_f64 v[17:18], v[19:20], v[17:18]
	v_fma_f64 v[10:11], v[19:20], v[15:16], -v[10:11]
	s_delay_alu instid0(VALU_DEP_2) | instskip(NEXT) | instid1(VALU_DEP_2)
	v_fma_f64 v[15:16], v[21:22], v[15:16], v[17:18]
	v_add_f64 v[3:4], v[3:4], v[10:11]
	s_delay_alu instid0(VALU_DEP_2)
	v_add_f64 v[1:2], v[1:2], v[15:16]
	s_and_not1_b32 exec_lo, exec_lo, s3
	s_cbranch_execnz .LBB105_69
; %bb.70:
	s_or_b32 exec_lo, exec_lo, s3
	v_mov_b32_e32 v7, 0
	ds_load_b128 v[7:10], v7 offset:224
	s_waitcnt lgkmcnt(0)
	v_mul_f64 v[11:12], v[1:2], v[9:10]
	v_mul_f64 v[15:16], v[3:4], v[9:10]
	s_delay_alu instid0(VALU_DEP_2) | instskip(NEXT) | instid1(VALU_DEP_2)
	v_fma_f64 v[9:10], v[3:4], v[7:8], -v[11:12]
	v_fma_f64 v[11:12], v[1:2], v[7:8], v[15:16]
	scratch_store_b128 off, v[9:12], off offset:224
.LBB105_71:
	s_or_b32 exec_lo, exec_lo, s2
	s_waitcnt_vscnt null, 0x0
	s_barrier
	buffer_gl0_inv
	scratch_load_b128 v[1:4], v157, off
	s_mov_b32 s2, exec_lo
	s_waitcnt vmcnt(0)
	ds_store_b128 v5, v[1:4]
	s_waitcnt lgkmcnt(0)
	s_barrier
	buffer_gl0_inv
	v_cmpx_gt_u32_e32 15, v126
	s_cbranch_execz .LBB105_75
; %bb.72:
	v_dual_mov_b32 v1, 0 :: v_dual_add_nc_u32 v8, 0x2a0, v13
	v_dual_mov_b32 v2, 0 :: v_dual_add_nc_u32 v7, -1, v126
	v_or_b32_e32 v9, 8, v14
	s_mov_b32 s3, 0
	s_delay_alu instid0(VALU_DEP_2)
	v_dual_mov_b32 v4, v2 :: v_dual_mov_b32 v3, v1
	.p2align	6
.LBB105_73:                             ; =>This Inner Loop Header: Depth=1
	scratch_load_b128 v[15:18], v9, off offset:-8
	ds_load_b128 v[19:22], v8
	v_add_nc_u32_e32 v7, 1, v7
	v_add_nc_u32_e32 v8, 16, v8
	;; [unrolled: 1-line block ×3, first 2 shown]
	s_delay_alu instid0(VALU_DEP_3) | instskip(SKIP_4) | instid1(VALU_DEP_2)
	v_cmp_lt_u32_e32 vcc_lo, 13, v7
	s_or_b32 s3, vcc_lo, s3
	s_waitcnt vmcnt(0) lgkmcnt(0)
	v_mul_f64 v[10:11], v[21:22], v[17:18]
	v_mul_f64 v[17:18], v[19:20], v[17:18]
	v_fma_f64 v[10:11], v[19:20], v[15:16], -v[10:11]
	s_delay_alu instid0(VALU_DEP_2) | instskip(NEXT) | instid1(VALU_DEP_2)
	v_fma_f64 v[15:16], v[21:22], v[15:16], v[17:18]
	v_add_f64 v[3:4], v[3:4], v[10:11]
	s_delay_alu instid0(VALU_DEP_2)
	v_add_f64 v[1:2], v[1:2], v[15:16]
	s_and_not1_b32 exec_lo, exec_lo, s3
	s_cbranch_execnz .LBB105_73
; %bb.74:
	s_or_b32 exec_lo, exec_lo, s3
	v_mov_b32_e32 v7, 0
	ds_load_b128 v[7:10], v7 offset:240
	s_waitcnt lgkmcnt(0)
	v_mul_f64 v[11:12], v[1:2], v[9:10]
	v_mul_f64 v[15:16], v[3:4], v[9:10]
	s_delay_alu instid0(VALU_DEP_2) | instskip(NEXT) | instid1(VALU_DEP_2)
	v_fma_f64 v[9:10], v[3:4], v[7:8], -v[11:12]
	v_fma_f64 v[11:12], v[1:2], v[7:8], v[15:16]
	scratch_store_b128 off, v[9:12], off offset:240
.LBB105_75:
	s_or_b32 exec_lo, exec_lo, s2
	s_waitcnt_vscnt null, 0x0
	s_barrier
	buffer_gl0_inv
	scratch_load_b128 v[1:4], v156, off
	s_mov_b32 s2, exec_lo
	s_waitcnt vmcnt(0)
	ds_store_b128 v5, v[1:4]
	s_waitcnt lgkmcnt(0)
	s_barrier
	buffer_gl0_inv
	v_cmpx_gt_u32_e32 16, v126
	s_cbranch_execz .LBB105_79
; %bb.76:
	v_dual_mov_b32 v1, 0 :: v_dual_add_nc_u32 v8, 0x2a0, v13
	v_dual_mov_b32 v2, 0 :: v_dual_add_nc_u32 v7, -1, v126
	v_or_b32_e32 v9, 8, v14
	s_mov_b32 s3, 0
	s_delay_alu instid0(VALU_DEP_2)
	v_dual_mov_b32 v4, v2 :: v_dual_mov_b32 v3, v1
	.p2align	6
.LBB105_77:                             ; =>This Inner Loop Header: Depth=1
	scratch_load_b128 v[15:18], v9, off offset:-8
	ds_load_b128 v[19:22], v8
	v_add_nc_u32_e32 v7, 1, v7
	v_add_nc_u32_e32 v8, 16, v8
	;; [unrolled: 1-line block ×3, first 2 shown]
	s_delay_alu instid0(VALU_DEP_3) | instskip(SKIP_4) | instid1(VALU_DEP_2)
	v_cmp_lt_u32_e32 vcc_lo, 14, v7
	s_or_b32 s3, vcc_lo, s3
	s_waitcnt vmcnt(0) lgkmcnt(0)
	v_mul_f64 v[10:11], v[21:22], v[17:18]
	v_mul_f64 v[17:18], v[19:20], v[17:18]
	v_fma_f64 v[10:11], v[19:20], v[15:16], -v[10:11]
	s_delay_alu instid0(VALU_DEP_2) | instskip(NEXT) | instid1(VALU_DEP_2)
	v_fma_f64 v[15:16], v[21:22], v[15:16], v[17:18]
	v_add_f64 v[3:4], v[3:4], v[10:11]
	s_delay_alu instid0(VALU_DEP_2)
	v_add_f64 v[1:2], v[1:2], v[15:16]
	s_and_not1_b32 exec_lo, exec_lo, s3
	s_cbranch_execnz .LBB105_77
; %bb.78:
	s_or_b32 exec_lo, exec_lo, s3
	v_mov_b32_e32 v7, 0
	ds_load_b128 v[7:10], v7 offset:256
	s_waitcnt lgkmcnt(0)
	v_mul_f64 v[11:12], v[1:2], v[9:10]
	v_mul_f64 v[15:16], v[3:4], v[9:10]
	s_delay_alu instid0(VALU_DEP_2) | instskip(NEXT) | instid1(VALU_DEP_2)
	v_fma_f64 v[9:10], v[3:4], v[7:8], -v[11:12]
	v_fma_f64 v[11:12], v[1:2], v[7:8], v[15:16]
	scratch_store_b128 off, v[9:12], off offset:256
.LBB105_79:
	s_or_b32 exec_lo, exec_lo, s2
	s_waitcnt_vscnt null, 0x0
	s_barrier
	buffer_gl0_inv
	scratch_load_b128 v[1:4], v155, off
	s_mov_b32 s2, exec_lo
	s_waitcnt vmcnt(0)
	ds_store_b128 v5, v[1:4]
	s_waitcnt lgkmcnt(0)
	s_barrier
	buffer_gl0_inv
	v_cmpx_gt_u32_e32 17, v126
	s_cbranch_execz .LBB105_83
; %bb.80:
	v_dual_mov_b32 v1, 0 :: v_dual_add_nc_u32 v8, 0x2a0, v13
	v_dual_mov_b32 v2, 0 :: v_dual_add_nc_u32 v7, -1, v126
	v_or_b32_e32 v9, 8, v14
	s_mov_b32 s3, 0
	s_delay_alu instid0(VALU_DEP_2)
	v_dual_mov_b32 v4, v2 :: v_dual_mov_b32 v3, v1
	.p2align	6
.LBB105_81:                             ; =>This Inner Loop Header: Depth=1
	scratch_load_b128 v[15:18], v9, off offset:-8
	ds_load_b128 v[19:22], v8
	v_add_nc_u32_e32 v7, 1, v7
	v_add_nc_u32_e32 v8, 16, v8
	;; [unrolled: 1-line block ×3, first 2 shown]
	s_delay_alu instid0(VALU_DEP_3) | instskip(SKIP_4) | instid1(VALU_DEP_2)
	v_cmp_lt_u32_e32 vcc_lo, 15, v7
	s_or_b32 s3, vcc_lo, s3
	s_waitcnt vmcnt(0) lgkmcnt(0)
	v_mul_f64 v[10:11], v[21:22], v[17:18]
	v_mul_f64 v[17:18], v[19:20], v[17:18]
	v_fma_f64 v[10:11], v[19:20], v[15:16], -v[10:11]
	s_delay_alu instid0(VALU_DEP_2) | instskip(NEXT) | instid1(VALU_DEP_2)
	v_fma_f64 v[15:16], v[21:22], v[15:16], v[17:18]
	v_add_f64 v[3:4], v[3:4], v[10:11]
	s_delay_alu instid0(VALU_DEP_2)
	v_add_f64 v[1:2], v[1:2], v[15:16]
	s_and_not1_b32 exec_lo, exec_lo, s3
	s_cbranch_execnz .LBB105_81
; %bb.82:
	s_or_b32 exec_lo, exec_lo, s3
	v_mov_b32_e32 v7, 0
	ds_load_b128 v[7:10], v7 offset:272
	s_waitcnt lgkmcnt(0)
	v_mul_f64 v[11:12], v[1:2], v[9:10]
	v_mul_f64 v[15:16], v[3:4], v[9:10]
	s_delay_alu instid0(VALU_DEP_2) | instskip(NEXT) | instid1(VALU_DEP_2)
	v_fma_f64 v[9:10], v[3:4], v[7:8], -v[11:12]
	v_fma_f64 v[11:12], v[1:2], v[7:8], v[15:16]
	scratch_store_b128 off, v[9:12], off offset:272
.LBB105_83:
	s_or_b32 exec_lo, exec_lo, s2
	s_waitcnt_vscnt null, 0x0
	s_barrier
	buffer_gl0_inv
	scratch_load_b128 v[1:4], v153, off
	s_mov_b32 s2, exec_lo
	s_waitcnt vmcnt(0)
	ds_store_b128 v5, v[1:4]
	s_waitcnt lgkmcnt(0)
	s_barrier
	buffer_gl0_inv
	v_cmpx_gt_u32_e32 18, v126
	s_cbranch_execz .LBB105_87
; %bb.84:
	v_dual_mov_b32 v1, 0 :: v_dual_add_nc_u32 v8, 0x2a0, v13
	v_dual_mov_b32 v2, 0 :: v_dual_add_nc_u32 v7, -1, v126
	v_or_b32_e32 v9, 8, v14
	s_mov_b32 s3, 0
	s_delay_alu instid0(VALU_DEP_2)
	v_dual_mov_b32 v4, v2 :: v_dual_mov_b32 v3, v1
	.p2align	6
.LBB105_85:                             ; =>This Inner Loop Header: Depth=1
	scratch_load_b128 v[15:18], v9, off offset:-8
	ds_load_b128 v[19:22], v8
	v_add_nc_u32_e32 v7, 1, v7
	v_add_nc_u32_e32 v8, 16, v8
	;; [unrolled: 1-line block ×3, first 2 shown]
	s_delay_alu instid0(VALU_DEP_3) | instskip(SKIP_4) | instid1(VALU_DEP_2)
	v_cmp_lt_u32_e32 vcc_lo, 16, v7
	s_or_b32 s3, vcc_lo, s3
	s_waitcnt vmcnt(0) lgkmcnt(0)
	v_mul_f64 v[10:11], v[21:22], v[17:18]
	v_mul_f64 v[17:18], v[19:20], v[17:18]
	v_fma_f64 v[10:11], v[19:20], v[15:16], -v[10:11]
	s_delay_alu instid0(VALU_DEP_2) | instskip(NEXT) | instid1(VALU_DEP_2)
	v_fma_f64 v[15:16], v[21:22], v[15:16], v[17:18]
	v_add_f64 v[3:4], v[3:4], v[10:11]
	s_delay_alu instid0(VALU_DEP_2)
	v_add_f64 v[1:2], v[1:2], v[15:16]
	s_and_not1_b32 exec_lo, exec_lo, s3
	s_cbranch_execnz .LBB105_85
; %bb.86:
	s_or_b32 exec_lo, exec_lo, s3
	v_mov_b32_e32 v7, 0
	ds_load_b128 v[7:10], v7 offset:288
	s_waitcnt lgkmcnt(0)
	v_mul_f64 v[11:12], v[1:2], v[9:10]
	v_mul_f64 v[15:16], v[3:4], v[9:10]
	s_delay_alu instid0(VALU_DEP_2) | instskip(NEXT) | instid1(VALU_DEP_2)
	v_fma_f64 v[9:10], v[3:4], v[7:8], -v[11:12]
	v_fma_f64 v[11:12], v[1:2], v[7:8], v[15:16]
	scratch_store_b128 off, v[9:12], off offset:288
.LBB105_87:
	s_or_b32 exec_lo, exec_lo, s2
	s_waitcnt_vscnt null, 0x0
	s_barrier
	buffer_gl0_inv
	scratch_load_b128 v[1:4], v154, off
	s_mov_b32 s2, exec_lo
	s_waitcnt vmcnt(0)
	ds_store_b128 v5, v[1:4]
	s_waitcnt lgkmcnt(0)
	s_barrier
	buffer_gl0_inv
	v_cmpx_gt_u32_e32 19, v126
	s_cbranch_execz .LBB105_91
; %bb.88:
	v_dual_mov_b32 v1, 0 :: v_dual_add_nc_u32 v8, 0x2a0, v13
	v_dual_mov_b32 v2, 0 :: v_dual_add_nc_u32 v7, -1, v126
	v_or_b32_e32 v9, 8, v14
	s_mov_b32 s3, 0
	s_delay_alu instid0(VALU_DEP_2)
	v_dual_mov_b32 v4, v2 :: v_dual_mov_b32 v3, v1
	.p2align	6
.LBB105_89:                             ; =>This Inner Loop Header: Depth=1
	scratch_load_b128 v[15:18], v9, off offset:-8
	ds_load_b128 v[19:22], v8
	v_add_nc_u32_e32 v7, 1, v7
	v_add_nc_u32_e32 v8, 16, v8
	v_add_nc_u32_e32 v9, 16, v9
	s_delay_alu instid0(VALU_DEP_3) | instskip(SKIP_4) | instid1(VALU_DEP_2)
	v_cmp_lt_u32_e32 vcc_lo, 17, v7
	s_or_b32 s3, vcc_lo, s3
	s_waitcnt vmcnt(0) lgkmcnt(0)
	v_mul_f64 v[10:11], v[21:22], v[17:18]
	v_mul_f64 v[17:18], v[19:20], v[17:18]
	v_fma_f64 v[10:11], v[19:20], v[15:16], -v[10:11]
	s_delay_alu instid0(VALU_DEP_2) | instskip(NEXT) | instid1(VALU_DEP_2)
	v_fma_f64 v[15:16], v[21:22], v[15:16], v[17:18]
	v_add_f64 v[3:4], v[3:4], v[10:11]
	s_delay_alu instid0(VALU_DEP_2)
	v_add_f64 v[1:2], v[1:2], v[15:16]
	s_and_not1_b32 exec_lo, exec_lo, s3
	s_cbranch_execnz .LBB105_89
; %bb.90:
	s_or_b32 exec_lo, exec_lo, s3
	v_mov_b32_e32 v7, 0
	ds_load_b128 v[7:10], v7 offset:304
	s_waitcnt lgkmcnt(0)
	v_mul_f64 v[11:12], v[1:2], v[9:10]
	v_mul_f64 v[15:16], v[3:4], v[9:10]
	s_delay_alu instid0(VALU_DEP_2) | instskip(NEXT) | instid1(VALU_DEP_2)
	v_fma_f64 v[9:10], v[3:4], v[7:8], -v[11:12]
	v_fma_f64 v[11:12], v[1:2], v[7:8], v[15:16]
	scratch_store_b128 off, v[9:12], off offset:304
.LBB105_91:
	s_or_b32 exec_lo, exec_lo, s2
	s_waitcnt_vscnt null, 0x0
	s_barrier
	buffer_gl0_inv
	scratch_load_b128 v[1:4], v152, off
	s_mov_b32 s2, exec_lo
	s_waitcnt vmcnt(0)
	ds_store_b128 v5, v[1:4]
	s_waitcnt lgkmcnt(0)
	s_barrier
	buffer_gl0_inv
	v_cmpx_gt_u32_e32 20, v126
	s_cbranch_execz .LBB105_95
; %bb.92:
	v_dual_mov_b32 v1, 0 :: v_dual_add_nc_u32 v8, 0x2a0, v13
	v_dual_mov_b32 v2, 0 :: v_dual_add_nc_u32 v7, -1, v126
	v_or_b32_e32 v9, 8, v14
	s_mov_b32 s3, 0
	s_delay_alu instid0(VALU_DEP_2)
	v_dual_mov_b32 v4, v2 :: v_dual_mov_b32 v3, v1
	.p2align	6
.LBB105_93:                             ; =>This Inner Loop Header: Depth=1
	scratch_load_b128 v[15:18], v9, off offset:-8
	ds_load_b128 v[19:22], v8
	v_add_nc_u32_e32 v7, 1, v7
	v_add_nc_u32_e32 v8, 16, v8
	;; [unrolled: 1-line block ×3, first 2 shown]
	s_delay_alu instid0(VALU_DEP_3) | instskip(SKIP_4) | instid1(VALU_DEP_2)
	v_cmp_lt_u32_e32 vcc_lo, 18, v7
	s_or_b32 s3, vcc_lo, s3
	s_waitcnt vmcnt(0) lgkmcnt(0)
	v_mul_f64 v[10:11], v[21:22], v[17:18]
	v_mul_f64 v[17:18], v[19:20], v[17:18]
	v_fma_f64 v[10:11], v[19:20], v[15:16], -v[10:11]
	s_delay_alu instid0(VALU_DEP_2) | instskip(NEXT) | instid1(VALU_DEP_2)
	v_fma_f64 v[15:16], v[21:22], v[15:16], v[17:18]
	v_add_f64 v[3:4], v[3:4], v[10:11]
	s_delay_alu instid0(VALU_DEP_2)
	v_add_f64 v[1:2], v[1:2], v[15:16]
	s_and_not1_b32 exec_lo, exec_lo, s3
	s_cbranch_execnz .LBB105_93
; %bb.94:
	s_or_b32 exec_lo, exec_lo, s3
	v_mov_b32_e32 v7, 0
	ds_load_b128 v[7:10], v7 offset:320
	s_waitcnt lgkmcnt(0)
	v_mul_f64 v[11:12], v[1:2], v[9:10]
	v_mul_f64 v[15:16], v[3:4], v[9:10]
	s_delay_alu instid0(VALU_DEP_2) | instskip(NEXT) | instid1(VALU_DEP_2)
	v_fma_f64 v[9:10], v[3:4], v[7:8], -v[11:12]
	v_fma_f64 v[11:12], v[1:2], v[7:8], v[15:16]
	scratch_store_b128 off, v[9:12], off offset:320
.LBB105_95:
	s_or_b32 exec_lo, exec_lo, s2
	s_waitcnt_vscnt null, 0x0
	s_barrier
	buffer_gl0_inv
	scratch_load_b128 v[1:4], v151, off
	s_mov_b32 s2, exec_lo
	s_waitcnt vmcnt(0)
	ds_store_b128 v5, v[1:4]
	s_waitcnt lgkmcnt(0)
	s_barrier
	buffer_gl0_inv
	v_cmpx_gt_u32_e32 21, v126
	s_cbranch_execz .LBB105_99
; %bb.96:
	v_dual_mov_b32 v1, 0 :: v_dual_add_nc_u32 v8, 0x2a0, v13
	v_dual_mov_b32 v2, 0 :: v_dual_add_nc_u32 v7, -1, v126
	v_or_b32_e32 v9, 8, v14
	s_mov_b32 s3, 0
	s_delay_alu instid0(VALU_DEP_2)
	v_dual_mov_b32 v4, v2 :: v_dual_mov_b32 v3, v1
	.p2align	6
.LBB105_97:                             ; =>This Inner Loop Header: Depth=1
	scratch_load_b128 v[15:18], v9, off offset:-8
	ds_load_b128 v[19:22], v8
	v_add_nc_u32_e32 v7, 1, v7
	v_add_nc_u32_e32 v8, 16, v8
	;; [unrolled: 1-line block ×3, first 2 shown]
	s_delay_alu instid0(VALU_DEP_3) | instskip(SKIP_4) | instid1(VALU_DEP_2)
	v_cmp_lt_u32_e32 vcc_lo, 19, v7
	s_or_b32 s3, vcc_lo, s3
	s_waitcnt vmcnt(0) lgkmcnt(0)
	v_mul_f64 v[10:11], v[21:22], v[17:18]
	v_mul_f64 v[17:18], v[19:20], v[17:18]
	v_fma_f64 v[10:11], v[19:20], v[15:16], -v[10:11]
	s_delay_alu instid0(VALU_DEP_2) | instskip(NEXT) | instid1(VALU_DEP_2)
	v_fma_f64 v[15:16], v[21:22], v[15:16], v[17:18]
	v_add_f64 v[3:4], v[3:4], v[10:11]
	s_delay_alu instid0(VALU_DEP_2)
	v_add_f64 v[1:2], v[1:2], v[15:16]
	s_and_not1_b32 exec_lo, exec_lo, s3
	s_cbranch_execnz .LBB105_97
; %bb.98:
	s_or_b32 exec_lo, exec_lo, s3
	v_mov_b32_e32 v7, 0
	ds_load_b128 v[7:10], v7 offset:336
	s_waitcnt lgkmcnt(0)
	v_mul_f64 v[11:12], v[1:2], v[9:10]
	v_mul_f64 v[15:16], v[3:4], v[9:10]
	s_delay_alu instid0(VALU_DEP_2) | instskip(NEXT) | instid1(VALU_DEP_2)
	v_fma_f64 v[9:10], v[3:4], v[7:8], -v[11:12]
	v_fma_f64 v[11:12], v[1:2], v[7:8], v[15:16]
	scratch_store_b128 off, v[9:12], off offset:336
.LBB105_99:
	s_or_b32 exec_lo, exec_lo, s2
	s_waitcnt_vscnt null, 0x0
	s_barrier
	buffer_gl0_inv
	scratch_load_b128 v[1:4], v145, off
	s_mov_b32 s2, exec_lo
	s_waitcnt vmcnt(0)
	ds_store_b128 v5, v[1:4]
	s_waitcnt lgkmcnt(0)
	s_barrier
	buffer_gl0_inv
	v_cmpx_gt_u32_e32 22, v126
	s_cbranch_execz .LBB105_103
; %bb.100:
	v_dual_mov_b32 v1, 0 :: v_dual_add_nc_u32 v8, 0x2a0, v13
	v_dual_mov_b32 v2, 0 :: v_dual_add_nc_u32 v7, -1, v126
	v_or_b32_e32 v9, 8, v14
	s_mov_b32 s3, 0
	s_delay_alu instid0(VALU_DEP_2)
	v_dual_mov_b32 v4, v2 :: v_dual_mov_b32 v3, v1
	.p2align	6
.LBB105_101:                            ; =>This Inner Loop Header: Depth=1
	scratch_load_b128 v[15:18], v9, off offset:-8
	ds_load_b128 v[19:22], v8
	v_add_nc_u32_e32 v7, 1, v7
	v_add_nc_u32_e32 v8, 16, v8
	;; [unrolled: 1-line block ×3, first 2 shown]
	s_delay_alu instid0(VALU_DEP_3) | instskip(SKIP_4) | instid1(VALU_DEP_2)
	v_cmp_lt_u32_e32 vcc_lo, 20, v7
	s_or_b32 s3, vcc_lo, s3
	s_waitcnt vmcnt(0) lgkmcnt(0)
	v_mul_f64 v[10:11], v[21:22], v[17:18]
	v_mul_f64 v[17:18], v[19:20], v[17:18]
	v_fma_f64 v[10:11], v[19:20], v[15:16], -v[10:11]
	s_delay_alu instid0(VALU_DEP_2) | instskip(NEXT) | instid1(VALU_DEP_2)
	v_fma_f64 v[15:16], v[21:22], v[15:16], v[17:18]
	v_add_f64 v[3:4], v[3:4], v[10:11]
	s_delay_alu instid0(VALU_DEP_2)
	v_add_f64 v[1:2], v[1:2], v[15:16]
	s_and_not1_b32 exec_lo, exec_lo, s3
	s_cbranch_execnz .LBB105_101
; %bb.102:
	s_or_b32 exec_lo, exec_lo, s3
	v_mov_b32_e32 v7, 0
	ds_load_b128 v[7:10], v7 offset:352
	s_waitcnt lgkmcnt(0)
	v_mul_f64 v[11:12], v[1:2], v[9:10]
	v_mul_f64 v[15:16], v[3:4], v[9:10]
	s_delay_alu instid0(VALU_DEP_2) | instskip(NEXT) | instid1(VALU_DEP_2)
	v_fma_f64 v[9:10], v[3:4], v[7:8], -v[11:12]
	v_fma_f64 v[11:12], v[1:2], v[7:8], v[15:16]
	scratch_store_b128 off, v[9:12], off offset:352
.LBB105_103:
	s_or_b32 exec_lo, exec_lo, s2
	s_waitcnt_vscnt null, 0x0
	s_barrier
	buffer_gl0_inv
	scratch_load_b128 v[1:4], v146, off
	s_mov_b32 s2, exec_lo
	s_waitcnt vmcnt(0)
	ds_store_b128 v5, v[1:4]
	s_waitcnt lgkmcnt(0)
	s_barrier
	buffer_gl0_inv
	v_cmpx_gt_u32_e32 23, v126
	s_cbranch_execz .LBB105_107
; %bb.104:
	v_dual_mov_b32 v1, 0 :: v_dual_add_nc_u32 v8, 0x2a0, v13
	v_dual_mov_b32 v2, 0 :: v_dual_add_nc_u32 v7, -1, v126
	v_or_b32_e32 v9, 8, v14
	s_mov_b32 s3, 0
	s_delay_alu instid0(VALU_DEP_2)
	v_dual_mov_b32 v4, v2 :: v_dual_mov_b32 v3, v1
	.p2align	6
.LBB105_105:                            ; =>This Inner Loop Header: Depth=1
	scratch_load_b128 v[15:18], v9, off offset:-8
	ds_load_b128 v[19:22], v8
	v_add_nc_u32_e32 v7, 1, v7
	v_add_nc_u32_e32 v8, 16, v8
	;; [unrolled: 1-line block ×3, first 2 shown]
	s_delay_alu instid0(VALU_DEP_3) | instskip(SKIP_4) | instid1(VALU_DEP_2)
	v_cmp_lt_u32_e32 vcc_lo, 21, v7
	s_or_b32 s3, vcc_lo, s3
	s_waitcnt vmcnt(0) lgkmcnt(0)
	v_mul_f64 v[10:11], v[21:22], v[17:18]
	v_mul_f64 v[17:18], v[19:20], v[17:18]
	v_fma_f64 v[10:11], v[19:20], v[15:16], -v[10:11]
	s_delay_alu instid0(VALU_DEP_2) | instskip(NEXT) | instid1(VALU_DEP_2)
	v_fma_f64 v[15:16], v[21:22], v[15:16], v[17:18]
	v_add_f64 v[3:4], v[3:4], v[10:11]
	s_delay_alu instid0(VALU_DEP_2)
	v_add_f64 v[1:2], v[1:2], v[15:16]
	s_and_not1_b32 exec_lo, exec_lo, s3
	s_cbranch_execnz .LBB105_105
; %bb.106:
	s_or_b32 exec_lo, exec_lo, s3
	v_mov_b32_e32 v7, 0
	ds_load_b128 v[7:10], v7 offset:368
	s_waitcnt lgkmcnt(0)
	v_mul_f64 v[11:12], v[1:2], v[9:10]
	v_mul_f64 v[15:16], v[3:4], v[9:10]
	s_delay_alu instid0(VALU_DEP_2) | instskip(NEXT) | instid1(VALU_DEP_2)
	v_fma_f64 v[9:10], v[3:4], v[7:8], -v[11:12]
	v_fma_f64 v[11:12], v[1:2], v[7:8], v[15:16]
	scratch_store_b128 off, v[9:12], off offset:368
.LBB105_107:
	s_or_b32 exec_lo, exec_lo, s2
	s_waitcnt_vscnt null, 0x0
	s_barrier
	buffer_gl0_inv
	scratch_load_b128 v[1:4], v144, off
	s_mov_b32 s2, exec_lo
	s_waitcnt vmcnt(0)
	ds_store_b128 v5, v[1:4]
	s_waitcnt lgkmcnt(0)
	s_barrier
	buffer_gl0_inv
	v_cmpx_gt_u32_e32 24, v126
	s_cbranch_execz .LBB105_111
; %bb.108:
	v_dual_mov_b32 v1, 0 :: v_dual_add_nc_u32 v8, 0x2a0, v13
	v_dual_mov_b32 v2, 0 :: v_dual_add_nc_u32 v7, -1, v126
	v_or_b32_e32 v9, 8, v14
	s_mov_b32 s3, 0
	s_delay_alu instid0(VALU_DEP_2)
	v_dual_mov_b32 v4, v2 :: v_dual_mov_b32 v3, v1
	.p2align	6
.LBB105_109:                            ; =>This Inner Loop Header: Depth=1
	scratch_load_b128 v[15:18], v9, off offset:-8
	ds_load_b128 v[19:22], v8
	v_add_nc_u32_e32 v7, 1, v7
	v_add_nc_u32_e32 v8, 16, v8
	;; [unrolled: 1-line block ×3, first 2 shown]
	s_delay_alu instid0(VALU_DEP_3) | instskip(SKIP_4) | instid1(VALU_DEP_2)
	v_cmp_lt_u32_e32 vcc_lo, 22, v7
	s_or_b32 s3, vcc_lo, s3
	s_waitcnt vmcnt(0) lgkmcnt(0)
	v_mul_f64 v[10:11], v[21:22], v[17:18]
	v_mul_f64 v[17:18], v[19:20], v[17:18]
	v_fma_f64 v[10:11], v[19:20], v[15:16], -v[10:11]
	s_delay_alu instid0(VALU_DEP_2) | instskip(NEXT) | instid1(VALU_DEP_2)
	v_fma_f64 v[15:16], v[21:22], v[15:16], v[17:18]
	v_add_f64 v[3:4], v[3:4], v[10:11]
	s_delay_alu instid0(VALU_DEP_2)
	v_add_f64 v[1:2], v[1:2], v[15:16]
	s_and_not1_b32 exec_lo, exec_lo, s3
	s_cbranch_execnz .LBB105_109
; %bb.110:
	s_or_b32 exec_lo, exec_lo, s3
	v_mov_b32_e32 v7, 0
	ds_load_b128 v[7:10], v7 offset:384
	s_waitcnt lgkmcnt(0)
	v_mul_f64 v[11:12], v[1:2], v[9:10]
	v_mul_f64 v[15:16], v[3:4], v[9:10]
	s_delay_alu instid0(VALU_DEP_2) | instskip(NEXT) | instid1(VALU_DEP_2)
	v_fma_f64 v[9:10], v[3:4], v[7:8], -v[11:12]
	v_fma_f64 v[11:12], v[1:2], v[7:8], v[15:16]
	scratch_store_b128 off, v[9:12], off offset:384
.LBB105_111:
	s_or_b32 exec_lo, exec_lo, s2
	s_waitcnt_vscnt null, 0x0
	s_barrier
	buffer_gl0_inv
	scratch_load_b128 v[1:4], v143, off
	s_mov_b32 s2, exec_lo
	s_waitcnt vmcnt(0)
	ds_store_b128 v5, v[1:4]
	s_waitcnt lgkmcnt(0)
	s_barrier
	buffer_gl0_inv
	v_cmpx_gt_u32_e32 25, v126
	s_cbranch_execz .LBB105_115
; %bb.112:
	v_dual_mov_b32 v1, 0 :: v_dual_add_nc_u32 v8, 0x2a0, v13
	v_dual_mov_b32 v2, 0 :: v_dual_add_nc_u32 v7, -1, v126
	v_or_b32_e32 v9, 8, v14
	s_mov_b32 s3, 0
	s_delay_alu instid0(VALU_DEP_2)
	v_dual_mov_b32 v4, v2 :: v_dual_mov_b32 v3, v1
	.p2align	6
.LBB105_113:                            ; =>This Inner Loop Header: Depth=1
	scratch_load_b128 v[15:18], v9, off offset:-8
	ds_load_b128 v[19:22], v8
	v_add_nc_u32_e32 v7, 1, v7
	v_add_nc_u32_e32 v8, 16, v8
	;; [unrolled: 1-line block ×3, first 2 shown]
	s_delay_alu instid0(VALU_DEP_3) | instskip(SKIP_4) | instid1(VALU_DEP_2)
	v_cmp_lt_u32_e32 vcc_lo, 23, v7
	s_or_b32 s3, vcc_lo, s3
	s_waitcnt vmcnt(0) lgkmcnt(0)
	v_mul_f64 v[10:11], v[21:22], v[17:18]
	v_mul_f64 v[17:18], v[19:20], v[17:18]
	v_fma_f64 v[10:11], v[19:20], v[15:16], -v[10:11]
	s_delay_alu instid0(VALU_DEP_2) | instskip(NEXT) | instid1(VALU_DEP_2)
	v_fma_f64 v[15:16], v[21:22], v[15:16], v[17:18]
	v_add_f64 v[3:4], v[3:4], v[10:11]
	s_delay_alu instid0(VALU_DEP_2)
	v_add_f64 v[1:2], v[1:2], v[15:16]
	s_and_not1_b32 exec_lo, exec_lo, s3
	s_cbranch_execnz .LBB105_113
; %bb.114:
	s_or_b32 exec_lo, exec_lo, s3
	v_mov_b32_e32 v7, 0
	ds_load_b128 v[7:10], v7 offset:400
	s_waitcnt lgkmcnt(0)
	v_mul_f64 v[11:12], v[1:2], v[9:10]
	v_mul_f64 v[15:16], v[3:4], v[9:10]
	s_delay_alu instid0(VALU_DEP_2) | instskip(NEXT) | instid1(VALU_DEP_2)
	v_fma_f64 v[9:10], v[3:4], v[7:8], -v[11:12]
	v_fma_f64 v[11:12], v[1:2], v[7:8], v[15:16]
	scratch_store_b128 off, v[9:12], off offset:400
.LBB105_115:
	s_or_b32 exec_lo, exec_lo, s2
	s_waitcnt_vscnt null, 0x0
	s_barrier
	buffer_gl0_inv
	scratch_load_b128 v[1:4], v141, off
	s_mov_b32 s2, exec_lo
	s_waitcnt vmcnt(0)
	ds_store_b128 v5, v[1:4]
	s_waitcnt lgkmcnt(0)
	s_barrier
	buffer_gl0_inv
	v_cmpx_gt_u32_e32 26, v126
	s_cbranch_execz .LBB105_119
; %bb.116:
	v_dual_mov_b32 v1, 0 :: v_dual_add_nc_u32 v8, 0x2a0, v13
	v_dual_mov_b32 v2, 0 :: v_dual_add_nc_u32 v7, -1, v126
	v_or_b32_e32 v9, 8, v14
	s_mov_b32 s3, 0
	s_delay_alu instid0(VALU_DEP_2)
	v_dual_mov_b32 v4, v2 :: v_dual_mov_b32 v3, v1
	.p2align	6
.LBB105_117:                            ; =>This Inner Loop Header: Depth=1
	scratch_load_b128 v[15:18], v9, off offset:-8
	ds_load_b128 v[19:22], v8
	v_add_nc_u32_e32 v7, 1, v7
	v_add_nc_u32_e32 v8, 16, v8
	;; [unrolled: 1-line block ×3, first 2 shown]
	s_delay_alu instid0(VALU_DEP_3) | instskip(SKIP_4) | instid1(VALU_DEP_2)
	v_cmp_lt_u32_e32 vcc_lo, 24, v7
	s_or_b32 s3, vcc_lo, s3
	s_waitcnt vmcnt(0) lgkmcnt(0)
	v_mul_f64 v[10:11], v[21:22], v[17:18]
	v_mul_f64 v[17:18], v[19:20], v[17:18]
	v_fma_f64 v[10:11], v[19:20], v[15:16], -v[10:11]
	s_delay_alu instid0(VALU_DEP_2) | instskip(NEXT) | instid1(VALU_DEP_2)
	v_fma_f64 v[15:16], v[21:22], v[15:16], v[17:18]
	v_add_f64 v[3:4], v[3:4], v[10:11]
	s_delay_alu instid0(VALU_DEP_2)
	v_add_f64 v[1:2], v[1:2], v[15:16]
	s_and_not1_b32 exec_lo, exec_lo, s3
	s_cbranch_execnz .LBB105_117
; %bb.118:
	s_or_b32 exec_lo, exec_lo, s3
	v_mov_b32_e32 v7, 0
	ds_load_b128 v[7:10], v7 offset:416
	s_waitcnt lgkmcnt(0)
	v_mul_f64 v[11:12], v[1:2], v[9:10]
	v_mul_f64 v[15:16], v[3:4], v[9:10]
	s_delay_alu instid0(VALU_DEP_2) | instskip(NEXT) | instid1(VALU_DEP_2)
	v_fma_f64 v[9:10], v[3:4], v[7:8], -v[11:12]
	v_fma_f64 v[11:12], v[1:2], v[7:8], v[15:16]
	scratch_store_b128 off, v[9:12], off offset:416
.LBB105_119:
	s_or_b32 exec_lo, exec_lo, s2
	s_waitcnt_vscnt null, 0x0
	s_barrier
	buffer_gl0_inv
	scratch_load_b128 v[1:4], v142, off
	s_mov_b32 s2, exec_lo
	s_waitcnt vmcnt(0)
	ds_store_b128 v5, v[1:4]
	s_waitcnt lgkmcnt(0)
	s_barrier
	buffer_gl0_inv
	v_cmpx_gt_u32_e32 27, v126
	s_cbranch_execz .LBB105_123
; %bb.120:
	v_dual_mov_b32 v1, 0 :: v_dual_add_nc_u32 v8, 0x2a0, v13
	v_dual_mov_b32 v2, 0 :: v_dual_add_nc_u32 v7, -1, v126
	v_or_b32_e32 v9, 8, v14
	s_mov_b32 s3, 0
	s_delay_alu instid0(VALU_DEP_2)
	v_dual_mov_b32 v4, v2 :: v_dual_mov_b32 v3, v1
	.p2align	6
.LBB105_121:                            ; =>This Inner Loop Header: Depth=1
	scratch_load_b128 v[15:18], v9, off offset:-8
	ds_load_b128 v[19:22], v8
	v_add_nc_u32_e32 v7, 1, v7
	v_add_nc_u32_e32 v8, 16, v8
	v_add_nc_u32_e32 v9, 16, v9
	s_delay_alu instid0(VALU_DEP_3) | instskip(SKIP_4) | instid1(VALU_DEP_2)
	v_cmp_lt_u32_e32 vcc_lo, 25, v7
	s_or_b32 s3, vcc_lo, s3
	s_waitcnt vmcnt(0) lgkmcnt(0)
	v_mul_f64 v[10:11], v[21:22], v[17:18]
	v_mul_f64 v[17:18], v[19:20], v[17:18]
	v_fma_f64 v[10:11], v[19:20], v[15:16], -v[10:11]
	s_delay_alu instid0(VALU_DEP_2) | instskip(NEXT) | instid1(VALU_DEP_2)
	v_fma_f64 v[15:16], v[21:22], v[15:16], v[17:18]
	v_add_f64 v[3:4], v[3:4], v[10:11]
	s_delay_alu instid0(VALU_DEP_2)
	v_add_f64 v[1:2], v[1:2], v[15:16]
	s_and_not1_b32 exec_lo, exec_lo, s3
	s_cbranch_execnz .LBB105_121
; %bb.122:
	s_or_b32 exec_lo, exec_lo, s3
	v_mov_b32_e32 v7, 0
	ds_load_b128 v[7:10], v7 offset:432
	s_waitcnt lgkmcnt(0)
	v_mul_f64 v[11:12], v[1:2], v[9:10]
	v_mul_f64 v[15:16], v[3:4], v[9:10]
	s_delay_alu instid0(VALU_DEP_2) | instskip(NEXT) | instid1(VALU_DEP_2)
	v_fma_f64 v[9:10], v[3:4], v[7:8], -v[11:12]
	v_fma_f64 v[11:12], v[1:2], v[7:8], v[15:16]
	scratch_store_b128 off, v[9:12], off offset:432
.LBB105_123:
	s_or_b32 exec_lo, exec_lo, s2
	s_waitcnt_vscnt null, 0x0
	s_barrier
	buffer_gl0_inv
	scratch_load_b128 v[1:4], v139, off
	s_mov_b32 s2, exec_lo
	s_waitcnt vmcnt(0)
	ds_store_b128 v5, v[1:4]
	s_waitcnt lgkmcnt(0)
	s_barrier
	buffer_gl0_inv
	v_cmpx_gt_u32_e32 28, v126
	s_cbranch_execz .LBB105_127
; %bb.124:
	v_dual_mov_b32 v1, 0 :: v_dual_add_nc_u32 v8, 0x2a0, v13
	v_dual_mov_b32 v2, 0 :: v_dual_add_nc_u32 v7, -1, v126
	v_or_b32_e32 v9, 8, v14
	s_mov_b32 s3, 0
	s_delay_alu instid0(VALU_DEP_2)
	v_dual_mov_b32 v4, v2 :: v_dual_mov_b32 v3, v1
	.p2align	6
.LBB105_125:                            ; =>This Inner Loop Header: Depth=1
	scratch_load_b128 v[15:18], v9, off offset:-8
	ds_load_b128 v[19:22], v8
	v_add_nc_u32_e32 v7, 1, v7
	v_add_nc_u32_e32 v8, 16, v8
	v_add_nc_u32_e32 v9, 16, v9
	s_delay_alu instid0(VALU_DEP_3) | instskip(SKIP_4) | instid1(VALU_DEP_2)
	v_cmp_lt_u32_e32 vcc_lo, 26, v7
	s_or_b32 s3, vcc_lo, s3
	s_waitcnt vmcnt(0) lgkmcnt(0)
	v_mul_f64 v[10:11], v[21:22], v[17:18]
	v_mul_f64 v[17:18], v[19:20], v[17:18]
	v_fma_f64 v[10:11], v[19:20], v[15:16], -v[10:11]
	s_delay_alu instid0(VALU_DEP_2) | instskip(NEXT) | instid1(VALU_DEP_2)
	v_fma_f64 v[15:16], v[21:22], v[15:16], v[17:18]
	v_add_f64 v[3:4], v[3:4], v[10:11]
	s_delay_alu instid0(VALU_DEP_2)
	v_add_f64 v[1:2], v[1:2], v[15:16]
	s_and_not1_b32 exec_lo, exec_lo, s3
	s_cbranch_execnz .LBB105_125
; %bb.126:
	s_or_b32 exec_lo, exec_lo, s3
	v_mov_b32_e32 v7, 0
	ds_load_b128 v[7:10], v7 offset:448
	s_waitcnt lgkmcnt(0)
	v_mul_f64 v[11:12], v[1:2], v[9:10]
	v_mul_f64 v[15:16], v[3:4], v[9:10]
	s_delay_alu instid0(VALU_DEP_2) | instskip(NEXT) | instid1(VALU_DEP_2)
	v_fma_f64 v[9:10], v[3:4], v[7:8], -v[11:12]
	v_fma_f64 v[11:12], v[1:2], v[7:8], v[15:16]
	scratch_store_b128 off, v[9:12], off offset:448
.LBB105_127:
	s_or_b32 exec_lo, exec_lo, s2
	s_waitcnt_vscnt null, 0x0
	s_barrier
	buffer_gl0_inv
	scratch_load_b128 v[1:4], v138, off
	s_mov_b32 s2, exec_lo
	s_waitcnt vmcnt(0)
	ds_store_b128 v5, v[1:4]
	s_waitcnt lgkmcnt(0)
	s_barrier
	buffer_gl0_inv
	v_cmpx_gt_u32_e32 29, v126
	s_cbranch_execz .LBB105_131
; %bb.128:
	v_dual_mov_b32 v1, 0 :: v_dual_add_nc_u32 v8, 0x2a0, v13
	v_dual_mov_b32 v2, 0 :: v_dual_add_nc_u32 v7, -1, v126
	v_or_b32_e32 v9, 8, v14
	s_mov_b32 s3, 0
	s_delay_alu instid0(VALU_DEP_2)
	v_dual_mov_b32 v4, v2 :: v_dual_mov_b32 v3, v1
	.p2align	6
.LBB105_129:                            ; =>This Inner Loop Header: Depth=1
	scratch_load_b128 v[15:18], v9, off offset:-8
	ds_load_b128 v[19:22], v8
	v_add_nc_u32_e32 v7, 1, v7
	v_add_nc_u32_e32 v8, 16, v8
	;; [unrolled: 1-line block ×3, first 2 shown]
	s_delay_alu instid0(VALU_DEP_3) | instskip(SKIP_4) | instid1(VALU_DEP_2)
	v_cmp_lt_u32_e32 vcc_lo, 27, v7
	s_or_b32 s3, vcc_lo, s3
	s_waitcnt vmcnt(0) lgkmcnt(0)
	v_mul_f64 v[10:11], v[21:22], v[17:18]
	v_mul_f64 v[17:18], v[19:20], v[17:18]
	v_fma_f64 v[10:11], v[19:20], v[15:16], -v[10:11]
	s_delay_alu instid0(VALU_DEP_2) | instskip(NEXT) | instid1(VALU_DEP_2)
	v_fma_f64 v[15:16], v[21:22], v[15:16], v[17:18]
	v_add_f64 v[3:4], v[3:4], v[10:11]
	s_delay_alu instid0(VALU_DEP_2)
	v_add_f64 v[1:2], v[1:2], v[15:16]
	s_and_not1_b32 exec_lo, exec_lo, s3
	s_cbranch_execnz .LBB105_129
; %bb.130:
	s_or_b32 exec_lo, exec_lo, s3
	v_mov_b32_e32 v7, 0
	ds_load_b128 v[7:10], v7 offset:464
	s_waitcnt lgkmcnt(0)
	v_mul_f64 v[11:12], v[1:2], v[9:10]
	v_mul_f64 v[15:16], v[3:4], v[9:10]
	s_delay_alu instid0(VALU_DEP_2) | instskip(NEXT) | instid1(VALU_DEP_2)
	v_fma_f64 v[9:10], v[3:4], v[7:8], -v[11:12]
	v_fma_f64 v[11:12], v[1:2], v[7:8], v[15:16]
	scratch_store_b128 off, v[9:12], off offset:464
.LBB105_131:
	s_or_b32 exec_lo, exec_lo, s2
	s_waitcnt_vscnt null, 0x0
	s_barrier
	buffer_gl0_inv
	scratch_load_b128 v[1:4], v130, off
	s_mov_b32 s2, exec_lo
	s_waitcnt vmcnt(0)
	ds_store_b128 v5, v[1:4]
	s_waitcnt lgkmcnt(0)
	s_barrier
	buffer_gl0_inv
	v_cmpx_gt_u32_e32 30, v126
	s_cbranch_execz .LBB105_135
; %bb.132:
	v_dual_mov_b32 v1, 0 :: v_dual_add_nc_u32 v8, 0x2a0, v13
	v_dual_mov_b32 v2, 0 :: v_dual_add_nc_u32 v7, -1, v126
	v_or_b32_e32 v9, 8, v14
	s_mov_b32 s3, 0
	s_delay_alu instid0(VALU_DEP_2)
	v_dual_mov_b32 v4, v2 :: v_dual_mov_b32 v3, v1
	.p2align	6
.LBB105_133:                            ; =>This Inner Loop Header: Depth=1
	scratch_load_b128 v[15:18], v9, off offset:-8
	ds_load_b128 v[19:22], v8
	v_add_nc_u32_e32 v7, 1, v7
	v_add_nc_u32_e32 v8, 16, v8
	;; [unrolled: 1-line block ×3, first 2 shown]
	s_delay_alu instid0(VALU_DEP_3) | instskip(SKIP_4) | instid1(VALU_DEP_2)
	v_cmp_lt_u32_e32 vcc_lo, 28, v7
	s_or_b32 s3, vcc_lo, s3
	s_waitcnt vmcnt(0) lgkmcnt(0)
	v_mul_f64 v[10:11], v[21:22], v[17:18]
	v_mul_f64 v[17:18], v[19:20], v[17:18]
	v_fma_f64 v[10:11], v[19:20], v[15:16], -v[10:11]
	s_delay_alu instid0(VALU_DEP_2) | instskip(NEXT) | instid1(VALU_DEP_2)
	v_fma_f64 v[15:16], v[21:22], v[15:16], v[17:18]
	v_add_f64 v[3:4], v[3:4], v[10:11]
	s_delay_alu instid0(VALU_DEP_2)
	v_add_f64 v[1:2], v[1:2], v[15:16]
	s_and_not1_b32 exec_lo, exec_lo, s3
	s_cbranch_execnz .LBB105_133
; %bb.134:
	s_or_b32 exec_lo, exec_lo, s3
	v_mov_b32_e32 v7, 0
	ds_load_b128 v[7:10], v7 offset:480
	s_waitcnt lgkmcnt(0)
	v_mul_f64 v[11:12], v[1:2], v[9:10]
	v_mul_f64 v[15:16], v[3:4], v[9:10]
	s_delay_alu instid0(VALU_DEP_2) | instskip(NEXT) | instid1(VALU_DEP_2)
	v_fma_f64 v[9:10], v[3:4], v[7:8], -v[11:12]
	v_fma_f64 v[11:12], v[1:2], v[7:8], v[15:16]
	scratch_store_b128 off, v[9:12], off offset:480
.LBB105_135:
	s_or_b32 exec_lo, exec_lo, s2
	s_waitcnt_vscnt null, 0x0
	s_barrier
	buffer_gl0_inv
	scratch_load_b128 v[1:4], v131, off
	s_mov_b32 s2, exec_lo
	s_waitcnt vmcnt(0)
	ds_store_b128 v5, v[1:4]
	s_waitcnt lgkmcnt(0)
	s_barrier
	buffer_gl0_inv
	v_cmpx_gt_u32_e32 31, v126
	s_cbranch_execz .LBB105_139
; %bb.136:
	v_dual_mov_b32 v1, 0 :: v_dual_add_nc_u32 v8, 0x2a0, v13
	v_dual_mov_b32 v2, 0 :: v_dual_add_nc_u32 v7, -1, v126
	v_or_b32_e32 v9, 8, v14
	s_mov_b32 s3, 0
	s_delay_alu instid0(VALU_DEP_2)
	v_dual_mov_b32 v4, v2 :: v_dual_mov_b32 v3, v1
	.p2align	6
.LBB105_137:                            ; =>This Inner Loop Header: Depth=1
	scratch_load_b128 v[15:18], v9, off offset:-8
	ds_load_b128 v[19:22], v8
	v_add_nc_u32_e32 v7, 1, v7
	v_add_nc_u32_e32 v8, 16, v8
	;; [unrolled: 1-line block ×3, first 2 shown]
	s_delay_alu instid0(VALU_DEP_3) | instskip(SKIP_4) | instid1(VALU_DEP_2)
	v_cmp_lt_u32_e32 vcc_lo, 29, v7
	s_or_b32 s3, vcc_lo, s3
	s_waitcnt vmcnt(0) lgkmcnt(0)
	v_mul_f64 v[10:11], v[21:22], v[17:18]
	v_mul_f64 v[17:18], v[19:20], v[17:18]
	v_fma_f64 v[10:11], v[19:20], v[15:16], -v[10:11]
	s_delay_alu instid0(VALU_DEP_2) | instskip(NEXT) | instid1(VALU_DEP_2)
	v_fma_f64 v[15:16], v[21:22], v[15:16], v[17:18]
	v_add_f64 v[3:4], v[3:4], v[10:11]
	s_delay_alu instid0(VALU_DEP_2)
	v_add_f64 v[1:2], v[1:2], v[15:16]
	s_and_not1_b32 exec_lo, exec_lo, s3
	s_cbranch_execnz .LBB105_137
; %bb.138:
	s_or_b32 exec_lo, exec_lo, s3
	v_mov_b32_e32 v7, 0
	ds_load_b128 v[7:10], v7 offset:496
	s_waitcnt lgkmcnt(0)
	v_mul_f64 v[11:12], v[1:2], v[9:10]
	v_mul_f64 v[15:16], v[3:4], v[9:10]
	s_delay_alu instid0(VALU_DEP_2) | instskip(NEXT) | instid1(VALU_DEP_2)
	v_fma_f64 v[9:10], v[3:4], v[7:8], -v[11:12]
	v_fma_f64 v[11:12], v[1:2], v[7:8], v[15:16]
	scratch_store_b128 off, v[9:12], off offset:496
.LBB105_139:
	s_or_b32 exec_lo, exec_lo, s2
	s_waitcnt_vscnt null, 0x0
	s_barrier
	buffer_gl0_inv
	scratch_load_b128 v[1:4], v129, off
	s_mov_b32 s2, exec_lo
	s_waitcnt vmcnt(0)
	ds_store_b128 v5, v[1:4]
	s_waitcnt lgkmcnt(0)
	s_barrier
	buffer_gl0_inv
	v_cmpx_gt_u32_e32 32, v126
	s_cbranch_execz .LBB105_143
; %bb.140:
	v_dual_mov_b32 v1, 0 :: v_dual_add_nc_u32 v8, 0x2a0, v13
	v_dual_mov_b32 v2, 0 :: v_dual_add_nc_u32 v7, -1, v126
	v_or_b32_e32 v9, 8, v14
	s_mov_b32 s3, 0
	s_delay_alu instid0(VALU_DEP_2)
	v_dual_mov_b32 v4, v2 :: v_dual_mov_b32 v3, v1
	.p2align	6
.LBB105_141:                            ; =>This Inner Loop Header: Depth=1
	scratch_load_b128 v[15:18], v9, off offset:-8
	ds_load_b128 v[19:22], v8
	v_add_nc_u32_e32 v7, 1, v7
	v_add_nc_u32_e32 v8, 16, v8
	;; [unrolled: 1-line block ×3, first 2 shown]
	s_delay_alu instid0(VALU_DEP_3) | instskip(SKIP_4) | instid1(VALU_DEP_2)
	v_cmp_lt_u32_e32 vcc_lo, 30, v7
	s_or_b32 s3, vcc_lo, s3
	s_waitcnt vmcnt(0) lgkmcnt(0)
	v_mul_f64 v[10:11], v[21:22], v[17:18]
	v_mul_f64 v[17:18], v[19:20], v[17:18]
	v_fma_f64 v[10:11], v[19:20], v[15:16], -v[10:11]
	s_delay_alu instid0(VALU_DEP_2) | instskip(NEXT) | instid1(VALU_DEP_2)
	v_fma_f64 v[15:16], v[21:22], v[15:16], v[17:18]
	v_add_f64 v[3:4], v[3:4], v[10:11]
	s_delay_alu instid0(VALU_DEP_2)
	v_add_f64 v[1:2], v[1:2], v[15:16]
	s_and_not1_b32 exec_lo, exec_lo, s3
	s_cbranch_execnz .LBB105_141
; %bb.142:
	s_or_b32 exec_lo, exec_lo, s3
	v_mov_b32_e32 v7, 0
	ds_load_b128 v[7:10], v7 offset:512
	s_waitcnt lgkmcnt(0)
	v_mul_f64 v[11:12], v[1:2], v[9:10]
	v_mul_f64 v[15:16], v[3:4], v[9:10]
	s_delay_alu instid0(VALU_DEP_2) | instskip(NEXT) | instid1(VALU_DEP_2)
	v_fma_f64 v[9:10], v[3:4], v[7:8], -v[11:12]
	v_fma_f64 v[11:12], v[1:2], v[7:8], v[15:16]
	scratch_store_b128 off, v[9:12], off offset:512
.LBB105_143:
	s_or_b32 exec_lo, exec_lo, s2
	s_waitcnt_vscnt null, 0x0
	s_barrier
	buffer_gl0_inv
	scratch_load_b128 v[1:4], v128, off
	s_mov_b32 s2, exec_lo
	s_waitcnt vmcnt(0)
	ds_store_b128 v5, v[1:4]
	s_waitcnt lgkmcnt(0)
	s_barrier
	buffer_gl0_inv
	v_cmpx_gt_u32_e32 33, v126
	s_cbranch_execz .LBB105_147
; %bb.144:
	v_dual_mov_b32 v1, 0 :: v_dual_add_nc_u32 v8, 0x2a0, v13
	v_dual_mov_b32 v2, 0 :: v_dual_add_nc_u32 v7, -1, v126
	v_or_b32_e32 v9, 8, v14
	s_mov_b32 s3, 0
	s_delay_alu instid0(VALU_DEP_2)
	v_dual_mov_b32 v4, v2 :: v_dual_mov_b32 v3, v1
	.p2align	6
.LBB105_145:                            ; =>This Inner Loop Header: Depth=1
	scratch_load_b128 v[15:18], v9, off offset:-8
	ds_load_b128 v[19:22], v8
	v_add_nc_u32_e32 v7, 1, v7
	v_add_nc_u32_e32 v8, 16, v8
	;; [unrolled: 1-line block ×3, first 2 shown]
	s_delay_alu instid0(VALU_DEP_3) | instskip(SKIP_4) | instid1(VALU_DEP_2)
	v_cmp_lt_u32_e32 vcc_lo, 31, v7
	s_or_b32 s3, vcc_lo, s3
	s_waitcnt vmcnt(0) lgkmcnt(0)
	v_mul_f64 v[10:11], v[21:22], v[17:18]
	v_mul_f64 v[17:18], v[19:20], v[17:18]
	v_fma_f64 v[10:11], v[19:20], v[15:16], -v[10:11]
	s_delay_alu instid0(VALU_DEP_2) | instskip(NEXT) | instid1(VALU_DEP_2)
	v_fma_f64 v[15:16], v[21:22], v[15:16], v[17:18]
	v_add_f64 v[3:4], v[3:4], v[10:11]
	s_delay_alu instid0(VALU_DEP_2)
	v_add_f64 v[1:2], v[1:2], v[15:16]
	s_and_not1_b32 exec_lo, exec_lo, s3
	s_cbranch_execnz .LBB105_145
; %bb.146:
	s_or_b32 exec_lo, exec_lo, s3
	v_mov_b32_e32 v7, 0
	ds_load_b128 v[7:10], v7 offset:528
	s_waitcnt lgkmcnt(0)
	v_mul_f64 v[11:12], v[1:2], v[9:10]
	v_mul_f64 v[15:16], v[3:4], v[9:10]
	s_delay_alu instid0(VALU_DEP_2) | instskip(NEXT) | instid1(VALU_DEP_2)
	v_fma_f64 v[9:10], v[3:4], v[7:8], -v[11:12]
	v_fma_f64 v[11:12], v[1:2], v[7:8], v[15:16]
	scratch_store_b128 off, v[9:12], off offset:528
.LBB105_147:
	s_or_b32 exec_lo, exec_lo, s2
	s_waitcnt_vscnt null, 0x0
	s_barrier
	buffer_gl0_inv
	scratch_load_b128 v[1:4], v127, off
	s_mov_b32 s2, exec_lo
	s_waitcnt vmcnt(0)
	ds_store_b128 v5, v[1:4]
	s_waitcnt lgkmcnt(0)
	s_barrier
	buffer_gl0_inv
	v_cmpx_gt_u32_e32 34, v126
	s_cbranch_execz .LBB105_151
; %bb.148:
	v_dual_mov_b32 v1, 0 :: v_dual_add_nc_u32 v8, 0x2a0, v13
	v_dual_mov_b32 v2, 0 :: v_dual_add_nc_u32 v7, -1, v126
	v_or_b32_e32 v9, 8, v14
	s_mov_b32 s3, 0
	s_delay_alu instid0(VALU_DEP_2)
	v_dual_mov_b32 v4, v2 :: v_dual_mov_b32 v3, v1
	.p2align	6
.LBB105_149:                            ; =>This Inner Loop Header: Depth=1
	scratch_load_b128 v[15:18], v9, off offset:-8
	ds_load_b128 v[19:22], v8
	v_add_nc_u32_e32 v7, 1, v7
	v_add_nc_u32_e32 v8, 16, v8
	;; [unrolled: 1-line block ×3, first 2 shown]
	s_delay_alu instid0(VALU_DEP_3) | instskip(SKIP_4) | instid1(VALU_DEP_2)
	v_cmp_lt_u32_e32 vcc_lo, 32, v7
	s_or_b32 s3, vcc_lo, s3
	s_waitcnt vmcnt(0) lgkmcnt(0)
	v_mul_f64 v[10:11], v[21:22], v[17:18]
	v_mul_f64 v[17:18], v[19:20], v[17:18]
	v_fma_f64 v[10:11], v[19:20], v[15:16], -v[10:11]
	s_delay_alu instid0(VALU_DEP_2) | instskip(NEXT) | instid1(VALU_DEP_2)
	v_fma_f64 v[15:16], v[21:22], v[15:16], v[17:18]
	v_add_f64 v[3:4], v[3:4], v[10:11]
	s_delay_alu instid0(VALU_DEP_2)
	v_add_f64 v[1:2], v[1:2], v[15:16]
	s_and_not1_b32 exec_lo, exec_lo, s3
	s_cbranch_execnz .LBB105_149
; %bb.150:
	s_or_b32 exec_lo, exec_lo, s3
	v_mov_b32_e32 v7, 0
	ds_load_b128 v[7:10], v7 offset:544
	s_waitcnt lgkmcnt(0)
	v_mul_f64 v[11:12], v[1:2], v[9:10]
	v_mul_f64 v[15:16], v[3:4], v[9:10]
	s_delay_alu instid0(VALU_DEP_2) | instskip(NEXT) | instid1(VALU_DEP_2)
	v_fma_f64 v[9:10], v[3:4], v[7:8], -v[11:12]
	v_fma_f64 v[11:12], v[1:2], v[7:8], v[15:16]
	scratch_store_b128 off, v[9:12], off offset:544
.LBB105_151:
	s_or_b32 exec_lo, exec_lo, s2
	s_waitcnt_vscnt null, 0x0
	s_barrier
	buffer_gl0_inv
	scratch_load_b128 v[1:4], v140, off
	s_mov_b32 s2, exec_lo
	s_waitcnt vmcnt(0)
	ds_store_b128 v5, v[1:4]
	s_waitcnt lgkmcnt(0)
	s_barrier
	buffer_gl0_inv
	v_cmpx_gt_u32_e32 35, v126
	s_cbranch_execz .LBB105_155
; %bb.152:
	v_dual_mov_b32 v1, 0 :: v_dual_add_nc_u32 v8, 0x2a0, v13
	v_dual_mov_b32 v2, 0 :: v_dual_add_nc_u32 v7, -1, v126
	v_or_b32_e32 v9, 8, v14
	s_mov_b32 s3, 0
	s_delay_alu instid0(VALU_DEP_2)
	v_dual_mov_b32 v4, v2 :: v_dual_mov_b32 v3, v1
	.p2align	6
.LBB105_153:                            ; =>This Inner Loop Header: Depth=1
	scratch_load_b128 v[15:18], v9, off offset:-8
	ds_load_b128 v[19:22], v8
	v_add_nc_u32_e32 v7, 1, v7
	v_add_nc_u32_e32 v8, 16, v8
	;; [unrolled: 1-line block ×3, first 2 shown]
	s_delay_alu instid0(VALU_DEP_3) | instskip(SKIP_4) | instid1(VALU_DEP_2)
	v_cmp_lt_u32_e32 vcc_lo, 33, v7
	s_or_b32 s3, vcc_lo, s3
	s_waitcnt vmcnt(0) lgkmcnt(0)
	v_mul_f64 v[10:11], v[21:22], v[17:18]
	v_mul_f64 v[17:18], v[19:20], v[17:18]
	v_fma_f64 v[10:11], v[19:20], v[15:16], -v[10:11]
	s_delay_alu instid0(VALU_DEP_2) | instskip(NEXT) | instid1(VALU_DEP_2)
	v_fma_f64 v[15:16], v[21:22], v[15:16], v[17:18]
	v_add_f64 v[3:4], v[3:4], v[10:11]
	s_delay_alu instid0(VALU_DEP_2)
	v_add_f64 v[1:2], v[1:2], v[15:16]
	s_and_not1_b32 exec_lo, exec_lo, s3
	s_cbranch_execnz .LBB105_153
; %bb.154:
	s_or_b32 exec_lo, exec_lo, s3
	v_mov_b32_e32 v7, 0
	ds_load_b128 v[7:10], v7 offset:560
	s_waitcnt lgkmcnt(0)
	v_mul_f64 v[11:12], v[1:2], v[9:10]
	v_mul_f64 v[15:16], v[3:4], v[9:10]
	s_delay_alu instid0(VALU_DEP_2) | instskip(NEXT) | instid1(VALU_DEP_2)
	v_fma_f64 v[9:10], v[3:4], v[7:8], -v[11:12]
	v_fma_f64 v[11:12], v[1:2], v[7:8], v[15:16]
	scratch_store_b128 off, v[9:12], off offset:560
.LBB105_155:
	s_or_b32 exec_lo, exec_lo, s2
	s_waitcnt_vscnt null, 0x0
	s_barrier
	buffer_gl0_inv
	scratch_load_b128 v[1:4], v137, off
	s_mov_b32 s2, exec_lo
	s_waitcnt vmcnt(0)
	ds_store_b128 v5, v[1:4]
	s_waitcnt lgkmcnt(0)
	s_barrier
	buffer_gl0_inv
	v_cmpx_gt_u32_e32 36, v126
	s_cbranch_execz .LBB105_159
; %bb.156:
	v_dual_mov_b32 v1, 0 :: v_dual_add_nc_u32 v8, 0x2a0, v13
	v_dual_mov_b32 v2, 0 :: v_dual_add_nc_u32 v7, -1, v126
	v_or_b32_e32 v9, 8, v14
	s_mov_b32 s3, 0
	s_delay_alu instid0(VALU_DEP_2)
	v_dual_mov_b32 v4, v2 :: v_dual_mov_b32 v3, v1
	.p2align	6
.LBB105_157:                            ; =>This Inner Loop Header: Depth=1
	scratch_load_b128 v[15:18], v9, off offset:-8
	ds_load_b128 v[19:22], v8
	v_add_nc_u32_e32 v7, 1, v7
	v_add_nc_u32_e32 v8, 16, v8
	;; [unrolled: 1-line block ×3, first 2 shown]
	s_delay_alu instid0(VALU_DEP_3) | instskip(SKIP_4) | instid1(VALU_DEP_2)
	v_cmp_lt_u32_e32 vcc_lo, 34, v7
	s_or_b32 s3, vcc_lo, s3
	s_waitcnt vmcnt(0) lgkmcnt(0)
	v_mul_f64 v[10:11], v[21:22], v[17:18]
	v_mul_f64 v[17:18], v[19:20], v[17:18]
	v_fma_f64 v[10:11], v[19:20], v[15:16], -v[10:11]
	s_delay_alu instid0(VALU_DEP_2) | instskip(NEXT) | instid1(VALU_DEP_2)
	v_fma_f64 v[15:16], v[21:22], v[15:16], v[17:18]
	v_add_f64 v[3:4], v[3:4], v[10:11]
	s_delay_alu instid0(VALU_DEP_2)
	v_add_f64 v[1:2], v[1:2], v[15:16]
	s_and_not1_b32 exec_lo, exec_lo, s3
	s_cbranch_execnz .LBB105_157
; %bb.158:
	s_or_b32 exec_lo, exec_lo, s3
	v_mov_b32_e32 v7, 0
	ds_load_b128 v[7:10], v7 offset:576
	s_waitcnt lgkmcnt(0)
	v_mul_f64 v[11:12], v[1:2], v[9:10]
	v_mul_f64 v[15:16], v[3:4], v[9:10]
	s_delay_alu instid0(VALU_DEP_2) | instskip(NEXT) | instid1(VALU_DEP_2)
	v_fma_f64 v[9:10], v[3:4], v[7:8], -v[11:12]
	v_fma_f64 v[11:12], v[1:2], v[7:8], v[15:16]
	scratch_store_b128 off, v[9:12], off offset:576
.LBB105_159:
	s_or_b32 exec_lo, exec_lo, s2
	s_waitcnt_vscnt null, 0x0
	s_barrier
	buffer_gl0_inv
	scratch_load_b128 v[1:4], v136, off
	s_mov_b32 s2, exec_lo
	s_waitcnt vmcnt(0)
	ds_store_b128 v5, v[1:4]
	s_waitcnt lgkmcnt(0)
	s_barrier
	buffer_gl0_inv
	v_cmpx_gt_u32_e32 37, v126
	s_cbranch_execz .LBB105_163
; %bb.160:
	v_dual_mov_b32 v1, 0 :: v_dual_add_nc_u32 v8, 0x2a0, v13
	v_dual_mov_b32 v2, 0 :: v_dual_add_nc_u32 v7, -1, v126
	v_or_b32_e32 v9, 8, v14
	s_mov_b32 s3, 0
	s_delay_alu instid0(VALU_DEP_2)
	v_dual_mov_b32 v4, v2 :: v_dual_mov_b32 v3, v1
	.p2align	6
.LBB105_161:                            ; =>This Inner Loop Header: Depth=1
	scratch_load_b128 v[15:18], v9, off offset:-8
	ds_load_b128 v[19:22], v8
	v_add_nc_u32_e32 v7, 1, v7
	v_add_nc_u32_e32 v8, 16, v8
	;; [unrolled: 1-line block ×3, first 2 shown]
	s_delay_alu instid0(VALU_DEP_3) | instskip(SKIP_4) | instid1(VALU_DEP_2)
	v_cmp_lt_u32_e32 vcc_lo, 35, v7
	s_or_b32 s3, vcc_lo, s3
	s_waitcnt vmcnt(0) lgkmcnt(0)
	v_mul_f64 v[10:11], v[21:22], v[17:18]
	v_mul_f64 v[17:18], v[19:20], v[17:18]
	v_fma_f64 v[10:11], v[19:20], v[15:16], -v[10:11]
	s_delay_alu instid0(VALU_DEP_2) | instskip(NEXT) | instid1(VALU_DEP_2)
	v_fma_f64 v[15:16], v[21:22], v[15:16], v[17:18]
	v_add_f64 v[3:4], v[3:4], v[10:11]
	s_delay_alu instid0(VALU_DEP_2)
	v_add_f64 v[1:2], v[1:2], v[15:16]
	s_and_not1_b32 exec_lo, exec_lo, s3
	s_cbranch_execnz .LBB105_161
; %bb.162:
	s_or_b32 exec_lo, exec_lo, s3
	v_mov_b32_e32 v7, 0
	ds_load_b128 v[7:10], v7 offset:592
	s_waitcnt lgkmcnt(0)
	v_mul_f64 v[11:12], v[1:2], v[9:10]
	v_mul_f64 v[15:16], v[3:4], v[9:10]
	s_delay_alu instid0(VALU_DEP_2) | instskip(NEXT) | instid1(VALU_DEP_2)
	v_fma_f64 v[9:10], v[3:4], v[7:8], -v[11:12]
	v_fma_f64 v[11:12], v[1:2], v[7:8], v[15:16]
	scratch_store_b128 off, v[9:12], off offset:592
.LBB105_163:
	s_or_b32 exec_lo, exec_lo, s2
	s_waitcnt_vscnt null, 0x0
	s_barrier
	buffer_gl0_inv
	scratch_load_b128 v[1:4], v135, off
	s_mov_b32 s2, exec_lo
	s_waitcnt vmcnt(0)
	ds_store_b128 v5, v[1:4]
	s_waitcnt lgkmcnt(0)
	s_barrier
	buffer_gl0_inv
	v_cmpx_gt_u32_e32 38, v126
	s_cbranch_execz .LBB105_167
; %bb.164:
	v_dual_mov_b32 v1, 0 :: v_dual_add_nc_u32 v8, 0x2a0, v13
	v_dual_mov_b32 v2, 0 :: v_dual_add_nc_u32 v7, -1, v126
	v_or_b32_e32 v9, 8, v14
	s_mov_b32 s3, 0
	s_delay_alu instid0(VALU_DEP_2)
	v_dual_mov_b32 v4, v2 :: v_dual_mov_b32 v3, v1
	.p2align	6
.LBB105_165:                            ; =>This Inner Loop Header: Depth=1
	scratch_load_b128 v[15:18], v9, off offset:-8
	ds_load_b128 v[19:22], v8
	v_add_nc_u32_e32 v7, 1, v7
	v_add_nc_u32_e32 v8, 16, v8
	;; [unrolled: 1-line block ×3, first 2 shown]
	s_delay_alu instid0(VALU_DEP_3) | instskip(SKIP_4) | instid1(VALU_DEP_2)
	v_cmp_lt_u32_e32 vcc_lo, 36, v7
	s_or_b32 s3, vcc_lo, s3
	s_waitcnt vmcnt(0) lgkmcnt(0)
	v_mul_f64 v[10:11], v[21:22], v[17:18]
	v_mul_f64 v[17:18], v[19:20], v[17:18]
	v_fma_f64 v[10:11], v[19:20], v[15:16], -v[10:11]
	s_delay_alu instid0(VALU_DEP_2) | instskip(NEXT) | instid1(VALU_DEP_2)
	v_fma_f64 v[15:16], v[21:22], v[15:16], v[17:18]
	v_add_f64 v[3:4], v[3:4], v[10:11]
	s_delay_alu instid0(VALU_DEP_2)
	v_add_f64 v[1:2], v[1:2], v[15:16]
	s_and_not1_b32 exec_lo, exec_lo, s3
	s_cbranch_execnz .LBB105_165
; %bb.166:
	s_or_b32 exec_lo, exec_lo, s3
	v_mov_b32_e32 v7, 0
	ds_load_b128 v[7:10], v7 offset:608
	s_waitcnt lgkmcnt(0)
	v_mul_f64 v[11:12], v[1:2], v[9:10]
	v_mul_f64 v[15:16], v[3:4], v[9:10]
	s_delay_alu instid0(VALU_DEP_2) | instskip(NEXT) | instid1(VALU_DEP_2)
	v_fma_f64 v[9:10], v[3:4], v[7:8], -v[11:12]
	v_fma_f64 v[11:12], v[1:2], v[7:8], v[15:16]
	scratch_store_b128 off, v[9:12], off offset:608
.LBB105_167:
	s_or_b32 exec_lo, exec_lo, s2
	s_waitcnt_vscnt null, 0x0
	s_barrier
	buffer_gl0_inv
	scratch_load_b128 v[1:4], v134, off
	s_mov_b32 s2, exec_lo
	s_waitcnt vmcnt(0)
	ds_store_b128 v5, v[1:4]
	s_waitcnt lgkmcnt(0)
	s_barrier
	buffer_gl0_inv
	v_cmpx_gt_u32_e32 39, v126
	s_cbranch_execz .LBB105_171
; %bb.168:
	v_dual_mov_b32 v1, 0 :: v_dual_add_nc_u32 v8, 0x2a0, v13
	v_dual_mov_b32 v2, 0 :: v_dual_add_nc_u32 v7, -1, v126
	v_or_b32_e32 v9, 8, v14
	s_mov_b32 s3, 0
	s_delay_alu instid0(VALU_DEP_2)
	v_dual_mov_b32 v4, v2 :: v_dual_mov_b32 v3, v1
	.p2align	6
.LBB105_169:                            ; =>This Inner Loop Header: Depth=1
	scratch_load_b128 v[15:18], v9, off offset:-8
	ds_load_b128 v[19:22], v8
	v_add_nc_u32_e32 v7, 1, v7
	v_add_nc_u32_e32 v8, 16, v8
	;; [unrolled: 1-line block ×3, first 2 shown]
	s_delay_alu instid0(VALU_DEP_3) | instskip(SKIP_4) | instid1(VALU_DEP_2)
	v_cmp_lt_u32_e32 vcc_lo, 37, v7
	s_or_b32 s3, vcc_lo, s3
	s_waitcnt vmcnt(0) lgkmcnt(0)
	v_mul_f64 v[10:11], v[21:22], v[17:18]
	v_mul_f64 v[17:18], v[19:20], v[17:18]
	v_fma_f64 v[10:11], v[19:20], v[15:16], -v[10:11]
	s_delay_alu instid0(VALU_DEP_2) | instskip(NEXT) | instid1(VALU_DEP_2)
	v_fma_f64 v[15:16], v[21:22], v[15:16], v[17:18]
	v_add_f64 v[3:4], v[3:4], v[10:11]
	s_delay_alu instid0(VALU_DEP_2)
	v_add_f64 v[1:2], v[1:2], v[15:16]
	s_and_not1_b32 exec_lo, exec_lo, s3
	s_cbranch_execnz .LBB105_169
; %bb.170:
	s_or_b32 exec_lo, exec_lo, s3
	v_mov_b32_e32 v7, 0
	ds_load_b128 v[7:10], v7 offset:624
	s_waitcnt lgkmcnt(0)
	v_mul_f64 v[11:12], v[1:2], v[9:10]
	v_mul_f64 v[15:16], v[3:4], v[9:10]
	s_delay_alu instid0(VALU_DEP_2) | instskip(NEXT) | instid1(VALU_DEP_2)
	v_fma_f64 v[9:10], v[3:4], v[7:8], -v[11:12]
	v_fma_f64 v[11:12], v[1:2], v[7:8], v[15:16]
	scratch_store_b128 off, v[9:12], off offset:624
.LBB105_171:
	s_or_b32 exec_lo, exec_lo, s2
	s_waitcnt_vscnt null, 0x0
	s_barrier
	buffer_gl0_inv
	scratch_load_b128 v[1:4], v133, off
	s_mov_b32 s2, exec_lo
	s_waitcnt vmcnt(0)
	ds_store_b128 v5, v[1:4]
	s_waitcnt lgkmcnt(0)
	s_barrier
	buffer_gl0_inv
	v_cmpx_gt_u32_e32 40, v126
	s_cbranch_execz .LBB105_175
; %bb.172:
	v_dual_mov_b32 v1, 0 :: v_dual_add_nc_u32 v8, 0x2a0, v13
	v_dual_mov_b32 v2, 0 :: v_dual_add_nc_u32 v7, -1, v126
	v_or_b32_e32 v9, 8, v14
	s_mov_b32 s3, 0
	s_delay_alu instid0(VALU_DEP_2)
	v_dual_mov_b32 v4, v2 :: v_dual_mov_b32 v3, v1
	.p2align	6
.LBB105_173:                            ; =>This Inner Loop Header: Depth=1
	scratch_load_b128 v[10:13], v9, off offset:-8
	ds_load_b128 v[15:18], v8
	v_add_nc_u32_e32 v7, 1, v7
	v_add_nc_u32_e32 v8, 16, v8
	;; [unrolled: 1-line block ×3, first 2 shown]
	s_delay_alu instid0(VALU_DEP_3) | instskip(SKIP_4) | instid1(VALU_DEP_2)
	v_cmp_lt_u32_e32 vcc_lo, 38, v7
	s_or_b32 s3, vcc_lo, s3
	s_waitcnt vmcnt(0) lgkmcnt(0)
	v_mul_f64 v[19:20], v[17:18], v[12:13]
	v_mul_f64 v[12:13], v[15:16], v[12:13]
	v_fma_f64 v[15:16], v[15:16], v[10:11], -v[19:20]
	s_delay_alu instid0(VALU_DEP_2) | instskip(NEXT) | instid1(VALU_DEP_2)
	v_fma_f64 v[10:11], v[17:18], v[10:11], v[12:13]
	v_add_f64 v[3:4], v[3:4], v[15:16]
	s_delay_alu instid0(VALU_DEP_2)
	v_add_f64 v[1:2], v[1:2], v[10:11]
	s_and_not1_b32 exec_lo, exec_lo, s3
	s_cbranch_execnz .LBB105_173
; %bb.174:
	s_or_b32 exec_lo, exec_lo, s3
	v_mov_b32_e32 v7, 0
	ds_load_b128 v[7:10], v7 offset:640
	s_waitcnt lgkmcnt(0)
	v_mul_f64 v[11:12], v[1:2], v[9:10]
	v_mul_f64 v[15:16], v[3:4], v[9:10]
	s_delay_alu instid0(VALU_DEP_2) | instskip(NEXT) | instid1(VALU_DEP_2)
	v_fma_f64 v[9:10], v[3:4], v[7:8], -v[11:12]
	v_fma_f64 v[11:12], v[1:2], v[7:8], v[15:16]
	scratch_store_b128 off, v[9:12], off offset:640
.LBB105_175:
	s_or_b32 exec_lo, exec_lo, s2
	s_waitcnt_vscnt null, 0x0
	s_barrier
	buffer_gl0_inv
	scratch_load_b128 v[1:4], v132, off
	s_mov_b32 s2, exec_lo
	s_waitcnt vmcnt(0)
	ds_store_b128 v5, v[1:4]
	s_waitcnt lgkmcnt(0)
	s_barrier
	buffer_gl0_inv
	v_cmpx_ne_u32_e32 41, v126
	s_cbranch_execz .LBB105_179
; %bb.176:
	v_mov_b32_e32 v1, 0
	v_mov_b32_e32 v2, 0
	v_or_b32_e32 v7, 8, v14
	s_mov_b32 s3, 0
	s_delay_alu instid0(VALU_DEP_2)
	v_dual_mov_b32 v4, v2 :: v_dual_mov_b32 v3, v1
	.p2align	6
.LBB105_177:                            ; =>This Inner Loop Header: Depth=1
	scratch_load_b128 v[8:11], v7, off offset:-8
	ds_load_b128 v[12:15], v5
	v_add_nc_u32_e32 v6, 1, v6
	v_add_nc_u32_e32 v5, 16, v5
	;; [unrolled: 1-line block ×3, first 2 shown]
	s_delay_alu instid0(VALU_DEP_3) | instskip(SKIP_4) | instid1(VALU_DEP_2)
	v_cmp_lt_u32_e32 vcc_lo, 39, v6
	s_or_b32 s3, vcc_lo, s3
	s_waitcnt vmcnt(0) lgkmcnt(0)
	v_mul_f64 v[16:17], v[14:15], v[10:11]
	v_mul_f64 v[10:11], v[12:13], v[10:11]
	v_fma_f64 v[12:13], v[12:13], v[8:9], -v[16:17]
	s_delay_alu instid0(VALU_DEP_2) | instskip(NEXT) | instid1(VALU_DEP_2)
	v_fma_f64 v[8:9], v[14:15], v[8:9], v[10:11]
	v_add_f64 v[3:4], v[3:4], v[12:13]
	s_delay_alu instid0(VALU_DEP_2)
	v_add_f64 v[1:2], v[1:2], v[8:9]
	s_and_not1_b32 exec_lo, exec_lo, s3
	s_cbranch_execnz .LBB105_177
; %bb.178:
	s_or_b32 exec_lo, exec_lo, s3
	v_mov_b32_e32 v5, 0
	ds_load_b128 v[5:8], v5 offset:656
	s_waitcnt lgkmcnt(0)
	v_mul_f64 v[9:10], v[1:2], v[7:8]
	v_mul_f64 v[7:8], v[3:4], v[7:8]
	s_delay_alu instid0(VALU_DEP_2) | instskip(NEXT) | instid1(VALU_DEP_2)
	v_fma_f64 v[3:4], v[3:4], v[5:6], -v[9:10]
	v_fma_f64 v[5:6], v[1:2], v[5:6], v[7:8]
	scratch_store_b128 off, v[3:6], off offset:656
.LBB105_179:
	s_or_b32 exec_lo, exec_lo, s2
	s_mov_b32 s3, -1
	s_waitcnt_vscnt null, 0x0
	s_barrier
	buffer_gl0_inv
.LBB105_180:
	s_and_b32 vcc_lo, exec_lo, s3
	s_cbranch_vccz .LBB105_182
; %bb.181:
	s_lshl_b64 s[2:3], s[10:11], 2
	v_mov_b32_e32 v1, 0
	s_add_u32 s2, s6, s2
	s_addc_u32 s3, s7, s3
	global_load_b32 v1, v1, s[2:3]
	s_waitcnt vmcnt(0)
	v_cmp_ne_u32_e32 vcc_lo, 0, v1
	s_cbranch_vccz .LBB105_183
.LBB105_182:
	s_endpgm
.LBB105_183:
	v_lshl_add_u32 v168, v126, 4, 0x2a0
	s_mov_b32 s2, exec_lo
	v_cmpx_eq_u32_e32 41, v126
	s_cbranch_execz .LBB105_185
; %bb.184:
	scratch_load_b128 v[1:4], v133, off
	v_mov_b32_e32 v5, 0
	s_delay_alu instid0(VALU_DEP_1)
	v_mov_b32_e32 v6, v5
	v_mov_b32_e32 v7, v5
	;; [unrolled: 1-line block ×3, first 2 shown]
	scratch_store_b128 off, v[5:8], off offset:640
	s_waitcnt vmcnt(0)
	ds_store_b128 v168, v[1:4]
.LBB105_185:
	s_or_b32 exec_lo, exec_lo, s2
	s_waitcnt lgkmcnt(0)
	s_waitcnt_vscnt null, 0x0
	s_barrier
	buffer_gl0_inv
	s_clause 0x1
	scratch_load_b128 v[2:5], off, off offset:656
	scratch_load_b128 v[6:9], off, off offset:640
	v_mov_b32_e32 v1, 0
	s_mov_b32 s2, exec_lo
	ds_load_b128 v[10:13], v1 offset:1328
	s_waitcnt vmcnt(1) lgkmcnt(0)
	v_mul_f64 v[14:15], v[12:13], v[4:5]
	v_mul_f64 v[4:5], v[10:11], v[4:5]
	s_delay_alu instid0(VALU_DEP_2) | instskip(NEXT) | instid1(VALU_DEP_2)
	v_fma_f64 v[10:11], v[10:11], v[2:3], -v[14:15]
	v_fma_f64 v[2:3], v[12:13], v[2:3], v[4:5]
	s_delay_alu instid0(VALU_DEP_2) | instskip(NEXT) | instid1(VALU_DEP_2)
	v_add_f64 v[4:5], v[10:11], 0
	v_add_f64 v[10:11], v[2:3], 0
	s_waitcnt vmcnt(0)
	s_delay_alu instid0(VALU_DEP_2) | instskip(NEXT) | instid1(VALU_DEP_2)
	v_add_f64 v[2:3], v[6:7], -v[4:5]
	v_add_f64 v[4:5], v[8:9], -v[10:11]
	scratch_store_b128 off, v[2:5], off offset:640
	v_cmpx_lt_u32_e32 39, v126
	s_cbranch_execz .LBB105_187
; %bb.186:
	scratch_load_b128 v[5:8], v134, off
	v_mov_b32_e32 v2, v1
	v_mov_b32_e32 v3, v1
	;; [unrolled: 1-line block ×3, first 2 shown]
	scratch_store_b128 off, v[1:4], off offset:624
	s_waitcnt vmcnt(0)
	ds_store_b128 v168, v[5:8]
.LBB105_187:
	s_or_b32 exec_lo, exec_lo, s2
	s_waitcnt lgkmcnt(0)
	s_waitcnt_vscnt null, 0x0
	s_barrier
	buffer_gl0_inv
	s_clause 0x2
	scratch_load_b128 v[2:5], off, off offset:640
	scratch_load_b128 v[6:9], off, off offset:656
	scratch_load_b128 v[10:13], off, off offset:624
	ds_load_b128 v[14:17], v1 offset:1312
	ds_load_b128 v[18:21], v1 offset:1328
	s_mov_b32 s2, exec_lo
	s_waitcnt vmcnt(2) lgkmcnt(1)
	v_mul_f64 v[22:23], v[16:17], v[4:5]
	v_mul_f64 v[4:5], v[14:15], v[4:5]
	s_waitcnt vmcnt(1) lgkmcnt(0)
	v_mul_f64 v[24:25], v[18:19], v[8:9]
	v_mul_f64 v[8:9], v[20:21], v[8:9]
	s_delay_alu instid0(VALU_DEP_4) | instskip(NEXT) | instid1(VALU_DEP_4)
	v_fma_f64 v[14:15], v[14:15], v[2:3], -v[22:23]
	v_fma_f64 v[1:2], v[16:17], v[2:3], v[4:5]
	s_delay_alu instid0(VALU_DEP_4) | instskip(NEXT) | instid1(VALU_DEP_4)
	v_fma_f64 v[3:4], v[20:21], v[6:7], v[24:25]
	v_fma_f64 v[5:6], v[18:19], v[6:7], -v[8:9]
	s_delay_alu instid0(VALU_DEP_4) | instskip(NEXT) | instid1(VALU_DEP_4)
	v_add_f64 v[7:8], v[14:15], 0
	v_add_f64 v[1:2], v[1:2], 0
	s_delay_alu instid0(VALU_DEP_2) | instskip(NEXT) | instid1(VALU_DEP_2)
	v_add_f64 v[5:6], v[7:8], v[5:6]
	v_add_f64 v[3:4], v[1:2], v[3:4]
	s_waitcnt vmcnt(0)
	s_delay_alu instid0(VALU_DEP_2) | instskip(NEXT) | instid1(VALU_DEP_2)
	v_add_f64 v[1:2], v[10:11], -v[5:6]
	v_add_f64 v[3:4], v[12:13], -v[3:4]
	scratch_store_b128 off, v[1:4], off offset:624
	v_cmpx_lt_u32_e32 38, v126
	s_cbranch_execz .LBB105_189
; %bb.188:
	scratch_load_b128 v[1:4], v135, off
	v_mov_b32_e32 v5, 0
	s_delay_alu instid0(VALU_DEP_1)
	v_mov_b32_e32 v6, v5
	v_mov_b32_e32 v7, v5
	;; [unrolled: 1-line block ×3, first 2 shown]
	scratch_store_b128 off, v[5:8], off offset:608
	s_waitcnt vmcnt(0)
	ds_store_b128 v168, v[1:4]
.LBB105_189:
	s_or_b32 exec_lo, exec_lo, s2
	s_waitcnt lgkmcnt(0)
	s_waitcnt_vscnt null, 0x0
	s_barrier
	buffer_gl0_inv
	s_clause 0x3
	scratch_load_b128 v[2:5], off, off offset:624
	scratch_load_b128 v[6:9], off, off offset:640
	;; [unrolled: 1-line block ×4, first 2 shown]
	v_mov_b32_e32 v1, 0
	ds_load_b128 v[18:21], v1 offset:1296
	ds_load_b128 v[22:25], v1 offset:1312
	s_mov_b32 s2, exec_lo
	s_waitcnt vmcnt(3) lgkmcnt(1)
	v_mul_f64 v[26:27], v[20:21], v[4:5]
	v_mul_f64 v[4:5], v[18:19], v[4:5]
	s_waitcnt vmcnt(2) lgkmcnt(0)
	v_mul_f64 v[28:29], v[22:23], v[8:9]
	v_mul_f64 v[8:9], v[24:25], v[8:9]
	s_delay_alu instid0(VALU_DEP_4) | instskip(NEXT) | instid1(VALU_DEP_4)
	v_fma_f64 v[18:19], v[18:19], v[2:3], -v[26:27]
	v_fma_f64 v[20:21], v[20:21], v[2:3], v[4:5]
	ds_load_b128 v[2:5], v1 offset:1328
	v_fma_f64 v[24:25], v[24:25], v[6:7], v[28:29]
	v_fma_f64 v[6:7], v[22:23], v[6:7], -v[8:9]
	s_waitcnt vmcnt(1) lgkmcnt(0)
	v_mul_f64 v[26:27], v[2:3], v[12:13]
	v_mul_f64 v[12:13], v[4:5], v[12:13]
	v_add_f64 v[8:9], v[18:19], 0
	v_add_f64 v[18:19], v[20:21], 0
	s_delay_alu instid0(VALU_DEP_4) | instskip(NEXT) | instid1(VALU_DEP_4)
	v_fma_f64 v[4:5], v[4:5], v[10:11], v[26:27]
	v_fma_f64 v[2:3], v[2:3], v[10:11], -v[12:13]
	s_delay_alu instid0(VALU_DEP_4) | instskip(NEXT) | instid1(VALU_DEP_4)
	v_add_f64 v[6:7], v[8:9], v[6:7]
	v_add_f64 v[8:9], v[18:19], v[24:25]
	s_delay_alu instid0(VALU_DEP_2) | instskip(NEXT) | instid1(VALU_DEP_2)
	v_add_f64 v[2:3], v[6:7], v[2:3]
	v_add_f64 v[4:5], v[8:9], v[4:5]
	s_waitcnt vmcnt(0)
	s_delay_alu instid0(VALU_DEP_2) | instskip(NEXT) | instid1(VALU_DEP_2)
	v_add_f64 v[2:3], v[14:15], -v[2:3]
	v_add_f64 v[4:5], v[16:17], -v[4:5]
	scratch_store_b128 off, v[2:5], off offset:608
	v_cmpx_lt_u32_e32 37, v126
	s_cbranch_execz .LBB105_191
; %bb.190:
	scratch_load_b128 v[5:8], v136, off
	v_mov_b32_e32 v2, v1
	v_mov_b32_e32 v3, v1
	;; [unrolled: 1-line block ×3, first 2 shown]
	scratch_store_b128 off, v[1:4], off offset:592
	s_waitcnt vmcnt(0)
	ds_store_b128 v168, v[5:8]
.LBB105_191:
	s_or_b32 exec_lo, exec_lo, s2
	s_waitcnt lgkmcnt(0)
	s_waitcnt_vscnt null, 0x0
	s_barrier
	buffer_gl0_inv
	s_clause 0x4
	scratch_load_b128 v[2:5], off, off offset:608
	scratch_load_b128 v[6:9], off, off offset:624
	;; [unrolled: 1-line block ×5, first 2 shown]
	ds_load_b128 v[22:25], v1 offset:1280
	ds_load_b128 v[26:29], v1 offset:1296
	s_mov_b32 s2, exec_lo
	s_waitcnt vmcnt(4) lgkmcnt(1)
	v_mul_f64 v[30:31], v[24:25], v[4:5]
	v_mul_f64 v[4:5], v[22:23], v[4:5]
	s_waitcnt vmcnt(3) lgkmcnt(0)
	v_mul_f64 v[32:33], v[26:27], v[8:9]
	v_mul_f64 v[8:9], v[28:29], v[8:9]
	s_delay_alu instid0(VALU_DEP_4) | instskip(NEXT) | instid1(VALU_DEP_4)
	v_fma_f64 v[30:31], v[22:23], v[2:3], -v[30:31]
	v_fma_f64 v[34:35], v[24:25], v[2:3], v[4:5]
	ds_load_b128 v[2:5], v1 offset:1312
	ds_load_b128 v[22:25], v1 offset:1328
	v_fma_f64 v[28:29], v[28:29], v[6:7], v[32:33]
	v_fma_f64 v[6:7], v[26:27], v[6:7], -v[8:9]
	s_waitcnt vmcnt(2) lgkmcnt(1)
	v_mul_f64 v[36:37], v[2:3], v[12:13]
	v_mul_f64 v[12:13], v[4:5], v[12:13]
	v_add_f64 v[8:9], v[30:31], 0
	v_add_f64 v[26:27], v[34:35], 0
	s_waitcnt vmcnt(1) lgkmcnt(0)
	v_mul_f64 v[30:31], v[22:23], v[16:17]
	v_mul_f64 v[16:17], v[24:25], v[16:17]
	v_fma_f64 v[4:5], v[4:5], v[10:11], v[36:37]
	v_fma_f64 v[1:2], v[2:3], v[10:11], -v[12:13]
	v_add_f64 v[6:7], v[8:9], v[6:7]
	v_add_f64 v[8:9], v[26:27], v[28:29]
	v_fma_f64 v[10:11], v[24:25], v[14:15], v[30:31]
	v_fma_f64 v[12:13], v[22:23], v[14:15], -v[16:17]
	s_delay_alu instid0(VALU_DEP_4) | instskip(NEXT) | instid1(VALU_DEP_4)
	v_add_f64 v[1:2], v[6:7], v[1:2]
	v_add_f64 v[3:4], v[8:9], v[4:5]
	s_delay_alu instid0(VALU_DEP_2) | instskip(NEXT) | instid1(VALU_DEP_2)
	v_add_f64 v[1:2], v[1:2], v[12:13]
	v_add_f64 v[3:4], v[3:4], v[10:11]
	s_waitcnt vmcnt(0)
	s_delay_alu instid0(VALU_DEP_2) | instskip(NEXT) | instid1(VALU_DEP_2)
	v_add_f64 v[1:2], v[18:19], -v[1:2]
	v_add_f64 v[3:4], v[20:21], -v[3:4]
	scratch_store_b128 off, v[1:4], off offset:592
	v_cmpx_lt_u32_e32 36, v126
	s_cbranch_execz .LBB105_193
; %bb.192:
	scratch_load_b128 v[1:4], v137, off
	v_mov_b32_e32 v5, 0
	s_delay_alu instid0(VALU_DEP_1)
	v_mov_b32_e32 v6, v5
	v_mov_b32_e32 v7, v5
	;; [unrolled: 1-line block ×3, first 2 shown]
	scratch_store_b128 off, v[5:8], off offset:576
	s_waitcnt vmcnt(0)
	ds_store_b128 v168, v[1:4]
.LBB105_193:
	s_or_b32 exec_lo, exec_lo, s2
	s_waitcnt lgkmcnt(0)
	s_waitcnt_vscnt null, 0x0
	s_barrier
	buffer_gl0_inv
	s_clause 0x5
	scratch_load_b128 v[2:5], off, off offset:592
	scratch_load_b128 v[6:9], off, off offset:608
	;; [unrolled: 1-line block ×6, first 2 shown]
	v_mov_b32_e32 v1, 0
	ds_load_b128 v[26:29], v1 offset:1264
	ds_load_b128 v[30:33], v1 offset:1280
	s_mov_b32 s2, exec_lo
	s_waitcnt vmcnt(5) lgkmcnt(1)
	v_mul_f64 v[34:35], v[28:29], v[4:5]
	v_mul_f64 v[4:5], v[26:27], v[4:5]
	s_waitcnt vmcnt(4) lgkmcnt(0)
	v_mul_f64 v[36:37], v[30:31], v[8:9]
	v_mul_f64 v[8:9], v[32:33], v[8:9]
	s_delay_alu instid0(VALU_DEP_4) | instskip(NEXT) | instid1(VALU_DEP_4)
	v_fma_f64 v[34:35], v[26:27], v[2:3], -v[34:35]
	v_fma_f64 v[38:39], v[28:29], v[2:3], v[4:5]
	ds_load_b128 v[2:5], v1 offset:1296
	ds_load_b128 v[26:29], v1 offset:1312
	v_fma_f64 v[32:33], v[32:33], v[6:7], v[36:37]
	v_fma_f64 v[6:7], v[30:31], v[6:7], -v[8:9]
	s_waitcnt vmcnt(3) lgkmcnt(1)
	v_mul_f64 v[40:41], v[2:3], v[12:13]
	v_mul_f64 v[12:13], v[4:5], v[12:13]
	v_add_f64 v[8:9], v[34:35], 0
	v_add_f64 v[30:31], v[38:39], 0
	s_waitcnt vmcnt(2) lgkmcnt(0)
	v_mul_f64 v[34:35], v[26:27], v[16:17]
	v_mul_f64 v[16:17], v[28:29], v[16:17]
	v_fma_f64 v[36:37], v[4:5], v[10:11], v[40:41]
	v_fma_f64 v[10:11], v[2:3], v[10:11], -v[12:13]
	ds_load_b128 v[2:5], v1 offset:1328
	v_add_f64 v[6:7], v[8:9], v[6:7]
	v_add_f64 v[8:9], v[30:31], v[32:33]
	v_fma_f64 v[28:29], v[28:29], v[14:15], v[34:35]
	v_fma_f64 v[14:15], v[26:27], v[14:15], -v[16:17]
	s_waitcnt vmcnt(1) lgkmcnt(0)
	v_mul_f64 v[12:13], v[2:3], v[20:21]
	v_mul_f64 v[20:21], v[4:5], v[20:21]
	v_add_f64 v[6:7], v[6:7], v[10:11]
	v_add_f64 v[8:9], v[8:9], v[36:37]
	s_delay_alu instid0(VALU_DEP_4) | instskip(NEXT) | instid1(VALU_DEP_4)
	v_fma_f64 v[4:5], v[4:5], v[18:19], v[12:13]
	v_fma_f64 v[2:3], v[2:3], v[18:19], -v[20:21]
	s_delay_alu instid0(VALU_DEP_4) | instskip(NEXT) | instid1(VALU_DEP_4)
	v_add_f64 v[6:7], v[6:7], v[14:15]
	v_add_f64 v[8:9], v[8:9], v[28:29]
	s_delay_alu instid0(VALU_DEP_2) | instskip(NEXT) | instid1(VALU_DEP_2)
	v_add_f64 v[2:3], v[6:7], v[2:3]
	v_add_f64 v[4:5], v[8:9], v[4:5]
	s_waitcnt vmcnt(0)
	s_delay_alu instid0(VALU_DEP_2) | instskip(NEXT) | instid1(VALU_DEP_2)
	v_add_f64 v[2:3], v[22:23], -v[2:3]
	v_add_f64 v[4:5], v[24:25], -v[4:5]
	scratch_store_b128 off, v[2:5], off offset:576
	v_cmpx_lt_u32_e32 35, v126
	s_cbranch_execz .LBB105_195
; %bb.194:
	scratch_load_b128 v[5:8], v140, off
	v_mov_b32_e32 v2, v1
	v_mov_b32_e32 v3, v1
	;; [unrolled: 1-line block ×3, first 2 shown]
	scratch_store_b128 off, v[1:4], off offset:560
	s_waitcnt vmcnt(0)
	ds_store_b128 v168, v[5:8]
.LBB105_195:
	s_or_b32 exec_lo, exec_lo, s2
	s_waitcnt lgkmcnt(0)
	s_waitcnt_vscnt null, 0x0
	s_barrier
	buffer_gl0_inv
	s_clause 0x5
	scratch_load_b128 v[2:5], off, off offset:576
	scratch_load_b128 v[6:9], off, off offset:592
	;; [unrolled: 1-line block ×6, first 2 shown]
	ds_load_b128 v[26:29], v1 offset:1248
	ds_load_b128 v[34:37], v1 offset:1264
	scratch_load_b128 v[30:33], off, off offset:560
	s_mov_b32 s2, exec_lo
	s_waitcnt vmcnt(6) lgkmcnt(1)
	v_mul_f64 v[38:39], v[28:29], v[4:5]
	v_mul_f64 v[4:5], v[26:27], v[4:5]
	s_waitcnt vmcnt(5) lgkmcnt(0)
	v_mul_f64 v[40:41], v[34:35], v[8:9]
	v_mul_f64 v[8:9], v[36:37], v[8:9]
	s_delay_alu instid0(VALU_DEP_4) | instskip(NEXT) | instid1(VALU_DEP_4)
	v_fma_f64 v[38:39], v[26:27], v[2:3], -v[38:39]
	v_fma_f64 v[169:170], v[28:29], v[2:3], v[4:5]
	ds_load_b128 v[2:5], v1 offset:1280
	ds_load_b128 v[26:29], v1 offset:1296
	v_fma_f64 v[36:37], v[36:37], v[6:7], v[40:41]
	v_fma_f64 v[6:7], v[34:35], v[6:7], -v[8:9]
	s_waitcnt vmcnt(4) lgkmcnt(1)
	v_mul_f64 v[171:172], v[2:3], v[12:13]
	v_mul_f64 v[12:13], v[4:5], v[12:13]
	v_add_f64 v[8:9], v[38:39], 0
	v_add_f64 v[34:35], v[169:170], 0
	s_waitcnt vmcnt(3) lgkmcnt(0)
	v_mul_f64 v[38:39], v[26:27], v[16:17]
	v_mul_f64 v[16:17], v[28:29], v[16:17]
	v_fma_f64 v[40:41], v[4:5], v[10:11], v[171:172]
	v_fma_f64 v[10:11], v[2:3], v[10:11], -v[12:13]
	v_add_f64 v[12:13], v[8:9], v[6:7]
	v_add_f64 v[34:35], v[34:35], v[36:37]
	ds_load_b128 v[2:5], v1 offset:1312
	ds_load_b128 v[6:9], v1 offset:1328
	v_fma_f64 v[28:29], v[28:29], v[14:15], v[38:39]
	v_fma_f64 v[14:15], v[26:27], v[14:15], -v[16:17]
	s_waitcnt vmcnt(2) lgkmcnt(1)
	v_mul_f64 v[36:37], v[2:3], v[20:21]
	v_mul_f64 v[20:21], v[4:5], v[20:21]
	s_waitcnt vmcnt(1) lgkmcnt(0)
	v_mul_f64 v[16:17], v[6:7], v[24:25]
	v_mul_f64 v[24:25], v[8:9], v[24:25]
	v_add_f64 v[10:11], v[12:13], v[10:11]
	v_add_f64 v[12:13], v[34:35], v[40:41]
	v_fma_f64 v[4:5], v[4:5], v[18:19], v[36:37]
	v_fma_f64 v[1:2], v[2:3], v[18:19], -v[20:21]
	v_fma_f64 v[8:9], v[8:9], v[22:23], v[16:17]
	v_fma_f64 v[6:7], v[6:7], v[22:23], -v[24:25]
	v_add_f64 v[10:11], v[10:11], v[14:15]
	v_add_f64 v[12:13], v[12:13], v[28:29]
	s_delay_alu instid0(VALU_DEP_2) | instskip(NEXT) | instid1(VALU_DEP_2)
	v_add_f64 v[1:2], v[10:11], v[1:2]
	v_add_f64 v[3:4], v[12:13], v[4:5]
	s_delay_alu instid0(VALU_DEP_2) | instskip(NEXT) | instid1(VALU_DEP_2)
	v_add_f64 v[1:2], v[1:2], v[6:7]
	v_add_f64 v[3:4], v[3:4], v[8:9]
	s_waitcnt vmcnt(0)
	s_delay_alu instid0(VALU_DEP_2) | instskip(NEXT) | instid1(VALU_DEP_2)
	v_add_f64 v[1:2], v[30:31], -v[1:2]
	v_add_f64 v[3:4], v[32:33], -v[3:4]
	scratch_store_b128 off, v[1:4], off offset:560
	v_cmpx_lt_u32_e32 34, v126
	s_cbranch_execz .LBB105_197
; %bb.196:
	scratch_load_b128 v[1:4], v127, off
	v_mov_b32_e32 v5, 0
	s_delay_alu instid0(VALU_DEP_1)
	v_mov_b32_e32 v6, v5
	v_mov_b32_e32 v7, v5
	;; [unrolled: 1-line block ×3, first 2 shown]
	scratch_store_b128 off, v[5:8], off offset:544
	s_waitcnt vmcnt(0)
	ds_store_b128 v168, v[1:4]
.LBB105_197:
	s_or_b32 exec_lo, exec_lo, s2
	s_waitcnt lgkmcnt(0)
	s_waitcnt_vscnt null, 0x0
	s_barrier
	buffer_gl0_inv
	s_clause 0x6
	scratch_load_b128 v[2:5], off, off offset:560
	scratch_load_b128 v[6:9], off, off offset:576
	;; [unrolled: 1-line block ×7, first 2 shown]
	v_mov_b32_e32 v1, 0
	scratch_load_b128 v[34:37], off, off offset:544
	s_mov_b32 s2, exec_lo
	ds_load_b128 v[30:33], v1 offset:1232
	ds_load_b128 v[38:41], v1 offset:1248
	s_waitcnt vmcnt(7) lgkmcnt(1)
	v_mul_f64 v[169:170], v[32:33], v[4:5]
	v_mul_f64 v[4:5], v[30:31], v[4:5]
	s_waitcnt vmcnt(6) lgkmcnt(0)
	v_mul_f64 v[171:172], v[38:39], v[8:9]
	v_mul_f64 v[8:9], v[40:41], v[8:9]
	s_delay_alu instid0(VALU_DEP_4) | instskip(NEXT) | instid1(VALU_DEP_4)
	v_fma_f64 v[169:170], v[30:31], v[2:3], -v[169:170]
	v_fma_f64 v[173:174], v[32:33], v[2:3], v[4:5]
	ds_load_b128 v[2:5], v1 offset:1264
	ds_load_b128 v[30:33], v1 offset:1280
	v_fma_f64 v[40:41], v[40:41], v[6:7], v[171:172]
	v_fma_f64 v[6:7], v[38:39], v[6:7], -v[8:9]
	s_waitcnt vmcnt(5) lgkmcnt(1)
	v_mul_f64 v[175:176], v[2:3], v[12:13]
	v_mul_f64 v[12:13], v[4:5], v[12:13]
	v_add_f64 v[8:9], v[169:170], 0
	v_add_f64 v[38:39], v[173:174], 0
	s_waitcnt vmcnt(4) lgkmcnt(0)
	v_mul_f64 v[169:170], v[30:31], v[16:17]
	v_mul_f64 v[16:17], v[32:33], v[16:17]
	v_fma_f64 v[171:172], v[4:5], v[10:11], v[175:176]
	v_fma_f64 v[10:11], v[2:3], v[10:11], -v[12:13]
	v_add_f64 v[12:13], v[8:9], v[6:7]
	v_add_f64 v[38:39], v[38:39], v[40:41]
	ds_load_b128 v[2:5], v1 offset:1296
	ds_load_b128 v[6:9], v1 offset:1312
	v_fma_f64 v[32:33], v[32:33], v[14:15], v[169:170]
	v_fma_f64 v[14:15], v[30:31], v[14:15], -v[16:17]
	s_waitcnt vmcnt(3) lgkmcnt(1)
	v_mul_f64 v[40:41], v[2:3], v[20:21]
	v_mul_f64 v[20:21], v[4:5], v[20:21]
	s_waitcnt vmcnt(2) lgkmcnt(0)
	v_mul_f64 v[16:17], v[6:7], v[24:25]
	v_mul_f64 v[24:25], v[8:9], v[24:25]
	v_add_f64 v[10:11], v[12:13], v[10:11]
	v_add_f64 v[12:13], v[38:39], v[171:172]
	v_fma_f64 v[30:31], v[4:5], v[18:19], v[40:41]
	v_fma_f64 v[18:19], v[2:3], v[18:19], -v[20:21]
	ds_load_b128 v[2:5], v1 offset:1328
	v_fma_f64 v[8:9], v[8:9], v[22:23], v[16:17]
	v_fma_f64 v[6:7], v[6:7], v[22:23], -v[24:25]
	v_add_f64 v[10:11], v[10:11], v[14:15]
	v_add_f64 v[12:13], v[12:13], v[32:33]
	s_waitcnt vmcnt(1) lgkmcnt(0)
	v_mul_f64 v[14:15], v[2:3], v[28:29]
	v_mul_f64 v[20:21], v[4:5], v[28:29]
	s_delay_alu instid0(VALU_DEP_4) | instskip(NEXT) | instid1(VALU_DEP_4)
	v_add_f64 v[10:11], v[10:11], v[18:19]
	v_add_f64 v[12:13], v[12:13], v[30:31]
	s_delay_alu instid0(VALU_DEP_4) | instskip(NEXT) | instid1(VALU_DEP_4)
	v_fma_f64 v[4:5], v[4:5], v[26:27], v[14:15]
	v_fma_f64 v[2:3], v[2:3], v[26:27], -v[20:21]
	s_delay_alu instid0(VALU_DEP_4) | instskip(NEXT) | instid1(VALU_DEP_4)
	v_add_f64 v[6:7], v[10:11], v[6:7]
	v_add_f64 v[8:9], v[12:13], v[8:9]
	s_delay_alu instid0(VALU_DEP_2) | instskip(NEXT) | instid1(VALU_DEP_2)
	v_add_f64 v[2:3], v[6:7], v[2:3]
	v_add_f64 v[4:5], v[8:9], v[4:5]
	s_waitcnt vmcnt(0)
	s_delay_alu instid0(VALU_DEP_2) | instskip(NEXT) | instid1(VALU_DEP_2)
	v_add_f64 v[2:3], v[34:35], -v[2:3]
	v_add_f64 v[4:5], v[36:37], -v[4:5]
	scratch_store_b128 off, v[2:5], off offset:544
	v_cmpx_lt_u32_e32 33, v126
	s_cbranch_execz .LBB105_199
; %bb.198:
	scratch_load_b128 v[5:8], v128, off
	v_mov_b32_e32 v2, v1
	v_mov_b32_e32 v3, v1
	;; [unrolled: 1-line block ×3, first 2 shown]
	scratch_store_b128 off, v[1:4], off offset:528
	s_waitcnt vmcnt(0)
	ds_store_b128 v168, v[5:8]
.LBB105_199:
	s_or_b32 exec_lo, exec_lo, s2
	s_waitcnt lgkmcnt(0)
	s_waitcnt_vscnt null, 0x0
	s_barrier
	buffer_gl0_inv
	s_clause 0x7
	scratch_load_b128 v[2:5], off, off offset:544
	scratch_load_b128 v[6:9], off, off offset:560
	;; [unrolled: 1-line block ×8, first 2 shown]
	ds_load_b128 v[34:37], v1 offset:1216
	ds_load_b128 v[38:41], v1 offset:1232
	scratch_load_b128 v[169:172], off, off offset:528
	s_mov_b32 s2, exec_lo
	s_waitcnt vmcnt(8) lgkmcnt(1)
	v_mul_f64 v[173:174], v[36:37], v[4:5]
	v_mul_f64 v[4:5], v[34:35], v[4:5]
	s_waitcnt vmcnt(7) lgkmcnt(0)
	v_mul_f64 v[175:176], v[38:39], v[8:9]
	v_mul_f64 v[8:9], v[40:41], v[8:9]
	s_delay_alu instid0(VALU_DEP_4) | instskip(NEXT) | instid1(VALU_DEP_4)
	v_fma_f64 v[173:174], v[34:35], v[2:3], -v[173:174]
	v_fma_f64 v[177:178], v[36:37], v[2:3], v[4:5]
	ds_load_b128 v[2:5], v1 offset:1248
	ds_load_b128 v[34:37], v1 offset:1264
	v_fma_f64 v[40:41], v[40:41], v[6:7], v[175:176]
	v_fma_f64 v[6:7], v[38:39], v[6:7], -v[8:9]
	s_waitcnt vmcnt(6) lgkmcnt(1)
	v_mul_f64 v[179:180], v[2:3], v[12:13]
	v_mul_f64 v[12:13], v[4:5], v[12:13]
	v_add_f64 v[8:9], v[173:174], 0
	v_add_f64 v[38:39], v[177:178], 0
	s_waitcnt vmcnt(5) lgkmcnt(0)
	v_mul_f64 v[173:174], v[34:35], v[16:17]
	v_mul_f64 v[16:17], v[36:37], v[16:17]
	v_fma_f64 v[175:176], v[4:5], v[10:11], v[179:180]
	v_fma_f64 v[10:11], v[2:3], v[10:11], -v[12:13]
	v_add_f64 v[12:13], v[8:9], v[6:7]
	v_add_f64 v[38:39], v[38:39], v[40:41]
	ds_load_b128 v[2:5], v1 offset:1280
	ds_load_b128 v[6:9], v1 offset:1296
	v_fma_f64 v[36:37], v[36:37], v[14:15], v[173:174]
	v_fma_f64 v[14:15], v[34:35], v[14:15], -v[16:17]
	s_waitcnt vmcnt(4) lgkmcnt(1)
	v_mul_f64 v[40:41], v[2:3], v[20:21]
	v_mul_f64 v[20:21], v[4:5], v[20:21]
	s_waitcnt vmcnt(3) lgkmcnt(0)
	v_mul_f64 v[16:17], v[6:7], v[24:25]
	v_mul_f64 v[24:25], v[8:9], v[24:25]
	v_add_f64 v[10:11], v[12:13], v[10:11]
	v_add_f64 v[12:13], v[38:39], v[175:176]
	v_fma_f64 v[34:35], v[4:5], v[18:19], v[40:41]
	v_fma_f64 v[18:19], v[2:3], v[18:19], -v[20:21]
	v_fma_f64 v[8:9], v[8:9], v[22:23], v[16:17]
	v_fma_f64 v[6:7], v[6:7], v[22:23], -v[24:25]
	v_add_f64 v[14:15], v[10:11], v[14:15]
	v_add_f64 v[20:21], v[12:13], v[36:37]
	ds_load_b128 v[2:5], v1 offset:1312
	ds_load_b128 v[10:13], v1 offset:1328
	s_waitcnt vmcnt(2) lgkmcnt(1)
	v_mul_f64 v[36:37], v[2:3], v[28:29]
	v_mul_f64 v[28:29], v[4:5], v[28:29]
	v_add_f64 v[14:15], v[14:15], v[18:19]
	v_add_f64 v[16:17], v[20:21], v[34:35]
	s_waitcnt vmcnt(1) lgkmcnt(0)
	v_mul_f64 v[18:19], v[10:11], v[32:33]
	v_mul_f64 v[20:21], v[12:13], v[32:33]
	v_fma_f64 v[4:5], v[4:5], v[26:27], v[36:37]
	v_fma_f64 v[1:2], v[2:3], v[26:27], -v[28:29]
	v_add_f64 v[6:7], v[14:15], v[6:7]
	v_add_f64 v[8:9], v[16:17], v[8:9]
	v_fma_f64 v[12:13], v[12:13], v[30:31], v[18:19]
	v_fma_f64 v[10:11], v[10:11], v[30:31], -v[20:21]
	s_delay_alu instid0(VALU_DEP_4) | instskip(NEXT) | instid1(VALU_DEP_4)
	v_add_f64 v[1:2], v[6:7], v[1:2]
	v_add_f64 v[3:4], v[8:9], v[4:5]
	s_delay_alu instid0(VALU_DEP_2) | instskip(NEXT) | instid1(VALU_DEP_2)
	v_add_f64 v[1:2], v[1:2], v[10:11]
	v_add_f64 v[3:4], v[3:4], v[12:13]
	s_waitcnt vmcnt(0)
	s_delay_alu instid0(VALU_DEP_2) | instskip(NEXT) | instid1(VALU_DEP_2)
	v_add_f64 v[1:2], v[169:170], -v[1:2]
	v_add_f64 v[3:4], v[171:172], -v[3:4]
	scratch_store_b128 off, v[1:4], off offset:528
	v_cmpx_lt_u32_e32 32, v126
	s_cbranch_execz .LBB105_201
; %bb.200:
	scratch_load_b128 v[1:4], v129, off
	v_mov_b32_e32 v5, 0
	s_delay_alu instid0(VALU_DEP_1)
	v_mov_b32_e32 v6, v5
	v_mov_b32_e32 v7, v5
	;; [unrolled: 1-line block ×3, first 2 shown]
	scratch_store_b128 off, v[5:8], off offset:512
	s_waitcnt vmcnt(0)
	ds_store_b128 v168, v[1:4]
.LBB105_201:
	s_or_b32 exec_lo, exec_lo, s2
	s_waitcnt lgkmcnt(0)
	s_waitcnt_vscnt null, 0x0
	s_barrier
	buffer_gl0_inv
	s_clause 0x7
	scratch_load_b128 v[2:5], off, off offset:528
	scratch_load_b128 v[6:9], off, off offset:544
	scratch_load_b128 v[10:13], off, off offset:560
	scratch_load_b128 v[14:17], off, off offset:576
	scratch_load_b128 v[18:21], off, off offset:592
	scratch_load_b128 v[22:25], off, off offset:608
	scratch_load_b128 v[26:29], off, off offset:624
	scratch_load_b128 v[30:33], off, off offset:640
	v_mov_b32_e32 v1, 0
	s_mov_b32 s2, exec_lo
	ds_load_b128 v[34:37], v1 offset:1200
	s_clause 0x1
	scratch_load_b128 v[38:41], off, off offset:656
	scratch_load_b128 v[169:172], off, off offset:512
	ds_load_b128 v[173:176], v1 offset:1216
	s_waitcnt vmcnt(9) lgkmcnt(1)
	v_mul_f64 v[177:178], v[36:37], v[4:5]
	v_mul_f64 v[4:5], v[34:35], v[4:5]
	s_waitcnt vmcnt(8) lgkmcnt(0)
	v_mul_f64 v[179:180], v[173:174], v[8:9]
	v_mul_f64 v[8:9], v[175:176], v[8:9]
	s_delay_alu instid0(VALU_DEP_4) | instskip(NEXT) | instid1(VALU_DEP_4)
	v_fma_f64 v[177:178], v[34:35], v[2:3], -v[177:178]
	v_fma_f64 v[181:182], v[36:37], v[2:3], v[4:5]
	ds_load_b128 v[2:5], v1 offset:1232
	ds_load_b128 v[34:37], v1 offset:1248
	v_fma_f64 v[175:176], v[175:176], v[6:7], v[179:180]
	v_fma_f64 v[6:7], v[173:174], v[6:7], -v[8:9]
	s_waitcnt vmcnt(7) lgkmcnt(1)
	v_mul_f64 v[183:184], v[2:3], v[12:13]
	v_mul_f64 v[12:13], v[4:5], v[12:13]
	v_add_f64 v[8:9], v[177:178], 0
	v_add_f64 v[173:174], v[181:182], 0
	s_waitcnt vmcnt(6) lgkmcnt(0)
	v_mul_f64 v[177:178], v[34:35], v[16:17]
	v_mul_f64 v[16:17], v[36:37], v[16:17]
	v_fma_f64 v[179:180], v[4:5], v[10:11], v[183:184]
	v_fma_f64 v[10:11], v[2:3], v[10:11], -v[12:13]
	v_add_f64 v[12:13], v[8:9], v[6:7]
	v_add_f64 v[173:174], v[173:174], v[175:176]
	ds_load_b128 v[2:5], v1 offset:1264
	ds_load_b128 v[6:9], v1 offset:1280
	v_fma_f64 v[36:37], v[36:37], v[14:15], v[177:178]
	v_fma_f64 v[14:15], v[34:35], v[14:15], -v[16:17]
	s_waitcnt vmcnt(5) lgkmcnt(1)
	v_mul_f64 v[175:176], v[2:3], v[20:21]
	v_mul_f64 v[20:21], v[4:5], v[20:21]
	s_waitcnt vmcnt(4) lgkmcnt(0)
	v_mul_f64 v[16:17], v[6:7], v[24:25]
	v_mul_f64 v[24:25], v[8:9], v[24:25]
	v_add_f64 v[10:11], v[12:13], v[10:11]
	v_add_f64 v[12:13], v[173:174], v[179:180]
	v_fma_f64 v[34:35], v[4:5], v[18:19], v[175:176]
	v_fma_f64 v[18:19], v[2:3], v[18:19], -v[20:21]
	v_fma_f64 v[8:9], v[8:9], v[22:23], v[16:17]
	v_fma_f64 v[6:7], v[6:7], v[22:23], -v[24:25]
	v_add_f64 v[14:15], v[10:11], v[14:15]
	v_add_f64 v[20:21], v[12:13], v[36:37]
	ds_load_b128 v[2:5], v1 offset:1296
	ds_load_b128 v[10:13], v1 offset:1312
	s_waitcnt vmcnt(3) lgkmcnt(1)
	v_mul_f64 v[36:37], v[2:3], v[28:29]
	v_mul_f64 v[28:29], v[4:5], v[28:29]
	v_add_f64 v[14:15], v[14:15], v[18:19]
	v_add_f64 v[16:17], v[20:21], v[34:35]
	s_waitcnt vmcnt(2) lgkmcnt(0)
	v_mul_f64 v[18:19], v[10:11], v[32:33]
	v_mul_f64 v[20:21], v[12:13], v[32:33]
	v_fma_f64 v[22:23], v[4:5], v[26:27], v[36:37]
	v_fma_f64 v[24:25], v[2:3], v[26:27], -v[28:29]
	ds_load_b128 v[2:5], v1 offset:1328
	v_add_f64 v[6:7], v[14:15], v[6:7]
	v_add_f64 v[8:9], v[16:17], v[8:9]
	v_fma_f64 v[12:13], v[12:13], v[30:31], v[18:19]
	v_fma_f64 v[10:11], v[10:11], v[30:31], -v[20:21]
	s_waitcnt vmcnt(1) lgkmcnt(0)
	v_mul_f64 v[14:15], v[2:3], v[40:41]
	v_mul_f64 v[16:17], v[4:5], v[40:41]
	v_add_f64 v[6:7], v[6:7], v[24:25]
	v_add_f64 v[8:9], v[8:9], v[22:23]
	s_delay_alu instid0(VALU_DEP_4) | instskip(NEXT) | instid1(VALU_DEP_4)
	v_fma_f64 v[4:5], v[4:5], v[38:39], v[14:15]
	v_fma_f64 v[2:3], v[2:3], v[38:39], -v[16:17]
	s_delay_alu instid0(VALU_DEP_4) | instskip(NEXT) | instid1(VALU_DEP_4)
	v_add_f64 v[6:7], v[6:7], v[10:11]
	v_add_f64 v[8:9], v[8:9], v[12:13]
	s_delay_alu instid0(VALU_DEP_2) | instskip(NEXT) | instid1(VALU_DEP_2)
	v_add_f64 v[2:3], v[6:7], v[2:3]
	v_add_f64 v[4:5], v[8:9], v[4:5]
	s_waitcnt vmcnt(0)
	s_delay_alu instid0(VALU_DEP_2) | instskip(NEXT) | instid1(VALU_DEP_2)
	v_add_f64 v[2:3], v[169:170], -v[2:3]
	v_add_f64 v[4:5], v[171:172], -v[4:5]
	scratch_store_b128 off, v[2:5], off offset:512
	v_cmpx_lt_u32_e32 31, v126
	s_cbranch_execz .LBB105_203
; %bb.202:
	scratch_load_b128 v[5:8], v131, off
	v_mov_b32_e32 v2, v1
	v_mov_b32_e32 v3, v1
	;; [unrolled: 1-line block ×3, first 2 shown]
	scratch_store_b128 off, v[1:4], off offset:496
	s_waitcnt vmcnt(0)
	ds_store_b128 v168, v[5:8]
.LBB105_203:
	s_or_b32 exec_lo, exec_lo, s2
	s_waitcnt lgkmcnt(0)
	s_waitcnt_vscnt null, 0x0
	s_barrier
	buffer_gl0_inv
	s_clause 0x8
	scratch_load_b128 v[2:5], off, off offset:512
	scratch_load_b128 v[6:9], off, off offset:528
	;; [unrolled: 1-line block ×9, first 2 shown]
	ds_load_b128 v[38:41], v1 offset:1184
	ds_load_b128 v[169:172], v1 offset:1200
	s_clause 0x1
	scratch_load_b128 v[173:176], off, off offset:496
	scratch_load_b128 v[177:180], off, off offset:656
	s_mov_b32 s2, exec_lo
	s_waitcnt vmcnt(10) lgkmcnt(1)
	v_mul_f64 v[181:182], v[40:41], v[4:5]
	v_mul_f64 v[4:5], v[38:39], v[4:5]
	s_waitcnt vmcnt(9) lgkmcnt(0)
	v_mul_f64 v[183:184], v[169:170], v[8:9]
	v_mul_f64 v[8:9], v[171:172], v[8:9]
	s_delay_alu instid0(VALU_DEP_4) | instskip(NEXT) | instid1(VALU_DEP_4)
	v_fma_f64 v[181:182], v[38:39], v[2:3], -v[181:182]
	v_fma_f64 v[185:186], v[40:41], v[2:3], v[4:5]
	ds_load_b128 v[2:5], v1 offset:1216
	ds_load_b128 v[38:41], v1 offset:1232
	v_fma_f64 v[171:172], v[171:172], v[6:7], v[183:184]
	v_fma_f64 v[6:7], v[169:170], v[6:7], -v[8:9]
	s_waitcnt vmcnt(8) lgkmcnt(1)
	v_mul_f64 v[187:188], v[2:3], v[12:13]
	v_mul_f64 v[12:13], v[4:5], v[12:13]
	v_add_f64 v[8:9], v[181:182], 0
	v_add_f64 v[169:170], v[185:186], 0
	s_waitcnt vmcnt(7) lgkmcnt(0)
	v_mul_f64 v[181:182], v[38:39], v[16:17]
	v_mul_f64 v[16:17], v[40:41], v[16:17]
	v_fma_f64 v[183:184], v[4:5], v[10:11], v[187:188]
	v_fma_f64 v[10:11], v[2:3], v[10:11], -v[12:13]
	v_add_f64 v[12:13], v[8:9], v[6:7]
	v_add_f64 v[169:170], v[169:170], v[171:172]
	ds_load_b128 v[2:5], v1 offset:1248
	ds_load_b128 v[6:9], v1 offset:1264
	v_fma_f64 v[40:41], v[40:41], v[14:15], v[181:182]
	v_fma_f64 v[14:15], v[38:39], v[14:15], -v[16:17]
	s_waitcnt vmcnt(6) lgkmcnt(1)
	v_mul_f64 v[171:172], v[2:3], v[20:21]
	v_mul_f64 v[20:21], v[4:5], v[20:21]
	s_waitcnt vmcnt(5) lgkmcnt(0)
	v_mul_f64 v[16:17], v[6:7], v[24:25]
	v_mul_f64 v[24:25], v[8:9], v[24:25]
	v_add_f64 v[10:11], v[12:13], v[10:11]
	v_add_f64 v[12:13], v[169:170], v[183:184]
	v_fma_f64 v[38:39], v[4:5], v[18:19], v[171:172]
	v_fma_f64 v[18:19], v[2:3], v[18:19], -v[20:21]
	v_fma_f64 v[8:9], v[8:9], v[22:23], v[16:17]
	v_fma_f64 v[6:7], v[6:7], v[22:23], -v[24:25]
	v_add_f64 v[14:15], v[10:11], v[14:15]
	v_add_f64 v[20:21], v[12:13], v[40:41]
	ds_load_b128 v[2:5], v1 offset:1280
	ds_load_b128 v[10:13], v1 offset:1296
	s_waitcnt vmcnt(4) lgkmcnt(1)
	v_mul_f64 v[40:41], v[2:3], v[28:29]
	v_mul_f64 v[28:29], v[4:5], v[28:29]
	v_add_f64 v[14:15], v[14:15], v[18:19]
	v_add_f64 v[16:17], v[20:21], v[38:39]
	s_waitcnt vmcnt(3) lgkmcnt(0)
	v_mul_f64 v[18:19], v[10:11], v[32:33]
	v_mul_f64 v[20:21], v[12:13], v[32:33]
	v_fma_f64 v[22:23], v[4:5], v[26:27], v[40:41]
	v_fma_f64 v[24:25], v[2:3], v[26:27], -v[28:29]
	v_add_f64 v[14:15], v[14:15], v[6:7]
	v_add_f64 v[16:17], v[16:17], v[8:9]
	ds_load_b128 v[2:5], v1 offset:1312
	ds_load_b128 v[6:9], v1 offset:1328
	v_fma_f64 v[12:13], v[12:13], v[30:31], v[18:19]
	v_fma_f64 v[10:11], v[10:11], v[30:31], -v[20:21]
	s_waitcnt vmcnt(2) lgkmcnt(1)
	v_mul_f64 v[26:27], v[2:3], v[36:37]
	v_mul_f64 v[28:29], v[4:5], v[36:37]
	s_waitcnt vmcnt(0) lgkmcnt(0)
	v_mul_f64 v[18:19], v[6:7], v[179:180]
	v_mul_f64 v[20:21], v[8:9], v[179:180]
	v_add_f64 v[14:15], v[14:15], v[24:25]
	v_add_f64 v[16:17], v[16:17], v[22:23]
	v_fma_f64 v[4:5], v[4:5], v[34:35], v[26:27]
	v_fma_f64 v[1:2], v[2:3], v[34:35], -v[28:29]
	v_fma_f64 v[8:9], v[8:9], v[177:178], v[18:19]
	v_fma_f64 v[6:7], v[6:7], v[177:178], -v[20:21]
	v_add_f64 v[10:11], v[14:15], v[10:11]
	v_add_f64 v[12:13], v[16:17], v[12:13]
	s_delay_alu instid0(VALU_DEP_2) | instskip(NEXT) | instid1(VALU_DEP_2)
	v_add_f64 v[1:2], v[10:11], v[1:2]
	v_add_f64 v[3:4], v[12:13], v[4:5]
	s_delay_alu instid0(VALU_DEP_2) | instskip(NEXT) | instid1(VALU_DEP_2)
	;; [unrolled: 3-line block ×3, first 2 shown]
	v_add_f64 v[1:2], v[173:174], -v[1:2]
	v_add_f64 v[3:4], v[175:176], -v[3:4]
	scratch_store_b128 off, v[1:4], off offset:496
	v_cmpx_lt_u32_e32 30, v126
	s_cbranch_execz .LBB105_205
; %bb.204:
	scratch_load_b128 v[1:4], v130, off
	v_mov_b32_e32 v5, 0
	s_delay_alu instid0(VALU_DEP_1)
	v_mov_b32_e32 v6, v5
	v_mov_b32_e32 v7, v5
	;; [unrolled: 1-line block ×3, first 2 shown]
	scratch_store_b128 off, v[5:8], off offset:480
	s_waitcnt vmcnt(0)
	ds_store_b128 v168, v[1:4]
.LBB105_205:
	s_or_b32 exec_lo, exec_lo, s2
	s_waitcnt lgkmcnt(0)
	s_waitcnt_vscnt null, 0x0
	s_barrier
	buffer_gl0_inv
	s_clause 0x7
	scratch_load_b128 v[2:5], off, off offset:496
	scratch_load_b128 v[6:9], off, off offset:512
	;; [unrolled: 1-line block ×8, first 2 shown]
	v_mov_b32_e32 v1, 0
	s_clause 0x1
	scratch_load_b128 v[38:41], off, off offset:624
	scratch_load_b128 v[173:176], off, off offset:640
	s_mov_b32 s2, exec_lo
	ds_load_b128 v[34:37], v1 offset:1168
	ds_load_b128 v[169:172], v1 offset:1184
	s_waitcnt vmcnt(9) lgkmcnt(1)
	v_mul_f64 v[177:178], v[36:37], v[4:5]
	v_mul_f64 v[4:5], v[34:35], v[4:5]
	s_waitcnt vmcnt(8) lgkmcnt(0)
	v_mul_f64 v[179:180], v[169:170], v[8:9]
	v_mul_f64 v[8:9], v[171:172], v[8:9]
	s_delay_alu instid0(VALU_DEP_4) | instskip(NEXT) | instid1(VALU_DEP_4)
	v_fma_f64 v[177:178], v[34:35], v[2:3], -v[177:178]
	v_fma_f64 v[181:182], v[36:37], v[2:3], v[4:5]
	ds_load_b128 v[2:5], v1 offset:1200
	scratch_load_b128 v[34:37], off, off offset:656
	v_fma_f64 v[171:172], v[171:172], v[6:7], v[179:180]
	v_fma_f64 v[169:170], v[169:170], v[6:7], -v[8:9]
	ds_load_b128 v[6:9], v1 offset:1216
	s_waitcnt vmcnt(8) lgkmcnt(1)
	v_mul_f64 v[183:184], v[2:3], v[12:13]
	v_mul_f64 v[12:13], v[4:5], v[12:13]
	v_add_f64 v[177:178], v[177:178], 0
	v_add_f64 v[179:180], v[181:182], 0
	s_waitcnt vmcnt(7) lgkmcnt(0)
	v_mul_f64 v[181:182], v[6:7], v[16:17]
	v_mul_f64 v[16:17], v[8:9], v[16:17]
	v_fma_f64 v[183:184], v[4:5], v[10:11], v[183:184]
	v_fma_f64 v[10:11], v[2:3], v[10:11], -v[12:13]
	ds_load_b128 v[2:5], v1 offset:1232
	v_add_f64 v[12:13], v[177:178], v[169:170]
	v_add_f64 v[169:170], v[179:180], v[171:172]
	v_fma_f64 v[177:178], v[8:9], v[14:15], v[181:182]
	v_fma_f64 v[14:15], v[6:7], v[14:15], -v[16:17]
	ds_load_b128 v[6:9], v1 offset:1248
	s_waitcnt vmcnt(6) lgkmcnt(1)
	v_mul_f64 v[171:172], v[2:3], v[20:21]
	v_mul_f64 v[20:21], v[4:5], v[20:21]
	s_waitcnt vmcnt(5) lgkmcnt(0)
	v_mul_f64 v[179:180], v[6:7], v[24:25]
	v_mul_f64 v[24:25], v[8:9], v[24:25]
	v_add_f64 v[16:17], v[12:13], v[10:11]
	v_add_f64 v[169:170], v[169:170], v[183:184]
	scratch_load_b128 v[10:13], off, off offset:480
	v_fma_f64 v[171:172], v[4:5], v[18:19], v[171:172]
	v_fma_f64 v[18:19], v[2:3], v[18:19], -v[20:21]
	ds_load_b128 v[2:5], v1 offset:1264
	v_add_f64 v[14:15], v[16:17], v[14:15]
	v_add_f64 v[16:17], v[169:170], v[177:178]
	v_fma_f64 v[169:170], v[8:9], v[22:23], v[179:180]
	v_fma_f64 v[22:23], v[6:7], v[22:23], -v[24:25]
	ds_load_b128 v[6:9], v1 offset:1280
	s_waitcnt vmcnt(5) lgkmcnt(1)
	v_mul_f64 v[20:21], v[2:3], v[28:29]
	v_mul_f64 v[28:29], v[4:5], v[28:29]
	s_waitcnt vmcnt(4) lgkmcnt(0)
	v_mul_f64 v[24:25], v[8:9], v[32:33]
	v_add_f64 v[14:15], v[14:15], v[18:19]
	v_add_f64 v[16:17], v[16:17], v[171:172]
	v_mul_f64 v[18:19], v[6:7], v[32:33]
	v_fma_f64 v[20:21], v[4:5], v[26:27], v[20:21]
	v_fma_f64 v[26:27], v[2:3], v[26:27], -v[28:29]
	ds_load_b128 v[2:5], v1 offset:1296
	v_fma_f64 v[24:25], v[6:7], v[30:31], -v[24:25]
	v_add_f64 v[14:15], v[14:15], v[22:23]
	v_add_f64 v[16:17], v[16:17], v[169:170]
	v_fma_f64 v[18:19], v[8:9], v[30:31], v[18:19]
	ds_load_b128 v[6:9], v1 offset:1312
	s_waitcnt vmcnt(3) lgkmcnt(1)
	v_mul_f64 v[22:23], v[2:3], v[40:41]
	v_mul_f64 v[28:29], v[4:5], v[40:41]
	v_add_f64 v[14:15], v[14:15], v[26:27]
	v_add_f64 v[16:17], v[16:17], v[20:21]
	s_waitcnt vmcnt(2) lgkmcnt(0)
	v_mul_f64 v[20:21], v[6:7], v[175:176]
	v_mul_f64 v[26:27], v[8:9], v[175:176]
	v_fma_f64 v[22:23], v[4:5], v[38:39], v[22:23]
	v_fma_f64 v[28:29], v[2:3], v[38:39], -v[28:29]
	ds_load_b128 v[2:5], v1 offset:1328
	v_add_f64 v[14:15], v[14:15], v[24:25]
	v_add_f64 v[16:17], v[16:17], v[18:19]
	v_fma_f64 v[8:9], v[8:9], v[173:174], v[20:21]
	v_fma_f64 v[6:7], v[6:7], v[173:174], -v[26:27]
	s_waitcnt vmcnt(1) lgkmcnt(0)
	v_mul_f64 v[18:19], v[2:3], v[36:37]
	v_mul_f64 v[24:25], v[4:5], v[36:37]
	v_add_f64 v[14:15], v[14:15], v[28:29]
	v_add_f64 v[16:17], v[16:17], v[22:23]
	s_delay_alu instid0(VALU_DEP_4) | instskip(NEXT) | instid1(VALU_DEP_4)
	v_fma_f64 v[4:5], v[4:5], v[34:35], v[18:19]
	v_fma_f64 v[2:3], v[2:3], v[34:35], -v[24:25]
	s_delay_alu instid0(VALU_DEP_4) | instskip(NEXT) | instid1(VALU_DEP_4)
	v_add_f64 v[6:7], v[14:15], v[6:7]
	v_add_f64 v[8:9], v[16:17], v[8:9]
	s_delay_alu instid0(VALU_DEP_2) | instskip(NEXT) | instid1(VALU_DEP_2)
	v_add_f64 v[2:3], v[6:7], v[2:3]
	v_add_f64 v[4:5], v[8:9], v[4:5]
	s_waitcnt vmcnt(0)
	s_delay_alu instid0(VALU_DEP_2) | instskip(NEXT) | instid1(VALU_DEP_2)
	v_add_f64 v[2:3], v[10:11], -v[2:3]
	v_add_f64 v[4:5], v[12:13], -v[4:5]
	scratch_store_b128 off, v[2:5], off offset:480
	v_cmpx_lt_u32_e32 29, v126
	s_cbranch_execz .LBB105_207
; %bb.206:
	scratch_load_b128 v[5:8], v138, off
	v_mov_b32_e32 v2, v1
	v_mov_b32_e32 v3, v1
	;; [unrolled: 1-line block ×3, first 2 shown]
	scratch_store_b128 off, v[1:4], off offset:464
	s_waitcnt vmcnt(0)
	ds_store_b128 v168, v[5:8]
.LBB105_207:
	s_or_b32 exec_lo, exec_lo, s2
	s_waitcnt lgkmcnt(0)
	s_waitcnt_vscnt null, 0x0
	s_barrier
	buffer_gl0_inv
	s_clause 0x7
	scratch_load_b128 v[2:5], off, off offset:480
	scratch_load_b128 v[6:9], off, off offset:496
	;; [unrolled: 1-line block ×8, first 2 shown]
	ds_load_b128 v[34:37], v1 offset:1152
	ds_load_b128 v[169:172], v1 offset:1168
	s_clause 0x1
	scratch_load_b128 v[38:41], off, off offset:608
	scratch_load_b128 v[173:176], off, off offset:624
	s_mov_b32 s2, exec_lo
	s_waitcnt vmcnt(9) lgkmcnt(1)
	v_mul_f64 v[177:178], v[36:37], v[4:5]
	v_mul_f64 v[4:5], v[34:35], v[4:5]
	s_waitcnt vmcnt(8) lgkmcnt(0)
	v_mul_f64 v[179:180], v[169:170], v[8:9]
	v_mul_f64 v[8:9], v[171:172], v[8:9]
	s_delay_alu instid0(VALU_DEP_4) | instskip(NEXT) | instid1(VALU_DEP_4)
	v_fma_f64 v[177:178], v[34:35], v[2:3], -v[177:178]
	v_fma_f64 v[181:182], v[36:37], v[2:3], v[4:5]
	scratch_load_b128 v[34:37], off, off offset:640
	ds_load_b128 v[2:5], v1 offset:1184
	v_fma_f64 v[179:180], v[171:172], v[6:7], v[179:180]
	v_fma_f64 v[185:186], v[169:170], v[6:7], -v[8:9]
	ds_load_b128 v[6:9], v1 offset:1200
	scratch_load_b128 v[169:172], off, off offset:656
	s_waitcnt vmcnt(9) lgkmcnt(1)
	v_mul_f64 v[183:184], v[2:3], v[12:13]
	v_mul_f64 v[12:13], v[4:5], v[12:13]
	s_waitcnt vmcnt(8) lgkmcnt(0)
	v_mul_f64 v[187:188], v[6:7], v[16:17]
	v_mul_f64 v[16:17], v[8:9], v[16:17]
	v_add_f64 v[177:178], v[177:178], 0
	v_add_f64 v[181:182], v[181:182], 0
	v_fma_f64 v[183:184], v[4:5], v[10:11], v[183:184]
	v_fma_f64 v[10:11], v[2:3], v[10:11], -v[12:13]
	ds_load_b128 v[2:5], v1 offset:1216
	v_add_f64 v[12:13], v[177:178], v[185:186]
	v_add_f64 v[177:178], v[181:182], v[179:180]
	v_fma_f64 v[181:182], v[8:9], v[14:15], v[187:188]
	v_fma_f64 v[14:15], v[6:7], v[14:15], -v[16:17]
	ds_load_b128 v[6:9], v1 offset:1232
	s_waitcnt vmcnt(7) lgkmcnt(1)
	v_mul_f64 v[179:180], v[2:3], v[20:21]
	v_mul_f64 v[20:21], v[4:5], v[20:21]
	s_waitcnt vmcnt(6) lgkmcnt(0)
	v_mul_f64 v[16:17], v[6:7], v[24:25]
	v_mul_f64 v[24:25], v[8:9], v[24:25]
	v_add_f64 v[10:11], v[12:13], v[10:11]
	v_add_f64 v[12:13], v[177:178], v[183:184]
	v_fma_f64 v[177:178], v[4:5], v[18:19], v[179:180]
	v_fma_f64 v[18:19], v[2:3], v[18:19], -v[20:21]
	ds_load_b128 v[2:5], v1 offset:1248
	v_fma_f64 v[16:17], v[8:9], v[22:23], v[16:17]
	v_fma_f64 v[22:23], v[6:7], v[22:23], -v[24:25]
	ds_load_b128 v[6:9], v1 offset:1264
	s_waitcnt vmcnt(5) lgkmcnt(1)
	v_mul_f64 v[179:180], v[2:3], v[28:29]
	v_mul_f64 v[28:29], v[4:5], v[28:29]
	v_add_f64 v[14:15], v[10:11], v[14:15]
	v_add_f64 v[20:21], v[12:13], v[181:182]
	scratch_load_b128 v[10:13], off, off offset:464
	s_waitcnt vmcnt(5) lgkmcnt(0)
	v_mul_f64 v[24:25], v[8:9], v[32:33]
	v_add_f64 v[14:15], v[14:15], v[18:19]
	v_add_f64 v[18:19], v[20:21], v[177:178]
	v_mul_f64 v[20:21], v[6:7], v[32:33]
	v_fma_f64 v[32:33], v[4:5], v[26:27], v[179:180]
	v_fma_f64 v[26:27], v[2:3], v[26:27], -v[28:29]
	ds_load_b128 v[2:5], v1 offset:1280
	v_fma_f64 v[24:25], v[6:7], v[30:31], -v[24:25]
	v_add_f64 v[14:15], v[14:15], v[22:23]
	v_add_f64 v[16:17], v[18:19], v[16:17]
	v_fma_f64 v[20:21], v[8:9], v[30:31], v[20:21]
	ds_load_b128 v[6:9], v1 offset:1296
	s_waitcnt vmcnt(4) lgkmcnt(1)
	v_mul_f64 v[18:19], v[2:3], v[40:41]
	v_mul_f64 v[22:23], v[4:5], v[40:41]
	s_waitcnt vmcnt(3) lgkmcnt(0)
	v_mul_f64 v[28:29], v[8:9], v[175:176]
	v_add_f64 v[14:15], v[14:15], v[26:27]
	v_add_f64 v[16:17], v[16:17], v[32:33]
	v_mul_f64 v[26:27], v[6:7], v[175:176]
	v_fma_f64 v[18:19], v[4:5], v[38:39], v[18:19]
	v_fma_f64 v[22:23], v[2:3], v[38:39], -v[22:23]
	ds_load_b128 v[2:5], v1 offset:1312
	v_fma_f64 v[28:29], v[6:7], v[173:174], -v[28:29]
	v_add_f64 v[14:15], v[14:15], v[24:25]
	v_add_f64 v[16:17], v[16:17], v[20:21]
	v_fma_f64 v[26:27], v[8:9], v[173:174], v[26:27]
	ds_load_b128 v[6:9], v1 offset:1328
	s_waitcnt vmcnt(2) lgkmcnt(1)
	v_mul_f64 v[20:21], v[2:3], v[36:37]
	v_mul_f64 v[24:25], v[4:5], v[36:37]
	v_add_f64 v[14:15], v[14:15], v[22:23]
	v_add_f64 v[16:17], v[16:17], v[18:19]
	s_waitcnt vmcnt(1) lgkmcnt(0)
	v_mul_f64 v[18:19], v[6:7], v[171:172]
	v_mul_f64 v[22:23], v[8:9], v[171:172]
	v_fma_f64 v[4:5], v[4:5], v[34:35], v[20:21]
	v_fma_f64 v[1:2], v[2:3], v[34:35], -v[24:25]
	v_add_f64 v[14:15], v[14:15], v[28:29]
	v_add_f64 v[16:17], v[16:17], v[26:27]
	v_fma_f64 v[8:9], v[8:9], v[169:170], v[18:19]
	v_fma_f64 v[6:7], v[6:7], v[169:170], -v[22:23]
	s_delay_alu instid0(VALU_DEP_4) | instskip(NEXT) | instid1(VALU_DEP_4)
	v_add_f64 v[1:2], v[14:15], v[1:2]
	v_add_f64 v[3:4], v[16:17], v[4:5]
	s_delay_alu instid0(VALU_DEP_2) | instskip(NEXT) | instid1(VALU_DEP_2)
	v_add_f64 v[1:2], v[1:2], v[6:7]
	v_add_f64 v[3:4], v[3:4], v[8:9]
	s_waitcnt vmcnt(0)
	s_delay_alu instid0(VALU_DEP_2) | instskip(NEXT) | instid1(VALU_DEP_2)
	v_add_f64 v[1:2], v[10:11], -v[1:2]
	v_add_f64 v[3:4], v[12:13], -v[3:4]
	scratch_store_b128 off, v[1:4], off offset:464
	v_cmpx_lt_u32_e32 28, v126
	s_cbranch_execz .LBB105_209
; %bb.208:
	scratch_load_b128 v[1:4], v139, off
	v_mov_b32_e32 v5, 0
	s_delay_alu instid0(VALU_DEP_1)
	v_mov_b32_e32 v6, v5
	v_mov_b32_e32 v7, v5
	;; [unrolled: 1-line block ×3, first 2 shown]
	scratch_store_b128 off, v[5:8], off offset:448
	s_waitcnt vmcnt(0)
	ds_store_b128 v168, v[1:4]
.LBB105_209:
	s_or_b32 exec_lo, exec_lo, s2
	s_waitcnt lgkmcnt(0)
	s_waitcnt_vscnt null, 0x0
	s_barrier
	buffer_gl0_inv
	s_clause 0x7
	scratch_load_b128 v[2:5], off, off offset:464
	scratch_load_b128 v[6:9], off, off offset:480
	;; [unrolled: 1-line block ×8, first 2 shown]
	v_mov_b32_e32 v1, 0
	s_clause 0x1
	scratch_load_b128 v[38:41], off, off offset:592
	scratch_load_b128 v[173:176], off, off offset:608
	s_mov_b32 s2, exec_lo
	ds_load_b128 v[34:37], v1 offset:1136
	ds_load_b128 v[169:172], v1 offset:1152
	s_waitcnt vmcnt(9) lgkmcnt(1)
	v_mul_f64 v[177:178], v[36:37], v[4:5]
	v_mul_f64 v[4:5], v[34:35], v[4:5]
	s_waitcnt vmcnt(8) lgkmcnt(0)
	v_mul_f64 v[179:180], v[169:170], v[8:9]
	v_mul_f64 v[8:9], v[171:172], v[8:9]
	s_delay_alu instid0(VALU_DEP_4) | instskip(NEXT) | instid1(VALU_DEP_4)
	v_fma_f64 v[177:178], v[34:35], v[2:3], -v[177:178]
	v_fma_f64 v[181:182], v[36:37], v[2:3], v[4:5]
	ds_load_b128 v[2:5], v1 offset:1168
	scratch_load_b128 v[34:37], off, off offset:624
	v_fma_f64 v[179:180], v[171:172], v[6:7], v[179:180]
	v_fma_f64 v[185:186], v[169:170], v[6:7], -v[8:9]
	ds_load_b128 v[6:9], v1 offset:1184
	scratch_load_b128 v[169:172], off, off offset:640
	s_waitcnt vmcnt(9) lgkmcnt(1)
	v_mul_f64 v[183:184], v[2:3], v[12:13]
	v_mul_f64 v[12:13], v[4:5], v[12:13]
	s_waitcnt vmcnt(8) lgkmcnt(0)
	v_mul_f64 v[187:188], v[6:7], v[16:17]
	v_mul_f64 v[16:17], v[8:9], v[16:17]
	v_add_f64 v[177:178], v[177:178], 0
	v_add_f64 v[181:182], v[181:182], 0
	v_fma_f64 v[183:184], v[4:5], v[10:11], v[183:184]
	v_fma_f64 v[189:190], v[2:3], v[10:11], -v[12:13]
	scratch_load_b128 v[10:13], off, off offset:656
	ds_load_b128 v[2:5], v1 offset:1200
	v_add_f64 v[177:178], v[177:178], v[185:186]
	v_add_f64 v[179:180], v[181:182], v[179:180]
	v_fma_f64 v[185:186], v[8:9], v[14:15], v[187:188]
	v_fma_f64 v[14:15], v[6:7], v[14:15], -v[16:17]
	ds_load_b128 v[6:9], v1 offset:1216
	s_waitcnt vmcnt(8) lgkmcnt(1)
	v_mul_f64 v[181:182], v[2:3], v[20:21]
	v_mul_f64 v[20:21], v[4:5], v[20:21]
	v_add_f64 v[16:17], v[177:178], v[189:190]
	v_add_f64 v[177:178], v[179:180], v[183:184]
	s_waitcnt vmcnt(7) lgkmcnt(0)
	v_mul_f64 v[179:180], v[6:7], v[24:25]
	v_mul_f64 v[24:25], v[8:9], v[24:25]
	v_fma_f64 v[181:182], v[4:5], v[18:19], v[181:182]
	v_fma_f64 v[18:19], v[2:3], v[18:19], -v[20:21]
	ds_load_b128 v[2:5], v1 offset:1232
	v_add_f64 v[14:15], v[16:17], v[14:15]
	v_add_f64 v[16:17], v[177:178], v[185:186]
	v_fma_f64 v[177:178], v[8:9], v[22:23], v[179:180]
	v_fma_f64 v[22:23], v[6:7], v[22:23], -v[24:25]
	ds_load_b128 v[6:9], v1 offset:1248
	s_waitcnt vmcnt(6) lgkmcnt(1)
	v_mul_f64 v[20:21], v[2:3], v[28:29]
	v_mul_f64 v[28:29], v[4:5], v[28:29]
	s_waitcnt vmcnt(5) lgkmcnt(0)
	v_mul_f64 v[179:180], v[6:7], v[32:33]
	v_mul_f64 v[32:33], v[8:9], v[32:33]
	v_add_f64 v[18:19], v[14:15], v[18:19]
	v_add_f64 v[24:25], v[16:17], v[181:182]
	scratch_load_b128 v[14:17], off, off offset:448
	v_fma_f64 v[20:21], v[4:5], v[26:27], v[20:21]
	v_fma_f64 v[26:27], v[2:3], v[26:27], -v[28:29]
	ds_load_b128 v[2:5], v1 offset:1264
	s_waitcnt vmcnt(5) lgkmcnt(0)
	v_mul_f64 v[28:29], v[4:5], v[40:41]
	v_add_f64 v[18:19], v[18:19], v[22:23]
	v_add_f64 v[22:23], v[24:25], v[177:178]
	v_mul_f64 v[24:25], v[2:3], v[40:41]
	v_fma_f64 v[40:41], v[8:9], v[30:31], v[179:180]
	v_fma_f64 v[30:31], v[6:7], v[30:31], -v[32:33]
	ds_load_b128 v[6:9], v1 offset:1280
	v_fma_f64 v[28:29], v[2:3], v[38:39], -v[28:29]
	v_add_f64 v[18:19], v[18:19], v[26:27]
	v_add_f64 v[20:21], v[22:23], v[20:21]
	v_fma_f64 v[24:25], v[4:5], v[38:39], v[24:25]
	ds_load_b128 v[2:5], v1 offset:1296
	s_waitcnt vmcnt(4) lgkmcnt(1)
	v_mul_f64 v[22:23], v[6:7], v[175:176]
	v_mul_f64 v[26:27], v[8:9], v[175:176]
	v_add_f64 v[18:19], v[18:19], v[30:31]
	v_add_f64 v[20:21], v[20:21], v[40:41]
	s_delay_alu instid0(VALU_DEP_4) | instskip(NEXT) | instid1(VALU_DEP_4)
	v_fma_f64 v[22:23], v[8:9], v[173:174], v[22:23]
	v_fma_f64 v[26:27], v[6:7], v[173:174], -v[26:27]
	ds_load_b128 v[6:9], v1 offset:1312
	s_waitcnt vmcnt(3) lgkmcnt(1)
	v_mul_f64 v[30:31], v[2:3], v[36:37]
	v_mul_f64 v[32:33], v[4:5], v[36:37]
	v_add_f64 v[18:19], v[18:19], v[28:29]
	v_add_f64 v[20:21], v[20:21], v[24:25]
	s_delay_alu instid0(VALU_DEP_4) | instskip(NEXT) | instid1(VALU_DEP_4)
	v_fma_f64 v[30:31], v[4:5], v[34:35], v[30:31]
	v_fma_f64 v[32:33], v[2:3], v[34:35], -v[32:33]
	ds_load_b128 v[2:5], v1 offset:1328
	s_waitcnt vmcnt(2) lgkmcnt(1)
	v_mul_f64 v[24:25], v[6:7], v[171:172]
	v_mul_f64 v[28:29], v[8:9], v[171:172]
	v_add_f64 v[18:19], v[18:19], v[26:27]
	v_add_f64 v[20:21], v[20:21], v[22:23]
	s_waitcnt vmcnt(1) lgkmcnt(0)
	v_mul_f64 v[22:23], v[2:3], v[12:13]
	v_mul_f64 v[12:13], v[4:5], v[12:13]
	v_fma_f64 v[8:9], v[8:9], v[169:170], v[24:25]
	v_fma_f64 v[6:7], v[6:7], v[169:170], -v[28:29]
	v_add_f64 v[18:19], v[18:19], v[32:33]
	v_add_f64 v[20:21], v[20:21], v[30:31]
	v_fma_f64 v[4:5], v[4:5], v[10:11], v[22:23]
	v_fma_f64 v[2:3], v[2:3], v[10:11], -v[12:13]
	s_delay_alu instid0(VALU_DEP_4) | instskip(NEXT) | instid1(VALU_DEP_4)
	v_add_f64 v[6:7], v[18:19], v[6:7]
	v_add_f64 v[8:9], v[20:21], v[8:9]
	s_delay_alu instid0(VALU_DEP_2) | instskip(NEXT) | instid1(VALU_DEP_2)
	v_add_f64 v[2:3], v[6:7], v[2:3]
	v_add_f64 v[4:5], v[8:9], v[4:5]
	s_waitcnt vmcnt(0)
	s_delay_alu instid0(VALU_DEP_2) | instskip(NEXT) | instid1(VALU_DEP_2)
	v_add_f64 v[2:3], v[14:15], -v[2:3]
	v_add_f64 v[4:5], v[16:17], -v[4:5]
	scratch_store_b128 off, v[2:5], off offset:448
	v_cmpx_lt_u32_e32 27, v126
	s_cbranch_execz .LBB105_211
; %bb.210:
	scratch_load_b128 v[5:8], v142, off
	v_mov_b32_e32 v2, v1
	v_mov_b32_e32 v3, v1
	v_mov_b32_e32 v4, v1
	scratch_store_b128 off, v[1:4], off offset:432
	s_waitcnt vmcnt(0)
	ds_store_b128 v168, v[5:8]
.LBB105_211:
	s_or_b32 exec_lo, exec_lo, s2
	s_waitcnt lgkmcnt(0)
	s_waitcnt_vscnt null, 0x0
	s_barrier
	buffer_gl0_inv
	s_clause 0x7
	scratch_load_b128 v[2:5], off, off offset:448
	scratch_load_b128 v[6:9], off, off offset:464
	;; [unrolled: 1-line block ×8, first 2 shown]
	ds_load_b128 v[34:37], v1 offset:1120
	ds_load_b128 v[169:172], v1 offset:1136
	s_clause 0x1
	scratch_load_b128 v[38:41], off, off offset:576
	scratch_load_b128 v[173:176], off, off offset:592
	s_mov_b32 s2, exec_lo
	s_waitcnt vmcnt(9) lgkmcnt(1)
	v_mul_f64 v[177:178], v[36:37], v[4:5]
	v_mul_f64 v[4:5], v[34:35], v[4:5]
	s_waitcnt vmcnt(8) lgkmcnt(0)
	v_mul_f64 v[179:180], v[169:170], v[8:9]
	v_mul_f64 v[8:9], v[171:172], v[8:9]
	s_delay_alu instid0(VALU_DEP_4) | instskip(NEXT) | instid1(VALU_DEP_4)
	v_fma_f64 v[177:178], v[34:35], v[2:3], -v[177:178]
	v_fma_f64 v[181:182], v[36:37], v[2:3], v[4:5]
	scratch_load_b128 v[34:37], off, off offset:608
	ds_load_b128 v[2:5], v1 offset:1152
	v_fma_f64 v[179:180], v[171:172], v[6:7], v[179:180]
	v_fma_f64 v[185:186], v[169:170], v[6:7], -v[8:9]
	ds_load_b128 v[6:9], v1 offset:1168
	scratch_load_b128 v[169:172], off, off offset:624
	s_waitcnt vmcnt(9) lgkmcnt(1)
	v_mul_f64 v[183:184], v[2:3], v[12:13]
	v_mul_f64 v[12:13], v[4:5], v[12:13]
	s_waitcnt vmcnt(8) lgkmcnt(0)
	v_mul_f64 v[187:188], v[6:7], v[16:17]
	v_mul_f64 v[16:17], v[8:9], v[16:17]
	v_add_f64 v[177:178], v[177:178], 0
	v_add_f64 v[181:182], v[181:182], 0
	v_fma_f64 v[183:184], v[4:5], v[10:11], v[183:184]
	v_fma_f64 v[189:190], v[2:3], v[10:11], -v[12:13]
	scratch_load_b128 v[10:13], off, off offset:640
	ds_load_b128 v[2:5], v1 offset:1184
	v_add_f64 v[177:178], v[177:178], v[185:186]
	v_add_f64 v[179:180], v[181:182], v[179:180]
	v_fma_f64 v[185:186], v[8:9], v[14:15], v[187:188]
	v_fma_f64 v[187:188], v[6:7], v[14:15], -v[16:17]
	ds_load_b128 v[6:9], v1 offset:1200
	scratch_load_b128 v[14:17], off, off offset:656
	s_waitcnt vmcnt(9) lgkmcnt(1)
	v_mul_f64 v[181:182], v[2:3], v[20:21]
	v_mul_f64 v[20:21], v[4:5], v[20:21]
	v_add_f64 v[177:178], v[177:178], v[189:190]
	v_add_f64 v[179:180], v[179:180], v[183:184]
	s_waitcnt vmcnt(8) lgkmcnt(0)
	v_mul_f64 v[183:184], v[6:7], v[24:25]
	v_mul_f64 v[24:25], v[8:9], v[24:25]
	v_fma_f64 v[181:182], v[4:5], v[18:19], v[181:182]
	v_fma_f64 v[18:19], v[2:3], v[18:19], -v[20:21]
	ds_load_b128 v[2:5], v1 offset:1216
	v_add_f64 v[20:21], v[177:178], v[187:188]
	v_add_f64 v[177:178], v[179:180], v[185:186]
	v_fma_f64 v[183:184], v[8:9], v[22:23], v[183:184]
	v_fma_f64 v[22:23], v[6:7], v[22:23], -v[24:25]
	ds_load_b128 v[6:9], v1 offset:1232
	s_waitcnt vmcnt(7) lgkmcnt(1)
	v_mul_f64 v[179:180], v[2:3], v[28:29]
	v_mul_f64 v[28:29], v[4:5], v[28:29]
	s_waitcnt vmcnt(6) lgkmcnt(0)
	v_mul_f64 v[24:25], v[6:7], v[32:33]
	v_mul_f64 v[32:33], v[8:9], v[32:33]
	v_add_f64 v[18:19], v[20:21], v[18:19]
	v_add_f64 v[20:21], v[177:178], v[181:182]
	v_fma_f64 v[177:178], v[4:5], v[26:27], v[179:180]
	v_fma_f64 v[26:27], v[2:3], v[26:27], -v[28:29]
	ds_load_b128 v[2:5], v1 offset:1248
	v_fma_f64 v[24:25], v[8:9], v[30:31], v[24:25]
	v_fma_f64 v[30:31], v[6:7], v[30:31], -v[32:33]
	ds_load_b128 v[6:9], v1 offset:1264
	v_add_f64 v[22:23], v[18:19], v[22:23]
	v_add_f64 v[28:29], v[20:21], v[183:184]
	scratch_load_b128 v[18:21], off, off offset:432
	s_waitcnt vmcnt(6) lgkmcnt(1)
	v_mul_f64 v[179:180], v[2:3], v[40:41]
	v_mul_f64 v[40:41], v[4:5], v[40:41]
	s_waitcnt vmcnt(5) lgkmcnt(0)
	v_mul_f64 v[32:33], v[8:9], v[175:176]
	v_add_f64 v[22:23], v[22:23], v[26:27]
	v_add_f64 v[26:27], v[28:29], v[177:178]
	v_mul_f64 v[28:29], v[6:7], v[175:176]
	v_fma_f64 v[175:176], v[4:5], v[38:39], v[179:180]
	v_fma_f64 v[38:39], v[2:3], v[38:39], -v[40:41]
	ds_load_b128 v[2:5], v1 offset:1280
	v_fma_f64 v[32:33], v[6:7], v[173:174], -v[32:33]
	v_add_f64 v[22:23], v[22:23], v[30:31]
	v_add_f64 v[24:25], v[26:27], v[24:25]
	v_fma_f64 v[28:29], v[8:9], v[173:174], v[28:29]
	ds_load_b128 v[6:9], v1 offset:1296
	s_waitcnt vmcnt(4) lgkmcnt(1)
	v_mul_f64 v[26:27], v[2:3], v[36:37]
	v_mul_f64 v[30:31], v[4:5], v[36:37]
	s_waitcnt vmcnt(3) lgkmcnt(0)
	v_mul_f64 v[36:37], v[6:7], v[171:172]
	v_add_f64 v[22:23], v[22:23], v[38:39]
	v_add_f64 v[24:25], v[24:25], v[175:176]
	v_mul_f64 v[38:39], v[8:9], v[171:172]
	v_fma_f64 v[26:27], v[4:5], v[34:35], v[26:27]
	v_fma_f64 v[30:31], v[2:3], v[34:35], -v[30:31]
	ds_load_b128 v[2:5], v1 offset:1312
	v_add_f64 v[22:23], v[22:23], v[32:33]
	v_add_f64 v[24:25], v[24:25], v[28:29]
	v_fma_f64 v[32:33], v[8:9], v[169:170], v[36:37]
	v_fma_f64 v[34:35], v[6:7], v[169:170], -v[38:39]
	ds_load_b128 v[6:9], v1 offset:1328
	s_waitcnt vmcnt(2) lgkmcnt(1)
	v_mul_f64 v[28:29], v[2:3], v[12:13]
	v_mul_f64 v[12:13], v[4:5], v[12:13]
	v_add_f64 v[22:23], v[22:23], v[30:31]
	v_add_f64 v[24:25], v[24:25], v[26:27]
	s_waitcnt vmcnt(1) lgkmcnt(0)
	v_mul_f64 v[26:27], v[6:7], v[16:17]
	v_mul_f64 v[16:17], v[8:9], v[16:17]
	v_fma_f64 v[4:5], v[4:5], v[10:11], v[28:29]
	v_fma_f64 v[1:2], v[2:3], v[10:11], -v[12:13]
	v_add_f64 v[10:11], v[22:23], v[34:35]
	v_add_f64 v[12:13], v[24:25], v[32:33]
	v_fma_f64 v[8:9], v[8:9], v[14:15], v[26:27]
	v_fma_f64 v[6:7], v[6:7], v[14:15], -v[16:17]
	s_delay_alu instid0(VALU_DEP_4) | instskip(NEXT) | instid1(VALU_DEP_4)
	v_add_f64 v[1:2], v[10:11], v[1:2]
	v_add_f64 v[3:4], v[12:13], v[4:5]
	s_delay_alu instid0(VALU_DEP_2) | instskip(NEXT) | instid1(VALU_DEP_2)
	v_add_f64 v[1:2], v[1:2], v[6:7]
	v_add_f64 v[3:4], v[3:4], v[8:9]
	s_waitcnt vmcnt(0)
	s_delay_alu instid0(VALU_DEP_2) | instskip(NEXT) | instid1(VALU_DEP_2)
	v_add_f64 v[1:2], v[18:19], -v[1:2]
	v_add_f64 v[3:4], v[20:21], -v[3:4]
	scratch_store_b128 off, v[1:4], off offset:432
	v_cmpx_lt_u32_e32 26, v126
	s_cbranch_execz .LBB105_213
; %bb.212:
	scratch_load_b128 v[1:4], v141, off
	v_mov_b32_e32 v5, 0
	s_delay_alu instid0(VALU_DEP_1)
	v_mov_b32_e32 v6, v5
	v_mov_b32_e32 v7, v5
	;; [unrolled: 1-line block ×3, first 2 shown]
	scratch_store_b128 off, v[5:8], off offset:416
	s_waitcnt vmcnt(0)
	ds_store_b128 v168, v[1:4]
.LBB105_213:
	s_or_b32 exec_lo, exec_lo, s2
	s_waitcnt lgkmcnt(0)
	s_waitcnt_vscnt null, 0x0
	s_barrier
	buffer_gl0_inv
	s_clause 0x7
	scratch_load_b128 v[2:5], off, off offset:432
	scratch_load_b128 v[6:9], off, off offset:448
	;; [unrolled: 1-line block ×8, first 2 shown]
	v_mov_b32_e32 v1, 0
	s_clause 0x1
	scratch_load_b128 v[38:41], off, off offset:560
	scratch_load_b128 v[173:176], off, off offset:576
	s_mov_b32 s2, exec_lo
	ds_load_b128 v[34:37], v1 offset:1104
	ds_load_b128 v[169:172], v1 offset:1120
	s_waitcnt vmcnt(9) lgkmcnt(1)
	v_mul_f64 v[177:178], v[36:37], v[4:5]
	v_mul_f64 v[4:5], v[34:35], v[4:5]
	s_waitcnt vmcnt(8) lgkmcnt(0)
	v_mul_f64 v[179:180], v[169:170], v[8:9]
	v_mul_f64 v[8:9], v[171:172], v[8:9]
	s_delay_alu instid0(VALU_DEP_4) | instskip(NEXT) | instid1(VALU_DEP_4)
	v_fma_f64 v[177:178], v[34:35], v[2:3], -v[177:178]
	v_fma_f64 v[181:182], v[36:37], v[2:3], v[4:5]
	ds_load_b128 v[2:5], v1 offset:1136
	scratch_load_b128 v[34:37], off, off offset:592
	v_fma_f64 v[179:180], v[171:172], v[6:7], v[179:180]
	v_fma_f64 v[185:186], v[169:170], v[6:7], -v[8:9]
	ds_load_b128 v[6:9], v1 offset:1152
	scratch_load_b128 v[169:172], off, off offset:608
	s_waitcnt vmcnt(9) lgkmcnt(1)
	v_mul_f64 v[183:184], v[2:3], v[12:13]
	v_mul_f64 v[12:13], v[4:5], v[12:13]
	s_waitcnt vmcnt(8) lgkmcnt(0)
	v_mul_f64 v[187:188], v[6:7], v[16:17]
	v_mul_f64 v[16:17], v[8:9], v[16:17]
	v_add_f64 v[177:178], v[177:178], 0
	v_add_f64 v[181:182], v[181:182], 0
	v_fma_f64 v[183:184], v[4:5], v[10:11], v[183:184]
	v_fma_f64 v[189:190], v[2:3], v[10:11], -v[12:13]
	scratch_load_b128 v[10:13], off, off offset:624
	ds_load_b128 v[2:5], v1 offset:1168
	v_add_f64 v[177:178], v[177:178], v[185:186]
	v_add_f64 v[179:180], v[181:182], v[179:180]
	v_fma_f64 v[185:186], v[8:9], v[14:15], v[187:188]
	v_fma_f64 v[187:188], v[6:7], v[14:15], -v[16:17]
	ds_load_b128 v[6:9], v1 offset:1184
	scratch_load_b128 v[14:17], off, off offset:640
	s_waitcnt vmcnt(9) lgkmcnt(1)
	v_mul_f64 v[181:182], v[2:3], v[20:21]
	v_mul_f64 v[20:21], v[4:5], v[20:21]
	v_add_f64 v[177:178], v[177:178], v[189:190]
	v_add_f64 v[179:180], v[179:180], v[183:184]
	s_waitcnt vmcnt(8) lgkmcnt(0)
	v_mul_f64 v[183:184], v[6:7], v[24:25]
	v_mul_f64 v[24:25], v[8:9], v[24:25]
	v_fma_f64 v[181:182], v[4:5], v[18:19], v[181:182]
	v_fma_f64 v[189:190], v[2:3], v[18:19], -v[20:21]
	scratch_load_b128 v[18:21], off, off offset:656
	ds_load_b128 v[2:5], v1 offset:1200
	v_add_f64 v[177:178], v[177:178], v[187:188]
	v_add_f64 v[179:180], v[179:180], v[185:186]
	v_fma_f64 v[183:184], v[8:9], v[22:23], v[183:184]
	v_fma_f64 v[22:23], v[6:7], v[22:23], -v[24:25]
	ds_load_b128 v[6:9], v1 offset:1216
	s_waitcnt vmcnt(8) lgkmcnt(1)
	v_mul_f64 v[185:186], v[2:3], v[28:29]
	v_mul_f64 v[28:29], v[4:5], v[28:29]
	v_add_f64 v[24:25], v[177:178], v[189:190]
	v_add_f64 v[177:178], v[179:180], v[181:182]
	s_waitcnt vmcnt(7) lgkmcnt(0)
	v_mul_f64 v[179:180], v[6:7], v[32:33]
	v_mul_f64 v[32:33], v[8:9], v[32:33]
	v_fma_f64 v[181:182], v[4:5], v[26:27], v[185:186]
	v_fma_f64 v[26:27], v[2:3], v[26:27], -v[28:29]
	ds_load_b128 v[2:5], v1 offset:1232
	v_add_f64 v[22:23], v[24:25], v[22:23]
	v_add_f64 v[24:25], v[177:178], v[183:184]
	v_fma_f64 v[177:178], v[8:9], v[30:31], v[179:180]
	v_fma_f64 v[30:31], v[6:7], v[30:31], -v[32:33]
	ds_load_b128 v[6:9], v1 offset:1248
	s_waitcnt vmcnt(5) lgkmcnt(0)
	v_mul_f64 v[179:180], v[6:7], v[175:176]
	v_mul_f64 v[175:176], v[8:9], v[175:176]
	v_add_f64 v[26:27], v[22:23], v[26:27]
	v_add_f64 v[32:33], v[24:25], v[181:182]
	scratch_load_b128 v[22:25], off, off offset:416
	v_mul_f64 v[28:29], v[2:3], v[40:41]
	v_mul_f64 v[40:41], v[4:5], v[40:41]
	v_add_f64 v[26:27], v[26:27], v[30:31]
	v_add_f64 v[30:31], v[32:33], v[177:178]
	s_delay_alu instid0(VALU_DEP_4) | instskip(NEXT) | instid1(VALU_DEP_4)
	v_fma_f64 v[28:29], v[4:5], v[38:39], v[28:29]
	v_fma_f64 v[38:39], v[2:3], v[38:39], -v[40:41]
	ds_load_b128 v[2:5], v1 offset:1264
	v_fma_f64 v[40:41], v[8:9], v[173:174], v[179:180]
	v_fma_f64 v[173:174], v[6:7], v[173:174], -v[175:176]
	ds_load_b128 v[6:9], v1 offset:1280
	s_waitcnt vmcnt(5) lgkmcnt(1)
	v_mul_f64 v[32:33], v[2:3], v[36:37]
	v_mul_f64 v[36:37], v[4:5], v[36:37]
	v_add_f64 v[28:29], v[30:31], v[28:29]
	v_add_f64 v[26:27], v[26:27], v[38:39]
	s_waitcnt vmcnt(4) lgkmcnt(0)
	v_mul_f64 v[30:31], v[6:7], v[171:172]
	v_mul_f64 v[38:39], v[8:9], v[171:172]
	v_fma_f64 v[32:33], v[4:5], v[34:35], v[32:33]
	v_fma_f64 v[34:35], v[2:3], v[34:35], -v[36:37]
	ds_load_b128 v[2:5], v1 offset:1296
	v_add_f64 v[28:29], v[28:29], v[40:41]
	v_add_f64 v[26:27], v[26:27], v[173:174]
	v_fma_f64 v[30:31], v[8:9], v[169:170], v[30:31]
	v_fma_f64 v[38:39], v[6:7], v[169:170], -v[38:39]
	ds_load_b128 v[6:9], v1 offset:1312
	s_waitcnt vmcnt(3) lgkmcnt(1)
	v_mul_f64 v[36:37], v[2:3], v[12:13]
	v_mul_f64 v[12:13], v[4:5], v[12:13]
	v_add_f64 v[28:29], v[28:29], v[32:33]
	v_add_f64 v[26:27], v[26:27], v[34:35]
	s_waitcnt vmcnt(2) lgkmcnt(0)
	v_mul_f64 v[32:33], v[6:7], v[16:17]
	v_mul_f64 v[16:17], v[8:9], v[16:17]
	v_fma_f64 v[34:35], v[4:5], v[10:11], v[36:37]
	v_fma_f64 v[10:11], v[2:3], v[10:11], -v[12:13]
	ds_load_b128 v[2:5], v1 offset:1328
	v_add_f64 v[12:13], v[26:27], v[38:39]
	v_add_f64 v[26:27], v[28:29], v[30:31]
	s_waitcnt vmcnt(1) lgkmcnt(0)
	v_mul_f64 v[28:29], v[2:3], v[20:21]
	v_mul_f64 v[20:21], v[4:5], v[20:21]
	v_fma_f64 v[8:9], v[8:9], v[14:15], v[32:33]
	v_fma_f64 v[6:7], v[6:7], v[14:15], -v[16:17]
	v_add_f64 v[10:11], v[12:13], v[10:11]
	v_add_f64 v[12:13], v[26:27], v[34:35]
	v_fma_f64 v[4:5], v[4:5], v[18:19], v[28:29]
	v_fma_f64 v[2:3], v[2:3], v[18:19], -v[20:21]
	s_delay_alu instid0(VALU_DEP_4) | instskip(NEXT) | instid1(VALU_DEP_4)
	v_add_f64 v[6:7], v[10:11], v[6:7]
	v_add_f64 v[8:9], v[12:13], v[8:9]
	s_delay_alu instid0(VALU_DEP_2) | instskip(NEXT) | instid1(VALU_DEP_2)
	v_add_f64 v[2:3], v[6:7], v[2:3]
	v_add_f64 v[4:5], v[8:9], v[4:5]
	s_waitcnt vmcnt(0)
	s_delay_alu instid0(VALU_DEP_2) | instskip(NEXT) | instid1(VALU_DEP_2)
	v_add_f64 v[2:3], v[22:23], -v[2:3]
	v_add_f64 v[4:5], v[24:25], -v[4:5]
	scratch_store_b128 off, v[2:5], off offset:416
	v_cmpx_lt_u32_e32 25, v126
	s_cbranch_execz .LBB105_215
; %bb.214:
	scratch_load_b128 v[5:8], v143, off
	v_mov_b32_e32 v2, v1
	v_mov_b32_e32 v3, v1
	;; [unrolled: 1-line block ×3, first 2 shown]
	scratch_store_b128 off, v[1:4], off offset:400
	s_waitcnt vmcnt(0)
	ds_store_b128 v168, v[5:8]
.LBB105_215:
	s_or_b32 exec_lo, exec_lo, s2
	s_waitcnt lgkmcnt(0)
	s_waitcnt_vscnt null, 0x0
	s_barrier
	buffer_gl0_inv
	s_clause 0x7
	scratch_load_b128 v[2:5], off, off offset:416
	scratch_load_b128 v[6:9], off, off offset:432
	;; [unrolled: 1-line block ×8, first 2 shown]
	ds_load_b128 v[34:37], v1 offset:1088
	ds_load_b128 v[169:172], v1 offset:1104
	s_clause 0x1
	scratch_load_b128 v[38:41], off, off offset:544
	scratch_load_b128 v[173:176], off, off offset:560
	s_mov_b32 s2, exec_lo
	s_waitcnt vmcnt(9) lgkmcnt(1)
	v_mul_f64 v[177:178], v[36:37], v[4:5]
	v_mul_f64 v[4:5], v[34:35], v[4:5]
	s_waitcnt vmcnt(8) lgkmcnt(0)
	v_mul_f64 v[179:180], v[169:170], v[8:9]
	v_mul_f64 v[8:9], v[171:172], v[8:9]
	s_delay_alu instid0(VALU_DEP_4) | instskip(NEXT) | instid1(VALU_DEP_4)
	v_fma_f64 v[177:178], v[34:35], v[2:3], -v[177:178]
	v_fma_f64 v[181:182], v[36:37], v[2:3], v[4:5]
	ds_load_b128 v[2:5], v1 offset:1120
	scratch_load_b128 v[34:37], off, off offset:576
	v_fma_f64 v[179:180], v[171:172], v[6:7], v[179:180]
	v_fma_f64 v[185:186], v[169:170], v[6:7], -v[8:9]
	ds_load_b128 v[6:9], v1 offset:1136
	scratch_load_b128 v[169:172], off, off offset:592
	s_waitcnt vmcnt(9) lgkmcnt(1)
	v_mul_f64 v[183:184], v[2:3], v[12:13]
	v_mul_f64 v[12:13], v[4:5], v[12:13]
	s_waitcnt vmcnt(8) lgkmcnt(0)
	v_mul_f64 v[187:188], v[6:7], v[16:17]
	v_mul_f64 v[16:17], v[8:9], v[16:17]
	v_add_f64 v[177:178], v[177:178], 0
	v_add_f64 v[181:182], v[181:182], 0
	v_fma_f64 v[183:184], v[4:5], v[10:11], v[183:184]
	v_fma_f64 v[189:190], v[2:3], v[10:11], -v[12:13]
	scratch_load_b128 v[10:13], off, off offset:608
	ds_load_b128 v[2:5], v1 offset:1152
	v_add_f64 v[177:178], v[177:178], v[185:186]
	v_add_f64 v[179:180], v[181:182], v[179:180]
	v_fma_f64 v[185:186], v[8:9], v[14:15], v[187:188]
	v_fma_f64 v[187:188], v[6:7], v[14:15], -v[16:17]
	ds_load_b128 v[6:9], v1 offset:1168
	scratch_load_b128 v[14:17], off, off offset:624
	s_waitcnt vmcnt(9) lgkmcnt(1)
	v_mul_f64 v[181:182], v[2:3], v[20:21]
	v_mul_f64 v[20:21], v[4:5], v[20:21]
	v_add_f64 v[177:178], v[177:178], v[189:190]
	v_add_f64 v[179:180], v[179:180], v[183:184]
	s_waitcnt vmcnt(8) lgkmcnt(0)
	v_mul_f64 v[183:184], v[6:7], v[24:25]
	v_mul_f64 v[24:25], v[8:9], v[24:25]
	v_fma_f64 v[181:182], v[4:5], v[18:19], v[181:182]
	v_fma_f64 v[189:190], v[2:3], v[18:19], -v[20:21]
	scratch_load_b128 v[18:21], off, off offset:640
	ds_load_b128 v[2:5], v1 offset:1184
	v_add_f64 v[177:178], v[177:178], v[187:188]
	v_add_f64 v[179:180], v[179:180], v[185:186]
	v_fma_f64 v[183:184], v[8:9], v[22:23], v[183:184]
	v_fma_f64 v[187:188], v[6:7], v[22:23], -v[24:25]
	ds_load_b128 v[6:9], v1 offset:1200
	s_waitcnt vmcnt(8) lgkmcnt(1)
	v_mul_f64 v[185:186], v[2:3], v[28:29]
	v_mul_f64 v[28:29], v[4:5], v[28:29]
	scratch_load_b128 v[22:25], off, off offset:656
	v_add_f64 v[177:178], v[177:178], v[189:190]
	v_add_f64 v[179:180], v[179:180], v[181:182]
	s_waitcnt vmcnt(8) lgkmcnt(0)
	v_mul_f64 v[181:182], v[6:7], v[32:33]
	v_mul_f64 v[32:33], v[8:9], v[32:33]
	v_fma_f64 v[185:186], v[4:5], v[26:27], v[185:186]
	v_fma_f64 v[26:27], v[2:3], v[26:27], -v[28:29]
	ds_load_b128 v[2:5], v1 offset:1216
	v_add_f64 v[28:29], v[177:178], v[187:188]
	v_add_f64 v[177:178], v[179:180], v[183:184]
	v_fma_f64 v[181:182], v[8:9], v[30:31], v[181:182]
	v_fma_f64 v[30:31], v[6:7], v[30:31], -v[32:33]
	ds_load_b128 v[6:9], v1 offset:1232
	s_waitcnt vmcnt(7) lgkmcnt(1)
	v_mul_f64 v[179:180], v[2:3], v[40:41]
	v_mul_f64 v[40:41], v[4:5], v[40:41]
	v_add_f64 v[26:27], v[28:29], v[26:27]
	v_add_f64 v[28:29], v[177:178], v[185:186]
	s_delay_alu instid0(VALU_DEP_4) | instskip(NEXT) | instid1(VALU_DEP_4)
	v_fma_f64 v[177:178], v[4:5], v[38:39], v[179:180]
	v_fma_f64 v[38:39], v[2:3], v[38:39], -v[40:41]
	ds_load_b128 v[2:5], v1 offset:1248
	v_add_f64 v[30:31], v[26:27], v[30:31]
	v_add_f64 v[40:41], v[28:29], v[181:182]
	scratch_load_b128 v[26:29], off, off offset:400
	s_waitcnt vmcnt(7) lgkmcnt(1)
	v_mul_f64 v[32:33], v[6:7], v[175:176]
	v_mul_f64 v[175:176], v[8:9], v[175:176]
	v_add_f64 v[30:31], v[30:31], v[38:39]
	v_add_f64 v[38:39], v[40:41], v[177:178]
	s_delay_alu instid0(VALU_DEP_4) | instskip(NEXT) | instid1(VALU_DEP_4)
	v_fma_f64 v[32:33], v[8:9], v[173:174], v[32:33]
	v_fma_f64 v[173:174], v[6:7], v[173:174], -v[175:176]
	ds_load_b128 v[6:9], v1 offset:1264
	s_waitcnt vmcnt(6) lgkmcnt(1)
	v_mul_f64 v[179:180], v[2:3], v[36:37]
	v_mul_f64 v[36:37], v[4:5], v[36:37]
	s_waitcnt vmcnt(5) lgkmcnt(0)
	v_mul_f64 v[40:41], v[6:7], v[171:172]
	v_mul_f64 v[171:172], v[8:9], v[171:172]
	v_add_f64 v[32:33], v[38:39], v[32:33]
	v_add_f64 v[30:31], v[30:31], v[173:174]
	v_fma_f64 v[175:176], v[4:5], v[34:35], v[179:180]
	v_fma_f64 v[34:35], v[2:3], v[34:35], -v[36:37]
	ds_load_b128 v[2:5], v1 offset:1280
	v_fma_f64 v[38:39], v[8:9], v[169:170], v[40:41]
	v_fma_f64 v[40:41], v[6:7], v[169:170], -v[171:172]
	ds_load_b128 v[6:9], v1 offset:1296
	s_waitcnt vmcnt(4) lgkmcnt(1)
	v_mul_f64 v[36:37], v[2:3], v[12:13]
	v_mul_f64 v[12:13], v[4:5], v[12:13]
	v_add_f64 v[32:33], v[32:33], v[175:176]
	v_add_f64 v[30:31], v[30:31], v[34:35]
	s_waitcnt vmcnt(3) lgkmcnt(0)
	v_mul_f64 v[34:35], v[6:7], v[16:17]
	v_mul_f64 v[16:17], v[8:9], v[16:17]
	v_fma_f64 v[36:37], v[4:5], v[10:11], v[36:37]
	v_fma_f64 v[10:11], v[2:3], v[10:11], -v[12:13]
	ds_load_b128 v[2:5], v1 offset:1312
	v_add_f64 v[12:13], v[30:31], v[40:41]
	v_add_f64 v[30:31], v[32:33], v[38:39]
	v_fma_f64 v[34:35], v[8:9], v[14:15], v[34:35]
	v_fma_f64 v[14:15], v[6:7], v[14:15], -v[16:17]
	ds_load_b128 v[6:9], v1 offset:1328
	s_waitcnt vmcnt(2) lgkmcnt(1)
	v_mul_f64 v[32:33], v[2:3], v[20:21]
	v_mul_f64 v[20:21], v[4:5], v[20:21]
	s_waitcnt vmcnt(1) lgkmcnt(0)
	v_mul_f64 v[16:17], v[6:7], v[24:25]
	v_mul_f64 v[24:25], v[8:9], v[24:25]
	v_add_f64 v[10:11], v[12:13], v[10:11]
	v_add_f64 v[12:13], v[30:31], v[36:37]
	v_fma_f64 v[4:5], v[4:5], v[18:19], v[32:33]
	v_fma_f64 v[1:2], v[2:3], v[18:19], -v[20:21]
	v_fma_f64 v[8:9], v[8:9], v[22:23], v[16:17]
	v_fma_f64 v[6:7], v[6:7], v[22:23], -v[24:25]
	v_add_f64 v[10:11], v[10:11], v[14:15]
	v_add_f64 v[12:13], v[12:13], v[34:35]
	s_delay_alu instid0(VALU_DEP_2) | instskip(NEXT) | instid1(VALU_DEP_2)
	v_add_f64 v[1:2], v[10:11], v[1:2]
	v_add_f64 v[3:4], v[12:13], v[4:5]
	s_delay_alu instid0(VALU_DEP_2) | instskip(NEXT) | instid1(VALU_DEP_2)
	v_add_f64 v[1:2], v[1:2], v[6:7]
	v_add_f64 v[3:4], v[3:4], v[8:9]
	s_waitcnt vmcnt(0)
	s_delay_alu instid0(VALU_DEP_2) | instskip(NEXT) | instid1(VALU_DEP_2)
	v_add_f64 v[1:2], v[26:27], -v[1:2]
	v_add_f64 v[3:4], v[28:29], -v[3:4]
	scratch_store_b128 off, v[1:4], off offset:400
	v_cmpx_lt_u32_e32 24, v126
	s_cbranch_execz .LBB105_217
; %bb.216:
	scratch_load_b128 v[1:4], v144, off
	v_mov_b32_e32 v5, 0
	s_delay_alu instid0(VALU_DEP_1)
	v_mov_b32_e32 v6, v5
	v_mov_b32_e32 v7, v5
	;; [unrolled: 1-line block ×3, first 2 shown]
	scratch_store_b128 off, v[5:8], off offset:384
	s_waitcnt vmcnt(0)
	ds_store_b128 v168, v[1:4]
.LBB105_217:
	s_or_b32 exec_lo, exec_lo, s2
	s_waitcnt lgkmcnt(0)
	s_waitcnt_vscnt null, 0x0
	s_barrier
	buffer_gl0_inv
	s_clause 0x7
	scratch_load_b128 v[2:5], off, off offset:400
	scratch_load_b128 v[6:9], off, off offset:416
	;; [unrolled: 1-line block ×8, first 2 shown]
	v_mov_b32_e32 v1, 0
	s_clause 0x1
	scratch_load_b128 v[38:41], off, off offset:528
	scratch_load_b128 v[173:176], off, off offset:544
	s_mov_b32 s2, exec_lo
	ds_load_b128 v[34:37], v1 offset:1072
	ds_load_b128 v[169:172], v1 offset:1088
	s_waitcnt vmcnt(9) lgkmcnt(1)
	v_mul_f64 v[177:178], v[36:37], v[4:5]
	v_mul_f64 v[4:5], v[34:35], v[4:5]
	s_waitcnt vmcnt(8) lgkmcnt(0)
	v_mul_f64 v[179:180], v[169:170], v[8:9]
	v_mul_f64 v[8:9], v[171:172], v[8:9]
	s_delay_alu instid0(VALU_DEP_4) | instskip(NEXT) | instid1(VALU_DEP_4)
	v_fma_f64 v[177:178], v[34:35], v[2:3], -v[177:178]
	v_fma_f64 v[181:182], v[36:37], v[2:3], v[4:5]
	ds_load_b128 v[2:5], v1 offset:1104
	scratch_load_b128 v[34:37], off, off offset:560
	v_fma_f64 v[179:180], v[171:172], v[6:7], v[179:180]
	v_fma_f64 v[185:186], v[169:170], v[6:7], -v[8:9]
	ds_load_b128 v[6:9], v1 offset:1120
	scratch_load_b128 v[169:172], off, off offset:576
	s_waitcnt vmcnt(9) lgkmcnt(1)
	v_mul_f64 v[183:184], v[2:3], v[12:13]
	v_mul_f64 v[12:13], v[4:5], v[12:13]
	s_waitcnt vmcnt(8) lgkmcnt(0)
	v_mul_f64 v[187:188], v[6:7], v[16:17]
	v_mul_f64 v[16:17], v[8:9], v[16:17]
	v_add_f64 v[177:178], v[177:178], 0
	v_add_f64 v[181:182], v[181:182], 0
	v_fma_f64 v[183:184], v[4:5], v[10:11], v[183:184]
	v_fma_f64 v[189:190], v[2:3], v[10:11], -v[12:13]
	scratch_load_b128 v[10:13], off, off offset:592
	ds_load_b128 v[2:5], v1 offset:1136
	v_add_f64 v[177:178], v[177:178], v[185:186]
	v_add_f64 v[179:180], v[181:182], v[179:180]
	v_fma_f64 v[185:186], v[8:9], v[14:15], v[187:188]
	v_fma_f64 v[187:188], v[6:7], v[14:15], -v[16:17]
	ds_load_b128 v[6:9], v1 offset:1152
	scratch_load_b128 v[14:17], off, off offset:608
	s_waitcnt vmcnt(9) lgkmcnt(1)
	v_mul_f64 v[181:182], v[2:3], v[20:21]
	v_mul_f64 v[20:21], v[4:5], v[20:21]
	v_add_f64 v[177:178], v[177:178], v[189:190]
	v_add_f64 v[179:180], v[179:180], v[183:184]
	s_waitcnt vmcnt(8) lgkmcnt(0)
	v_mul_f64 v[183:184], v[6:7], v[24:25]
	v_mul_f64 v[24:25], v[8:9], v[24:25]
	v_fma_f64 v[181:182], v[4:5], v[18:19], v[181:182]
	v_fma_f64 v[189:190], v[2:3], v[18:19], -v[20:21]
	scratch_load_b128 v[18:21], off, off offset:624
	ds_load_b128 v[2:5], v1 offset:1168
	v_add_f64 v[177:178], v[177:178], v[187:188]
	v_add_f64 v[179:180], v[179:180], v[185:186]
	v_fma_f64 v[183:184], v[8:9], v[22:23], v[183:184]
	v_fma_f64 v[187:188], v[6:7], v[22:23], -v[24:25]
	ds_load_b128 v[6:9], v1 offset:1184
	s_waitcnt vmcnt(8) lgkmcnt(1)
	v_mul_f64 v[185:186], v[2:3], v[28:29]
	v_mul_f64 v[28:29], v[4:5], v[28:29]
	scratch_load_b128 v[22:25], off, off offset:640
	v_add_f64 v[177:178], v[177:178], v[189:190]
	v_add_f64 v[179:180], v[179:180], v[181:182]
	s_waitcnt vmcnt(8) lgkmcnt(0)
	v_mul_f64 v[181:182], v[6:7], v[32:33]
	v_mul_f64 v[32:33], v[8:9], v[32:33]
	v_fma_f64 v[185:186], v[4:5], v[26:27], v[185:186]
	v_fma_f64 v[189:190], v[2:3], v[26:27], -v[28:29]
	scratch_load_b128 v[26:29], off, off offset:656
	ds_load_b128 v[2:5], v1 offset:1200
	v_add_f64 v[177:178], v[177:178], v[187:188]
	v_add_f64 v[179:180], v[179:180], v[183:184]
	v_fma_f64 v[181:182], v[8:9], v[30:31], v[181:182]
	v_fma_f64 v[30:31], v[6:7], v[30:31], -v[32:33]
	ds_load_b128 v[6:9], v1 offset:1216
	s_waitcnt vmcnt(8) lgkmcnt(1)
	v_mul_f64 v[183:184], v[2:3], v[40:41]
	v_mul_f64 v[40:41], v[4:5], v[40:41]
	v_add_f64 v[32:33], v[177:178], v[189:190]
	v_add_f64 v[177:178], v[179:180], v[185:186]
	s_waitcnt vmcnt(7) lgkmcnt(0)
	v_mul_f64 v[179:180], v[6:7], v[175:176]
	v_mul_f64 v[175:176], v[8:9], v[175:176]
	v_fma_f64 v[183:184], v[4:5], v[38:39], v[183:184]
	v_fma_f64 v[38:39], v[2:3], v[38:39], -v[40:41]
	ds_load_b128 v[2:5], v1 offset:1232
	v_add_f64 v[30:31], v[32:33], v[30:31]
	v_add_f64 v[32:33], v[177:178], v[181:182]
	v_fma_f64 v[177:178], v[8:9], v[173:174], v[179:180]
	v_fma_f64 v[173:174], v[6:7], v[173:174], -v[175:176]
	ds_load_b128 v[6:9], v1 offset:1248
	s_waitcnt vmcnt(5) lgkmcnt(0)
	v_mul_f64 v[179:180], v[6:7], v[171:172]
	v_mul_f64 v[171:172], v[8:9], v[171:172]
	v_add_f64 v[38:39], v[30:31], v[38:39]
	v_add_f64 v[175:176], v[32:33], v[183:184]
	scratch_load_b128 v[30:33], off, off offset:384
	v_mul_f64 v[40:41], v[2:3], v[36:37]
	v_mul_f64 v[36:37], v[4:5], v[36:37]
	s_delay_alu instid0(VALU_DEP_2) | instskip(NEXT) | instid1(VALU_DEP_2)
	v_fma_f64 v[40:41], v[4:5], v[34:35], v[40:41]
	v_fma_f64 v[34:35], v[2:3], v[34:35], -v[36:37]
	v_add_f64 v[36:37], v[38:39], v[173:174]
	v_add_f64 v[38:39], v[175:176], v[177:178]
	ds_load_b128 v[2:5], v1 offset:1264
	v_fma_f64 v[175:176], v[8:9], v[169:170], v[179:180]
	v_fma_f64 v[169:170], v[6:7], v[169:170], -v[171:172]
	ds_load_b128 v[6:9], v1 offset:1280
	s_waitcnt vmcnt(5) lgkmcnt(1)
	v_mul_f64 v[173:174], v[2:3], v[12:13]
	v_mul_f64 v[12:13], v[4:5], v[12:13]
	v_add_f64 v[34:35], v[36:37], v[34:35]
	v_add_f64 v[36:37], v[38:39], v[40:41]
	s_waitcnt vmcnt(4) lgkmcnt(0)
	v_mul_f64 v[38:39], v[6:7], v[16:17]
	v_mul_f64 v[16:17], v[8:9], v[16:17]
	v_fma_f64 v[40:41], v[4:5], v[10:11], v[173:174]
	v_fma_f64 v[10:11], v[2:3], v[10:11], -v[12:13]
	ds_load_b128 v[2:5], v1 offset:1296
	v_add_f64 v[12:13], v[34:35], v[169:170]
	v_add_f64 v[34:35], v[36:37], v[175:176]
	v_fma_f64 v[38:39], v[8:9], v[14:15], v[38:39]
	v_fma_f64 v[14:15], v[6:7], v[14:15], -v[16:17]
	ds_load_b128 v[6:9], v1 offset:1312
	s_waitcnt vmcnt(3) lgkmcnt(1)
	v_mul_f64 v[36:37], v[2:3], v[20:21]
	v_mul_f64 v[20:21], v[4:5], v[20:21]
	s_waitcnt vmcnt(2) lgkmcnt(0)
	v_mul_f64 v[16:17], v[6:7], v[24:25]
	v_mul_f64 v[24:25], v[8:9], v[24:25]
	v_add_f64 v[10:11], v[12:13], v[10:11]
	v_add_f64 v[12:13], v[34:35], v[40:41]
	v_fma_f64 v[34:35], v[4:5], v[18:19], v[36:37]
	v_fma_f64 v[18:19], v[2:3], v[18:19], -v[20:21]
	ds_load_b128 v[2:5], v1 offset:1328
	v_fma_f64 v[8:9], v[8:9], v[22:23], v[16:17]
	v_fma_f64 v[6:7], v[6:7], v[22:23], -v[24:25]
	s_waitcnt vmcnt(1) lgkmcnt(0)
	v_mul_f64 v[20:21], v[4:5], v[28:29]
	v_add_f64 v[10:11], v[10:11], v[14:15]
	v_add_f64 v[12:13], v[12:13], v[38:39]
	v_mul_f64 v[14:15], v[2:3], v[28:29]
	s_delay_alu instid0(VALU_DEP_4) | instskip(NEXT) | instid1(VALU_DEP_4)
	v_fma_f64 v[2:3], v[2:3], v[26:27], -v[20:21]
	v_add_f64 v[10:11], v[10:11], v[18:19]
	s_delay_alu instid0(VALU_DEP_4) | instskip(NEXT) | instid1(VALU_DEP_4)
	v_add_f64 v[12:13], v[12:13], v[34:35]
	v_fma_f64 v[4:5], v[4:5], v[26:27], v[14:15]
	s_delay_alu instid0(VALU_DEP_3) | instskip(NEXT) | instid1(VALU_DEP_3)
	v_add_f64 v[6:7], v[10:11], v[6:7]
	v_add_f64 v[8:9], v[12:13], v[8:9]
	s_delay_alu instid0(VALU_DEP_2) | instskip(NEXT) | instid1(VALU_DEP_2)
	v_add_f64 v[2:3], v[6:7], v[2:3]
	v_add_f64 v[4:5], v[8:9], v[4:5]
	s_waitcnt vmcnt(0)
	s_delay_alu instid0(VALU_DEP_2) | instskip(NEXT) | instid1(VALU_DEP_2)
	v_add_f64 v[2:3], v[30:31], -v[2:3]
	v_add_f64 v[4:5], v[32:33], -v[4:5]
	scratch_store_b128 off, v[2:5], off offset:384
	v_cmpx_lt_u32_e32 23, v126
	s_cbranch_execz .LBB105_219
; %bb.218:
	scratch_load_b128 v[5:8], v146, off
	v_mov_b32_e32 v2, v1
	v_mov_b32_e32 v3, v1
	;; [unrolled: 1-line block ×3, first 2 shown]
	scratch_store_b128 off, v[1:4], off offset:368
	s_waitcnt vmcnt(0)
	ds_store_b128 v168, v[5:8]
.LBB105_219:
	s_or_b32 exec_lo, exec_lo, s2
	s_waitcnt lgkmcnt(0)
	s_waitcnt_vscnt null, 0x0
	s_barrier
	buffer_gl0_inv
	s_clause 0x7
	scratch_load_b128 v[2:5], off, off offset:384
	scratch_load_b128 v[6:9], off, off offset:400
	;; [unrolled: 1-line block ×8, first 2 shown]
	ds_load_b128 v[34:37], v1 offset:1056
	ds_load_b128 v[169:172], v1 offset:1072
	s_clause 0x1
	scratch_load_b128 v[38:41], off, off offset:512
	scratch_load_b128 v[173:176], off, off offset:528
	s_mov_b32 s2, exec_lo
	s_waitcnt vmcnt(9) lgkmcnt(1)
	v_mul_f64 v[177:178], v[36:37], v[4:5]
	v_mul_f64 v[4:5], v[34:35], v[4:5]
	s_waitcnt vmcnt(8) lgkmcnt(0)
	v_mul_f64 v[179:180], v[169:170], v[8:9]
	v_mul_f64 v[8:9], v[171:172], v[8:9]
	s_delay_alu instid0(VALU_DEP_4) | instskip(NEXT) | instid1(VALU_DEP_4)
	v_fma_f64 v[177:178], v[34:35], v[2:3], -v[177:178]
	v_fma_f64 v[181:182], v[36:37], v[2:3], v[4:5]
	scratch_load_b128 v[34:37], off, off offset:544
	ds_load_b128 v[2:5], v1 offset:1088
	v_fma_f64 v[179:180], v[171:172], v[6:7], v[179:180]
	v_fma_f64 v[185:186], v[169:170], v[6:7], -v[8:9]
	ds_load_b128 v[6:9], v1 offset:1104
	scratch_load_b128 v[169:172], off, off offset:560
	s_waitcnt vmcnt(9) lgkmcnt(1)
	v_mul_f64 v[183:184], v[2:3], v[12:13]
	v_mul_f64 v[12:13], v[4:5], v[12:13]
	s_waitcnt vmcnt(8) lgkmcnt(0)
	v_mul_f64 v[187:188], v[6:7], v[16:17]
	v_mul_f64 v[16:17], v[8:9], v[16:17]
	v_add_f64 v[177:178], v[177:178], 0
	v_add_f64 v[181:182], v[181:182], 0
	v_fma_f64 v[183:184], v[4:5], v[10:11], v[183:184]
	v_fma_f64 v[189:190], v[2:3], v[10:11], -v[12:13]
	scratch_load_b128 v[10:13], off, off offset:576
	ds_load_b128 v[2:5], v1 offset:1120
	v_add_f64 v[177:178], v[177:178], v[185:186]
	v_add_f64 v[179:180], v[181:182], v[179:180]
	v_fma_f64 v[185:186], v[8:9], v[14:15], v[187:188]
	v_fma_f64 v[187:188], v[6:7], v[14:15], -v[16:17]
	ds_load_b128 v[6:9], v1 offset:1136
	scratch_load_b128 v[14:17], off, off offset:592
	s_waitcnt vmcnt(9) lgkmcnt(1)
	v_mul_f64 v[181:182], v[2:3], v[20:21]
	v_mul_f64 v[20:21], v[4:5], v[20:21]
	v_add_f64 v[177:178], v[177:178], v[189:190]
	v_add_f64 v[179:180], v[179:180], v[183:184]
	s_waitcnt vmcnt(8) lgkmcnt(0)
	v_mul_f64 v[183:184], v[6:7], v[24:25]
	v_mul_f64 v[24:25], v[8:9], v[24:25]
	v_fma_f64 v[181:182], v[4:5], v[18:19], v[181:182]
	v_fma_f64 v[189:190], v[2:3], v[18:19], -v[20:21]
	scratch_load_b128 v[18:21], off, off offset:608
	ds_load_b128 v[2:5], v1 offset:1152
	v_add_f64 v[177:178], v[177:178], v[187:188]
	v_add_f64 v[179:180], v[179:180], v[185:186]
	v_fma_f64 v[183:184], v[8:9], v[22:23], v[183:184]
	v_fma_f64 v[187:188], v[6:7], v[22:23], -v[24:25]
	ds_load_b128 v[6:9], v1 offset:1168
	s_waitcnt vmcnt(8) lgkmcnt(1)
	v_mul_f64 v[185:186], v[2:3], v[28:29]
	v_mul_f64 v[28:29], v[4:5], v[28:29]
	scratch_load_b128 v[22:25], off, off offset:624
	v_add_f64 v[177:178], v[177:178], v[189:190]
	v_add_f64 v[179:180], v[179:180], v[181:182]
	s_waitcnt vmcnt(8) lgkmcnt(0)
	v_mul_f64 v[181:182], v[6:7], v[32:33]
	v_mul_f64 v[32:33], v[8:9], v[32:33]
	v_fma_f64 v[185:186], v[4:5], v[26:27], v[185:186]
	v_fma_f64 v[189:190], v[2:3], v[26:27], -v[28:29]
	scratch_load_b128 v[26:29], off, off offset:640
	ds_load_b128 v[2:5], v1 offset:1184
	v_add_f64 v[177:178], v[177:178], v[187:188]
	v_add_f64 v[179:180], v[179:180], v[183:184]
	v_fma_f64 v[181:182], v[8:9], v[30:31], v[181:182]
	v_fma_f64 v[187:188], v[6:7], v[30:31], -v[32:33]
	ds_load_b128 v[6:9], v1 offset:1200
	s_waitcnt vmcnt(8) lgkmcnt(1)
	v_mul_f64 v[183:184], v[2:3], v[40:41]
	v_mul_f64 v[40:41], v[4:5], v[40:41]
	scratch_load_b128 v[30:33], off, off offset:656
	v_add_f64 v[177:178], v[177:178], v[189:190]
	v_add_f64 v[179:180], v[179:180], v[185:186]
	v_fma_f64 v[183:184], v[4:5], v[38:39], v[183:184]
	v_fma_f64 v[38:39], v[2:3], v[38:39], -v[40:41]
	ds_load_b128 v[2:5], v1 offset:1216
	v_add_f64 v[40:41], v[177:178], v[187:188]
	v_add_f64 v[177:178], v[179:180], v[181:182]
	s_waitcnt vmcnt(7) lgkmcnt(0)
	v_mul_f64 v[179:180], v[2:3], v[36:37]
	v_mul_f64 v[36:37], v[4:5], v[36:37]
	s_delay_alu instid0(VALU_DEP_4) | instskip(NEXT) | instid1(VALU_DEP_4)
	v_add_f64 v[38:39], v[40:41], v[38:39]
	v_add_f64 v[40:41], v[177:178], v[183:184]
	s_delay_alu instid0(VALU_DEP_4) | instskip(NEXT) | instid1(VALU_DEP_4)
	v_fma_f64 v[177:178], v[4:5], v[34:35], v[179:180]
	v_fma_f64 v[179:180], v[2:3], v[34:35], -v[36:37]
	scratch_load_b128 v[34:37], off, off offset:368
	v_mul_f64 v[185:186], v[6:7], v[175:176]
	v_mul_f64 v[175:176], v[8:9], v[175:176]
	ds_load_b128 v[2:5], v1 offset:1248
	v_fma_f64 v[181:182], v[8:9], v[173:174], v[185:186]
	v_fma_f64 v[173:174], v[6:7], v[173:174], -v[175:176]
	ds_load_b128 v[6:9], v1 offset:1232
	s_waitcnt vmcnt(7) lgkmcnt(0)
	v_mul_f64 v[175:176], v[6:7], v[171:172]
	v_mul_f64 v[171:172], v[8:9], v[171:172]
	v_add_f64 v[40:41], v[40:41], v[181:182]
	v_add_f64 v[38:39], v[38:39], v[173:174]
	s_waitcnt vmcnt(6)
	v_mul_f64 v[173:174], v[2:3], v[12:13]
	v_mul_f64 v[12:13], v[4:5], v[12:13]
	v_fma_f64 v[175:176], v[8:9], v[169:170], v[175:176]
	v_fma_f64 v[169:170], v[6:7], v[169:170], -v[171:172]
	ds_load_b128 v[6:9], v1 offset:1264
	v_add_f64 v[40:41], v[40:41], v[177:178]
	v_add_f64 v[38:39], v[38:39], v[179:180]
	v_fma_f64 v[173:174], v[4:5], v[10:11], v[173:174]
	v_fma_f64 v[10:11], v[2:3], v[10:11], -v[12:13]
	ds_load_b128 v[2:5], v1 offset:1280
	s_waitcnt vmcnt(5) lgkmcnt(1)
	v_mul_f64 v[171:172], v[6:7], v[16:17]
	v_mul_f64 v[16:17], v[8:9], v[16:17]
	v_add_f64 v[12:13], v[38:39], v[169:170]
	v_add_f64 v[38:39], v[40:41], v[175:176]
	s_waitcnt vmcnt(4) lgkmcnt(0)
	v_mul_f64 v[40:41], v[2:3], v[20:21]
	v_mul_f64 v[20:21], v[4:5], v[20:21]
	v_fma_f64 v[169:170], v[8:9], v[14:15], v[171:172]
	v_fma_f64 v[14:15], v[6:7], v[14:15], -v[16:17]
	ds_load_b128 v[6:9], v1 offset:1296
	v_add_f64 v[10:11], v[12:13], v[10:11]
	v_add_f64 v[12:13], v[38:39], v[173:174]
	v_fma_f64 v[38:39], v[4:5], v[18:19], v[40:41]
	v_fma_f64 v[18:19], v[2:3], v[18:19], -v[20:21]
	ds_load_b128 v[2:5], v1 offset:1312
	s_waitcnt vmcnt(3) lgkmcnt(1)
	v_mul_f64 v[16:17], v[6:7], v[24:25]
	v_mul_f64 v[24:25], v[8:9], v[24:25]
	s_waitcnt vmcnt(2) lgkmcnt(0)
	v_mul_f64 v[20:21], v[4:5], v[28:29]
	v_add_f64 v[10:11], v[10:11], v[14:15]
	v_add_f64 v[12:13], v[12:13], v[169:170]
	v_mul_f64 v[14:15], v[2:3], v[28:29]
	v_fma_f64 v[16:17], v[8:9], v[22:23], v[16:17]
	v_fma_f64 v[22:23], v[6:7], v[22:23], -v[24:25]
	ds_load_b128 v[6:9], v1 offset:1328
	v_fma_f64 v[1:2], v[2:3], v[26:27], -v[20:21]
	s_waitcnt vmcnt(1) lgkmcnt(0)
	v_mul_f64 v[24:25], v[8:9], v[32:33]
	v_add_f64 v[10:11], v[10:11], v[18:19]
	v_add_f64 v[12:13], v[12:13], v[38:39]
	v_mul_f64 v[18:19], v[6:7], v[32:33]
	v_fma_f64 v[4:5], v[4:5], v[26:27], v[14:15]
	v_fma_f64 v[6:7], v[6:7], v[30:31], -v[24:25]
	v_add_f64 v[10:11], v[10:11], v[22:23]
	v_add_f64 v[12:13], v[12:13], v[16:17]
	v_fma_f64 v[8:9], v[8:9], v[30:31], v[18:19]
	s_delay_alu instid0(VALU_DEP_3) | instskip(NEXT) | instid1(VALU_DEP_3)
	v_add_f64 v[1:2], v[10:11], v[1:2]
	v_add_f64 v[3:4], v[12:13], v[4:5]
	s_delay_alu instid0(VALU_DEP_2) | instskip(NEXT) | instid1(VALU_DEP_2)
	v_add_f64 v[1:2], v[1:2], v[6:7]
	v_add_f64 v[3:4], v[3:4], v[8:9]
	s_waitcnt vmcnt(0)
	s_delay_alu instid0(VALU_DEP_2) | instskip(NEXT) | instid1(VALU_DEP_2)
	v_add_f64 v[1:2], v[34:35], -v[1:2]
	v_add_f64 v[3:4], v[36:37], -v[3:4]
	scratch_store_b128 off, v[1:4], off offset:368
	v_cmpx_lt_u32_e32 22, v126
	s_cbranch_execz .LBB105_221
; %bb.220:
	scratch_load_b128 v[1:4], v145, off
	v_mov_b32_e32 v5, 0
	s_delay_alu instid0(VALU_DEP_1)
	v_mov_b32_e32 v6, v5
	v_mov_b32_e32 v7, v5
	;; [unrolled: 1-line block ×3, first 2 shown]
	scratch_store_b128 off, v[5:8], off offset:352
	s_waitcnt vmcnt(0)
	ds_store_b128 v168, v[1:4]
.LBB105_221:
	s_or_b32 exec_lo, exec_lo, s2
	s_waitcnt lgkmcnt(0)
	s_waitcnt_vscnt null, 0x0
	s_barrier
	buffer_gl0_inv
	s_clause 0x7
	scratch_load_b128 v[2:5], off, off offset:368
	scratch_load_b128 v[6:9], off, off offset:384
	;; [unrolled: 1-line block ×8, first 2 shown]
	v_mov_b32_e32 v1, 0
	s_clause 0x1
	scratch_load_b128 v[38:41], off, off offset:496
	scratch_load_b128 v[173:176], off, off offset:512
	s_mov_b32 s2, exec_lo
	ds_load_b128 v[34:37], v1 offset:1040
	ds_load_b128 v[169:172], v1 offset:1056
	s_waitcnt vmcnt(9) lgkmcnt(1)
	v_mul_f64 v[177:178], v[36:37], v[4:5]
	v_mul_f64 v[4:5], v[34:35], v[4:5]
	s_waitcnt vmcnt(8) lgkmcnt(0)
	v_mul_f64 v[179:180], v[169:170], v[8:9]
	v_mul_f64 v[8:9], v[171:172], v[8:9]
	s_delay_alu instid0(VALU_DEP_4) | instskip(NEXT) | instid1(VALU_DEP_4)
	v_fma_f64 v[177:178], v[34:35], v[2:3], -v[177:178]
	v_fma_f64 v[181:182], v[36:37], v[2:3], v[4:5]
	ds_load_b128 v[2:5], v1 offset:1072
	scratch_load_b128 v[34:37], off, off offset:528
	v_fma_f64 v[179:180], v[171:172], v[6:7], v[179:180]
	v_fma_f64 v[185:186], v[169:170], v[6:7], -v[8:9]
	scratch_load_b128 v[169:172], off, off offset:544
	ds_load_b128 v[6:9], v1 offset:1088
	s_waitcnt vmcnt(9) lgkmcnt(1)
	v_mul_f64 v[183:184], v[2:3], v[12:13]
	v_mul_f64 v[12:13], v[4:5], v[12:13]
	s_waitcnt vmcnt(8) lgkmcnt(0)
	v_mul_f64 v[187:188], v[6:7], v[16:17]
	v_mul_f64 v[16:17], v[8:9], v[16:17]
	v_add_f64 v[177:178], v[177:178], 0
	v_add_f64 v[181:182], v[181:182], 0
	v_fma_f64 v[183:184], v[4:5], v[10:11], v[183:184]
	v_fma_f64 v[189:190], v[2:3], v[10:11], -v[12:13]
	ds_load_b128 v[2:5], v1 offset:1104
	scratch_load_b128 v[10:13], off, off offset:560
	v_add_f64 v[177:178], v[177:178], v[185:186]
	v_add_f64 v[179:180], v[181:182], v[179:180]
	v_fma_f64 v[185:186], v[8:9], v[14:15], v[187:188]
	v_fma_f64 v[187:188], v[6:7], v[14:15], -v[16:17]
	ds_load_b128 v[6:9], v1 offset:1120
	scratch_load_b128 v[14:17], off, off offset:576
	s_waitcnt vmcnt(9) lgkmcnt(1)
	v_mul_f64 v[181:182], v[2:3], v[20:21]
	v_mul_f64 v[20:21], v[4:5], v[20:21]
	v_add_f64 v[177:178], v[177:178], v[189:190]
	v_add_f64 v[179:180], v[179:180], v[183:184]
	s_waitcnt vmcnt(8) lgkmcnt(0)
	v_mul_f64 v[183:184], v[6:7], v[24:25]
	v_mul_f64 v[24:25], v[8:9], v[24:25]
	v_fma_f64 v[181:182], v[4:5], v[18:19], v[181:182]
	v_fma_f64 v[189:190], v[2:3], v[18:19], -v[20:21]
	scratch_load_b128 v[18:21], off, off offset:592
	ds_load_b128 v[2:5], v1 offset:1136
	v_add_f64 v[177:178], v[177:178], v[187:188]
	v_add_f64 v[179:180], v[179:180], v[185:186]
	v_fma_f64 v[183:184], v[8:9], v[22:23], v[183:184]
	v_fma_f64 v[187:188], v[6:7], v[22:23], -v[24:25]
	ds_load_b128 v[6:9], v1 offset:1152
	s_waitcnt vmcnt(8) lgkmcnt(1)
	v_mul_f64 v[185:186], v[2:3], v[28:29]
	v_mul_f64 v[28:29], v[4:5], v[28:29]
	scratch_load_b128 v[22:25], off, off offset:608
	v_add_f64 v[177:178], v[177:178], v[189:190]
	v_add_f64 v[179:180], v[179:180], v[181:182]
	s_waitcnt vmcnt(8) lgkmcnt(0)
	v_mul_f64 v[181:182], v[6:7], v[32:33]
	v_mul_f64 v[32:33], v[8:9], v[32:33]
	v_fma_f64 v[185:186], v[4:5], v[26:27], v[185:186]
	v_fma_f64 v[189:190], v[2:3], v[26:27], -v[28:29]
	scratch_load_b128 v[26:29], off, off offset:624
	ds_load_b128 v[2:5], v1 offset:1168
	v_add_f64 v[177:178], v[177:178], v[187:188]
	v_add_f64 v[179:180], v[179:180], v[183:184]
	v_fma_f64 v[181:182], v[8:9], v[30:31], v[181:182]
	v_fma_f64 v[187:188], v[6:7], v[30:31], -v[32:33]
	ds_load_b128 v[6:9], v1 offset:1184
	s_waitcnt vmcnt(8) lgkmcnt(1)
	v_mul_f64 v[183:184], v[2:3], v[40:41]
	v_mul_f64 v[40:41], v[4:5], v[40:41]
	scratch_load_b128 v[30:33], off, off offset:640
	v_add_f64 v[177:178], v[177:178], v[189:190]
	v_add_f64 v[179:180], v[179:180], v[185:186]
	s_waitcnt vmcnt(8) lgkmcnt(0)
	v_mul_f64 v[185:186], v[6:7], v[175:176]
	v_mul_f64 v[175:176], v[8:9], v[175:176]
	v_fma_f64 v[183:184], v[4:5], v[38:39], v[183:184]
	v_fma_f64 v[189:190], v[2:3], v[38:39], -v[40:41]
	scratch_load_b128 v[38:41], off, off offset:656
	ds_load_b128 v[2:5], v1 offset:1200
	v_add_f64 v[177:178], v[177:178], v[187:188]
	v_add_f64 v[179:180], v[179:180], v[181:182]
	v_fma_f64 v[185:186], v[8:9], v[173:174], v[185:186]
	v_fma_f64 v[173:174], v[6:7], v[173:174], -v[175:176]
	ds_load_b128 v[6:9], v1 offset:1216
	s_waitcnt vmcnt(8) lgkmcnt(1)
	v_mul_f64 v[181:182], v[2:3], v[36:37]
	v_mul_f64 v[36:37], v[4:5], v[36:37]
	v_add_f64 v[175:176], v[177:178], v[189:190]
	v_add_f64 v[177:178], v[179:180], v[183:184]
	s_waitcnt vmcnt(7) lgkmcnt(0)
	v_mul_f64 v[179:180], v[6:7], v[171:172]
	v_mul_f64 v[171:172], v[8:9], v[171:172]
	v_fma_f64 v[181:182], v[4:5], v[34:35], v[181:182]
	v_fma_f64 v[34:35], v[2:3], v[34:35], -v[36:37]
	ds_load_b128 v[2:5], v1 offset:1232
	v_add_f64 v[36:37], v[175:176], v[173:174]
	v_add_f64 v[173:174], v[177:178], v[185:186]
	v_fma_f64 v[177:178], v[8:9], v[169:170], v[179:180]
	v_fma_f64 v[169:170], v[6:7], v[169:170], -v[171:172]
	ds_load_b128 v[6:9], v1 offset:1248
	s_waitcnt vmcnt(5) lgkmcnt(0)
	v_mul_f64 v[179:180], v[6:7], v[16:17]
	v_mul_f64 v[16:17], v[8:9], v[16:17]
	v_add_f64 v[171:172], v[36:37], v[34:35]
	v_add_f64 v[173:174], v[173:174], v[181:182]
	scratch_load_b128 v[34:37], off, off offset:352
	v_mul_f64 v[175:176], v[2:3], v[12:13]
	v_mul_f64 v[12:13], v[4:5], v[12:13]
	s_delay_alu instid0(VALU_DEP_2) | instskip(NEXT) | instid1(VALU_DEP_2)
	v_fma_f64 v[175:176], v[4:5], v[10:11], v[175:176]
	v_fma_f64 v[10:11], v[2:3], v[10:11], -v[12:13]
	v_add_f64 v[12:13], v[171:172], v[169:170]
	v_add_f64 v[169:170], v[173:174], v[177:178]
	ds_load_b128 v[2:5], v1 offset:1264
	v_fma_f64 v[173:174], v[8:9], v[14:15], v[179:180]
	v_fma_f64 v[14:15], v[6:7], v[14:15], -v[16:17]
	ds_load_b128 v[6:9], v1 offset:1280
	s_waitcnt vmcnt(5) lgkmcnt(1)
	v_mul_f64 v[171:172], v[2:3], v[20:21]
	v_mul_f64 v[20:21], v[4:5], v[20:21]
	s_waitcnt vmcnt(4) lgkmcnt(0)
	v_mul_f64 v[16:17], v[6:7], v[24:25]
	v_mul_f64 v[24:25], v[8:9], v[24:25]
	v_add_f64 v[10:11], v[12:13], v[10:11]
	v_add_f64 v[12:13], v[169:170], v[175:176]
	v_fma_f64 v[169:170], v[4:5], v[18:19], v[171:172]
	v_fma_f64 v[18:19], v[2:3], v[18:19], -v[20:21]
	ds_load_b128 v[2:5], v1 offset:1296
	v_fma_f64 v[16:17], v[8:9], v[22:23], v[16:17]
	v_fma_f64 v[22:23], v[6:7], v[22:23], -v[24:25]
	ds_load_b128 v[6:9], v1 offset:1312
	v_add_f64 v[10:11], v[10:11], v[14:15]
	v_add_f64 v[12:13], v[12:13], v[173:174]
	s_waitcnt vmcnt(3) lgkmcnt(1)
	v_mul_f64 v[14:15], v[2:3], v[28:29]
	v_mul_f64 v[20:21], v[4:5], v[28:29]
	s_waitcnt vmcnt(2) lgkmcnt(0)
	v_mul_f64 v[24:25], v[8:9], v[32:33]
	v_add_f64 v[10:11], v[10:11], v[18:19]
	v_add_f64 v[12:13], v[12:13], v[169:170]
	v_mul_f64 v[18:19], v[6:7], v[32:33]
	v_fma_f64 v[14:15], v[4:5], v[26:27], v[14:15]
	v_fma_f64 v[20:21], v[2:3], v[26:27], -v[20:21]
	ds_load_b128 v[2:5], v1 offset:1328
	v_fma_f64 v[6:7], v[6:7], v[30:31], -v[24:25]
	v_add_f64 v[10:11], v[10:11], v[22:23]
	v_add_f64 v[12:13], v[12:13], v[16:17]
	s_waitcnt vmcnt(1) lgkmcnt(0)
	v_mul_f64 v[16:17], v[2:3], v[40:41]
	v_mul_f64 v[22:23], v[4:5], v[40:41]
	v_fma_f64 v[8:9], v[8:9], v[30:31], v[18:19]
	v_add_f64 v[10:11], v[10:11], v[20:21]
	v_add_f64 v[12:13], v[12:13], v[14:15]
	v_fma_f64 v[4:5], v[4:5], v[38:39], v[16:17]
	v_fma_f64 v[2:3], v[2:3], v[38:39], -v[22:23]
	s_delay_alu instid0(VALU_DEP_4) | instskip(NEXT) | instid1(VALU_DEP_4)
	v_add_f64 v[6:7], v[10:11], v[6:7]
	v_add_f64 v[8:9], v[12:13], v[8:9]
	s_delay_alu instid0(VALU_DEP_2) | instskip(NEXT) | instid1(VALU_DEP_2)
	v_add_f64 v[2:3], v[6:7], v[2:3]
	v_add_f64 v[4:5], v[8:9], v[4:5]
	s_waitcnt vmcnt(0)
	s_delay_alu instid0(VALU_DEP_2) | instskip(NEXT) | instid1(VALU_DEP_2)
	v_add_f64 v[2:3], v[34:35], -v[2:3]
	v_add_f64 v[4:5], v[36:37], -v[4:5]
	scratch_store_b128 off, v[2:5], off offset:352
	v_cmpx_lt_u32_e32 21, v126
	s_cbranch_execz .LBB105_223
; %bb.222:
	scratch_load_b128 v[5:8], v151, off
	v_mov_b32_e32 v2, v1
	v_mov_b32_e32 v3, v1
	;; [unrolled: 1-line block ×3, first 2 shown]
	scratch_store_b128 off, v[1:4], off offset:336
	s_waitcnt vmcnt(0)
	ds_store_b128 v168, v[5:8]
.LBB105_223:
	s_or_b32 exec_lo, exec_lo, s2
	s_waitcnt lgkmcnt(0)
	s_waitcnt_vscnt null, 0x0
	s_barrier
	buffer_gl0_inv
	s_clause 0x7
	scratch_load_b128 v[2:5], off, off offset:352
	scratch_load_b128 v[6:9], off, off offset:368
	;; [unrolled: 1-line block ×8, first 2 shown]
	ds_load_b128 v[34:37], v1 offset:1024
	ds_load_b128 v[169:172], v1 offset:1040
	s_clause 0x1
	scratch_load_b128 v[38:41], off, off offset:480
	scratch_load_b128 v[173:176], off, off offset:496
	s_mov_b32 s2, exec_lo
	s_waitcnt vmcnt(9) lgkmcnt(1)
	v_mul_f64 v[177:178], v[36:37], v[4:5]
	v_mul_f64 v[4:5], v[34:35], v[4:5]
	s_waitcnt vmcnt(8) lgkmcnt(0)
	v_mul_f64 v[179:180], v[169:170], v[8:9]
	v_mul_f64 v[8:9], v[171:172], v[8:9]
	s_delay_alu instid0(VALU_DEP_4) | instskip(NEXT) | instid1(VALU_DEP_4)
	v_fma_f64 v[177:178], v[34:35], v[2:3], -v[177:178]
	v_fma_f64 v[181:182], v[36:37], v[2:3], v[4:5]
	ds_load_b128 v[2:5], v1 offset:1056
	scratch_load_b128 v[34:37], off, off offset:512
	v_fma_f64 v[179:180], v[171:172], v[6:7], v[179:180]
	v_fma_f64 v[185:186], v[169:170], v[6:7], -v[8:9]
	ds_load_b128 v[6:9], v1 offset:1072
	scratch_load_b128 v[169:172], off, off offset:528
	s_waitcnt vmcnt(9) lgkmcnt(1)
	v_mul_f64 v[183:184], v[2:3], v[12:13]
	v_mul_f64 v[12:13], v[4:5], v[12:13]
	s_waitcnt vmcnt(8) lgkmcnt(0)
	v_mul_f64 v[187:188], v[6:7], v[16:17]
	v_mul_f64 v[16:17], v[8:9], v[16:17]
	v_add_f64 v[177:178], v[177:178], 0
	v_add_f64 v[181:182], v[181:182], 0
	v_fma_f64 v[183:184], v[4:5], v[10:11], v[183:184]
	v_fma_f64 v[189:190], v[2:3], v[10:11], -v[12:13]
	scratch_load_b128 v[10:13], off, off offset:544
	ds_load_b128 v[2:5], v1 offset:1088
	v_add_f64 v[177:178], v[177:178], v[185:186]
	v_add_f64 v[179:180], v[181:182], v[179:180]
	v_fma_f64 v[185:186], v[8:9], v[14:15], v[187:188]
	v_fma_f64 v[187:188], v[6:7], v[14:15], -v[16:17]
	ds_load_b128 v[6:9], v1 offset:1104
	scratch_load_b128 v[14:17], off, off offset:560
	s_waitcnt vmcnt(9) lgkmcnt(1)
	v_mul_f64 v[181:182], v[2:3], v[20:21]
	v_mul_f64 v[20:21], v[4:5], v[20:21]
	v_add_f64 v[177:178], v[177:178], v[189:190]
	v_add_f64 v[179:180], v[179:180], v[183:184]
	s_waitcnt vmcnt(8) lgkmcnt(0)
	v_mul_f64 v[183:184], v[6:7], v[24:25]
	v_mul_f64 v[24:25], v[8:9], v[24:25]
	v_fma_f64 v[181:182], v[4:5], v[18:19], v[181:182]
	v_fma_f64 v[189:190], v[2:3], v[18:19], -v[20:21]
	scratch_load_b128 v[18:21], off, off offset:576
	ds_load_b128 v[2:5], v1 offset:1120
	v_add_f64 v[177:178], v[177:178], v[187:188]
	v_add_f64 v[179:180], v[179:180], v[185:186]
	v_fma_f64 v[183:184], v[8:9], v[22:23], v[183:184]
	v_fma_f64 v[187:188], v[6:7], v[22:23], -v[24:25]
	ds_load_b128 v[6:9], v1 offset:1136
	s_waitcnt vmcnt(8) lgkmcnt(1)
	v_mul_f64 v[185:186], v[2:3], v[28:29]
	v_mul_f64 v[28:29], v[4:5], v[28:29]
	scratch_load_b128 v[22:25], off, off offset:592
	v_add_f64 v[177:178], v[177:178], v[189:190]
	v_add_f64 v[179:180], v[179:180], v[181:182]
	s_waitcnt vmcnt(8) lgkmcnt(0)
	v_mul_f64 v[181:182], v[6:7], v[32:33]
	v_mul_f64 v[32:33], v[8:9], v[32:33]
	v_fma_f64 v[185:186], v[4:5], v[26:27], v[185:186]
	v_fma_f64 v[189:190], v[2:3], v[26:27], -v[28:29]
	scratch_load_b128 v[26:29], off, off offset:608
	ds_load_b128 v[2:5], v1 offset:1152
	v_add_f64 v[177:178], v[177:178], v[187:188]
	v_add_f64 v[179:180], v[179:180], v[183:184]
	v_fma_f64 v[181:182], v[8:9], v[30:31], v[181:182]
	v_fma_f64 v[187:188], v[6:7], v[30:31], -v[32:33]
	ds_load_b128 v[6:9], v1 offset:1168
	s_waitcnt vmcnt(8) lgkmcnt(1)
	v_mul_f64 v[183:184], v[2:3], v[40:41]
	v_mul_f64 v[40:41], v[4:5], v[40:41]
	scratch_load_b128 v[30:33], off, off offset:624
	v_add_f64 v[177:178], v[177:178], v[189:190]
	v_add_f64 v[179:180], v[179:180], v[185:186]
	s_waitcnt vmcnt(8) lgkmcnt(0)
	v_mul_f64 v[185:186], v[6:7], v[175:176]
	v_mul_f64 v[175:176], v[8:9], v[175:176]
	v_fma_f64 v[183:184], v[4:5], v[38:39], v[183:184]
	v_fma_f64 v[189:190], v[2:3], v[38:39], -v[40:41]
	scratch_load_b128 v[38:41], off, off offset:640
	ds_load_b128 v[2:5], v1 offset:1184
	v_add_f64 v[177:178], v[177:178], v[187:188]
	v_add_f64 v[179:180], v[179:180], v[181:182]
	v_fma_f64 v[185:186], v[8:9], v[173:174], v[185:186]
	v_fma_f64 v[187:188], v[6:7], v[173:174], -v[175:176]
	ds_load_b128 v[6:9], v1 offset:1200
	scratch_load_b128 v[173:176], off, off offset:656
	s_waitcnt vmcnt(9) lgkmcnt(1)
	v_mul_f64 v[181:182], v[2:3], v[36:37]
	v_mul_f64 v[36:37], v[4:5], v[36:37]
	v_add_f64 v[177:178], v[177:178], v[189:190]
	v_add_f64 v[179:180], v[179:180], v[183:184]
	s_delay_alu instid0(VALU_DEP_4) | instskip(NEXT) | instid1(VALU_DEP_4)
	v_fma_f64 v[181:182], v[4:5], v[34:35], v[181:182]
	v_fma_f64 v[34:35], v[2:3], v[34:35], -v[36:37]
	ds_load_b128 v[2:5], v1 offset:1216
	v_add_f64 v[36:37], v[177:178], v[187:188]
	v_add_f64 v[177:178], v[179:180], v[185:186]
	s_waitcnt vmcnt(7) lgkmcnt(0)
	v_mul_f64 v[179:180], v[2:3], v[12:13]
	v_mul_f64 v[12:13], v[4:5], v[12:13]
	s_delay_alu instid0(VALU_DEP_4) | instskip(NEXT) | instid1(VALU_DEP_4)
	v_add_f64 v[34:35], v[36:37], v[34:35]
	v_add_f64 v[36:37], v[177:178], v[181:182]
	s_delay_alu instid0(VALU_DEP_4) | instskip(NEXT) | instid1(VALU_DEP_4)
	v_fma_f64 v[177:178], v[4:5], v[10:11], v[179:180]
	v_fma_f64 v[179:180], v[2:3], v[10:11], -v[12:13]
	scratch_load_b128 v[10:13], off, off offset:336
	v_mul_f64 v[183:184], v[6:7], v[171:172]
	v_mul_f64 v[171:172], v[8:9], v[171:172]
	ds_load_b128 v[2:5], v1 offset:1248
	v_fma_f64 v[183:184], v[8:9], v[169:170], v[183:184]
	v_fma_f64 v[169:170], v[6:7], v[169:170], -v[171:172]
	ds_load_b128 v[6:9], v1 offset:1232
	s_waitcnt vmcnt(7) lgkmcnt(0)
	v_mul_f64 v[171:172], v[6:7], v[16:17]
	v_mul_f64 v[16:17], v[8:9], v[16:17]
	v_add_f64 v[36:37], v[36:37], v[183:184]
	v_add_f64 v[34:35], v[34:35], v[169:170]
	s_waitcnt vmcnt(6)
	v_mul_f64 v[169:170], v[2:3], v[20:21]
	v_mul_f64 v[20:21], v[4:5], v[20:21]
	v_fma_f64 v[171:172], v[8:9], v[14:15], v[171:172]
	v_fma_f64 v[14:15], v[6:7], v[14:15], -v[16:17]
	ds_load_b128 v[6:9], v1 offset:1264
	v_add_f64 v[16:17], v[34:35], v[179:180]
	v_add_f64 v[34:35], v[36:37], v[177:178]
	v_fma_f64 v[169:170], v[4:5], v[18:19], v[169:170]
	v_fma_f64 v[18:19], v[2:3], v[18:19], -v[20:21]
	ds_load_b128 v[2:5], v1 offset:1280
	s_waitcnt vmcnt(5) lgkmcnt(1)
	v_mul_f64 v[36:37], v[6:7], v[24:25]
	v_mul_f64 v[24:25], v[8:9], v[24:25]
	s_waitcnt vmcnt(4) lgkmcnt(0)
	v_mul_f64 v[20:21], v[2:3], v[28:29]
	v_mul_f64 v[28:29], v[4:5], v[28:29]
	v_add_f64 v[14:15], v[16:17], v[14:15]
	v_add_f64 v[16:17], v[34:35], v[171:172]
	v_fma_f64 v[34:35], v[8:9], v[22:23], v[36:37]
	v_fma_f64 v[22:23], v[6:7], v[22:23], -v[24:25]
	ds_load_b128 v[6:9], v1 offset:1296
	v_fma_f64 v[20:21], v[4:5], v[26:27], v[20:21]
	v_fma_f64 v[26:27], v[2:3], v[26:27], -v[28:29]
	ds_load_b128 v[2:5], v1 offset:1312
	s_waitcnt vmcnt(3) lgkmcnt(1)
	v_mul_f64 v[24:25], v[8:9], v[32:33]
	v_add_f64 v[14:15], v[14:15], v[18:19]
	v_add_f64 v[16:17], v[16:17], v[169:170]
	v_mul_f64 v[18:19], v[6:7], v[32:33]
	s_waitcnt vmcnt(2) lgkmcnt(0)
	v_mul_f64 v[28:29], v[4:5], v[40:41]
	v_fma_f64 v[24:25], v[6:7], v[30:31], -v[24:25]
	v_add_f64 v[14:15], v[14:15], v[22:23]
	v_add_f64 v[16:17], v[16:17], v[34:35]
	v_mul_f64 v[22:23], v[2:3], v[40:41]
	v_fma_f64 v[18:19], v[8:9], v[30:31], v[18:19]
	ds_load_b128 v[6:9], v1 offset:1328
	v_fma_f64 v[1:2], v[2:3], v[38:39], -v[28:29]
	v_add_f64 v[14:15], v[14:15], v[26:27]
	v_add_f64 v[16:17], v[16:17], v[20:21]
	s_waitcnt vmcnt(1) lgkmcnt(0)
	v_mul_f64 v[20:21], v[6:7], v[175:176]
	v_mul_f64 v[26:27], v[8:9], v[175:176]
	v_fma_f64 v[4:5], v[4:5], v[38:39], v[22:23]
	v_add_f64 v[14:15], v[14:15], v[24:25]
	v_add_f64 v[16:17], v[16:17], v[18:19]
	v_fma_f64 v[8:9], v[8:9], v[173:174], v[20:21]
	v_fma_f64 v[6:7], v[6:7], v[173:174], -v[26:27]
	s_delay_alu instid0(VALU_DEP_4) | instskip(NEXT) | instid1(VALU_DEP_4)
	v_add_f64 v[1:2], v[14:15], v[1:2]
	v_add_f64 v[3:4], v[16:17], v[4:5]
	s_delay_alu instid0(VALU_DEP_2) | instskip(NEXT) | instid1(VALU_DEP_2)
	v_add_f64 v[1:2], v[1:2], v[6:7]
	v_add_f64 v[3:4], v[3:4], v[8:9]
	s_waitcnt vmcnt(0)
	s_delay_alu instid0(VALU_DEP_2) | instskip(NEXT) | instid1(VALU_DEP_2)
	v_add_f64 v[1:2], v[10:11], -v[1:2]
	v_add_f64 v[3:4], v[12:13], -v[3:4]
	scratch_store_b128 off, v[1:4], off offset:336
	v_cmpx_lt_u32_e32 20, v126
	s_cbranch_execz .LBB105_225
; %bb.224:
	scratch_load_b128 v[1:4], v152, off
	v_mov_b32_e32 v5, 0
	s_delay_alu instid0(VALU_DEP_1)
	v_mov_b32_e32 v6, v5
	v_mov_b32_e32 v7, v5
	v_mov_b32_e32 v8, v5
	scratch_store_b128 off, v[5:8], off offset:320
	s_waitcnt vmcnt(0)
	ds_store_b128 v168, v[1:4]
.LBB105_225:
	s_or_b32 exec_lo, exec_lo, s2
	s_waitcnt lgkmcnt(0)
	s_waitcnt_vscnt null, 0x0
	s_barrier
	buffer_gl0_inv
	s_clause 0x7
	scratch_load_b128 v[2:5], off, off offset:336
	scratch_load_b128 v[6:9], off, off offset:352
	;; [unrolled: 1-line block ×8, first 2 shown]
	v_mov_b32_e32 v1, 0
	s_clause 0x1
	scratch_load_b128 v[38:41], off, off offset:464
	scratch_load_b128 v[173:176], off, off offset:480
	s_mov_b32 s2, exec_lo
	ds_load_b128 v[34:37], v1 offset:1008
	ds_load_b128 v[169:172], v1 offset:1024
	s_waitcnt vmcnt(9) lgkmcnt(1)
	v_mul_f64 v[177:178], v[36:37], v[4:5]
	v_mul_f64 v[4:5], v[34:35], v[4:5]
	s_waitcnt vmcnt(8) lgkmcnt(0)
	v_mul_f64 v[179:180], v[169:170], v[8:9]
	v_mul_f64 v[8:9], v[171:172], v[8:9]
	s_delay_alu instid0(VALU_DEP_4) | instskip(NEXT) | instid1(VALU_DEP_4)
	v_fma_f64 v[177:178], v[34:35], v[2:3], -v[177:178]
	v_fma_f64 v[181:182], v[36:37], v[2:3], v[4:5]
	ds_load_b128 v[2:5], v1 offset:1040
	scratch_load_b128 v[34:37], off, off offset:496
	v_fma_f64 v[179:180], v[171:172], v[6:7], v[179:180]
	v_fma_f64 v[185:186], v[169:170], v[6:7], -v[8:9]
	scratch_load_b128 v[169:172], off, off offset:512
	ds_load_b128 v[6:9], v1 offset:1056
	s_waitcnt vmcnt(9) lgkmcnt(1)
	v_mul_f64 v[183:184], v[2:3], v[12:13]
	v_mul_f64 v[12:13], v[4:5], v[12:13]
	s_waitcnt vmcnt(8) lgkmcnt(0)
	v_mul_f64 v[187:188], v[6:7], v[16:17]
	v_mul_f64 v[16:17], v[8:9], v[16:17]
	v_add_f64 v[177:178], v[177:178], 0
	v_add_f64 v[181:182], v[181:182], 0
	v_fma_f64 v[183:184], v[4:5], v[10:11], v[183:184]
	v_fma_f64 v[189:190], v[2:3], v[10:11], -v[12:13]
	ds_load_b128 v[2:5], v1 offset:1072
	scratch_load_b128 v[10:13], off, off offset:528
	v_add_f64 v[177:178], v[177:178], v[185:186]
	v_add_f64 v[179:180], v[181:182], v[179:180]
	v_fma_f64 v[185:186], v[8:9], v[14:15], v[187:188]
	v_fma_f64 v[187:188], v[6:7], v[14:15], -v[16:17]
	scratch_load_b128 v[14:17], off, off offset:544
	ds_load_b128 v[6:9], v1 offset:1088
	s_waitcnt vmcnt(9) lgkmcnt(1)
	v_mul_f64 v[181:182], v[2:3], v[20:21]
	v_mul_f64 v[20:21], v[4:5], v[20:21]
	v_add_f64 v[177:178], v[177:178], v[189:190]
	v_add_f64 v[179:180], v[179:180], v[183:184]
	s_waitcnt vmcnt(8) lgkmcnt(0)
	v_mul_f64 v[183:184], v[6:7], v[24:25]
	v_mul_f64 v[24:25], v[8:9], v[24:25]
	v_fma_f64 v[181:182], v[4:5], v[18:19], v[181:182]
	v_fma_f64 v[189:190], v[2:3], v[18:19], -v[20:21]
	ds_load_b128 v[2:5], v1 offset:1104
	scratch_load_b128 v[18:21], off, off offset:560
	v_add_f64 v[177:178], v[177:178], v[187:188]
	v_add_f64 v[179:180], v[179:180], v[185:186]
	v_fma_f64 v[183:184], v[8:9], v[22:23], v[183:184]
	v_fma_f64 v[187:188], v[6:7], v[22:23], -v[24:25]
	ds_load_b128 v[6:9], v1 offset:1120
	s_waitcnt vmcnt(8) lgkmcnt(1)
	v_mul_f64 v[185:186], v[2:3], v[28:29]
	v_mul_f64 v[28:29], v[4:5], v[28:29]
	scratch_load_b128 v[22:25], off, off offset:576
	v_add_f64 v[177:178], v[177:178], v[189:190]
	v_add_f64 v[179:180], v[179:180], v[181:182]
	s_waitcnt vmcnt(8) lgkmcnt(0)
	v_mul_f64 v[181:182], v[6:7], v[32:33]
	v_mul_f64 v[32:33], v[8:9], v[32:33]
	v_fma_f64 v[185:186], v[4:5], v[26:27], v[185:186]
	v_fma_f64 v[189:190], v[2:3], v[26:27], -v[28:29]
	scratch_load_b128 v[26:29], off, off offset:592
	ds_load_b128 v[2:5], v1 offset:1136
	v_add_f64 v[177:178], v[177:178], v[187:188]
	v_add_f64 v[179:180], v[179:180], v[183:184]
	v_fma_f64 v[181:182], v[8:9], v[30:31], v[181:182]
	v_fma_f64 v[187:188], v[6:7], v[30:31], -v[32:33]
	ds_load_b128 v[6:9], v1 offset:1152
	s_waitcnt vmcnt(8) lgkmcnt(1)
	v_mul_f64 v[183:184], v[2:3], v[40:41]
	v_mul_f64 v[40:41], v[4:5], v[40:41]
	scratch_load_b128 v[30:33], off, off offset:608
	v_add_f64 v[177:178], v[177:178], v[189:190]
	v_add_f64 v[179:180], v[179:180], v[185:186]
	s_waitcnt vmcnt(8) lgkmcnt(0)
	v_mul_f64 v[185:186], v[6:7], v[175:176]
	v_mul_f64 v[175:176], v[8:9], v[175:176]
	v_fma_f64 v[183:184], v[4:5], v[38:39], v[183:184]
	v_fma_f64 v[189:190], v[2:3], v[38:39], -v[40:41]
	scratch_load_b128 v[38:41], off, off offset:624
	ds_load_b128 v[2:5], v1 offset:1168
	v_add_f64 v[177:178], v[177:178], v[187:188]
	v_add_f64 v[179:180], v[179:180], v[181:182]
	v_fma_f64 v[185:186], v[8:9], v[173:174], v[185:186]
	v_fma_f64 v[187:188], v[6:7], v[173:174], -v[175:176]
	ds_load_b128 v[6:9], v1 offset:1184
	scratch_load_b128 v[173:176], off, off offset:640
	s_waitcnt vmcnt(9) lgkmcnt(1)
	v_mul_f64 v[181:182], v[2:3], v[36:37]
	v_mul_f64 v[36:37], v[4:5], v[36:37]
	v_add_f64 v[177:178], v[177:178], v[189:190]
	v_add_f64 v[179:180], v[179:180], v[183:184]
	s_waitcnt vmcnt(8) lgkmcnt(0)
	v_mul_f64 v[183:184], v[6:7], v[171:172]
	v_mul_f64 v[171:172], v[8:9], v[171:172]
	v_fma_f64 v[181:182], v[4:5], v[34:35], v[181:182]
	v_fma_f64 v[189:190], v[2:3], v[34:35], -v[36:37]
	scratch_load_b128 v[34:37], off, off offset:656
	ds_load_b128 v[2:5], v1 offset:1200
	v_add_f64 v[177:178], v[177:178], v[187:188]
	v_add_f64 v[179:180], v[179:180], v[185:186]
	v_fma_f64 v[183:184], v[8:9], v[169:170], v[183:184]
	v_fma_f64 v[169:170], v[6:7], v[169:170], -v[171:172]
	ds_load_b128 v[6:9], v1 offset:1216
	s_waitcnt vmcnt(8) lgkmcnt(1)
	v_mul_f64 v[185:186], v[2:3], v[12:13]
	v_mul_f64 v[12:13], v[4:5], v[12:13]
	v_add_f64 v[171:172], v[177:178], v[189:190]
	v_add_f64 v[177:178], v[179:180], v[181:182]
	s_waitcnt vmcnt(7) lgkmcnt(0)
	v_mul_f64 v[179:180], v[6:7], v[16:17]
	v_mul_f64 v[16:17], v[8:9], v[16:17]
	v_fma_f64 v[181:182], v[4:5], v[10:11], v[185:186]
	v_fma_f64 v[10:11], v[2:3], v[10:11], -v[12:13]
	ds_load_b128 v[2:5], v1 offset:1232
	v_add_f64 v[12:13], v[171:172], v[169:170]
	v_add_f64 v[169:170], v[177:178], v[183:184]
	v_fma_f64 v[177:178], v[8:9], v[14:15], v[179:180]
	v_fma_f64 v[14:15], v[6:7], v[14:15], -v[16:17]
	ds_load_b128 v[6:9], v1 offset:1248
	s_waitcnt vmcnt(5) lgkmcnt(0)
	v_mul_f64 v[179:180], v[6:7], v[24:25]
	v_mul_f64 v[24:25], v[8:9], v[24:25]
	v_add_f64 v[16:17], v[12:13], v[10:11]
	v_add_f64 v[169:170], v[169:170], v[181:182]
	scratch_load_b128 v[10:13], off, off offset:320
	v_mul_f64 v[171:172], v[2:3], v[20:21]
	v_mul_f64 v[20:21], v[4:5], v[20:21]
	v_add_f64 v[14:15], v[16:17], v[14:15]
	v_add_f64 v[16:17], v[169:170], v[177:178]
	v_fma_f64 v[169:170], v[8:9], v[22:23], v[179:180]
	v_fma_f64 v[171:172], v[4:5], v[18:19], v[171:172]
	v_fma_f64 v[18:19], v[2:3], v[18:19], -v[20:21]
	ds_load_b128 v[2:5], v1 offset:1264
	v_fma_f64 v[22:23], v[6:7], v[22:23], -v[24:25]
	ds_load_b128 v[6:9], v1 offset:1280
	s_waitcnt vmcnt(5) lgkmcnt(1)
	v_mul_f64 v[20:21], v[2:3], v[28:29]
	v_mul_f64 v[28:29], v[4:5], v[28:29]
	s_waitcnt vmcnt(4) lgkmcnt(0)
	v_mul_f64 v[24:25], v[8:9], v[32:33]
	v_add_f64 v[16:17], v[16:17], v[171:172]
	v_add_f64 v[14:15], v[14:15], v[18:19]
	v_mul_f64 v[18:19], v[6:7], v[32:33]
	v_fma_f64 v[20:21], v[4:5], v[26:27], v[20:21]
	v_fma_f64 v[26:27], v[2:3], v[26:27], -v[28:29]
	ds_load_b128 v[2:5], v1 offset:1296
	v_fma_f64 v[24:25], v[6:7], v[30:31], -v[24:25]
	v_add_f64 v[16:17], v[16:17], v[169:170]
	v_add_f64 v[14:15], v[14:15], v[22:23]
	v_fma_f64 v[18:19], v[8:9], v[30:31], v[18:19]
	ds_load_b128 v[6:9], v1 offset:1312
	s_waitcnt vmcnt(3) lgkmcnt(1)
	v_mul_f64 v[22:23], v[2:3], v[40:41]
	v_mul_f64 v[28:29], v[4:5], v[40:41]
	v_add_f64 v[16:17], v[16:17], v[20:21]
	v_add_f64 v[14:15], v[14:15], v[26:27]
	s_waitcnt vmcnt(2) lgkmcnt(0)
	v_mul_f64 v[20:21], v[6:7], v[175:176]
	v_mul_f64 v[26:27], v[8:9], v[175:176]
	v_fma_f64 v[22:23], v[4:5], v[38:39], v[22:23]
	v_fma_f64 v[28:29], v[2:3], v[38:39], -v[28:29]
	ds_load_b128 v[2:5], v1 offset:1328
	v_add_f64 v[16:17], v[16:17], v[18:19]
	v_add_f64 v[14:15], v[14:15], v[24:25]
	s_waitcnt vmcnt(1) lgkmcnt(0)
	v_mul_f64 v[18:19], v[2:3], v[36:37]
	v_mul_f64 v[24:25], v[4:5], v[36:37]
	v_fma_f64 v[8:9], v[8:9], v[173:174], v[20:21]
	v_fma_f64 v[6:7], v[6:7], v[173:174], -v[26:27]
	v_add_f64 v[16:17], v[16:17], v[22:23]
	v_add_f64 v[14:15], v[14:15], v[28:29]
	v_fma_f64 v[4:5], v[4:5], v[34:35], v[18:19]
	v_fma_f64 v[2:3], v[2:3], v[34:35], -v[24:25]
	s_delay_alu instid0(VALU_DEP_4) | instskip(NEXT) | instid1(VALU_DEP_4)
	v_add_f64 v[8:9], v[16:17], v[8:9]
	v_add_f64 v[6:7], v[14:15], v[6:7]
	s_delay_alu instid0(VALU_DEP_2) | instskip(NEXT) | instid1(VALU_DEP_2)
	v_add_f64 v[4:5], v[8:9], v[4:5]
	v_add_f64 v[2:3], v[6:7], v[2:3]
	s_waitcnt vmcnt(0)
	s_delay_alu instid0(VALU_DEP_2) | instskip(NEXT) | instid1(VALU_DEP_2)
	v_add_f64 v[4:5], v[12:13], -v[4:5]
	v_add_f64 v[2:3], v[10:11], -v[2:3]
	scratch_store_b128 off, v[2:5], off offset:320
	v_cmpx_lt_u32_e32 19, v126
	s_cbranch_execz .LBB105_227
; %bb.226:
	scratch_load_b128 v[5:8], v154, off
	v_mov_b32_e32 v2, v1
	v_mov_b32_e32 v3, v1
	;; [unrolled: 1-line block ×3, first 2 shown]
	scratch_store_b128 off, v[1:4], off offset:304
	s_waitcnt vmcnt(0)
	ds_store_b128 v168, v[5:8]
.LBB105_227:
	s_or_b32 exec_lo, exec_lo, s2
	s_waitcnt lgkmcnt(0)
	s_waitcnt_vscnt null, 0x0
	s_barrier
	buffer_gl0_inv
	s_clause 0x7
	scratch_load_b128 v[2:5], off, off offset:320
	scratch_load_b128 v[6:9], off, off offset:336
	;; [unrolled: 1-line block ×8, first 2 shown]
	ds_load_b128 v[34:37], v1 offset:992
	ds_load_b128 v[169:172], v1 offset:1008
	s_clause 0x1
	scratch_load_b128 v[38:41], off, off offset:448
	scratch_load_b128 v[173:176], off, off offset:464
	s_mov_b32 s2, exec_lo
	s_waitcnt vmcnt(9) lgkmcnt(1)
	v_mul_f64 v[177:178], v[36:37], v[4:5]
	v_mul_f64 v[4:5], v[34:35], v[4:5]
	s_waitcnt vmcnt(8) lgkmcnt(0)
	v_mul_f64 v[179:180], v[169:170], v[8:9]
	v_mul_f64 v[8:9], v[171:172], v[8:9]
	s_delay_alu instid0(VALU_DEP_4) | instskip(NEXT) | instid1(VALU_DEP_4)
	v_fma_f64 v[177:178], v[34:35], v[2:3], -v[177:178]
	v_fma_f64 v[181:182], v[36:37], v[2:3], v[4:5]
	ds_load_b128 v[2:5], v1 offset:1024
	scratch_load_b128 v[34:37], off, off offset:480
	v_fma_f64 v[179:180], v[171:172], v[6:7], v[179:180]
	v_fma_f64 v[185:186], v[169:170], v[6:7], -v[8:9]
	scratch_load_b128 v[169:172], off, off offset:496
	ds_load_b128 v[6:9], v1 offset:1040
	s_waitcnt vmcnt(9) lgkmcnt(1)
	v_mul_f64 v[183:184], v[2:3], v[12:13]
	v_mul_f64 v[12:13], v[4:5], v[12:13]
	s_waitcnt vmcnt(8) lgkmcnt(0)
	v_mul_f64 v[187:188], v[6:7], v[16:17]
	v_mul_f64 v[16:17], v[8:9], v[16:17]
	v_add_f64 v[177:178], v[177:178], 0
	v_add_f64 v[181:182], v[181:182], 0
	v_fma_f64 v[183:184], v[4:5], v[10:11], v[183:184]
	v_fma_f64 v[189:190], v[2:3], v[10:11], -v[12:13]
	ds_load_b128 v[2:5], v1 offset:1056
	scratch_load_b128 v[10:13], off, off offset:512
	v_add_f64 v[177:178], v[177:178], v[185:186]
	v_add_f64 v[179:180], v[181:182], v[179:180]
	v_fma_f64 v[185:186], v[8:9], v[14:15], v[187:188]
	v_fma_f64 v[187:188], v[6:7], v[14:15], -v[16:17]
	scratch_load_b128 v[14:17], off, off offset:528
	ds_load_b128 v[6:9], v1 offset:1072
	s_waitcnt vmcnt(9) lgkmcnt(1)
	v_mul_f64 v[181:182], v[2:3], v[20:21]
	v_mul_f64 v[20:21], v[4:5], v[20:21]
	v_add_f64 v[177:178], v[177:178], v[189:190]
	v_add_f64 v[179:180], v[179:180], v[183:184]
	s_waitcnt vmcnt(8) lgkmcnt(0)
	v_mul_f64 v[183:184], v[6:7], v[24:25]
	v_mul_f64 v[24:25], v[8:9], v[24:25]
	v_fma_f64 v[181:182], v[4:5], v[18:19], v[181:182]
	v_fma_f64 v[189:190], v[2:3], v[18:19], -v[20:21]
	ds_load_b128 v[2:5], v1 offset:1088
	scratch_load_b128 v[18:21], off, off offset:544
	v_add_f64 v[177:178], v[177:178], v[187:188]
	v_add_f64 v[179:180], v[179:180], v[185:186]
	v_fma_f64 v[183:184], v[8:9], v[22:23], v[183:184]
	v_fma_f64 v[187:188], v[6:7], v[22:23], -v[24:25]
	ds_load_b128 v[6:9], v1 offset:1104
	s_waitcnt vmcnt(8) lgkmcnt(1)
	v_mul_f64 v[185:186], v[2:3], v[28:29]
	v_mul_f64 v[28:29], v[4:5], v[28:29]
	scratch_load_b128 v[22:25], off, off offset:560
	v_add_f64 v[177:178], v[177:178], v[189:190]
	v_add_f64 v[179:180], v[179:180], v[181:182]
	s_waitcnt vmcnt(8) lgkmcnt(0)
	v_mul_f64 v[181:182], v[6:7], v[32:33]
	v_mul_f64 v[32:33], v[8:9], v[32:33]
	v_fma_f64 v[185:186], v[4:5], v[26:27], v[185:186]
	v_fma_f64 v[189:190], v[2:3], v[26:27], -v[28:29]
	ds_load_b128 v[2:5], v1 offset:1120
	scratch_load_b128 v[26:29], off, off offset:576
	v_add_f64 v[177:178], v[177:178], v[187:188]
	v_add_f64 v[179:180], v[179:180], v[183:184]
	v_fma_f64 v[181:182], v[8:9], v[30:31], v[181:182]
	v_fma_f64 v[187:188], v[6:7], v[30:31], -v[32:33]
	ds_load_b128 v[6:9], v1 offset:1136
	s_waitcnt vmcnt(8) lgkmcnt(1)
	v_mul_f64 v[183:184], v[2:3], v[40:41]
	v_mul_f64 v[40:41], v[4:5], v[40:41]
	scratch_load_b128 v[30:33], off, off offset:592
	v_add_f64 v[177:178], v[177:178], v[189:190]
	v_add_f64 v[179:180], v[179:180], v[185:186]
	s_waitcnt vmcnt(8) lgkmcnt(0)
	v_mul_f64 v[185:186], v[6:7], v[175:176]
	v_mul_f64 v[175:176], v[8:9], v[175:176]
	v_fma_f64 v[183:184], v[4:5], v[38:39], v[183:184]
	v_fma_f64 v[189:190], v[2:3], v[38:39], -v[40:41]
	scratch_load_b128 v[38:41], off, off offset:608
	ds_load_b128 v[2:5], v1 offset:1152
	v_add_f64 v[177:178], v[177:178], v[187:188]
	v_add_f64 v[179:180], v[179:180], v[181:182]
	v_fma_f64 v[185:186], v[8:9], v[173:174], v[185:186]
	v_fma_f64 v[187:188], v[6:7], v[173:174], -v[175:176]
	ds_load_b128 v[6:9], v1 offset:1168
	scratch_load_b128 v[173:176], off, off offset:624
	s_waitcnt vmcnt(9) lgkmcnt(1)
	v_mul_f64 v[181:182], v[2:3], v[36:37]
	v_mul_f64 v[36:37], v[4:5], v[36:37]
	v_add_f64 v[177:178], v[177:178], v[189:190]
	v_add_f64 v[179:180], v[179:180], v[183:184]
	s_waitcnt vmcnt(8) lgkmcnt(0)
	v_mul_f64 v[183:184], v[6:7], v[171:172]
	v_mul_f64 v[171:172], v[8:9], v[171:172]
	v_fma_f64 v[181:182], v[4:5], v[34:35], v[181:182]
	v_fma_f64 v[189:190], v[2:3], v[34:35], -v[36:37]
	scratch_load_b128 v[34:37], off, off offset:640
	ds_load_b128 v[2:5], v1 offset:1184
	v_add_f64 v[177:178], v[177:178], v[187:188]
	v_add_f64 v[179:180], v[179:180], v[185:186]
	v_fma_f64 v[183:184], v[8:9], v[169:170], v[183:184]
	v_fma_f64 v[187:188], v[6:7], v[169:170], -v[171:172]
	ds_load_b128 v[6:9], v1 offset:1200
	s_waitcnt vmcnt(8) lgkmcnt(1)
	v_mul_f64 v[185:186], v[2:3], v[12:13]
	v_mul_f64 v[12:13], v[4:5], v[12:13]
	scratch_load_b128 v[169:172], off, off offset:656
	v_add_f64 v[177:178], v[177:178], v[189:190]
	v_add_f64 v[179:180], v[179:180], v[181:182]
	s_waitcnt vmcnt(8) lgkmcnt(0)
	v_mul_f64 v[181:182], v[6:7], v[16:17]
	v_mul_f64 v[16:17], v[8:9], v[16:17]
	v_fma_f64 v[185:186], v[4:5], v[10:11], v[185:186]
	v_fma_f64 v[10:11], v[2:3], v[10:11], -v[12:13]
	ds_load_b128 v[2:5], v1 offset:1216
	v_add_f64 v[12:13], v[177:178], v[187:188]
	v_add_f64 v[177:178], v[179:180], v[183:184]
	v_fma_f64 v[181:182], v[8:9], v[14:15], v[181:182]
	v_fma_f64 v[14:15], v[6:7], v[14:15], -v[16:17]
	ds_load_b128 v[6:9], v1 offset:1232
	s_waitcnt vmcnt(7) lgkmcnt(1)
	v_mul_f64 v[179:180], v[2:3], v[20:21]
	v_mul_f64 v[20:21], v[4:5], v[20:21]
	v_add_f64 v[10:11], v[12:13], v[10:11]
	v_add_f64 v[12:13], v[177:178], v[185:186]
	s_delay_alu instid0(VALU_DEP_4) | instskip(NEXT) | instid1(VALU_DEP_4)
	v_fma_f64 v[177:178], v[4:5], v[18:19], v[179:180]
	v_fma_f64 v[18:19], v[2:3], v[18:19], -v[20:21]
	ds_load_b128 v[2:5], v1 offset:1248
	v_add_f64 v[14:15], v[10:11], v[14:15]
	v_add_f64 v[20:21], v[12:13], v[181:182]
	scratch_load_b128 v[10:13], off, off offset:304
	s_waitcnt vmcnt(7) lgkmcnt(1)
	v_mul_f64 v[16:17], v[6:7], v[24:25]
	v_mul_f64 v[24:25], v[8:9], v[24:25]
	v_add_f64 v[14:15], v[14:15], v[18:19]
	v_add_f64 v[18:19], v[20:21], v[177:178]
	s_delay_alu instid0(VALU_DEP_4) | instskip(NEXT) | instid1(VALU_DEP_4)
	v_fma_f64 v[16:17], v[8:9], v[22:23], v[16:17]
	v_fma_f64 v[22:23], v[6:7], v[22:23], -v[24:25]
	ds_load_b128 v[6:9], v1 offset:1264
	s_waitcnt vmcnt(6) lgkmcnt(1)
	v_mul_f64 v[179:180], v[2:3], v[28:29]
	v_mul_f64 v[28:29], v[4:5], v[28:29]
	s_waitcnt vmcnt(5) lgkmcnt(0)
	v_mul_f64 v[20:21], v[6:7], v[32:33]
	v_mul_f64 v[24:25], v[8:9], v[32:33]
	v_add_f64 v[16:17], v[18:19], v[16:17]
	v_add_f64 v[14:15], v[14:15], v[22:23]
	v_fma_f64 v[32:33], v[4:5], v[26:27], v[179:180]
	v_fma_f64 v[26:27], v[2:3], v[26:27], -v[28:29]
	ds_load_b128 v[2:5], v1 offset:1280
	v_fma_f64 v[20:21], v[8:9], v[30:31], v[20:21]
	v_fma_f64 v[24:25], v[6:7], v[30:31], -v[24:25]
	ds_load_b128 v[6:9], v1 offset:1296
	s_waitcnt vmcnt(4) lgkmcnt(1)
	v_mul_f64 v[18:19], v[2:3], v[40:41]
	v_mul_f64 v[22:23], v[4:5], v[40:41]
	v_add_f64 v[16:17], v[16:17], v[32:33]
	v_add_f64 v[14:15], v[14:15], v[26:27]
	s_waitcnt vmcnt(3) lgkmcnt(0)
	v_mul_f64 v[26:27], v[6:7], v[175:176]
	v_mul_f64 v[28:29], v[8:9], v[175:176]
	v_fma_f64 v[18:19], v[4:5], v[38:39], v[18:19]
	v_fma_f64 v[22:23], v[2:3], v[38:39], -v[22:23]
	ds_load_b128 v[2:5], v1 offset:1312
	v_add_f64 v[16:17], v[16:17], v[20:21]
	v_add_f64 v[14:15], v[14:15], v[24:25]
	v_fma_f64 v[26:27], v[8:9], v[173:174], v[26:27]
	v_fma_f64 v[28:29], v[6:7], v[173:174], -v[28:29]
	ds_load_b128 v[6:9], v1 offset:1328
	s_waitcnt vmcnt(2) lgkmcnt(1)
	v_mul_f64 v[20:21], v[2:3], v[36:37]
	v_mul_f64 v[24:25], v[4:5], v[36:37]
	v_add_f64 v[16:17], v[16:17], v[18:19]
	v_add_f64 v[14:15], v[14:15], v[22:23]
	s_waitcnt vmcnt(1) lgkmcnt(0)
	v_mul_f64 v[18:19], v[6:7], v[171:172]
	v_mul_f64 v[22:23], v[8:9], v[171:172]
	v_fma_f64 v[4:5], v[4:5], v[34:35], v[20:21]
	v_fma_f64 v[1:2], v[2:3], v[34:35], -v[24:25]
	v_add_f64 v[16:17], v[16:17], v[26:27]
	v_add_f64 v[14:15], v[14:15], v[28:29]
	v_fma_f64 v[8:9], v[8:9], v[169:170], v[18:19]
	v_fma_f64 v[6:7], v[6:7], v[169:170], -v[22:23]
	s_delay_alu instid0(VALU_DEP_4) | instskip(NEXT) | instid1(VALU_DEP_4)
	v_add_f64 v[3:4], v[16:17], v[4:5]
	v_add_f64 v[1:2], v[14:15], v[1:2]
	s_delay_alu instid0(VALU_DEP_2) | instskip(NEXT) | instid1(VALU_DEP_2)
	v_add_f64 v[3:4], v[3:4], v[8:9]
	v_add_f64 v[1:2], v[1:2], v[6:7]
	s_waitcnt vmcnt(0)
	s_delay_alu instid0(VALU_DEP_2) | instskip(NEXT) | instid1(VALU_DEP_2)
	v_add_f64 v[3:4], v[12:13], -v[3:4]
	v_add_f64 v[1:2], v[10:11], -v[1:2]
	scratch_store_b128 off, v[1:4], off offset:304
	v_cmpx_lt_u32_e32 18, v126
	s_cbranch_execz .LBB105_229
; %bb.228:
	scratch_load_b128 v[1:4], v153, off
	v_mov_b32_e32 v5, 0
	s_delay_alu instid0(VALU_DEP_1)
	v_mov_b32_e32 v6, v5
	v_mov_b32_e32 v7, v5
	;; [unrolled: 1-line block ×3, first 2 shown]
	scratch_store_b128 off, v[5:8], off offset:288
	s_waitcnt vmcnt(0)
	ds_store_b128 v168, v[1:4]
.LBB105_229:
	s_or_b32 exec_lo, exec_lo, s2
	s_waitcnt lgkmcnt(0)
	s_waitcnt_vscnt null, 0x0
	s_barrier
	buffer_gl0_inv
	s_clause 0x7
	scratch_load_b128 v[2:5], off, off offset:304
	scratch_load_b128 v[6:9], off, off offset:320
	;; [unrolled: 1-line block ×8, first 2 shown]
	v_mov_b32_e32 v1, 0
	s_clause 0x1
	scratch_load_b128 v[38:41], off, off offset:432
	scratch_load_b128 v[173:176], off, off offset:448
	s_mov_b32 s2, exec_lo
	ds_load_b128 v[34:37], v1 offset:976
	ds_load_b128 v[169:172], v1 offset:992
	s_waitcnt vmcnt(9) lgkmcnt(1)
	v_mul_f64 v[177:178], v[36:37], v[4:5]
	v_mul_f64 v[4:5], v[34:35], v[4:5]
	s_waitcnt vmcnt(8) lgkmcnt(0)
	v_mul_f64 v[179:180], v[169:170], v[8:9]
	v_mul_f64 v[8:9], v[171:172], v[8:9]
	s_delay_alu instid0(VALU_DEP_4) | instskip(NEXT) | instid1(VALU_DEP_4)
	v_fma_f64 v[177:178], v[34:35], v[2:3], -v[177:178]
	v_fma_f64 v[181:182], v[36:37], v[2:3], v[4:5]
	ds_load_b128 v[2:5], v1 offset:1008
	scratch_load_b128 v[34:37], off, off offset:464
	v_fma_f64 v[179:180], v[171:172], v[6:7], v[179:180]
	v_fma_f64 v[185:186], v[169:170], v[6:7], -v[8:9]
	scratch_load_b128 v[169:172], off, off offset:480
	ds_load_b128 v[6:9], v1 offset:1024
	s_waitcnt vmcnt(9) lgkmcnt(1)
	v_mul_f64 v[183:184], v[2:3], v[12:13]
	v_mul_f64 v[12:13], v[4:5], v[12:13]
	s_waitcnt vmcnt(8) lgkmcnt(0)
	v_mul_f64 v[187:188], v[6:7], v[16:17]
	v_mul_f64 v[16:17], v[8:9], v[16:17]
	v_add_f64 v[177:178], v[177:178], 0
	v_add_f64 v[181:182], v[181:182], 0
	v_fma_f64 v[183:184], v[4:5], v[10:11], v[183:184]
	v_fma_f64 v[189:190], v[2:3], v[10:11], -v[12:13]
	ds_load_b128 v[2:5], v1 offset:1040
	scratch_load_b128 v[10:13], off, off offset:496
	v_add_f64 v[177:178], v[177:178], v[185:186]
	v_add_f64 v[179:180], v[181:182], v[179:180]
	v_fma_f64 v[185:186], v[8:9], v[14:15], v[187:188]
	v_fma_f64 v[187:188], v[6:7], v[14:15], -v[16:17]
	scratch_load_b128 v[14:17], off, off offset:512
	ds_load_b128 v[6:9], v1 offset:1056
	s_waitcnt vmcnt(9) lgkmcnt(1)
	v_mul_f64 v[181:182], v[2:3], v[20:21]
	v_mul_f64 v[20:21], v[4:5], v[20:21]
	v_add_f64 v[177:178], v[177:178], v[189:190]
	v_add_f64 v[179:180], v[179:180], v[183:184]
	s_waitcnt vmcnt(8) lgkmcnt(0)
	v_mul_f64 v[183:184], v[6:7], v[24:25]
	v_mul_f64 v[24:25], v[8:9], v[24:25]
	v_fma_f64 v[181:182], v[4:5], v[18:19], v[181:182]
	v_fma_f64 v[189:190], v[2:3], v[18:19], -v[20:21]
	ds_load_b128 v[2:5], v1 offset:1072
	scratch_load_b128 v[18:21], off, off offset:528
	v_add_f64 v[177:178], v[177:178], v[187:188]
	v_add_f64 v[179:180], v[179:180], v[185:186]
	v_fma_f64 v[183:184], v[8:9], v[22:23], v[183:184]
	v_fma_f64 v[187:188], v[6:7], v[22:23], -v[24:25]
	scratch_load_b128 v[22:25], off, off offset:544
	ds_load_b128 v[6:9], v1 offset:1088
	s_waitcnt vmcnt(9) lgkmcnt(1)
	v_mul_f64 v[185:186], v[2:3], v[28:29]
	v_mul_f64 v[28:29], v[4:5], v[28:29]
	v_add_f64 v[177:178], v[177:178], v[189:190]
	v_add_f64 v[179:180], v[179:180], v[181:182]
	s_waitcnt vmcnt(8) lgkmcnt(0)
	v_mul_f64 v[181:182], v[6:7], v[32:33]
	v_mul_f64 v[32:33], v[8:9], v[32:33]
	v_fma_f64 v[185:186], v[4:5], v[26:27], v[185:186]
	v_fma_f64 v[189:190], v[2:3], v[26:27], -v[28:29]
	ds_load_b128 v[2:5], v1 offset:1104
	scratch_load_b128 v[26:29], off, off offset:560
	v_add_f64 v[177:178], v[177:178], v[187:188]
	v_add_f64 v[179:180], v[179:180], v[183:184]
	v_fma_f64 v[181:182], v[8:9], v[30:31], v[181:182]
	v_fma_f64 v[187:188], v[6:7], v[30:31], -v[32:33]
	ds_load_b128 v[6:9], v1 offset:1120
	s_waitcnt vmcnt(8) lgkmcnt(1)
	v_mul_f64 v[183:184], v[2:3], v[40:41]
	v_mul_f64 v[40:41], v[4:5], v[40:41]
	scratch_load_b128 v[30:33], off, off offset:576
	v_add_f64 v[177:178], v[177:178], v[189:190]
	v_add_f64 v[179:180], v[179:180], v[185:186]
	s_waitcnt vmcnt(8) lgkmcnt(0)
	v_mul_f64 v[185:186], v[6:7], v[175:176]
	v_mul_f64 v[175:176], v[8:9], v[175:176]
	v_fma_f64 v[183:184], v[4:5], v[38:39], v[183:184]
	v_fma_f64 v[189:190], v[2:3], v[38:39], -v[40:41]
	scratch_load_b128 v[38:41], off, off offset:592
	ds_load_b128 v[2:5], v1 offset:1136
	v_add_f64 v[177:178], v[177:178], v[187:188]
	v_add_f64 v[179:180], v[179:180], v[181:182]
	v_fma_f64 v[185:186], v[8:9], v[173:174], v[185:186]
	v_fma_f64 v[187:188], v[6:7], v[173:174], -v[175:176]
	ds_load_b128 v[6:9], v1 offset:1152
	scratch_load_b128 v[173:176], off, off offset:608
	s_waitcnt vmcnt(9) lgkmcnt(1)
	v_mul_f64 v[181:182], v[2:3], v[36:37]
	v_mul_f64 v[36:37], v[4:5], v[36:37]
	v_add_f64 v[177:178], v[177:178], v[189:190]
	v_add_f64 v[179:180], v[179:180], v[183:184]
	s_waitcnt vmcnt(8) lgkmcnt(0)
	v_mul_f64 v[183:184], v[6:7], v[171:172]
	v_mul_f64 v[171:172], v[8:9], v[171:172]
	v_fma_f64 v[181:182], v[4:5], v[34:35], v[181:182]
	v_fma_f64 v[189:190], v[2:3], v[34:35], -v[36:37]
	scratch_load_b128 v[34:37], off, off offset:624
	ds_load_b128 v[2:5], v1 offset:1168
	v_add_f64 v[177:178], v[177:178], v[187:188]
	v_add_f64 v[179:180], v[179:180], v[185:186]
	v_fma_f64 v[183:184], v[8:9], v[169:170], v[183:184]
	v_fma_f64 v[187:188], v[6:7], v[169:170], -v[171:172]
	ds_load_b128 v[6:9], v1 offset:1184
	s_waitcnt vmcnt(8) lgkmcnt(1)
	v_mul_f64 v[185:186], v[2:3], v[12:13]
	v_mul_f64 v[12:13], v[4:5], v[12:13]
	scratch_load_b128 v[169:172], off, off offset:640
	v_add_f64 v[177:178], v[177:178], v[189:190]
	v_add_f64 v[179:180], v[179:180], v[181:182]
	s_waitcnt vmcnt(8) lgkmcnt(0)
	v_mul_f64 v[181:182], v[6:7], v[16:17]
	v_mul_f64 v[16:17], v[8:9], v[16:17]
	v_fma_f64 v[185:186], v[4:5], v[10:11], v[185:186]
	v_fma_f64 v[189:190], v[2:3], v[10:11], -v[12:13]
	scratch_load_b128 v[10:13], off, off offset:656
	ds_load_b128 v[2:5], v1 offset:1200
	v_add_f64 v[177:178], v[177:178], v[187:188]
	v_add_f64 v[179:180], v[179:180], v[183:184]
	v_fma_f64 v[181:182], v[8:9], v[14:15], v[181:182]
	v_fma_f64 v[14:15], v[6:7], v[14:15], -v[16:17]
	ds_load_b128 v[6:9], v1 offset:1216
	s_waitcnt vmcnt(8) lgkmcnt(1)
	v_mul_f64 v[183:184], v[2:3], v[20:21]
	v_mul_f64 v[20:21], v[4:5], v[20:21]
	v_add_f64 v[16:17], v[177:178], v[189:190]
	v_add_f64 v[177:178], v[179:180], v[185:186]
	s_waitcnt vmcnt(7) lgkmcnt(0)
	v_mul_f64 v[179:180], v[6:7], v[24:25]
	v_mul_f64 v[24:25], v[8:9], v[24:25]
	v_fma_f64 v[183:184], v[4:5], v[18:19], v[183:184]
	v_fma_f64 v[18:19], v[2:3], v[18:19], -v[20:21]
	ds_load_b128 v[2:5], v1 offset:1232
	v_add_f64 v[14:15], v[16:17], v[14:15]
	v_add_f64 v[16:17], v[177:178], v[181:182]
	v_fma_f64 v[177:178], v[8:9], v[22:23], v[179:180]
	v_fma_f64 v[22:23], v[6:7], v[22:23], -v[24:25]
	ds_load_b128 v[6:9], v1 offset:1248
	s_waitcnt vmcnt(5) lgkmcnt(0)
	v_mul_f64 v[179:180], v[6:7], v[32:33]
	v_mul_f64 v[32:33], v[8:9], v[32:33]
	v_add_f64 v[18:19], v[14:15], v[18:19]
	v_add_f64 v[24:25], v[16:17], v[183:184]
	scratch_load_b128 v[14:17], off, off offset:288
	v_mul_f64 v[20:21], v[2:3], v[28:29]
	v_mul_f64 v[28:29], v[4:5], v[28:29]
	v_add_f64 v[18:19], v[18:19], v[22:23]
	v_add_f64 v[22:23], v[24:25], v[177:178]
	s_delay_alu instid0(VALU_DEP_4) | instskip(NEXT) | instid1(VALU_DEP_4)
	v_fma_f64 v[20:21], v[4:5], v[26:27], v[20:21]
	v_fma_f64 v[26:27], v[2:3], v[26:27], -v[28:29]
	ds_load_b128 v[2:5], v1 offset:1264
	s_waitcnt vmcnt(5) lgkmcnt(0)
	v_mul_f64 v[24:25], v[2:3], v[40:41]
	v_mul_f64 v[28:29], v[4:5], v[40:41]
	v_fma_f64 v[40:41], v[8:9], v[30:31], v[179:180]
	v_fma_f64 v[30:31], v[6:7], v[30:31], -v[32:33]
	ds_load_b128 v[6:9], v1 offset:1280
	v_add_f64 v[20:21], v[22:23], v[20:21]
	v_add_f64 v[18:19], v[18:19], v[26:27]
	v_fma_f64 v[24:25], v[4:5], v[38:39], v[24:25]
	v_fma_f64 v[28:29], v[2:3], v[38:39], -v[28:29]
	ds_load_b128 v[2:5], v1 offset:1296
	s_waitcnt vmcnt(4) lgkmcnt(1)
	v_mul_f64 v[22:23], v[6:7], v[175:176]
	v_mul_f64 v[26:27], v[8:9], v[175:176]
	v_add_f64 v[20:21], v[20:21], v[40:41]
	v_add_f64 v[18:19], v[18:19], v[30:31]
	s_waitcnt vmcnt(3) lgkmcnt(0)
	v_mul_f64 v[30:31], v[2:3], v[36:37]
	v_mul_f64 v[32:33], v[4:5], v[36:37]
	v_fma_f64 v[22:23], v[8:9], v[173:174], v[22:23]
	v_fma_f64 v[26:27], v[6:7], v[173:174], -v[26:27]
	ds_load_b128 v[6:9], v1 offset:1312
	v_add_f64 v[20:21], v[20:21], v[24:25]
	v_add_f64 v[18:19], v[18:19], v[28:29]
	v_fma_f64 v[30:31], v[4:5], v[34:35], v[30:31]
	v_fma_f64 v[32:33], v[2:3], v[34:35], -v[32:33]
	ds_load_b128 v[2:5], v1 offset:1328
	s_waitcnt vmcnt(2) lgkmcnt(1)
	v_mul_f64 v[24:25], v[6:7], v[171:172]
	v_mul_f64 v[28:29], v[8:9], v[171:172]
	v_add_f64 v[20:21], v[20:21], v[22:23]
	v_add_f64 v[18:19], v[18:19], v[26:27]
	s_waitcnt vmcnt(1) lgkmcnt(0)
	v_mul_f64 v[22:23], v[2:3], v[12:13]
	v_mul_f64 v[12:13], v[4:5], v[12:13]
	v_fma_f64 v[8:9], v[8:9], v[169:170], v[24:25]
	v_fma_f64 v[6:7], v[6:7], v[169:170], -v[28:29]
	v_add_f64 v[20:21], v[20:21], v[30:31]
	v_add_f64 v[18:19], v[18:19], v[32:33]
	v_fma_f64 v[4:5], v[4:5], v[10:11], v[22:23]
	v_fma_f64 v[2:3], v[2:3], v[10:11], -v[12:13]
	s_delay_alu instid0(VALU_DEP_4) | instskip(NEXT) | instid1(VALU_DEP_4)
	v_add_f64 v[8:9], v[20:21], v[8:9]
	v_add_f64 v[6:7], v[18:19], v[6:7]
	s_delay_alu instid0(VALU_DEP_2) | instskip(NEXT) | instid1(VALU_DEP_2)
	v_add_f64 v[4:5], v[8:9], v[4:5]
	v_add_f64 v[2:3], v[6:7], v[2:3]
	s_waitcnt vmcnt(0)
	s_delay_alu instid0(VALU_DEP_2) | instskip(NEXT) | instid1(VALU_DEP_2)
	v_add_f64 v[4:5], v[16:17], -v[4:5]
	v_add_f64 v[2:3], v[14:15], -v[2:3]
	scratch_store_b128 off, v[2:5], off offset:288
	v_cmpx_lt_u32_e32 17, v126
	s_cbranch_execz .LBB105_231
; %bb.230:
	scratch_load_b128 v[5:8], v155, off
	v_mov_b32_e32 v2, v1
	v_mov_b32_e32 v3, v1
	;; [unrolled: 1-line block ×3, first 2 shown]
	scratch_store_b128 off, v[1:4], off offset:272
	s_waitcnt vmcnt(0)
	ds_store_b128 v168, v[5:8]
.LBB105_231:
	s_or_b32 exec_lo, exec_lo, s2
	s_waitcnt lgkmcnt(0)
	s_waitcnt_vscnt null, 0x0
	s_barrier
	buffer_gl0_inv
	s_clause 0x7
	scratch_load_b128 v[2:5], off, off offset:288
	scratch_load_b128 v[6:9], off, off offset:304
	;; [unrolled: 1-line block ×8, first 2 shown]
	ds_load_b128 v[34:37], v1 offset:960
	ds_load_b128 v[169:172], v1 offset:976
	s_clause 0x1
	scratch_load_b128 v[38:41], off, off offset:416
	scratch_load_b128 v[173:176], off, off offset:432
	s_mov_b32 s2, exec_lo
	s_waitcnt vmcnt(9) lgkmcnt(1)
	v_mul_f64 v[177:178], v[36:37], v[4:5]
	v_mul_f64 v[4:5], v[34:35], v[4:5]
	s_waitcnt vmcnt(8) lgkmcnt(0)
	v_mul_f64 v[179:180], v[169:170], v[8:9]
	v_mul_f64 v[8:9], v[171:172], v[8:9]
	s_delay_alu instid0(VALU_DEP_4) | instskip(NEXT) | instid1(VALU_DEP_4)
	v_fma_f64 v[177:178], v[34:35], v[2:3], -v[177:178]
	v_fma_f64 v[181:182], v[36:37], v[2:3], v[4:5]
	ds_load_b128 v[2:5], v1 offset:992
	scratch_load_b128 v[34:37], off, off offset:448
	v_fma_f64 v[179:180], v[171:172], v[6:7], v[179:180]
	v_fma_f64 v[185:186], v[169:170], v[6:7], -v[8:9]
	scratch_load_b128 v[169:172], off, off offset:464
	ds_load_b128 v[6:9], v1 offset:1008
	s_waitcnt vmcnt(9) lgkmcnt(1)
	v_mul_f64 v[183:184], v[2:3], v[12:13]
	v_mul_f64 v[12:13], v[4:5], v[12:13]
	s_waitcnt vmcnt(8) lgkmcnt(0)
	v_mul_f64 v[187:188], v[6:7], v[16:17]
	v_mul_f64 v[16:17], v[8:9], v[16:17]
	v_add_f64 v[177:178], v[177:178], 0
	v_add_f64 v[181:182], v[181:182], 0
	v_fma_f64 v[183:184], v[4:5], v[10:11], v[183:184]
	v_fma_f64 v[189:190], v[2:3], v[10:11], -v[12:13]
	ds_load_b128 v[2:5], v1 offset:1024
	scratch_load_b128 v[10:13], off, off offset:480
	v_add_f64 v[177:178], v[177:178], v[185:186]
	v_add_f64 v[179:180], v[181:182], v[179:180]
	v_fma_f64 v[185:186], v[8:9], v[14:15], v[187:188]
	v_fma_f64 v[187:188], v[6:7], v[14:15], -v[16:17]
	scratch_load_b128 v[14:17], off, off offset:496
	ds_load_b128 v[6:9], v1 offset:1040
	s_waitcnt vmcnt(9) lgkmcnt(1)
	v_mul_f64 v[181:182], v[2:3], v[20:21]
	v_mul_f64 v[20:21], v[4:5], v[20:21]
	v_add_f64 v[177:178], v[177:178], v[189:190]
	v_add_f64 v[179:180], v[179:180], v[183:184]
	s_waitcnt vmcnt(8) lgkmcnt(0)
	v_mul_f64 v[183:184], v[6:7], v[24:25]
	v_mul_f64 v[24:25], v[8:9], v[24:25]
	v_fma_f64 v[181:182], v[4:5], v[18:19], v[181:182]
	v_fma_f64 v[189:190], v[2:3], v[18:19], -v[20:21]
	ds_load_b128 v[2:5], v1 offset:1056
	scratch_load_b128 v[18:21], off, off offset:512
	v_add_f64 v[177:178], v[177:178], v[187:188]
	v_add_f64 v[179:180], v[179:180], v[185:186]
	v_fma_f64 v[183:184], v[8:9], v[22:23], v[183:184]
	v_fma_f64 v[187:188], v[6:7], v[22:23], -v[24:25]
	scratch_load_b128 v[22:25], off, off offset:528
	ds_load_b128 v[6:9], v1 offset:1072
	s_waitcnt vmcnt(9) lgkmcnt(1)
	v_mul_f64 v[185:186], v[2:3], v[28:29]
	v_mul_f64 v[28:29], v[4:5], v[28:29]
	v_add_f64 v[177:178], v[177:178], v[189:190]
	v_add_f64 v[179:180], v[179:180], v[181:182]
	s_waitcnt vmcnt(8) lgkmcnt(0)
	v_mul_f64 v[181:182], v[6:7], v[32:33]
	v_mul_f64 v[32:33], v[8:9], v[32:33]
	v_fma_f64 v[185:186], v[4:5], v[26:27], v[185:186]
	v_fma_f64 v[189:190], v[2:3], v[26:27], -v[28:29]
	ds_load_b128 v[2:5], v1 offset:1088
	scratch_load_b128 v[26:29], off, off offset:544
	v_add_f64 v[177:178], v[177:178], v[187:188]
	v_add_f64 v[179:180], v[179:180], v[183:184]
	v_fma_f64 v[181:182], v[8:9], v[30:31], v[181:182]
	v_fma_f64 v[187:188], v[6:7], v[30:31], -v[32:33]
	ds_load_b128 v[6:9], v1 offset:1104
	s_waitcnt vmcnt(8) lgkmcnt(1)
	v_mul_f64 v[183:184], v[2:3], v[40:41]
	v_mul_f64 v[40:41], v[4:5], v[40:41]
	scratch_load_b128 v[30:33], off, off offset:560
	v_add_f64 v[177:178], v[177:178], v[189:190]
	v_add_f64 v[179:180], v[179:180], v[185:186]
	s_waitcnt vmcnt(8) lgkmcnt(0)
	v_mul_f64 v[185:186], v[6:7], v[175:176]
	v_mul_f64 v[175:176], v[8:9], v[175:176]
	v_fma_f64 v[183:184], v[4:5], v[38:39], v[183:184]
	v_fma_f64 v[189:190], v[2:3], v[38:39], -v[40:41]
	ds_load_b128 v[2:5], v1 offset:1120
	scratch_load_b128 v[38:41], off, off offset:576
	v_add_f64 v[177:178], v[177:178], v[187:188]
	v_add_f64 v[179:180], v[179:180], v[181:182]
	v_fma_f64 v[185:186], v[8:9], v[173:174], v[185:186]
	v_fma_f64 v[187:188], v[6:7], v[173:174], -v[175:176]
	ds_load_b128 v[6:9], v1 offset:1136
	scratch_load_b128 v[173:176], off, off offset:592
	s_waitcnt vmcnt(9) lgkmcnt(1)
	v_mul_f64 v[181:182], v[2:3], v[36:37]
	v_mul_f64 v[36:37], v[4:5], v[36:37]
	v_add_f64 v[177:178], v[177:178], v[189:190]
	v_add_f64 v[179:180], v[179:180], v[183:184]
	s_waitcnt vmcnt(8) lgkmcnt(0)
	v_mul_f64 v[183:184], v[6:7], v[171:172]
	v_mul_f64 v[171:172], v[8:9], v[171:172]
	v_fma_f64 v[181:182], v[4:5], v[34:35], v[181:182]
	v_fma_f64 v[189:190], v[2:3], v[34:35], -v[36:37]
	scratch_load_b128 v[34:37], off, off offset:608
	ds_load_b128 v[2:5], v1 offset:1152
	v_add_f64 v[177:178], v[177:178], v[187:188]
	v_add_f64 v[179:180], v[179:180], v[185:186]
	v_fma_f64 v[183:184], v[8:9], v[169:170], v[183:184]
	v_fma_f64 v[187:188], v[6:7], v[169:170], -v[171:172]
	ds_load_b128 v[6:9], v1 offset:1168
	s_waitcnt vmcnt(8) lgkmcnt(1)
	v_mul_f64 v[185:186], v[2:3], v[12:13]
	v_mul_f64 v[12:13], v[4:5], v[12:13]
	scratch_load_b128 v[169:172], off, off offset:624
	v_add_f64 v[177:178], v[177:178], v[189:190]
	v_add_f64 v[179:180], v[179:180], v[181:182]
	s_waitcnt vmcnt(8) lgkmcnt(0)
	v_mul_f64 v[181:182], v[6:7], v[16:17]
	v_mul_f64 v[16:17], v[8:9], v[16:17]
	v_fma_f64 v[185:186], v[4:5], v[10:11], v[185:186]
	v_fma_f64 v[189:190], v[2:3], v[10:11], -v[12:13]
	scratch_load_b128 v[10:13], off, off offset:640
	ds_load_b128 v[2:5], v1 offset:1184
	v_add_f64 v[177:178], v[177:178], v[187:188]
	v_add_f64 v[179:180], v[179:180], v[183:184]
	v_fma_f64 v[181:182], v[8:9], v[14:15], v[181:182]
	v_fma_f64 v[187:188], v[6:7], v[14:15], -v[16:17]
	ds_load_b128 v[6:9], v1 offset:1200
	s_waitcnt vmcnt(8) lgkmcnt(1)
	v_mul_f64 v[183:184], v[2:3], v[20:21]
	v_mul_f64 v[20:21], v[4:5], v[20:21]
	scratch_load_b128 v[14:17], off, off offset:656
	v_add_f64 v[177:178], v[177:178], v[189:190]
	v_add_f64 v[179:180], v[179:180], v[185:186]
	s_waitcnt vmcnt(8) lgkmcnt(0)
	v_mul_f64 v[185:186], v[6:7], v[24:25]
	v_mul_f64 v[24:25], v[8:9], v[24:25]
	v_fma_f64 v[183:184], v[4:5], v[18:19], v[183:184]
	v_fma_f64 v[18:19], v[2:3], v[18:19], -v[20:21]
	ds_load_b128 v[2:5], v1 offset:1216
	v_add_f64 v[20:21], v[177:178], v[187:188]
	v_add_f64 v[177:178], v[179:180], v[181:182]
	v_fma_f64 v[181:182], v[8:9], v[22:23], v[185:186]
	v_fma_f64 v[22:23], v[6:7], v[22:23], -v[24:25]
	ds_load_b128 v[6:9], v1 offset:1232
	s_waitcnt vmcnt(7) lgkmcnt(1)
	v_mul_f64 v[179:180], v[2:3], v[28:29]
	v_mul_f64 v[28:29], v[4:5], v[28:29]
	v_add_f64 v[18:19], v[20:21], v[18:19]
	v_add_f64 v[20:21], v[177:178], v[183:184]
	s_delay_alu instid0(VALU_DEP_4) | instskip(NEXT) | instid1(VALU_DEP_4)
	v_fma_f64 v[177:178], v[4:5], v[26:27], v[179:180]
	v_fma_f64 v[26:27], v[2:3], v[26:27], -v[28:29]
	ds_load_b128 v[2:5], v1 offset:1248
	v_add_f64 v[22:23], v[18:19], v[22:23]
	v_add_f64 v[28:29], v[20:21], v[181:182]
	scratch_load_b128 v[18:21], off, off offset:272
	s_waitcnt vmcnt(7) lgkmcnt(1)
	v_mul_f64 v[24:25], v[6:7], v[32:33]
	v_mul_f64 v[32:33], v[8:9], v[32:33]
	v_add_f64 v[22:23], v[22:23], v[26:27]
	v_add_f64 v[26:27], v[28:29], v[177:178]
	s_delay_alu instid0(VALU_DEP_4) | instskip(NEXT) | instid1(VALU_DEP_4)
	v_fma_f64 v[24:25], v[8:9], v[30:31], v[24:25]
	v_fma_f64 v[30:31], v[6:7], v[30:31], -v[32:33]
	ds_load_b128 v[6:9], v1 offset:1264
	s_waitcnt vmcnt(6) lgkmcnt(1)
	v_mul_f64 v[179:180], v[2:3], v[40:41]
	v_mul_f64 v[40:41], v[4:5], v[40:41]
	s_waitcnt vmcnt(5) lgkmcnt(0)
	v_mul_f64 v[28:29], v[6:7], v[175:176]
	v_mul_f64 v[32:33], v[8:9], v[175:176]
	v_add_f64 v[24:25], v[26:27], v[24:25]
	v_add_f64 v[22:23], v[22:23], v[30:31]
	v_fma_f64 v[175:176], v[4:5], v[38:39], v[179:180]
	v_fma_f64 v[38:39], v[2:3], v[38:39], -v[40:41]
	ds_load_b128 v[2:5], v1 offset:1280
	v_fma_f64 v[28:29], v[8:9], v[173:174], v[28:29]
	v_fma_f64 v[32:33], v[6:7], v[173:174], -v[32:33]
	ds_load_b128 v[6:9], v1 offset:1296
	s_waitcnt vmcnt(4) lgkmcnt(1)
	v_mul_f64 v[26:27], v[2:3], v[36:37]
	v_mul_f64 v[30:31], v[4:5], v[36:37]
	v_add_f64 v[24:25], v[24:25], v[175:176]
	v_add_f64 v[22:23], v[22:23], v[38:39]
	s_waitcnt vmcnt(3) lgkmcnt(0)
	v_mul_f64 v[36:37], v[6:7], v[171:172]
	v_mul_f64 v[38:39], v[8:9], v[171:172]
	v_fma_f64 v[26:27], v[4:5], v[34:35], v[26:27]
	v_fma_f64 v[30:31], v[2:3], v[34:35], -v[30:31]
	ds_load_b128 v[2:5], v1 offset:1312
	v_add_f64 v[24:25], v[24:25], v[28:29]
	v_add_f64 v[22:23], v[22:23], v[32:33]
	v_fma_f64 v[32:33], v[8:9], v[169:170], v[36:37]
	v_fma_f64 v[34:35], v[6:7], v[169:170], -v[38:39]
	ds_load_b128 v[6:9], v1 offset:1328
	s_waitcnt vmcnt(2) lgkmcnt(1)
	v_mul_f64 v[28:29], v[2:3], v[12:13]
	v_mul_f64 v[12:13], v[4:5], v[12:13]
	v_add_f64 v[24:25], v[24:25], v[26:27]
	v_add_f64 v[22:23], v[22:23], v[30:31]
	s_waitcnt vmcnt(1) lgkmcnt(0)
	v_mul_f64 v[26:27], v[6:7], v[16:17]
	v_mul_f64 v[16:17], v[8:9], v[16:17]
	v_fma_f64 v[4:5], v[4:5], v[10:11], v[28:29]
	v_fma_f64 v[1:2], v[2:3], v[10:11], -v[12:13]
	v_add_f64 v[12:13], v[24:25], v[32:33]
	v_add_f64 v[10:11], v[22:23], v[34:35]
	v_fma_f64 v[8:9], v[8:9], v[14:15], v[26:27]
	v_fma_f64 v[6:7], v[6:7], v[14:15], -v[16:17]
	s_delay_alu instid0(VALU_DEP_4) | instskip(NEXT) | instid1(VALU_DEP_4)
	v_add_f64 v[3:4], v[12:13], v[4:5]
	v_add_f64 v[1:2], v[10:11], v[1:2]
	s_delay_alu instid0(VALU_DEP_2) | instskip(NEXT) | instid1(VALU_DEP_2)
	v_add_f64 v[3:4], v[3:4], v[8:9]
	v_add_f64 v[1:2], v[1:2], v[6:7]
	s_waitcnt vmcnt(0)
	s_delay_alu instid0(VALU_DEP_2) | instskip(NEXT) | instid1(VALU_DEP_2)
	v_add_f64 v[3:4], v[20:21], -v[3:4]
	v_add_f64 v[1:2], v[18:19], -v[1:2]
	scratch_store_b128 off, v[1:4], off offset:272
	v_cmpx_lt_u32_e32 16, v126
	s_cbranch_execz .LBB105_233
; %bb.232:
	scratch_load_b128 v[1:4], v156, off
	v_mov_b32_e32 v5, 0
	s_delay_alu instid0(VALU_DEP_1)
	v_mov_b32_e32 v6, v5
	v_mov_b32_e32 v7, v5
	;; [unrolled: 1-line block ×3, first 2 shown]
	scratch_store_b128 off, v[5:8], off offset:256
	s_waitcnt vmcnt(0)
	ds_store_b128 v168, v[1:4]
.LBB105_233:
	s_or_b32 exec_lo, exec_lo, s2
	s_waitcnt lgkmcnt(0)
	s_waitcnt_vscnt null, 0x0
	s_barrier
	buffer_gl0_inv
	s_clause 0x7
	scratch_load_b128 v[2:5], off, off offset:272
	scratch_load_b128 v[6:9], off, off offset:288
	;; [unrolled: 1-line block ×8, first 2 shown]
	v_mov_b32_e32 v1, 0
	s_clause 0x1
	scratch_load_b128 v[38:41], off, off offset:400
	scratch_load_b128 v[173:176], off, off offset:416
	s_mov_b32 s2, exec_lo
	ds_load_b128 v[34:37], v1 offset:944
	ds_load_b128 v[169:172], v1 offset:960
	s_waitcnt vmcnt(9) lgkmcnt(1)
	v_mul_f64 v[177:178], v[36:37], v[4:5]
	v_mul_f64 v[4:5], v[34:35], v[4:5]
	s_waitcnt vmcnt(8) lgkmcnt(0)
	v_mul_f64 v[179:180], v[169:170], v[8:9]
	v_mul_f64 v[8:9], v[171:172], v[8:9]
	s_delay_alu instid0(VALU_DEP_4) | instskip(NEXT) | instid1(VALU_DEP_4)
	v_fma_f64 v[177:178], v[34:35], v[2:3], -v[177:178]
	v_fma_f64 v[181:182], v[36:37], v[2:3], v[4:5]
	ds_load_b128 v[2:5], v1 offset:976
	scratch_load_b128 v[34:37], off, off offset:432
	v_fma_f64 v[179:180], v[171:172], v[6:7], v[179:180]
	v_fma_f64 v[185:186], v[169:170], v[6:7], -v[8:9]
	scratch_load_b128 v[169:172], off, off offset:448
	ds_load_b128 v[6:9], v1 offset:992
	s_waitcnt vmcnt(9) lgkmcnt(1)
	v_mul_f64 v[183:184], v[2:3], v[12:13]
	v_mul_f64 v[12:13], v[4:5], v[12:13]
	s_waitcnt vmcnt(8) lgkmcnt(0)
	v_mul_f64 v[187:188], v[6:7], v[16:17]
	v_mul_f64 v[16:17], v[8:9], v[16:17]
	v_add_f64 v[177:178], v[177:178], 0
	v_add_f64 v[181:182], v[181:182], 0
	v_fma_f64 v[183:184], v[4:5], v[10:11], v[183:184]
	v_fma_f64 v[189:190], v[2:3], v[10:11], -v[12:13]
	ds_load_b128 v[2:5], v1 offset:1008
	scratch_load_b128 v[10:13], off, off offset:464
	v_add_f64 v[177:178], v[177:178], v[185:186]
	v_add_f64 v[179:180], v[181:182], v[179:180]
	v_fma_f64 v[185:186], v[8:9], v[14:15], v[187:188]
	v_fma_f64 v[187:188], v[6:7], v[14:15], -v[16:17]
	scratch_load_b128 v[14:17], off, off offset:480
	ds_load_b128 v[6:9], v1 offset:1024
	s_waitcnt vmcnt(9) lgkmcnt(1)
	v_mul_f64 v[181:182], v[2:3], v[20:21]
	v_mul_f64 v[20:21], v[4:5], v[20:21]
	v_add_f64 v[177:178], v[177:178], v[189:190]
	v_add_f64 v[179:180], v[179:180], v[183:184]
	s_waitcnt vmcnt(8) lgkmcnt(0)
	v_mul_f64 v[183:184], v[6:7], v[24:25]
	v_mul_f64 v[24:25], v[8:9], v[24:25]
	v_fma_f64 v[181:182], v[4:5], v[18:19], v[181:182]
	v_fma_f64 v[189:190], v[2:3], v[18:19], -v[20:21]
	ds_load_b128 v[2:5], v1 offset:1040
	scratch_load_b128 v[18:21], off, off offset:496
	v_add_f64 v[177:178], v[177:178], v[187:188]
	v_add_f64 v[179:180], v[179:180], v[185:186]
	v_fma_f64 v[183:184], v[8:9], v[22:23], v[183:184]
	v_fma_f64 v[187:188], v[6:7], v[22:23], -v[24:25]
	scratch_load_b128 v[22:25], off, off offset:512
	ds_load_b128 v[6:9], v1 offset:1056
	s_waitcnt vmcnt(9) lgkmcnt(1)
	v_mul_f64 v[185:186], v[2:3], v[28:29]
	v_mul_f64 v[28:29], v[4:5], v[28:29]
	v_add_f64 v[177:178], v[177:178], v[189:190]
	v_add_f64 v[179:180], v[179:180], v[181:182]
	s_waitcnt vmcnt(8) lgkmcnt(0)
	v_mul_f64 v[181:182], v[6:7], v[32:33]
	v_mul_f64 v[32:33], v[8:9], v[32:33]
	;; [unrolled: 18-line block ×3, first 2 shown]
	v_fma_f64 v[183:184], v[4:5], v[38:39], v[183:184]
	v_fma_f64 v[189:190], v[2:3], v[38:39], -v[40:41]
	ds_load_b128 v[2:5], v1 offset:1104
	scratch_load_b128 v[38:41], off, off offset:560
	v_add_f64 v[177:178], v[177:178], v[187:188]
	v_add_f64 v[179:180], v[179:180], v[181:182]
	v_fma_f64 v[185:186], v[8:9], v[173:174], v[185:186]
	v_fma_f64 v[187:188], v[6:7], v[173:174], -v[175:176]
	ds_load_b128 v[6:9], v1 offset:1120
	scratch_load_b128 v[173:176], off, off offset:576
	s_waitcnt vmcnt(9) lgkmcnt(1)
	v_mul_f64 v[181:182], v[2:3], v[36:37]
	v_mul_f64 v[36:37], v[4:5], v[36:37]
	v_add_f64 v[177:178], v[177:178], v[189:190]
	v_add_f64 v[179:180], v[179:180], v[183:184]
	s_waitcnt vmcnt(8) lgkmcnt(0)
	v_mul_f64 v[183:184], v[6:7], v[171:172]
	v_mul_f64 v[171:172], v[8:9], v[171:172]
	v_fma_f64 v[181:182], v[4:5], v[34:35], v[181:182]
	v_fma_f64 v[189:190], v[2:3], v[34:35], -v[36:37]
	scratch_load_b128 v[34:37], off, off offset:592
	ds_load_b128 v[2:5], v1 offset:1136
	v_add_f64 v[177:178], v[177:178], v[187:188]
	v_add_f64 v[179:180], v[179:180], v[185:186]
	v_fma_f64 v[183:184], v[8:9], v[169:170], v[183:184]
	v_fma_f64 v[187:188], v[6:7], v[169:170], -v[171:172]
	ds_load_b128 v[6:9], v1 offset:1152
	s_waitcnt vmcnt(8) lgkmcnt(1)
	v_mul_f64 v[185:186], v[2:3], v[12:13]
	v_mul_f64 v[12:13], v[4:5], v[12:13]
	scratch_load_b128 v[169:172], off, off offset:608
	v_add_f64 v[177:178], v[177:178], v[189:190]
	v_add_f64 v[179:180], v[179:180], v[181:182]
	s_waitcnt vmcnt(8) lgkmcnt(0)
	v_mul_f64 v[181:182], v[6:7], v[16:17]
	v_mul_f64 v[16:17], v[8:9], v[16:17]
	v_fma_f64 v[185:186], v[4:5], v[10:11], v[185:186]
	v_fma_f64 v[189:190], v[2:3], v[10:11], -v[12:13]
	scratch_load_b128 v[10:13], off, off offset:624
	ds_load_b128 v[2:5], v1 offset:1168
	v_add_f64 v[177:178], v[177:178], v[187:188]
	v_add_f64 v[179:180], v[179:180], v[183:184]
	v_fma_f64 v[181:182], v[8:9], v[14:15], v[181:182]
	v_fma_f64 v[187:188], v[6:7], v[14:15], -v[16:17]
	ds_load_b128 v[6:9], v1 offset:1184
	s_waitcnt vmcnt(8) lgkmcnt(1)
	v_mul_f64 v[183:184], v[2:3], v[20:21]
	v_mul_f64 v[20:21], v[4:5], v[20:21]
	scratch_load_b128 v[14:17], off, off offset:640
	v_add_f64 v[177:178], v[177:178], v[189:190]
	v_add_f64 v[179:180], v[179:180], v[185:186]
	s_waitcnt vmcnt(8) lgkmcnt(0)
	v_mul_f64 v[185:186], v[6:7], v[24:25]
	v_mul_f64 v[24:25], v[8:9], v[24:25]
	v_fma_f64 v[183:184], v[4:5], v[18:19], v[183:184]
	v_fma_f64 v[189:190], v[2:3], v[18:19], -v[20:21]
	scratch_load_b128 v[18:21], off, off offset:656
	ds_load_b128 v[2:5], v1 offset:1200
	v_add_f64 v[177:178], v[177:178], v[187:188]
	v_add_f64 v[179:180], v[179:180], v[181:182]
	v_fma_f64 v[185:186], v[8:9], v[22:23], v[185:186]
	v_fma_f64 v[22:23], v[6:7], v[22:23], -v[24:25]
	ds_load_b128 v[6:9], v1 offset:1216
	s_waitcnt vmcnt(8) lgkmcnt(1)
	v_mul_f64 v[181:182], v[2:3], v[28:29]
	v_mul_f64 v[28:29], v[4:5], v[28:29]
	v_add_f64 v[24:25], v[177:178], v[189:190]
	v_add_f64 v[177:178], v[179:180], v[183:184]
	s_waitcnt vmcnt(7) lgkmcnt(0)
	v_mul_f64 v[179:180], v[6:7], v[32:33]
	v_mul_f64 v[32:33], v[8:9], v[32:33]
	v_fma_f64 v[181:182], v[4:5], v[26:27], v[181:182]
	v_fma_f64 v[26:27], v[2:3], v[26:27], -v[28:29]
	ds_load_b128 v[2:5], v1 offset:1232
	v_add_f64 v[22:23], v[24:25], v[22:23]
	v_add_f64 v[24:25], v[177:178], v[185:186]
	v_fma_f64 v[177:178], v[8:9], v[30:31], v[179:180]
	v_fma_f64 v[30:31], v[6:7], v[30:31], -v[32:33]
	ds_load_b128 v[6:9], v1 offset:1248
	s_waitcnt vmcnt(5) lgkmcnt(0)
	v_mul_f64 v[179:180], v[6:7], v[175:176]
	v_mul_f64 v[175:176], v[8:9], v[175:176]
	v_add_f64 v[26:27], v[22:23], v[26:27]
	v_add_f64 v[32:33], v[24:25], v[181:182]
	scratch_load_b128 v[22:25], off, off offset:256
	v_mul_f64 v[28:29], v[2:3], v[40:41]
	v_mul_f64 v[40:41], v[4:5], v[40:41]
	v_add_f64 v[26:27], v[26:27], v[30:31]
	v_add_f64 v[30:31], v[32:33], v[177:178]
	s_delay_alu instid0(VALU_DEP_4) | instskip(NEXT) | instid1(VALU_DEP_4)
	v_fma_f64 v[28:29], v[4:5], v[38:39], v[28:29]
	v_fma_f64 v[38:39], v[2:3], v[38:39], -v[40:41]
	ds_load_b128 v[2:5], v1 offset:1264
	v_fma_f64 v[40:41], v[8:9], v[173:174], v[179:180]
	v_fma_f64 v[173:174], v[6:7], v[173:174], -v[175:176]
	ds_load_b128 v[6:9], v1 offset:1280
	s_waitcnt vmcnt(5) lgkmcnt(1)
	v_mul_f64 v[32:33], v[2:3], v[36:37]
	v_mul_f64 v[36:37], v[4:5], v[36:37]
	v_add_f64 v[28:29], v[30:31], v[28:29]
	v_add_f64 v[26:27], v[26:27], v[38:39]
	s_waitcnt vmcnt(4) lgkmcnt(0)
	v_mul_f64 v[30:31], v[6:7], v[171:172]
	v_mul_f64 v[38:39], v[8:9], v[171:172]
	v_fma_f64 v[32:33], v[4:5], v[34:35], v[32:33]
	v_fma_f64 v[34:35], v[2:3], v[34:35], -v[36:37]
	ds_load_b128 v[2:5], v1 offset:1296
	v_add_f64 v[28:29], v[28:29], v[40:41]
	v_add_f64 v[26:27], v[26:27], v[173:174]
	v_fma_f64 v[30:31], v[8:9], v[169:170], v[30:31]
	v_fma_f64 v[38:39], v[6:7], v[169:170], -v[38:39]
	ds_load_b128 v[6:9], v1 offset:1312
	s_waitcnt vmcnt(3) lgkmcnt(1)
	v_mul_f64 v[36:37], v[2:3], v[12:13]
	v_mul_f64 v[12:13], v[4:5], v[12:13]
	v_add_f64 v[28:29], v[28:29], v[32:33]
	v_add_f64 v[26:27], v[26:27], v[34:35]
	s_waitcnt vmcnt(2) lgkmcnt(0)
	v_mul_f64 v[32:33], v[6:7], v[16:17]
	v_mul_f64 v[16:17], v[8:9], v[16:17]
	v_fma_f64 v[34:35], v[4:5], v[10:11], v[36:37]
	v_fma_f64 v[10:11], v[2:3], v[10:11], -v[12:13]
	ds_load_b128 v[2:5], v1 offset:1328
	v_add_f64 v[12:13], v[26:27], v[38:39]
	v_add_f64 v[26:27], v[28:29], v[30:31]
	s_waitcnt vmcnt(1) lgkmcnt(0)
	v_mul_f64 v[28:29], v[2:3], v[20:21]
	v_mul_f64 v[20:21], v[4:5], v[20:21]
	v_fma_f64 v[8:9], v[8:9], v[14:15], v[32:33]
	v_fma_f64 v[6:7], v[6:7], v[14:15], -v[16:17]
	v_add_f64 v[10:11], v[12:13], v[10:11]
	v_add_f64 v[12:13], v[26:27], v[34:35]
	v_fma_f64 v[4:5], v[4:5], v[18:19], v[28:29]
	v_fma_f64 v[2:3], v[2:3], v[18:19], -v[20:21]
	s_delay_alu instid0(VALU_DEP_4) | instskip(NEXT) | instid1(VALU_DEP_4)
	v_add_f64 v[6:7], v[10:11], v[6:7]
	v_add_f64 v[8:9], v[12:13], v[8:9]
	s_delay_alu instid0(VALU_DEP_2) | instskip(NEXT) | instid1(VALU_DEP_2)
	v_add_f64 v[2:3], v[6:7], v[2:3]
	v_add_f64 v[4:5], v[8:9], v[4:5]
	s_waitcnt vmcnt(0)
	s_delay_alu instid0(VALU_DEP_2) | instskip(NEXT) | instid1(VALU_DEP_2)
	v_add_f64 v[2:3], v[22:23], -v[2:3]
	v_add_f64 v[4:5], v[24:25], -v[4:5]
	scratch_store_b128 off, v[2:5], off offset:256
	v_cmpx_lt_u32_e32 15, v126
	s_cbranch_execz .LBB105_235
; %bb.234:
	scratch_load_b128 v[5:8], v157, off
	v_mov_b32_e32 v2, v1
	v_mov_b32_e32 v3, v1
	;; [unrolled: 1-line block ×3, first 2 shown]
	scratch_store_b128 off, v[1:4], off offset:240
	s_waitcnt vmcnt(0)
	ds_store_b128 v168, v[5:8]
.LBB105_235:
	s_or_b32 exec_lo, exec_lo, s2
	s_waitcnt lgkmcnt(0)
	s_waitcnt_vscnt null, 0x0
	s_barrier
	buffer_gl0_inv
	s_clause 0x7
	scratch_load_b128 v[2:5], off, off offset:256
	scratch_load_b128 v[6:9], off, off offset:272
	;; [unrolled: 1-line block ×8, first 2 shown]
	ds_load_b128 v[38:41], v1 offset:928
	ds_load_b128 v[169:172], v1 offset:944
	s_clause 0x1
	scratch_load_b128 v[34:37], off, off offset:384
	scratch_load_b128 v[173:176], off, off offset:400
	s_mov_b32 s2, exec_lo
	s_waitcnt vmcnt(9) lgkmcnt(1)
	v_mul_f64 v[177:178], v[40:41], v[4:5]
	v_mul_f64 v[4:5], v[38:39], v[4:5]
	s_waitcnt vmcnt(8) lgkmcnt(0)
	v_mul_f64 v[179:180], v[169:170], v[8:9]
	v_mul_f64 v[8:9], v[171:172], v[8:9]
	s_delay_alu instid0(VALU_DEP_4) | instskip(NEXT) | instid1(VALU_DEP_4)
	v_fma_f64 v[177:178], v[38:39], v[2:3], -v[177:178]
	v_fma_f64 v[181:182], v[40:41], v[2:3], v[4:5]
	ds_load_b128 v[2:5], v1 offset:960
	scratch_load_b128 v[38:41], off, off offset:416
	v_fma_f64 v[179:180], v[171:172], v[6:7], v[179:180]
	v_fma_f64 v[185:186], v[169:170], v[6:7], -v[8:9]
	scratch_load_b128 v[169:172], off, off offset:432
	ds_load_b128 v[6:9], v1 offset:976
	s_waitcnt vmcnt(9) lgkmcnt(1)
	v_mul_f64 v[183:184], v[2:3], v[12:13]
	v_mul_f64 v[12:13], v[4:5], v[12:13]
	s_waitcnt vmcnt(8) lgkmcnt(0)
	v_mul_f64 v[187:188], v[6:7], v[16:17]
	v_mul_f64 v[16:17], v[8:9], v[16:17]
	v_add_f64 v[177:178], v[177:178], 0
	v_add_f64 v[181:182], v[181:182], 0
	v_fma_f64 v[183:184], v[4:5], v[10:11], v[183:184]
	v_fma_f64 v[189:190], v[2:3], v[10:11], -v[12:13]
	ds_load_b128 v[2:5], v1 offset:992
	scratch_load_b128 v[10:13], off, off offset:448
	v_add_f64 v[177:178], v[177:178], v[185:186]
	v_add_f64 v[179:180], v[181:182], v[179:180]
	v_fma_f64 v[185:186], v[8:9], v[14:15], v[187:188]
	v_fma_f64 v[187:188], v[6:7], v[14:15], -v[16:17]
	scratch_load_b128 v[14:17], off, off offset:464
	ds_load_b128 v[6:9], v1 offset:1008
	s_waitcnt vmcnt(9) lgkmcnt(1)
	v_mul_f64 v[181:182], v[2:3], v[20:21]
	v_mul_f64 v[20:21], v[4:5], v[20:21]
	v_add_f64 v[177:178], v[177:178], v[189:190]
	v_add_f64 v[179:180], v[179:180], v[183:184]
	s_waitcnt vmcnt(8) lgkmcnt(0)
	v_mul_f64 v[183:184], v[6:7], v[24:25]
	v_mul_f64 v[24:25], v[8:9], v[24:25]
	v_fma_f64 v[181:182], v[4:5], v[18:19], v[181:182]
	v_fma_f64 v[189:190], v[2:3], v[18:19], -v[20:21]
	ds_load_b128 v[2:5], v1 offset:1024
	scratch_load_b128 v[18:21], off, off offset:480
	v_add_f64 v[177:178], v[177:178], v[187:188]
	v_add_f64 v[179:180], v[179:180], v[185:186]
	v_fma_f64 v[183:184], v[8:9], v[22:23], v[183:184]
	v_fma_f64 v[187:188], v[6:7], v[22:23], -v[24:25]
	scratch_load_b128 v[22:25], off, off offset:496
	ds_load_b128 v[6:9], v1 offset:1040
	s_waitcnt vmcnt(9) lgkmcnt(1)
	v_mul_f64 v[185:186], v[2:3], v[28:29]
	v_mul_f64 v[28:29], v[4:5], v[28:29]
	v_add_f64 v[177:178], v[177:178], v[189:190]
	v_add_f64 v[179:180], v[179:180], v[181:182]
	s_waitcnt vmcnt(8) lgkmcnt(0)
	v_mul_f64 v[181:182], v[6:7], v[32:33]
	v_mul_f64 v[32:33], v[8:9], v[32:33]
	;; [unrolled: 18-line block ×3, first 2 shown]
	v_fma_f64 v[183:184], v[4:5], v[34:35], v[183:184]
	v_fma_f64 v[189:190], v[2:3], v[34:35], -v[36:37]
	ds_load_b128 v[2:5], v1 offset:1088
	scratch_load_b128 v[34:37], off, off offset:544
	v_add_f64 v[177:178], v[177:178], v[187:188]
	v_add_f64 v[179:180], v[179:180], v[181:182]
	v_fma_f64 v[185:186], v[8:9], v[173:174], v[185:186]
	v_fma_f64 v[187:188], v[6:7], v[173:174], -v[175:176]
	ds_load_b128 v[6:9], v1 offset:1104
	scratch_load_b128 v[173:176], off, off offset:560
	s_waitcnt vmcnt(9) lgkmcnt(1)
	v_mul_f64 v[181:182], v[2:3], v[40:41]
	v_mul_f64 v[40:41], v[4:5], v[40:41]
	v_add_f64 v[177:178], v[177:178], v[189:190]
	v_add_f64 v[179:180], v[179:180], v[183:184]
	s_waitcnt vmcnt(8) lgkmcnt(0)
	v_mul_f64 v[183:184], v[6:7], v[171:172]
	v_mul_f64 v[171:172], v[8:9], v[171:172]
	v_fma_f64 v[181:182], v[4:5], v[38:39], v[181:182]
	v_fma_f64 v[189:190], v[2:3], v[38:39], -v[40:41]
	ds_load_b128 v[2:5], v1 offset:1120
	scratch_load_b128 v[38:41], off, off offset:576
	v_add_f64 v[177:178], v[177:178], v[187:188]
	v_add_f64 v[179:180], v[179:180], v[185:186]
	v_fma_f64 v[183:184], v[8:9], v[169:170], v[183:184]
	v_fma_f64 v[187:188], v[6:7], v[169:170], -v[171:172]
	ds_load_b128 v[6:9], v1 offset:1136
	s_waitcnt vmcnt(8) lgkmcnt(1)
	v_mul_f64 v[185:186], v[2:3], v[12:13]
	v_mul_f64 v[12:13], v[4:5], v[12:13]
	scratch_load_b128 v[169:172], off, off offset:592
	v_add_f64 v[177:178], v[177:178], v[189:190]
	v_add_f64 v[179:180], v[179:180], v[181:182]
	s_waitcnt vmcnt(8) lgkmcnt(0)
	v_mul_f64 v[181:182], v[6:7], v[16:17]
	v_mul_f64 v[16:17], v[8:9], v[16:17]
	v_fma_f64 v[185:186], v[4:5], v[10:11], v[185:186]
	v_fma_f64 v[189:190], v[2:3], v[10:11], -v[12:13]
	scratch_load_b128 v[10:13], off, off offset:608
	ds_load_b128 v[2:5], v1 offset:1152
	v_add_f64 v[177:178], v[177:178], v[187:188]
	v_add_f64 v[179:180], v[179:180], v[183:184]
	v_fma_f64 v[181:182], v[8:9], v[14:15], v[181:182]
	v_fma_f64 v[187:188], v[6:7], v[14:15], -v[16:17]
	ds_load_b128 v[6:9], v1 offset:1168
	s_waitcnt vmcnt(8) lgkmcnt(1)
	v_mul_f64 v[183:184], v[2:3], v[20:21]
	v_mul_f64 v[20:21], v[4:5], v[20:21]
	scratch_load_b128 v[14:17], off, off offset:624
	v_add_f64 v[177:178], v[177:178], v[189:190]
	v_add_f64 v[179:180], v[179:180], v[185:186]
	s_waitcnt vmcnt(8) lgkmcnt(0)
	v_mul_f64 v[185:186], v[6:7], v[24:25]
	v_mul_f64 v[24:25], v[8:9], v[24:25]
	v_fma_f64 v[183:184], v[4:5], v[18:19], v[183:184]
	v_fma_f64 v[189:190], v[2:3], v[18:19], -v[20:21]
	scratch_load_b128 v[18:21], off, off offset:640
	ds_load_b128 v[2:5], v1 offset:1184
	v_add_f64 v[177:178], v[177:178], v[187:188]
	v_add_f64 v[179:180], v[179:180], v[181:182]
	v_fma_f64 v[185:186], v[8:9], v[22:23], v[185:186]
	v_fma_f64 v[187:188], v[6:7], v[22:23], -v[24:25]
	ds_load_b128 v[6:9], v1 offset:1200
	s_waitcnt vmcnt(8) lgkmcnt(1)
	v_mul_f64 v[181:182], v[2:3], v[28:29]
	v_mul_f64 v[28:29], v[4:5], v[28:29]
	scratch_load_b128 v[22:25], off, off offset:656
	v_add_f64 v[177:178], v[177:178], v[189:190]
	v_add_f64 v[179:180], v[179:180], v[183:184]
	s_waitcnt vmcnt(8) lgkmcnt(0)
	v_mul_f64 v[183:184], v[6:7], v[32:33]
	v_mul_f64 v[32:33], v[8:9], v[32:33]
	v_fma_f64 v[181:182], v[4:5], v[26:27], v[181:182]
	v_fma_f64 v[26:27], v[2:3], v[26:27], -v[28:29]
	ds_load_b128 v[2:5], v1 offset:1216
	v_add_f64 v[28:29], v[177:178], v[187:188]
	v_add_f64 v[177:178], v[179:180], v[185:186]
	v_fma_f64 v[183:184], v[8:9], v[30:31], v[183:184]
	v_fma_f64 v[30:31], v[6:7], v[30:31], -v[32:33]
	ds_load_b128 v[6:9], v1 offset:1232
	s_waitcnt vmcnt(7) lgkmcnt(1)
	v_mul_f64 v[179:180], v[2:3], v[36:37]
	v_mul_f64 v[36:37], v[4:5], v[36:37]
	v_add_f64 v[26:27], v[28:29], v[26:27]
	v_add_f64 v[28:29], v[177:178], v[181:182]
	s_delay_alu instid0(VALU_DEP_4) | instskip(NEXT) | instid1(VALU_DEP_4)
	v_fma_f64 v[177:178], v[4:5], v[34:35], v[179:180]
	v_fma_f64 v[34:35], v[2:3], v[34:35], -v[36:37]
	ds_load_b128 v[2:5], v1 offset:1248
	v_add_f64 v[30:31], v[26:27], v[30:31]
	v_add_f64 v[36:37], v[28:29], v[183:184]
	scratch_load_b128 v[26:29], off, off offset:240
	s_waitcnt vmcnt(7) lgkmcnt(1)
	v_mul_f64 v[32:33], v[6:7], v[175:176]
	v_mul_f64 v[175:176], v[8:9], v[175:176]
	v_add_f64 v[30:31], v[30:31], v[34:35]
	v_add_f64 v[34:35], v[36:37], v[177:178]
	s_delay_alu instid0(VALU_DEP_4) | instskip(NEXT) | instid1(VALU_DEP_4)
	v_fma_f64 v[32:33], v[8:9], v[173:174], v[32:33]
	v_fma_f64 v[173:174], v[6:7], v[173:174], -v[175:176]
	ds_load_b128 v[6:9], v1 offset:1264
	s_waitcnt vmcnt(6) lgkmcnt(1)
	v_mul_f64 v[179:180], v[2:3], v[40:41]
	v_mul_f64 v[40:41], v[4:5], v[40:41]
	s_waitcnt vmcnt(5) lgkmcnt(0)
	v_mul_f64 v[36:37], v[6:7], v[171:172]
	v_mul_f64 v[171:172], v[8:9], v[171:172]
	v_add_f64 v[32:33], v[34:35], v[32:33]
	v_add_f64 v[30:31], v[30:31], v[173:174]
	v_fma_f64 v[175:176], v[4:5], v[38:39], v[179:180]
	v_fma_f64 v[38:39], v[2:3], v[38:39], -v[40:41]
	ds_load_b128 v[2:5], v1 offset:1280
	v_fma_f64 v[36:37], v[8:9], v[169:170], v[36:37]
	v_fma_f64 v[40:41], v[6:7], v[169:170], -v[171:172]
	ds_load_b128 v[6:9], v1 offset:1296
	s_waitcnt vmcnt(4) lgkmcnt(1)
	v_mul_f64 v[34:35], v[2:3], v[12:13]
	v_mul_f64 v[12:13], v[4:5], v[12:13]
	v_add_f64 v[32:33], v[32:33], v[175:176]
	v_add_f64 v[30:31], v[30:31], v[38:39]
	s_waitcnt vmcnt(3) lgkmcnt(0)
	v_mul_f64 v[38:39], v[6:7], v[16:17]
	v_mul_f64 v[16:17], v[8:9], v[16:17]
	v_fma_f64 v[34:35], v[4:5], v[10:11], v[34:35]
	v_fma_f64 v[10:11], v[2:3], v[10:11], -v[12:13]
	ds_load_b128 v[2:5], v1 offset:1312
	v_add_f64 v[12:13], v[30:31], v[40:41]
	v_add_f64 v[30:31], v[32:33], v[36:37]
	v_fma_f64 v[36:37], v[8:9], v[14:15], v[38:39]
	v_fma_f64 v[14:15], v[6:7], v[14:15], -v[16:17]
	ds_load_b128 v[6:9], v1 offset:1328
	s_waitcnt vmcnt(2) lgkmcnt(1)
	v_mul_f64 v[32:33], v[2:3], v[20:21]
	v_mul_f64 v[20:21], v[4:5], v[20:21]
	s_waitcnt vmcnt(1) lgkmcnt(0)
	v_mul_f64 v[16:17], v[6:7], v[24:25]
	v_mul_f64 v[24:25], v[8:9], v[24:25]
	v_add_f64 v[10:11], v[12:13], v[10:11]
	v_add_f64 v[12:13], v[30:31], v[34:35]
	v_fma_f64 v[4:5], v[4:5], v[18:19], v[32:33]
	v_fma_f64 v[1:2], v[2:3], v[18:19], -v[20:21]
	v_fma_f64 v[8:9], v[8:9], v[22:23], v[16:17]
	v_fma_f64 v[6:7], v[6:7], v[22:23], -v[24:25]
	v_add_f64 v[10:11], v[10:11], v[14:15]
	v_add_f64 v[12:13], v[12:13], v[36:37]
	s_delay_alu instid0(VALU_DEP_2) | instskip(NEXT) | instid1(VALU_DEP_2)
	v_add_f64 v[1:2], v[10:11], v[1:2]
	v_add_f64 v[3:4], v[12:13], v[4:5]
	s_delay_alu instid0(VALU_DEP_2) | instskip(NEXT) | instid1(VALU_DEP_2)
	v_add_f64 v[1:2], v[1:2], v[6:7]
	v_add_f64 v[3:4], v[3:4], v[8:9]
	s_waitcnt vmcnt(0)
	s_delay_alu instid0(VALU_DEP_2) | instskip(NEXT) | instid1(VALU_DEP_2)
	v_add_f64 v[1:2], v[26:27], -v[1:2]
	v_add_f64 v[3:4], v[28:29], -v[3:4]
	scratch_store_b128 off, v[1:4], off offset:240
	v_cmpx_lt_u32_e32 14, v126
	s_cbranch_execz .LBB105_237
; %bb.236:
	scratch_load_b128 v[1:4], v158, off
	v_mov_b32_e32 v5, 0
	s_delay_alu instid0(VALU_DEP_1)
	v_mov_b32_e32 v6, v5
	v_mov_b32_e32 v7, v5
	;; [unrolled: 1-line block ×3, first 2 shown]
	scratch_store_b128 off, v[5:8], off offset:224
	s_waitcnt vmcnt(0)
	ds_store_b128 v168, v[1:4]
.LBB105_237:
	s_or_b32 exec_lo, exec_lo, s2
	s_waitcnt lgkmcnt(0)
	s_waitcnt_vscnt null, 0x0
	s_barrier
	buffer_gl0_inv
	s_clause 0x7
	scratch_load_b128 v[2:5], off, off offset:240
	scratch_load_b128 v[6:9], off, off offset:256
	;; [unrolled: 1-line block ×8, first 2 shown]
	v_mov_b32_e32 v1, 0
	s_clause 0x1
	scratch_load_b128 v[34:37], off, off offset:368
	scratch_load_b128 v[173:176], off, off offset:384
	s_mov_b32 s2, exec_lo
	ds_load_b128 v[38:41], v1 offset:912
	ds_load_b128 v[169:172], v1 offset:928
	s_waitcnt vmcnt(9) lgkmcnt(1)
	v_mul_f64 v[177:178], v[40:41], v[4:5]
	v_mul_f64 v[4:5], v[38:39], v[4:5]
	s_waitcnt vmcnt(8) lgkmcnt(0)
	v_mul_f64 v[179:180], v[169:170], v[8:9]
	v_mul_f64 v[8:9], v[171:172], v[8:9]
	s_delay_alu instid0(VALU_DEP_4) | instskip(NEXT) | instid1(VALU_DEP_4)
	v_fma_f64 v[177:178], v[38:39], v[2:3], -v[177:178]
	v_fma_f64 v[181:182], v[40:41], v[2:3], v[4:5]
	ds_load_b128 v[2:5], v1 offset:944
	scratch_load_b128 v[38:41], off, off offset:400
	v_fma_f64 v[179:180], v[171:172], v[6:7], v[179:180]
	v_fma_f64 v[185:186], v[169:170], v[6:7], -v[8:9]
	scratch_load_b128 v[169:172], off, off offset:416
	ds_load_b128 v[6:9], v1 offset:960
	s_waitcnt vmcnt(9) lgkmcnt(1)
	v_mul_f64 v[183:184], v[2:3], v[12:13]
	v_mul_f64 v[12:13], v[4:5], v[12:13]
	s_waitcnt vmcnt(8) lgkmcnt(0)
	v_mul_f64 v[187:188], v[6:7], v[16:17]
	v_mul_f64 v[16:17], v[8:9], v[16:17]
	v_add_f64 v[177:178], v[177:178], 0
	v_add_f64 v[181:182], v[181:182], 0
	v_fma_f64 v[183:184], v[4:5], v[10:11], v[183:184]
	v_fma_f64 v[189:190], v[2:3], v[10:11], -v[12:13]
	ds_load_b128 v[2:5], v1 offset:976
	scratch_load_b128 v[10:13], off, off offset:432
	v_add_f64 v[177:178], v[177:178], v[185:186]
	v_add_f64 v[179:180], v[181:182], v[179:180]
	v_fma_f64 v[185:186], v[8:9], v[14:15], v[187:188]
	v_fma_f64 v[187:188], v[6:7], v[14:15], -v[16:17]
	scratch_load_b128 v[14:17], off, off offset:448
	ds_load_b128 v[6:9], v1 offset:992
	s_waitcnt vmcnt(9) lgkmcnt(1)
	v_mul_f64 v[181:182], v[2:3], v[20:21]
	v_mul_f64 v[20:21], v[4:5], v[20:21]
	v_add_f64 v[177:178], v[177:178], v[189:190]
	v_add_f64 v[179:180], v[179:180], v[183:184]
	s_waitcnt vmcnt(8) lgkmcnt(0)
	v_mul_f64 v[183:184], v[6:7], v[24:25]
	v_mul_f64 v[24:25], v[8:9], v[24:25]
	v_fma_f64 v[181:182], v[4:5], v[18:19], v[181:182]
	v_fma_f64 v[189:190], v[2:3], v[18:19], -v[20:21]
	ds_load_b128 v[2:5], v1 offset:1008
	scratch_load_b128 v[18:21], off, off offset:464
	v_add_f64 v[177:178], v[177:178], v[187:188]
	v_add_f64 v[179:180], v[179:180], v[185:186]
	v_fma_f64 v[183:184], v[8:9], v[22:23], v[183:184]
	v_fma_f64 v[187:188], v[6:7], v[22:23], -v[24:25]
	scratch_load_b128 v[22:25], off, off offset:480
	ds_load_b128 v[6:9], v1 offset:1024
	s_waitcnt vmcnt(9) lgkmcnt(1)
	v_mul_f64 v[185:186], v[2:3], v[28:29]
	v_mul_f64 v[28:29], v[4:5], v[28:29]
	v_add_f64 v[177:178], v[177:178], v[189:190]
	v_add_f64 v[179:180], v[179:180], v[181:182]
	s_waitcnt vmcnt(8) lgkmcnt(0)
	v_mul_f64 v[181:182], v[6:7], v[32:33]
	v_mul_f64 v[32:33], v[8:9], v[32:33]
	;; [unrolled: 18-line block ×4, first 2 shown]
	v_fma_f64 v[181:182], v[4:5], v[38:39], v[181:182]
	v_fma_f64 v[189:190], v[2:3], v[38:39], -v[40:41]
	ds_load_b128 v[2:5], v1 offset:1104
	scratch_load_b128 v[38:41], off, off offset:560
	v_add_f64 v[177:178], v[177:178], v[187:188]
	v_add_f64 v[179:180], v[179:180], v[185:186]
	v_fma_f64 v[183:184], v[8:9], v[169:170], v[183:184]
	v_fma_f64 v[187:188], v[6:7], v[169:170], -v[171:172]
	ds_load_b128 v[6:9], v1 offset:1120
	s_waitcnt vmcnt(8) lgkmcnt(1)
	v_mul_f64 v[185:186], v[2:3], v[12:13]
	v_mul_f64 v[12:13], v[4:5], v[12:13]
	scratch_load_b128 v[169:172], off, off offset:576
	v_add_f64 v[177:178], v[177:178], v[189:190]
	v_add_f64 v[179:180], v[179:180], v[181:182]
	s_waitcnt vmcnt(8) lgkmcnt(0)
	v_mul_f64 v[181:182], v[6:7], v[16:17]
	v_mul_f64 v[16:17], v[8:9], v[16:17]
	v_fma_f64 v[185:186], v[4:5], v[10:11], v[185:186]
	v_fma_f64 v[189:190], v[2:3], v[10:11], -v[12:13]
	scratch_load_b128 v[10:13], off, off offset:592
	ds_load_b128 v[2:5], v1 offset:1136
	v_add_f64 v[177:178], v[177:178], v[187:188]
	v_add_f64 v[179:180], v[179:180], v[183:184]
	v_fma_f64 v[181:182], v[8:9], v[14:15], v[181:182]
	v_fma_f64 v[187:188], v[6:7], v[14:15], -v[16:17]
	ds_load_b128 v[6:9], v1 offset:1152
	s_waitcnt vmcnt(8) lgkmcnt(1)
	v_mul_f64 v[183:184], v[2:3], v[20:21]
	v_mul_f64 v[20:21], v[4:5], v[20:21]
	scratch_load_b128 v[14:17], off, off offset:608
	v_add_f64 v[177:178], v[177:178], v[189:190]
	v_add_f64 v[179:180], v[179:180], v[185:186]
	s_waitcnt vmcnt(8) lgkmcnt(0)
	v_mul_f64 v[185:186], v[6:7], v[24:25]
	v_mul_f64 v[24:25], v[8:9], v[24:25]
	v_fma_f64 v[183:184], v[4:5], v[18:19], v[183:184]
	v_fma_f64 v[189:190], v[2:3], v[18:19], -v[20:21]
	scratch_load_b128 v[18:21], off, off offset:624
	ds_load_b128 v[2:5], v1 offset:1168
	;; [unrolled: 18-line block ×3, first 2 shown]
	v_add_f64 v[177:178], v[177:178], v[187:188]
	v_add_f64 v[179:180], v[179:180], v[185:186]
	v_fma_f64 v[183:184], v[8:9], v[30:31], v[183:184]
	v_fma_f64 v[30:31], v[6:7], v[30:31], -v[32:33]
	ds_load_b128 v[6:9], v1 offset:1216
	s_waitcnt vmcnt(8) lgkmcnt(1)
	v_mul_f64 v[185:186], v[2:3], v[36:37]
	v_mul_f64 v[36:37], v[4:5], v[36:37]
	v_add_f64 v[32:33], v[177:178], v[189:190]
	v_add_f64 v[177:178], v[179:180], v[181:182]
	s_waitcnt vmcnt(7) lgkmcnt(0)
	v_mul_f64 v[179:180], v[6:7], v[175:176]
	v_mul_f64 v[175:176], v[8:9], v[175:176]
	v_fma_f64 v[181:182], v[4:5], v[34:35], v[185:186]
	v_fma_f64 v[34:35], v[2:3], v[34:35], -v[36:37]
	ds_load_b128 v[2:5], v1 offset:1232
	v_add_f64 v[30:31], v[32:33], v[30:31]
	v_add_f64 v[32:33], v[177:178], v[183:184]
	v_fma_f64 v[177:178], v[8:9], v[173:174], v[179:180]
	v_fma_f64 v[173:174], v[6:7], v[173:174], -v[175:176]
	ds_load_b128 v[6:9], v1 offset:1248
	s_waitcnt vmcnt(5) lgkmcnt(0)
	v_mul_f64 v[179:180], v[6:7], v[171:172]
	v_mul_f64 v[171:172], v[8:9], v[171:172]
	v_add_f64 v[34:35], v[30:31], v[34:35]
	v_add_f64 v[175:176], v[32:33], v[181:182]
	scratch_load_b128 v[30:33], off, off offset:224
	v_mul_f64 v[36:37], v[2:3], v[40:41]
	v_mul_f64 v[40:41], v[4:5], v[40:41]
	v_add_f64 v[34:35], v[34:35], v[173:174]
	s_delay_alu instid0(VALU_DEP_3) | instskip(NEXT) | instid1(VALU_DEP_3)
	v_fma_f64 v[36:37], v[4:5], v[38:39], v[36:37]
	v_fma_f64 v[38:39], v[2:3], v[38:39], -v[40:41]
	v_add_f64 v[40:41], v[175:176], v[177:178]
	ds_load_b128 v[2:5], v1 offset:1264
	v_fma_f64 v[175:176], v[8:9], v[169:170], v[179:180]
	v_fma_f64 v[169:170], v[6:7], v[169:170], -v[171:172]
	ds_load_b128 v[6:9], v1 offset:1280
	s_waitcnt vmcnt(5) lgkmcnt(1)
	v_mul_f64 v[173:174], v[2:3], v[12:13]
	v_mul_f64 v[12:13], v[4:5], v[12:13]
	v_add_f64 v[34:35], v[34:35], v[38:39]
	v_add_f64 v[36:37], v[40:41], v[36:37]
	s_waitcnt vmcnt(4) lgkmcnt(0)
	v_mul_f64 v[38:39], v[6:7], v[16:17]
	v_mul_f64 v[16:17], v[8:9], v[16:17]
	v_fma_f64 v[40:41], v[4:5], v[10:11], v[173:174]
	v_fma_f64 v[10:11], v[2:3], v[10:11], -v[12:13]
	ds_load_b128 v[2:5], v1 offset:1296
	v_add_f64 v[12:13], v[34:35], v[169:170]
	v_add_f64 v[34:35], v[36:37], v[175:176]
	v_fma_f64 v[38:39], v[8:9], v[14:15], v[38:39]
	v_fma_f64 v[14:15], v[6:7], v[14:15], -v[16:17]
	ds_load_b128 v[6:9], v1 offset:1312
	s_waitcnt vmcnt(3) lgkmcnt(1)
	v_mul_f64 v[36:37], v[2:3], v[20:21]
	v_mul_f64 v[20:21], v[4:5], v[20:21]
	s_waitcnt vmcnt(2) lgkmcnt(0)
	v_mul_f64 v[16:17], v[6:7], v[24:25]
	v_mul_f64 v[24:25], v[8:9], v[24:25]
	v_add_f64 v[10:11], v[12:13], v[10:11]
	v_add_f64 v[12:13], v[34:35], v[40:41]
	v_fma_f64 v[34:35], v[4:5], v[18:19], v[36:37]
	v_fma_f64 v[18:19], v[2:3], v[18:19], -v[20:21]
	ds_load_b128 v[2:5], v1 offset:1328
	v_fma_f64 v[8:9], v[8:9], v[22:23], v[16:17]
	v_fma_f64 v[6:7], v[6:7], v[22:23], -v[24:25]
	s_waitcnt vmcnt(1) lgkmcnt(0)
	v_mul_f64 v[20:21], v[4:5], v[28:29]
	v_add_f64 v[10:11], v[10:11], v[14:15]
	v_add_f64 v[12:13], v[12:13], v[38:39]
	v_mul_f64 v[14:15], v[2:3], v[28:29]
	s_delay_alu instid0(VALU_DEP_4) | instskip(NEXT) | instid1(VALU_DEP_4)
	v_fma_f64 v[2:3], v[2:3], v[26:27], -v[20:21]
	v_add_f64 v[10:11], v[10:11], v[18:19]
	s_delay_alu instid0(VALU_DEP_4) | instskip(NEXT) | instid1(VALU_DEP_4)
	v_add_f64 v[12:13], v[12:13], v[34:35]
	v_fma_f64 v[4:5], v[4:5], v[26:27], v[14:15]
	s_delay_alu instid0(VALU_DEP_3) | instskip(NEXT) | instid1(VALU_DEP_3)
	v_add_f64 v[6:7], v[10:11], v[6:7]
	v_add_f64 v[8:9], v[12:13], v[8:9]
	s_delay_alu instid0(VALU_DEP_2) | instskip(NEXT) | instid1(VALU_DEP_2)
	v_add_f64 v[2:3], v[6:7], v[2:3]
	v_add_f64 v[4:5], v[8:9], v[4:5]
	s_waitcnt vmcnt(0)
	s_delay_alu instid0(VALU_DEP_2) | instskip(NEXT) | instid1(VALU_DEP_2)
	v_add_f64 v[2:3], v[30:31], -v[2:3]
	v_add_f64 v[4:5], v[32:33], -v[4:5]
	scratch_store_b128 off, v[2:5], off offset:224
	v_cmpx_lt_u32_e32 13, v126
	s_cbranch_execz .LBB105_239
; %bb.238:
	scratch_load_b128 v[5:8], v159, off
	v_mov_b32_e32 v2, v1
	v_mov_b32_e32 v3, v1
	;; [unrolled: 1-line block ×3, first 2 shown]
	scratch_store_b128 off, v[1:4], off offset:208
	s_waitcnt vmcnt(0)
	ds_store_b128 v168, v[5:8]
.LBB105_239:
	s_or_b32 exec_lo, exec_lo, s2
	s_waitcnt lgkmcnt(0)
	s_waitcnt_vscnt null, 0x0
	s_barrier
	buffer_gl0_inv
	s_clause 0x7
	scratch_load_b128 v[2:5], off, off offset:224
	scratch_load_b128 v[6:9], off, off offset:240
	;; [unrolled: 1-line block ×8, first 2 shown]
	ds_load_b128 v[38:41], v1 offset:896
	ds_load_b128 v[169:172], v1 offset:912
	s_clause 0x1
	scratch_load_b128 v[34:37], off, off offset:352
	scratch_load_b128 v[173:176], off, off offset:368
	s_mov_b32 s2, exec_lo
	s_waitcnt vmcnt(9) lgkmcnt(1)
	v_mul_f64 v[177:178], v[40:41], v[4:5]
	v_mul_f64 v[4:5], v[38:39], v[4:5]
	s_waitcnt vmcnt(8) lgkmcnt(0)
	v_mul_f64 v[179:180], v[169:170], v[8:9]
	v_mul_f64 v[8:9], v[171:172], v[8:9]
	s_delay_alu instid0(VALU_DEP_4) | instskip(NEXT) | instid1(VALU_DEP_4)
	v_fma_f64 v[177:178], v[38:39], v[2:3], -v[177:178]
	v_fma_f64 v[181:182], v[40:41], v[2:3], v[4:5]
	ds_load_b128 v[2:5], v1 offset:928
	scratch_load_b128 v[38:41], off, off offset:384
	v_fma_f64 v[179:180], v[171:172], v[6:7], v[179:180]
	v_fma_f64 v[185:186], v[169:170], v[6:7], -v[8:9]
	scratch_load_b128 v[169:172], off, off offset:400
	ds_load_b128 v[6:9], v1 offset:944
	s_waitcnt vmcnt(9) lgkmcnt(1)
	v_mul_f64 v[183:184], v[2:3], v[12:13]
	v_mul_f64 v[12:13], v[4:5], v[12:13]
	s_waitcnt vmcnt(8) lgkmcnt(0)
	v_mul_f64 v[187:188], v[6:7], v[16:17]
	v_mul_f64 v[16:17], v[8:9], v[16:17]
	v_add_f64 v[177:178], v[177:178], 0
	v_add_f64 v[181:182], v[181:182], 0
	v_fma_f64 v[183:184], v[4:5], v[10:11], v[183:184]
	v_fma_f64 v[189:190], v[2:3], v[10:11], -v[12:13]
	ds_load_b128 v[2:5], v1 offset:960
	scratch_load_b128 v[10:13], off, off offset:416
	v_add_f64 v[177:178], v[177:178], v[185:186]
	v_add_f64 v[179:180], v[181:182], v[179:180]
	v_fma_f64 v[185:186], v[8:9], v[14:15], v[187:188]
	v_fma_f64 v[187:188], v[6:7], v[14:15], -v[16:17]
	scratch_load_b128 v[14:17], off, off offset:432
	ds_load_b128 v[6:9], v1 offset:976
	s_waitcnt vmcnt(9) lgkmcnt(1)
	v_mul_f64 v[181:182], v[2:3], v[20:21]
	v_mul_f64 v[20:21], v[4:5], v[20:21]
	v_add_f64 v[177:178], v[177:178], v[189:190]
	v_add_f64 v[179:180], v[179:180], v[183:184]
	s_waitcnt vmcnt(8) lgkmcnt(0)
	v_mul_f64 v[183:184], v[6:7], v[24:25]
	v_mul_f64 v[24:25], v[8:9], v[24:25]
	v_fma_f64 v[181:182], v[4:5], v[18:19], v[181:182]
	v_fma_f64 v[189:190], v[2:3], v[18:19], -v[20:21]
	ds_load_b128 v[2:5], v1 offset:992
	scratch_load_b128 v[18:21], off, off offset:448
	v_add_f64 v[177:178], v[177:178], v[187:188]
	v_add_f64 v[179:180], v[179:180], v[185:186]
	v_fma_f64 v[183:184], v[8:9], v[22:23], v[183:184]
	v_fma_f64 v[187:188], v[6:7], v[22:23], -v[24:25]
	scratch_load_b128 v[22:25], off, off offset:464
	ds_load_b128 v[6:9], v1 offset:1008
	s_waitcnt vmcnt(9) lgkmcnt(1)
	v_mul_f64 v[185:186], v[2:3], v[28:29]
	v_mul_f64 v[28:29], v[4:5], v[28:29]
	v_add_f64 v[177:178], v[177:178], v[189:190]
	v_add_f64 v[179:180], v[179:180], v[181:182]
	s_waitcnt vmcnt(8) lgkmcnt(0)
	v_mul_f64 v[181:182], v[6:7], v[32:33]
	v_mul_f64 v[32:33], v[8:9], v[32:33]
	;; [unrolled: 18-line block ×4, first 2 shown]
	v_fma_f64 v[181:182], v[4:5], v[38:39], v[181:182]
	v_fma_f64 v[189:190], v[2:3], v[38:39], -v[40:41]
	ds_load_b128 v[2:5], v1 offset:1088
	scratch_load_b128 v[38:41], off, off offset:544
	v_add_f64 v[177:178], v[177:178], v[187:188]
	v_add_f64 v[179:180], v[179:180], v[185:186]
	v_fma_f64 v[183:184], v[8:9], v[169:170], v[183:184]
	v_fma_f64 v[187:188], v[6:7], v[169:170], -v[171:172]
	ds_load_b128 v[6:9], v1 offset:1104
	s_waitcnt vmcnt(8) lgkmcnt(1)
	v_mul_f64 v[185:186], v[2:3], v[12:13]
	v_mul_f64 v[12:13], v[4:5], v[12:13]
	scratch_load_b128 v[169:172], off, off offset:560
	v_add_f64 v[177:178], v[177:178], v[189:190]
	v_add_f64 v[179:180], v[179:180], v[181:182]
	s_waitcnt vmcnt(8) lgkmcnt(0)
	v_mul_f64 v[181:182], v[6:7], v[16:17]
	v_mul_f64 v[16:17], v[8:9], v[16:17]
	v_fma_f64 v[185:186], v[4:5], v[10:11], v[185:186]
	v_fma_f64 v[189:190], v[2:3], v[10:11], -v[12:13]
	ds_load_b128 v[2:5], v1 offset:1120
	scratch_load_b128 v[10:13], off, off offset:576
	v_add_f64 v[177:178], v[177:178], v[187:188]
	v_add_f64 v[179:180], v[179:180], v[183:184]
	v_fma_f64 v[181:182], v[8:9], v[14:15], v[181:182]
	v_fma_f64 v[187:188], v[6:7], v[14:15], -v[16:17]
	ds_load_b128 v[6:9], v1 offset:1136
	s_waitcnt vmcnt(8) lgkmcnt(1)
	v_mul_f64 v[183:184], v[2:3], v[20:21]
	v_mul_f64 v[20:21], v[4:5], v[20:21]
	scratch_load_b128 v[14:17], off, off offset:592
	v_add_f64 v[177:178], v[177:178], v[189:190]
	v_add_f64 v[179:180], v[179:180], v[185:186]
	s_waitcnt vmcnt(8) lgkmcnt(0)
	v_mul_f64 v[185:186], v[6:7], v[24:25]
	v_mul_f64 v[24:25], v[8:9], v[24:25]
	v_fma_f64 v[183:184], v[4:5], v[18:19], v[183:184]
	v_fma_f64 v[189:190], v[2:3], v[18:19], -v[20:21]
	scratch_load_b128 v[18:21], off, off offset:608
	ds_load_b128 v[2:5], v1 offset:1152
	v_add_f64 v[177:178], v[177:178], v[187:188]
	v_add_f64 v[179:180], v[179:180], v[181:182]
	v_fma_f64 v[185:186], v[8:9], v[22:23], v[185:186]
	v_fma_f64 v[187:188], v[6:7], v[22:23], -v[24:25]
	ds_load_b128 v[6:9], v1 offset:1168
	s_waitcnt vmcnt(8) lgkmcnt(1)
	v_mul_f64 v[181:182], v[2:3], v[28:29]
	v_mul_f64 v[28:29], v[4:5], v[28:29]
	scratch_load_b128 v[22:25], off, off offset:624
	v_add_f64 v[177:178], v[177:178], v[189:190]
	v_add_f64 v[179:180], v[179:180], v[183:184]
	s_waitcnt vmcnt(8) lgkmcnt(0)
	v_mul_f64 v[183:184], v[6:7], v[32:33]
	v_mul_f64 v[32:33], v[8:9], v[32:33]
	v_fma_f64 v[181:182], v[4:5], v[26:27], v[181:182]
	v_fma_f64 v[189:190], v[2:3], v[26:27], -v[28:29]
	scratch_load_b128 v[26:29], off, off offset:640
	ds_load_b128 v[2:5], v1 offset:1184
	v_add_f64 v[177:178], v[177:178], v[187:188]
	v_add_f64 v[179:180], v[179:180], v[185:186]
	v_fma_f64 v[183:184], v[8:9], v[30:31], v[183:184]
	v_fma_f64 v[187:188], v[6:7], v[30:31], -v[32:33]
	ds_load_b128 v[6:9], v1 offset:1200
	s_waitcnt vmcnt(8) lgkmcnt(1)
	v_mul_f64 v[185:186], v[2:3], v[36:37]
	v_mul_f64 v[36:37], v[4:5], v[36:37]
	scratch_load_b128 v[30:33], off, off offset:656
	v_add_f64 v[177:178], v[177:178], v[189:190]
	v_add_f64 v[179:180], v[179:180], v[181:182]
	s_waitcnt vmcnt(8) lgkmcnt(0)
	v_mul_f64 v[181:182], v[6:7], v[175:176]
	v_mul_f64 v[175:176], v[8:9], v[175:176]
	v_fma_f64 v[185:186], v[4:5], v[34:35], v[185:186]
	v_fma_f64 v[34:35], v[2:3], v[34:35], -v[36:37]
	ds_load_b128 v[2:5], v1 offset:1216
	v_add_f64 v[36:37], v[177:178], v[187:188]
	v_add_f64 v[177:178], v[179:180], v[183:184]
	v_fma_f64 v[181:182], v[8:9], v[173:174], v[181:182]
	v_fma_f64 v[173:174], v[6:7], v[173:174], -v[175:176]
	ds_load_b128 v[6:9], v1 offset:1232
	s_waitcnt vmcnt(7) lgkmcnt(1)
	v_mul_f64 v[179:180], v[2:3], v[40:41]
	v_mul_f64 v[40:41], v[4:5], v[40:41]
	v_add_f64 v[34:35], v[36:37], v[34:35]
	v_add_f64 v[36:37], v[177:178], v[185:186]
	s_delay_alu instid0(VALU_DEP_4) | instskip(NEXT) | instid1(VALU_DEP_4)
	v_fma_f64 v[177:178], v[4:5], v[38:39], v[179:180]
	v_fma_f64 v[38:39], v[2:3], v[38:39], -v[40:41]
	ds_load_b128 v[2:5], v1 offset:1248
	v_add_f64 v[40:41], v[34:35], v[173:174]
	v_add_f64 v[173:174], v[36:37], v[181:182]
	scratch_load_b128 v[34:37], off, off offset:208
	s_waitcnt vmcnt(7) lgkmcnt(1)
	v_mul_f64 v[175:176], v[6:7], v[171:172]
	v_mul_f64 v[171:172], v[8:9], v[171:172]
	v_add_f64 v[38:39], v[40:41], v[38:39]
	v_add_f64 v[40:41], v[173:174], v[177:178]
	s_delay_alu instid0(VALU_DEP_4) | instskip(NEXT) | instid1(VALU_DEP_4)
	v_fma_f64 v[175:176], v[8:9], v[169:170], v[175:176]
	v_fma_f64 v[169:170], v[6:7], v[169:170], -v[171:172]
	ds_load_b128 v[6:9], v1 offset:1264
	s_waitcnt vmcnt(6) lgkmcnt(1)
	v_mul_f64 v[179:180], v[2:3], v[12:13]
	v_mul_f64 v[12:13], v[4:5], v[12:13]
	s_waitcnt vmcnt(5) lgkmcnt(0)
	v_mul_f64 v[171:172], v[6:7], v[16:17]
	v_mul_f64 v[16:17], v[8:9], v[16:17]
	s_delay_alu instid0(VALU_DEP_4) | instskip(NEXT) | instid1(VALU_DEP_4)
	v_fma_f64 v[173:174], v[4:5], v[10:11], v[179:180]
	v_fma_f64 v[10:11], v[2:3], v[10:11], -v[12:13]
	v_add_f64 v[12:13], v[38:39], v[169:170]
	v_add_f64 v[38:39], v[40:41], v[175:176]
	ds_load_b128 v[2:5], v1 offset:1280
	v_fma_f64 v[169:170], v[8:9], v[14:15], v[171:172]
	v_fma_f64 v[14:15], v[6:7], v[14:15], -v[16:17]
	ds_load_b128 v[6:9], v1 offset:1296
	s_waitcnt vmcnt(4) lgkmcnt(1)
	v_mul_f64 v[40:41], v[2:3], v[20:21]
	v_mul_f64 v[20:21], v[4:5], v[20:21]
	v_add_f64 v[10:11], v[12:13], v[10:11]
	v_add_f64 v[12:13], v[38:39], v[173:174]
	s_waitcnt vmcnt(3) lgkmcnt(0)
	v_mul_f64 v[16:17], v[6:7], v[24:25]
	v_mul_f64 v[24:25], v[8:9], v[24:25]
	v_fma_f64 v[38:39], v[4:5], v[18:19], v[40:41]
	v_fma_f64 v[18:19], v[2:3], v[18:19], -v[20:21]
	ds_load_b128 v[2:5], v1 offset:1312
	v_add_f64 v[10:11], v[10:11], v[14:15]
	v_add_f64 v[12:13], v[12:13], v[169:170]
	v_fma_f64 v[16:17], v[8:9], v[22:23], v[16:17]
	v_fma_f64 v[22:23], v[6:7], v[22:23], -v[24:25]
	ds_load_b128 v[6:9], v1 offset:1328
	s_waitcnt vmcnt(2) lgkmcnt(1)
	v_mul_f64 v[14:15], v[2:3], v[28:29]
	v_mul_f64 v[20:21], v[4:5], v[28:29]
	s_waitcnt vmcnt(1) lgkmcnt(0)
	v_mul_f64 v[24:25], v[8:9], v[32:33]
	v_add_f64 v[10:11], v[10:11], v[18:19]
	v_add_f64 v[12:13], v[12:13], v[38:39]
	v_mul_f64 v[18:19], v[6:7], v[32:33]
	v_fma_f64 v[4:5], v[4:5], v[26:27], v[14:15]
	v_fma_f64 v[1:2], v[2:3], v[26:27], -v[20:21]
	v_fma_f64 v[6:7], v[6:7], v[30:31], -v[24:25]
	v_add_f64 v[10:11], v[10:11], v[22:23]
	v_add_f64 v[12:13], v[12:13], v[16:17]
	v_fma_f64 v[8:9], v[8:9], v[30:31], v[18:19]
	s_delay_alu instid0(VALU_DEP_3) | instskip(NEXT) | instid1(VALU_DEP_3)
	v_add_f64 v[1:2], v[10:11], v[1:2]
	v_add_f64 v[3:4], v[12:13], v[4:5]
	s_delay_alu instid0(VALU_DEP_2) | instskip(NEXT) | instid1(VALU_DEP_2)
	v_add_f64 v[1:2], v[1:2], v[6:7]
	v_add_f64 v[3:4], v[3:4], v[8:9]
	s_waitcnt vmcnt(0)
	s_delay_alu instid0(VALU_DEP_2) | instskip(NEXT) | instid1(VALU_DEP_2)
	v_add_f64 v[1:2], v[34:35], -v[1:2]
	v_add_f64 v[3:4], v[36:37], -v[3:4]
	scratch_store_b128 off, v[1:4], off offset:208
	v_cmpx_lt_u32_e32 12, v126
	s_cbranch_execz .LBB105_241
; %bb.240:
	scratch_load_b128 v[1:4], v160, off
	v_mov_b32_e32 v5, 0
	s_delay_alu instid0(VALU_DEP_1)
	v_mov_b32_e32 v6, v5
	v_mov_b32_e32 v7, v5
	;; [unrolled: 1-line block ×3, first 2 shown]
	scratch_store_b128 off, v[5:8], off offset:192
	s_waitcnt vmcnt(0)
	ds_store_b128 v168, v[1:4]
.LBB105_241:
	s_or_b32 exec_lo, exec_lo, s2
	s_waitcnt lgkmcnt(0)
	s_waitcnt_vscnt null, 0x0
	s_barrier
	buffer_gl0_inv
	s_clause 0x7
	scratch_load_b128 v[2:5], off, off offset:208
	scratch_load_b128 v[6:9], off, off offset:224
	;; [unrolled: 1-line block ×8, first 2 shown]
	v_mov_b32_e32 v1, 0
	s_clause 0x1
	scratch_load_b128 v[34:37], off, off offset:336
	scratch_load_b128 v[173:176], off, off offset:352
	s_mov_b32 s2, exec_lo
	ds_load_b128 v[38:41], v1 offset:880
	ds_load_b128 v[169:172], v1 offset:896
	s_waitcnt vmcnt(9) lgkmcnt(1)
	v_mul_f64 v[177:178], v[40:41], v[4:5]
	v_mul_f64 v[4:5], v[38:39], v[4:5]
	s_waitcnt vmcnt(8) lgkmcnt(0)
	v_mul_f64 v[179:180], v[169:170], v[8:9]
	v_mul_f64 v[8:9], v[171:172], v[8:9]
	s_delay_alu instid0(VALU_DEP_4) | instskip(NEXT) | instid1(VALU_DEP_4)
	v_fma_f64 v[177:178], v[38:39], v[2:3], -v[177:178]
	v_fma_f64 v[181:182], v[40:41], v[2:3], v[4:5]
	ds_load_b128 v[2:5], v1 offset:912
	scratch_load_b128 v[38:41], off, off offset:368
	v_fma_f64 v[179:180], v[171:172], v[6:7], v[179:180]
	v_fma_f64 v[185:186], v[169:170], v[6:7], -v[8:9]
	scratch_load_b128 v[169:172], off, off offset:384
	ds_load_b128 v[6:9], v1 offset:928
	s_waitcnt vmcnt(9) lgkmcnt(1)
	v_mul_f64 v[183:184], v[2:3], v[12:13]
	v_mul_f64 v[12:13], v[4:5], v[12:13]
	s_waitcnt vmcnt(8) lgkmcnt(0)
	v_mul_f64 v[187:188], v[6:7], v[16:17]
	v_mul_f64 v[16:17], v[8:9], v[16:17]
	v_add_f64 v[177:178], v[177:178], 0
	v_add_f64 v[181:182], v[181:182], 0
	v_fma_f64 v[183:184], v[4:5], v[10:11], v[183:184]
	v_fma_f64 v[189:190], v[2:3], v[10:11], -v[12:13]
	ds_load_b128 v[2:5], v1 offset:944
	scratch_load_b128 v[10:13], off, off offset:400
	v_add_f64 v[177:178], v[177:178], v[185:186]
	v_add_f64 v[179:180], v[181:182], v[179:180]
	v_fma_f64 v[185:186], v[8:9], v[14:15], v[187:188]
	v_fma_f64 v[187:188], v[6:7], v[14:15], -v[16:17]
	scratch_load_b128 v[14:17], off, off offset:416
	ds_load_b128 v[6:9], v1 offset:960
	s_waitcnt vmcnt(9) lgkmcnt(1)
	v_mul_f64 v[181:182], v[2:3], v[20:21]
	v_mul_f64 v[20:21], v[4:5], v[20:21]
	v_add_f64 v[177:178], v[177:178], v[189:190]
	v_add_f64 v[179:180], v[179:180], v[183:184]
	s_waitcnt vmcnt(8) lgkmcnt(0)
	v_mul_f64 v[183:184], v[6:7], v[24:25]
	v_mul_f64 v[24:25], v[8:9], v[24:25]
	v_fma_f64 v[181:182], v[4:5], v[18:19], v[181:182]
	v_fma_f64 v[189:190], v[2:3], v[18:19], -v[20:21]
	ds_load_b128 v[2:5], v1 offset:976
	scratch_load_b128 v[18:21], off, off offset:432
	v_add_f64 v[177:178], v[177:178], v[187:188]
	v_add_f64 v[179:180], v[179:180], v[185:186]
	v_fma_f64 v[183:184], v[8:9], v[22:23], v[183:184]
	v_fma_f64 v[187:188], v[6:7], v[22:23], -v[24:25]
	scratch_load_b128 v[22:25], off, off offset:448
	ds_load_b128 v[6:9], v1 offset:992
	s_waitcnt vmcnt(9) lgkmcnt(1)
	v_mul_f64 v[185:186], v[2:3], v[28:29]
	v_mul_f64 v[28:29], v[4:5], v[28:29]
	v_add_f64 v[177:178], v[177:178], v[189:190]
	v_add_f64 v[179:180], v[179:180], v[181:182]
	s_waitcnt vmcnt(8) lgkmcnt(0)
	v_mul_f64 v[181:182], v[6:7], v[32:33]
	v_mul_f64 v[32:33], v[8:9], v[32:33]
	;; [unrolled: 18-line block ×5, first 2 shown]
	v_fma_f64 v[185:186], v[4:5], v[10:11], v[185:186]
	v_fma_f64 v[189:190], v[2:3], v[10:11], -v[12:13]
	ds_load_b128 v[2:5], v1 offset:1104
	scratch_load_b128 v[10:13], off, off offset:560
	v_add_f64 v[177:178], v[177:178], v[187:188]
	v_add_f64 v[179:180], v[179:180], v[183:184]
	v_fma_f64 v[181:182], v[8:9], v[14:15], v[181:182]
	v_fma_f64 v[187:188], v[6:7], v[14:15], -v[16:17]
	ds_load_b128 v[6:9], v1 offset:1120
	s_waitcnt vmcnt(8) lgkmcnt(1)
	v_mul_f64 v[183:184], v[2:3], v[20:21]
	v_mul_f64 v[20:21], v[4:5], v[20:21]
	scratch_load_b128 v[14:17], off, off offset:576
	v_add_f64 v[177:178], v[177:178], v[189:190]
	v_add_f64 v[179:180], v[179:180], v[185:186]
	s_waitcnt vmcnt(8) lgkmcnt(0)
	v_mul_f64 v[185:186], v[6:7], v[24:25]
	v_mul_f64 v[24:25], v[8:9], v[24:25]
	v_fma_f64 v[183:184], v[4:5], v[18:19], v[183:184]
	v_fma_f64 v[189:190], v[2:3], v[18:19], -v[20:21]
	scratch_load_b128 v[18:21], off, off offset:592
	ds_load_b128 v[2:5], v1 offset:1136
	v_add_f64 v[177:178], v[177:178], v[187:188]
	v_add_f64 v[179:180], v[179:180], v[181:182]
	v_fma_f64 v[185:186], v[8:9], v[22:23], v[185:186]
	v_fma_f64 v[187:188], v[6:7], v[22:23], -v[24:25]
	ds_load_b128 v[6:9], v1 offset:1152
	s_waitcnt vmcnt(8) lgkmcnt(1)
	v_mul_f64 v[181:182], v[2:3], v[28:29]
	v_mul_f64 v[28:29], v[4:5], v[28:29]
	scratch_load_b128 v[22:25], off, off offset:608
	v_add_f64 v[177:178], v[177:178], v[189:190]
	v_add_f64 v[179:180], v[179:180], v[183:184]
	s_waitcnt vmcnt(8) lgkmcnt(0)
	v_mul_f64 v[183:184], v[6:7], v[32:33]
	v_mul_f64 v[32:33], v[8:9], v[32:33]
	v_fma_f64 v[181:182], v[4:5], v[26:27], v[181:182]
	v_fma_f64 v[189:190], v[2:3], v[26:27], -v[28:29]
	scratch_load_b128 v[26:29], off, off offset:624
	ds_load_b128 v[2:5], v1 offset:1168
	;; [unrolled: 18-line block ×3, first 2 shown]
	v_add_f64 v[177:178], v[177:178], v[187:188]
	v_add_f64 v[179:180], v[179:180], v[183:184]
	v_fma_f64 v[181:182], v[8:9], v[173:174], v[181:182]
	v_fma_f64 v[173:174], v[6:7], v[173:174], -v[175:176]
	ds_load_b128 v[6:9], v1 offset:1216
	s_waitcnt vmcnt(8) lgkmcnt(1)
	v_mul_f64 v[183:184], v[2:3], v[40:41]
	v_mul_f64 v[40:41], v[4:5], v[40:41]
	v_add_f64 v[175:176], v[177:178], v[189:190]
	v_add_f64 v[177:178], v[179:180], v[185:186]
	s_waitcnt vmcnt(7) lgkmcnt(0)
	v_mul_f64 v[179:180], v[6:7], v[171:172]
	v_mul_f64 v[171:172], v[8:9], v[171:172]
	v_fma_f64 v[183:184], v[4:5], v[38:39], v[183:184]
	v_fma_f64 v[38:39], v[2:3], v[38:39], -v[40:41]
	ds_load_b128 v[2:5], v1 offset:1232
	v_add_f64 v[40:41], v[175:176], v[173:174]
	v_add_f64 v[173:174], v[177:178], v[181:182]
	v_fma_f64 v[177:178], v[8:9], v[169:170], v[179:180]
	v_fma_f64 v[169:170], v[6:7], v[169:170], -v[171:172]
	ds_load_b128 v[6:9], v1 offset:1248
	s_waitcnt vmcnt(5) lgkmcnt(0)
	v_mul_f64 v[179:180], v[6:7], v[16:17]
	v_mul_f64 v[16:17], v[8:9], v[16:17]
	v_add_f64 v[171:172], v[40:41], v[38:39]
	v_add_f64 v[173:174], v[173:174], v[183:184]
	scratch_load_b128 v[38:41], off, off offset:192
	v_mul_f64 v[175:176], v[2:3], v[12:13]
	v_mul_f64 v[12:13], v[4:5], v[12:13]
	s_delay_alu instid0(VALU_DEP_2) | instskip(NEXT) | instid1(VALU_DEP_2)
	v_fma_f64 v[175:176], v[4:5], v[10:11], v[175:176]
	v_fma_f64 v[10:11], v[2:3], v[10:11], -v[12:13]
	v_add_f64 v[12:13], v[171:172], v[169:170]
	v_add_f64 v[169:170], v[173:174], v[177:178]
	ds_load_b128 v[2:5], v1 offset:1264
	v_fma_f64 v[173:174], v[8:9], v[14:15], v[179:180]
	v_fma_f64 v[14:15], v[6:7], v[14:15], -v[16:17]
	ds_load_b128 v[6:9], v1 offset:1280
	s_waitcnt vmcnt(5) lgkmcnt(1)
	v_mul_f64 v[171:172], v[2:3], v[20:21]
	v_mul_f64 v[20:21], v[4:5], v[20:21]
	s_waitcnt vmcnt(4) lgkmcnt(0)
	v_mul_f64 v[16:17], v[6:7], v[24:25]
	v_mul_f64 v[24:25], v[8:9], v[24:25]
	v_add_f64 v[10:11], v[12:13], v[10:11]
	v_add_f64 v[12:13], v[169:170], v[175:176]
	v_fma_f64 v[169:170], v[4:5], v[18:19], v[171:172]
	v_fma_f64 v[18:19], v[2:3], v[18:19], -v[20:21]
	ds_load_b128 v[2:5], v1 offset:1296
	v_fma_f64 v[16:17], v[8:9], v[22:23], v[16:17]
	v_fma_f64 v[22:23], v[6:7], v[22:23], -v[24:25]
	ds_load_b128 v[6:9], v1 offset:1312
	v_add_f64 v[10:11], v[10:11], v[14:15]
	v_add_f64 v[12:13], v[12:13], v[173:174]
	s_waitcnt vmcnt(3) lgkmcnt(1)
	v_mul_f64 v[14:15], v[2:3], v[28:29]
	v_mul_f64 v[20:21], v[4:5], v[28:29]
	s_waitcnt vmcnt(2) lgkmcnt(0)
	v_mul_f64 v[24:25], v[8:9], v[32:33]
	v_add_f64 v[10:11], v[10:11], v[18:19]
	v_add_f64 v[12:13], v[12:13], v[169:170]
	v_mul_f64 v[18:19], v[6:7], v[32:33]
	v_fma_f64 v[14:15], v[4:5], v[26:27], v[14:15]
	v_fma_f64 v[20:21], v[2:3], v[26:27], -v[20:21]
	ds_load_b128 v[2:5], v1 offset:1328
	v_fma_f64 v[6:7], v[6:7], v[30:31], -v[24:25]
	v_add_f64 v[10:11], v[10:11], v[22:23]
	v_add_f64 v[12:13], v[12:13], v[16:17]
	s_waitcnt vmcnt(1) lgkmcnt(0)
	v_mul_f64 v[16:17], v[2:3], v[36:37]
	v_mul_f64 v[22:23], v[4:5], v[36:37]
	v_fma_f64 v[8:9], v[8:9], v[30:31], v[18:19]
	v_add_f64 v[10:11], v[10:11], v[20:21]
	v_add_f64 v[12:13], v[12:13], v[14:15]
	v_fma_f64 v[4:5], v[4:5], v[34:35], v[16:17]
	v_fma_f64 v[2:3], v[2:3], v[34:35], -v[22:23]
	s_delay_alu instid0(VALU_DEP_4) | instskip(NEXT) | instid1(VALU_DEP_4)
	v_add_f64 v[6:7], v[10:11], v[6:7]
	v_add_f64 v[8:9], v[12:13], v[8:9]
	s_delay_alu instid0(VALU_DEP_2) | instskip(NEXT) | instid1(VALU_DEP_2)
	v_add_f64 v[2:3], v[6:7], v[2:3]
	v_add_f64 v[4:5], v[8:9], v[4:5]
	s_waitcnt vmcnt(0)
	s_delay_alu instid0(VALU_DEP_2) | instskip(NEXT) | instid1(VALU_DEP_2)
	v_add_f64 v[2:3], v[38:39], -v[2:3]
	v_add_f64 v[4:5], v[40:41], -v[4:5]
	scratch_store_b128 off, v[2:5], off offset:192
	v_cmpx_lt_u32_e32 11, v126
	s_cbranch_execz .LBB105_243
; %bb.242:
	scratch_load_b128 v[5:8], v161, off
	v_mov_b32_e32 v2, v1
	v_mov_b32_e32 v3, v1
	;; [unrolled: 1-line block ×3, first 2 shown]
	scratch_store_b128 off, v[1:4], off offset:176
	s_waitcnt vmcnt(0)
	ds_store_b128 v168, v[5:8]
.LBB105_243:
	s_or_b32 exec_lo, exec_lo, s2
	s_waitcnt lgkmcnt(0)
	s_waitcnt_vscnt null, 0x0
	s_barrier
	buffer_gl0_inv
	s_clause 0x7
	scratch_load_b128 v[2:5], off, off offset:192
	scratch_load_b128 v[6:9], off, off offset:208
	;; [unrolled: 1-line block ×8, first 2 shown]
	ds_load_b128 v[38:41], v1 offset:864
	ds_load_b128 v[169:172], v1 offset:880
	s_clause 0x1
	scratch_load_b128 v[34:37], off, off offset:320
	scratch_load_b128 v[173:176], off, off offset:336
	s_mov_b32 s2, exec_lo
	s_waitcnt vmcnt(9) lgkmcnt(1)
	v_mul_f64 v[177:178], v[40:41], v[4:5]
	v_mul_f64 v[4:5], v[38:39], v[4:5]
	s_waitcnt vmcnt(8) lgkmcnt(0)
	v_mul_f64 v[179:180], v[169:170], v[8:9]
	v_mul_f64 v[8:9], v[171:172], v[8:9]
	s_delay_alu instid0(VALU_DEP_4) | instskip(NEXT) | instid1(VALU_DEP_4)
	v_fma_f64 v[177:178], v[38:39], v[2:3], -v[177:178]
	v_fma_f64 v[181:182], v[40:41], v[2:3], v[4:5]
	ds_load_b128 v[2:5], v1 offset:896
	scratch_load_b128 v[38:41], off, off offset:352
	v_fma_f64 v[179:180], v[171:172], v[6:7], v[179:180]
	v_fma_f64 v[185:186], v[169:170], v[6:7], -v[8:9]
	scratch_load_b128 v[169:172], off, off offset:368
	ds_load_b128 v[6:9], v1 offset:912
	s_waitcnt vmcnt(9) lgkmcnt(1)
	v_mul_f64 v[183:184], v[2:3], v[12:13]
	v_mul_f64 v[12:13], v[4:5], v[12:13]
	s_waitcnt vmcnt(8) lgkmcnt(0)
	v_mul_f64 v[187:188], v[6:7], v[16:17]
	v_mul_f64 v[16:17], v[8:9], v[16:17]
	v_add_f64 v[177:178], v[177:178], 0
	v_add_f64 v[181:182], v[181:182], 0
	v_fma_f64 v[183:184], v[4:5], v[10:11], v[183:184]
	v_fma_f64 v[189:190], v[2:3], v[10:11], -v[12:13]
	scratch_load_b128 v[10:13], off, off offset:384
	ds_load_b128 v[2:5], v1 offset:928
	v_add_f64 v[177:178], v[177:178], v[185:186]
	v_add_f64 v[179:180], v[181:182], v[179:180]
	v_fma_f64 v[185:186], v[8:9], v[14:15], v[187:188]
	v_fma_f64 v[187:188], v[6:7], v[14:15], -v[16:17]
	ds_load_b128 v[6:9], v1 offset:944
	scratch_load_b128 v[14:17], off, off offset:400
	s_waitcnt vmcnt(9) lgkmcnt(1)
	v_mul_f64 v[181:182], v[2:3], v[20:21]
	v_mul_f64 v[20:21], v[4:5], v[20:21]
	v_add_f64 v[177:178], v[177:178], v[189:190]
	v_add_f64 v[179:180], v[179:180], v[183:184]
	s_waitcnt vmcnt(8) lgkmcnt(0)
	v_mul_f64 v[183:184], v[6:7], v[24:25]
	v_mul_f64 v[24:25], v[8:9], v[24:25]
	v_fma_f64 v[181:182], v[4:5], v[18:19], v[181:182]
	v_fma_f64 v[189:190], v[2:3], v[18:19], -v[20:21]
	ds_load_b128 v[2:5], v1 offset:960
	scratch_load_b128 v[18:21], off, off offset:416
	v_add_f64 v[177:178], v[177:178], v[187:188]
	v_add_f64 v[179:180], v[179:180], v[185:186]
	v_fma_f64 v[183:184], v[8:9], v[22:23], v[183:184]
	v_fma_f64 v[187:188], v[6:7], v[22:23], -v[24:25]
	scratch_load_b128 v[22:25], off, off offset:432
	ds_load_b128 v[6:9], v1 offset:976
	s_waitcnt vmcnt(9) lgkmcnt(1)
	v_mul_f64 v[185:186], v[2:3], v[28:29]
	v_mul_f64 v[28:29], v[4:5], v[28:29]
	v_add_f64 v[177:178], v[177:178], v[189:190]
	v_add_f64 v[179:180], v[179:180], v[181:182]
	s_waitcnt vmcnt(8) lgkmcnt(0)
	v_mul_f64 v[181:182], v[6:7], v[32:33]
	v_mul_f64 v[32:33], v[8:9], v[32:33]
	v_fma_f64 v[185:186], v[4:5], v[26:27], v[185:186]
	v_fma_f64 v[189:190], v[2:3], v[26:27], -v[28:29]
	ds_load_b128 v[2:5], v1 offset:992
	scratch_load_b128 v[26:29], off, off offset:448
	v_add_f64 v[177:178], v[177:178], v[187:188]
	v_add_f64 v[179:180], v[179:180], v[183:184]
	v_fma_f64 v[181:182], v[8:9], v[30:31], v[181:182]
	v_fma_f64 v[187:188], v[6:7], v[30:31], -v[32:33]
	scratch_load_b128 v[30:33], off, off offset:464
	ds_load_b128 v[6:9], v1 offset:1008
	s_waitcnt vmcnt(9) lgkmcnt(1)
	v_mul_f64 v[183:184], v[2:3], v[36:37]
	v_mul_f64 v[36:37], v[4:5], v[36:37]
	v_add_f64 v[177:178], v[177:178], v[189:190]
	v_add_f64 v[179:180], v[179:180], v[185:186]
	s_waitcnt vmcnt(8) lgkmcnt(0)
	v_mul_f64 v[185:186], v[6:7], v[175:176]
	v_mul_f64 v[175:176], v[8:9], v[175:176]
	v_fma_f64 v[183:184], v[4:5], v[34:35], v[183:184]
	v_fma_f64 v[189:190], v[2:3], v[34:35], -v[36:37]
	ds_load_b128 v[2:5], v1 offset:1024
	scratch_load_b128 v[34:37], off, off offset:480
	v_add_f64 v[177:178], v[177:178], v[187:188]
	v_add_f64 v[179:180], v[179:180], v[181:182]
	v_fma_f64 v[185:186], v[8:9], v[173:174], v[185:186]
	v_fma_f64 v[187:188], v[6:7], v[173:174], -v[175:176]
	scratch_load_b128 v[173:176], off, off offset:496
	ds_load_b128 v[6:9], v1 offset:1040
	s_waitcnt vmcnt(9) lgkmcnt(1)
	v_mul_f64 v[181:182], v[2:3], v[40:41]
	v_mul_f64 v[40:41], v[4:5], v[40:41]
	v_add_f64 v[177:178], v[177:178], v[189:190]
	v_add_f64 v[179:180], v[179:180], v[183:184]
	s_waitcnt vmcnt(8) lgkmcnt(0)
	v_mul_f64 v[183:184], v[6:7], v[171:172]
	v_mul_f64 v[171:172], v[8:9], v[171:172]
	v_fma_f64 v[181:182], v[4:5], v[38:39], v[181:182]
	v_fma_f64 v[189:190], v[2:3], v[38:39], -v[40:41]
	ds_load_b128 v[2:5], v1 offset:1056
	scratch_load_b128 v[38:41], off, off offset:512
	v_add_f64 v[177:178], v[177:178], v[187:188]
	v_add_f64 v[179:180], v[179:180], v[185:186]
	v_fma_f64 v[183:184], v[8:9], v[169:170], v[183:184]
	v_fma_f64 v[187:188], v[6:7], v[169:170], -v[171:172]
	ds_load_b128 v[6:9], v1 offset:1072
	s_waitcnt vmcnt(8) lgkmcnt(1)
	v_mul_f64 v[185:186], v[2:3], v[12:13]
	v_mul_f64 v[12:13], v[4:5], v[12:13]
	scratch_load_b128 v[169:172], off, off offset:528
	v_add_f64 v[177:178], v[177:178], v[189:190]
	v_add_f64 v[179:180], v[179:180], v[181:182]
	s_waitcnt vmcnt(8) lgkmcnt(0)
	v_mul_f64 v[181:182], v[6:7], v[16:17]
	v_mul_f64 v[16:17], v[8:9], v[16:17]
	v_fma_f64 v[185:186], v[4:5], v[10:11], v[185:186]
	v_fma_f64 v[189:190], v[2:3], v[10:11], -v[12:13]
	scratch_load_b128 v[10:13], off, off offset:544
	ds_load_b128 v[2:5], v1 offset:1088
	v_add_f64 v[177:178], v[177:178], v[187:188]
	v_add_f64 v[179:180], v[179:180], v[183:184]
	v_fma_f64 v[181:182], v[8:9], v[14:15], v[181:182]
	v_fma_f64 v[187:188], v[6:7], v[14:15], -v[16:17]
	ds_load_b128 v[6:9], v1 offset:1104
	s_waitcnt vmcnt(8) lgkmcnt(1)
	v_mul_f64 v[183:184], v[2:3], v[20:21]
	v_mul_f64 v[20:21], v[4:5], v[20:21]
	scratch_load_b128 v[14:17], off, off offset:560
	v_add_f64 v[177:178], v[177:178], v[189:190]
	v_add_f64 v[179:180], v[179:180], v[185:186]
	s_waitcnt vmcnt(8) lgkmcnt(0)
	v_mul_f64 v[185:186], v[6:7], v[24:25]
	v_mul_f64 v[24:25], v[8:9], v[24:25]
	v_fma_f64 v[183:184], v[4:5], v[18:19], v[183:184]
	v_fma_f64 v[189:190], v[2:3], v[18:19], -v[20:21]
	scratch_load_b128 v[18:21], off, off offset:576
	ds_load_b128 v[2:5], v1 offset:1120
	;; [unrolled: 18-line block ×4, first 2 shown]
	v_add_f64 v[177:178], v[177:178], v[187:188]
	v_add_f64 v[179:180], v[179:180], v[183:184]
	v_fma_f64 v[181:182], v[8:9], v[173:174], v[181:182]
	v_fma_f64 v[187:188], v[6:7], v[173:174], -v[175:176]
	ds_load_b128 v[6:9], v1 offset:1200
	s_waitcnt vmcnt(8) lgkmcnt(1)
	v_mul_f64 v[183:184], v[2:3], v[40:41]
	v_mul_f64 v[40:41], v[4:5], v[40:41]
	scratch_load_b128 v[173:176], off, off offset:656
	v_add_f64 v[177:178], v[177:178], v[189:190]
	v_add_f64 v[179:180], v[179:180], v[185:186]
	v_fma_f64 v[183:184], v[4:5], v[38:39], v[183:184]
	v_fma_f64 v[38:39], v[2:3], v[38:39], -v[40:41]
	ds_load_b128 v[2:5], v1 offset:1216
	v_add_f64 v[40:41], v[177:178], v[187:188]
	v_add_f64 v[177:178], v[179:180], v[181:182]
	s_waitcnt vmcnt(7) lgkmcnt(0)
	v_mul_f64 v[179:180], v[2:3], v[12:13]
	v_mul_f64 v[12:13], v[4:5], v[12:13]
	s_delay_alu instid0(VALU_DEP_4) | instskip(NEXT) | instid1(VALU_DEP_4)
	v_add_f64 v[38:39], v[40:41], v[38:39]
	v_add_f64 v[40:41], v[177:178], v[183:184]
	s_delay_alu instid0(VALU_DEP_4) | instskip(NEXT) | instid1(VALU_DEP_4)
	v_fma_f64 v[177:178], v[4:5], v[10:11], v[179:180]
	v_fma_f64 v[179:180], v[2:3], v[10:11], -v[12:13]
	scratch_load_b128 v[10:13], off, off offset:176
	v_mul_f64 v[185:186], v[6:7], v[171:172]
	v_mul_f64 v[171:172], v[8:9], v[171:172]
	ds_load_b128 v[2:5], v1 offset:1248
	v_fma_f64 v[181:182], v[8:9], v[169:170], v[185:186]
	v_fma_f64 v[169:170], v[6:7], v[169:170], -v[171:172]
	ds_load_b128 v[6:9], v1 offset:1232
	s_waitcnt vmcnt(7) lgkmcnt(0)
	v_mul_f64 v[171:172], v[6:7], v[16:17]
	v_mul_f64 v[16:17], v[8:9], v[16:17]
	v_add_f64 v[40:41], v[40:41], v[181:182]
	v_add_f64 v[38:39], v[38:39], v[169:170]
	s_waitcnt vmcnt(6)
	v_mul_f64 v[169:170], v[2:3], v[20:21]
	v_mul_f64 v[20:21], v[4:5], v[20:21]
	v_fma_f64 v[171:172], v[8:9], v[14:15], v[171:172]
	v_fma_f64 v[14:15], v[6:7], v[14:15], -v[16:17]
	ds_load_b128 v[6:9], v1 offset:1264
	v_add_f64 v[16:17], v[38:39], v[179:180]
	v_add_f64 v[38:39], v[40:41], v[177:178]
	v_fma_f64 v[169:170], v[4:5], v[18:19], v[169:170]
	v_fma_f64 v[18:19], v[2:3], v[18:19], -v[20:21]
	ds_load_b128 v[2:5], v1 offset:1280
	s_waitcnt vmcnt(5) lgkmcnt(1)
	v_mul_f64 v[40:41], v[6:7], v[24:25]
	v_mul_f64 v[24:25], v[8:9], v[24:25]
	s_waitcnt vmcnt(4) lgkmcnt(0)
	v_mul_f64 v[20:21], v[2:3], v[28:29]
	v_mul_f64 v[28:29], v[4:5], v[28:29]
	v_add_f64 v[14:15], v[16:17], v[14:15]
	v_add_f64 v[16:17], v[38:39], v[171:172]
	v_fma_f64 v[38:39], v[8:9], v[22:23], v[40:41]
	v_fma_f64 v[22:23], v[6:7], v[22:23], -v[24:25]
	ds_load_b128 v[6:9], v1 offset:1296
	v_fma_f64 v[20:21], v[4:5], v[26:27], v[20:21]
	v_fma_f64 v[26:27], v[2:3], v[26:27], -v[28:29]
	ds_load_b128 v[2:5], v1 offset:1312
	s_waitcnt vmcnt(3) lgkmcnt(1)
	v_mul_f64 v[24:25], v[8:9], v[32:33]
	v_add_f64 v[14:15], v[14:15], v[18:19]
	v_add_f64 v[16:17], v[16:17], v[169:170]
	v_mul_f64 v[18:19], v[6:7], v[32:33]
	s_waitcnt vmcnt(2) lgkmcnt(0)
	v_mul_f64 v[28:29], v[4:5], v[36:37]
	v_fma_f64 v[24:25], v[6:7], v[30:31], -v[24:25]
	v_add_f64 v[14:15], v[14:15], v[22:23]
	v_add_f64 v[16:17], v[16:17], v[38:39]
	v_mul_f64 v[22:23], v[2:3], v[36:37]
	v_fma_f64 v[18:19], v[8:9], v[30:31], v[18:19]
	ds_load_b128 v[6:9], v1 offset:1328
	v_fma_f64 v[1:2], v[2:3], v[34:35], -v[28:29]
	v_add_f64 v[14:15], v[14:15], v[26:27]
	v_add_f64 v[16:17], v[16:17], v[20:21]
	s_waitcnt vmcnt(1) lgkmcnt(0)
	v_mul_f64 v[20:21], v[6:7], v[175:176]
	v_mul_f64 v[26:27], v[8:9], v[175:176]
	v_fma_f64 v[4:5], v[4:5], v[34:35], v[22:23]
	v_add_f64 v[14:15], v[14:15], v[24:25]
	v_add_f64 v[16:17], v[16:17], v[18:19]
	v_fma_f64 v[8:9], v[8:9], v[173:174], v[20:21]
	v_fma_f64 v[6:7], v[6:7], v[173:174], -v[26:27]
	s_delay_alu instid0(VALU_DEP_4) | instskip(NEXT) | instid1(VALU_DEP_4)
	v_add_f64 v[1:2], v[14:15], v[1:2]
	v_add_f64 v[3:4], v[16:17], v[4:5]
	s_delay_alu instid0(VALU_DEP_2) | instskip(NEXT) | instid1(VALU_DEP_2)
	v_add_f64 v[1:2], v[1:2], v[6:7]
	v_add_f64 v[3:4], v[3:4], v[8:9]
	s_waitcnt vmcnt(0)
	s_delay_alu instid0(VALU_DEP_2) | instskip(NEXT) | instid1(VALU_DEP_2)
	v_add_f64 v[1:2], v[10:11], -v[1:2]
	v_add_f64 v[3:4], v[12:13], -v[3:4]
	scratch_store_b128 off, v[1:4], off offset:176
	v_cmpx_lt_u32_e32 10, v126
	s_cbranch_execz .LBB105_245
; %bb.244:
	scratch_load_b128 v[1:4], v162, off
	v_mov_b32_e32 v5, 0
	s_delay_alu instid0(VALU_DEP_1)
	v_mov_b32_e32 v6, v5
	v_mov_b32_e32 v7, v5
	;; [unrolled: 1-line block ×3, first 2 shown]
	scratch_store_b128 off, v[5:8], off offset:160
	s_waitcnt vmcnt(0)
	ds_store_b128 v168, v[1:4]
.LBB105_245:
	s_or_b32 exec_lo, exec_lo, s2
	s_waitcnt lgkmcnt(0)
	s_waitcnt_vscnt null, 0x0
	s_barrier
	buffer_gl0_inv
	s_clause 0x7
	scratch_load_b128 v[2:5], off, off offset:176
	scratch_load_b128 v[6:9], off, off offset:192
	;; [unrolled: 1-line block ×8, first 2 shown]
	v_mov_b32_e32 v1, 0
	s_clause 0x1
	scratch_load_b128 v[34:37], off, off offset:304
	scratch_load_b128 v[173:176], off, off offset:320
	s_mov_b32 s2, exec_lo
	ds_load_b128 v[38:41], v1 offset:848
	ds_load_b128 v[169:172], v1 offset:864
	s_waitcnt vmcnt(9) lgkmcnt(1)
	v_mul_f64 v[177:178], v[40:41], v[4:5]
	v_mul_f64 v[4:5], v[38:39], v[4:5]
	s_waitcnt vmcnt(8) lgkmcnt(0)
	v_mul_f64 v[179:180], v[169:170], v[8:9]
	v_mul_f64 v[8:9], v[171:172], v[8:9]
	s_delay_alu instid0(VALU_DEP_4) | instskip(NEXT) | instid1(VALU_DEP_4)
	v_fma_f64 v[177:178], v[38:39], v[2:3], -v[177:178]
	v_fma_f64 v[181:182], v[40:41], v[2:3], v[4:5]
	ds_load_b128 v[2:5], v1 offset:880
	scratch_load_b128 v[38:41], off, off offset:336
	v_fma_f64 v[179:180], v[171:172], v[6:7], v[179:180]
	v_fma_f64 v[185:186], v[169:170], v[6:7], -v[8:9]
	scratch_load_b128 v[169:172], off, off offset:352
	ds_load_b128 v[6:9], v1 offset:896
	s_waitcnt vmcnt(9) lgkmcnt(1)
	v_mul_f64 v[183:184], v[2:3], v[12:13]
	v_mul_f64 v[12:13], v[4:5], v[12:13]
	s_waitcnt vmcnt(8) lgkmcnt(0)
	v_mul_f64 v[187:188], v[6:7], v[16:17]
	v_mul_f64 v[16:17], v[8:9], v[16:17]
	v_add_f64 v[177:178], v[177:178], 0
	v_add_f64 v[181:182], v[181:182], 0
	v_fma_f64 v[183:184], v[4:5], v[10:11], v[183:184]
	v_fma_f64 v[189:190], v[2:3], v[10:11], -v[12:13]
	ds_load_b128 v[2:5], v1 offset:912
	scratch_load_b128 v[10:13], off, off offset:368
	v_add_f64 v[177:178], v[177:178], v[185:186]
	v_add_f64 v[179:180], v[181:182], v[179:180]
	v_fma_f64 v[185:186], v[8:9], v[14:15], v[187:188]
	v_fma_f64 v[187:188], v[6:7], v[14:15], -v[16:17]
	scratch_load_b128 v[14:17], off, off offset:384
	ds_load_b128 v[6:9], v1 offset:928
	s_waitcnt vmcnt(9) lgkmcnt(1)
	v_mul_f64 v[181:182], v[2:3], v[20:21]
	v_mul_f64 v[20:21], v[4:5], v[20:21]
	v_add_f64 v[177:178], v[177:178], v[189:190]
	v_add_f64 v[179:180], v[179:180], v[183:184]
	s_waitcnt vmcnt(8) lgkmcnt(0)
	v_mul_f64 v[183:184], v[6:7], v[24:25]
	v_mul_f64 v[24:25], v[8:9], v[24:25]
	v_fma_f64 v[181:182], v[4:5], v[18:19], v[181:182]
	v_fma_f64 v[189:190], v[2:3], v[18:19], -v[20:21]
	ds_load_b128 v[2:5], v1 offset:944
	scratch_load_b128 v[18:21], off, off offset:400
	v_add_f64 v[177:178], v[177:178], v[187:188]
	v_add_f64 v[179:180], v[179:180], v[185:186]
	v_fma_f64 v[183:184], v[8:9], v[22:23], v[183:184]
	v_fma_f64 v[187:188], v[6:7], v[22:23], -v[24:25]
	scratch_load_b128 v[22:25], off, off offset:416
	ds_load_b128 v[6:9], v1 offset:960
	s_waitcnt vmcnt(9) lgkmcnt(1)
	v_mul_f64 v[185:186], v[2:3], v[28:29]
	v_mul_f64 v[28:29], v[4:5], v[28:29]
	v_add_f64 v[177:178], v[177:178], v[189:190]
	v_add_f64 v[179:180], v[179:180], v[181:182]
	s_waitcnt vmcnt(8) lgkmcnt(0)
	v_mul_f64 v[181:182], v[6:7], v[32:33]
	v_mul_f64 v[32:33], v[8:9], v[32:33]
	v_fma_f64 v[185:186], v[4:5], v[26:27], v[185:186]
	v_fma_f64 v[189:190], v[2:3], v[26:27], -v[28:29]
	ds_load_b128 v[2:5], v1 offset:976
	scratch_load_b128 v[26:29], off, off offset:432
	v_add_f64 v[177:178], v[177:178], v[187:188]
	v_add_f64 v[179:180], v[179:180], v[183:184]
	v_fma_f64 v[181:182], v[8:9], v[30:31], v[181:182]
	v_fma_f64 v[187:188], v[6:7], v[30:31], -v[32:33]
	scratch_load_b128 v[30:33], off, off offset:448
	ds_load_b128 v[6:9], v1 offset:992
	s_waitcnt vmcnt(9) lgkmcnt(1)
	v_mul_f64 v[183:184], v[2:3], v[36:37]
	v_mul_f64 v[36:37], v[4:5], v[36:37]
	v_add_f64 v[177:178], v[177:178], v[189:190]
	v_add_f64 v[179:180], v[179:180], v[185:186]
	s_waitcnt vmcnt(8) lgkmcnt(0)
	v_mul_f64 v[185:186], v[6:7], v[175:176]
	v_mul_f64 v[175:176], v[8:9], v[175:176]
	v_fma_f64 v[183:184], v[4:5], v[34:35], v[183:184]
	v_fma_f64 v[189:190], v[2:3], v[34:35], -v[36:37]
	ds_load_b128 v[2:5], v1 offset:1008
	scratch_load_b128 v[34:37], off, off offset:464
	v_add_f64 v[177:178], v[177:178], v[187:188]
	v_add_f64 v[179:180], v[179:180], v[181:182]
	v_fma_f64 v[185:186], v[8:9], v[173:174], v[185:186]
	v_fma_f64 v[187:188], v[6:7], v[173:174], -v[175:176]
	scratch_load_b128 v[173:176], off, off offset:480
	ds_load_b128 v[6:9], v1 offset:1024
	s_waitcnt vmcnt(9) lgkmcnt(1)
	v_mul_f64 v[181:182], v[2:3], v[40:41]
	v_mul_f64 v[40:41], v[4:5], v[40:41]
	v_add_f64 v[177:178], v[177:178], v[189:190]
	v_add_f64 v[179:180], v[179:180], v[183:184]
	s_waitcnt vmcnt(8) lgkmcnt(0)
	v_mul_f64 v[183:184], v[6:7], v[171:172]
	v_mul_f64 v[171:172], v[8:9], v[171:172]
	v_fma_f64 v[181:182], v[4:5], v[38:39], v[181:182]
	v_fma_f64 v[189:190], v[2:3], v[38:39], -v[40:41]
	ds_load_b128 v[2:5], v1 offset:1040
	scratch_load_b128 v[38:41], off, off offset:496
	v_add_f64 v[177:178], v[177:178], v[187:188]
	v_add_f64 v[179:180], v[179:180], v[185:186]
	v_fma_f64 v[183:184], v[8:9], v[169:170], v[183:184]
	v_fma_f64 v[187:188], v[6:7], v[169:170], -v[171:172]
	scratch_load_b128 v[169:172], off, off offset:512
	ds_load_b128 v[6:9], v1 offset:1056
	s_waitcnt vmcnt(9) lgkmcnt(1)
	v_mul_f64 v[185:186], v[2:3], v[12:13]
	v_mul_f64 v[12:13], v[4:5], v[12:13]
	v_add_f64 v[177:178], v[177:178], v[189:190]
	v_add_f64 v[179:180], v[179:180], v[181:182]
	s_waitcnt vmcnt(8) lgkmcnt(0)
	v_mul_f64 v[181:182], v[6:7], v[16:17]
	v_mul_f64 v[16:17], v[8:9], v[16:17]
	v_fma_f64 v[185:186], v[4:5], v[10:11], v[185:186]
	v_fma_f64 v[189:190], v[2:3], v[10:11], -v[12:13]
	ds_load_b128 v[2:5], v1 offset:1072
	scratch_load_b128 v[10:13], off, off offset:528
	v_add_f64 v[177:178], v[177:178], v[187:188]
	v_add_f64 v[179:180], v[179:180], v[183:184]
	v_fma_f64 v[181:182], v[8:9], v[14:15], v[181:182]
	v_fma_f64 v[187:188], v[6:7], v[14:15], -v[16:17]
	scratch_load_b128 v[14:17], off, off offset:544
	ds_load_b128 v[6:9], v1 offset:1088
	s_waitcnt vmcnt(9) lgkmcnt(1)
	v_mul_f64 v[183:184], v[2:3], v[20:21]
	v_mul_f64 v[20:21], v[4:5], v[20:21]
	v_add_f64 v[177:178], v[177:178], v[189:190]
	v_add_f64 v[179:180], v[179:180], v[185:186]
	s_waitcnt vmcnt(8) lgkmcnt(0)
	v_mul_f64 v[185:186], v[6:7], v[24:25]
	v_mul_f64 v[24:25], v[8:9], v[24:25]
	v_fma_f64 v[183:184], v[4:5], v[18:19], v[183:184]
	v_fma_f64 v[189:190], v[2:3], v[18:19], -v[20:21]
	ds_load_b128 v[2:5], v1 offset:1104
	scratch_load_b128 v[18:21], off, off offset:560
	v_add_f64 v[177:178], v[177:178], v[187:188]
	v_add_f64 v[179:180], v[179:180], v[181:182]
	v_fma_f64 v[185:186], v[8:9], v[22:23], v[185:186]
	v_fma_f64 v[187:188], v[6:7], v[22:23], -v[24:25]
	ds_load_b128 v[6:9], v1 offset:1120
	s_waitcnt vmcnt(8) lgkmcnt(1)
	v_mul_f64 v[181:182], v[2:3], v[28:29]
	v_mul_f64 v[28:29], v[4:5], v[28:29]
	scratch_load_b128 v[22:25], off, off offset:576
	v_add_f64 v[177:178], v[177:178], v[189:190]
	v_add_f64 v[179:180], v[179:180], v[183:184]
	s_waitcnt vmcnt(8) lgkmcnt(0)
	v_mul_f64 v[183:184], v[6:7], v[32:33]
	v_mul_f64 v[32:33], v[8:9], v[32:33]
	v_fma_f64 v[181:182], v[4:5], v[26:27], v[181:182]
	v_fma_f64 v[189:190], v[2:3], v[26:27], -v[28:29]
	scratch_load_b128 v[26:29], off, off offset:592
	ds_load_b128 v[2:5], v1 offset:1136
	v_add_f64 v[177:178], v[177:178], v[187:188]
	v_add_f64 v[179:180], v[179:180], v[185:186]
	v_fma_f64 v[183:184], v[8:9], v[30:31], v[183:184]
	v_fma_f64 v[187:188], v[6:7], v[30:31], -v[32:33]
	ds_load_b128 v[6:9], v1 offset:1152
	s_waitcnt vmcnt(8) lgkmcnt(1)
	v_mul_f64 v[185:186], v[2:3], v[36:37]
	v_mul_f64 v[36:37], v[4:5], v[36:37]
	scratch_load_b128 v[30:33], off, off offset:608
	v_add_f64 v[177:178], v[177:178], v[189:190]
	v_add_f64 v[179:180], v[179:180], v[181:182]
	s_waitcnt vmcnt(8) lgkmcnt(0)
	v_mul_f64 v[181:182], v[6:7], v[175:176]
	v_mul_f64 v[175:176], v[8:9], v[175:176]
	v_fma_f64 v[185:186], v[4:5], v[34:35], v[185:186]
	v_fma_f64 v[189:190], v[2:3], v[34:35], -v[36:37]
	scratch_load_b128 v[34:37], off, off offset:624
	ds_load_b128 v[2:5], v1 offset:1168
	;; [unrolled: 18-line block ×3, first 2 shown]
	v_add_f64 v[177:178], v[177:178], v[187:188]
	v_add_f64 v[179:180], v[179:180], v[181:182]
	v_fma_f64 v[185:186], v[8:9], v[169:170], v[185:186]
	v_fma_f64 v[169:170], v[6:7], v[169:170], -v[171:172]
	ds_load_b128 v[6:9], v1 offset:1216
	s_waitcnt vmcnt(8) lgkmcnt(1)
	v_mul_f64 v[181:182], v[2:3], v[12:13]
	v_mul_f64 v[12:13], v[4:5], v[12:13]
	v_add_f64 v[171:172], v[177:178], v[189:190]
	v_add_f64 v[177:178], v[179:180], v[183:184]
	s_waitcnt vmcnt(7) lgkmcnt(0)
	v_mul_f64 v[179:180], v[6:7], v[16:17]
	v_mul_f64 v[16:17], v[8:9], v[16:17]
	v_fma_f64 v[181:182], v[4:5], v[10:11], v[181:182]
	v_fma_f64 v[10:11], v[2:3], v[10:11], -v[12:13]
	ds_load_b128 v[2:5], v1 offset:1232
	v_add_f64 v[12:13], v[171:172], v[169:170]
	v_add_f64 v[169:170], v[177:178], v[185:186]
	v_fma_f64 v[177:178], v[8:9], v[14:15], v[179:180]
	v_fma_f64 v[14:15], v[6:7], v[14:15], -v[16:17]
	ds_load_b128 v[6:9], v1 offset:1248
	s_waitcnt vmcnt(5) lgkmcnt(0)
	v_mul_f64 v[179:180], v[6:7], v[24:25]
	v_mul_f64 v[24:25], v[8:9], v[24:25]
	v_add_f64 v[16:17], v[12:13], v[10:11]
	v_add_f64 v[169:170], v[169:170], v[181:182]
	scratch_load_b128 v[10:13], off, off offset:160
	v_mul_f64 v[171:172], v[2:3], v[20:21]
	v_mul_f64 v[20:21], v[4:5], v[20:21]
	v_add_f64 v[14:15], v[16:17], v[14:15]
	v_add_f64 v[16:17], v[169:170], v[177:178]
	v_fma_f64 v[169:170], v[8:9], v[22:23], v[179:180]
	v_fma_f64 v[171:172], v[4:5], v[18:19], v[171:172]
	v_fma_f64 v[18:19], v[2:3], v[18:19], -v[20:21]
	ds_load_b128 v[2:5], v1 offset:1264
	v_fma_f64 v[22:23], v[6:7], v[22:23], -v[24:25]
	ds_load_b128 v[6:9], v1 offset:1280
	s_waitcnt vmcnt(5) lgkmcnt(1)
	v_mul_f64 v[20:21], v[2:3], v[28:29]
	v_mul_f64 v[28:29], v[4:5], v[28:29]
	s_waitcnt vmcnt(4) lgkmcnt(0)
	v_mul_f64 v[24:25], v[8:9], v[32:33]
	v_add_f64 v[16:17], v[16:17], v[171:172]
	v_add_f64 v[14:15], v[14:15], v[18:19]
	v_mul_f64 v[18:19], v[6:7], v[32:33]
	v_fma_f64 v[20:21], v[4:5], v[26:27], v[20:21]
	v_fma_f64 v[26:27], v[2:3], v[26:27], -v[28:29]
	ds_load_b128 v[2:5], v1 offset:1296
	v_fma_f64 v[24:25], v[6:7], v[30:31], -v[24:25]
	v_add_f64 v[16:17], v[16:17], v[169:170]
	v_add_f64 v[14:15], v[14:15], v[22:23]
	v_fma_f64 v[18:19], v[8:9], v[30:31], v[18:19]
	ds_load_b128 v[6:9], v1 offset:1312
	s_waitcnt vmcnt(3) lgkmcnt(1)
	v_mul_f64 v[22:23], v[2:3], v[36:37]
	v_mul_f64 v[28:29], v[4:5], v[36:37]
	v_add_f64 v[16:17], v[16:17], v[20:21]
	v_add_f64 v[14:15], v[14:15], v[26:27]
	s_waitcnt vmcnt(2) lgkmcnt(0)
	v_mul_f64 v[20:21], v[6:7], v[175:176]
	v_mul_f64 v[26:27], v[8:9], v[175:176]
	v_fma_f64 v[22:23], v[4:5], v[34:35], v[22:23]
	v_fma_f64 v[28:29], v[2:3], v[34:35], -v[28:29]
	ds_load_b128 v[2:5], v1 offset:1328
	v_add_f64 v[16:17], v[16:17], v[18:19]
	v_add_f64 v[14:15], v[14:15], v[24:25]
	s_waitcnt vmcnt(1) lgkmcnt(0)
	v_mul_f64 v[18:19], v[2:3], v[40:41]
	v_mul_f64 v[24:25], v[4:5], v[40:41]
	v_fma_f64 v[8:9], v[8:9], v[173:174], v[20:21]
	v_fma_f64 v[6:7], v[6:7], v[173:174], -v[26:27]
	v_add_f64 v[16:17], v[16:17], v[22:23]
	v_add_f64 v[14:15], v[14:15], v[28:29]
	v_fma_f64 v[4:5], v[4:5], v[38:39], v[18:19]
	v_fma_f64 v[2:3], v[2:3], v[38:39], -v[24:25]
	s_delay_alu instid0(VALU_DEP_4) | instskip(NEXT) | instid1(VALU_DEP_4)
	v_add_f64 v[8:9], v[16:17], v[8:9]
	v_add_f64 v[6:7], v[14:15], v[6:7]
	s_delay_alu instid0(VALU_DEP_2) | instskip(NEXT) | instid1(VALU_DEP_2)
	v_add_f64 v[4:5], v[8:9], v[4:5]
	v_add_f64 v[2:3], v[6:7], v[2:3]
	s_waitcnt vmcnt(0)
	s_delay_alu instid0(VALU_DEP_2) | instskip(NEXT) | instid1(VALU_DEP_2)
	v_add_f64 v[4:5], v[12:13], -v[4:5]
	v_add_f64 v[2:3], v[10:11], -v[2:3]
	scratch_store_b128 off, v[2:5], off offset:160
	v_cmpx_lt_u32_e32 9, v126
	s_cbranch_execz .LBB105_247
; %bb.246:
	scratch_load_b128 v[5:8], v163, off
	v_mov_b32_e32 v2, v1
	v_mov_b32_e32 v3, v1
	;; [unrolled: 1-line block ×3, first 2 shown]
	scratch_store_b128 off, v[1:4], off offset:144
	s_waitcnt vmcnt(0)
	ds_store_b128 v168, v[5:8]
.LBB105_247:
	s_or_b32 exec_lo, exec_lo, s2
	s_waitcnt lgkmcnt(0)
	s_waitcnt_vscnt null, 0x0
	s_barrier
	buffer_gl0_inv
	s_clause 0x7
	scratch_load_b128 v[2:5], off, off offset:160
	scratch_load_b128 v[6:9], off, off offset:176
	;; [unrolled: 1-line block ×8, first 2 shown]
	ds_load_b128 v[38:41], v1 offset:832
	ds_load_b128 v[169:172], v1 offset:848
	s_clause 0x1
	scratch_load_b128 v[34:37], off, off offset:288
	scratch_load_b128 v[173:176], off, off offset:304
	s_mov_b32 s2, exec_lo
	s_waitcnt vmcnt(9) lgkmcnt(1)
	v_mul_f64 v[177:178], v[40:41], v[4:5]
	v_mul_f64 v[4:5], v[38:39], v[4:5]
	s_waitcnt vmcnt(8) lgkmcnt(0)
	v_mul_f64 v[179:180], v[169:170], v[8:9]
	v_mul_f64 v[8:9], v[171:172], v[8:9]
	s_delay_alu instid0(VALU_DEP_4) | instskip(NEXT) | instid1(VALU_DEP_4)
	v_fma_f64 v[177:178], v[38:39], v[2:3], -v[177:178]
	v_fma_f64 v[181:182], v[40:41], v[2:3], v[4:5]
	ds_load_b128 v[2:5], v1 offset:864
	scratch_load_b128 v[38:41], off, off offset:320
	v_fma_f64 v[179:180], v[171:172], v[6:7], v[179:180]
	v_fma_f64 v[185:186], v[169:170], v[6:7], -v[8:9]
	scratch_load_b128 v[169:172], off, off offset:336
	ds_load_b128 v[6:9], v1 offset:880
	s_waitcnt vmcnt(9) lgkmcnt(1)
	v_mul_f64 v[183:184], v[2:3], v[12:13]
	v_mul_f64 v[12:13], v[4:5], v[12:13]
	s_waitcnt vmcnt(8) lgkmcnt(0)
	v_mul_f64 v[187:188], v[6:7], v[16:17]
	v_mul_f64 v[16:17], v[8:9], v[16:17]
	v_add_f64 v[177:178], v[177:178], 0
	v_add_f64 v[181:182], v[181:182], 0
	v_fma_f64 v[183:184], v[4:5], v[10:11], v[183:184]
	v_fma_f64 v[189:190], v[2:3], v[10:11], -v[12:13]
	ds_load_b128 v[2:5], v1 offset:896
	scratch_load_b128 v[10:13], off, off offset:352
	v_add_f64 v[177:178], v[177:178], v[185:186]
	v_add_f64 v[179:180], v[181:182], v[179:180]
	v_fma_f64 v[185:186], v[8:9], v[14:15], v[187:188]
	v_fma_f64 v[187:188], v[6:7], v[14:15], -v[16:17]
	scratch_load_b128 v[14:17], off, off offset:368
	ds_load_b128 v[6:9], v1 offset:912
	s_waitcnt vmcnt(9) lgkmcnt(1)
	v_mul_f64 v[181:182], v[2:3], v[20:21]
	v_mul_f64 v[20:21], v[4:5], v[20:21]
	v_add_f64 v[177:178], v[177:178], v[189:190]
	v_add_f64 v[179:180], v[179:180], v[183:184]
	s_waitcnt vmcnt(8) lgkmcnt(0)
	v_mul_f64 v[183:184], v[6:7], v[24:25]
	v_mul_f64 v[24:25], v[8:9], v[24:25]
	v_fma_f64 v[181:182], v[4:5], v[18:19], v[181:182]
	v_fma_f64 v[189:190], v[2:3], v[18:19], -v[20:21]
	ds_load_b128 v[2:5], v1 offset:928
	scratch_load_b128 v[18:21], off, off offset:384
	v_add_f64 v[177:178], v[177:178], v[187:188]
	v_add_f64 v[179:180], v[179:180], v[185:186]
	v_fma_f64 v[183:184], v[8:9], v[22:23], v[183:184]
	v_fma_f64 v[187:188], v[6:7], v[22:23], -v[24:25]
	scratch_load_b128 v[22:25], off, off offset:400
	ds_load_b128 v[6:9], v1 offset:944
	s_waitcnt vmcnt(9) lgkmcnt(1)
	v_mul_f64 v[185:186], v[2:3], v[28:29]
	v_mul_f64 v[28:29], v[4:5], v[28:29]
	v_add_f64 v[177:178], v[177:178], v[189:190]
	v_add_f64 v[179:180], v[179:180], v[181:182]
	s_waitcnt vmcnt(8) lgkmcnt(0)
	v_mul_f64 v[181:182], v[6:7], v[32:33]
	v_mul_f64 v[32:33], v[8:9], v[32:33]
	;; [unrolled: 18-line block ×6, first 2 shown]
	v_fma_f64 v[183:184], v[4:5], v[18:19], v[183:184]
	v_fma_f64 v[189:190], v[2:3], v[18:19], -v[20:21]
	ds_load_b128 v[2:5], v1 offset:1088
	scratch_load_b128 v[18:21], off, off offset:544
	v_add_f64 v[177:178], v[177:178], v[187:188]
	v_add_f64 v[179:180], v[179:180], v[181:182]
	v_fma_f64 v[185:186], v[8:9], v[22:23], v[185:186]
	v_fma_f64 v[187:188], v[6:7], v[22:23], -v[24:25]
	ds_load_b128 v[6:9], v1 offset:1104
	s_waitcnt vmcnt(8) lgkmcnt(1)
	v_mul_f64 v[181:182], v[2:3], v[28:29]
	v_mul_f64 v[28:29], v[4:5], v[28:29]
	scratch_load_b128 v[22:25], off, off offset:560
	v_add_f64 v[177:178], v[177:178], v[189:190]
	v_add_f64 v[179:180], v[179:180], v[183:184]
	s_waitcnt vmcnt(8) lgkmcnt(0)
	v_mul_f64 v[183:184], v[6:7], v[32:33]
	v_mul_f64 v[32:33], v[8:9], v[32:33]
	v_fma_f64 v[181:182], v[4:5], v[26:27], v[181:182]
	v_fma_f64 v[189:190], v[2:3], v[26:27], -v[28:29]
	ds_load_b128 v[2:5], v1 offset:1120
	scratch_load_b128 v[26:29], off, off offset:576
	v_add_f64 v[177:178], v[177:178], v[187:188]
	v_add_f64 v[179:180], v[179:180], v[185:186]
	v_fma_f64 v[183:184], v[8:9], v[30:31], v[183:184]
	v_fma_f64 v[187:188], v[6:7], v[30:31], -v[32:33]
	ds_load_b128 v[6:9], v1 offset:1136
	s_waitcnt vmcnt(8) lgkmcnt(1)
	v_mul_f64 v[185:186], v[2:3], v[36:37]
	v_mul_f64 v[36:37], v[4:5], v[36:37]
	scratch_load_b128 v[30:33], off, off offset:592
	v_add_f64 v[177:178], v[177:178], v[189:190]
	v_add_f64 v[179:180], v[179:180], v[181:182]
	s_waitcnt vmcnt(8) lgkmcnt(0)
	v_mul_f64 v[181:182], v[6:7], v[175:176]
	v_mul_f64 v[175:176], v[8:9], v[175:176]
	v_fma_f64 v[185:186], v[4:5], v[34:35], v[185:186]
	v_fma_f64 v[189:190], v[2:3], v[34:35], -v[36:37]
	scratch_load_b128 v[34:37], off, off offset:608
	ds_load_b128 v[2:5], v1 offset:1152
	v_add_f64 v[177:178], v[177:178], v[187:188]
	v_add_f64 v[179:180], v[179:180], v[183:184]
	v_fma_f64 v[181:182], v[8:9], v[173:174], v[181:182]
	v_fma_f64 v[187:188], v[6:7], v[173:174], -v[175:176]
	ds_load_b128 v[6:9], v1 offset:1168
	s_waitcnt vmcnt(8) lgkmcnt(1)
	v_mul_f64 v[183:184], v[2:3], v[40:41]
	v_mul_f64 v[40:41], v[4:5], v[40:41]
	scratch_load_b128 v[173:176], off, off offset:624
	v_add_f64 v[177:178], v[177:178], v[189:190]
	v_add_f64 v[179:180], v[179:180], v[185:186]
	s_waitcnt vmcnt(8) lgkmcnt(0)
	v_mul_f64 v[185:186], v[6:7], v[171:172]
	v_mul_f64 v[171:172], v[8:9], v[171:172]
	v_fma_f64 v[183:184], v[4:5], v[38:39], v[183:184]
	v_fma_f64 v[189:190], v[2:3], v[38:39], -v[40:41]
	scratch_load_b128 v[38:41], off, off offset:640
	ds_load_b128 v[2:5], v1 offset:1184
	v_add_f64 v[177:178], v[177:178], v[187:188]
	v_add_f64 v[179:180], v[179:180], v[181:182]
	v_fma_f64 v[185:186], v[8:9], v[169:170], v[185:186]
	v_fma_f64 v[187:188], v[6:7], v[169:170], -v[171:172]
	ds_load_b128 v[6:9], v1 offset:1200
	s_waitcnt vmcnt(8) lgkmcnt(1)
	v_mul_f64 v[181:182], v[2:3], v[12:13]
	v_mul_f64 v[12:13], v[4:5], v[12:13]
	scratch_load_b128 v[169:172], off, off offset:656
	v_add_f64 v[177:178], v[177:178], v[189:190]
	v_add_f64 v[179:180], v[179:180], v[183:184]
	s_waitcnt vmcnt(8) lgkmcnt(0)
	v_mul_f64 v[183:184], v[6:7], v[16:17]
	v_mul_f64 v[16:17], v[8:9], v[16:17]
	v_fma_f64 v[181:182], v[4:5], v[10:11], v[181:182]
	v_fma_f64 v[10:11], v[2:3], v[10:11], -v[12:13]
	ds_load_b128 v[2:5], v1 offset:1216
	v_add_f64 v[12:13], v[177:178], v[187:188]
	v_add_f64 v[177:178], v[179:180], v[185:186]
	v_fma_f64 v[183:184], v[8:9], v[14:15], v[183:184]
	v_fma_f64 v[14:15], v[6:7], v[14:15], -v[16:17]
	ds_load_b128 v[6:9], v1 offset:1232
	s_waitcnt vmcnt(7) lgkmcnt(1)
	v_mul_f64 v[179:180], v[2:3], v[20:21]
	v_mul_f64 v[20:21], v[4:5], v[20:21]
	v_add_f64 v[10:11], v[12:13], v[10:11]
	v_add_f64 v[12:13], v[177:178], v[181:182]
	s_delay_alu instid0(VALU_DEP_4) | instskip(NEXT) | instid1(VALU_DEP_4)
	v_fma_f64 v[177:178], v[4:5], v[18:19], v[179:180]
	v_fma_f64 v[18:19], v[2:3], v[18:19], -v[20:21]
	ds_load_b128 v[2:5], v1 offset:1248
	v_add_f64 v[14:15], v[10:11], v[14:15]
	v_add_f64 v[20:21], v[12:13], v[183:184]
	scratch_load_b128 v[10:13], off, off offset:144
	s_waitcnt vmcnt(7) lgkmcnt(1)
	v_mul_f64 v[16:17], v[6:7], v[24:25]
	v_mul_f64 v[24:25], v[8:9], v[24:25]
	v_add_f64 v[14:15], v[14:15], v[18:19]
	v_add_f64 v[18:19], v[20:21], v[177:178]
	s_delay_alu instid0(VALU_DEP_4) | instskip(NEXT) | instid1(VALU_DEP_4)
	v_fma_f64 v[16:17], v[8:9], v[22:23], v[16:17]
	v_fma_f64 v[22:23], v[6:7], v[22:23], -v[24:25]
	ds_load_b128 v[6:9], v1 offset:1264
	s_waitcnt vmcnt(6) lgkmcnt(1)
	v_mul_f64 v[179:180], v[2:3], v[28:29]
	v_mul_f64 v[28:29], v[4:5], v[28:29]
	s_waitcnt vmcnt(5) lgkmcnt(0)
	v_mul_f64 v[20:21], v[6:7], v[32:33]
	v_mul_f64 v[24:25], v[8:9], v[32:33]
	v_add_f64 v[16:17], v[18:19], v[16:17]
	v_add_f64 v[14:15], v[14:15], v[22:23]
	v_fma_f64 v[32:33], v[4:5], v[26:27], v[179:180]
	v_fma_f64 v[26:27], v[2:3], v[26:27], -v[28:29]
	ds_load_b128 v[2:5], v1 offset:1280
	v_fma_f64 v[20:21], v[8:9], v[30:31], v[20:21]
	v_fma_f64 v[24:25], v[6:7], v[30:31], -v[24:25]
	ds_load_b128 v[6:9], v1 offset:1296
	s_waitcnt vmcnt(4) lgkmcnt(1)
	v_mul_f64 v[18:19], v[2:3], v[36:37]
	v_mul_f64 v[22:23], v[4:5], v[36:37]
	v_add_f64 v[16:17], v[16:17], v[32:33]
	v_add_f64 v[14:15], v[14:15], v[26:27]
	s_waitcnt vmcnt(3) lgkmcnt(0)
	v_mul_f64 v[26:27], v[6:7], v[175:176]
	v_mul_f64 v[28:29], v[8:9], v[175:176]
	v_fma_f64 v[18:19], v[4:5], v[34:35], v[18:19]
	v_fma_f64 v[22:23], v[2:3], v[34:35], -v[22:23]
	ds_load_b128 v[2:5], v1 offset:1312
	v_add_f64 v[16:17], v[16:17], v[20:21]
	v_add_f64 v[14:15], v[14:15], v[24:25]
	v_fma_f64 v[26:27], v[8:9], v[173:174], v[26:27]
	v_fma_f64 v[28:29], v[6:7], v[173:174], -v[28:29]
	ds_load_b128 v[6:9], v1 offset:1328
	s_waitcnt vmcnt(2) lgkmcnt(1)
	v_mul_f64 v[20:21], v[2:3], v[40:41]
	v_mul_f64 v[24:25], v[4:5], v[40:41]
	v_add_f64 v[16:17], v[16:17], v[18:19]
	v_add_f64 v[14:15], v[14:15], v[22:23]
	s_waitcnt vmcnt(1) lgkmcnt(0)
	v_mul_f64 v[18:19], v[6:7], v[171:172]
	v_mul_f64 v[22:23], v[8:9], v[171:172]
	v_fma_f64 v[4:5], v[4:5], v[38:39], v[20:21]
	v_fma_f64 v[1:2], v[2:3], v[38:39], -v[24:25]
	v_add_f64 v[16:17], v[16:17], v[26:27]
	v_add_f64 v[14:15], v[14:15], v[28:29]
	v_fma_f64 v[8:9], v[8:9], v[169:170], v[18:19]
	v_fma_f64 v[6:7], v[6:7], v[169:170], -v[22:23]
	s_delay_alu instid0(VALU_DEP_4) | instskip(NEXT) | instid1(VALU_DEP_4)
	v_add_f64 v[3:4], v[16:17], v[4:5]
	v_add_f64 v[1:2], v[14:15], v[1:2]
	s_delay_alu instid0(VALU_DEP_2) | instskip(NEXT) | instid1(VALU_DEP_2)
	v_add_f64 v[3:4], v[3:4], v[8:9]
	v_add_f64 v[1:2], v[1:2], v[6:7]
	s_waitcnt vmcnt(0)
	s_delay_alu instid0(VALU_DEP_2) | instskip(NEXT) | instid1(VALU_DEP_2)
	v_add_f64 v[3:4], v[12:13], -v[3:4]
	v_add_f64 v[1:2], v[10:11], -v[1:2]
	scratch_store_b128 off, v[1:4], off offset:144
	v_cmpx_lt_u32_e32 8, v126
	s_cbranch_execz .LBB105_249
; %bb.248:
	scratch_load_b128 v[1:4], v164, off
	v_mov_b32_e32 v5, 0
	s_delay_alu instid0(VALU_DEP_1)
	v_mov_b32_e32 v6, v5
	v_mov_b32_e32 v7, v5
	;; [unrolled: 1-line block ×3, first 2 shown]
	scratch_store_b128 off, v[5:8], off offset:128
	s_waitcnt vmcnt(0)
	ds_store_b128 v168, v[1:4]
.LBB105_249:
	s_or_b32 exec_lo, exec_lo, s2
	s_waitcnt lgkmcnt(0)
	s_waitcnt_vscnt null, 0x0
	s_barrier
	buffer_gl0_inv
	s_clause 0x7
	scratch_load_b128 v[2:5], off, off offset:144
	scratch_load_b128 v[6:9], off, off offset:160
	;; [unrolled: 1-line block ×8, first 2 shown]
	v_mov_b32_e32 v1, 0
	s_clause 0x1
	scratch_load_b128 v[34:37], off, off offset:272
	scratch_load_b128 v[173:176], off, off offset:288
	s_mov_b32 s2, exec_lo
	ds_load_b128 v[38:41], v1 offset:816
	ds_load_b128 v[169:172], v1 offset:832
	s_waitcnt vmcnt(9) lgkmcnt(1)
	v_mul_f64 v[177:178], v[40:41], v[4:5]
	v_mul_f64 v[4:5], v[38:39], v[4:5]
	s_waitcnt vmcnt(8) lgkmcnt(0)
	v_mul_f64 v[179:180], v[169:170], v[8:9]
	v_mul_f64 v[8:9], v[171:172], v[8:9]
	s_delay_alu instid0(VALU_DEP_4) | instskip(NEXT) | instid1(VALU_DEP_4)
	v_fma_f64 v[177:178], v[38:39], v[2:3], -v[177:178]
	v_fma_f64 v[181:182], v[40:41], v[2:3], v[4:5]
	ds_load_b128 v[2:5], v1 offset:848
	scratch_load_b128 v[38:41], off, off offset:304
	v_fma_f64 v[179:180], v[171:172], v[6:7], v[179:180]
	v_fma_f64 v[185:186], v[169:170], v[6:7], -v[8:9]
	scratch_load_b128 v[169:172], off, off offset:320
	ds_load_b128 v[6:9], v1 offset:864
	s_waitcnt vmcnt(9) lgkmcnt(1)
	v_mul_f64 v[183:184], v[2:3], v[12:13]
	v_mul_f64 v[12:13], v[4:5], v[12:13]
	s_waitcnt vmcnt(8) lgkmcnt(0)
	v_mul_f64 v[187:188], v[6:7], v[16:17]
	v_mul_f64 v[16:17], v[8:9], v[16:17]
	v_add_f64 v[177:178], v[177:178], 0
	v_add_f64 v[181:182], v[181:182], 0
	v_fma_f64 v[183:184], v[4:5], v[10:11], v[183:184]
	v_fma_f64 v[189:190], v[2:3], v[10:11], -v[12:13]
	ds_load_b128 v[2:5], v1 offset:880
	scratch_load_b128 v[10:13], off, off offset:336
	v_add_f64 v[177:178], v[177:178], v[185:186]
	v_add_f64 v[179:180], v[181:182], v[179:180]
	v_fma_f64 v[185:186], v[8:9], v[14:15], v[187:188]
	v_fma_f64 v[187:188], v[6:7], v[14:15], -v[16:17]
	scratch_load_b128 v[14:17], off, off offset:352
	ds_load_b128 v[6:9], v1 offset:896
	s_waitcnt vmcnt(9) lgkmcnt(1)
	v_mul_f64 v[181:182], v[2:3], v[20:21]
	v_mul_f64 v[20:21], v[4:5], v[20:21]
	v_add_f64 v[177:178], v[177:178], v[189:190]
	v_add_f64 v[179:180], v[179:180], v[183:184]
	s_waitcnt vmcnt(8) lgkmcnt(0)
	v_mul_f64 v[183:184], v[6:7], v[24:25]
	v_mul_f64 v[24:25], v[8:9], v[24:25]
	v_fma_f64 v[181:182], v[4:5], v[18:19], v[181:182]
	v_fma_f64 v[189:190], v[2:3], v[18:19], -v[20:21]
	ds_load_b128 v[2:5], v1 offset:912
	scratch_load_b128 v[18:21], off, off offset:368
	v_add_f64 v[177:178], v[177:178], v[187:188]
	v_add_f64 v[179:180], v[179:180], v[185:186]
	v_fma_f64 v[183:184], v[8:9], v[22:23], v[183:184]
	v_fma_f64 v[187:188], v[6:7], v[22:23], -v[24:25]
	scratch_load_b128 v[22:25], off, off offset:384
	ds_load_b128 v[6:9], v1 offset:928
	s_waitcnt vmcnt(9) lgkmcnt(1)
	v_mul_f64 v[185:186], v[2:3], v[28:29]
	v_mul_f64 v[28:29], v[4:5], v[28:29]
	v_add_f64 v[177:178], v[177:178], v[189:190]
	v_add_f64 v[179:180], v[179:180], v[181:182]
	s_waitcnt vmcnt(8) lgkmcnt(0)
	v_mul_f64 v[181:182], v[6:7], v[32:33]
	v_mul_f64 v[32:33], v[8:9], v[32:33]
	;; [unrolled: 18-line block ×7, first 2 shown]
	v_fma_f64 v[181:182], v[4:5], v[26:27], v[181:182]
	v_fma_f64 v[189:190], v[2:3], v[26:27], -v[28:29]
	ds_load_b128 v[2:5], v1 offset:1104
	scratch_load_b128 v[26:29], off, off offset:560
	v_add_f64 v[177:178], v[177:178], v[187:188]
	v_add_f64 v[179:180], v[179:180], v[185:186]
	v_fma_f64 v[183:184], v[8:9], v[30:31], v[183:184]
	v_fma_f64 v[187:188], v[6:7], v[30:31], -v[32:33]
	ds_load_b128 v[6:9], v1 offset:1120
	s_waitcnt vmcnt(8) lgkmcnt(1)
	v_mul_f64 v[185:186], v[2:3], v[36:37]
	v_mul_f64 v[36:37], v[4:5], v[36:37]
	scratch_load_b128 v[30:33], off, off offset:576
	v_add_f64 v[177:178], v[177:178], v[189:190]
	v_add_f64 v[179:180], v[179:180], v[181:182]
	s_waitcnt vmcnt(8) lgkmcnt(0)
	v_mul_f64 v[181:182], v[6:7], v[175:176]
	v_mul_f64 v[175:176], v[8:9], v[175:176]
	v_fma_f64 v[185:186], v[4:5], v[34:35], v[185:186]
	v_fma_f64 v[189:190], v[2:3], v[34:35], -v[36:37]
	scratch_load_b128 v[34:37], off, off offset:592
	ds_load_b128 v[2:5], v1 offset:1136
	v_add_f64 v[177:178], v[177:178], v[187:188]
	v_add_f64 v[179:180], v[179:180], v[183:184]
	v_fma_f64 v[181:182], v[8:9], v[173:174], v[181:182]
	v_fma_f64 v[187:188], v[6:7], v[173:174], -v[175:176]
	ds_load_b128 v[6:9], v1 offset:1152
	s_waitcnt vmcnt(8) lgkmcnt(1)
	v_mul_f64 v[183:184], v[2:3], v[40:41]
	v_mul_f64 v[40:41], v[4:5], v[40:41]
	scratch_load_b128 v[173:176], off, off offset:608
	v_add_f64 v[177:178], v[177:178], v[189:190]
	v_add_f64 v[179:180], v[179:180], v[185:186]
	s_waitcnt vmcnt(8) lgkmcnt(0)
	v_mul_f64 v[185:186], v[6:7], v[171:172]
	v_mul_f64 v[171:172], v[8:9], v[171:172]
	v_fma_f64 v[183:184], v[4:5], v[38:39], v[183:184]
	v_fma_f64 v[189:190], v[2:3], v[38:39], -v[40:41]
	scratch_load_b128 v[38:41], off, off offset:624
	ds_load_b128 v[2:5], v1 offset:1168
	;; [unrolled: 18-line block ×3, first 2 shown]
	v_add_f64 v[177:178], v[177:178], v[187:188]
	v_add_f64 v[179:180], v[179:180], v[185:186]
	v_fma_f64 v[183:184], v[8:9], v[14:15], v[183:184]
	v_fma_f64 v[14:15], v[6:7], v[14:15], -v[16:17]
	ds_load_b128 v[6:9], v1 offset:1216
	s_waitcnt vmcnt(8) lgkmcnt(1)
	v_mul_f64 v[185:186], v[2:3], v[20:21]
	v_mul_f64 v[20:21], v[4:5], v[20:21]
	v_add_f64 v[16:17], v[177:178], v[189:190]
	v_add_f64 v[177:178], v[179:180], v[181:182]
	s_waitcnt vmcnt(7) lgkmcnt(0)
	v_mul_f64 v[179:180], v[6:7], v[24:25]
	v_mul_f64 v[24:25], v[8:9], v[24:25]
	v_fma_f64 v[181:182], v[4:5], v[18:19], v[185:186]
	v_fma_f64 v[18:19], v[2:3], v[18:19], -v[20:21]
	ds_load_b128 v[2:5], v1 offset:1232
	v_add_f64 v[14:15], v[16:17], v[14:15]
	v_add_f64 v[16:17], v[177:178], v[183:184]
	v_fma_f64 v[177:178], v[8:9], v[22:23], v[179:180]
	v_fma_f64 v[22:23], v[6:7], v[22:23], -v[24:25]
	ds_load_b128 v[6:9], v1 offset:1248
	s_waitcnt vmcnt(5) lgkmcnt(0)
	v_mul_f64 v[179:180], v[6:7], v[32:33]
	v_mul_f64 v[32:33], v[8:9], v[32:33]
	v_add_f64 v[18:19], v[14:15], v[18:19]
	v_add_f64 v[24:25], v[16:17], v[181:182]
	scratch_load_b128 v[14:17], off, off offset:128
	v_mul_f64 v[20:21], v[2:3], v[28:29]
	v_mul_f64 v[28:29], v[4:5], v[28:29]
	v_add_f64 v[18:19], v[18:19], v[22:23]
	v_add_f64 v[22:23], v[24:25], v[177:178]
	s_delay_alu instid0(VALU_DEP_4) | instskip(NEXT) | instid1(VALU_DEP_4)
	v_fma_f64 v[20:21], v[4:5], v[26:27], v[20:21]
	v_fma_f64 v[26:27], v[2:3], v[26:27], -v[28:29]
	ds_load_b128 v[2:5], v1 offset:1264
	s_waitcnt vmcnt(5) lgkmcnt(0)
	v_mul_f64 v[24:25], v[2:3], v[36:37]
	v_mul_f64 v[28:29], v[4:5], v[36:37]
	v_fma_f64 v[36:37], v[8:9], v[30:31], v[179:180]
	v_fma_f64 v[30:31], v[6:7], v[30:31], -v[32:33]
	ds_load_b128 v[6:9], v1 offset:1280
	v_add_f64 v[20:21], v[22:23], v[20:21]
	v_add_f64 v[18:19], v[18:19], v[26:27]
	v_fma_f64 v[24:25], v[4:5], v[34:35], v[24:25]
	v_fma_f64 v[28:29], v[2:3], v[34:35], -v[28:29]
	ds_load_b128 v[2:5], v1 offset:1296
	s_waitcnt vmcnt(4) lgkmcnt(1)
	v_mul_f64 v[22:23], v[6:7], v[175:176]
	v_mul_f64 v[26:27], v[8:9], v[175:176]
	v_add_f64 v[20:21], v[20:21], v[36:37]
	v_add_f64 v[18:19], v[18:19], v[30:31]
	s_waitcnt vmcnt(3) lgkmcnt(0)
	v_mul_f64 v[30:31], v[2:3], v[40:41]
	v_mul_f64 v[32:33], v[4:5], v[40:41]
	v_fma_f64 v[22:23], v[8:9], v[173:174], v[22:23]
	v_fma_f64 v[26:27], v[6:7], v[173:174], -v[26:27]
	ds_load_b128 v[6:9], v1 offset:1312
	v_add_f64 v[20:21], v[20:21], v[24:25]
	v_add_f64 v[18:19], v[18:19], v[28:29]
	v_fma_f64 v[30:31], v[4:5], v[38:39], v[30:31]
	v_fma_f64 v[32:33], v[2:3], v[38:39], -v[32:33]
	ds_load_b128 v[2:5], v1 offset:1328
	s_waitcnt vmcnt(2) lgkmcnt(1)
	v_mul_f64 v[24:25], v[6:7], v[171:172]
	v_mul_f64 v[28:29], v[8:9], v[171:172]
	v_add_f64 v[20:21], v[20:21], v[22:23]
	v_add_f64 v[18:19], v[18:19], v[26:27]
	s_waitcnt vmcnt(1) lgkmcnt(0)
	v_mul_f64 v[22:23], v[2:3], v[12:13]
	v_mul_f64 v[12:13], v[4:5], v[12:13]
	v_fma_f64 v[8:9], v[8:9], v[169:170], v[24:25]
	v_fma_f64 v[6:7], v[6:7], v[169:170], -v[28:29]
	v_add_f64 v[20:21], v[20:21], v[30:31]
	v_add_f64 v[18:19], v[18:19], v[32:33]
	v_fma_f64 v[4:5], v[4:5], v[10:11], v[22:23]
	v_fma_f64 v[2:3], v[2:3], v[10:11], -v[12:13]
	s_delay_alu instid0(VALU_DEP_4) | instskip(NEXT) | instid1(VALU_DEP_4)
	v_add_f64 v[8:9], v[20:21], v[8:9]
	v_add_f64 v[6:7], v[18:19], v[6:7]
	s_delay_alu instid0(VALU_DEP_2) | instskip(NEXT) | instid1(VALU_DEP_2)
	v_add_f64 v[4:5], v[8:9], v[4:5]
	v_add_f64 v[2:3], v[6:7], v[2:3]
	s_waitcnt vmcnt(0)
	s_delay_alu instid0(VALU_DEP_2) | instskip(NEXT) | instid1(VALU_DEP_2)
	v_add_f64 v[4:5], v[16:17], -v[4:5]
	v_add_f64 v[2:3], v[14:15], -v[2:3]
	scratch_store_b128 off, v[2:5], off offset:128
	v_cmpx_lt_u32_e32 7, v126
	s_cbranch_execz .LBB105_251
; %bb.250:
	scratch_load_b128 v[5:8], v166, off
	v_mov_b32_e32 v2, v1
	v_mov_b32_e32 v3, v1
	;; [unrolled: 1-line block ×3, first 2 shown]
	scratch_store_b128 off, v[1:4], off offset:112
	s_waitcnt vmcnt(0)
	ds_store_b128 v168, v[5:8]
.LBB105_251:
	s_or_b32 exec_lo, exec_lo, s2
	s_waitcnt lgkmcnt(0)
	s_waitcnt_vscnt null, 0x0
	s_barrier
	buffer_gl0_inv
	s_clause 0x7
	scratch_load_b128 v[2:5], off, off offset:128
	scratch_load_b128 v[6:9], off, off offset:144
	;; [unrolled: 1-line block ×8, first 2 shown]
	ds_load_b128 v[38:41], v1 offset:800
	ds_load_b128 v[169:172], v1 offset:816
	s_clause 0x1
	scratch_load_b128 v[34:37], off, off offset:256
	scratch_load_b128 v[173:176], off, off offset:272
	s_mov_b32 s2, exec_lo
	s_waitcnt vmcnt(9) lgkmcnt(1)
	v_mul_f64 v[177:178], v[40:41], v[4:5]
	v_mul_f64 v[4:5], v[38:39], v[4:5]
	s_waitcnt vmcnt(8) lgkmcnt(0)
	v_mul_f64 v[179:180], v[169:170], v[8:9]
	v_mul_f64 v[8:9], v[171:172], v[8:9]
	s_delay_alu instid0(VALU_DEP_4) | instskip(NEXT) | instid1(VALU_DEP_4)
	v_fma_f64 v[177:178], v[38:39], v[2:3], -v[177:178]
	v_fma_f64 v[181:182], v[40:41], v[2:3], v[4:5]
	ds_load_b128 v[2:5], v1 offset:832
	scratch_load_b128 v[38:41], off, off offset:288
	v_fma_f64 v[179:180], v[171:172], v[6:7], v[179:180]
	v_fma_f64 v[185:186], v[169:170], v[6:7], -v[8:9]
	scratch_load_b128 v[169:172], off, off offset:304
	ds_load_b128 v[6:9], v1 offset:848
	s_waitcnt vmcnt(9) lgkmcnt(1)
	v_mul_f64 v[183:184], v[2:3], v[12:13]
	v_mul_f64 v[12:13], v[4:5], v[12:13]
	s_waitcnt vmcnt(8) lgkmcnt(0)
	v_mul_f64 v[187:188], v[6:7], v[16:17]
	v_mul_f64 v[16:17], v[8:9], v[16:17]
	v_add_f64 v[177:178], v[177:178], 0
	v_add_f64 v[181:182], v[181:182], 0
	v_fma_f64 v[183:184], v[4:5], v[10:11], v[183:184]
	v_fma_f64 v[189:190], v[2:3], v[10:11], -v[12:13]
	ds_load_b128 v[2:5], v1 offset:864
	scratch_load_b128 v[10:13], off, off offset:320
	v_add_f64 v[177:178], v[177:178], v[185:186]
	v_add_f64 v[179:180], v[181:182], v[179:180]
	v_fma_f64 v[185:186], v[8:9], v[14:15], v[187:188]
	v_fma_f64 v[187:188], v[6:7], v[14:15], -v[16:17]
	scratch_load_b128 v[14:17], off, off offset:336
	ds_load_b128 v[6:9], v1 offset:880
	s_waitcnt vmcnt(9) lgkmcnt(1)
	v_mul_f64 v[181:182], v[2:3], v[20:21]
	v_mul_f64 v[20:21], v[4:5], v[20:21]
	v_add_f64 v[177:178], v[177:178], v[189:190]
	v_add_f64 v[179:180], v[179:180], v[183:184]
	s_waitcnt vmcnt(8) lgkmcnt(0)
	v_mul_f64 v[183:184], v[6:7], v[24:25]
	v_mul_f64 v[24:25], v[8:9], v[24:25]
	v_fma_f64 v[181:182], v[4:5], v[18:19], v[181:182]
	v_fma_f64 v[189:190], v[2:3], v[18:19], -v[20:21]
	ds_load_b128 v[2:5], v1 offset:896
	scratch_load_b128 v[18:21], off, off offset:352
	v_add_f64 v[177:178], v[177:178], v[187:188]
	v_add_f64 v[179:180], v[179:180], v[185:186]
	v_fma_f64 v[183:184], v[8:9], v[22:23], v[183:184]
	v_fma_f64 v[187:188], v[6:7], v[22:23], -v[24:25]
	scratch_load_b128 v[22:25], off, off offset:368
	ds_load_b128 v[6:9], v1 offset:912
	s_waitcnt vmcnt(9) lgkmcnt(1)
	v_mul_f64 v[185:186], v[2:3], v[28:29]
	v_mul_f64 v[28:29], v[4:5], v[28:29]
	v_add_f64 v[177:178], v[177:178], v[189:190]
	v_add_f64 v[179:180], v[179:180], v[181:182]
	s_waitcnt vmcnt(8) lgkmcnt(0)
	v_mul_f64 v[181:182], v[6:7], v[32:33]
	v_mul_f64 v[32:33], v[8:9], v[32:33]
	;; [unrolled: 18-line block ×7, first 2 shown]
	v_fma_f64 v[181:182], v[4:5], v[26:27], v[181:182]
	v_fma_f64 v[189:190], v[2:3], v[26:27], -v[28:29]
	ds_load_b128 v[2:5], v1 offset:1088
	scratch_load_b128 v[26:29], off, off offset:544
	v_add_f64 v[177:178], v[177:178], v[187:188]
	v_add_f64 v[179:180], v[179:180], v[185:186]
	v_fma_f64 v[183:184], v[8:9], v[30:31], v[183:184]
	v_fma_f64 v[187:188], v[6:7], v[30:31], -v[32:33]
	ds_load_b128 v[6:9], v1 offset:1104
	s_waitcnt vmcnt(8) lgkmcnt(1)
	v_mul_f64 v[185:186], v[2:3], v[36:37]
	v_mul_f64 v[36:37], v[4:5], v[36:37]
	scratch_load_b128 v[30:33], off, off offset:560
	v_add_f64 v[177:178], v[177:178], v[189:190]
	v_add_f64 v[179:180], v[179:180], v[181:182]
	s_waitcnt vmcnt(8) lgkmcnt(0)
	v_mul_f64 v[181:182], v[6:7], v[175:176]
	v_mul_f64 v[175:176], v[8:9], v[175:176]
	v_fma_f64 v[185:186], v[4:5], v[34:35], v[185:186]
	v_fma_f64 v[189:190], v[2:3], v[34:35], -v[36:37]
	ds_load_b128 v[2:5], v1 offset:1120
	scratch_load_b128 v[34:37], off, off offset:576
	v_add_f64 v[177:178], v[177:178], v[187:188]
	v_add_f64 v[179:180], v[179:180], v[183:184]
	v_fma_f64 v[181:182], v[8:9], v[173:174], v[181:182]
	v_fma_f64 v[187:188], v[6:7], v[173:174], -v[175:176]
	ds_load_b128 v[6:9], v1 offset:1136
	s_waitcnt vmcnt(8) lgkmcnt(1)
	v_mul_f64 v[183:184], v[2:3], v[40:41]
	v_mul_f64 v[40:41], v[4:5], v[40:41]
	scratch_load_b128 v[173:176], off, off offset:592
	v_add_f64 v[177:178], v[177:178], v[189:190]
	v_add_f64 v[179:180], v[179:180], v[185:186]
	s_waitcnt vmcnt(8) lgkmcnt(0)
	v_mul_f64 v[185:186], v[6:7], v[171:172]
	v_mul_f64 v[171:172], v[8:9], v[171:172]
	v_fma_f64 v[183:184], v[4:5], v[38:39], v[183:184]
	v_fma_f64 v[189:190], v[2:3], v[38:39], -v[40:41]
	scratch_load_b128 v[38:41], off, off offset:608
	ds_load_b128 v[2:5], v1 offset:1152
	v_add_f64 v[177:178], v[177:178], v[187:188]
	v_add_f64 v[179:180], v[179:180], v[181:182]
	v_fma_f64 v[185:186], v[8:9], v[169:170], v[185:186]
	v_fma_f64 v[187:188], v[6:7], v[169:170], -v[171:172]
	ds_load_b128 v[6:9], v1 offset:1168
	s_waitcnt vmcnt(8) lgkmcnt(1)
	v_mul_f64 v[181:182], v[2:3], v[12:13]
	v_mul_f64 v[12:13], v[4:5], v[12:13]
	scratch_load_b128 v[169:172], off, off offset:624
	v_add_f64 v[177:178], v[177:178], v[189:190]
	v_add_f64 v[179:180], v[179:180], v[183:184]
	s_waitcnt vmcnt(8) lgkmcnt(0)
	v_mul_f64 v[183:184], v[6:7], v[16:17]
	v_mul_f64 v[16:17], v[8:9], v[16:17]
	v_fma_f64 v[181:182], v[4:5], v[10:11], v[181:182]
	v_fma_f64 v[189:190], v[2:3], v[10:11], -v[12:13]
	scratch_load_b128 v[10:13], off, off offset:640
	ds_load_b128 v[2:5], v1 offset:1184
	v_add_f64 v[177:178], v[177:178], v[187:188]
	v_add_f64 v[179:180], v[179:180], v[185:186]
	v_fma_f64 v[183:184], v[8:9], v[14:15], v[183:184]
	v_fma_f64 v[187:188], v[6:7], v[14:15], -v[16:17]
	ds_load_b128 v[6:9], v1 offset:1200
	s_waitcnt vmcnt(8) lgkmcnt(1)
	v_mul_f64 v[185:186], v[2:3], v[20:21]
	v_mul_f64 v[20:21], v[4:5], v[20:21]
	scratch_load_b128 v[14:17], off, off offset:656
	v_add_f64 v[177:178], v[177:178], v[189:190]
	v_add_f64 v[179:180], v[179:180], v[181:182]
	s_waitcnt vmcnt(8) lgkmcnt(0)
	v_mul_f64 v[181:182], v[6:7], v[24:25]
	v_mul_f64 v[24:25], v[8:9], v[24:25]
	v_fma_f64 v[185:186], v[4:5], v[18:19], v[185:186]
	v_fma_f64 v[18:19], v[2:3], v[18:19], -v[20:21]
	ds_load_b128 v[2:5], v1 offset:1216
	v_add_f64 v[20:21], v[177:178], v[187:188]
	v_add_f64 v[177:178], v[179:180], v[183:184]
	v_fma_f64 v[181:182], v[8:9], v[22:23], v[181:182]
	v_fma_f64 v[22:23], v[6:7], v[22:23], -v[24:25]
	ds_load_b128 v[6:9], v1 offset:1232
	s_waitcnt vmcnt(7) lgkmcnt(1)
	v_mul_f64 v[179:180], v[2:3], v[28:29]
	v_mul_f64 v[28:29], v[4:5], v[28:29]
	v_add_f64 v[18:19], v[20:21], v[18:19]
	v_add_f64 v[20:21], v[177:178], v[185:186]
	s_delay_alu instid0(VALU_DEP_4) | instskip(NEXT) | instid1(VALU_DEP_4)
	v_fma_f64 v[177:178], v[4:5], v[26:27], v[179:180]
	v_fma_f64 v[26:27], v[2:3], v[26:27], -v[28:29]
	ds_load_b128 v[2:5], v1 offset:1248
	v_add_f64 v[22:23], v[18:19], v[22:23]
	v_add_f64 v[28:29], v[20:21], v[181:182]
	scratch_load_b128 v[18:21], off, off offset:112
	s_waitcnt vmcnt(7) lgkmcnt(1)
	v_mul_f64 v[24:25], v[6:7], v[32:33]
	v_mul_f64 v[32:33], v[8:9], v[32:33]
	v_add_f64 v[22:23], v[22:23], v[26:27]
	v_add_f64 v[26:27], v[28:29], v[177:178]
	s_delay_alu instid0(VALU_DEP_4) | instskip(NEXT) | instid1(VALU_DEP_4)
	v_fma_f64 v[24:25], v[8:9], v[30:31], v[24:25]
	v_fma_f64 v[30:31], v[6:7], v[30:31], -v[32:33]
	ds_load_b128 v[6:9], v1 offset:1264
	s_waitcnt vmcnt(6) lgkmcnt(1)
	v_mul_f64 v[179:180], v[2:3], v[36:37]
	v_mul_f64 v[36:37], v[4:5], v[36:37]
	s_waitcnt vmcnt(5) lgkmcnt(0)
	v_mul_f64 v[28:29], v[6:7], v[175:176]
	v_mul_f64 v[32:33], v[8:9], v[175:176]
	v_add_f64 v[24:25], v[26:27], v[24:25]
	v_add_f64 v[22:23], v[22:23], v[30:31]
	v_fma_f64 v[175:176], v[4:5], v[34:35], v[179:180]
	v_fma_f64 v[34:35], v[2:3], v[34:35], -v[36:37]
	ds_load_b128 v[2:5], v1 offset:1280
	v_fma_f64 v[28:29], v[8:9], v[173:174], v[28:29]
	v_fma_f64 v[32:33], v[6:7], v[173:174], -v[32:33]
	ds_load_b128 v[6:9], v1 offset:1296
	s_waitcnt vmcnt(4) lgkmcnt(1)
	v_mul_f64 v[26:27], v[2:3], v[40:41]
	v_mul_f64 v[30:31], v[4:5], v[40:41]
	v_add_f64 v[24:25], v[24:25], v[175:176]
	v_add_f64 v[22:23], v[22:23], v[34:35]
	s_waitcnt vmcnt(3) lgkmcnt(0)
	v_mul_f64 v[34:35], v[6:7], v[171:172]
	v_mul_f64 v[36:37], v[8:9], v[171:172]
	v_fma_f64 v[26:27], v[4:5], v[38:39], v[26:27]
	v_fma_f64 v[30:31], v[2:3], v[38:39], -v[30:31]
	ds_load_b128 v[2:5], v1 offset:1312
	v_add_f64 v[24:25], v[24:25], v[28:29]
	v_add_f64 v[22:23], v[22:23], v[32:33]
	v_fma_f64 v[32:33], v[8:9], v[169:170], v[34:35]
	v_fma_f64 v[34:35], v[6:7], v[169:170], -v[36:37]
	ds_load_b128 v[6:9], v1 offset:1328
	s_waitcnt vmcnt(2) lgkmcnt(1)
	v_mul_f64 v[28:29], v[2:3], v[12:13]
	v_mul_f64 v[12:13], v[4:5], v[12:13]
	v_add_f64 v[24:25], v[24:25], v[26:27]
	v_add_f64 v[22:23], v[22:23], v[30:31]
	s_waitcnt vmcnt(1) lgkmcnt(0)
	v_mul_f64 v[26:27], v[6:7], v[16:17]
	v_mul_f64 v[16:17], v[8:9], v[16:17]
	v_fma_f64 v[4:5], v[4:5], v[10:11], v[28:29]
	v_fma_f64 v[1:2], v[2:3], v[10:11], -v[12:13]
	v_add_f64 v[12:13], v[24:25], v[32:33]
	v_add_f64 v[10:11], v[22:23], v[34:35]
	v_fma_f64 v[8:9], v[8:9], v[14:15], v[26:27]
	v_fma_f64 v[6:7], v[6:7], v[14:15], -v[16:17]
	s_delay_alu instid0(VALU_DEP_4) | instskip(NEXT) | instid1(VALU_DEP_4)
	v_add_f64 v[3:4], v[12:13], v[4:5]
	v_add_f64 v[1:2], v[10:11], v[1:2]
	s_delay_alu instid0(VALU_DEP_2) | instskip(NEXT) | instid1(VALU_DEP_2)
	v_add_f64 v[3:4], v[3:4], v[8:9]
	v_add_f64 v[1:2], v[1:2], v[6:7]
	s_waitcnt vmcnt(0)
	s_delay_alu instid0(VALU_DEP_2) | instskip(NEXT) | instid1(VALU_DEP_2)
	v_add_f64 v[3:4], v[20:21], -v[3:4]
	v_add_f64 v[1:2], v[18:19], -v[1:2]
	scratch_store_b128 off, v[1:4], off offset:112
	v_cmpx_lt_u32_e32 6, v126
	s_cbranch_execz .LBB105_253
; %bb.252:
	scratch_load_b128 v[1:4], v165, off
	v_mov_b32_e32 v5, 0
	s_delay_alu instid0(VALU_DEP_1)
	v_mov_b32_e32 v6, v5
	v_mov_b32_e32 v7, v5
	;; [unrolled: 1-line block ×3, first 2 shown]
	scratch_store_b128 off, v[5:8], off offset:96
	s_waitcnt vmcnt(0)
	ds_store_b128 v168, v[1:4]
.LBB105_253:
	s_or_b32 exec_lo, exec_lo, s2
	s_waitcnt lgkmcnt(0)
	s_waitcnt_vscnt null, 0x0
	s_barrier
	buffer_gl0_inv
	s_clause 0x7
	scratch_load_b128 v[2:5], off, off offset:112
	scratch_load_b128 v[6:9], off, off offset:128
	;; [unrolled: 1-line block ×8, first 2 shown]
	v_mov_b32_e32 v1, 0
	s_clause 0x1
	scratch_load_b128 v[34:37], off, off offset:240
	scratch_load_b128 v[173:176], off, off offset:256
	s_mov_b32 s2, exec_lo
	ds_load_b128 v[38:41], v1 offset:784
	ds_load_b128 v[169:172], v1 offset:800
	s_waitcnt vmcnt(9) lgkmcnt(1)
	v_mul_f64 v[177:178], v[40:41], v[4:5]
	v_mul_f64 v[4:5], v[38:39], v[4:5]
	s_waitcnt vmcnt(8) lgkmcnt(0)
	v_mul_f64 v[179:180], v[169:170], v[8:9]
	v_mul_f64 v[8:9], v[171:172], v[8:9]
	s_delay_alu instid0(VALU_DEP_4) | instskip(NEXT) | instid1(VALU_DEP_4)
	v_fma_f64 v[177:178], v[38:39], v[2:3], -v[177:178]
	v_fma_f64 v[181:182], v[40:41], v[2:3], v[4:5]
	ds_load_b128 v[2:5], v1 offset:816
	scratch_load_b128 v[38:41], off, off offset:272
	v_fma_f64 v[179:180], v[171:172], v[6:7], v[179:180]
	v_fma_f64 v[185:186], v[169:170], v[6:7], -v[8:9]
	scratch_load_b128 v[169:172], off, off offset:288
	ds_load_b128 v[6:9], v1 offset:832
	s_waitcnt vmcnt(9) lgkmcnt(1)
	v_mul_f64 v[183:184], v[2:3], v[12:13]
	v_mul_f64 v[12:13], v[4:5], v[12:13]
	s_waitcnt vmcnt(8) lgkmcnt(0)
	v_mul_f64 v[187:188], v[6:7], v[16:17]
	v_mul_f64 v[16:17], v[8:9], v[16:17]
	v_add_f64 v[177:178], v[177:178], 0
	v_add_f64 v[181:182], v[181:182], 0
	v_fma_f64 v[183:184], v[4:5], v[10:11], v[183:184]
	v_fma_f64 v[189:190], v[2:3], v[10:11], -v[12:13]
	ds_load_b128 v[2:5], v1 offset:848
	scratch_load_b128 v[10:13], off, off offset:304
	v_add_f64 v[177:178], v[177:178], v[185:186]
	v_add_f64 v[179:180], v[181:182], v[179:180]
	v_fma_f64 v[185:186], v[8:9], v[14:15], v[187:188]
	v_fma_f64 v[187:188], v[6:7], v[14:15], -v[16:17]
	scratch_load_b128 v[14:17], off, off offset:320
	ds_load_b128 v[6:9], v1 offset:864
	s_waitcnt vmcnt(9) lgkmcnt(1)
	v_mul_f64 v[181:182], v[2:3], v[20:21]
	v_mul_f64 v[20:21], v[4:5], v[20:21]
	v_add_f64 v[177:178], v[177:178], v[189:190]
	v_add_f64 v[179:180], v[179:180], v[183:184]
	s_waitcnt vmcnt(8) lgkmcnt(0)
	v_mul_f64 v[183:184], v[6:7], v[24:25]
	v_mul_f64 v[24:25], v[8:9], v[24:25]
	v_fma_f64 v[181:182], v[4:5], v[18:19], v[181:182]
	v_fma_f64 v[189:190], v[2:3], v[18:19], -v[20:21]
	ds_load_b128 v[2:5], v1 offset:880
	scratch_load_b128 v[18:21], off, off offset:336
	v_add_f64 v[177:178], v[177:178], v[187:188]
	v_add_f64 v[179:180], v[179:180], v[185:186]
	v_fma_f64 v[183:184], v[8:9], v[22:23], v[183:184]
	v_fma_f64 v[187:188], v[6:7], v[22:23], -v[24:25]
	scratch_load_b128 v[22:25], off, off offset:352
	ds_load_b128 v[6:9], v1 offset:896
	s_waitcnt vmcnt(9) lgkmcnt(1)
	v_mul_f64 v[185:186], v[2:3], v[28:29]
	v_mul_f64 v[28:29], v[4:5], v[28:29]
	v_add_f64 v[177:178], v[177:178], v[189:190]
	v_add_f64 v[179:180], v[179:180], v[181:182]
	s_waitcnt vmcnt(8) lgkmcnt(0)
	v_mul_f64 v[181:182], v[6:7], v[32:33]
	v_mul_f64 v[32:33], v[8:9], v[32:33]
	;; [unrolled: 18-line block ×8, first 2 shown]
	v_fma_f64 v[185:186], v[4:5], v[34:35], v[185:186]
	v_fma_f64 v[189:190], v[2:3], v[34:35], -v[36:37]
	ds_load_b128 v[2:5], v1 offset:1104
	scratch_load_b128 v[34:37], off, off offset:560
	v_add_f64 v[177:178], v[177:178], v[187:188]
	v_add_f64 v[179:180], v[179:180], v[183:184]
	v_fma_f64 v[181:182], v[8:9], v[173:174], v[181:182]
	v_fma_f64 v[187:188], v[6:7], v[173:174], -v[175:176]
	ds_load_b128 v[6:9], v1 offset:1120
	s_waitcnt vmcnt(8) lgkmcnt(1)
	v_mul_f64 v[183:184], v[2:3], v[40:41]
	v_mul_f64 v[40:41], v[4:5], v[40:41]
	scratch_load_b128 v[173:176], off, off offset:576
	v_add_f64 v[177:178], v[177:178], v[189:190]
	v_add_f64 v[179:180], v[179:180], v[185:186]
	s_waitcnt vmcnt(8) lgkmcnt(0)
	v_mul_f64 v[185:186], v[6:7], v[171:172]
	v_mul_f64 v[171:172], v[8:9], v[171:172]
	v_fma_f64 v[183:184], v[4:5], v[38:39], v[183:184]
	v_fma_f64 v[189:190], v[2:3], v[38:39], -v[40:41]
	scratch_load_b128 v[38:41], off, off offset:592
	ds_load_b128 v[2:5], v1 offset:1136
	v_add_f64 v[177:178], v[177:178], v[187:188]
	v_add_f64 v[179:180], v[179:180], v[181:182]
	v_fma_f64 v[185:186], v[8:9], v[169:170], v[185:186]
	v_fma_f64 v[187:188], v[6:7], v[169:170], -v[171:172]
	ds_load_b128 v[6:9], v1 offset:1152
	s_waitcnt vmcnt(8) lgkmcnt(1)
	v_mul_f64 v[181:182], v[2:3], v[12:13]
	v_mul_f64 v[12:13], v[4:5], v[12:13]
	scratch_load_b128 v[169:172], off, off offset:608
	v_add_f64 v[177:178], v[177:178], v[189:190]
	v_add_f64 v[179:180], v[179:180], v[183:184]
	s_waitcnt vmcnt(8) lgkmcnt(0)
	v_mul_f64 v[183:184], v[6:7], v[16:17]
	v_mul_f64 v[16:17], v[8:9], v[16:17]
	v_fma_f64 v[181:182], v[4:5], v[10:11], v[181:182]
	v_fma_f64 v[189:190], v[2:3], v[10:11], -v[12:13]
	scratch_load_b128 v[10:13], off, off offset:624
	ds_load_b128 v[2:5], v1 offset:1168
	;; [unrolled: 18-line block ×3, first 2 shown]
	v_add_f64 v[177:178], v[177:178], v[187:188]
	v_add_f64 v[179:180], v[179:180], v[183:184]
	v_fma_f64 v[181:182], v[8:9], v[22:23], v[181:182]
	v_fma_f64 v[22:23], v[6:7], v[22:23], -v[24:25]
	ds_load_b128 v[6:9], v1 offset:1216
	s_waitcnt vmcnt(8) lgkmcnt(1)
	v_mul_f64 v[183:184], v[2:3], v[28:29]
	v_mul_f64 v[28:29], v[4:5], v[28:29]
	v_add_f64 v[24:25], v[177:178], v[189:190]
	v_add_f64 v[177:178], v[179:180], v[185:186]
	s_waitcnt vmcnt(7) lgkmcnt(0)
	v_mul_f64 v[179:180], v[6:7], v[32:33]
	v_mul_f64 v[32:33], v[8:9], v[32:33]
	v_fma_f64 v[183:184], v[4:5], v[26:27], v[183:184]
	v_fma_f64 v[26:27], v[2:3], v[26:27], -v[28:29]
	ds_load_b128 v[2:5], v1 offset:1232
	v_add_f64 v[22:23], v[24:25], v[22:23]
	v_add_f64 v[24:25], v[177:178], v[181:182]
	v_fma_f64 v[177:178], v[8:9], v[30:31], v[179:180]
	v_fma_f64 v[30:31], v[6:7], v[30:31], -v[32:33]
	ds_load_b128 v[6:9], v1 offset:1248
	s_waitcnt vmcnt(5) lgkmcnt(0)
	v_mul_f64 v[179:180], v[6:7], v[175:176]
	v_mul_f64 v[175:176], v[8:9], v[175:176]
	v_add_f64 v[26:27], v[22:23], v[26:27]
	v_add_f64 v[32:33], v[24:25], v[183:184]
	scratch_load_b128 v[22:25], off, off offset:96
	v_mul_f64 v[28:29], v[2:3], v[36:37]
	v_mul_f64 v[36:37], v[4:5], v[36:37]
	v_add_f64 v[26:27], v[26:27], v[30:31]
	v_add_f64 v[30:31], v[32:33], v[177:178]
	s_delay_alu instid0(VALU_DEP_4) | instskip(NEXT) | instid1(VALU_DEP_4)
	v_fma_f64 v[28:29], v[4:5], v[34:35], v[28:29]
	v_fma_f64 v[34:35], v[2:3], v[34:35], -v[36:37]
	ds_load_b128 v[2:5], v1 offset:1264
	s_waitcnt vmcnt(5) lgkmcnt(0)
	v_mul_f64 v[32:33], v[2:3], v[40:41]
	v_mul_f64 v[36:37], v[4:5], v[40:41]
	v_fma_f64 v[40:41], v[8:9], v[173:174], v[179:180]
	v_fma_f64 v[173:174], v[6:7], v[173:174], -v[175:176]
	ds_load_b128 v[6:9], v1 offset:1280
	v_add_f64 v[28:29], v[30:31], v[28:29]
	v_add_f64 v[26:27], v[26:27], v[34:35]
	v_fma_f64 v[32:33], v[4:5], v[38:39], v[32:33]
	v_fma_f64 v[36:37], v[2:3], v[38:39], -v[36:37]
	ds_load_b128 v[2:5], v1 offset:1296
	s_waitcnt vmcnt(4) lgkmcnt(1)
	v_mul_f64 v[30:31], v[6:7], v[171:172]
	v_mul_f64 v[34:35], v[8:9], v[171:172]
	v_add_f64 v[28:29], v[28:29], v[40:41]
	v_add_f64 v[26:27], v[26:27], v[173:174]
	s_waitcnt vmcnt(3) lgkmcnt(0)
	v_mul_f64 v[38:39], v[2:3], v[12:13]
	v_mul_f64 v[12:13], v[4:5], v[12:13]
	v_fma_f64 v[30:31], v[8:9], v[169:170], v[30:31]
	v_fma_f64 v[34:35], v[6:7], v[169:170], -v[34:35]
	ds_load_b128 v[6:9], v1 offset:1312
	v_add_f64 v[28:29], v[28:29], v[32:33]
	v_add_f64 v[26:27], v[26:27], v[36:37]
	v_fma_f64 v[36:37], v[4:5], v[10:11], v[38:39]
	v_fma_f64 v[10:11], v[2:3], v[10:11], -v[12:13]
	ds_load_b128 v[2:5], v1 offset:1328
	s_waitcnt vmcnt(2) lgkmcnt(1)
	v_mul_f64 v[32:33], v[6:7], v[16:17]
	v_mul_f64 v[16:17], v[8:9], v[16:17]
	v_add_f64 v[12:13], v[26:27], v[34:35]
	v_add_f64 v[26:27], v[28:29], v[30:31]
	s_waitcnt vmcnt(1) lgkmcnt(0)
	v_mul_f64 v[28:29], v[2:3], v[20:21]
	v_mul_f64 v[20:21], v[4:5], v[20:21]
	v_fma_f64 v[8:9], v[8:9], v[14:15], v[32:33]
	v_fma_f64 v[6:7], v[6:7], v[14:15], -v[16:17]
	v_add_f64 v[10:11], v[12:13], v[10:11]
	v_add_f64 v[12:13], v[26:27], v[36:37]
	v_fma_f64 v[4:5], v[4:5], v[18:19], v[28:29]
	v_fma_f64 v[2:3], v[2:3], v[18:19], -v[20:21]
	s_delay_alu instid0(VALU_DEP_4) | instskip(NEXT) | instid1(VALU_DEP_4)
	v_add_f64 v[6:7], v[10:11], v[6:7]
	v_add_f64 v[8:9], v[12:13], v[8:9]
	s_delay_alu instid0(VALU_DEP_2) | instskip(NEXT) | instid1(VALU_DEP_2)
	v_add_f64 v[2:3], v[6:7], v[2:3]
	v_add_f64 v[4:5], v[8:9], v[4:5]
	s_waitcnt vmcnt(0)
	s_delay_alu instid0(VALU_DEP_2) | instskip(NEXT) | instid1(VALU_DEP_2)
	v_add_f64 v[2:3], v[22:23], -v[2:3]
	v_add_f64 v[4:5], v[24:25], -v[4:5]
	scratch_store_b128 off, v[2:5], off offset:96
	v_cmpx_lt_u32_e32 5, v126
	s_cbranch_execz .LBB105_255
; %bb.254:
	scratch_load_b128 v[5:8], v167, off
	v_mov_b32_e32 v2, v1
	v_mov_b32_e32 v3, v1
	;; [unrolled: 1-line block ×3, first 2 shown]
	scratch_store_b128 off, v[1:4], off offset:80
	s_waitcnt vmcnt(0)
	ds_store_b128 v168, v[5:8]
.LBB105_255:
	s_or_b32 exec_lo, exec_lo, s2
	s_waitcnt lgkmcnt(0)
	s_waitcnt_vscnt null, 0x0
	s_barrier
	buffer_gl0_inv
	s_clause 0x7
	scratch_load_b128 v[2:5], off, off offset:96
	scratch_load_b128 v[6:9], off, off offset:112
	;; [unrolled: 1-line block ×8, first 2 shown]
	ds_load_b128 v[38:41], v1 offset:768
	ds_load_b128 v[169:172], v1 offset:784
	s_clause 0x1
	scratch_load_b128 v[34:37], off, off offset:224
	scratch_load_b128 v[173:176], off, off offset:240
	s_mov_b32 s2, exec_lo
	s_waitcnt vmcnt(9) lgkmcnt(1)
	v_mul_f64 v[177:178], v[40:41], v[4:5]
	v_mul_f64 v[4:5], v[38:39], v[4:5]
	s_waitcnt vmcnt(8) lgkmcnt(0)
	v_mul_f64 v[179:180], v[169:170], v[8:9]
	v_mul_f64 v[8:9], v[171:172], v[8:9]
	s_delay_alu instid0(VALU_DEP_4) | instskip(NEXT) | instid1(VALU_DEP_4)
	v_fma_f64 v[177:178], v[38:39], v[2:3], -v[177:178]
	v_fma_f64 v[181:182], v[40:41], v[2:3], v[4:5]
	ds_load_b128 v[2:5], v1 offset:800
	scratch_load_b128 v[38:41], off, off offset:256
	v_fma_f64 v[179:180], v[171:172], v[6:7], v[179:180]
	v_fma_f64 v[185:186], v[169:170], v[6:7], -v[8:9]
	scratch_load_b128 v[169:172], off, off offset:272
	ds_load_b128 v[6:9], v1 offset:816
	s_waitcnt vmcnt(9) lgkmcnt(1)
	v_mul_f64 v[183:184], v[2:3], v[12:13]
	v_mul_f64 v[12:13], v[4:5], v[12:13]
	s_waitcnt vmcnt(8) lgkmcnt(0)
	v_mul_f64 v[187:188], v[6:7], v[16:17]
	v_mul_f64 v[16:17], v[8:9], v[16:17]
	v_add_f64 v[177:178], v[177:178], 0
	v_add_f64 v[181:182], v[181:182], 0
	v_fma_f64 v[183:184], v[4:5], v[10:11], v[183:184]
	v_fma_f64 v[189:190], v[2:3], v[10:11], -v[12:13]
	ds_load_b128 v[2:5], v1 offset:832
	scratch_load_b128 v[10:13], off, off offset:288
	v_add_f64 v[177:178], v[177:178], v[185:186]
	v_add_f64 v[179:180], v[181:182], v[179:180]
	v_fma_f64 v[185:186], v[8:9], v[14:15], v[187:188]
	v_fma_f64 v[187:188], v[6:7], v[14:15], -v[16:17]
	scratch_load_b128 v[14:17], off, off offset:304
	ds_load_b128 v[6:9], v1 offset:848
	s_waitcnt vmcnt(9) lgkmcnt(1)
	v_mul_f64 v[181:182], v[2:3], v[20:21]
	v_mul_f64 v[20:21], v[4:5], v[20:21]
	v_add_f64 v[177:178], v[177:178], v[189:190]
	v_add_f64 v[179:180], v[179:180], v[183:184]
	s_waitcnt vmcnt(8) lgkmcnt(0)
	v_mul_f64 v[183:184], v[6:7], v[24:25]
	v_mul_f64 v[24:25], v[8:9], v[24:25]
	v_fma_f64 v[181:182], v[4:5], v[18:19], v[181:182]
	v_fma_f64 v[189:190], v[2:3], v[18:19], -v[20:21]
	ds_load_b128 v[2:5], v1 offset:864
	scratch_load_b128 v[18:21], off, off offset:320
	v_add_f64 v[177:178], v[177:178], v[187:188]
	v_add_f64 v[179:180], v[179:180], v[185:186]
	v_fma_f64 v[183:184], v[8:9], v[22:23], v[183:184]
	v_fma_f64 v[187:188], v[6:7], v[22:23], -v[24:25]
	scratch_load_b128 v[22:25], off, off offset:336
	ds_load_b128 v[6:9], v1 offset:880
	s_waitcnt vmcnt(9) lgkmcnt(1)
	v_mul_f64 v[185:186], v[2:3], v[28:29]
	v_mul_f64 v[28:29], v[4:5], v[28:29]
	v_add_f64 v[177:178], v[177:178], v[189:190]
	v_add_f64 v[179:180], v[179:180], v[181:182]
	s_waitcnt vmcnt(8) lgkmcnt(0)
	v_mul_f64 v[181:182], v[6:7], v[32:33]
	v_mul_f64 v[32:33], v[8:9], v[32:33]
	;; [unrolled: 18-line block ×8, first 2 shown]
	v_fma_f64 v[185:186], v[4:5], v[34:35], v[185:186]
	v_fma_f64 v[189:190], v[2:3], v[34:35], -v[36:37]
	ds_load_b128 v[2:5], v1 offset:1088
	scratch_load_b128 v[34:37], off, off offset:544
	v_add_f64 v[177:178], v[177:178], v[187:188]
	v_add_f64 v[179:180], v[179:180], v[183:184]
	v_fma_f64 v[181:182], v[8:9], v[173:174], v[181:182]
	v_fma_f64 v[187:188], v[6:7], v[173:174], -v[175:176]
	ds_load_b128 v[6:9], v1 offset:1104
	s_waitcnt vmcnt(8) lgkmcnt(1)
	v_mul_f64 v[183:184], v[2:3], v[40:41]
	v_mul_f64 v[40:41], v[4:5], v[40:41]
	scratch_load_b128 v[173:176], off, off offset:560
	v_add_f64 v[177:178], v[177:178], v[189:190]
	v_add_f64 v[179:180], v[179:180], v[185:186]
	s_waitcnt vmcnt(8) lgkmcnt(0)
	v_mul_f64 v[185:186], v[6:7], v[171:172]
	v_mul_f64 v[171:172], v[8:9], v[171:172]
	v_fma_f64 v[183:184], v[4:5], v[38:39], v[183:184]
	v_fma_f64 v[189:190], v[2:3], v[38:39], -v[40:41]
	ds_load_b128 v[2:5], v1 offset:1120
	scratch_load_b128 v[38:41], off, off offset:576
	v_add_f64 v[177:178], v[177:178], v[187:188]
	v_add_f64 v[179:180], v[179:180], v[181:182]
	v_fma_f64 v[185:186], v[8:9], v[169:170], v[185:186]
	v_fma_f64 v[187:188], v[6:7], v[169:170], -v[171:172]
	ds_load_b128 v[6:9], v1 offset:1136
	s_waitcnt vmcnt(8) lgkmcnt(1)
	v_mul_f64 v[181:182], v[2:3], v[12:13]
	v_mul_f64 v[12:13], v[4:5], v[12:13]
	scratch_load_b128 v[169:172], off, off offset:592
	v_add_f64 v[177:178], v[177:178], v[189:190]
	v_add_f64 v[179:180], v[179:180], v[183:184]
	s_waitcnt vmcnt(8) lgkmcnt(0)
	v_mul_f64 v[183:184], v[6:7], v[16:17]
	v_mul_f64 v[16:17], v[8:9], v[16:17]
	v_fma_f64 v[181:182], v[4:5], v[10:11], v[181:182]
	v_fma_f64 v[189:190], v[2:3], v[10:11], -v[12:13]
	scratch_load_b128 v[10:13], off, off offset:608
	ds_load_b128 v[2:5], v1 offset:1152
	v_add_f64 v[177:178], v[177:178], v[187:188]
	v_add_f64 v[179:180], v[179:180], v[185:186]
	v_fma_f64 v[183:184], v[8:9], v[14:15], v[183:184]
	v_fma_f64 v[187:188], v[6:7], v[14:15], -v[16:17]
	ds_load_b128 v[6:9], v1 offset:1168
	s_waitcnt vmcnt(8) lgkmcnt(1)
	v_mul_f64 v[185:186], v[2:3], v[20:21]
	v_mul_f64 v[20:21], v[4:5], v[20:21]
	scratch_load_b128 v[14:17], off, off offset:624
	v_add_f64 v[177:178], v[177:178], v[189:190]
	v_add_f64 v[179:180], v[179:180], v[181:182]
	s_waitcnt vmcnt(8) lgkmcnt(0)
	v_mul_f64 v[181:182], v[6:7], v[24:25]
	v_mul_f64 v[24:25], v[8:9], v[24:25]
	v_fma_f64 v[185:186], v[4:5], v[18:19], v[185:186]
	v_fma_f64 v[189:190], v[2:3], v[18:19], -v[20:21]
	scratch_load_b128 v[18:21], off, off offset:640
	ds_load_b128 v[2:5], v1 offset:1184
	v_add_f64 v[177:178], v[177:178], v[187:188]
	v_add_f64 v[179:180], v[179:180], v[183:184]
	v_fma_f64 v[181:182], v[8:9], v[22:23], v[181:182]
	v_fma_f64 v[187:188], v[6:7], v[22:23], -v[24:25]
	ds_load_b128 v[6:9], v1 offset:1200
	s_waitcnt vmcnt(8) lgkmcnt(1)
	v_mul_f64 v[183:184], v[2:3], v[28:29]
	v_mul_f64 v[28:29], v[4:5], v[28:29]
	scratch_load_b128 v[22:25], off, off offset:656
	v_add_f64 v[177:178], v[177:178], v[189:190]
	v_add_f64 v[179:180], v[179:180], v[185:186]
	s_waitcnt vmcnt(8) lgkmcnt(0)
	v_mul_f64 v[185:186], v[6:7], v[32:33]
	v_mul_f64 v[32:33], v[8:9], v[32:33]
	v_fma_f64 v[183:184], v[4:5], v[26:27], v[183:184]
	v_fma_f64 v[26:27], v[2:3], v[26:27], -v[28:29]
	ds_load_b128 v[2:5], v1 offset:1216
	v_add_f64 v[28:29], v[177:178], v[187:188]
	v_add_f64 v[177:178], v[179:180], v[181:182]
	v_fma_f64 v[181:182], v[8:9], v[30:31], v[185:186]
	v_fma_f64 v[30:31], v[6:7], v[30:31], -v[32:33]
	ds_load_b128 v[6:9], v1 offset:1232
	s_waitcnt vmcnt(7) lgkmcnt(1)
	v_mul_f64 v[179:180], v[2:3], v[36:37]
	v_mul_f64 v[36:37], v[4:5], v[36:37]
	v_add_f64 v[26:27], v[28:29], v[26:27]
	v_add_f64 v[28:29], v[177:178], v[183:184]
	s_delay_alu instid0(VALU_DEP_4) | instskip(NEXT) | instid1(VALU_DEP_4)
	v_fma_f64 v[177:178], v[4:5], v[34:35], v[179:180]
	v_fma_f64 v[34:35], v[2:3], v[34:35], -v[36:37]
	ds_load_b128 v[2:5], v1 offset:1248
	v_add_f64 v[30:31], v[26:27], v[30:31]
	v_add_f64 v[36:37], v[28:29], v[181:182]
	scratch_load_b128 v[26:29], off, off offset:80
	s_waitcnt vmcnt(7) lgkmcnt(1)
	v_mul_f64 v[32:33], v[6:7], v[175:176]
	v_mul_f64 v[175:176], v[8:9], v[175:176]
	v_add_f64 v[30:31], v[30:31], v[34:35]
	v_add_f64 v[34:35], v[36:37], v[177:178]
	s_delay_alu instid0(VALU_DEP_4) | instskip(NEXT) | instid1(VALU_DEP_4)
	v_fma_f64 v[32:33], v[8:9], v[173:174], v[32:33]
	v_fma_f64 v[173:174], v[6:7], v[173:174], -v[175:176]
	ds_load_b128 v[6:9], v1 offset:1264
	s_waitcnt vmcnt(6) lgkmcnt(1)
	v_mul_f64 v[179:180], v[2:3], v[40:41]
	v_mul_f64 v[40:41], v[4:5], v[40:41]
	s_waitcnt vmcnt(5) lgkmcnt(0)
	v_mul_f64 v[36:37], v[6:7], v[171:172]
	v_mul_f64 v[171:172], v[8:9], v[171:172]
	v_add_f64 v[32:33], v[34:35], v[32:33]
	v_add_f64 v[30:31], v[30:31], v[173:174]
	v_fma_f64 v[175:176], v[4:5], v[38:39], v[179:180]
	v_fma_f64 v[38:39], v[2:3], v[38:39], -v[40:41]
	ds_load_b128 v[2:5], v1 offset:1280
	v_fma_f64 v[36:37], v[8:9], v[169:170], v[36:37]
	v_fma_f64 v[40:41], v[6:7], v[169:170], -v[171:172]
	ds_load_b128 v[6:9], v1 offset:1296
	s_waitcnt vmcnt(4) lgkmcnt(1)
	v_mul_f64 v[34:35], v[2:3], v[12:13]
	v_mul_f64 v[12:13], v[4:5], v[12:13]
	v_add_f64 v[32:33], v[32:33], v[175:176]
	v_add_f64 v[30:31], v[30:31], v[38:39]
	s_waitcnt vmcnt(3) lgkmcnt(0)
	v_mul_f64 v[38:39], v[6:7], v[16:17]
	v_mul_f64 v[16:17], v[8:9], v[16:17]
	v_fma_f64 v[34:35], v[4:5], v[10:11], v[34:35]
	v_fma_f64 v[10:11], v[2:3], v[10:11], -v[12:13]
	ds_load_b128 v[2:5], v1 offset:1312
	v_add_f64 v[12:13], v[30:31], v[40:41]
	v_add_f64 v[30:31], v[32:33], v[36:37]
	v_fma_f64 v[36:37], v[8:9], v[14:15], v[38:39]
	v_fma_f64 v[14:15], v[6:7], v[14:15], -v[16:17]
	ds_load_b128 v[6:9], v1 offset:1328
	s_waitcnt vmcnt(2) lgkmcnt(1)
	v_mul_f64 v[32:33], v[2:3], v[20:21]
	v_mul_f64 v[20:21], v[4:5], v[20:21]
	s_waitcnt vmcnt(1) lgkmcnt(0)
	v_mul_f64 v[16:17], v[6:7], v[24:25]
	v_mul_f64 v[24:25], v[8:9], v[24:25]
	v_add_f64 v[10:11], v[12:13], v[10:11]
	v_add_f64 v[12:13], v[30:31], v[34:35]
	v_fma_f64 v[4:5], v[4:5], v[18:19], v[32:33]
	v_fma_f64 v[1:2], v[2:3], v[18:19], -v[20:21]
	v_fma_f64 v[8:9], v[8:9], v[22:23], v[16:17]
	v_fma_f64 v[6:7], v[6:7], v[22:23], -v[24:25]
	v_add_f64 v[10:11], v[10:11], v[14:15]
	v_add_f64 v[12:13], v[12:13], v[36:37]
	s_delay_alu instid0(VALU_DEP_2) | instskip(NEXT) | instid1(VALU_DEP_2)
	v_add_f64 v[1:2], v[10:11], v[1:2]
	v_add_f64 v[3:4], v[12:13], v[4:5]
	s_delay_alu instid0(VALU_DEP_2) | instskip(NEXT) | instid1(VALU_DEP_2)
	v_add_f64 v[1:2], v[1:2], v[6:7]
	v_add_f64 v[3:4], v[3:4], v[8:9]
	s_waitcnt vmcnt(0)
	s_delay_alu instid0(VALU_DEP_2) | instskip(NEXT) | instid1(VALU_DEP_2)
	v_add_f64 v[1:2], v[26:27], -v[1:2]
	v_add_f64 v[3:4], v[28:29], -v[3:4]
	scratch_store_b128 off, v[1:4], off offset:80
	v_cmpx_lt_u32_e32 4, v126
	s_cbranch_execz .LBB105_257
; %bb.256:
	scratch_load_b128 v[1:4], v147, off
	v_mov_b32_e32 v5, 0
	s_delay_alu instid0(VALU_DEP_1)
	v_mov_b32_e32 v6, v5
	v_mov_b32_e32 v7, v5
	;; [unrolled: 1-line block ×3, first 2 shown]
	scratch_store_b128 off, v[5:8], off offset:64
	s_waitcnt vmcnt(0)
	ds_store_b128 v168, v[1:4]
.LBB105_257:
	s_or_b32 exec_lo, exec_lo, s2
	s_waitcnt lgkmcnt(0)
	s_waitcnt_vscnt null, 0x0
	s_barrier
	buffer_gl0_inv
	s_clause 0x7
	scratch_load_b128 v[2:5], off, off offset:80
	scratch_load_b128 v[6:9], off, off offset:96
	;; [unrolled: 1-line block ×8, first 2 shown]
	v_mov_b32_e32 v1, 0
	s_clause 0x1
	scratch_load_b128 v[34:37], off, off offset:208
	scratch_load_b128 v[173:176], off, off offset:224
	s_mov_b32 s2, exec_lo
	ds_load_b128 v[38:41], v1 offset:752
	ds_load_b128 v[169:172], v1 offset:768
	s_waitcnt vmcnt(9) lgkmcnt(1)
	v_mul_f64 v[177:178], v[40:41], v[4:5]
	v_mul_f64 v[4:5], v[38:39], v[4:5]
	s_waitcnt vmcnt(8) lgkmcnt(0)
	v_mul_f64 v[179:180], v[169:170], v[8:9]
	v_mul_f64 v[8:9], v[171:172], v[8:9]
	s_delay_alu instid0(VALU_DEP_4) | instskip(NEXT) | instid1(VALU_DEP_4)
	v_fma_f64 v[177:178], v[38:39], v[2:3], -v[177:178]
	v_fma_f64 v[181:182], v[40:41], v[2:3], v[4:5]
	ds_load_b128 v[2:5], v1 offset:784
	scratch_load_b128 v[38:41], off, off offset:240
	v_fma_f64 v[179:180], v[171:172], v[6:7], v[179:180]
	v_fma_f64 v[185:186], v[169:170], v[6:7], -v[8:9]
	scratch_load_b128 v[169:172], off, off offset:256
	ds_load_b128 v[6:9], v1 offset:800
	s_waitcnt vmcnt(9) lgkmcnt(1)
	v_mul_f64 v[183:184], v[2:3], v[12:13]
	v_mul_f64 v[12:13], v[4:5], v[12:13]
	s_waitcnt vmcnt(8) lgkmcnt(0)
	v_mul_f64 v[187:188], v[6:7], v[16:17]
	v_mul_f64 v[16:17], v[8:9], v[16:17]
	v_add_f64 v[177:178], v[177:178], 0
	v_add_f64 v[181:182], v[181:182], 0
	v_fma_f64 v[183:184], v[4:5], v[10:11], v[183:184]
	v_fma_f64 v[189:190], v[2:3], v[10:11], -v[12:13]
	ds_load_b128 v[2:5], v1 offset:816
	scratch_load_b128 v[10:13], off, off offset:272
	v_add_f64 v[177:178], v[177:178], v[185:186]
	v_add_f64 v[179:180], v[181:182], v[179:180]
	v_fma_f64 v[185:186], v[8:9], v[14:15], v[187:188]
	v_fma_f64 v[187:188], v[6:7], v[14:15], -v[16:17]
	scratch_load_b128 v[14:17], off, off offset:288
	ds_load_b128 v[6:9], v1 offset:832
	s_waitcnt vmcnt(9) lgkmcnt(1)
	v_mul_f64 v[181:182], v[2:3], v[20:21]
	v_mul_f64 v[20:21], v[4:5], v[20:21]
	v_add_f64 v[177:178], v[177:178], v[189:190]
	v_add_f64 v[179:180], v[179:180], v[183:184]
	s_waitcnt vmcnt(8) lgkmcnt(0)
	v_mul_f64 v[183:184], v[6:7], v[24:25]
	v_mul_f64 v[24:25], v[8:9], v[24:25]
	v_fma_f64 v[181:182], v[4:5], v[18:19], v[181:182]
	v_fma_f64 v[189:190], v[2:3], v[18:19], -v[20:21]
	ds_load_b128 v[2:5], v1 offset:848
	scratch_load_b128 v[18:21], off, off offset:304
	v_add_f64 v[177:178], v[177:178], v[187:188]
	v_add_f64 v[179:180], v[179:180], v[185:186]
	v_fma_f64 v[183:184], v[8:9], v[22:23], v[183:184]
	v_fma_f64 v[187:188], v[6:7], v[22:23], -v[24:25]
	scratch_load_b128 v[22:25], off, off offset:320
	ds_load_b128 v[6:9], v1 offset:864
	s_waitcnt vmcnt(9) lgkmcnt(1)
	v_mul_f64 v[185:186], v[2:3], v[28:29]
	v_mul_f64 v[28:29], v[4:5], v[28:29]
	v_add_f64 v[177:178], v[177:178], v[189:190]
	v_add_f64 v[179:180], v[179:180], v[181:182]
	s_waitcnt vmcnt(8) lgkmcnt(0)
	v_mul_f64 v[181:182], v[6:7], v[32:33]
	v_mul_f64 v[32:33], v[8:9], v[32:33]
	;; [unrolled: 18-line block ×9, first 2 shown]
	v_fma_f64 v[183:184], v[4:5], v[38:39], v[183:184]
	v_fma_f64 v[189:190], v[2:3], v[38:39], -v[40:41]
	ds_load_b128 v[2:5], v1 offset:1104
	scratch_load_b128 v[38:41], off, off offset:560
	v_add_f64 v[177:178], v[177:178], v[187:188]
	v_add_f64 v[179:180], v[179:180], v[181:182]
	v_fma_f64 v[185:186], v[8:9], v[169:170], v[185:186]
	v_fma_f64 v[187:188], v[6:7], v[169:170], -v[171:172]
	ds_load_b128 v[6:9], v1 offset:1120
	s_waitcnt vmcnt(8) lgkmcnt(1)
	v_mul_f64 v[181:182], v[2:3], v[12:13]
	v_mul_f64 v[12:13], v[4:5], v[12:13]
	scratch_load_b128 v[169:172], off, off offset:576
	v_add_f64 v[177:178], v[177:178], v[189:190]
	v_add_f64 v[179:180], v[179:180], v[183:184]
	s_waitcnt vmcnt(8) lgkmcnt(0)
	v_mul_f64 v[183:184], v[6:7], v[16:17]
	v_mul_f64 v[16:17], v[8:9], v[16:17]
	v_fma_f64 v[181:182], v[4:5], v[10:11], v[181:182]
	v_fma_f64 v[189:190], v[2:3], v[10:11], -v[12:13]
	scratch_load_b128 v[10:13], off, off offset:592
	ds_load_b128 v[2:5], v1 offset:1136
	v_add_f64 v[177:178], v[177:178], v[187:188]
	v_add_f64 v[179:180], v[179:180], v[185:186]
	v_fma_f64 v[183:184], v[8:9], v[14:15], v[183:184]
	v_fma_f64 v[187:188], v[6:7], v[14:15], -v[16:17]
	ds_load_b128 v[6:9], v1 offset:1152
	s_waitcnt vmcnt(8) lgkmcnt(1)
	v_mul_f64 v[185:186], v[2:3], v[20:21]
	v_mul_f64 v[20:21], v[4:5], v[20:21]
	scratch_load_b128 v[14:17], off, off offset:608
	v_add_f64 v[177:178], v[177:178], v[189:190]
	v_add_f64 v[179:180], v[179:180], v[181:182]
	s_waitcnt vmcnt(8) lgkmcnt(0)
	v_mul_f64 v[181:182], v[6:7], v[24:25]
	v_mul_f64 v[24:25], v[8:9], v[24:25]
	v_fma_f64 v[185:186], v[4:5], v[18:19], v[185:186]
	v_fma_f64 v[189:190], v[2:3], v[18:19], -v[20:21]
	scratch_load_b128 v[18:21], off, off offset:624
	ds_load_b128 v[2:5], v1 offset:1168
	;; [unrolled: 18-line block ×3, first 2 shown]
	v_add_f64 v[177:178], v[177:178], v[187:188]
	v_add_f64 v[179:180], v[179:180], v[181:182]
	v_fma_f64 v[185:186], v[8:9], v[30:31], v[185:186]
	v_fma_f64 v[30:31], v[6:7], v[30:31], -v[32:33]
	ds_load_b128 v[6:9], v1 offset:1216
	s_waitcnt vmcnt(8) lgkmcnt(1)
	v_mul_f64 v[181:182], v[2:3], v[36:37]
	v_mul_f64 v[36:37], v[4:5], v[36:37]
	v_add_f64 v[32:33], v[177:178], v[189:190]
	v_add_f64 v[177:178], v[179:180], v[183:184]
	s_waitcnt vmcnt(7) lgkmcnt(0)
	v_mul_f64 v[179:180], v[6:7], v[175:176]
	v_mul_f64 v[175:176], v[8:9], v[175:176]
	v_fma_f64 v[181:182], v[4:5], v[34:35], v[181:182]
	v_fma_f64 v[34:35], v[2:3], v[34:35], -v[36:37]
	ds_load_b128 v[2:5], v1 offset:1232
	v_add_f64 v[30:31], v[32:33], v[30:31]
	v_add_f64 v[32:33], v[177:178], v[185:186]
	v_fma_f64 v[177:178], v[8:9], v[173:174], v[179:180]
	v_fma_f64 v[173:174], v[6:7], v[173:174], -v[175:176]
	ds_load_b128 v[6:9], v1 offset:1248
	s_waitcnt vmcnt(5) lgkmcnt(0)
	v_mul_f64 v[179:180], v[6:7], v[171:172]
	v_mul_f64 v[171:172], v[8:9], v[171:172]
	v_add_f64 v[34:35], v[30:31], v[34:35]
	v_add_f64 v[175:176], v[32:33], v[181:182]
	scratch_load_b128 v[30:33], off, off offset:64
	v_mul_f64 v[36:37], v[2:3], v[40:41]
	v_mul_f64 v[40:41], v[4:5], v[40:41]
	v_add_f64 v[34:35], v[34:35], v[173:174]
	s_delay_alu instid0(VALU_DEP_3) | instskip(NEXT) | instid1(VALU_DEP_3)
	v_fma_f64 v[36:37], v[4:5], v[38:39], v[36:37]
	v_fma_f64 v[38:39], v[2:3], v[38:39], -v[40:41]
	v_add_f64 v[40:41], v[175:176], v[177:178]
	ds_load_b128 v[2:5], v1 offset:1264
	v_fma_f64 v[175:176], v[8:9], v[169:170], v[179:180]
	v_fma_f64 v[169:170], v[6:7], v[169:170], -v[171:172]
	ds_load_b128 v[6:9], v1 offset:1280
	s_waitcnt vmcnt(5) lgkmcnt(1)
	v_mul_f64 v[173:174], v[2:3], v[12:13]
	v_mul_f64 v[12:13], v[4:5], v[12:13]
	v_add_f64 v[34:35], v[34:35], v[38:39]
	v_add_f64 v[36:37], v[40:41], v[36:37]
	s_waitcnt vmcnt(4) lgkmcnt(0)
	v_mul_f64 v[38:39], v[6:7], v[16:17]
	v_mul_f64 v[16:17], v[8:9], v[16:17]
	v_fma_f64 v[40:41], v[4:5], v[10:11], v[173:174]
	v_fma_f64 v[10:11], v[2:3], v[10:11], -v[12:13]
	ds_load_b128 v[2:5], v1 offset:1296
	v_add_f64 v[12:13], v[34:35], v[169:170]
	v_add_f64 v[34:35], v[36:37], v[175:176]
	v_fma_f64 v[38:39], v[8:9], v[14:15], v[38:39]
	v_fma_f64 v[14:15], v[6:7], v[14:15], -v[16:17]
	ds_load_b128 v[6:9], v1 offset:1312
	s_waitcnt vmcnt(3) lgkmcnt(1)
	v_mul_f64 v[36:37], v[2:3], v[20:21]
	v_mul_f64 v[20:21], v[4:5], v[20:21]
	s_waitcnt vmcnt(2) lgkmcnt(0)
	v_mul_f64 v[16:17], v[6:7], v[24:25]
	v_mul_f64 v[24:25], v[8:9], v[24:25]
	v_add_f64 v[10:11], v[12:13], v[10:11]
	v_add_f64 v[12:13], v[34:35], v[40:41]
	v_fma_f64 v[34:35], v[4:5], v[18:19], v[36:37]
	v_fma_f64 v[18:19], v[2:3], v[18:19], -v[20:21]
	ds_load_b128 v[2:5], v1 offset:1328
	v_fma_f64 v[8:9], v[8:9], v[22:23], v[16:17]
	v_fma_f64 v[6:7], v[6:7], v[22:23], -v[24:25]
	s_waitcnt vmcnt(1) lgkmcnt(0)
	v_mul_f64 v[20:21], v[4:5], v[28:29]
	v_add_f64 v[10:11], v[10:11], v[14:15]
	v_add_f64 v[12:13], v[12:13], v[38:39]
	v_mul_f64 v[14:15], v[2:3], v[28:29]
	s_delay_alu instid0(VALU_DEP_4) | instskip(NEXT) | instid1(VALU_DEP_4)
	v_fma_f64 v[2:3], v[2:3], v[26:27], -v[20:21]
	v_add_f64 v[10:11], v[10:11], v[18:19]
	s_delay_alu instid0(VALU_DEP_4) | instskip(NEXT) | instid1(VALU_DEP_4)
	v_add_f64 v[12:13], v[12:13], v[34:35]
	v_fma_f64 v[4:5], v[4:5], v[26:27], v[14:15]
	s_delay_alu instid0(VALU_DEP_3) | instskip(NEXT) | instid1(VALU_DEP_3)
	v_add_f64 v[6:7], v[10:11], v[6:7]
	v_add_f64 v[8:9], v[12:13], v[8:9]
	s_delay_alu instid0(VALU_DEP_2) | instskip(NEXT) | instid1(VALU_DEP_2)
	v_add_f64 v[2:3], v[6:7], v[2:3]
	v_add_f64 v[4:5], v[8:9], v[4:5]
	s_waitcnt vmcnt(0)
	s_delay_alu instid0(VALU_DEP_2) | instskip(NEXT) | instid1(VALU_DEP_2)
	v_add_f64 v[2:3], v[30:31], -v[2:3]
	v_add_f64 v[4:5], v[32:33], -v[4:5]
	scratch_store_b128 off, v[2:5], off offset:64
	v_cmpx_lt_u32_e32 3, v126
	s_cbranch_execz .LBB105_259
; %bb.258:
	scratch_load_b128 v[5:8], v149, off
	v_mov_b32_e32 v2, v1
	v_mov_b32_e32 v3, v1
	;; [unrolled: 1-line block ×3, first 2 shown]
	scratch_store_b128 off, v[1:4], off offset:48
	s_waitcnt vmcnt(0)
	ds_store_b128 v168, v[5:8]
.LBB105_259:
	s_or_b32 exec_lo, exec_lo, s2
	s_waitcnt lgkmcnt(0)
	s_waitcnt_vscnt null, 0x0
	s_barrier
	buffer_gl0_inv
	s_clause 0x7
	scratch_load_b128 v[2:5], off, off offset:64
	scratch_load_b128 v[6:9], off, off offset:80
	;; [unrolled: 1-line block ×8, first 2 shown]
	ds_load_b128 v[38:41], v1 offset:736
	ds_load_b128 v[169:172], v1 offset:752
	s_clause 0x1
	scratch_load_b128 v[34:37], off, off offset:192
	scratch_load_b128 v[173:176], off, off offset:208
	s_mov_b32 s2, exec_lo
	s_waitcnt vmcnt(9) lgkmcnt(1)
	v_mul_f64 v[177:178], v[40:41], v[4:5]
	v_mul_f64 v[4:5], v[38:39], v[4:5]
	s_waitcnt vmcnt(8) lgkmcnt(0)
	v_mul_f64 v[179:180], v[169:170], v[8:9]
	v_mul_f64 v[8:9], v[171:172], v[8:9]
	s_delay_alu instid0(VALU_DEP_4) | instskip(NEXT) | instid1(VALU_DEP_4)
	v_fma_f64 v[177:178], v[38:39], v[2:3], -v[177:178]
	v_fma_f64 v[181:182], v[40:41], v[2:3], v[4:5]
	ds_load_b128 v[2:5], v1 offset:768
	scratch_load_b128 v[38:41], off, off offset:224
	v_fma_f64 v[179:180], v[171:172], v[6:7], v[179:180]
	v_fma_f64 v[185:186], v[169:170], v[6:7], -v[8:9]
	scratch_load_b128 v[169:172], off, off offset:240
	ds_load_b128 v[6:9], v1 offset:784
	s_waitcnt vmcnt(9) lgkmcnt(1)
	v_mul_f64 v[183:184], v[2:3], v[12:13]
	v_mul_f64 v[12:13], v[4:5], v[12:13]
	s_waitcnt vmcnt(8) lgkmcnt(0)
	v_mul_f64 v[187:188], v[6:7], v[16:17]
	v_mul_f64 v[16:17], v[8:9], v[16:17]
	v_add_f64 v[177:178], v[177:178], 0
	v_add_f64 v[181:182], v[181:182], 0
	v_fma_f64 v[183:184], v[4:5], v[10:11], v[183:184]
	v_fma_f64 v[189:190], v[2:3], v[10:11], -v[12:13]
	ds_load_b128 v[2:5], v1 offset:800
	scratch_load_b128 v[10:13], off, off offset:256
	v_add_f64 v[177:178], v[177:178], v[185:186]
	v_add_f64 v[179:180], v[181:182], v[179:180]
	v_fma_f64 v[185:186], v[8:9], v[14:15], v[187:188]
	v_fma_f64 v[187:188], v[6:7], v[14:15], -v[16:17]
	scratch_load_b128 v[14:17], off, off offset:272
	ds_load_b128 v[6:9], v1 offset:816
	s_waitcnt vmcnt(9) lgkmcnt(1)
	v_mul_f64 v[181:182], v[2:3], v[20:21]
	v_mul_f64 v[20:21], v[4:5], v[20:21]
	v_add_f64 v[177:178], v[177:178], v[189:190]
	v_add_f64 v[179:180], v[179:180], v[183:184]
	s_waitcnt vmcnt(8) lgkmcnt(0)
	v_mul_f64 v[183:184], v[6:7], v[24:25]
	v_mul_f64 v[24:25], v[8:9], v[24:25]
	v_fma_f64 v[181:182], v[4:5], v[18:19], v[181:182]
	v_fma_f64 v[189:190], v[2:3], v[18:19], -v[20:21]
	ds_load_b128 v[2:5], v1 offset:832
	scratch_load_b128 v[18:21], off, off offset:288
	v_add_f64 v[177:178], v[177:178], v[187:188]
	v_add_f64 v[179:180], v[179:180], v[185:186]
	v_fma_f64 v[183:184], v[8:9], v[22:23], v[183:184]
	v_fma_f64 v[187:188], v[6:7], v[22:23], -v[24:25]
	scratch_load_b128 v[22:25], off, off offset:304
	ds_load_b128 v[6:9], v1 offset:848
	s_waitcnt vmcnt(9) lgkmcnt(1)
	v_mul_f64 v[185:186], v[2:3], v[28:29]
	v_mul_f64 v[28:29], v[4:5], v[28:29]
	v_add_f64 v[177:178], v[177:178], v[189:190]
	v_add_f64 v[179:180], v[179:180], v[181:182]
	s_waitcnt vmcnt(8) lgkmcnt(0)
	v_mul_f64 v[181:182], v[6:7], v[32:33]
	v_mul_f64 v[32:33], v[8:9], v[32:33]
	;; [unrolled: 18-line block ×9, first 2 shown]
	v_fma_f64 v[183:184], v[4:5], v[38:39], v[183:184]
	v_fma_f64 v[189:190], v[2:3], v[38:39], -v[40:41]
	ds_load_b128 v[2:5], v1 offset:1088
	scratch_load_b128 v[38:41], off, off offset:544
	v_add_f64 v[177:178], v[177:178], v[187:188]
	v_add_f64 v[179:180], v[179:180], v[181:182]
	v_fma_f64 v[185:186], v[8:9], v[169:170], v[185:186]
	v_fma_f64 v[187:188], v[6:7], v[169:170], -v[171:172]
	ds_load_b128 v[6:9], v1 offset:1104
	s_waitcnt vmcnt(8) lgkmcnt(1)
	v_mul_f64 v[181:182], v[2:3], v[12:13]
	v_mul_f64 v[12:13], v[4:5], v[12:13]
	scratch_load_b128 v[169:172], off, off offset:560
	v_add_f64 v[177:178], v[177:178], v[189:190]
	v_add_f64 v[179:180], v[179:180], v[183:184]
	s_waitcnt vmcnt(8) lgkmcnt(0)
	v_mul_f64 v[183:184], v[6:7], v[16:17]
	v_mul_f64 v[16:17], v[8:9], v[16:17]
	v_fma_f64 v[181:182], v[4:5], v[10:11], v[181:182]
	v_fma_f64 v[189:190], v[2:3], v[10:11], -v[12:13]
	ds_load_b128 v[2:5], v1 offset:1120
	scratch_load_b128 v[10:13], off, off offset:576
	v_add_f64 v[177:178], v[177:178], v[187:188]
	v_add_f64 v[179:180], v[179:180], v[185:186]
	v_fma_f64 v[183:184], v[8:9], v[14:15], v[183:184]
	v_fma_f64 v[187:188], v[6:7], v[14:15], -v[16:17]
	ds_load_b128 v[6:9], v1 offset:1136
	s_waitcnt vmcnt(8) lgkmcnt(1)
	v_mul_f64 v[185:186], v[2:3], v[20:21]
	v_mul_f64 v[20:21], v[4:5], v[20:21]
	scratch_load_b128 v[14:17], off, off offset:592
	v_add_f64 v[177:178], v[177:178], v[189:190]
	v_add_f64 v[179:180], v[179:180], v[181:182]
	s_waitcnt vmcnt(8) lgkmcnt(0)
	v_mul_f64 v[181:182], v[6:7], v[24:25]
	v_mul_f64 v[24:25], v[8:9], v[24:25]
	v_fma_f64 v[185:186], v[4:5], v[18:19], v[185:186]
	v_fma_f64 v[189:190], v[2:3], v[18:19], -v[20:21]
	scratch_load_b128 v[18:21], off, off offset:608
	ds_load_b128 v[2:5], v1 offset:1152
	v_add_f64 v[177:178], v[177:178], v[187:188]
	v_add_f64 v[179:180], v[179:180], v[183:184]
	v_fma_f64 v[181:182], v[8:9], v[22:23], v[181:182]
	v_fma_f64 v[187:188], v[6:7], v[22:23], -v[24:25]
	ds_load_b128 v[6:9], v1 offset:1168
	s_waitcnt vmcnt(8) lgkmcnt(1)
	v_mul_f64 v[183:184], v[2:3], v[28:29]
	v_mul_f64 v[28:29], v[4:5], v[28:29]
	scratch_load_b128 v[22:25], off, off offset:624
	v_add_f64 v[177:178], v[177:178], v[189:190]
	v_add_f64 v[179:180], v[179:180], v[185:186]
	s_waitcnt vmcnt(8) lgkmcnt(0)
	v_mul_f64 v[185:186], v[6:7], v[32:33]
	v_mul_f64 v[32:33], v[8:9], v[32:33]
	v_fma_f64 v[183:184], v[4:5], v[26:27], v[183:184]
	v_fma_f64 v[189:190], v[2:3], v[26:27], -v[28:29]
	scratch_load_b128 v[26:29], off, off offset:640
	ds_load_b128 v[2:5], v1 offset:1184
	v_add_f64 v[177:178], v[177:178], v[187:188]
	v_add_f64 v[179:180], v[179:180], v[181:182]
	v_fma_f64 v[185:186], v[8:9], v[30:31], v[185:186]
	v_fma_f64 v[187:188], v[6:7], v[30:31], -v[32:33]
	ds_load_b128 v[6:9], v1 offset:1200
	s_waitcnt vmcnt(8) lgkmcnt(1)
	v_mul_f64 v[181:182], v[2:3], v[36:37]
	v_mul_f64 v[36:37], v[4:5], v[36:37]
	scratch_load_b128 v[30:33], off, off offset:656
	v_add_f64 v[177:178], v[177:178], v[189:190]
	v_add_f64 v[179:180], v[179:180], v[183:184]
	s_waitcnt vmcnt(8) lgkmcnt(0)
	v_mul_f64 v[183:184], v[6:7], v[175:176]
	v_mul_f64 v[175:176], v[8:9], v[175:176]
	v_fma_f64 v[181:182], v[4:5], v[34:35], v[181:182]
	v_fma_f64 v[34:35], v[2:3], v[34:35], -v[36:37]
	ds_load_b128 v[2:5], v1 offset:1216
	v_add_f64 v[36:37], v[177:178], v[187:188]
	v_add_f64 v[177:178], v[179:180], v[185:186]
	v_fma_f64 v[183:184], v[8:9], v[173:174], v[183:184]
	v_fma_f64 v[173:174], v[6:7], v[173:174], -v[175:176]
	ds_load_b128 v[6:9], v1 offset:1232
	s_waitcnt vmcnt(7) lgkmcnt(1)
	v_mul_f64 v[179:180], v[2:3], v[40:41]
	v_mul_f64 v[40:41], v[4:5], v[40:41]
	v_add_f64 v[34:35], v[36:37], v[34:35]
	v_add_f64 v[36:37], v[177:178], v[181:182]
	s_delay_alu instid0(VALU_DEP_4) | instskip(NEXT) | instid1(VALU_DEP_4)
	v_fma_f64 v[177:178], v[4:5], v[38:39], v[179:180]
	v_fma_f64 v[38:39], v[2:3], v[38:39], -v[40:41]
	ds_load_b128 v[2:5], v1 offset:1248
	v_add_f64 v[40:41], v[34:35], v[173:174]
	v_add_f64 v[173:174], v[36:37], v[183:184]
	scratch_load_b128 v[34:37], off, off offset:48
	s_waitcnt vmcnt(7) lgkmcnt(1)
	v_mul_f64 v[175:176], v[6:7], v[171:172]
	v_mul_f64 v[171:172], v[8:9], v[171:172]
	v_add_f64 v[38:39], v[40:41], v[38:39]
	v_add_f64 v[40:41], v[173:174], v[177:178]
	s_delay_alu instid0(VALU_DEP_4) | instskip(NEXT) | instid1(VALU_DEP_4)
	v_fma_f64 v[175:176], v[8:9], v[169:170], v[175:176]
	v_fma_f64 v[169:170], v[6:7], v[169:170], -v[171:172]
	ds_load_b128 v[6:9], v1 offset:1264
	s_waitcnt vmcnt(6) lgkmcnt(1)
	v_mul_f64 v[179:180], v[2:3], v[12:13]
	v_mul_f64 v[12:13], v[4:5], v[12:13]
	s_waitcnt vmcnt(5) lgkmcnt(0)
	v_mul_f64 v[171:172], v[6:7], v[16:17]
	v_mul_f64 v[16:17], v[8:9], v[16:17]
	s_delay_alu instid0(VALU_DEP_4) | instskip(NEXT) | instid1(VALU_DEP_4)
	v_fma_f64 v[173:174], v[4:5], v[10:11], v[179:180]
	v_fma_f64 v[10:11], v[2:3], v[10:11], -v[12:13]
	v_add_f64 v[12:13], v[38:39], v[169:170]
	v_add_f64 v[38:39], v[40:41], v[175:176]
	ds_load_b128 v[2:5], v1 offset:1280
	v_fma_f64 v[169:170], v[8:9], v[14:15], v[171:172]
	v_fma_f64 v[14:15], v[6:7], v[14:15], -v[16:17]
	ds_load_b128 v[6:9], v1 offset:1296
	s_waitcnt vmcnt(4) lgkmcnt(1)
	v_mul_f64 v[40:41], v[2:3], v[20:21]
	v_mul_f64 v[20:21], v[4:5], v[20:21]
	v_add_f64 v[10:11], v[12:13], v[10:11]
	v_add_f64 v[12:13], v[38:39], v[173:174]
	s_waitcnt vmcnt(3) lgkmcnt(0)
	v_mul_f64 v[16:17], v[6:7], v[24:25]
	v_mul_f64 v[24:25], v[8:9], v[24:25]
	v_fma_f64 v[38:39], v[4:5], v[18:19], v[40:41]
	v_fma_f64 v[18:19], v[2:3], v[18:19], -v[20:21]
	ds_load_b128 v[2:5], v1 offset:1312
	v_add_f64 v[10:11], v[10:11], v[14:15]
	v_add_f64 v[12:13], v[12:13], v[169:170]
	v_fma_f64 v[16:17], v[8:9], v[22:23], v[16:17]
	v_fma_f64 v[22:23], v[6:7], v[22:23], -v[24:25]
	ds_load_b128 v[6:9], v1 offset:1328
	s_waitcnt vmcnt(2) lgkmcnt(1)
	v_mul_f64 v[14:15], v[2:3], v[28:29]
	v_mul_f64 v[20:21], v[4:5], v[28:29]
	s_waitcnt vmcnt(1) lgkmcnt(0)
	v_mul_f64 v[24:25], v[8:9], v[32:33]
	v_add_f64 v[10:11], v[10:11], v[18:19]
	v_add_f64 v[12:13], v[12:13], v[38:39]
	v_mul_f64 v[18:19], v[6:7], v[32:33]
	v_fma_f64 v[4:5], v[4:5], v[26:27], v[14:15]
	v_fma_f64 v[1:2], v[2:3], v[26:27], -v[20:21]
	v_fma_f64 v[6:7], v[6:7], v[30:31], -v[24:25]
	v_add_f64 v[10:11], v[10:11], v[22:23]
	v_add_f64 v[12:13], v[12:13], v[16:17]
	v_fma_f64 v[8:9], v[8:9], v[30:31], v[18:19]
	s_delay_alu instid0(VALU_DEP_3) | instskip(NEXT) | instid1(VALU_DEP_3)
	v_add_f64 v[1:2], v[10:11], v[1:2]
	v_add_f64 v[3:4], v[12:13], v[4:5]
	s_delay_alu instid0(VALU_DEP_2) | instskip(NEXT) | instid1(VALU_DEP_2)
	v_add_f64 v[1:2], v[1:2], v[6:7]
	v_add_f64 v[3:4], v[3:4], v[8:9]
	s_waitcnt vmcnt(0)
	s_delay_alu instid0(VALU_DEP_2) | instskip(NEXT) | instid1(VALU_DEP_2)
	v_add_f64 v[1:2], v[34:35], -v[1:2]
	v_add_f64 v[3:4], v[36:37], -v[3:4]
	scratch_store_b128 off, v[1:4], off offset:48
	v_cmpx_lt_u32_e32 2, v126
	s_cbranch_execz .LBB105_261
; %bb.260:
	scratch_load_b128 v[1:4], v148, off
	v_mov_b32_e32 v5, 0
	s_delay_alu instid0(VALU_DEP_1)
	v_mov_b32_e32 v6, v5
	v_mov_b32_e32 v7, v5
	;; [unrolled: 1-line block ×3, first 2 shown]
	scratch_store_b128 off, v[5:8], off offset:32
	s_waitcnt vmcnt(0)
	ds_store_b128 v168, v[1:4]
.LBB105_261:
	s_or_b32 exec_lo, exec_lo, s2
	s_waitcnt lgkmcnt(0)
	s_waitcnt_vscnt null, 0x0
	s_barrier
	buffer_gl0_inv
	s_clause 0x7
	scratch_load_b128 v[2:5], off, off offset:48
	scratch_load_b128 v[6:9], off, off offset:64
	;; [unrolled: 1-line block ×8, first 2 shown]
	v_mov_b32_e32 v1, 0
	s_clause 0x1
	scratch_load_b128 v[34:37], off, off offset:176
	scratch_load_b128 v[173:176], off, off offset:192
	s_mov_b32 s2, exec_lo
	ds_load_b128 v[38:41], v1 offset:720
	ds_load_b128 v[169:172], v1 offset:736
	s_waitcnt vmcnt(9) lgkmcnt(1)
	v_mul_f64 v[177:178], v[40:41], v[4:5]
	v_mul_f64 v[4:5], v[38:39], v[4:5]
	s_waitcnt vmcnt(8) lgkmcnt(0)
	v_mul_f64 v[179:180], v[169:170], v[8:9]
	v_mul_f64 v[8:9], v[171:172], v[8:9]
	s_delay_alu instid0(VALU_DEP_4) | instskip(NEXT) | instid1(VALU_DEP_4)
	v_fma_f64 v[177:178], v[38:39], v[2:3], -v[177:178]
	v_fma_f64 v[181:182], v[40:41], v[2:3], v[4:5]
	ds_load_b128 v[2:5], v1 offset:752
	scratch_load_b128 v[38:41], off, off offset:208
	v_fma_f64 v[179:180], v[171:172], v[6:7], v[179:180]
	v_fma_f64 v[185:186], v[169:170], v[6:7], -v[8:9]
	scratch_load_b128 v[169:172], off, off offset:224
	ds_load_b128 v[6:9], v1 offset:768
	s_waitcnt vmcnt(9) lgkmcnt(1)
	v_mul_f64 v[183:184], v[2:3], v[12:13]
	v_mul_f64 v[12:13], v[4:5], v[12:13]
	s_waitcnt vmcnt(8) lgkmcnt(0)
	v_mul_f64 v[187:188], v[6:7], v[16:17]
	v_mul_f64 v[16:17], v[8:9], v[16:17]
	v_add_f64 v[177:178], v[177:178], 0
	v_add_f64 v[181:182], v[181:182], 0
	v_fma_f64 v[183:184], v[4:5], v[10:11], v[183:184]
	v_fma_f64 v[189:190], v[2:3], v[10:11], -v[12:13]
	ds_load_b128 v[2:5], v1 offset:784
	scratch_load_b128 v[10:13], off, off offset:240
	v_add_f64 v[177:178], v[177:178], v[185:186]
	v_add_f64 v[179:180], v[181:182], v[179:180]
	v_fma_f64 v[185:186], v[8:9], v[14:15], v[187:188]
	v_fma_f64 v[187:188], v[6:7], v[14:15], -v[16:17]
	scratch_load_b128 v[14:17], off, off offset:256
	ds_load_b128 v[6:9], v1 offset:800
	s_waitcnt vmcnt(9) lgkmcnt(1)
	v_mul_f64 v[181:182], v[2:3], v[20:21]
	v_mul_f64 v[20:21], v[4:5], v[20:21]
	v_add_f64 v[177:178], v[177:178], v[189:190]
	v_add_f64 v[179:180], v[179:180], v[183:184]
	s_waitcnt vmcnt(8) lgkmcnt(0)
	v_mul_f64 v[183:184], v[6:7], v[24:25]
	v_mul_f64 v[24:25], v[8:9], v[24:25]
	v_fma_f64 v[181:182], v[4:5], v[18:19], v[181:182]
	v_fma_f64 v[189:190], v[2:3], v[18:19], -v[20:21]
	ds_load_b128 v[2:5], v1 offset:816
	scratch_load_b128 v[18:21], off, off offset:272
	v_add_f64 v[177:178], v[177:178], v[187:188]
	v_add_f64 v[179:180], v[179:180], v[185:186]
	v_fma_f64 v[183:184], v[8:9], v[22:23], v[183:184]
	v_fma_f64 v[187:188], v[6:7], v[22:23], -v[24:25]
	scratch_load_b128 v[22:25], off, off offset:288
	ds_load_b128 v[6:9], v1 offset:832
	s_waitcnt vmcnt(9) lgkmcnt(1)
	v_mul_f64 v[185:186], v[2:3], v[28:29]
	v_mul_f64 v[28:29], v[4:5], v[28:29]
	v_add_f64 v[177:178], v[177:178], v[189:190]
	v_add_f64 v[179:180], v[179:180], v[181:182]
	s_waitcnt vmcnt(8) lgkmcnt(0)
	v_mul_f64 v[181:182], v[6:7], v[32:33]
	v_mul_f64 v[32:33], v[8:9], v[32:33]
	;; [unrolled: 18-line block ×10, first 2 shown]
	v_fma_f64 v[181:182], v[4:5], v[10:11], v[181:182]
	v_fma_f64 v[189:190], v[2:3], v[10:11], -v[12:13]
	ds_load_b128 v[2:5], v1 offset:1104
	scratch_load_b128 v[10:13], off, off offset:560
	v_add_f64 v[177:178], v[177:178], v[187:188]
	v_add_f64 v[179:180], v[179:180], v[185:186]
	v_fma_f64 v[183:184], v[8:9], v[14:15], v[183:184]
	v_fma_f64 v[187:188], v[6:7], v[14:15], -v[16:17]
	ds_load_b128 v[6:9], v1 offset:1120
	s_waitcnt vmcnt(8) lgkmcnt(1)
	v_mul_f64 v[185:186], v[2:3], v[20:21]
	v_mul_f64 v[20:21], v[4:5], v[20:21]
	scratch_load_b128 v[14:17], off, off offset:576
	v_add_f64 v[177:178], v[177:178], v[189:190]
	v_add_f64 v[179:180], v[179:180], v[181:182]
	s_waitcnt vmcnt(8) lgkmcnt(0)
	v_mul_f64 v[181:182], v[6:7], v[24:25]
	v_mul_f64 v[24:25], v[8:9], v[24:25]
	v_fma_f64 v[185:186], v[4:5], v[18:19], v[185:186]
	v_fma_f64 v[189:190], v[2:3], v[18:19], -v[20:21]
	scratch_load_b128 v[18:21], off, off offset:592
	ds_load_b128 v[2:5], v1 offset:1136
	v_add_f64 v[177:178], v[177:178], v[187:188]
	v_add_f64 v[179:180], v[179:180], v[183:184]
	v_fma_f64 v[181:182], v[8:9], v[22:23], v[181:182]
	v_fma_f64 v[187:188], v[6:7], v[22:23], -v[24:25]
	ds_load_b128 v[6:9], v1 offset:1152
	s_waitcnt vmcnt(8) lgkmcnt(1)
	v_mul_f64 v[183:184], v[2:3], v[28:29]
	v_mul_f64 v[28:29], v[4:5], v[28:29]
	scratch_load_b128 v[22:25], off, off offset:608
	v_add_f64 v[177:178], v[177:178], v[189:190]
	v_add_f64 v[179:180], v[179:180], v[185:186]
	s_waitcnt vmcnt(8) lgkmcnt(0)
	v_mul_f64 v[185:186], v[6:7], v[32:33]
	v_mul_f64 v[32:33], v[8:9], v[32:33]
	v_fma_f64 v[183:184], v[4:5], v[26:27], v[183:184]
	v_fma_f64 v[189:190], v[2:3], v[26:27], -v[28:29]
	scratch_load_b128 v[26:29], off, off offset:624
	ds_load_b128 v[2:5], v1 offset:1168
	v_add_f64 v[177:178], v[177:178], v[187:188]
	v_add_f64 v[179:180], v[179:180], v[181:182]
	v_fma_f64 v[185:186], v[8:9], v[30:31], v[185:186]
	v_fma_f64 v[187:188], v[6:7], v[30:31], -v[32:33]
	ds_load_b128 v[6:9], v1 offset:1184
	s_waitcnt vmcnt(8) lgkmcnt(1)
	v_mul_f64 v[181:182], v[2:3], v[36:37]
	v_mul_f64 v[36:37], v[4:5], v[36:37]
	scratch_load_b128 v[30:33], off, off offset:640
	v_add_f64 v[177:178], v[177:178], v[189:190]
	v_add_f64 v[179:180], v[179:180], v[183:184]
	s_waitcnt vmcnt(8) lgkmcnt(0)
	v_mul_f64 v[183:184], v[6:7], v[175:176]
	v_mul_f64 v[175:176], v[8:9], v[175:176]
	v_fma_f64 v[181:182], v[4:5], v[34:35], v[181:182]
	v_fma_f64 v[189:190], v[2:3], v[34:35], -v[36:37]
	scratch_load_b128 v[34:37], off, off offset:656
	ds_load_b128 v[2:5], v1 offset:1200
	v_add_f64 v[177:178], v[177:178], v[187:188]
	v_add_f64 v[179:180], v[179:180], v[185:186]
	v_fma_f64 v[183:184], v[8:9], v[173:174], v[183:184]
	v_fma_f64 v[173:174], v[6:7], v[173:174], -v[175:176]
	ds_load_b128 v[6:9], v1 offset:1216
	s_waitcnt vmcnt(8) lgkmcnt(1)
	v_mul_f64 v[185:186], v[2:3], v[40:41]
	v_mul_f64 v[40:41], v[4:5], v[40:41]
	v_add_f64 v[175:176], v[177:178], v[189:190]
	v_add_f64 v[177:178], v[179:180], v[181:182]
	s_waitcnt vmcnt(7) lgkmcnt(0)
	v_mul_f64 v[179:180], v[6:7], v[171:172]
	v_mul_f64 v[171:172], v[8:9], v[171:172]
	v_fma_f64 v[181:182], v[4:5], v[38:39], v[185:186]
	v_fma_f64 v[38:39], v[2:3], v[38:39], -v[40:41]
	ds_load_b128 v[2:5], v1 offset:1232
	v_add_f64 v[40:41], v[175:176], v[173:174]
	v_add_f64 v[173:174], v[177:178], v[183:184]
	v_fma_f64 v[177:178], v[8:9], v[169:170], v[179:180]
	v_fma_f64 v[169:170], v[6:7], v[169:170], -v[171:172]
	ds_load_b128 v[6:9], v1 offset:1248
	s_waitcnt vmcnt(5) lgkmcnt(0)
	v_mul_f64 v[179:180], v[6:7], v[16:17]
	v_mul_f64 v[16:17], v[8:9], v[16:17]
	v_add_f64 v[171:172], v[40:41], v[38:39]
	v_add_f64 v[173:174], v[173:174], v[181:182]
	scratch_load_b128 v[38:41], off, off offset:32
	v_mul_f64 v[175:176], v[2:3], v[12:13]
	v_mul_f64 v[12:13], v[4:5], v[12:13]
	s_delay_alu instid0(VALU_DEP_2) | instskip(NEXT) | instid1(VALU_DEP_2)
	v_fma_f64 v[175:176], v[4:5], v[10:11], v[175:176]
	v_fma_f64 v[10:11], v[2:3], v[10:11], -v[12:13]
	v_add_f64 v[12:13], v[171:172], v[169:170]
	v_add_f64 v[169:170], v[173:174], v[177:178]
	ds_load_b128 v[2:5], v1 offset:1264
	v_fma_f64 v[173:174], v[8:9], v[14:15], v[179:180]
	v_fma_f64 v[14:15], v[6:7], v[14:15], -v[16:17]
	ds_load_b128 v[6:9], v1 offset:1280
	s_waitcnt vmcnt(5) lgkmcnt(1)
	v_mul_f64 v[171:172], v[2:3], v[20:21]
	v_mul_f64 v[20:21], v[4:5], v[20:21]
	s_waitcnt vmcnt(4) lgkmcnt(0)
	v_mul_f64 v[16:17], v[6:7], v[24:25]
	v_mul_f64 v[24:25], v[8:9], v[24:25]
	v_add_f64 v[10:11], v[12:13], v[10:11]
	v_add_f64 v[12:13], v[169:170], v[175:176]
	v_fma_f64 v[169:170], v[4:5], v[18:19], v[171:172]
	v_fma_f64 v[18:19], v[2:3], v[18:19], -v[20:21]
	ds_load_b128 v[2:5], v1 offset:1296
	v_fma_f64 v[16:17], v[8:9], v[22:23], v[16:17]
	v_fma_f64 v[22:23], v[6:7], v[22:23], -v[24:25]
	ds_load_b128 v[6:9], v1 offset:1312
	v_add_f64 v[10:11], v[10:11], v[14:15]
	v_add_f64 v[12:13], v[12:13], v[173:174]
	s_waitcnt vmcnt(3) lgkmcnt(1)
	v_mul_f64 v[14:15], v[2:3], v[28:29]
	v_mul_f64 v[20:21], v[4:5], v[28:29]
	s_waitcnt vmcnt(2) lgkmcnt(0)
	v_mul_f64 v[24:25], v[8:9], v[32:33]
	v_add_f64 v[10:11], v[10:11], v[18:19]
	v_add_f64 v[12:13], v[12:13], v[169:170]
	v_mul_f64 v[18:19], v[6:7], v[32:33]
	v_fma_f64 v[14:15], v[4:5], v[26:27], v[14:15]
	v_fma_f64 v[20:21], v[2:3], v[26:27], -v[20:21]
	ds_load_b128 v[2:5], v1 offset:1328
	v_fma_f64 v[6:7], v[6:7], v[30:31], -v[24:25]
	v_add_f64 v[10:11], v[10:11], v[22:23]
	v_add_f64 v[12:13], v[12:13], v[16:17]
	s_waitcnt vmcnt(1) lgkmcnt(0)
	v_mul_f64 v[16:17], v[2:3], v[36:37]
	v_mul_f64 v[22:23], v[4:5], v[36:37]
	v_fma_f64 v[8:9], v[8:9], v[30:31], v[18:19]
	v_add_f64 v[10:11], v[10:11], v[20:21]
	v_add_f64 v[12:13], v[12:13], v[14:15]
	v_fma_f64 v[4:5], v[4:5], v[34:35], v[16:17]
	v_fma_f64 v[2:3], v[2:3], v[34:35], -v[22:23]
	s_delay_alu instid0(VALU_DEP_4) | instskip(NEXT) | instid1(VALU_DEP_4)
	v_add_f64 v[6:7], v[10:11], v[6:7]
	v_add_f64 v[8:9], v[12:13], v[8:9]
	s_delay_alu instid0(VALU_DEP_2) | instskip(NEXT) | instid1(VALU_DEP_2)
	v_add_f64 v[2:3], v[6:7], v[2:3]
	v_add_f64 v[4:5], v[8:9], v[4:5]
	s_waitcnt vmcnt(0)
	s_delay_alu instid0(VALU_DEP_2) | instskip(NEXT) | instid1(VALU_DEP_2)
	v_add_f64 v[2:3], v[38:39], -v[2:3]
	v_add_f64 v[4:5], v[40:41], -v[4:5]
	scratch_store_b128 off, v[2:5], off offset:32
	v_cmpx_lt_u32_e32 1, v126
	s_cbranch_execz .LBB105_263
; %bb.262:
	scratch_load_b128 v[5:8], v150, off
	v_mov_b32_e32 v2, v1
	v_mov_b32_e32 v3, v1
	;; [unrolled: 1-line block ×3, first 2 shown]
	scratch_store_b128 off, v[1:4], off offset:16
	s_waitcnt vmcnt(0)
	ds_store_b128 v168, v[5:8]
.LBB105_263:
	s_or_b32 exec_lo, exec_lo, s2
	s_waitcnt lgkmcnt(0)
	s_waitcnt_vscnt null, 0x0
	s_barrier
	buffer_gl0_inv
	s_clause 0x7
	scratch_load_b128 v[2:5], off, off offset:32
	scratch_load_b128 v[6:9], off, off offset:48
	;; [unrolled: 1-line block ×8, first 2 shown]
	ds_load_b128 v[38:41], v1 offset:704
	ds_load_b128 v[169:172], v1 offset:720
	s_clause 0x1
	scratch_load_b128 v[34:37], off, off offset:160
	scratch_load_b128 v[173:176], off, off offset:176
	s_mov_b32 s2, exec_lo
	s_waitcnt vmcnt(9) lgkmcnt(1)
	v_mul_f64 v[177:178], v[40:41], v[4:5]
	v_mul_f64 v[4:5], v[38:39], v[4:5]
	s_waitcnt vmcnt(8) lgkmcnt(0)
	v_mul_f64 v[179:180], v[169:170], v[8:9]
	v_mul_f64 v[8:9], v[171:172], v[8:9]
	s_delay_alu instid0(VALU_DEP_4) | instskip(NEXT) | instid1(VALU_DEP_4)
	v_fma_f64 v[177:178], v[38:39], v[2:3], -v[177:178]
	v_fma_f64 v[181:182], v[40:41], v[2:3], v[4:5]
	ds_load_b128 v[2:5], v1 offset:736
	scratch_load_b128 v[38:41], off, off offset:192
	v_fma_f64 v[179:180], v[171:172], v[6:7], v[179:180]
	v_fma_f64 v[185:186], v[169:170], v[6:7], -v[8:9]
	scratch_load_b128 v[169:172], off, off offset:208
	ds_load_b128 v[6:9], v1 offset:752
	s_waitcnt vmcnt(9) lgkmcnt(1)
	v_mul_f64 v[183:184], v[2:3], v[12:13]
	v_mul_f64 v[12:13], v[4:5], v[12:13]
	s_waitcnt vmcnt(8) lgkmcnt(0)
	v_mul_f64 v[187:188], v[6:7], v[16:17]
	v_mul_f64 v[16:17], v[8:9], v[16:17]
	v_add_f64 v[177:178], v[177:178], 0
	v_add_f64 v[181:182], v[181:182], 0
	v_fma_f64 v[183:184], v[4:5], v[10:11], v[183:184]
	v_fma_f64 v[189:190], v[2:3], v[10:11], -v[12:13]
	ds_load_b128 v[2:5], v1 offset:768
	scratch_load_b128 v[10:13], off, off offset:224
	v_add_f64 v[177:178], v[177:178], v[185:186]
	v_add_f64 v[179:180], v[181:182], v[179:180]
	v_fma_f64 v[185:186], v[8:9], v[14:15], v[187:188]
	v_fma_f64 v[187:188], v[6:7], v[14:15], -v[16:17]
	scratch_load_b128 v[14:17], off, off offset:240
	ds_load_b128 v[6:9], v1 offset:784
	s_waitcnt vmcnt(9) lgkmcnt(1)
	v_mul_f64 v[181:182], v[2:3], v[20:21]
	v_mul_f64 v[20:21], v[4:5], v[20:21]
	v_add_f64 v[177:178], v[177:178], v[189:190]
	v_add_f64 v[179:180], v[179:180], v[183:184]
	s_waitcnt vmcnt(8) lgkmcnt(0)
	v_mul_f64 v[183:184], v[6:7], v[24:25]
	v_mul_f64 v[24:25], v[8:9], v[24:25]
	v_fma_f64 v[181:182], v[4:5], v[18:19], v[181:182]
	v_fma_f64 v[189:190], v[2:3], v[18:19], -v[20:21]
	ds_load_b128 v[2:5], v1 offset:800
	scratch_load_b128 v[18:21], off, off offset:256
	v_add_f64 v[177:178], v[177:178], v[187:188]
	v_add_f64 v[179:180], v[179:180], v[185:186]
	v_fma_f64 v[183:184], v[8:9], v[22:23], v[183:184]
	v_fma_f64 v[187:188], v[6:7], v[22:23], -v[24:25]
	scratch_load_b128 v[22:25], off, off offset:272
	ds_load_b128 v[6:9], v1 offset:816
	s_waitcnt vmcnt(9) lgkmcnt(1)
	v_mul_f64 v[185:186], v[2:3], v[28:29]
	v_mul_f64 v[28:29], v[4:5], v[28:29]
	v_add_f64 v[177:178], v[177:178], v[189:190]
	v_add_f64 v[179:180], v[179:180], v[181:182]
	s_waitcnt vmcnt(8) lgkmcnt(0)
	v_mul_f64 v[181:182], v[6:7], v[32:33]
	v_mul_f64 v[32:33], v[8:9], v[32:33]
	;; [unrolled: 18-line block ×5, first 2 shown]
	v_fma_f64 v[185:186], v[4:5], v[10:11], v[185:186]
	v_fma_f64 v[189:190], v[2:3], v[10:11], -v[12:13]
	scratch_load_b128 v[10:13], off, off offset:384
	ds_load_b128 v[2:5], v1 offset:928
	v_add_f64 v[177:178], v[177:178], v[187:188]
	v_add_f64 v[179:180], v[179:180], v[183:184]
	v_fma_f64 v[181:182], v[8:9], v[14:15], v[181:182]
	v_fma_f64 v[187:188], v[6:7], v[14:15], -v[16:17]
	ds_load_b128 v[6:9], v1 offset:944
	s_waitcnt vmcnt(8) lgkmcnt(1)
	v_mul_f64 v[183:184], v[2:3], v[20:21]
	v_mul_f64 v[20:21], v[4:5], v[20:21]
	scratch_load_b128 v[14:17], off, off offset:400
	v_add_f64 v[177:178], v[177:178], v[189:190]
	v_add_f64 v[179:180], v[179:180], v[185:186]
	s_waitcnt vmcnt(8) lgkmcnt(0)
	v_mul_f64 v[185:186], v[6:7], v[24:25]
	v_mul_f64 v[24:25], v[8:9], v[24:25]
	v_fma_f64 v[183:184], v[4:5], v[18:19], v[183:184]
	v_fma_f64 v[189:190], v[2:3], v[18:19], -v[20:21]
	ds_load_b128 v[2:5], v1 offset:960
	scratch_load_b128 v[18:21], off, off offset:416
	v_add_f64 v[177:178], v[177:178], v[187:188]
	v_add_f64 v[179:180], v[179:180], v[181:182]
	v_fma_f64 v[185:186], v[8:9], v[22:23], v[185:186]
	v_fma_f64 v[187:188], v[6:7], v[22:23], -v[24:25]
	scratch_load_b128 v[22:25], off, off offset:432
	ds_load_b128 v[6:9], v1 offset:976
	s_waitcnt vmcnt(9) lgkmcnt(1)
	v_mul_f64 v[181:182], v[2:3], v[28:29]
	v_mul_f64 v[28:29], v[4:5], v[28:29]
	v_add_f64 v[177:178], v[177:178], v[189:190]
	v_add_f64 v[179:180], v[179:180], v[183:184]
	s_waitcnt vmcnt(8) lgkmcnt(0)
	v_mul_f64 v[183:184], v[6:7], v[32:33]
	v_mul_f64 v[32:33], v[8:9], v[32:33]
	v_fma_f64 v[181:182], v[4:5], v[26:27], v[181:182]
	v_fma_f64 v[189:190], v[2:3], v[26:27], -v[28:29]
	ds_load_b128 v[2:5], v1 offset:992
	scratch_load_b128 v[26:29], off, off offset:448
	v_add_f64 v[177:178], v[177:178], v[187:188]
	v_add_f64 v[179:180], v[179:180], v[185:186]
	v_fma_f64 v[183:184], v[8:9], v[30:31], v[183:184]
	v_fma_f64 v[187:188], v[6:7], v[30:31], -v[32:33]
	scratch_load_b128 v[30:33], off, off offset:464
	ds_load_b128 v[6:9], v1 offset:1008
	s_waitcnt vmcnt(9) lgkmcnt(1)
	v_mul_f64 v[185:186], v[2:3], v[36:37]
	v_mul_f64 v[36:37], v[4:5], v[36:37]
	;; [unrolled: 18-line block ×3, first 2 shown]
	v_add_f64 v[177:178], v[177:178], v[189:190]
	v_add_f64 v[179:180], v[179:180], v[185:186]
	s_waitcnt vmcnt(8) lgkmcnt(0)
	v_mul_f64 v[185:186], v[6:7], v[171:172]
	v_mul_f64 v[171:172], v[8:9], v[171:172]
	v_fma_f64 v[183:184], v[4:5], v[38:39], v[183:184]
	v_fma_f64 v[189:190], v[2:3], v[38:39], -v[40:41]
	ds_load_b128 v[2:5], v1 offset:1056
	scratch_load_b128 v[38:41], off, off offset:512
	v_add_f64 v[177:178], v[177:178], v[187:188]
	v_add_f64 v[179:180], v[179:180], v[181:182]
	v_fma_f64 v[185:186], v[8:9], v[169:170], v[185:186]
	v_fma_f64 v[187:188], v[6:7], v[169:170], -v[171:172]
	ds_load_b128 v[6:9], v1 offset:1072
	s_waitcnt vmcnt(8) lgkmcnt(1)
	v_mul_f64 v[181:182], v[2:3], v[12:13]
	v_mul_f64 v[12:13], v[4:5], v[12:13]
	scratch_load_b128 v[169:172], off, off offset:528
	v_add_f64 v[177:178], v[177:178], v[189:190]
	v_add_f64 v[179:180], v[179:180], v[183:184]
	s_waitcnt vmcnt(8) lgkmcnt(0)
	v_mul_f64 v[183:184], v[6:7], v[16:17]
	v_mul_f64 v[16:17], v[8:9], v[16:17]
	v_fma_f64 v[181:182], v[4:5], v[10:11], v[181:182]
	v_fma_f64 v[189:190], v[2:3], v[10:11], -v[12:13]
	scratch_load_b128 v[10:13], off, off offset:544
	ds_load_b128 v[2:5], v1 offset:1088
	v_add_f64 v[177:178], v[177:178], v[187:188]
	v_add_f64 v[179:180], v[179:180], v[185:186]
	v_fma_f64 v[183:184], v[8:9], v[14:15], v[183:184]
	v_fma_f64 v[187:188], v[6:7], v[14:15], -v[16:17]
	ds_load_b128 v[6:9], v1 offset:1104
	s_waitcnt vmcnt(8) lgkmcnt(1)
	v_mul_f64 v[185:186], v[2:3], v[20:21]
	v_mul_f64 v[20:21], v[4:5], v[20:21]
	scratch_load_b128 v[14:17], off, off offset:560
	v_add_f64 v[177:178], v[177:178], v[189:190]
	v_add_f64 v[179:180], v[179:180], v[181:182]
	s_waitcnt vmcnt(8) lgkmcnt(0)
	v_mul_f64 v[181:182], v[6:7], v[24:25]
	v_mul_f64 v[24:25], v[8:9], v[24:25]
	v_fma_f64 v[185:186], v[4:5], v[18:19], v[185:186]
	v_fma_f64 v[189:190], v[2:3], v[18:19], -v[20:21]
	scratch_load_b128 v[18:21], off, off offset:576
	ds_load_b128 v[2:5], v1 offset:1120
	;; [unrolled: 18-line block ×4, first 2 shown]
	v_add_f64 v[177:178], v[177:178], v[187:188]
	v_add_f64 v[179:180], v[179:180], v[185:186]
	v_fma_f64 v[183:184], v[8:9], v[173:174], v[183:184]
	v_fma_f64 v[187:188], v[6:7], v[173:174], -v[175:176]
	ds_load_b128 v[6:9], v1 offset:1200
	s_waitcnt vmcnt(8) lgkmcnt(1)
	v_mul_f64 v[185:186], v[2:3], v[40:41]
	v_mul_f64 v[40:41], v[4:5], v[40:41]
	scratch_load_b128 v[173:176], off, off offset:656
	v_add_f64 v[177:178], v[177:178], v[189:190]
	v_add_f64 v[179:180], v[179:180], v[181:182]
	v_fma_f64 v[185:186], v[4:5], v[38:39], v[185:186]
	v_fma_f64 v[38:39], v[2:3], v[38:39], -v[40:41]
	ds_load_b128 v[2:5], v1 offset:1216
	v_add_f64 v[40:41], v[177:178], v[187:188]
	v_add_f64 v[177:178], v[179:180], v[183:184]
	s_waitcnt vmcnt(7) lgkmcnt(0)
	v_mul_f64 v[179:180], v[2:3], v[12:13]
	v_mul_f64 v[12:13], v[4:5], v[12:13]
	s_delay_alu instid0(VALU_DEP_4) | instskip(NEXT) | instid1(VALU_DEP_4)
	v_add_f64 v[38:39], v[40:41], v[38:39]
	v_add_f64 v[40:41], v[177:178], v[185:186]
	s_delay_alu instid0(VALU_DEP_4) | instskip(NEXT) | instid1(VALU_DEP_4)
	v_fma_f64 v[177:178], v[4:5], v[10:11], v[179:180]
	v_fma_f64 v[179:180], v[2:3], v[10:11], -v[12:13]
	scratch_load_b128 v[10:13], off, off offset:16
	v_mul_f64 v[181:182], v[6:7], v[171:172]
	v_mul_f64 v[171:172], v[8:9], v[171:172]
	ds_load_b128 v[2:5], v1 offset:1248
	v_fma_f64 v[181:182], v[8:9], v[169:170], v[181:182]
	v_fma_f64 v[169:170], v[6:7], v[169:170], -v[171:172]
	ds_load_b128 v[6:9], v1 offset:1232
	s_waitcnt vmcnt(7) lgkmcnt(0)
	v_mul_f64 v[171:172], v[6:7], v[16:17]
	v_mul_f64 v[16:17], v[8:9], v[16:17]
	v_add_f64 v[40:41], v[40:41], v[181:182]
	v_add_f64 v[38:39], v[38:39], v[169:170]
	s_waitcnt vmcnt(6)
	v_mul_f64 v[169:170], v[2:3], v[20:21]
	v_mul_f64 v[20:21], v[4:5], v[20:21]
	v_fma_f64 v[171:172], v[8:9], v[14:15], v[171:172]
	v_fma_f64 v[14:15], v[6:7], v[14:15], -v[16:17]
	ds_load_b128 v[6:9], v1 offset:1264
	v_add_f64 v[16:17], v[38:39], v[179:180]
	v_add_f64 v[38:39], v[40:41], v[177:178]
	v_fma_f64 v[169:170], v[4:5], v[18:19], v[169:170]
	v_fma_f64 v[18:19], v[2:3], v[18:19], -v[20:21]
	ds_load_b128 v[2:5], v1 offset:1280
	s_waitcnt vmcnt(5) lgkmcnt(1)
	v_mul_f64 v[40:41], v[6:7], v[24:25]
	v_mul_f64 v[24:25], v[8:9], v[24:25]
	s_waitcnt vmcnt(4) lgkmcnt(0)
	v_mul_f64 v[20:21], v[2:3], v[28:29]
	v_mul_f64 v[28:29], v[4:5], v[28:29]
	v_add_f64 v[14:15], v[16:17], v[14:15]
	v_add_f64 v[16:17], v[38:39], v[171:172]
	v_fma_f64 v[38:39], v[8:9], v[22:23], v[40:41]
	v_fma_f64 v[22:23], v[6:7], v[22:23], -v[24:25]
	ds_load_b128 v[6:9], v1 offset:1296
	v_fma_f64 v[20:21], v[4:5], v[26:27], v[20:21]
	v_fma_f64 v[26:27], v[2:3], v[26:27], -v[28:29]
	ds_load_b128 v[2:5], v1 offset:1312
	s_waitcnt vmcnt(3) lgkmcnt(1)
	v_mul_f64 v[24:25], v[8:9], v[32:33]
	v_add_f64 v[14:15], v[14:15], v[18:19]
	v_add_f64 v[16:17], v[16:17], v[169:170]
	v_mul_f64 v[18:19], v[6:7], v[32:33]
	s_waitcnt vmcnt(2) lgkmcnt(0)
	v_mul_f64 v[28:29], v[4:5], v[36:37]
	v_fma_f64 v[24:25], v[6:7], v[30:31], -v[24:25]
	v_add_f64 v[14:15], v[14:15], v[22:23]
	v_add_f64 v[16:17], v[16:17], v[38:39]
	v_mul_f64 v[22:23], v[2:3], v[36:37]
	v_fma_f64 v[18:19], v[8:9], v[30:31], v[18:19]
	ds_load_b128 v[6:9], v1 offset:1328
	v_fma_f64 v[1:2], v[2:3], v[34:35], -v[28:29]
	v_add_f64 v[14:15], v[14:15], v[26:27]
	v_add_f64 v[16:17], v[16:17], v[20:21]
	s_waitcnt vmcnt(1) lgkmcnt(0)
	v_mul_f64 v[20:21], v[6:7], v[175:176]
	v_mul_f64 v[26:27], v[8:9], v[175:176]
	v_fma_f64 v[4:5], v[4:5], v[34:35], v[22:23]
	v_add_f64 v[14:15], v[14:15], v[24:25]
	v_add_f64 v[16:17], v[16:17], v[18:19]
	v_fma_f64 v[8:9], v[8:9], v[173:174], v[20:21]
	v_fma_f64 v[6:7], v[6:7], v[173:174], -v[26:27]
	s_delay_alu instid0(VALU_DEP_4) | instskip(NEXT) | instid1(VALU_DEP_4)
	v_add_f64 v[1:2], v[14:15], v[1:2]
	v_add_f64 v[3:4], v[16:17], v[4:5]
	s_delay_alu instid0(VALU_DEP_2) | instskip(NEXT) | instid1(VALU_DEP_2)
	v_add_f64 v[1:2], v[1:2], v[6:7]
	v_add_f64 v[3:4], v[3:4], v[8:9]
	s_waitcnt vmcnt(0)
	s_delay_alu instid0(VALU_DEP_2) | instskip(NEXT) | instid1(VALU_DEP_2)
	v_add_f64 v[1:2], v[10:11], -v[1:2]
	v_add_f64 v[3:4], v[12:13], -v[3:4]
	scratch_store_b128 off, v[1:4], off offset:16
	v_cmpx_ne_u32_e32 0, v126
	s_cbranch_execz .LBB105_265
; %bb.264:
	scratch_load_b128 v[1:4], off, off
	v_mov_b32_e32 v5, 0
	s_delay_alu instid0(VALU_DEP_1)
	v_mov_b32_e32 v6, v5
	v_mov_b32_e32 v7, v5
	;; [unrolled: 1-line block ×3, first 2 shown]
	scratch_store_b128 off, v[5:8], off
	s_waitcnt vmcnt(0)
	ds_store_b128 v168, v[1:4]
.LBB105_265:
	s_or_b32 exec_lo, exec_lo, s2
	s_waitcnt lgkmcnt(0)
	s_waitcnt_vscnt null, 0x0
	s_barrier
	buffer_gl0_inv
	s_clause 0x7
	scratch_load_b128 v[1:4], off, off offset:16
	scratch_load_b128 v[5:8], off, off offset:32
	;; [unrolled: 1-line block ×8, first 2 shown]
	v_mov_b32_e32 v41, 0
	s_clause 0x1
	scratch_load_b128 v[33:36], off, off offset:144
	scratch_load_b128 v[172:175], off, off offset:160
	s_and_b32 vcc_lo, exec_lo, s14
	ds_load_b128 v[37:40], v41 offset:688
	ds_load_b128 v[168:171], v41 offset:704
	s_waitcnt vmcnt(9) lgkmcnt(1)
	v_mul_f64 v[176:177], v[39:40], v[3:4]
	v_mul_f64 v[3:4], v[37:38], v[3:4]
	s_waitcnt vmcnt(8) lgkmcnt(0)
	v_mul_f64 v[178:179], v[168:169], v[7:8]
	v_mul_f64 v[7:8], v[170:171], v[7:8]
	s_delay_alu instid0(VALU_DEP_4) | instskip(NEXT) | instid1(VALU_DEP_4)
	v_fma_f64 v[176:177], v[37:38], v[1:2], -v[176:177]
	v_fma_f64 v[180:181], v[39:40], v[1:2], v[3:4]
	ds_load_b128 v[1:4], v41 offset:720
	scratch_load_b128 v[37:40], off, off offset:176
	v_fma_f64 v[178:179], v[170:171], v[5:6], v[178:179]
	v_fma_f64 v[184:185], v[168:169], v[5:6], -v[7:8]
	scratch_load_b128 v[168:171], off, off offset:192
	ds_load_b128 v[5:8], v41 offset:736
	s_waitcnt vmcnt(9) lgkmcnt(1)
	v_mul_f64 v[182:183], v[1:2], v[11:12]
	v_mul_f64 v[11:12], v[3:4], v[11:12]
	s_waitcnt vmcnt(8) lgkmcnt(0)
	v_mul_f64 v[186:187], v[5:6], v[15:16]
	v_mul_f64 v[15:16], v[7:8], v[15:16]
	v_add_f64 v[176:177], v[176:177], 0
	v_add_f64 v[180:181], v[180:181], 0
	v_fma_f64 v[182:183], v[3:4], v[9:10], v[182:183]
	v_fma_f64 v[188:189], v[1:2], v[9:10], -v[11:12]
	ds_load_b128 v[1:4], v41 offset:752
	scratch_load_b128 v[9:12], off, off offset:208
	v_add_f64 v[176:177], v[176:177], v[184:185]
	v_add_f64 v[178:179], v[180:181], v[178:179]
	v_fma_f64 v[184:185], v[7:8], v[13:14], v[186:187]
	v_fma_f64 v[186:187], v[5:6], v[13:14], -v[15:16]
	scratch_load_b128 v[13:16], off, off offset:224
	ds_load_b128 v[5:8], v41 offset:768
	s_waitcnt vmcnt(9) lgkmcnt(1)
	v_mul_f64 v[180:181], v[1:2], v[19:20]
	v_mul_f64 v[19:20], v[3:4], v[19:20]
	v_add_f64 v[176:177], v[176:177], v[188:189]
	v_add_f64 v[178:179], v[178:179], v[182:183]
	s_waitcnt vmcnt(8) lgkmcnt(0)
	v_mul_f64 v[182:183], v[5:6], v[23:24]
	v_mul_f64 v[23:24], v[7:8], v[23:24]
	v_fma_f64 v[180:181], v[3:4], v[17:18], v[180:181]
	v_fma_f64 v[188:189], v[1:2], v[17:18], -v[19:20]
	ds_load_b128 v[1:4], v41 offset:784
	scratch_load_b128 v[17:20], off, off offset:240
	v_add_f64 v[176:177], v[176:177], v[186:187]
	v_add_f64 v[178:179], v[178:179], v[184:185]
	v_fma_f64 v[182:183], v[7:8], v[21:22], v[182:183]
	v_fma_f64 v[186:187], v[5:6], v[21:22], -v[23:24]
	scratch_load_b128 v[21:24], off, off offset:256
	ds_load_b128 v[5:8], v41 offset:800
	s_waitcnt vmcnt(9) lgkmcnt(1)
	v_mul_f64 v[184:185], v[1:2], v[27:28]
	v_mul_f64 v[27:28], v[3:4], v[27:28]
	v_add_f64 v[176:177], v[176:177], v[188:189]
	v_add_f64 v[178:179], v[178:179], v[180:181]
	s_waitcnt vmcnt(8) lgkmcnt(0)
	v_mul_f64 v[180:181], v[5:6], v[31:32]
	v_mul_f64 v[31:32], v[7:8], v[31:32]
	;; [unrolled: 18-line block ×11, first 2 shown]
	v_fma_f64 v[184:185], v[3:4], v[17:18], v[184:185]
	v_fma_f64 v[188:189], v[1:2], v[17:18], -v[19:20]
	ds_load_b128 v[1:4], v41 offset:1104
	scratch_load_b128 v[17:20], off, off offset:560
	v_add_f64 v[176:177], v[176:177], v[186:187]
	v_add_f64 v[178:179], v[178:179], v[182:183]
	v_fma_f64 v[180:181], v[7:8], v[21:22], v[180:181]
	v_fma_f64 v[186:187], v[5:6], v[21:22], -v[23:24]
	ds_load_b128 v[5:8], v41 offset:1120
	s_waitcnt vmcnt(8) lgkmcnt(1)
	v_mul_f64 v[182:183], v[1:2], v[27:28]
	v_mul_f64 v[27:28], v[3:4], v[27:28]
	scratch_load_b128 v[21:24], off, off offset:576
	v_add_f64 v[176:177], v[176:177], v[188:189]
	v_add_f64 v[178:179], v[178:179], v[184:185]
	s_waitcnt vmcnt(8) lgkmcnt(0)
	v_mul_f64 v[184:185], v[5:6], v[31:32]
	v_mul_f64 v[31:32], v[7:8], v[31:32]
	v_fma_f64 v[182:183], v[3:4], v[25:26], v[182:183]
	v_fma_f64 v[188:189], v[1:2], v[25:26], -v[27:28]
	scratch_load_b128 v[25:28], off, off offset:592
	ds_load_b128 v[1:4], v41 offset:1136
	v_add_f64 v[176:177], v[176:177], v[186:187]
	v_add_f64 v[178:179], v[178:179], v[180:181]
	v_fma_f64 v[184:185], v[7:8], v[29:30], v[184:185]
	v_fma_f64 v[186:187], v[5:6], v[29:30], -v[31:32]
	ds_load_b128 v[5:8], v41 offset:1152
	s_waitcnt vmcnt(8) lgkmcnt(1)
	v_mul_f64 v[180:181], v[1:2], v[35:36]
	v_mul_f64 v[35:36], v[3:4], v[35:36]
	scratch_load_b128 v[29:32], off, off offset:608
	v_add_f64 v[176:177], v[176:177], v[188:189]
	v_add_f64 v[178:179], v[178:179], v[182:183]
	s_waitcnt vmcnt(8) lgkmcnt(0)
	v_mul_f64 v[182:183], v[5:6], v[174:175]
	v_mul_f64 v[174:175], v[7:8], v[174:175]
	v_fma_f64 v[180:181], v[3:4], v[33:34], v[180:181]
	v_fma_f64 v[188:189], v[1:2], v[33:34], -v[35:36]
	scratch_load_b128 v[33:36], off, off offset:624
	ds_load_b128 v[1:4], v41 offset:1168
	;; [unrolled: 18-line block ×3, first 2 shown]
	v_add_f64 v[176:177], v[176:177], v[186:187]
	v_add_f64 v[178:179], v[178:179], v[182:183]
	v_fma_f64 v[180:181], v[7:8], v[168:169], v[180:181]
	v_fma_f64 v[168:169], v[5:6], v[168:169], -v[170:171]
	ds_load_b128 v[5:8], v41 offset:1216
	s_waitcnt vmcnt(8) lgkmcnt(1)
	v_mul_f64 v[182:183], v[1:2], v[11:12]
	v_mul_f64 v[11:12], v[3:4], v[11:12]
	v_add_f64 v[170:171], v[176:177], v[188:189]
	v_add_f64 v[176:177], v[178:179], v[184:185]
	s_waitcnt vmcnt(7) lgkmcnt(0)
	v_mul_f64 v[178:179], v[5:6], v[15:16]
	v_mul_f64 v[15:16], v[7:8], v[15:16]
	v_fma_f64 v[182:183], v[3:4], v[9:10], v[182:183]
	v_fma_f64 v[9:10], v[1:2], v[9:10], -v[11:12]
	ds_load_b128 v[1:4], v41 offset:1232
	v_add_f64 v[11:12], v[170:171], v[168:169]
	v_add_f64 v[168:169], v[176:177], v[180:181]
	v_fma_f64 v[176:177], v[7:8], v[13:14], v[178:179]
	v_fma_f64 v[13:14], v[5:6], v[13:14], -v[15:16]
	ds_load_b128 v[5:8], v41 offset:1248
	s_waitcnt vmcnt(5) lgkmcnt(0)
	v_mul_f64 v[178:179], v[5:6], v[23:24]
	v_mul_f64 v[23:24], v[7:8], v[23:24]
	v_add_f64 v[15:16], v[11:12], v[9:10]
	v_add_f64 v[168:169], v[168:169], v[182:183]
	scratch_load_b128 v[9:12], off, off
	v_mul_f64 v[170:171], v[1:2], v[19:20]
	v_mul_f64 v[19:20], v[3:4], v[19:20]
	v_add_f64 v[13:14], v[15:16], v[13:14]
	v_add_f64 v[15:16], v[168:169], v[176:177]
	v_fma_f64 v[168:169], v[7:8], v[21:22], v[178:179]
	v_fma_f64 v[170:171], v[3:4], v[17:18], v[170:171]
	v_fma_f64 v[17:18], v[1:2], v[17:18], -v[19:20]
	ds_load_b128 v[1:4], v41 offset:1264
	v_fma_f64 v[21:22], v[5:6], v[21:22], -v[23:24]
	ds_load_b128 v[5:8], v41 offset:1280
	s_waitcnt vmcnt(5) lgkmcnt(1)
	v_mul_f64 v[19:20], v[1:2], v[27:28]
	v_mul_f64 v[27:28], v[3:4], v[27:28]
	s_waitcnt vmcnt(4) lgkmcnt(0)
	v_mul_f64 v[23:24], v[7:8], v[31:32]
	v_add_f64 v[15:16], v[15:16], v[170:171]
	v_add_f64 v[13:14], v[13:14], v[17:18]
	v_mul_f64 v[17:18], v[5:6], v[31:32]
	v_fma_f64 v[19:20], v[3:4], v[25:26], v[19:20]
	v_fma_f64 v[25:26], v[1:2], v[25:26], -v[27:28]
	ds_load_b128 v[1:4], v41 offset:1296
	v_fma_f64 v[23:24], v[5:6], v[29:30], -v[23:24]
	v_add_f64 v[15:16], v[15:16], v[168:169]
	v_add_f64 v[13:14], v[13:14], v[21:22]
	v_fma_f64 v[17:18], v[7:8], v[29:30], v[17:18]
	ds_load_b128 v[5:8], v41 offset:1312
	s_waitcnt vmcnt(3) lgkmcnt(1)
	v_mul_f64 v[21:22], v[1:2], v[35:36]
	v_mul_f64 v[27:28], v[3:4], v[35:36]
	v_add_f64 v[15:16], v[15:16], v[19:20]
	v_add_f64 v[13:14], v[13:14], v[25:26]
	s_waitcnt vmcnt(2) lgkmcnt(0)
	v_mul_f64 v[19:20], v[5:6], v[174:175]
	v_mul_f64 v[25:26], v[7:8], v[174:175]
	v_fma_f64 v[21:22], v[3:4], v[33:34], v[21:22]
	v_fma_f64 v[27:28], v[1:2], v[33:34], -v[27:28]
	ds_load_b128 v[1:4], v41 offset:1328
	v_add_f64 v[15:16], v[15:16], v[17:18]
	v_add_f64 v[13:14], v[13:14], v[23:24]
	s_waitcnt vmcnt(1) lgkmcnt(0)
	v_mul_f64 v[17:18], v[1:2], v[39:40]
	v_mul_f64 v[23:24], v[3:4], v[39:40]
	v_fma_f64 v[7:8], v[7:8], v[172:173], v[19:20]
	v_fma_f64 v[5:6], v[5:6], v[172:173], -v[25:26]
	v_add_f64 v[15:16], v[15:16], v[21:22]
	v_add_f64 v[13:14], v[13:14], v[27:28]
	v_fma_f64 v[3:4], v[3:4], v[37:38], v[17:18]
	v_fma_f64 v[1:2], v[1:2], v[37:38], -v[23:24]
	s_delay_alu instid0(VALU_DEP_4) | instskip(NEXT) | instid1(VALU_DEP_4)
	v_add_f64 v[7:8], v[15:16], v[7:8]
	v_add_f64 v[5:6], v[13:14], v[5:6]
	s_delay_alu instid0(VALU_DEP_2) | instskip(NEXT) | instid1(VALU_DEP_2)
	v_add_f64 v[3:4], v[7:8], v[3:4]
	v_add_f64 v[1:2], v[5:6], v[1:2]
	s_waitcnt vmcnt(0)
	s_delay_alu instid0(VALU_DEP_2) | instskip(NEXT) | instid1(VALU_DEP_2)
	v_add_f64 v[3:4], v[11:12], -v[3:4]
	v_add_f64 v[1:2], v[9:10], -v[1:2]
	scratch_store_b128 off, v[1:4], off
	s_cbranch_vccz .LBB105_349
; %bb.266:
	v_dual_mov_b32 v1, s8 :: v_dual_mov_b32 v2, s9
	s_load_b64 s[0:1], s[0:1], 0x4
	flat_load_b32 v1, v[1:2] offset:160
	v_bfe_u32 v2, v0, 10, 10
	v_bfe_u32 v0, v0, 20, 10
	s_waitcnt lgkmcnt(0)
	s_lshr_b32 s0, s0, 16
	s_delay_alu instid0(VALU_DEP_2) | instskip(SKIP_1) | instid1(SALU_CYCLE_1)
	v_mul_u32_u24_e32 v2, s1, v2
	s_mul_i32 s0, s0, s1
	v_mul_u32_u24_e32 v3, s0, v126
	s_mov_b32 s0, exec_lo
	s_delay_alu instid0(VALU_DEP_1) | instskip(NEXT) | instid1(VALU_DEP_1)
	v_add3_u32 v0, v3, v2, v0
	v_lshl_add_u32 v0, v0, 4, 0x548
	s_waitcnt vmcnt(0)
	v_cmpx_ne_u32_e32 41, v1
	s_cbranch_execz .LBB105_268
; %bb.267:
	v_lshl_add_u32 v9, v1, 4, 0
	s_clause 0x1
	scratch_load_b128 v[1:4], v133, off
	scratch_load_b128 v[5:8], v9, off offset:-16
	s_waitcnt vmcnt(1)
	ds_store_2addr_b64 v0, v[1:2], v[3:4] offset1:1
	s_waitcnt vmcnt(0)
	s_clause 0x1
	scratch_store_b128 v133, v[5:8], off
	scratch_store_b128 v9, v[1:4], off offset:-16
.LBB105_268:
	s_or_b32 exec_lo, exec_lo, s0
	v_dual_mov_b32 v1, s8 :: v_dual_mov_b32 v2, s9
	s_mov_b32 s0, exec_lo
	flat_load_b32 v1, v[1:2] offset:156
	s_waitcnt vmcnt(0) lgkmcnt(0)
	v_cmpx_ne_u32_e32 40, v1
	s_cbranch_execz .LBB105_270
; %bb.269:
	v_lshl_add_u32 v9, v1, 4, 0
	s_clause 0x1
	scratch_load_b128 v[1:4], v134, off
	scratch_load_b128 v[5:8], v9, off offset:-16
	s_waitcnt vmcnt(1)
	ds_store_2addr_b64 v0, v[1:2], v[3:4] offset1:1
	s_waitcnt vmcnt(0)
	s_clause 0x1
	scratch_store_b128 v134, v[5:8], off
	scratch_store_b128 v9, v[1:4], off offset:-16
.LBB105_270:
	s_or_b32 exec_lo, exec_lo, s0
	v_dual_mov_b32 v1, s8 :: v_dual_mov_b32 v2, s9
	s_mov_b32 s0, exec_lo
	flat_load_b32 v1, v[1:2] offset:152
	s_waitcnt vmcnt(0) lgkmcnt(0)
	;; [unrolled: 19-line block ×39, first 2 shown]
	v_cmpx_ne_u32_e32 2, v1
	s_cbranch_execz .LBB105_346
; %bb.345:
	v_lshl_add_u32 v9, v1, 4, 0
	s_clause 0x1
	scratch_load_b128 v[1:4], v150, off
	scratch_load_b128 v[5:8], v9, off offset:-16
	s_waitcnt vmcnt(1)
	ds_store_2addr_b64 v0, v[1:2], v[3:4] offset1:1
	s_waitcnt vmcnt(0)
	s_clause 0x1
	scratch_store_b128 v150, v[5:8], off
	scratch_store_b128 v9, v[1:4], off offset:-16
.LBB105_346:
	s_or_b32 exec_lo, exec_lo, s0
	v_dual_mov_b32 v1, s8 :: v_dual_mov_b32 v2, s9
	s_mov_b32 s0, exec_lo
	flat_load_b32 v1, v[1:2]
	s_waitcnt vmcnt(0) lgkmcnt(0)
	v_cmpx_ne_u32_e32 1, v1
	s_cbranch_execz .LBB105_348
; %bb.347:
	v_lshl_add_u32 v9, v1, 4, 0
	scratch_load_b128 v[1:4], off, off
	scratch_load_b128 v[5:8], v9, off offset:-16
	s_waitcnt vmcnt(1)
	ds_store_2addr_b64 v0, v[1:2], v[3:4] offset1:1
	s_waitcnt vmcnt(0)
	scratch_store_b128 off, v[5:8], off
	scratch_store_b128 v9, v[1:4], off offset:-16
.LBB105_348:
	s_or_b32 exec_lo, exec_lo, s0
.LBB105_349:
	scratch_load_b128 v[0:3], off, off
	s_clause 0x12
	scratch_load_b128 v[4:7], v150, off
	scratch_load_b128 v[8:11], v148, off
	scratch_load_b128 v[12:15], v149, off
	scratch_load_b128 v[16:19], v147, off
	scratch_load_b128 v[20:23], v167, off
	scratch_load_b128 v[24:27], v165, off
	scratch_load_b128 v[28:31], v166, off
	scratch_load_b128 v[32:35], v164, off
	scratch_load_b128 v[36:39], v163, off
	scratch_load_b128 v[147:150], v162, off
	scratch_load_b128 v[161:164], v161, off
	scratch_load_b128 v[165:168], v160, off
	scratch_load_b128 v[169:172], v159, off
	scratch_load_b128 v[173:176], v158, off
	scratch_load_b128 v[157:160], v157, off
	scratch_load_b128 v[177:180], v156, off
	scratch_load_b128 v[181:184], v155, off
	scratch_load_b128 v[185:188], v153, off
	scratch_load_b128 v[153:156], v154, off
	s_waitcnt vmcnt(19)
	global_store_b128 v[42:43], v[0:3], off
	s_clause 0x1
	scratch_load_b128 v[0:3], v152, off
	scratch_load_b128 v[40:43], v151, off
	s_waitcnt vmcnt(20)
	global_store_b128 v[46:47], v[4:7], off
	s_clause 0x1
	scratch_load_b128 v[4:7], v145, off
	scratch_load_b128 v[189:192], v146, off
	s_waitcnt vmcnt(21)
	global_store_b128 v[44:45], v[8:11], off
	s_clause 0x1
	scratch_load_b128 v[8:11], v144, off
	scratch_load_b128 v[44:47], v143, off
	s_waitcnt vmcnt(22)
	global_store_b128 v[50:51], v[12:15], off
	s_clause 0x1
	scratch_load_b128 v[12:15], v141, off
	scratch_load_b128 v[141:144], v142, off
	s_waitcnt vmcnt(23)
	global_store_b128 v[48:49], v[16:19], off
	s_clause 0x1
	scratch_load_b128 v[16:19], v139, off
	scratch_load_b128 v[48:51], v138, off
	s_waitcnt vmcnt(24)
	global_store_b128 v[54:55], v[20:23], off
	s_clause 0x1
	scratch_load_b128 v[20:23], v130, off
	scratch_load_b128 v[193:196], v131, off
	s_waitcnt vmcnt(25)
	global_store_b128 v[52:53], v[24:27], off
	s_clause 0x1
	scratch_load_b128 v[24:27], v129, off
	scratch_load_b128 v[52:55], v128, off
	s_waitcnt vmcnt(26)
	global_store_b128 v[58:59], v[28:31], off
	s_clause 0x1
	scratch_load_b128 v[28:31], v127, off
	scratch_load_b128 v[126:129], v140, off
	s_waitcnt vmcnt(27)
	global_store_b128 v[56:57], v[32:35], off
	s_clause 0x1
	scratch_load_b128 v[32:35], v137, off
	scratch_load_b128 v[56:59], v136, off
	s_waitcnt vmcnt(28)
	global_store_b128 v[62:63], v[36:39], off
	s_clause 0x1
	scratch_load_b128 v[36:39], v135, off
	scratch_load_b128 v[134:137], v134, off
	s_waitcnt vmcnt(29)
	global_store_b128 v[60:61], v[147:150], off
	s_clause 0x1
	scratch_load_b128 v[60:63], v133, off
	scratch_load_b128 v[130:133], v132, off
	s_waitcnt vmcnt(30)
	global_store_b128 v[64:65], v[161:164], off
	s_waitcnt vmcnt(29)
	global_store_b128 v[66:67], v[165:168], off
	;; [unrolled: 2-line block ×31, first 2 shown]
	s_endpgm
	.section	.rodata,"a",@progbits
	.p2align	6, 0x0
	.amdhsa_kernel _ZN9rocsolver6v33100L18getri_kernel_smallILi42E19rocblas_complex_numIdEPKPS3_EEvT1_iilPiilS8_bb
		.amdhsa_group_segment_fixed_size 2376
		.amdhsa_private_segment_fixed_size 688
		.amdhsa_kernarg_size 60
		.amdhsa_user_sgpr_count 15
		.amdhsa_user_sgpr_dispatch_ptr 1
		.amdhsa_user_sgpr_queue_ptr 0
		.amdhsa_user_sgpr_kernarg_segment_ptr 1
		.amdhsa_user_sgpr_dispatch_id 0
		.amdhsa_user_sgpr_private_segment_size 0
		.amdhsa_wavefront_size32 1
		.amdhsa_uses_dynamic_stack 0
		.amdhsa_enable_private_segment 1
		.amdhsa_system_sgpr_workgroup_id_x 1
		.amdhsa_system_sgpr_workgroup_id_y 0
		.amdhsa_system_sgpr_workgroup_id_z 0
		.amdhsa_system_sgpr_workgroup_info 0
		.amdhsa_system_vgpr_workitem_id 2
		.amdhsa_next_free_vgpr 216
		.amdhsa_next_free_sgpr 48
		.amdhsa_reserve_vcc 1
		.amdhsa_float_round_mode_32 0
		.amdhsa_float_round_mode_16_64 0
		.amdhsa_float_denorm_mode_32 3
		.amdhsa_float_denorm_mode_16_64 3
		.amdhsa_dx10_clamp 1
		.amdhsa_ieee_mode 1
		.amdhsa_fp16_overflow 0
		.amdhsa_workgroup_processor_mode 1
		.amdhsa_memory_ordered 1
		.amdhsa_forward_progress 0
		.amdhsa_shared_vgpr_count 0
		.amdhsa_exception_fp_ieee_invalid_op 0
		.amdhsa_exception_fp_denorm_src 0
		.amdhsa_exception_fp_ieee_div_zero 0
		.amdhsa_exception_fp_ieee_overflow 0
		.amdhsa_exception_fp_ieee_underflow 0
		.amdhsa_exception_fp_ieee_inexact 0
		.amdhsa_exception_int_div_zero 0
	.end_amdhsa_kernel
	.section	.text._ZN9rocsolver6v33100L18getri_kernel_smallILi42E19rocblas_complex_numIdEPKPS3_EEvT1_iilPiilS8_bb,"axG",@progbits,_ZN9rocsolver6v33100L18getri_kernel_smallILi42E19rocblas_complex_numIdEPKPS3_EEvT1_iilPiilS8_bb,comdat
.Lfunc_end105:
	.size	_ZN9rocsolver6v33100L18getri_kernel_smallILi42E19rocblas_complex_numIdEPKPS3_EEvT1_iilPiilS8_bb, .Lfunc_end105-_ZN9rocsolver6v33100L18getri_kernel_smallILi42E19rocblas_complex_numIdEPKPS3_EEvT1_iilPiilS8_bb
                                        ; -- End function
	.section	.AMDGPU.csdata,"",@progbits
; Kernel info:
; codeLenInByte = 84836
; NumSgprs: 50
; NumVgprs: 216
; ScratchSize: 688
; MemoryBound: 0
; FloatMode: 240
; IeeeMode: 1
; LDSByteSize: 2376 bytes/workgroup (compile time only)
; SGPRBlocks: 6
; VGPRBlocks: 26
; NumSGPRsForWavesPerEU: 50
; NumVGPRsForWavesPerEU: 216
; Occupancy: 7
; WaveLimiterHint : 1
; COMPUTE_PGM_RSRC2:SCRATCH_EN: 1
; COMPUTE_PGM_RSRC2:USER_SGPR: 15
; COMPUTE_PGM_RSRC2:TRAP_HANDLER: 0
; COMPUTE_PGM_RSRC2:TGID_X_EN: 1
; COMPUTE_PGM_RSRC2:TGID_Y_EN: 0
; COMPUTE_PGM_RSRC2:TGID_Z_EN: 0
; COMPUTE_PGM_RSRC2:TIDIG_COMP_CNT: 2
	.section	.text._ZN9rocsolver6v33100L18getri_kernel_smallILi43E19rocblas_complex_numIdEPKPS3_EEvT1_iilPiilS8_bb,"axG",@progbits,_ZN9rocsolver6v33100L18getri_kernel_smallILi43E19rocblas_complex_numIdEPKPS3_EEvT1_iilPiilS8_bb,comdat
	.globl	_ZN9rocsolver6v33100L18getri_kernel_smallILi43E19rocblas_complex_numIdEPKPS3_EEvT1_iilPiilS8_bb ; -- Begin function _ZN9rocsolver6v33100L18getri_kernel_smallILi43E19rocblas_complex_numIdEPKPS3_EEvT1_iilPiilS8_bb
	.p2align	8
	.type	_ZN9rocsolver6v33100L18getri_kernel_smallILi43E19rocblas_complex_numIdEPKPS3_EEvT1_iilPiilS8_bb,@function
_ZN9rocsolver6v33100L18getri_kernel_smallILi43E19rocblas_complex_numIdEPKPS3_EEvT1_iilPiilS8_bb: ; @_ZN9rocsolver6v33100L18getri_kernel_smallILi43E19rocblas_complex_numIdEPKPS3_EEvT1_iilPiilS8_bb
; %bb.0:
	v_and_b32_e32 v132, 0x3ff, v0
	s_mov_b32 s4, exec_lo
	s_delay_alu instid0(VALU_DEP_1)
	v_cmpx_gt_u32_e32 43, v132
	s_cbranch_execz .LBB106_186
; %bb.1:
	s_mov_b32 s10, s15
	s_clause 0x2
	s_load_b32 s15, s[2:3], 0x38
	s_load_b64 s[8:9], s[2:3], 0x0
	s_load_b128 s[4:7], s[2:3], 0x28
	s_waitcnt lgkmcnt(0)
	s_bitcmp1_b32 s15, 8
	s_cselect_b32 s14, -1, 0
	s_ashr_i32 s11, s10, 31
	s_delay_alu instid0(SALU_CYCLE_1) | instskip(NEXT) | instid1(SALU_CYCLE_1)
	s_lshl_b64 s[12:13], s[10:11], 3
	s_add_u32 s8, s8, s12
	s_addc_u32 s9, s9, s13
	s_load_b64 s[12:13], s[8:9], 0x0
	s_bfe_u32 s8, s15, 0x10008
	s_delay_alu instid0(SALU_CYCLE_1)
	s_cmp_eq_u32 s8, 0
                                        ; implicit-def: $sgpr8_sgpr9
	s_cbranch_scc1 .LBB106_3
; %bb.2:
	s_clause 0x1
	s_load_b32 s8, s[2:3], 0x20
	s_load_b64 s[16:17], s[2:3], 0x18
	s_mul_i32 s5, s10, s5
	s_mul_hi_u32 s9, s10, s4
	s_mul_i32 s18, s11, s4
	s_add_i32 s5, s9, s5
	s_mul_i32 s4, s10, s4
	s_add_i32 s5, s5, s18
	s_delay_alu instid0(SALU_CYCLE_1)
	s_lshl_b64 s[4:5], s[4:5], 2
	s_waitcnt lgkmcnt(0)
	s_ashr_i32 s9, s8, 31
	s_add_u32 s16, s16, s4
	s_addc_u32 s17, s17, s5
	s_lshl_b64 s[4:5], s[8:9], 2
	s_delay_alu instid0(SALU_CYCLE_1)
	s_add_u32 s8, s16, s4
	s_addc_u32 s9, s17, s5
.LBB106_3:
	s_load_b64 s[2:3], s[2:3], 0x8
	v_lshlrev_b32_e32 v13, 4, v132
	s_movk_i32 s18, 0xd0
	s_movk_i32 s19, 0xe0
	;; [unrolled: 1-line block ×18, first 2 shown]
	s_waitcnt lgkmcnt(0)
	v_add3_u32 v5, s3, s3, v132
	s_ashr_i32 s5, s2, 31
	s_mov_b32 s4, s2
	s_mov_b32 s16, s3
	s_lshl_b64 s[4:5], s[4:5], 4
	v_add_nc_u32_e32 v7, s3, v5
	v_ashrrev_i32_e32 v6, 31, v5
	s_add_u32 s4, s12, s4
	s_addc_u32 s5, s13, s5
	v_add_co_u32 v46, s2, s4, v13
	v_add_nc_u32_e32 v9, s3, v7
	s_ashr_i32 s17, s3, 31
	v_add_co_ci_u32_e64 v47, null, s5, 0, s2
	v_ashrrev_i32_e32 v8, 31, v7
	v_lshlrev_b64 v[5:6], 4, v[5:6]
	s_lshl_b64 s[12:13], s[16:17], 4
	v_ashrrev_i32_e32 v10, 31, v9
	v_add_co_u32 v48, vcc_lo, v46, s12
	v_add_nc_u32_e32 v11, s3, v9
	v_add_co_ci_u32_e32 v49, vcc_lo, s13, v47, vcc_lo
	v_lshlrev_b64 v[7:8], 4, v[7:8]
	v_add_co_u32 v50, vcc_lo, s4, v5
	v_add_co_ci_u32_e32 v51, vcc_lo, s5, v6, vcc_lo
	v_lshlrev_b64 v[5:6], 4, v[9:10]
	v_ashrrev_i32_e32 v12, 31, v11
	v_add_nc_u32_e32 v9, s3, v11
	v_add_co_u32 v52, vcc_lo, s4, v7
	v_add_co_ci_u32_e32 v53, vcc_lo, s5, v8, vcc_lo
	s_delay_alu instid0(VALU_DEP_4) | instskip(NEXT) | instid1(VALU_DEP_4)
	v_lshlrev_b64 v[7:8], 4, v[11:12]
	v_ashrrev_i32_e32 v10, 31, v9
	v_add_nc_u32_e32 v11, s3, v9
	v_add_co_u32 v54, vcc_lo, s4, v5
	v_add_co_ci_u32_e32 v55, vcc_lo, s5, v6, vcc_lo
	s_delay_alu instid0(VALU_DEP_4) | instskip(NEXT) | instid1(VALU_DEP_4)
	;; [unrolled: 6-line block ×3, first 2 shown]
	v_lshlrev_b64 v[7:8], 4, v[11:12]
	v_add_nc_u32_e32 v11, s3, v9
	v_ashrrev_i32_e32 v10, 31, v9
	v_add_co_u32 v58, vcc_lo, s4, v5
	v_add_co_ci_u32_e32 v59, vcc_lo, s5, v6, vcc_lo
	s_delay_alu instid0(VALU_DEP_4) | instskip(SKIP_3) | instid1(VALU_DEP_4)
	v_add_nc_u32_e32 v20, s3, v11
	v_ashrrev_i32_e32 v12, 31, v11
	v_lshlrev_b64 v[18:19], 4, v[9:10]
	v_add_co_u32 v60, vcc_lo, s4, v7
	v_add_nc_u32_e32 v70, s3, v20
	s_delay_alu instid0(VALU_DEP_4)
	v_lshlrev_b64 v[38:39], 4, v[11:12]
	v_ashrrev_i32_e32 v21, 31, v20
	v_add_co_ci_u32_e32 v61, vcc_lo, s5, v8, vcc_lo
	v_add_co_u32 v62, vcc_lo, s4, v18
	v_ashrrev_i32_e32 v71, 31, v70
	v_add_co_ci_u32_e32 v63, vcc_lo, s5, v19, vcc_lo
	v_lshlrev_b64 v[40:41], 4, v[20:21]
	v_add_co_u32 v64, vcc_lo, s4, v38
	v_add_co_ci_u32_e32 v65, vcc_lo, s5, v39, vcc_lo
	v_lshlrev_b64 v[38:39], 4, v[70:71]
	s_delay_alu instid0(VALU_DEP_4)
	v_add_co_u32 v66, vcc_lo, s4, v40
	v_add_co_ci_u32_e32 v67, vcc_lo, s5, v41, vcc_lo
	global_load_b128 v[1:4], v13, s[4:5]
	v_add_co_u32 v68, vcc_lo, s4, v38
	s_clause 0x4
	global_load_b128 v[5:8], v[48:49], off
	global_load_b128 v[9:12], v[50:51], off
	;; [unrolled: 1-line block ×5, first 2 shown]
	v_add_co_ci_u32_e32 v69, vcc_lo, s5, v39, vcc_lo
	s_clause 0x5
	global_load_b128 v[26:29], v[58:59], off
	global_load_b128 v[30:33], v[60:61], off
	;; [unrolled: 1-line block ×6, first 2 shown]
	v_add_nc_u32_e32 v70, s3, v70
	s_movk_i32 s2, 0x50
	s_movk_i32 s12, 0x90
	;; [unrolled: 1-line block ×4, first 2 shown]
	v_add_nc_u32_e32 v72, s3, v70
	v_ashrrev_i32_e32 v71, 31, v70
	s_movk_i32 s17, 0xc0
	s_movk_i32 s37, 0x1f0
	;; [unrolled: 1-line block ×3, first 2 shown]
	v_add_nc_u32_e32 v74, s3, v72
	v_ashrrev_i32_e32 v73, 31, v72
	v_lshlrev_b64 v[70:71], 4, v[70:71]
	s_movk_i32 s39, 0x210
	s_movk_i32 s40, 0x220
	v_add_nc_u32_e32 v76, s3, v74
	v_ashrrev_i32_e32 v75, 31, v74
	v_lshlrev_b64 v[72:73], 4, v[72:73]
	v_add_co_u32 v70, vcc_lo, s4, v70
	s_delay_alu instid0(VALU_DEP_4) | instskip(SKIP_3) | instid1(VALU_DEP_4)
	v_add_nc_u32_e32 v78, s3, v76
	v_ashrrev_i32_e32 v77, 31, v76
	v_lshlrev_b64 v[74:75], 4, v[74:75]
	v_add_co_ci_u32_e32 v71, vcc_lo, s5, v71, vcc_lo
	v_add_nc_u32_e32 v80, s3, v78
	v_ashrrev_i32_e32 v79, 31, v78
	v_add_co_u32 v72, vcc_lo, s4, v72
	v_lshlrev_b64 v[76:77], 4, v[76:77]
	s_delay_alu instid0(VALU_DEP_4) | instskip(SKIP_3) | instid1(VALU_DEP_4)
	v_add_nc_u32_e32 v82, s3, v80
	v_ashrrev_i32_e32 v81, 31, v80
	v_add_co_ci_u32_e32 v73, vcc_lo, s5, v73, vcc_lo
	v_add_co_u32 v74, vcc_lo, s4, v74
	v_add_nc_u32_e32 v84, s3, v82
	v_lshlrev_b64 v[78:79], 4, v[78:79]
	v_ashrrev_i32_e32 v83, 31, v82
	v_add_co_ci_u32_e32 v75, vcc_lo, s5, v75, vcc_lo
	s_delay_alu instid0(VALU_DEP_4) | instskip(SKIP_3) | instid1(VALU_DEP_4)
	v_add_nc_u32_e32 v86, s3, v84
	v_add_co_u32 v76, vcc_lo, s4, v76
	v_lshlrev_b64 v[80:81], 4, v[80:81]
	v_ashrrev_i32_e32 v85, 31, v84
	v_add_nc_u32_e32 v88, s3, v86
	v_add_co_ci_u32_e32 v77, vcc_lo, s5, v77, vcc_lo
	v_add_co_u32 v78, vcc_lo, s4, v78
	s_delay_alu instid0(VALU_DEP_3) | instskip(SKIP_3) | instid1(VALU_DEP_4)
	v_add_nc_u32_e32 v90, s3, v88
	v_lshlrev_b64 v[82:83], 4, v[82:83]
	v_ashrrev_i32_e32 v87, 31, v86
	v_add_co_ci_u32_e32 v79, vcc_lo, s5, v79, vcc_lo
	v_add_nc_u32_e32 v92, s3, v90
	v_add_co_u32 v80, vcc_lo, s4, v80
	v_lshlrev_b64 v[84:85], 4, v[84:85]
	v_ashrrev_i32_e32 v89, 31, v88
	s_delay_alu instid0(VALU_DEP_4) | instskip(SKIP_2) | instid1(VALU_DEP_3)
	v_add_nc_u32_e32 v94, s3, v92
	v_add_co_ci_u32_e32 v81, vcc_lo, s5, v81, vcc_lo
	v_add_co_u32 v82, vcc_lo, s4, v82
	v_add_nc_u32_e32 v96, s3, v94
	v_lshlrev_b64 v[86:87], 4, v[86:87]
	v_ashrrev_i32_e32 v91, 31, v90
	v_add_co_ci_u32_e32 v83, vcc_lo, s5, v83, vcc_lo
	s_delay_alu instid0(VALU_DEP_4) | instskip(SKIP_3) | instid1(VALU_DEP_4)
	v_add_nc_u32_e32 v98, s3, v96
	v_add_co_u32 v84, vcc_lo, s4, v84
	v_lshlrev_b64 v[88:89], 4, v[88:89]
	v_ashrrev_i32_e32 v93, 31, v92
	v_add_nc_u32_e32 v100, s3, v98
	v_add_co_ci_u32_e32 v85, vcc_lo, s5, v85, vcc_lo
	v_add_co_u32 v86, vcc_lo, s4, v86
	s_delay_alu instid0(VALU_DEP_3) | instskip(SKIP_3) | instid1(VALU_DEP_4)
	v_add_nc_u32_e32 v102, s3, v100
	v_lshlrev_b64 v[90:91], 4, v[90:91]
	v_ashrrev_i32_e32 v95, 31, v94
	v_add_co_ci_u32_e32 v87, vcc_lo, s5, v87, vcc_lo
	v_add_nc_u32_e32 v104, s3, v102
	v_add_co_u32 v88, vcc_lo, s4, v88
	v_lshlrev_b64 v[92:93], 4, v[92:93]
	v_ashrrev_i32_e32 v97, 31, v96
	s_delay_alu instid0(VALU_DEP_4) | instskip(SKIP_2) | instid1(VALU_DEP_3)
	v_add_nc_u32_e32 v106, s3, v104
	v_add_co_ci_u32_e32 v89, vcc_lo, s5, v89, vcc_lo
	v_add_co_u32 v90, vcc_lo, s4, v90
	v_add_nc_u32_e32 v108, s3, v106
	v_lshlrev_b64 v[94:95], 4, v[94:95]
	v_ashrrev_i32_e32 v99, 31, v98
	v_add_co_ci_u32_e32 v91, vcc_lo, s5, v91, vcc_lo
	s_delay_alu instid0(VALU_DEP_4) | instskip(SKIP_3) | instid1(VALU_DEP_4)
	v_add_nc_u32_e32 v110, s3, v108
	v_add_co_u32 v92, vcc_lo, s4, v92
	v_lshlrev_b64 v[96:97], 4, v[96:97]
	v_ashrrev_i32_e32 v101, 31, v100
	v_add_nc_u32_e32 v112, s3, v110
	v_add_co_ci_u32_e32 v93, vcc_lo, s5, v93, vcc_lo
	v_add_co_u32 v94, vcc_lo, s4, v94
	s_delay_alu instid0(VALU_DEP_3)
	v_add_nc_u32_e32 v114, s3, v112
	v_lshlrev_b64 v[98:99], 4, v[98:99]
	v_ashrrev_i32_e32 v103, 31, v102
	v_add_co_ci_u32_e32 v95, vcc_lo, s5, v95, vcc_lo
	v_add_co_u32 v96, vcc_lo, s4, v96
	v_lshlrev_b64 v[100:101], 4, v[100:101]
	v_add_nc_u32_e32 v116, s3, v114
	v_ashrrev_i32_e32 v105, 31, v104
	v_add_co_ci_u32_e32 v97, vcc_lo, s5, v97, vcc_lo
	v_add_co_u32 v98, vcc_lo, s4, v98
	v_lshlrev_b64 v[102:103], 4, v[102:103]
	v_ashrrev_i32_e32 v107, 31, v106
	v_add_co_ci_u32_e32 v99, vcc_lo, s5, v99, vcc_lo
	v_add_nc_u32_e32 v118, s3, v116
	v_add_co_u32 v100, vcc_lo, s4, v100
	v_lshlrev_b64 v[104:105], 4, v[104:105]
	v_ashrrev_i32_e32 v109, 31, v108
	v_add_co_ci_u32_e32 v101, vcc_lo, s5, v101, vcc_lo
	v_add_co_u32 v102, vcc_lo, s4, v102
	v_lshlrev_b64 v[106:107], 4, v[106:107]
	v_ashrrev_i32_e32 v111, 31, v110
	v_add_nc_u32_e32 v120, s3, v118
	v_add_co_ci_u32_e32 v103, vcc_lo, s5, v103, vcc_lo
	v_add_co_u32 v104, vcc_lo, s4, v104
	v_lshlrev_b64 v[108:109], 4, v[108:109]
	v_ashrrev_i32_e32 v113, 31, v112
	v_add_co_ci_u32_e32 v105, vcc_lo, s5, v105, vcc_lo
	v_add_co_u32 v106, vcc_lo, s4, v106
	v_lshlrev_b64 v[110:111], 4, v[110:111]
	v_add_nc_u32_e32 v122, s3, v120
	v_ashrrev_i32_e32 v115, 31, v114
	v_add_co_ci_u32_e32 v107, vcc_lo, s5, v107, vcc_lo
	v_add_co_u32 v108, vcc_lo, s4, v108
	v_lshlrev_b64 v[112:113], 4, v[112:113]
	v_ashrrev_i32_e32 v117, 31, v116
	v_add_co_ci_u32_e32 v109, vcc_lo, s5, v109, vcc_lo
	v_add_nc_u32_e32 v124, s3, v122
	v_add_co_u32 v110, vcc_lo, s4, v110
	v_lshlrev_b64 v[114:115], 4, v[114:115]
	v_ashrrev_i32_e32 v119, 31, v118
	v_add_co_ci_u32_e32 v111, vcc_lo, s5, v111, vcc_lo
	v_add_co_u32 v112, vcc_lo, s4, v112
	v_lshlrev_b64 v[116:117], 4, v[116:117]
	v_ashrrev_i32_e32 v121, 31, v120
	v_add_nc_u32_e32 v126, s3, v124
	v_add_co_ci_u32_e32 v113, vcc_lo, s5, v113, vcc_lo
	v_add_co_u32 v114, vcc_lo, s4, v114
	v_lshlrev_b64 v[118:119], 4, v[118:119]
	v_ashrrev_i32_e32 v123, 31, v122
	v_add_co_ci_u32_e32 v115, vcc_lo, s5, v115, vcc_lo
	v_add_co_u32 v116, vcc_lo, s4, v116
	v_lshlrev_b64 v[120:121], 4, v[120:121]
	v_add_nc_u32_e32 v128, s3, v126
	v_ashrrev_i32_e32 v125, 31, v124
	v_add_co_ci_u32_e32 v117, vcc_lo, s5, v117, vcc_lo
	v_add_co_u32 v118, vcc_lo, s4, v118
	v_lshlrev_b64 v[122:123], 4, v[122:123]
	v_ashrrev_i32_e32 v127, 31, v126
	v_add_co_ci_u32_e32 v119, vcc_lo, s5, v119, vcc_lo
	v_add_nc_u32_e32 v130, s3, v128
	v_add_co_u32 v120, vcc_lo, s4, v120
	v_lshlrev_b64 v[124:125], 4, v[124:125]
	v_ashrrev_i32_e32 v129, 31, v128
	v_add_co_ci_u32_e32 v121, vcc_lo, s5, v121, vcc_lo
	v_add_co_u32 v122, vcc_lo, s4, v122
	v_lshlrev_b64 v[126:127], 4, v[126:127]
	v_ashrrev_i32_e32 v131, 31, v130
	v_add_co_ci_u32_e32 v123, vcc_lo, s5, v123, vcc_lo
	v_add_co_u32 v124, vcc_lo, s4, v124
	v_lshlrev_b64 v[128:129], 4, v[128:129]
	v_add_co_ci_u32_e32 v125, vcc_lo, s5, v125, vcc_lo
	v_add_co_u32 v126, vcc_lo, s4, v126
	v_lshlrev_b64 v[130:131], 4, v[130:131]
	v_add_co_ci_u32_e32 v127, vcc_lo, s5, v127, vcc_lo
	v_add_co_u32 v128, vcc_lo, s4, v128
	v_add_co_ci_u32_e32 v129, vcc_lo, s5, v129, vcc_lo
	s_delay_alu instid0(VALU_DEP_4)
	v_add_co_u32 v130, vcc_lo, s4, v130
	s_clause 0x4
	global_load_b128 v[137:140], v[70:71], off
	global_load_b128 v[141:144], v[72:73], off
	;; [unrolled: 1-line block ×5, first 2 shown]
	v_add_co_ci_u32_e32 v131, vcc_lo, s5, v131, vcc_lo
	s_clause 0xd
	global_load_b128 v[175:178], v[80:81], off
	global_load_b128 v[179:182], v[82:83], off
	;; [unrolled: 1-line block ×14, first 2 shown]
	s_movk_i32 s3, 0x60
	s_movk_i32 s4, 0x70
	s_movk_i32 s5, 0x80
	s_movk_i32 s41, 0x230
	s_movk_i32 s42, 0x240
	s_movk_i32 s43, 0x250
	s_movk_i32 s44, 0x260
	s_movk_i32 s45, 0x270
	s_movk_i32 s46, 0x280
	s_movk_i32 s47, 0x290
	s_movk_i32 s48, 0x2a0
	v_add_nc_u32_e64 v174, s2, 0
	v_add_nc_u32_e64 v173, s3, 0
	;; [unrolled: 1-line block ×18, first 2 shown]
	s_bitcmp0_b32 s15, 0
	s_mov_b32 s3, -1
	s_waitcnt vmcnt(30)
	scratch_store_b128 off, v[1:4], off
	s_waitcnt vmcnt(29)
	scratch_store_b128 off, v[5:8], off offset:16
	s_clause 0x1
	global_load_b128 v[1:4], v[108:109], off
	global_load_b128 v[5:8], v[110:111], off
	s_waitcnt vmcnt(30)
	scratch_store_b128 off, v[9:12], off offset:32
	s_waitcnt vmcnt(29)
	scratch_store_b128 off, v[14:17], off offset:48
	s_clause 0x1
	global_load_b128 v[9:12], v[112:113], off
	global_load_b128 v[14:17], v[114:115], off
	s_waitcnt vmcnt(30)
	scratch_store_b128 off, v[18:21], off offset:64
	;; [unrolled: 7-line block ×5, first 2 shown]
	s_waitcnt vmcnt(29)
	scratch_store_b128 off, v[133:136], off offset:176
	s_clause 0x1
	global_load_b128 v[42:45], v[128:129], off
	global_load_b128 v[231:234], v[130:131], off
	v_add_nc_u32_e64 v136, 0, 16
	v_add_nc_u32_e64 v135, 0, 32
	;; [unrolled: 1-line block ×4, first 2 shown]
	s_waitcnt vmcnt(30)
	scratch_store_b128 off, v[137:140], off offset:192
	s_waitcnt vmcnt(29)
	scratch_store_b128 off, v[141:144], off offset:208
	;; [unrolled: 2-line block ×6, first 2 shown]
	v_add_nc_u32_e64 v155, s24, 0
	v_add_nc_u32_e64 v154, s25, 0
	;; [unrolled: 1-line block ×20, first 2 shown]
	s_waitcnt vmcnt(24)
	scratch_store_b128 off, v[179:182], off offset:288
	s_waitcnt vmcnt(23)
	scratch_store_b128 off, v[183:186], off offset:304
	s_waitcnt vmcnt(22)
	scratch_store_b128 off, v[187:190], off offset:320
	s_waitcnt vmcnt(21)
	scratch_store_b128 off, v[191:194], off offset:336
	s_waitcnt vmcnt(20)
	scratch_store_b128 off, v[195:198], off offset:352
	s_waitcnt vmcnt(19)
	scratch_store_b128 off, v[199:202], off offset:368
	s_waitcnt vmcnt(18)
	scratch_store_b128 off, v[203:206], off offset:384
	s_waitcnt vmcnt(17)
	scratch_store_b128 off, v[207:210], off offset:400
	s_waitcnt vmcnt(16)
	scratch_store_b128 off, v[211:214], off offset:416
	s_waitcnt vmcnt(15)
	scratch_store_b128 off, v[215:218], off offset:432
	s_waitcnt vmcnt(14)
	scratch_store_b128 off, v[219:222], off offset:448
	s_waitcnt vmcnt(13)
	scratch_store_b128 off, v[223:226], off offset:464
	s_waitcnt vmcnt(12)
	scratch_store_b128 off, v[227:230], off offset:480
	s_waitcnt vmcnt(11)
	scratch_store_b128 off, v[1:4], off offset:496
	s_waitcnt vmcnt(10)
	scratch_store_b128 off, v[5:8], off offset:512
	s_waitcnt vmcnt(9)
	scratch_store_b128 off, v[9:12], off offset:528
	s_waitcnt vmcnt(8)
	scratch_store_b128 off, v[14:17], off offset:544
	s_waitcnt vmcnt(7)
	scratch_store_b128 off, v[18:21], off offset:560
	s_waitcnt vmcnt(6)
	scratch_store_b128 off, v[22:25], off offset:576
	s_waitcnt vmcnt(5)
	scratch_store_b128 off, v[26:29], off offset:592
	s_waitcnt vmcnt(4)
	scratch_store_b128 off, v[30:33], off offset:608
	s_waitcnt vmcnt(3)
	scratch_store_b128 off, v[34:37], off offset:624
	s_waitcnt vmcnt(2)
	scratch_store_b128 off, v[38:41], off offset:640
	s_waitcnt vmcnt(1)
	scratch_store_b128 off, v[42:45], off offset:656
	s_waitcnt vmcnt(0)
	scratch_store_b128 off, v[231:234], off offset:672
	s_cbranch_scc1 .LBB106_184
; %bb.4:
	v_cmp_eq_u32_e64 s2, 0, v132
	s_delay_alu instid0(VALU_DEP_1)
	s_and_saveexec_b32 s3, s2
	s_cbranch_execz .LBB106_6
; %bb.5:
	v_mov_b32_e32 v1, 0
	ds_store_b32 v1, v1 offset:1376
.LBB106_6:
	s_or_b32 exec_lo, exec_lo, s3
	s_waitcnt lgkmcnt(0)
	s_waitcnt_vscnt null, 0x0
	s_barrier
	buffer_gl0_inv
	scratch_load_b128 v[1:4], v13, off
	s_waitcnt vmcnt(0)
	v_cmp_eq_f64_e32 vcc_lo, 0, v[1:2]
	v_cmp_eq_f64_e64 s3, 0, v[3:4]
	s_delay_alu instid0(VALU_DEP_1) | instskip(NEXT) | instid1(SALU_CYCLE_1)
	s_and_b32 s3, vcc_lo, s3
	s_and_saveexec_b32 s4, s3
	s_cbranch_execz .LBB106_10
; %bb.7:
	v_mov_b32_e32 v1, 0
	s_mov_b32 s5, 0
	ds_load_b32 v2, v1 offset:1376
	s_waitcnt lgkmcnt(0)
	v_readfirstlane_b32 s3, v2
	v_add_nc_u32_e32 v2, 1, v132
	s_delay_alu instid0(VALU_DEP_2) | instskip(NEXT) | instid1(VALU_DEP_1)
	s_cmp_eq_u32 s3, 0
	v_cmp_gt_i32_e32 vcc_lo, s3, v2
	s_cselect_b32 s12, -1, 0
	s_delay_alu instid0(SALU_CYCLE_1) | instskip(NEXT) | instid1(SALU_CYCLE_1)
	s_or_b32 s12, s12, vcc_lo
	s_and_b32 exec_lo, exec_lo, s12
	s_cbranch_execz .LBB106_10
; %bb.8:
	v_mov_b32_e32 v3, s3
.LBB106_9:                              ; =>This Inner Loop Header: Depth=1
	ds_cmpstore_rtn_b32 v3, v1, v2, v3 offset:1376
	s_waitcnt lgkmcnt(0)
	v_cmp_ne_u32_e32 vcc_lo, 0, v3
	v_cmp_le_i32_e64 s3, v3, v2
	s_delay_alu instid0(VALU_DEP_1) | instskip(NEXT) | instid1(SALU_CYCLE_1)
	s_and_b32 s3, vcc_lo, s3
	s_and_b32 s3, exec_lo, s3
	s_delay_alu instid0(SALU_CYCLE_1) | instskip(NEXT) | instid1(SALU_CYCLE_1)
	s_or_b32 s5, s3, s5
	s_and_not1_b32 exec_lo, exec_lo, s5
	s_cbranch_execnz .LBB106_9
.LBB106_10:
	s_or_b32 exec_lo, exec_lo, s4
	v_mov_b32_e32 v1, 0
	s_barrier
	buffer_gl0_inv
	ds_load_b32 v2, v1 offset:1376
	s_and_saveexec_b32 s3, s2
	s_cbranch_execz .LBB106_12
; %bb.11:
	s_lshl_b64 s[4:5], s[10:11], 2
	s_delay_alu instid0(SALU_CYCLE_1)
	s_add_u32 s4, s6, s4
	s_addc_u32 s5, s7, s5
	s_waitcnt lgkmcnt(0)
	global_store_b32 v1, v2, s[4:5]
.LBB106_12:
	s_or_b32 exec_lo, exec_lo, s3
	s_waitcnt lgkmcnt(0)
	v_cmp_ne_u32_e32 vcc_lo, 0, v2
	s_mov_b32 s3, 0
	s_cbranch_vccnz .LBB106_184
; %bb.13:
	v_add_nc_u32_e32 v14, 0, v13
                                        ; implicit-def: $vgpr9_vgpr10
	scratch_load_b128 v[1:4], v14, off
	s_waitcnt vmcnt(0)
	v_mov_b32_e32 v5, v1
	v_cmp_gt_f64_e32 vcc_lo, 0, v[1:2]
	v_xor_b32_e32 v6, 0x80000000, v2
	v_xor_b32_e32 v7, 0x80000000, v4
	s_delay_alu instid0(VALU_DEP_2) | instskip(SKIP_1) | instid1(VALU_DEP_3)
	v_cndmask_b32_e32 v6, v2, v6, vcc_lo
	v_cmp_gt_f64_e32 vcc_lo, 0, v[3:4]
	v_dual_cndmask_b32 v8, v4, v7 :: v_dual_mov_b32 v7, v3
	s_delay_alu instid0(VALU_DEP_1) | instskip(SKIP_1) | instid1(SALU_CYCLE_1)
	v_cmp_ngt_f64_e32 vcc_lo, v[5:6], v[7:8]
                                        ; implicit-def: $vgpr5_vgpr6
	s_and_saveexec_b32 s3, vcc_lo
	s_xor_b32 s3, exec_lo, s3
	s_cbranch_execz .LBB106_15
; %bb.14:
	v_div_scale_f64 v[5:6], null, v[3:4], v[3:4], v[1:2]
	v_div_scale_f64 v[11:12], vcc_lo, v[1:2], v[3:4], v[1:2]
	s_delay_alu instid0(VALU_DEP_2) | instskip(SKIP_2) | instid1(VALU_DEP_1)
	v_rcp_f64_e32 v[7:8], v[5:6]
	s_waitcnt_depctr 0xfff
	v_fma_f64 v[9:10], -v[5:6], v[7:8], 1.0
	v_fma_f64 v[7:8], v[7:8], v[9:10], v[7:8]
	s_delay_alu instid0(VALU_DEP_1) | instskip(NEXT) | instid1(VALU_DEP_1)
	v_fma_f64 v[9:10], -v[5:6], v[7:8], 1.0
	v_fma_f64 v[7:8], v[7:8], v[9:10], v[7:8]
	s_delay_alu instid0(VALU_DEP_1) | instskip(NEXT) | instid1(VALU_DEP_1)
	v_mul_f64 v[9:10], v[11:12], v[7:8]
	v_fma_f64 v[5:6], -v[5:6], v[9:10], v[11:12]
	s_delay_alu instid0(VALU_DEP_1) | instskip(NEXT) | instid1(VALU_DEP_1)
	v_div_fmas_f64 v[5:6], v[5:6], v[7:8], v[9:10]
	v_div_fixup_f64 v[5:6], v[5:6], v[3:4], v[1:2]
	s_delay_alu instid0(VALU_DEP_1) | instskip(NEXT) | instid1(VALU_DEP_1)
	v_fma_f64 v[1:2], v[1:2], v[5:6], v[3:4]
	v_div_scale_f64 v[3:4], null, v[1:2], v[1:2], 1.0
	v_div_scale_f64 v[11:12], vcc_lo, 1.0, v[1:2], 1.0
	s_delay_alu instid0(VALU_DEP_2) | instskip(SKIP_2) | instid1(VALU_DEP_1)
	v_rcp_f64_e32 v[7:8], v[3:4]
	s_waitcnt_depctr 0xfff
	v_fma_f64 v[9:10], -v[3:4], v[7:8], 1.0
	v_fma_f64 v[7:8], v[7:8], v[9:10], v[7:8]
	s_delay_alu instid0(VALU_DEP_1) | instskip(NEXT) | instid1(VALU_DEP_1)
	v_fma_f64 v[9:10], -v[3:4], v[7:8], 1.0
	v_fma_f64 v[7:8], v[7:8], v[9:10], v[7:8]
	s_delay_alu instid0(VALU_DEP_1) | instskip(NEXT) | instid1(VALU_DEP_1)
	v_mul_f64 v[9:10], v[11:12], v[7:8]
	v_fma_f64 v[3:4], -v[3:4], v[9:10], v[11:12]
	s_delay_alu instid0(VALU_DEP_1) | instskip(NEXT) | instid1(VALU_DEP_1)
	v_div_fmas_f64 v[3:4], v[3:4], v[7:8], v[9:10]
	v_div_fixup_f64 v[7:8], v[3:4], v[1:2], 1.0
                                        ; implicit-def: $vgpr1_vgpr2
	s_delay_alu instid0(VALU_DEP_1) | instskip(SKIP_1) | instid1(VALU_DEP_2)
	v_mul_f64 v[5:6], v[5:6], v[7:8]
	v_xor_b32_e32 v8, 0x80000000, v8
	v_xor_b32_e32 v10, 0x80000000, v6
	s_delay_alu instid0(VALU_DEP_3)
	v_mov_b32_e32 v9, v5
.LBB106_15:
	s_and_not1_saveexec_b32 s3, s3
	s_cbranch_execz .LBB106_17
; %bb.16:
	v_div_scale_f64 v[5:6], null, v[1:2], v[1:2], v[3:4]
	v_div_scale_f64 v[11:12], vcc_lo, v[3:4], v[1:2], v[3:4]
	s_delay_alu instid0(VALU_DEP_2) | instskip(SKIP_2) | instid1(VALU_DEP_1)
	v_rcp_f64_e32 v[7:8], v[5:6]
	s_waitcnt_depctr 0xfff
	v_fma_f64 v[9:10], -v[5:6], v[7:8], 1.0
	v_fma_f64 v[7:8], v[7:8], v[9:10], v[7:8]
	s_delay_alu instid0(VALU_DEP_1) | instskip(NEXT) | instid1(VALU_DEP_1)
	v_fma_f64 v[9:10], -v[5:6], v[7:8], 1.0
	v_fma_f64 v[7:8], v[7:8], v[9:10], v[7:8]
	s_delay_alu instid0(VALU_DEP_1) | instskip(NEXT) | instid1(VALU_DEP_1)
	v_mul_f64 v[9:10], v[11:12], v[7:8]
	v_fma_f64 v[5:6], -v[5:6], v[9:10], v[11:12]
	s_delay_alu instid0(VALU_DEP_1) | instskip(NEXT) | instid1(VALU_DEP_1)
	v_div_fmas_f64 v[5:6], v[5:6], v[7:8], v[9:10]
	v_div_fixup_f64 v[7:8], v[5:6], v[1:2], v[3:4]
	s_delay_alu instid0(VALU_DEP_1) | instskip(NEXT) | instid1(VALU_DEP_1)
	v_fma_f64 v[1:2], v[3:4], v[7:8], v[1:2]
	v_div_scale_f64 v[3:4], null, v[1:2], v[1:2], 1.0
	s_delay_alu instid0(VALU_DEP_1) | instskip(SKIP_2) | instid1(VALU_DEP_1)
	v_rcp_f64_e32 v[5:6], v[3:4]
	s_waitcnt_depctr 0xfff
	v_fma_f64 v[9:10], -v[3:4], v[5:6], 1.0
	v_fma_f64 v[5:6], v[5:6], v[9:10], v[5:6]
	s_delay_alu instid0(VALU_DEP_1) | instskip(NEXT) | instid1(VALU_DEP_1)
	v_fma_f64 v[9:10], -v[3:4], v[5:6], 1.0
	v_fma_f64 v[5:6], v[5:6], v[9:10], v[5:6]
	v_div_scale_f64 v[9:10], vcc_lo, 1.0, v[1:2], 1.0
	s_delay_alu instid0(VALU_DEP_1) | instskip(NEXT) | instid1(VALU_DEP_1)
	v_mul_f64 v[11:12], v[9:10], v[5:6]
	v_fma_f64 v[3:4], -v[3:4], v[11:12], v[9:10]
	s_delay_alu instid0(VALU_DEP_1) | instskip(NEXT) | instid1(VALU_DEP_1)
	v_div_fmas_f64 v[3:4], v[3:4], v[5:6], v[11:12]
	v_div_fixup_f64 v[5:6], v[3:4], v[1:2], 1.0
	s_delay_alu instid0(VALU_DEP_1)
	v_mul_f64 v[7:8], v[7:8], -v[5:6]
	v_xor_b32_e32 v10, 0x80000000, v6
	v_mov_b32_e32 v9, v5
.LBB106_17:
	s_or_b32 exec_lo, exec_lo, s3
	scratch_store_b128 v14, v[5:8], off
	scratch_load_b128 v[1:4], v136, off
	v_xor_b32_e32 v12, 0x80000000, v8
	v_mov_b32_e32 v11, v7
	v_add_nc_u32_e32 v5, 0x2b0, v13
	ds_store_b128 v13, v[9:12]
	s_waitcnt vmcnt(0)
	ds_store_b128 v13, v[1:4] offset:688
	s_waitcnt lgkmcnt(0)
	s_waitcnt_vscnt null, 0x0
	s_barrier
	buffer_gl0_inv
	s_and_saveexec_b32 s3, s2
	s_cbranch_execz .LBB106_19
; %bb.18:
	scratch_load_b128 v[1:4], v14, off
	ds_load_b128 v[6:9], v5
	v_mov_b32_e32 v10, 0
	ds_load_b128 v[15:18], v10 offset:16
	s_waitcnt vmcnt(0) lgkmcnt(1)
	v_mul_f64 v[10:11], v[6:7], v[3:4]
	v_mul_f64 v[3:4], v[8:9], v[3:4]
	s_delay_alu instid0(VALU_DEP_2) | instskip(NEXT) | instid1(VALU_DEP_2)
	v_fma_f64 v[8:9], v[8:9], v[1:2], v[10:11]
	v_fma_f64 v[1:2], v[6:7], v[1:2], -v[3:4]
	s_delay_alu instid0(VALU_DEP_2) | instskip(NEXT) | instid1(VALU_DEP_2)
	v_add_f64 v[3:4], v[8:9], 0
	v_add_f64 v[1:2], v[1:2], 0
	s_waitcnt lgkmcnt(0)
	s_delay_alu instid0(VALU_DEP_2) | instskip(NEXT) | instid1(VALU_DEP_2)
	v_mul_f64 v[6:7], v[3:4], v[17:18]
	v_mul_f64 v[8:9], v[1:2], v[17:18]
	s_delay_alu instid0(VALU_DEP_2) | instskip(NEXT) | instid1(VALU_DEP_2)
	v_fma_f64 v[1:2], v[1:2], v[15:16], -v[6:7]
	v_fma_f64 v[3:4], v[3:4], v[15:16], v[8:9]
	scratch_store_b128 off, v[1:4], off offset:16
.LBB106_19:
	s_or_b32 exec_lo, exec_lo, s3
	s_waitcnt_vscnt null, 0x0
	s_barrier
	buffer_gl0_inv
	scratch_load_b128 v[1:4], v135, off
	s_mov_b32 s3, exec_lo
	s_waitcnt vmcnt(0)
	ds_store_b128 v5, v[1:4]
	s_waitcnt lgkmcnt(0)
	s_barrier
	buffer_gl0_inv
	v_cmpx_gt_u32_e32 2, v132
	s_cbranch_execz .LBB106_23
; %bb.20:
	scratch_load_b128 v[1:4], v14, off
	ds_load_b128 v[6:9], v5
	s_waitcnt vmcnt(0) lgkmcnt(0)
	v_mul_f64 v[10:11], v[8:9], v[3:4]
	v_mul_f64 v[3:4], v[6:7], v[3:4]
	s_delay_alu instid0(VALU_DEP_2) | instskip(NEXT) | instid1(VALU_DEP_2)
	v_fma_f64 v[6:7], v[6:7], v[1:2], -v[10:11]
	v_fma_f64 v[3:4], v[8:9], v[1:2], v[3:4]
	s_delay_alu instid0(VALU_DEP_2) | instskip(NEXT) | instid1(VALU_DEP_2)
	v_add_f64 v[1:2], v[6:7], 0
	v_add_f64 v[3:4], v[3:4], 0
	s_and_saveexec_b32 s4, s2
	s_cbranch_execz .LBB106_22
; %bb.21:
	scratch_load_b128 v[6:9], off, off offset:16
	v_mov_b32_e32 v10, 0
	ds_load_b128 v[15:18], v10 offset:704
	s_waitcnt vmcnt(0) lgkmcnt(0)
	v_mul_f64 v[10:11], v[15:16], v[8:9]
	v_mul_f64 v[8:9], v[17:18], v[8:9]
	s_delay_alu instid0(VALU_DEP_2) | instskip(NEXT) | instid1(VALU_DEP_2)
	v_fma_f64 v[10:11], v[17:18], v[6:7], v[10:11]
	v_fma_f64 v[6:7], v[15:16], v[6:7], -v[8:9]
	s_delay_alu instid0(VALU_DEP_2) | instskip(NEXT) | instid1(VALU_DEP_2)
	v_add_f64 v[3:4], v[3:4], v[10:11]
	v_add_f64 v[1:2], v[1:2], v[6:7]
.LBB106_22:
	s_or_b32 exec_lo, exec_lo, s4
	v_mov_b32_e32 v6, 0
	ds_load_b128 v[6:9], v6 offset:32
	s_waitcnt lgkmcnt(0)
	v_mul_f64 v[10:11], v[3:4], v[8:9]
	v_mul_f64 v[8:9], v[1:2], v[8:9]
	s_delay_alu instid0(VALU_DEP_2) | instskip(NEXT) | instid1(VALU_DEP_2)
	v_fma_f64 v[1:2], v[1:2], v[6:7], -v[10:11]
	v_fma_f64 v[3:4], v[3:4], v[6:7], v[8:9]
	scratch_store_b128 off, v[1:4], off offset:32
.LBB106_23:
	s_or_b32 exec_lo, exec_lo, s3
	s_waitcnt_vscnt null, 0x0
	s_barrier
	buffer_gl0_inv
	scratch_load_b128 v[1:4], v134, off
	v_add_nc_u32_e32 v6, -1, v132
	s_mov_b32 s2, exec_lo
	s_waitcnt vmcnt(0)
	ds_store_b128 v5, v[1:4]
	s_waitcnt lgkmcnt(0)
	s_barrier
	buffer_gl0_inv
	v_cmpx_gt_u32_e32 3, v132
	s_cbranch_execz .LBB106_27
; %bb.24:
	v_dual_mov_b32 v1, 0 :: v_dual_add_nc_u32 v8, 0x2b0, v13
	v_dual_mov_b32 v2, 0 :: v_dual_add_nc_u32 v7, -1, v132
	v_or_b32_e32 v9, 8, v14
	s_mov_b32 s3, 0
	s_delay_alu instid0(VALU_DEP_2)
	v_dual_mov_b32 v4, v2 :: v_dual_mov_b32 v3, v1
	.p2align	6
.LBB106_25:                             ; =>This Inner Loop Header: Depth=1
	scratch_load_b128 v[15:18], v9, off offset:-8
	ds_load_b128 v[19:22], v8
	v_add_nc_u32_e32 v7, 1, v7
	v_add_nc_u32_e32 v8, 16, v8
	;; [unrolled: 1-line block ×3, first 2 shown]
	s_delay_alu instid0(VALU_DEP_3) | instskip(SKIP_4) | instid1(VALU_DEP_2)
	v_cmp_lt_u32_e32 vcc_lo, 1, v7
	s_or_b32 s3, vcc_lo, s3
	s_waitcnt vmcnt(0) lgkmcnt(0)
	v_mul_f64 v[10:11], v[21:22], v[17:18]
	v_mul_f64 v[17:18], v[19:20], v[17:18]
	v_fma_f64 v[10:11], v[19:20], v[15:16], -v[10:11]
	s_delay_alu instid0(VALU_DEP_2) | instskip(NEXT) | instid1(VALU_DEP_2)
	v_fma_f64 v[15:16], v[21:22], v[15:16], v[17:18]
	v_add_f64 v[3:4], v[3:4], v[10:11]
	s_delay_alu instid0(VALU_DEP_2)
	v_add_f64 v[1:2], v[1:2], v[15:16]
	s_and_not1_b32 exec_lo, exec_lo, s3
	s_cbranch_execnz .LBB106_25
; %bb.26:
	s_or_b32 exec_lo, exec_lo, s3
	v_mov_b32_e32 v7, 0
	ds_load_b128 v[7:10], v7 offset:48
	s_waitcnt lgkmcnt(0)
	v_mul_f64 v[11:12], v[1:2], v[9:10]
	v_mul_f64 v[15:16], v[3:4], v[9:10]
	s_delay_alu instid0(VALU_DEP_2) | instskip(NEXT) | instid1(VALU_DEP_2)
	v_fma_f64 v[9:10], v[3:4], v[7:8], -v[11:12]
	v_fma_f64 v[11:12], v[1:2], v[7:8], v[15:16]
	scratch_store_b128 off, v[9:12], off offset:48
.LBB106_27:
	s_or_b32 exec_lo, exec_lo, s2
	s_waitcnt_vscnt null, 0x0
	s_barrier
	buffer_gl0_inv
	scratch_load_b128 v[1:4], v133, off
	s_mov_b32 s2, exec_lo
	s_waitcnt vmcnt(0)
	ds_store_b128 v5, v[1:4]
	s_waitcnt lgkmcnt(0)
	s_barrier
	buffer_gl0_inv
	v_cmpx_gt_u32_e32 4, v132
	s_cbranch_execz .LBB106_31
; %bb.28:
	v_dual_mov_b32 v1, 0 :: v_dual_add_nc_u32 v8, 0x2b0, v13
	v_dual_mov_b32 v2, 0 :: v_dual_add_nc_u32 v7, -1, v132
	v_or_b32_e32 v9, 8, v14
	s_mov_b32 s3, 0
	s_delay_alu instid0(VALU_DEP_2)
	v_dual_mov_b32 v4, v2 :: v_dual_mov_b32 v3, v1
	.p2align	6
.LBB106_29:                             ; =>This Inner Loop Header: Depth=1
	scratch_load_b128 v[15:18], v9, off offset:-8
	ds_load_b128 v[19:22], v8
	v_add_nc_u32_e32 v7, 1, v7
	v_add_nc_u32_e32 v8, 16, v8
	;; [unrolled: 1-line block ×3, first 2 shown]
	s_delay_alu instid0(VALU_DEP_3) | instskip(SKIP_4) | instid1(VALU_DEP_2)
	v_cmp_lt_u32_e32 vcc_lo, 2, v7
	s_or_b32 s3, vcc_lo, s3
	s_waitcnt vmcnt(0) lgkmcnt(0)
	v_mul_f64 v[10:11], v[21:22], v[17:18]
	v_mul_f64 v[17:18], v[19:20], v[17:18]
	v_fma_f64 v[10:11], v[19:20], v[15:16], -v[10:11]
	s_delay_alu instid0(VALU_DEP_2) | instskip(NEXT) | instid1(VALU_DEP_2)
	v_fma_f64 v[15:16], v[21:22], v[15:16], v[17:18]
	v_add_f64 v[3:4], v[3:4], v[10:11]
	s_delay_alu instid0(VALU_DEP_2)
	v_add_f64 v[1:2], v[1:2], v[15:16]
	s_and_not1_b32 exec_lo, exec_lo, s3
	s_cbranch_execnz .LBB106_29
; %bb.30:
	s_or_b32 exec_lo, exec_lo, s3
	v_mov_b32_e32 v7, 0
	ds_load_b128 v[7:10], v7 offset:64
	s_waitcnt lgkmcnt(0)
	v_mul_f64 v[11:12], v[1:2], v[9:10]
	v_mul_f64 v[15:16], v[3:4], v[9:10]
	s_delay_alu instid0(VALU_DEP_2) | instskip(NEXT) | instid1(VALU_DEP_2)
	v_fma_f64 v[9:10], v[3:4], v[7:8], -v[11:12]
	v_fma_f64 v[11:12], v[1:2], v[7:8], v[15:16]
	scratch_store_b128 off, v[9:12], off offset:64
.LBB106_31:
	s_or_b32 exec_lo, exec_lo, s2
	s_waitcnt_vscnt null, 0x0
	s_barrier
	buffer_gl0_inv
	scratch_load_b128 v[1:4], v174, off
	s_mov_b32 s2, exec_lo
	s_waitcnt vmcnt(0)
	ds_store_b128 v5, v[1:4]
	s_waitcnt lgkmcnt(0)
	s_barrier
	buffer_gl0_inv
	v_cmpx_gt_u32_e32 5, v132
	s_cbranch_execz .LBB106_35
; %bb.32:
	v_dual_mov_b32 v1, 0 :: v_dual_add_nc_u32 v8, 0x2b0, v13
	v_dual_mov_b32 v2, 0 :: v_dual_add_nc_u32 v7, -1, v132
	v_or_b32_e32 v9, 8, v14
	s_mov_b32 s3, 0
	s_delay_alu instid0(VALU_DEP_2)
	v_dual_mov_b32 v4, v2 :: v_dual_mov_b32 v3, v1
	.p2align	6
.LBB106_33:                             ; =>This Inner Loop Header: Depth=1
	scratch_load_b128 v[15:18], v9, off offset:-8
	ds_load_b128 v[19:22], v8
	v_add_nc_u32_e32 v7, 1, v7
	v_add_nc_u32_e32 v8, 16, v8
	;; [unrolled: 1-line block ×3, first 2 shown]
	s_delay_alu instid0(VALU_DEP_3) | instskip(SKIP_4) | instid1(VALU_DEP_2)
	v_cmp_lt_u32_e32 vcc_lo, 3, v7
	s_or_b32 s3, vcc_lo, s3
	s_waitcnt vmcnt(0) lgkmcnt(0)
	v_mul_f64 v[10:11], v[21:22], v[17:18]
	v_mul_f64 v[17:18], v[19:20], v[17:18]
	v_fma_f64 v[10:11], v[19:20], v[15:16], -v[10:11]
	s_delay_alu instid0(VALU_DEP_2) | instskip(NEXT) | instid1(VALU_DEP_2)
	v_fma_f64 v[15:16], v[21:22], v[15:16], v[17:18]
	v_add_f64 v[3:4], v[3:4], v[10:11]
	s_delay_alu instid0(VALU_DEP_2)
	v_add_f64 v[1:2], v[1:2], v[15:16]
	s_and_not1_b32 exec_lo, exec_lo, s3
	s_cbranch_execnz .LBB106_33
; %bb.34:
	s_or_b32 exec_lo, exec_lo, s3
	v_mov_b32_e32 v7, 0
	ds_load_b128 v[7:10], v7 offset:80
	s_waitcnt lgkmcnt(0)
	v_mul_f64 v[11:12], v[1:2], v[9:10]
	v_mul_f64 v[15:16], v[3:4], v[9:10]
	s_delay_alu instid0(VALU_DEP_2) | instskip(NEXT) | instid1(VALU_DEP_2)
	v_fma_f64 v[9:10], v[3:4], v[7:8], -v[11:12]
	v_fma_f64 v[11:12], v[1:2], v[7:8], v[15:16]
	scratch_store_b128 off, v[9:12], off offset:80
.LBB106_35:
	s_or_b32 exec_lo, exec_lo, s2
	s_waitcnt_vscnt null, 0x0
	s_barrier
	buffer_gl0_inv
	scratch_load_b128 v[1:4], v173, off
	s_mov_b32 s2, exec_lo
	s_waitcnt vmcnt(0)
	ds_store_b128 v5, v[1:4]
	s_waitcnt lgkmcnt(0)
	s_barrier
	buffer_gl0_inv
	v_cmpx_gt_u32_e32 6, v132
	s_cbranch_execz .LBB106_39
; %bb.36:
	v_dual_mov_b32 v1, 0 :: v_dual_add_nc_u32 v8, 0x2b0, v13
	v_dual_mov_b32 v2, 0 :: v_dual_add_nc_u32 v7, -1, v132
	v_or_b32_e32 v9, 8, v14
	s_mov_b32 s3, 0
	s_delay_alu instid0(VALU_DEP_2)
	v_dual_mov_b32 v4, v2 :: v_dual_mov_b32 v3, v1
	.p2align	6
.LBB106_37:                             ; =>This Inner Loop Header: Depth=1
	scratch_load_b128 v[15:18], v9, off offset:-8
	ds_load_b128 v[19:22], v8
	v_add_nc_u32_e32 v7, 1, v7
	v_add_nc_u32_e32 v8, 16, v8
	;; [unrolled: 1-line block ×3, first 2 shown]
	s_delay_alu instid0(VALU_DEP_3) | instskip(SKIP_4) | instid1(VALU_DEP_2)
	v_cmp_lt_u32_e32 vcc_lo, 4, v7
	s_or_b32 s3, vcc_lo, s3
	s_waitcnt vmcnt(0) lgkmcnt(0)
	v_mul_f64 v[10:11], v[21:22], v[17:18]
	v_mul_f64 v[17:18], v[19:20], v[17:18]
	v_fma_f64 v[10:11], v[19:20], v[15:16], -v[10:11]
	s_delay_alu instid0(VALU_DEP_2) | instskip(NEXT) | instid1(VALU_DEP_2)
	v_fma_f64 v[15:16], v[21:22], v[15:16], v[17:18]
	v_add_f64 v[3:4], v[3:4], v[10:11]
	s_delay_alu instid0(VALU_DEP_2)
	v_add_f64 v[1:2], v[1:2], v[15:16]
	s_and_not1_b32 exec_lo, exec_lo, s3
	s_cbranch_execnz .LBB106_37
; %bb.38:
	s_or_b32 exec_lo, exec_lo, s3
	v_mov_b32_e32 v7, 0
	ds_load_b128 v[7:10], v7 offset:96
	s_waitcnt lgkmcnt(0)
	v_mul_f64 v[11:12], v[1:2], v[9:10]
	v_mul_f64 v[15:16], v[3:4], v[9:10]
	s_delay_alu instid0(VALU_DEP_2) | instskip(NEXT) | instid1(VALU_DEP_2)
	v_fma_f64 v[9:10], v[3:4], v[7:8], -v[11:12]
	v_fma_f64 v[11:12], v[1:2], v[7:8], v[15:16]
	scratch_store_b128 off, v[9:12], off offset:96
.LBB106_39:
	s_or_b32 exec_lo, exec_lo, s2
	s_waitcnt_vscnt null, 0x0
	s_barrier
	buffer_gl0_inv
	scratch_load_b128 v[1:4], v172, off
	s_mov_b32 s2, exec_lo
	s_waitcnt vmcnt(0)
	ds_store_b128 v5, v[1:4]
	s_waitcnt lgkmcnt(0)
	s_barrier
	buffer_gl0_inv
	v_cmpx_gt_u32_e32 7, v132
	s_cbranch_execz .LBB106_43
; %bb.40:
	v_dual_mov_b32 v1, 0 :: v_dual_add_nc_u32 v8, 0x2b0, v13
	v_dual_mov_b32 v2, 0 :: v_dual_add_nc_u32 v7, -1, v132
	v_or_b32_e32 v9, 8, v14
	s_mov_b32 s3, 0
	s_delay_alu instid0(VALU_DEP_2)
	v_dual_mov_b32 v4, v2 :: v_dual_mov_b32 v3, v1
	.p2align	6
.LBB106_41:                             ; =>This Inner Loop Header: Depth=1
	scratch_load_b128 v[15:18], v9, off offset:-8
	ds_load_b128 v[19:22], v8
	v_add_nc_u32_e32 v7, 1, v7
	v_add_nc_u32_e32 v8, 16, v8
	;; [unrolled: 1-line block ×3, first 2 shown]
	s_delay_alu instid0(VALU_DEP_3) | instskip(SKIP_4) | instid1(VALU_DEP_2)
	v_cmp_lt_u32_e32 vcc_lo, 5, v7
	s_or_b32 s3, vcc_lo, s3
	s_waitcnt vmcnt(0) lgkmcnt(0)
	v_mul_f64 v[10:11], v[21:22], v[17:18]
	v_mul_f64 v[17:18], v[19:20], v[17:18]
	v_fma_f64 v[10:11], v[19:20], v[15:16], -v[10:11]
	s_delay_alu instid0(VALU_DEP_2) | instskip(NEXT) | instid1(VALU_DEP_2)
	v_fma_f64 v[15:16], v[21:22], v[15:16], v[17:18]
	v_add_f64 v[3:4], v[3:4], v[10:11]
	s_delay_alu instid0(VALU_DEP_2)
	v_add_f64 v[1:2], v[1:2], v[15:16]
	s_and_not1_b32 exec_lo, exec_lo, s3
	s_cbranch_execnz .LBB106_41
; %bb.42:
	s_or_b32 exec_lo, exec_lo, s3
	v_mov_b32_e32 v7, 0
	ds_load_b128 v[7:10], v7 offset:112
	s_waitcnt lgkmcnt(0)
	v_mul_f64 v[11:12], v[1:2], v[9:10]
	v_mul_f64 v[15:16], v[3:4], v[9:10]
	s_delay_alu instid0(VALU_DEP_2) | instskip(NEXT) | instid1(VALU_DEP_2)
	v_fma_f64 v[9:10], v[3:4], v[7:8], -v[11:12]
	v_fma_f64 v[11:12], v[1:2], v[7:8], v[15:16]
	scratch_store_b128 off, v[9:12], off offset:112
.LBB106_43:
	s_or_b32 exec_lo, exec_lo, s2
	s_waitcnt_vscnt null, 0x0
	s_barrier
	buffer_gl0_inv
	scratch_load_b128 v[1:4], v171, off
	s_mov_b32 s2, exec_lo
	s_waitcnt vmcnt(0)
	ds_store_b128 v5, v[1:4]
	s_waitcnt lgkmcnt(0)
	s_barrier
	buffer_gl0_inv
	v_cmpx_gt_u32_e32 8, v132
	s_cbranch_execz .LBB106_47
; %bb.44:
	v_dual_mov_b32 v1, 0 :: v_dual_add_nc_u32 v8, 0x2b0, v13
	v_dual_mov_b32 v2, 0 :: v_dual_add_nc_u32 v7, -1, v132
	v_or_b32_e32 v9, 8, v14
	s_mov_b32 s3, 0
	s_delay_alu instid0(VALU_DEP_2)
	v_dual_mov_b32 v4, v2 :: v_dual_mov_b32 v3, v1
	.p2align	6
.LBB106_45:                             ; =>This Inner Loop Header: Depth=1
	scratch_load_b128 v[15:18], v9, off offset:-8
	ds_load_b128 v[19:22], v8
	v_add_nc_u32_e32 v7, 1, v7
	v_add_nc_u32_e32 v8, 16, v8
	;; [unrolled: 1-line block ×3, first 2 shown]
	s_delay_alu instid0(VALU_DEP_3) | instskip(SKIP_4) | instid1(VALU_DEP_2)
	v_cmp_lt_u32_e32 vcc_lo, 6, v7
	s_or_b32 s3, vcc_lo, s3
	s_waitcnt vmcnt(0) lgkmcnt(0)
	v_mul_f64 v[10:11], v[21:22], v[17:18]
	v_mul_f64 v[17:18], v[19:20], v[17:18]
	v_fma_f64 v[10:11], v[19:20], v[15:16], -v[10:11]
	s_delay_alu instid0(VALU_DEP_2) | instskip(NEXT) | instid1(VALU_DEP_2)
	v_fma_f64 v[15:16], v[21:22], v[15:16], v[17:18]
	v_add_f64 v[3:4], v[3:4], v[10:11]
	s_delay_alu instid0(VALU_DEP_2)
	v_add_f64 v[1:2], v[1:2], v[15:16]
	s_and_not1_b32 exec_lo, exec_lo, s3
	s_cbranch_execnz .LBB106_45
; %bb.46:
	s_or_b32 exec_lo, exec_lo, s3
	v_mov_b32_e32 v7, 0
	ds_load_b128 v[7:10], v7 offset:128
	s_waitcnt lgkmcnt(0)
	v_mul_f64 v[11:12], v[1:2], v[9:10]
	v_mul_f64 v[15:16], v[3:4], v[9:10]
	s_delay_alu instid0(VALU_DEP_2) | instskip(NEXT) | instid1(VALU_DEP_2)
	v_fma_f64 v[9:10], v[3:4], v[7:8], -v[11:12]
	v_fma_f64 v[11:12], v[1:2], v[7:8], v[15:16]
	scratch_store_b128 off, v[9:12], off offset:128
.LBB106_47:
	s_or_b32 exec_lo, exec_lo, s2
	s_waitcnt_vscnt null, 0x0
	s_barrier
	buffer_gl0_inv
	scratch_load_b128 v[1:4], v170, off
	s_mov_b32 s2, exec_lo
	s_waitcnt vmcnt(0)
	ds_store_b128 v5, v[1:4]
	s_waitcnt lgkmcnt(0)
	s_barrier
	buffer_gl0_inv
	v_cmpx_gt_u32_e32 9, v132
	s_cbranch_execz .LBB106_51
; %bb.48:
	v_dual_mov_b32 v1, 0 :: v_dual_add_nc_u32 v8, 0x2b0, v13
	v_dual_mov_b32 v2, 0 :: v_dual_add_nc_u32 v7, -1, v132
	v_or_b32_e32 v9, 8, v14
	s_mov_b32 s3, 0
	s_delay_alu instid0(VALU_DEP_2)
	v_dual_mov_b32 v4, v2 :: v_dual_mov_b32 v3, v1
	.p2align	6
.LBB106_49:                             ; =>This Inner Loop Header: Depth=1
	scratch_load_b128 v[15:18], v9, off offset:-8
	ds_load_b128 v[19:22], v8
	v_add_nc_u32_e32 v7, 1, v7
	v_add_nc_u32_e32 v8, 16, v8
	;; [unrolled: 1-line block ×3, first 2 shown]
	s_delay_alu instid0(VALU_DEP_3) | instskip(SKIP_4) | instid1(VALU_DEP_2)
	v_cmp_lt_u32_e32 vcc_lo, 7, v7
	s_or_b32 s3, vcc_lo, s3
	s_waitcnt vmcnt(0) lgkmcnt(0)
	v_mul_f64 v[10:11], v[21:22], v[17:18]
	v_mul_f64 v[17:18], v[19:20], v[17:18]
	v_fma_f64 v[10:11], v[19:20], v[15:16], -v[10:11]
	s_delay_alu instid0(VALU_DEP_2) | instskip(NEXT) | instid1(VALU_DEP_2)
	v_fma_f64 v[15:16], v[21:22], v[15:16], v[17:18]
	v_add_f64 v[3:4], v[3:4], v[10:11]
	s_delay_alu instid0(VALU_DEP_2)
	v_add_f64 v[1:2], v[1:2], v[15:16]
	s_and_not1_b32 exec_lo, exec_lo, s3
	s_cbranch_execnz .LBB106_49
; %bb.50:
	s_or_b32 exec_lo, exec_lo, s3
	v_mov_b32_e32 v7, 0
	ds_load_b128 v[7:10], v7 offset:144
	s_waitcnt lgkmcnt(0)
	v_mul_f64 v[11:12], v[1:2], v[9:10]
	v_mul_f64 v[15:16], v[3:4], v[9:10]
	s_delay_alu instid0(VALU_DEP_2) | instskip(NEXT) | instid1(VALU_DEP_2)
	v_fma_f64 v[9:10], v[3:4], v[7:8], -v[11:12]
	v_fma_f64 v[11:12], v[1:2], v[7:8], v[15:16]
	scratch_store_b128 off, v[9:12], off offset:144
.LBB106_51:
	s_or_b32 exec_lo, exec_lo, s2
	s_waitcnt_vscnt null, 0x0
	s_barrier
	buffer_gl0_inv
	scratch_load_b128 v[1:4], v169, off
	s_mov_b32 s2, exec_lo
	s_waitcnt vmcnt(0)
	ds_store_b128 v5, v[1:4]
	s_waitcnt lgkmcnt(0)
	s_barrier
	buffer_gl0_inv
	v_cmpx_gt_u32_e32 10, v132
	s_cbranch_execz .LBB106_55
; %bb.52:
	v_dual_mov_b32 v1, 0 :: v_dual_add_nc_u32 v8, 0x2b0, v13
	v_dual_mov_b32 v2, 0 :: v_dual_add_nc_u32 v7, -1, v132
	v_or_b32_e32 v9, 8, v14
	s_mov_b32 s3, 0
	s_delay_alu instid0(VALU_DEP_2)
	v_dual_mov_b32 v4, v2 :: v_dual_mov_b32 v3, v1
	.p2align	6
.LBB106_53:                             ; =>This Inner Loop Header: Depth=1
	scratch_load_b128 v[15:18], v9, off offset:-8
	ds_load_b128 v[19:22], v8
	v_add_nc_u32_e32 v7, 1, v7
	v_add_nc_u32_e32 v8, 16, v8
	;; [unrolled: 1-line block ×3, first 2 shown]
	s_delay_alu instid0(VALU_DEP_3) | instskip(SKIP_4) | instid1(VALU_DEP_2)
	v_cmp_lt_u32_e32 vcc_lo, 8, v7
	s_or_b32 s3, vcc_lo, s3
	s_waitcnt vmcnt(0) lgkmcnt(0)
	v_mul_f64 v[10:11], v[21:22], v[17:18]
	v_mul_f64 v[17:18], v[19:20], v[17:18]
	v_fma_f64 v[10:11], v[19:20], v[15:16], -v[10:11]
	s_delay_alu instid0(VALU_DEP_2) | instskip(NEXT) | instid1(VALU_DEP_2)
	v_fma_f64 v[15:16], v[21:22], v[15:16], v[17:18]
	v_add_f64 v[3:4], v[3:4], v[10:11]
	s_delay_alu instid0(VALU_DEP_2)
	v_add_f64 v[1:2], v[1:2], v[15:16]
	s_and_not1_b32 exec_lo, exec_lo, s3
	s_cbranch_execnz .LBB106_53
; %bb.54:
	s_or_b32 exec_lo, exec_lo, s3
	v_mov_b32_e32 v7, 0
	ds_load_b128 v[7:10], v7 offset:160
	s_waitcnt lgkmcnt(0)
	v_mul_f64 v[11:12], v[1:2], v[9:10]
	v_mul_f64 v[15:16], v[3:4], v[9:10]
	s_delay_alu instid0(VALU_DEP_2) | instskip(NEXT) | instid1(VALU_DEP_2)
	v_fma_f64 v[9:10], v[3:4], v[7:8], -v[11:12]
	v_fma_f64 v[11:12], v[1:2], v[7:8], v[15:16]
	scratch_store_b128 off, v[9:12], off offset:160
.LBB106_55:
	s_or_b32 exec_lo, exec_lo, s2
	s_waitcnt_vscnt null, 0x0
	s_barrier
	buffer_gl0_inv
	scratch_load_b128 v[1:4], v167, off
	s_mov_b32 s2, exec_lo
	s_waitcnt vmcnt(0)
	ds_store_b128 v5, v[1:4]
	s_waitcnt lgkmcnt(0)
	s_barrier
	buffer_gl0_inv
	v_cmpx_gt_u32_e32 11, v132
	s_cbranch_execz .LBB106_59
; %bb.56:
	v_dual_mov_b32 v1, 0 :: v_dual_add_nc_u32 v8, 0x2b0, v13
	v_dual_mov_b32 v2, 0 :: v_dual_add_nc_u32 v7, -1, v132
	v_or_b32_e32 v9, 8, v14
	s_mov_b32 s3, 0
	s_delay_alu instid0(VALU_DEP_2)
	v_dual_mov_b32 v4, v2 :: v_dual_mov_b32 v3, v1
	.p2align	6
.LBB106_57:                             ; =>This Inner Loop Header: Depth=1
	scratch_load_b128 v[15:18], v9, off offset:-8
	ds_load_b128 v[19:22], v8
	v_add_nc_u32_e32 v7, 1, v7
	v_add_nc_u32_e32 v8, 16, v8
	;; [unrolled: 1-line block ×3, first 2 shown]
	s_delay_alu instid0(VALU_DEP_3) | instskip(SKIP_4) | instid1(VALU_DEP_2)
	v_cmp_lt_u32_e32 vcc_lo, 9, v7
	s_or_b32 s3, vcc_lo, s3
	s_waitcnt vmcnt(0) lgkmcnt(0)
	v_mul_f64 v[10:11], v[21:22], v[17:18]
	v_mul_f64 v[17:18], v[19:20], v[17:18]
	v_fma_f64 v[10:11], v[19:20], v[15:16], -v[10:11]
	s_delay_alu instid0(VALU_DEP_2) | instskip(NEXT) | instid1(VALU_DEP_2)
	v_fma_f64 v[15:16], v[21:22], v[15:16], v[17:18]
	v_add_f64 v[3:4], v[3:4], v[10:11]
	s_delay_alu instid0(VALU_DEP_2)
	v_add_f64 v[1:2], v[1:2], v[15:16]
	s_and_not1_b32 exec_lo, exec_lo, s3
	s_cbranch_execnz .LBB106_57
; %bb.58:
	s_or_b32 exec_lo, exec_lo, s3
	v_mov_b32_e32 v7, 0
	ds_load_b128 v[7:10], v7 offset:176
	s_waitcnt lgkmcnt(0)
	v_mul_f64 v[11:12], v[1:2], v[9:10]
	v_mul_f64 v[15:16], v[3:4], v[9:10]
	s_delay_alu instid0(VALU_DEP_2) | instskip(NEXT) | instid1(VALU_DEP_2)
	v_fma_f64 v[9:10], v[3:4], v[7:8], -v[11:12]
	v_fma_f64 v[11:12], v[1:2], v[7:8], v[15:16]
	scratch_store_b128 off, v[9:12], off offset:176
.LBB106_59:
	s_or_b32 exec_lo, exec_lo, s2
	s_waitcnt_vscnt null, 0x0
	s_barrier
	buffer_gl0_inv
	scratch_load_b128 v[1:4], v166, off
	s_mov_b32 s2, exec_lo
	s_waitcnt vmcnt(0)
	ds_store_b128 v5, v[1:4]
	s_waitcnt lgkmcnt(0)
	s_barrier
	buffer_gl0_inv
	v_cmpx_gt_u32_e32 12, v132
	s_cbranch_execz .LBB106_63
; %bb.60:
	v_dual_mov_b32 v1, 0 :: v_dual_add_nc_u32 v8, 0x2b0, v13
	v_dual_mov_b32 v2, 0 :: v_dual_add_nc_u32 v7, -1, v132
	v_or_b32_e32 v9, 8, v14
	s_mov_b32 s3, 0
	s_delay_alu instid0(VALU_DEP_2)
	v_dual_mov_b32 v4, v2 :: v_dual_mov_b32 v3, v1
	.p2align	6
.LBB106_61:                             ; =>This Inner Loop Header: Depth=1
	scratch_load_b128 v[15:18], v9, off offset:-8
	ds_load_b128 v[19:22], v8
	v_add_nc_u32_e32 v7, 1, v7
	v_add_nc_u32_e32 v8, 16, v8
	;; [unrolled: 1-line block ×3, first 2 shown]
	s_delay_alu instid0(VALU_DEP_3) | instskip(SKIP_4) | instid1(VALU_DEP_2)
	v_cmp_lt_u32_e32 vcc_lo, 10, v7
	s_or_b32 s3, vcc_lo, s3
	s_waitcnt vmcnt(0) lgkmcnt(0)
	v_mul_f64 v[10:11], v[21:22], v[17:18]
	v_mul_f64 v[17:18], v[19:20], v[17:18]
	v_fma_f64 v[10:11], v[19:20], v[15:16], -v[10:11]
	s_delay_alu instid0(VALU_DEP_2) | instskip(NEXT) | instid1(VALU_DEP_2)
	v_fma_f64 v[15:16], v[21:22], v[15:16], v[17:18]
	v_add_f64 v[3:4], v[3:4], v[10:11]
	s_delay_alu instid0(VALU_DEP_2)
	v_add_f64 v[1:2], v[1:2], v[15:16]
	s_and_not1_b32 exec_lo, exec_lo, s3
	s_cbranch_execnz .LBB106_61
; %bb.62:
	s_or_b32 exec_lo, exec_lo, s3
	v_mov_b32_e32 v7, 0
	ds_load_b128 v[7:10], v7 offset:192
	s_waitcnt lgkmcnt(0)
	v_mul_f64 v[11:12], v[1:2], v[9:10]
	v_mul_f64 v[15:16], v[3:4], v[9:10]
	s_delay_alu instid0(VALU_DEP_2) | instskip(NEXT) | instid1(VALU_DEP_2)
	v_fma_f64 v[9:10], v[3:4], v[7:8], -v[11:12]
	v_fma_f64 v[11:12], v[1:2], v[7:8], v[15:16]
	scratch_store_b128 off, v[9:12], off offset:192
.LBB106_63:
	s_or_b32 exec_lo, exec_lo, s2
	s_waitcnt_vscnt null, 0x0
	s_barrier
	buffer_gl0_inv
	scratch_load_b128 v[1:4], v165, off
	s_mov_b32 s2, exec_lo
	s_waitcnt vmcnt(0)
	ds_store_b128 v5, v[1:4]
	s_waitcnt lgkmcnt(0)
	s_barrier
	buffer_gl0_inv
	v_cmpx_gt_u32_e32 13, v132
	s_cbranch_execz .LBB106_67
; %bb.64:
	v_dual_mov_b32 v1, 0 :: v_dual_add_nc_u32 v8, 0x2b0, v13
	v_dual_mov_b32 v2, 0 :: v_dual_add_nc_u32 v7, -1, v132
	v_or_b32_e32 v9, 8, v14
	s_mov_b32 s3, 0
	s_delay_alu instid0(VALU_DEP_2)
	v_dual_mov_b32 v4, v2 :: v_dual_mov_b32 v3, v1
	.p2align	6
.LBB106_65:                             ; =>This Inner Loop Header: Depth=1
	scratch_load_b128 v[15:18], v9, off offset:-8
	ds_load_b128 v[19:22], v8
	v_add_nc_u32_e32 v7, 1, v7
	v_add_nc_u32_e32 v8, 16, v8
	;; [unrolled: 1-line block ×3, first 2 shown]
	s_delay_alu instid0(VALU_DEP_3) | instskip(SKIP_4) | instid1(VALU_DEP_2)
	v_cmp_lt_u32_e32 vcc_lo, 11, v7
	s_or_b32 s3, vcc_lo, s3
	s_waitcnt vmcnt(0) lgkmcnt(0)
	v_mul_f64 v[10:11], v[21:22], v[17:18]
	v_mul_f64 v[17:18], v[19:20], v[17:18]
	v_fma_f64 v[10:11], v[19:20], v[15:16], -v[10:11]
	s_delay_alu instid0(VALU_DEP_2) | instskip(NEXT) | instid1(VALU_DEP_2)
	v_fma_f64 v[15:16], v[21:22], v[15:16], v[17:18]
	v_add_f64 v[3:4], v[3:4], v[10:11]
	s_delay_alu instid0(VALU_DEP_2)
	v_add_f64 v[1:2], v[1:2], v[15:16]
	s_and_not1_b32 exec_lo, exec_lo, s3
	s_cbranch_execnz .LBB106_65
; %bb.66:
	s_or_b32 exec_lo, exec_lo, s3
	v_mov_b32_e32 v7, 0
	ds_load_b128 v[7:10], v7 offset:208
	s_waitcnt lgkmcnt(0)
	v_mul_f64 v[11:12], v[1:2], v[9:10]
	v_mul_f64 v[15:16], v[3:4], v[9:10]
	s_delay_alu instid0(VALU_DEP_2) | instskip(NEXT) | instid1(VALU_DEP_2)
	v_fma_f64 v[9:10], v[3:4], v[7:8], -v[11:12]
	v_fma_f64 v[11:12], v[1:2], v[7:8], v[15:16]
	scratch_store_b128 off, v[9:12], off offset:208
.LBB106_67:
	s_or_b32 exec_lo, exec_lo, s2
	s_waitcnt_vscnt null, 0x0
	s_barrier
	buffer_gl0_inv
	scratch_load_b128 v[1:4], v163, off
	s_mov_b32 s2, exec_lo
	s_waitcnt vmcnt(0)
	ds_store_b128 v5, v[1:4]
	s_waitcnt lgkmcnt(0)
	s_barrier
	buffer_gl0_inv
	v_cmpx_gt_u32_e32 14, v132
	s_cbranch_execz .LBB106_71
; %bb.68:
	v_dual_mov_b32 v1, 0 :: v_dual_add_nc_u32 v8, 0x2b0, v13
	v_dual_mov_b32 v2, 0 :: v_dual_add_nc_u32 v7, -1, v132
	v_or_b32_e32 v9, 8, v14
	s_mov_b32 s3, 0
	s_delay_alu instid0(VALU_DEP_2)
	v_dual_mov_b32 v4, v2 :: v_dual_mov_b32 v3, v1
	.p2align	6
.LBB106_69:                             ; =>This Inner Loop Header: Depth=1
	scratch_load_b128 v[15:18], v9, off offset:-8
	ds_load_b128 v[19:22], v8
	v_add_nc_u32_e32 v7, 1, v7
	v_add_nc_u32_e32 v8, 16, v8
	;; [unrolled: 1-line block ×3, first 2 shown]
	s_delay_alu instid0(VALU_DEP_3) | instskip(SKIP_4) | instid1(VALU_DEP_2)
	v_cmp_lt_u32_e32 vcc_lo, 12, v7
	s_or_b32 s3, vcc_lo, s3
	s_waitcnt vmcnt(0) lgkmcnt(0)
	v_mul_f64 v[10:11], v[21:22], v[17:18]
	v_mul_f64 v[17:18], v[19:20], v[17:18]
	v_fma_f64 v[10:11], v[19:20], v[15:16], -v[10:11]
	s_delay_alu instid0(VALU_DEP_2) | instskip(NEXT) | instid1(VALU_DEP_2)
	v_fma_f64 v[15:16], v[21:22], v[15:16], v[17:18]
	v_add_f64 v[3:4], v[3:4], v[10:11]
	s_delay_alu instid0(VALU_DEP_2)
	v_add_f64 v[1:2], v[1:2], v[15:16]
	s_and_not1_b32 exec_lo, exec_lo, s3
	s_cbranch_execnz .LBB106_69
; %bb.70:
	s_or_b32 exec_lo, exec_lo, s3
	v_mov_b32_e32 v7, 0
	ds_load_b128 v[7:10], v7 offset:224
	s_waitcnt lgkmcnt(0)
	v_mul_f64 v[11:12], v[1:2], v[9:10]
	v_mul_f64 v[15:16], v[3:4], v[9:10]
	s_delay_alu instid0(VALU_DEP_2) | instskip(NEXT) | instid1(VALU_DEP_2)
	v_fma_f64 v[9:10], v[3:4], v[7:8], -v[11:12]
	v_fma_f64 v[11:12], v[1:2], v[7:8], v[15:16]
	scratch_store_b128 off, v[9:12], off offset:224
.LBB106_71:
	s_or_b32 exec_lo, exec_lo, s2
	s_waitcnt_vscnt null, 0x0
	s_barrier
	buffer_gl0_inv
	scratch_load_b128 v[1:4], v161, off
	s_mov_b32 s2, exec_lo
	s_waitcnt vmcnt(0)
	ds_store_b128 v5, v[1:4]
	s_waitcnt lgkmcnt(0)
	s_barrier
	buffer_gl0_inv
	v_cmpx_gt_u32_e32 15, v132
	s_cbranch_execz .LBB106_75
; %bb.72:
	v_dual_mov_b32 v1, 0 :: v_dual_add_nc_u32 v8, 0x2b0, v13
	v_dual_mov_b32 v2, 0 :: v_dual_add_nc_u32 v7, -1, v132
	v_or_b32_e32 v9, 8, v14
	s_mov_b32 s3, 0
	s_delay_alu instid0(VALU_DEP_2)
	v_dual_mov_b32 v4, v2 :: v_dual_mov_b32 v3, v1
	.p2align	6
.LBB106_73:                             ; =>This Inner Loop Header: Depth=1
	scratch_load_b128 v[15:18], v9, off offset:-8
	ds_load_b128 v[19:22], v8
	v_add_nc_u32_e32 v7, 1, v7
	v_add_nc_u32_e32 v8, 16, v8
	;; [unrolled: 1-line block ×3, first 2 shown]
	s_delay_alu instid0(VALU_DEP_3) | instskip(SKIP_4) | instid1(VALU_DEP_2)
	v_cmp_lt_u32_e32 vcc_lo, 13, v7
	s_or_b32 s3, vcc_lo, s3
	s_waitcnt vmcnt(0) lgkmcnt(0)
	v_mul_f64 v[10:11], v[21:22], v[17:18]
	v_mul_f64 v[17:18], v[19:20], v[17:18]
	v_fma_f64 v[10:11], v[19:20], v[15:16], -v[10:11]
	s_delay_alu instid0(VALU_DEP_2) | instskip(NEXT) | instid1(VALU_DEP_2)
	v_fma_f64 v[15:16], v[21:22], v[15:16], v[17:18]
	v_add_f64 v[3:4], v[3:4], v[10:11]
	s_delay_alu instid0(VALU_DEP_2)
	v_add_f64 v[1:2], v[1:2], v[15:16]
	s_and_not1_b32 exec_lo, exec_lo, s3
	s_cbranch_execnz .LBB106_73
; %bb.74:
	s_or_b32 exec_lo, exec_lo, s3
	v_mov_b32_e32 v7, 0
	ds_load_b128 v[7:10], v7 offset:240
	s_waitcnt lgkmcnt(0)
	v_mul_f64 v[11:12], v[1:2], v[9:10]
	v_mul_f64 v[15:16], v[3:4], v[9:10]
	s_delay_alu instid0(VALU_DEP_2) | instskip(NEXT) | instid1(VALU_DEP_2)
	v_fma_f64 v[9:10], v[3:4], v[7:8], -v[11:12]
	v_fma_f64 v[11:12], v[1:2], v[7:8], v[15:16]
	scratch_store_b128 off, v[9:12], off offset:240
.LBB106_75:
	s_or_b32 exec_lo, exec_lo, s2
	s_waitcnt_vscnt null, 0x0
	s_barrier
	buffer_gl0_inv
	scratch_load_b128 v[1:4], v160, off
	s_mov_b32 s2, exec_lo
	s_waitcnt vmcnt(0)
	ds_store_b128 v5, v[1:4]
	s_waitcnt lgkmcnt(0)
	s_barrier
	buffer_gl0_inv
	v_cmpx_gt_u32_e32 16, v132
	s_cbranch_execz .LBB106_79
; %bb.76:
	v_dual_mov_b32 v1, 0 :: v_dual_add_nc_u32 v8, 0x2b0, v13
	v_dual_mov_b32 v2, 0 :: v_dual_add_nc_u32 v7, -1, v132
	v_or_b32_e32 v9, 8, v14
	s_mov_b32 s3, 0
	s_delay_alu instid0(VALU_DEP_2)
	v_dual_mov_b32 v4, v2 :: v_dual_mov_b32 v3, v1
	.p2align	6
.LBB106_77:                             ; =>This Inner Loop Header: Depth=1
	scratch_load_b128 v[15:18], v9, off offset:-8
	ds_load_b128 v[19:22], v8
	v_add_nc_u32_e32 v7, 1, v7
	v_add_nc_u32_e32 v8, 16, v8
	;; [unrolled: 1-line block ×3, first 2 shown]
	s_delay_alu instid0(VALU_DEP_3) | instskip(SKIP_4) | instid1(VALU_DEP_2)
	v_cmp_lt_u32_e32 vcc_lo, 14, v7
	s_or_b32 s3, vcc_lo, s3
	s_waitcnt vmcnt(0) lgkmcnt(0)
	v_mul_f64 v[10:11], v[21:22], v[17:18]
	v_mul_f64 v[17:18], v[19:20], v[17:18]
	v_fma_f64 v[10:11], v[19:20], v[15:16], -v[10:11]
	s_delay_alu instid0(VALU_DEP_2) | instskip(NEXT) | instid1(VALU_DEP_2)
	v_fma_f64 v[15:16], v[21:22], v[15:16], v[17:18]
	v_add_f64 v[3:4], v[3:4], v[10:11]
	s_delay_alu instid0(VALU_DEP_2)
	v_add_f64 v[1:2], v[1:2], v[15:16]
	s_and_not1_b32 exec_lo, exec_lo, s3
	s_cbranch_execnz .LBB106_77
; %bb.78:
	s_or_b32 exec_lo, exec_lo, s3
	v_mov_b32_e32 v7, 0
	ds_load_b128 v[7:10], v7 offset:256
	s_waitcnt lgkmcnt(0)
	v_mul_f64 v[11:12], v[1:2], v[9:10]
	v_mul_f64 v[15:16], v[3:4], v[9:10]
	s_delay_alu instid0(VALU_DEP_2) | instskip(NEXT) | instid1(VALU_DEP_2)
	v_fma_f64 v[9:10], v[3:4], v[7:8], -v[11:12]
	v_fma_f64 v[11:12], v[1:2], v[7:8], v[15:16]
	scratch_store_b128 off, v[9:12], off offset:256
.LBB106_79:
	s_or_b32 exec_lo, exec_lo, s2
	s_waitcnt_vscnt null, 0x0
	s_barrier
	buffer_gl0_inv
	scratch_load_b128 v[1:4], v159, off
	s_mov_b32 s2, exec_lo
	s_waitcnt vmcnt(0)
	ds_store_b128 v5, v[1:4]
	s_waitcnt lgkmcnt(0)
	s_barrier
	buffer_gl0_inv
	v_cmpx_gt_u32_e32 17, v132
	s_cbranch_execz .LBB106_83
; %bb.80:
	v_dual_mov_b32 v1, 0 :: v_dual_add_nc_u32 v8, 0x2b0, v13
	v_dual_mov_b32 v2, 0 :: v_dual_add_nc_u32 v7, -1, v132
	v_or_b32_e32 v9, 8, v14
	s_mov_b32 s3, 0
	s_delay_alu instid0(VALU_DEP_2)
	v_dual_mov_b32 v4, v2 :: v_dual_mov_b32 v3, v1
	.p2align	6
.LBB106_81:                             ; =>This Inner Loop Header: Depth=1
	scratch_load_b128 v[15:18], v9, off offset:-8
	ds_load_b128 v[19:22], v8
	v_add_nc_u32_e32 v7, 1, v7
	v_add_nc_u32_e32 v8, 16, v8
	;; [unrolled: 1-line block ×3, first 2 shown]
	s_delay_alu instid0(VALU_DEP_3) | instskip(SKIP_4) | instid1(VALU_DEP_2)
	v_cmp_lt_u32_e32 vcc_lo, 15, v7
	s_or_b32 s3, vcc_lo, s3
	s_waitcnt vmcnt(0) lgkmcnt(0)
	v_mul_f64 v[10:11], v[21:22], v[17:18]
	v_mul_f64 v[17:18], v[19:20], v[17:18]
	v_fma_f64 v[10:11], v[19:20], v[15:16], -v[10:11]
	s_delay_alu instid0(VALU_DEP_2) | instskip(NEXT) | instid1(VALU_DEP_2)
	v_fma_f64 v[15:16], v[21:22], v[15:16], v[17:18]
	v_add_f64 v[3:4], v[3:4], v[10:11]
	s_delay_alu instid0(VALU_DEP_2)
	v_add_f64 v[1:2], v[1:2], v[15:16]
	s_and_not1_b32 exec_lo, exec_lo, s3
	s_cbranch_execnz .LBB106_81
; %bb.82:
	s_or_b32 exec_lo, exec_lo, s3
	v_mov_b32_e32 v7, 0
	ds_load_b128 v[7:10], v7 offset:272
	s_waitcnt lgkmcnt(0)
	v_mul_f64 v[11:12], v[1:2], v[9:10]
	v_mul_f64 v[15:16], v[3:4], v[9:10]
	s_delay_alu instid0(VALU_DEP_2) | instskip(NEXT) | instid1(VALU_DEP_2)
	v_fma_f64 v[9:10], v[3:4], v[7:8], -v[11:12]
	v_fma_f64 v[11:12], v[1:2], v[7:8], v[15:16]
	scratch_store_b128 off, v[9:12], off offset:272
.LBB106_83:
	s_or_b32 exec_lo, exec_lo, s2
	s_waitcnt_vscnt null, 0x0
	s_barrier
	buffer_gl0_inv
	scratch_load_b128 v[1:4], v157, off
	s_mov_b32 s2, exec_lo
	s_waitcnt vmcnt(0)
	ds_store_b128 v5, v[1:4]
	s_waitcnt lgkmcnt(0)
	s_barrier
	buffer_gl0_inv
	v_cmpx_gt_u32_e32 18, v132
	s_cbranch_execz .LBB106_87
; %bb.84:
	v_dual_mov_b32 v1, 0 :: v_dual_add_nc_u32 v8, 0x2b0, v13
	v_dual_mov_b32 v2, 0 :: v_dual_add_nc_u32 v7, -1, v132
	v_or_b32_e32 v9, 8, v14
	s_mov_b32 s3, 0
	s_delay_alu instid0(VALU_DEP_2)
	v_dual_mov_b32 v4, v2 :: v_dual_mov_b32 v3, v1
	.p2align	6
.LBB106_85:                             ; =>This Inner Loop Header: Depth=1
	scratch_load_b128 v[15:18], v9, off offset:-8
	ds_load_b128 v[19:22], v8
	v_add_nc_u32_e32 v7, 1, v7
	v_add_nc_u32_e32 v8, 16, v8
	;; [unrolled: 1-line block ×3, first 2 shown]
	s_delay_alu instid0(VALU_DEP_3) | instskip(SKIP_4) | instid1(VALU_DEP_2)
	v_cmp_lt_u32_e32 vcc_lo, 16, v7
	s_or_b32 s3, vcc_lo, s3
	s_waitcnt vmcnt(0) lgkmcnt(0)
	v_mul_f64 v[10:11], v[21:22], v[17:18]
	v_mul_f64 v[17:18], v[19:20], v[17:18]
	v_fma_f64 v[10:11], v[19:20], v[15:16], -v[10:11]
	s_delay_alu instid0(VALU_DEP_2) | instskip(NEXT) | instid1(VALU_DEP_2)
	v_fma_f64 v[15:16], v[21:22], v[15:16], v[17:18]
	v_add_f64 v[3:4], v[3:4], v[10:11]
	s_delay_alu instid0(VALU_DEP_2)
	v_add_f64 v[1:2], v[1:2], v[15:16]
	s_and_not1_b32 exec_lo, exec_lo, s3
	s_cbranch_execnz .LBB106_85
; %bb.86:
	s_or_b32 exec_lo, exec_lo, s3
	v_mov_b32_e32 v7, 0
	ds_load_b128 v[7:10], v7 offset:288
	s_waitcnt lgkmcnt(0)
	v_mul_f64 v[11:12], v[1:2], v[9:10]
	v_mul_f64 v[15:16], v[3:4], v[9:10]
	s_delay_alu instid0(VALU_DEP_2) | instskip(NEXT) | instid1(VALU_DEP_2)
	v_fma_f64 v[9:10], v[3:4], v[7:8], -v[11:12]
	v_fma_f64 v[11:12], v[1:2], v[7:8], v[15:16]
	scratch_store_b128 off, v[9:12], off offset:288
.LBB106_87:
	s_or_b32 exec_lo, exec_lo, s2
	s_waitcnt_vscnt null, 0x0
	s_barrier
	buffer_gl0_inv
	scratch_load_b128 v[1:4], v155, off
	s_mov_b32 s2, exec_lo
	s_waitcnt vmcnt(0)
	ds_store_b128 v5, v[1:4]
	s_waitcnt lgkmcnt(0)
	s_barrier
	buffer_gl0_inv
	v_cmpx_gt_u32_e32 19, v132
	s_cbranch_execz .LBB106_91
; %bb.88:
	v_dual_mov_b32 v1, 0 :: v_dual_add_nc_u32 v8, 0x2b0, v13
	v_dual_mov_b32 v2, 0 :: v_dual_add_nc_u32 v7, -1, v132
	v_or_b32_e32 v9, 8, v14
	s_mov_b32 s3, 0
	s_delay_alu instid0(VALU_DEP_2)
	v_dual_mov_b32 v4, v2 :: v_dual_mov_b32 v3, v1
	.p2align	6
.LBB106_89:                             ; =>This Inner Loop Header: Depth=1
	scratch_load_b128 v[15:18], v9, off offset:-8
	ds_load_b128 v[19:22], v8
	v_add_nc_u32_e32 v7, 1, v7
	v_add_nc_u32_e32 v8, 16, v8
	;; [unrolled: 1-line block ×3, first 2 shown]
	s_delay_alu instid0(VALU_DEP_3) | instskip(SKIP_4) | instid1(VALU_DEP_2)
	v_cmp_lt_u32_e32 vcc_lo, 17, v7
	s_or_b32 s3, vcc_lo, s3
	s_waitcnt vmcnt(0) lgkmcnt(0)
	v_mul_f64 v[10:11], v[21:22], v[17:18]
	v_mul_f64 v[17:18], v[19:20], v[17:18]
	v_fma_f64 v[10:11], v[19:20], v[15:16], -v[10:11]
	s_delay_alu instid0(VALU_DEP_2) | instskip(NEXT) | instid1(VALU_DEP_2)
	v_fma_f64 v[15:16], v[21:22], v[15:16], v[17:18]
	v_add_f64 v[3:4], v[3:4], v[10:11]
	s_delay_alu instid0(VALU_DEP_2)
	v_add_f64 v[1:2], v[1:2], v[15:16]
	s_and_not1_b32 exec_lo, exec_lo, s3
	s_cbranch_execnz .LBB106_89
; %bb.90:
	s_or_b32 exec_lo, exec_lo, s3
	v_mov_b32_e32 v7, 0
	ds_load_b128 v[7:10], v7 offset:304
	s_waitcnt lgkmcnt(0)
	v_mul_f64 v[11:12], v[1:2], v[9:10]
	v_mul_f64 v[15:16], v[3:4], v[9:10]
	s_delay_alu instid0(VALU_DEP_2) | instskip(NEXT) | instid1(VALU_DEP_2)
	v_fma_f64 v[9:10], v[3:4], v[7:8], -v[11:12]
	v_fma_f64 v[11:12], v[1:2], v[7:8], v[15:16]
	scratch_store_b128 off, v[9:12], off offset:304
.LBB106_91:
	s_or_b32 exec_lo, exec_lo, s2
	s_waitcnt_vscnt null, 0x0
	s_barrier
	buffer_gl0_inv
	scratch_load_b128 v[1:4], v154, off
	s_mov_b32 s2, exec_lo
	s_waitcnt vmcnt(0)
	ds_store_b128 v5, v[1:4]
	s_waitcnt lgkmcnt(0)
	s_barrier
	buffer_gl0_inv
	v_cmpx_gt_u32_e32 20, v132
	s_cbranch_execz .LBB106_95
; %bb.92:
	v_dual_mov_b32 v1, 0 :: v_dual_add_nc_u32 v8, 0x2b0, v13
	v_dual_mov_b32 v2, 0 :: v_dual_add_nc_u32 v7, -1, v132
	v_or_b32_e32 v9, 8, v14
	s_mov_b32 s3, 0
	s_delay_alu instid0(VALU_DEP_2)
	v_dual_mov_b32 v4, v2 :: v_dual_mov_b32 v3, v1
	.p2align	6
.LBB106_93:                             ; =>This Inner Loop Header: Depth=1
	scratch_load_b128 v[15:18], v9, off offset:-8
	ds_load_b128 v[19:22], v8
	v_add_nc_u32_e32 v7, 1, v7
	v_add_nc_u32_e32 v8, 16, v8
	;; [unrolled: 1-line block ×3, first 2 shown]
	s_delay_alu instid0(VALU_DEP_3) | instskip(SKIP_4) | instid1(VALU_DEP_2)
	v_cmp_lt_u32_e32 vcc_lo, 18, v7
	s_or_b32 s3, vcc_lo, s3
	s_waitcnt vmcnt(0) lgkmcnt(0)
	v_mul_f64 v[10:11], v[21:22], v[17:18]
	v_mul_f64 v[17:18], v[19:20], v[17:18]
	v_fma_f64 v[10:11], v[19:20], v[15:16], -v[10:11]
	s_delay_alu instid0(VALU_DEP_2) | instskip(NEXT) | instid1(VALU_DEP_2)
	v_fma_f64 v[15:16], v[21:22], v[15:16], v[17:18]
	v_add_f64 v[3:4], v[3:4], v[10:11]
	s_delay_alu instid0(VALU_DEP_2)
	v_add_f64 v[1:2], v[1:2], v[15:16]
	s_and_not1_b32 exec_lo, exec_lo, s3
	s_cbranch_execnz .LBB106_93
; %bb.94:
	s_or_b32 exec_lo, exec_lo, s3
	v_mov_b32_e32 v7, 0
	ds_load_b128 v[7:10], v7 offset:320
	s_waitcnt lgkmcnt(0)
	v_mul_f64 v[11:12], v[1:2], v[9:10]
	v_mul_f64 v[15:16], v[3:4], v[9:10]
	s_delay_alu instid0(VALU_DEP_2) | instskip(NEXT) | instid1(VALU_DEP_2)
	v_fma_f64 v[9:10], v[3:4], v[7:8], -v[11:12]
	v_fma_f64 v[11:12], v[1:2], v[7:8], v[15:16]
	scratch_store_b128 off, v[9:12], off offset:320
.LBB106_95:
	s_or_b32 exec_lo, exec_lo, s2
	s_waitcnt_vscnt null, 0x0
	s_barrier
	buffer_gl0_inv
	scratch_load_b128 v[1:4], v153, off
	s_mov_b32 s2, exec_lo
	s_waitcnt vmcnt(0)
	ds_store_b128 v5, v[1:4]
	s_waitcnt lgkmcnt(0)
	s_barrier
	buffer_gl0_inv
	v_cmpx_gt_u32_e32 21, v132
	s_cbranch_execz .LBB106_99
; %bb.96:
	v_dual_mov_b32 v1, 0 :: v_dual_add_nc_u32 v8, 0x2b0, v13
	v_dual_mov_b32 v2, 0 :: v_dual_add_nc_u32 v7, -1, v132
	v_or_b32_e32 v9, 8, v14
	s_mov_b32 s3, 0
	s_delay_alu instid0(VALU_DEP_2)
	v_dual_mov_b32 v4, v2 :: v_dual_mov_b32 v3, v1
	.p2align	6
.LBB106_97:                             ; =>This Inner Loop Header: Depth=1
	scratch_load_b128 v[15:18], v9, off offset:-8
	ds_load_b128 v[19:22], v8
	v_add_nc_u32_e32 v7, 1, v7
	v_add_nc_u32_e32 v8, 16, v8
	;; [unrolled: 1-line block ×3, first 2 shown]
	s_delay_alu instid0(VALU_DEP_3) | instskip(SKIP_4) | instid1(VALU_DEP_2)
	v_cmp_lt_u32_e32 vcc_lo, 19, v7
	s_or_b32 s3, vcc_lo, s3
	s_waitcnt vmcnt(0) lgkmcnt(0)
	v_mul_f64 v[10:11], v[21:22], v[17:18]
	v_mul_f64 v[17:18], v[19:20], v[17:18]
	v_fma_f64 v[10:11], v[19:20], v[15:16], -v[10:11]
	s_delay_alu instid0(VALU_DEP_2) | instskip(NEXT) | instid1(VALU_DEP_2)
	v_fma_f64 v[15:16], v[21:22], v[15:16], v[17:18]
	v_add_f64 v[3:4], v[3:4], v[10:11]
	s_delay_alu instid0(VALU_DEP_2)
	v_add_f64 v[1:2], v[1:2], v[15:16]
	s_and_not1_b32 exec_lo, exec_lo, s3
	s_cbranch_execnz .LBB106_97
; %bb.98:
	s_or_b32 exec_lo, exec_lo, s3
	v_mov_b32_e32 v7, 0
	ds_load_b128 v[7:10], v7 offset:336
	s_waitcnt lgkmcnt(0)
	v_mul_f64 v[11:12], v[1:2], v[9:10]
	v_mul_f64 v[15:16], v[3:4], v[9:10]
	s_delay_alu instid0(VALU_DEP_2) | instskip(NEXT) | instid1(VALU_DEP_2)
	v_fma_f64 v[9:10], v[3:4], v[7:8], -v[11:12]
	v_fma_f64 v[11:12], v[1:2], v[7:8], v[15:16]
	scratch_store_b128 off, v[9:12], off offset:336
.LBB106_99:
	s_or_b32 exec_lo, exec_lo, s2
	s_waitcnt_vscnt null, 0x0
	s_barrier
	buffer_gl0_inv
	scratch_load_b128 v[1:4], v151, off
	s_mov_b32 s2, exec_lo
	s_waitcnt vmcnt(0)
	ds_store_b128 v5, v[1:4]
	s_waitcnt lgkmcnt(0)
	s_barrier
	buffer_gl0_inv
	v_cmpx_gt_u32_e32 22, v132
	s_cbranch_execz .LBB106_103
; %bb.100:
	v_dual_mov_b32 v1, 0 :: v_dual_add_nc_u32 v8, 0x2b0, v13
	v_dual_mov_b32 v2, 0 :: v_dual_add_nc_u32 v7, -1, v132
	v_or_b32_e32 v9, 8, v14
	s_mov_b32 s3, 0
	s_delay_alu instid0(VALU_DEP_2)
	v_dual_mov_b32 v4, v2 :: v_dual_mov_b32 v3, v1
	.p2align	6
.LBB106_101:                            ; =>This Inner Loop Header: Depth=1
	scratch_load_b128 v[15:18], v9, off offset:-8
	ds_load_b128 v[19:22], v8
	v_add_nc_u32_e32 v7, 1, v7
	v_add_nc_u32_e32 v8, 16, v8
	;; [unrolled: 1-line block ×3, first 2 shown]
	s_delay_alu instid0(VALU_DEP_3) | instskip(SKIP_4) | instid1(VALU_DEP_2)
	v_cmp_lt_u32_e32 vcc_lo, 20, v7
	s_or_b32 s3, vcc_lo, s3
	s_waitcnt vmcnt(0) lgkmcnt(0)
	v_mul_f64 v[10:11], v[21:22], v[17:18]
	v_mul_f64 v[17:18], v[19:20], v[17:18]
	v_fma_f64 v[10:11], v[19:20], v[15:16], -v[10:11]
	s_delay_alu instid0(VALU_DEP_2) | instskip(NEXT) | instid1(VALU_DEP_2)
	v_fma_f64 v[15:16], v[21:22], v[15:16], v[17:18]
	v_add_f64 v[3:4], v[3:4], v[10:11]
	s_delay_alu instid0(VALU_DEP_2)
	v_add_f64 v[1:2], v[1:2], v[15:16]
	s_and_not1_b32 exec_lo, exec_lo, s3
	s_cbranch_execnz .LBB106_101
; %bb.102:
	s_or_b32 exec_lo, exec_lo, s3
	v_mov_b32_e32 v7, 0
	ds_load_b128 v[7:10], v7 offset:352
	s_waitcnt lgkmcnt(0)
	v_mul_f64 v[11:12], v[1:2], v[9:10]
	v_mul_f64 v[15:16], v[3:4], v[9:10]
	s_delay_alu instid0(VALU_DEP_2) | instskip(NEXT) | instid1(VALU_DEP_2)
	v_fma_f64 v[9:10], v[3:4], v[7:8], -v[11:12]
	v_fma_f64 v[11:12], v[1:2], v[7:8], v[15:16]
	scratch_store_b128 off, v[9:12], off offset:352
.LBB106_103:
	s_or_b32 exec_lo, exec_lo, s2
	s_waitcnt_vscnt null, 0x0
	s_barrier
	buffer_gl0_inv
	scratch_load_b128 v[1:4], v149, off
	s_mov_b32 s2, exec_lo
	s_waitcnt vmcnt(0)
	ds_store_b128 v5, v[1:4]
	s_waitcnt lgkmcnt(0)
	s_barrier
	buffer_gl0_inv
	v_cmpx_gt_u32_e32 23, v132
	s_cbranch_execz .LBB106_107
; %bb.104:
	v_dual_mov_b32 v1, 0 :: v_dual_add_nc_u32 v8, 0x2b0, v13
	v_dual_mov_b32 v2, 0 :: v_dual_add_nc_u32 v7, -1, v132
	v_or_b32_e32 v9, 8, v14
	s_mov_b32 s3, 0
	s_delay_alu instid0(VALU_DEP_2)
	v_dual_mov_b32 v4, v2 :: v_dual_mov_b32 v3, v1
	.p2align	6
.LBB106_105:                            ; =>This Inner Loop Header: Depth=1
	scratch_load_b128 v[15:18], v9, off offset:-8
	ds_load_b128 v[19:22], v8
	v_add_nc_u32_e32 v7, 1, v7
	v_add_nc_u32_e32 v8, 16, v8
	;; [unrolled: 1-line block ×3, first 2 shown]
	s_delay_alu instid0(VALU_DEP_3) | instskip(SKIP_4) | instid1(VALU_DEP_2)
	v_cmp_lt_u32_e32 vcc_lo, 21, v7
	s_or_b32 s3, vcc_lo, s3
	s_waitcnt vmcnt(0) lgkmcnt(0)
	v_mul_f64 v[10:11], v[21:22], v[17:18]
	v_mul_f64 v[17:18], v[19:20], v[17:18]
	v_fma_f64 v[10:11], v[19:20], v[15:16], -v[10:11]
	s_delay_alu instid0(VALU_DEP_2) | instskip(NEXT) | instid1(VALU_DEP_2)
	v_fma_f64 v[15:16], v[21:22], v[15:16], v[17:18]
	v_add_f64 v[3:4], v[3:4], v[10:11]
	s_delay_alu instid0(VALU_DEP_2)
	v_add_f64 v[1:2], v[1:2], v[15:16]
	s_and_not1_b32 exec_lo, exec_lo, s3
	s_cbranch_execnz .LBB106_105
; %bb.106:
	s_or_b32 exec_lo, exec_lo, s3
	v_mov_b32_e32 v7, 0
	ds_load_b128 v[7:10], v7 offset:368
	s_waitcnt lgkmcnt(0)
	v_mul_f64 v[11:12], v[1:2], v[9:10]
	v_mul_f64 v[15:16], v[3:4], v[9:10]
	s_delay_alu instid0(VALU_DEP_2) | instskip(NEXT) | instid1(VALU_DEP_2)
	v_fma_f64 v[9:10], v[3:4], v[7:8], -v[11:12]
	v_fma_f64 v[11:12], v[1:2], v[7:8], v[15:16]
	scratch_store_b128 off, v[9:12], off offset:368
.LBB106_107:
	s_or_b32 exec_lo, exec_lo, s2
	s_waitcnt_vscnt null, 0x0
	s_barrier
	buffer_gl0_inv
	scratch_load_b128 v[1:4], v148, off
	s_mov_b32 s2, exec_lo
	s_waitcnt vmcnt(0)
	ds_store_b128 v5, v[1:4]
	s_waitcnt lgkmcnt(0)
	s_barrier
	buffer_gl0_inv
	v_cmpx_gt_u32_e32 24, v132
	s_cbranch_execz .LBB106_111
; %bb.108:
	v_dual_mov_b32 v1, 0 :: v_dual_add_nc_u32 v8, 0x2b0, v13
	v_dual_mov_b32 v2, 0 :: v_dual_add_nc_u32 v7, -1, v132
	v_or_b32_e32 v9, 8, v14
	s_mov_b32 s3, 0
	s_delay_alu instid0(VALU_DEP_2)
	v_dual_mov_b32 v4, v2 :: v_dual_mov_b32 v3, v1
	.p2align	6
.LBB106_109:                            ; =>This Inner Loop Header: Depth=1
	scratch_load_b128 v[15:18], v9, off offset:-8
	ds_load_b128 v[19:22], v8
	v_add_nc_u32_e32 v7, 1, v7
	v_add_nc_u32_e32 v8, 16, v8
	;; [unrolled: 1-line block ×3, first 2 shown]
	s_delay_alu instid0(VALU_DEP_3) | instskip(SKIP_4) | instid1(VALU_DEP_2)
	v_cmp_lt_u32_e32 vcc_lo, 22, v7
	s_or_b32 s3, vcc_lo, s3
	s_waitcnt vmcnt(0) lgkmcnt(0)
	v_mul_f64 v[10:11], v[21:22], v[17:18]
	v_mul_f64 v[17:18], v[19:20], v[17:18]
	v_fma_f64 v[10:11], v[19:20], v[15:16], -v[10:11]
	s_delay_alu instid0(VALU_DEP_2) | instskip(NEXT) | instid1(VALU_DEP_2)
	v_fma_f64 v[15:16], v[21:22], v[15:16], v[17:18]
	v_add_f64 v[3:4], v[3:4], v[10:11]
	s_delay_alu instid0(VALU_DEP_2)
	v_add_f64 v[1:2], v[1:2], v[15:16]
	s_and_not1_b32 exec_lo, exec_lo, s3
	s_cbranch_execnz .LBB106_109
; %bb.110:
	s_or_b32 exec_lo, exec_lo, s3
	v_mov_b32_e32 v7, 0
	ds_load_b128 v[7:10], v7 offset:384
	s_waitcnt lgkmcnt(0)
	v_mul_f64 v[11:12], v[1:2], v[9:10]
	v_mul_f64 v[15:16], v[3:4], v[9:10]
	s_delay_alu instid0(VALU_DEP_2) | instskip(NEXT) | instid1(VALU_DEP_2)
	v_fma_f64 v[9:10], v[3:4], v[7:8], -v[11:12]
	v_fma_f64 v[11:12], v[1:2], v[7:8], v[15:16]
	scratch_store_b128 off, v[9:12], off offset:384
.LBB106_111:
	s_or_b32 exec_lo, exec_lo, s2
	s_waitcnt_vscnt null, 0x0
	s_barrier
	buffer_gl0_inv
	scratch_load_b128 v[1:4], v147, off
	s_mov_b32 s2, exec_lo
	s_waitcnt vmcnt(0)
	ds_store_b128 v5, v[1:4]
	s_waitcnt lgkmcnt(0)
	s_barrier
	buffer_gl0_inv
	v_cmpx_gt_u32_e32 25, v132
	s_cbranch_execz .LBB106_115
; %bb.112:
	v_dual_mov_b32 v1, 0 :: v_dual_add_nc_u32 v8, 0x2b0, v13
	v_dual_mov_b32 v2, 0 :: v_dual_add_nc_u32 v7, -1, v132
	v_or_b32_e32 v9, 8, v14
	s_mov_b32 s3, 0
	s_delay_alu instid0(VALU_DEP_2)
	v_dual_mov_b32 v4, v2 :: v_dual_mov_b32 v3, v1
	.p2align	6
.LBB106_113:                            ; =>This Inner Loop Header: Depth=1
	scratch_load_b128 v[15:18], v9, off offset:-8
	ds_load_b128 v[19:22], v8
	v_add_nc_u32_e32 v7, 1, v7
	v_add_nc_u32_e32 v8, 16, v8
	v_add_nc_u32_e32 v9, 16, v9
	s_delay_alu instid0(VALU_DEP_3) | instskip(SKIP_4) | instid1(VALU_DEP_2)
	v_cmp_lt_u32_e32 vcc_lo, 23, v7
	s_or_b32 s3, vcc_lo, s3
	s_waitcnt vmcnt(0) lgkmcnt(0)
	v_mul_f64 v[10:11], v[21:22], v[17:18]
	v_mul_f64 v[17:18], v[19:20], v[17:18]
	v_fma_f64 v[10:11], v[19:20], v[15:16], -v[10:11]
	s_delay_alu instid0(VALU_DEP_2) | instskip(NEXT) | instid1(VALU_DEP_2)
	v_fma_f64 v[15:16], v[21:22], v[15:16], v[17:18]
	v_add_f64 v[3:4], v[3:4], v[10:11]
	s_delay_alu instid0(VALU_DEP_2)
	v_add_f64 v[1:2], v[1:2], v[15:16]
	s_and_not1_b32 exec_lo, exec_lo, s3
	s_cbranch_execnz .LBB106_113
; %bb.114:
	s_or_b32 exec_lo, exec_lo, s3
	v_mov_b32_e32 v7, 0
	ds_load_b128 v[7:10], v7 offset:400
	s_waitcnt lgkmcnt(0)
	v_mul_f64 v[11:12], v[1:2], v[9:10]
	v_mul_f64 v[15:16], v[3:4], v[9:10]
	s_delay_alu instid0(VALU_DEP_2) | instskip(NEXT) | instid1(VALU_DEP_2)
	v_fma_f64 v[9:10], v[3:4], v[7:8], -v[11:12]
	v_fma_f64 v[11:12], v[1:2], v[7:8], v[15:16]
	scratch_store_b128 off, v[9:12], off offset:400
.LBB106_115:
	s_or_b32 exec_lo, exec_lo, s2
	s_waitcnt_vscnt null, 0x0
	s_barrier
	buffer_gl0_inv
	scratch_load_b128 v[1:4], v145, off
	s_mov_b32 s2, exec_lo
	s_waitcnt vmcnt(0)
	ds_store_b128 v5, v[1:4]
	s_waitcnt lgkmcnt(0)
	s_barrier
	buffer_gl0_inv
	v_cmpx_gt_u32_e32 26, v132
	s_cbranch_execz .LBB106_119
; %bb.116:
	v_dual_mov_b32 v1, 0 :: v_dual_add_nc_u32 v8, 0x2b0, v13
	v_dual_mov_b32 v2, 0 :: v_dual_add_nc_u32 v7, -1, v132
	v_or_b32_e32 v9, 8, v14
	s_mov_b32 s3, 0
	s_delay_alu instid0(VALU_DEP_2)
	v_dual_mov_b32 v4, v2 :: v_dual_mov_b32 v3, v1
	.p2align	6
.LBB106_117:                            ; =>This Inner Loop Header: Depth=1
	scratch_load_b128 v[15:18], v9, off offset:-8
	ds_load_b128 v[19:22], v8
	v_add_nc_u32_e32 v7, 1, v7
	v_add_nc_u32_e32 v8, 16, v8
	;; [unrolled: 1-line block ×3, first 2 shown]
	s_delay_alu instid0(VALU_DEP_3) | instskip(SKIP_4) | instid1(VALU_DEP_2)
	v_cmp_lt_u32_e32 vcc_lo, 24, v7
	s_or_b32 s3, vcc_lo, s3
	s_waitcnt vmcnt(0) lgkmcnt(0)
	v_mul_f64 v[10:11], v[21:22], v[17:18]
	v_mul_f64 v[17:18], v[19:20], v[17:18]
	v_fma_f64 v[10:11], v[19:20], v[15:16], -v[10:11]
	s_delay_alu instid0(VALU_DEP_2) | instskip(NEXT) | instid1(VALU_DEP_2)
	v_fma_f64 v[15:16], v[21:22], v[15:16], v[17:18]
	v_add_f64 v[3:4], v[3:4], v[10:11]
	s_delay_alu instid0(VALU_DEP_2)
	v_add_f64 v[1:2], v[1:2], v[15:16]
	s_and_not1_b32 exec_lo, exec_lo, s3
	s_cbranch_execnz .LBB106_117
; %bb.118:
	s_or_b32 exec_lo, exec_lo, s3
	v_mov_b32_e32 v7, 0
	ds_load_b128 v[7:10], v7 offset:416
	s_waitcnt lgkmcnt(0)
	v_mul_f64 v[11:12], v[1:2], v[9:10]
	v_mul_f64 v[15:16], v[3:4], v[9:10]
	s_delay_alu instid0(VALU_DEP_2) | instskip(NEXT) | instid1(VALU_DEP_2)
	v_fma_f64 v[9:10], v[3:4], v[7:8], -v[11:12]
	v_fma_f64 v[11:12], v[1:2], v[7:8], v[15:16]
	scratch_store_b128 off, v[9:12], off offset:416
.LBB106_119:
	s_or_b32 exec_lo, exec_lo, s2
	s_waitcnt_vscnt null, 0x0
	s_barrier
	buffer_gl0_inv
	scratch_load_b128 v[1:4], v143, off
	s_mov_b32 s2, exec_lo
	s_waitcnt vmcnt(0)
	ds_store_b128 v5, v[1:4]
	s_waitcnt lgkmcnt(0)
	s_barrier
	buffer_gl0_inv
	v_cmpx_gt_u32_e32 27, v132
	s_cbranch_execz .LBB106_123
; %bb.120:
	v_dual_mov_b32 v1, 0 :: v_dual_add_nc_u32 v8, 0x2b0, v13
	v_dual_mov_b32 v2, 0 :: v_dual_add_nc_u32 v7, -1, v132
	v_or_b32_e32 v9, 8, v14
	s_mov_b32 s3, 0
	s_delay_alu instid0(VALU_DEP_2)
	v_dual_mov_b32 v4, v2 :: v_dual_mov_b32 v3, v1
	.p2align	6
.LBB106_121:                            ; =>This Inner Loop Header: Depth=1
	scratch_load_b128 v[15:18], v9, off offset:-8
	ds_load_b128 v[19:22], v8
	v_add_nc_u32_e32 v7, 1, v7
	v_add_nc_u32_e32 v8, 16, v8
	;; [unrolled: 1-line block ×3, first 2 shown]
	s_delay_alu instid0(VALU_DEP_3) | instskip(SKIP_4) | instid1(VALU_DEP_2)
	v_cmp_lt_u32_e32 vcc_lo, 25, v7
	s_or_b32 s3, vcc_lo, s3
	s_waitcnt vmcnt(0) lgkmcnt(0)
	v_mul_f64 v[10:11], v[21:22], v[17:18]
	v_mul_f64 v[17:18], v[19:20], v[17:18]
	v_fma_f64 v[10:11], v[19:20], v[15:16], -v[10:11]
	s_delay_alu instid0(VALU_DEP_2) | instskip(NEXT) | instid1(VALU_DEP_2)
	v_fma_f64 v[15:16], v[21:22], v[15:16], v[17:18]
	v_add_f64 v[3:4], v[3:4], v[10:11]
	s_delay_alu instid0(VALU_DEP_2)
	v_add_f64 v[1:2], v[1:2], v[15:16]
	s_and_not1_b32 exec_lo, exec_lo, s3
	s_cbranch_execnz .LBB106_121
; %bb.122:
	s_or_b32 exec_lo, exec_lo, s3
	v_mov_b32_e32 v7, 0
	ds_load_b128 v[7:10], v7 offset:432
	s_waitcnt lgkmcnt(0)
	v_mul_f64 v[11:12], v[1:2], v[9:10]
	v_mul_f64 v[15:16], v[3:4], v[9:10]
	s_delay_alu instid0(VALU_DEP_2) | instskip(NEXT) | instid1(VALU_DEP_2)
	v_fma_f64 v[9:10], v[3:4], v[7:8], -v[11:12]
	v_fma_f64 v[11:12], v[1:2], v[7:8], v[15:16]
	scratch_store_b128 off, v[9:12], off offset:432
.LBB106_123:
	s_or_b32 exec_lo, exec_lo, s2
	s_waitcnt_vscnt null, 0x0
	s_barrier
	buffer_gl0_inv
	scratch_load_b128 v[1:4], v141, off
	s_mov_b32 s2, exec_lo
	s_waitcnt vmcnt(0)
	ds_store_b128 v5, v[1:4]
	s_waitcnt lgkmcnt(0)
	s_barrier
	buffer_gl0_inv
	v_cmpx_gt_u32_e32 28, v132
	s_cbranch_execz .LBB106_127
; %bb.124:
	v_dual_mov_b32 v1, 0 :: v_dual_add_nc_u32 v8, 0x2b0, v13
	v_dual_mov_b32 v2, 0 :: v_dual_add_nc_u32 v7, -1, v132
	v_or_b32_e32 v9, 8, v14
	s_mov_b32 s3, 0
	s_delay_alu instid0(VALU_DEP_2)
	v_dual_mov_b32 v4, v2 :: v_dual_mov_b32 v3, v1
	.p2align	6
.LBB106_125:                            ; =>This Inner Loop Header: Depth=1
	scratch_load_b128 v[15:18], v9, off offset:-8
	ds_load_b128 v[19:22], v8
	v_add_nc_u32_e32 v7, 1, v7
	v_add_nc_u32_e32 v8, 16, v8
	v_add_nc_u32_e32 v9, 16, v9
	s_delay_alu instid0(VALU_DEP_3) | instskip(SKIP_4) | instid1(VALU_DEP_2)
	v_cmp_lt_u32_e32 vcc_lo, 26, v7
	s_or_b32 s3, vcc_lo, s3
	s_waitcnt vmcnt(0) lgkmcnt(0)
	v_mul_f64 v[10:11], v[21:22], v[17:18]
	v_mul_f64 v[17:18], v[19:20], v[17:18]
	v_fma_f64 v[10:11], v[19:20], v[15:16], -v[10:11]
	s_delay_alu instid0(VALU_DEP_2) | instskip(NEXT) | instid1(VALU_DEP_2)
	v_fma_f64 v[15:16], v[21:22], v[15:16], v[17:18]
	v_add_f64 v[3:4], v[3:4], v[10:11]
	s_delay_alu instid0(VALU_DEP_2)
	v_add_f64 v[1:2], v[1:2], v[15:16]
	s_and_not1_b32 exec_lo, exec_lo, s3
	s_cbranch_execnz .LBB106_125
; %bb.126:
	s_or_b32 exec_lo, exec_lo, s3
	v_mov_b32_e32 v7, 0
	ds_load_b128 v[7:10], v7 offset:448
	s_waitcnt lgkmcnt(0)
	v_mul_f64 v[11:12], v[1:2], v[9:10]
	v_mul_f64 v[15:16], v[3:4], v[9:10]
	s_delay_alu instid0(VALU_DEP_2) | instskip(NEXT) | instid1(VALU_DEP_2)
	v_fma_f64 v[9:10], v[3:4], v[7:8], -v[11:12]
	v_fma_f64 v[11:12], v[1:2], v[7:8], v[15:16]
	scratch_store_b128 off, v[9:12], off offset:448
.LBB106_127:
	s_or_b32 exec_lo, exec_lo, s2
	s_waitcnt_vscnt null, 0x0
	s_barrier
	buffer_gl0_inv
	scratch_load_b128 v[1:4], v139, off
	s_mov_b32 s2, exec_lo
	s_waitcnt vmcnt(0)
	ds_store_b128 v5, v[1:4]
	s_waitcnt lgkmcnt(0)
	s_barrier
	buffer_gl0_inv
	v_cmpx_gt_u32_e32 29, v132
	s_cbranch_execz .LBB106_131
; %bb.128:
	v_dual_mov_b32 v1, 0 :: v_dual_add_nc_u32 v8, 0x2b0, v13
	v_dual_mov_b32 v2, 0 :: v_dual_add_nc_u32 v7, -1, v132
	v_or_b32_e32 v9, 8, v14
	s_mov_b32 s3, 0
	s_delay_alu instid0(VALU_DEP_2)
	v_dual_mov_b32 v4, v2 :: v_dual_mov_b32 v3, v1
	.p2align	6
.LBB106_129:                            ; =>This Inner Loop Header: Depth=1
	scratch_load_b128 v[15:18], v9, off offset:-8
	ds_load_b128 v[19:22], v8
	v_add_nc_u32_e32 v7, 1, v7
	v_add_nc_u32_e32 v8, 16, v8
	;; [unrolled: 1-line block ×3, first 2 shown]
	s_delay_alu instid0(VALU_DEP_3) | instskip(SKIP_4) | instid1(VALU_DEP_2)
	v_cmp_lt_u32_e32 vcc_lo, 27, v7
	s_or_b32 s3, vcc_lo, s3
	s_waitcnt vmcnt(0) lgkmcnt(0)
	v_mul_f64 v[10:11], v[21:22], v[17:18]
	v_mul_f64 v[17:18], v[19:20], v[17:18]
	v_fma_f64 v[10:11], v[19:20], v[15:16], -v[10:11]
	s_delay_alu instid0(VALU_DEP_2) | instskip(NEXT) | instid1(VALU_DEP_2)
	v_fma_f64 v[15:16], v[21:22], v[15:16], v[17:18]
	v_add_f64 v[3:4], v[3:4], v[10:11]
	s_delay_alu instid0(VALU_DEP_2)
	v_add_f64 v[1:2], v[1:2], v[15:16]
	s_and_not1_b32 exec_lo, exec_lo, s3
	s_cbranch_execnz .LBB106_129
; %bb.130:
	s_or_b32 exec_lo, exec_lo, s3
	v_mov_b32_e32 v7, 0
	ds_load_b128 v[7:10], v7 offset:464
	s_waitcnt lgkmcnt(0)
	v_mul_f64 v[11:12], v[1:2], v[9:10]
	v_mul_f64 v[15:16], v[3:4], v[9:10]
	s_delay_alu instid0(VALU_DEP_2) | instskip(NEXT) | instid1(VALU_DEP_2)
	v_fma_f64 v[9:10], v[3:4], v[7:8], -v[11:12]
	v_fma_f64 v[11:12], v[1:2], v[7:8], v[15:16]
	scratch_store_b128 off, v[9:12], off offset:464
.LBB106_131:
	s_or_b32 exec_lo, exec_lo, s2
	s_waitcnt_vscnt null, 0x0
	s_barrier
	buffer_gl0_inv
	scratch_load_b128 v[1:4], v138, off
	s_mov_b32 s2, exec_lo
	s_waitcnt vmcnt(0)
	ds_store_b128 v5, v[1:4]
	s_waitcnt lgkmcnt(0)
	s_barrier
	buffer_gl0_inv
	v_cmpx_gt_u32_e32 30, v132
	s_cbranch_execz .LBB106_135
; %bb.132:
	v_dual_mov_b32 v1, 0 :: v_dual_add_nc_u32 v8, 0x2b0, v13
	v_dual_mov_b32 v2, 0 :: v_dual_add_nc_u32 v7, -1, v132
	v_or_b32_e32 v9, 8, v14
	s_mov_b32 s3, 0
	s_delay_alu instid0(VALU_DEP_2)
	v_dual_mov_b32 v4, v2 :: v_dual_mov_b32 v3, v1
	.p2align	6
.LBB106_133:                            ; =>This Inner Loop Header: Depth=1
	scratch_load_b128 v[15:18], v9, off offset:-8
	ds_load_b128 v[19:22], v8
	v_add_nc_u32_e32 v7, 1, v7
	v_add_nc_u32_e32 v8, 16, v8
	;; [unrolled: 1-line block ×3, first 2 shown]
	s_delay_alu instid0(VALU_DEP_3) | instskip(SKIP_4) | instid1(VALU_DEP_2)
	v_cmp_lt_u32_e32 vcc_lo, 28, v7
	s_or_b32 s3, vcc_lo, s3
	s_waitcnt vmcnt(0) lgkmcnt(0)
	v_mul_f64 v[10:11], v[21:22], v[17:18]
	v_mul_f64 v[17:18], v[19:20], v[17:18]
	v_fma_f64 v[10:11], v[19:20], v[15:16], -v[10:11]
	s_delay_alu instid0(VALU_DEP_2) | instskip(NEXT) | instid1(VALU_DEP_2)
	v_fma_f64 v[15:16], v[21:22], v[15:16], v[17:18]
	v_add_f64 v[3:4], v[3:4], v[10:11]
	s_delay_alu instid0(VALU_DEP_2)
	v_add_f64 v[1:2], v[1:2], v[15:16]
	s_and_not1_b32 exec_lo, exec_lo, s3
	s_cbranch_execnz .LBB106_133
; %bb.134:
	s_or_b32 exec_lo, exec_lo, s3
	v_mov_b32_e32 v7, 0
	ds_load_b128 v[7:10], v7 offset:480
	s_waitcnt lgkmcnt(0)
	v_mul_f64 v[11:12], v[1:2], v[9:10]
	v_mul_f64 v[15:16], v[3:4], v[9:10]
	s_delay_alu instid0(VALU_DEP_2) | instskip(NEXT) | instid1(VALU_DEP_2)
	v_fma_f64 v[9:10], v[3:4], v[7:8], -v[11:12]
	v_fma_f64 v[11:12], v[1:2], v[7:8], v[15:16]
	scratch_store_b128 off, v[9:12], off offset:480
.LBB106_135:
	s_or_b32 exec_lo, exec_lo, s2
	s_waitcnt_vscnt null, 0x0
	s_barrier
	buffer_gl0_inv
	scratch_load_b128 v[1:4], v137, off
	s_mov_b32 s2, exec_lo
	s_waitcnt vmcnt(0)
	ds_store_b128 v5, v[1:4]
	s_waitcnt lgkmcnt(0)
	s_barrier
	buffer_gl0_inv
	v_cmpx_gt_u32_e32 31, v132
	s_cbranch_execz .LBB106_139
; %bb.136:
	v_dual_mov_b32 v1, 0 :: v_dual_add_nc_u32 v8, 0x2b0, v13
	v_dual_mov_b32 v2, 0 :: v_dual_add_nc_u32 v7, -1, v132
	v_or_b32_e32 v9, 8, v14
	s_mov_b32 s3, 0
	s_delay_alu instid0(VALU_DEP_2)
	v_dual_mov_b32 v4, v2 :: v_dual_mov_b32 v3, v1
	.p2align	6
.LBB106_137:                            ; =>This Inner Loop Header: Depth=1
	scratch_load_b128 v[15:18], v9, off offset:-8
	ds_load_b128 v[19:22], v8
	v_add_nc_u32_e32 v7, 1, v7
	v_add_nc_u32_e32 v8, 16, v8
	;; [unrolled: 1-line block ×3, first 2 shown]
	s_delay_alu instid0(VALU_DEP_3) | instskip(SKIP_4) | instid1(VALU_DEP_2)
	v_cmp_lt_u32_e32 vcc_lo, 29, v7
	s_or_b32 s3, vcc_lo, s3
	s_waitcnt vmcnt(0) lgkmcnt(0)
	v_mul_f64 v[10:11], v[21:22], v[17:18]
	v_mul_f64 v[17:18], v[19:20], v[17:18]
	v_fma_f64 v[10:11], v[19:20], v[15:16], -v[10:11]
	s_delay_alu instid0(VALU_DEP_2) | instskip(NEXT) | instid1(VALU_DEP_2)
	v_fma_f64 v[15:16], v[21:22], v[15:16], v[17:18]
	v_add_f64 v[3:4], v[3:4], v[10:11]
	s_delay_alu instid0(VALU_DEP_2)
	v_add_f64 v[1:2], v[1:2], v[15:16]
	s_and_not1_b32 exec_lo, exec_lo, s3
	s_cbranch_execnz .LBB106_137
; %bb.138:
	s_or_b32 exec_lo, exec_lo, s3
	v_mov_b32_e32 v7, 0
	ds_load_b128 v[7:10], v7 offset:496
	s_waitcnt lgkmcnt(0)
	v_mul_f64 v[11:12], v[1:2], v[9:10]
	v_mul_f64 v[15:16], v[3:4], v[9:10]
	s_delay_alu instid0(VALU_DEP_2) | instskip(NEXT) | instid1(VALU_DEP_2)
	v_fma_f64 v[9:10], v[3:4], v[7:8], -v[11:12]
	v_fma_f64 v[11:12], v[1:2], v[7:8], v[15:16]
	scratch_store_b128 off, v[9:12], off offset:496
.LBB106_139:
	s_or_b32 exec_lo, exec_lo, s2
	s_waitcnt_vscnt null, 0x0
	s_barrier
	buffer_gl0_inv
	scratch_load_b128 v[1:4], v168, off
	s_mov_b32 s2, exec_lo
	s_waitcnt vmcnt(0)
	ds_store_b128 v5, v[1:4]
	s_waitcnt lgkmcnt(0)
	s_barrier
	buffer_gl0_inv
	v_cmpx_gt_u32_e32 32, v132
	s_cbranch_execz .LBB106_143
; %bb.140:
	v_dual_mov_b32 v1, 0 :: v_dual_add_nc_u32 v8, 0x2b0, v13
	v_dual_mov_b32 v2, 0 :: v_dual_add_nc_u32 v7, -1, v132
	v_or_b32_e32 v9, 8, v14
	s_mov_b32 s3, 0
	s_delay_alu instid0(VALU_DEP_2)
	v_dual_mov_b32 v4, v2 :: v_dual_mov_b32 v3, v1
	.p2align	6
.LBB106_141:                            ; =>This Inner Loop Header: Depth=1
	scratch_load_b128 v[15:18], v9, off offset:-8
	ds_load_b128 v[19:22], v8
	v_add_nc_u32_e32 v7, 1, v7
	v_add_nc_u32_e32 v8, 16, v8
	;; [unrolled: 1-line block ×3, first 2 shown]
	s_delay_alu instid0(VALU_DEP_3) | instskip(SKIP_4) | instid1(VALU_DEP_2)
	v_cmp_lt_u32_e32 vcc_lo, 30, v7
	s_or_b32 s3, vcc_lo, s3
	s_waitcnt vmcnt(0) lgkmcnt(0)
	v_mul_f64 v[10:11], v[21:22], v[17:18]
	v_mul_f64 v[17:18], v[19:20], v[17:18]
	v_fma_f64 v[10:11], v[19:20], v[15:16], -v[10:11]
	s_delay_alu instid0(VALU_DEP_2) | instskip(NEXT) | instid1(VALU_DEP_2)
	v_fma_f64 v[15:16], v[21:22], v[15:16], v[17:18]
	v_add_f64 v[3:4], v[3:4], v[10:11]
	s_delay_alu instid0(VALU_DEP_2)
	v_add_f64 v[1:2], v[1:2], v[15:16]
	s_and_not1_b32 exec_lo, exec_lo, s3
	s_cbranch_execnz .LBB106_141
; %bb.142:
	s_or_b32 exec_lo, exec_lo, s3
	v_mov_b32_e32 v7, 0
	ds_load_b128 v[7:10], v7 offset:512
	s_waitcnt lgkmcnt(0)
	v_mul_f64 v[11:12], v[1:2], v[9:10]
	v_mul_f64 v[15:16], v[3:4], v[9:10]
	s_delay_alu instid0(VALU_DEP_2) | instskip(NEXT) | instid1(VALU_DEP_2)
	v_fma_f64 v[9:10], v[3:4], v[7:8], -v[11:12]
	v_fma_f64 v[11:12], v[1:2], v[7:8], v[15:16]
	scratch_store_b128 off, v[9:12], off offset:512
.LBB106_143:
	s_or_b32 exec_lo, exec_lo, s2
	s_waitcnt_vscnt null, 0x0
	s_barrier
	buffer_gl0_inv
	scratch_load_b128 v[1:4], v164, off
	s_mov_b32 s2, exec_lo
	s_waitcnt vmcnt(0)
	ds_store_b128 v5, v[1:4]
	s_waitcnt lgkmcnt(0)
	s_barrier
	buffer_gl0_inv
	v_cmpx_gt_u32_e32 33, v132
	s_cbranch_execz .LBB106_147
; %bb.144:
	v_dual_mov_b32 v1, 0 :: v_dual_add_nc_u32 v8, 0x2b0, v13
	v_dual_mov_b32 v2, 0 :: v_dual_add_nc_u32 v7, -1, v132
	v_or_b32_e32 v9, 8, v14
	s_mov_b32 s3, 0
	s_delay_alu instid0(VALU_DEP_2)
	v_dual_mov_b32 v4, v2 :: v_dual_mov_b32 v3, v1
	.p2align	6
.LBB106_145:                            ; =>This Inner Loop Header: Depth=1
	scratch_load_b128 v[15:18], v9, off offset:-8
	ds_load_b128 v[19:22], v8
	v_add_nc_u32_e32 v7, 1, v7
	v_add_nc_u32_e32 v8, 16, v8
	;; [unrolled: 1-line block ×3, first 2 shown]
	s_delay_alu instid0(VALU_DEP_3) | instskip(SKIP_4) | instid1(VALU_DEP_2)
	v_cmp_lt_u32_e32 vcc_lo, 31, v7
	s_or_b32 s3, vcc_lo, s3
	s_waitcnt vmcnt(0) lgkmcnt(0)
	v_mul_f64 v[10:11], v[21:22], v[17:18]
	v_mul_f64 v[17:18], v[19:20], v[17:18]
	v_fma_f64 v[10:11], v[19:20], v[15:16], -v[10:11]
	s_delay_alu instid0(VALU_DEP_2) | instskip(NEXT) | instid1(VALU_DEP_2)
	v_fma_f64 v[15:16], v[21:22], v[15:16], v[17:18]
	v_add_f64 v[3:4], v[3:4], v[10:11]
	s_delay_alu instid0(VALU_DEP_2)
	v_add_f64 v[1:2], v[1:2], v[15:16]
	s_and_not1_b32 exec_lo, exec_lo, s3
	s_cbranch_execnz .LBB106_145
; %bb.146:
	s_or_b32 exec_lo, exec_lo, s3
	v_mov_b32_e32 v7, 0
	ds_load_b128 v[7:10], v7 offset:528
	s_waitcnt lgkmcnt(0)
	v_mul_f64 v[11:12], v[1:2], v[9:10]
	v_mul_f64 v[15:16], v[3:4], v[9:10]
	s_delay_alu instid0(VALU_DEP_2) | instskip(NEXT) | instid1(VALU_DEP_2)
	v_fma_f64 v[9:10], v[3:4], v[7:8], -v[11:12]
	v_fma_f64 v[11:12], v[1:2], v[7:8], v[15:16]
	scratch_store_b128 off, v[9:12], off offset:528
.LBB106_147:
	s_or_b32 exec_lo, exec_lo, s2
	s_waitcnt_vscnt null, 0x0
	s_barrier
	buffer_gl0_inv
	scratch_load_b128 v[1:4], v162, off
	s_mov_b32 s2, exec_lo
	s_waitcnt vmcnt(0)
	ds_store_b128 v5, v[1:4]
	s_waitcnt lgkmcnt(0)
	s_barrier
	buffer_gl0_inv
	v_cmpx_gt_u32_e32 34, v132
	s_cbranch_execz .LBB106_151
; %bb.148:
	v_dual_mov_b32 v1, 0 :: v_dual_add_nc_u32 v8, 0x2b0, v13
	v_dual_mov_b32 v2, 0 :: v_dual_add_nc_u32 v7, -1, v132
	v_or_b32_e32 v9, 8, v14
	s_mov_b32 s3, 0
	s_delay_alu instid0(VALU_DEP_2)
	v_dual_mov_b32 v4, v2 :: v_dual_mov_b32 v3, v1
	.p2align	6
.LBB106_149:                            ; =>This Inner Loop Header: Depth=1
	scratch_load_b128 v[15:18], v9, off offset:-8
	ds_load_b128 v[19:22], v8
	v_add_nc_u32_e32 v7, 1, v7
	v_add_nc_u32_e32 v8, 16, v8
	;; [unrolled: 1-line block ×3, first 2 shown]
	s_delay_alu instid0(VALU_DEP_3) | instskip(SKIP_4) | instid1(VALU_DEP_2)
	v_cmp_lt_u32_e32 vcc_lo, 32, v7
	s_or_b32 s3, vcc_lo, s3
	s_waitcnt vmcnt(0) lgkmcnt(0)
	v_mul_f64 v[10:11], v[21:22], v[17:18]
	v_mul_f64 v[17:18], v[19:20], v[17:18]
	v_fma_f64 v[10:11], v[19:20], v[15:16], -v[10:11]
	s_delay_alu instid0(VALU_DEP_2) | instskip(NEXT) | instid1(VALU_DEP_2)
	v_fma_f64 v[15:16], v[21:22], v[15:16], v[17:18]
	v_add_f64 v[3:4], v[3:4], v[10:11]
	s_delay_alu instid0(VALU_DEP_2)
	v_add_f64 v[1:2], v[1:2], v[15:16]
	s_and_not1_b32 exec_lo, exec_lo, s3
	s_cbranch_execnz .LBB106_149
; %bb.150:
	s_or_b32 exec_lo, exec_lo, s3
	v_mov_b32_e32 v7, 0
	ds_load_b128 v[7:10], v7 offset:544
	s_waitcnt lgkmcnt(0)
	v_mul_f64 v[11:12], v[1:2], v[9:10]
	v_mul_f64 v[15:16], v[3:4], v[9:10]
	s_delay_alu instid0(VALU_DEP_2) | instskip(NEXT) | instid1(VALU_DEP_2)
	v_fma_f64 v[9:10], v[3:4], v[7:8], -v[11:12]
	v_fma_f64 v[11:12], v[1:2], v[7:8], v[15:16]
	scratch_store_b128 off, v[9:12], off offset:544
.LBB106_151:
	s_or_b32 exec_lo, exec_lo, s2
	s_waitcnt_vscnt null, 0x0
	s_barrier
	buffer_gl0_inv
	scratch_load_b128 v[1:4], v158, off
	s_mov_b32 s2, exec_lo
	s_waitcnt vmcnt(0)
	ds_store_b128 v5, v[1:4]
	s_waitcnt lgkmcnt(0)
	s_barrier
	buffer_gl0_inv
	v_cmpx_gt_u32_e32 35, v132
	s_cbranch_execz .LBB106_155
; %bb.152:
	v_dual_mov_b32 v1, 0 :: v_dual_add_nc_u32 v8, 0x2b0, v13
	v_dual_mov_b32 v2, 0 :: v_dual_add_nc_u32 v7, -1, v132
	v_or_b32_e32 v9, 8, v14
	s_mov_b32 s3, 0
	s_delay_alu instid0(VALU_DEP_2)
	v_dual_mov_b32 v4, v2 :: v_dual_mov_b32 v3, v1
	.p2align	6
.LBB106_153:                            ; =>This Inner Loop Header: Depth=1
	scratch_load_b128 v[15:18], v9, off offset:-8
	ds_load_b128 v[19:22], v8
	v_add_nc_u32_e32 v7, 1, v7
	v_add_nc_u32_e32 v8, 16, v8
	;; [unrolled: 1-line block ×3, first 2 shown]
	s_delay_alu instid0(VALU_DEP_3) | instskip(SKIP_4) | instid1(VALU_DEP_2)
	v_cmp_lt_u32_e32 vcc_lo, 33, v7
	s_or_b32 s3, vcc_lo, s3
	s_waitcnt vmcnt(0) lgkmcnt(0)
	v_mul_f64 v[10:11], v[21:22], v[17:18]
	v_mul_f64 v[17:18], v[19:20], v[17:18]
	v_fma_f64 v[10:11], v[19:20], v[15:16], -v[10:11]
	s_delay_alu instid0(VALU_DEP_2) | instskip(NEXT) | instid1(VALU_DEP_2)
	v_fma_f64 v[15:16], v[21:22], v[15:16], v[17:18]
	v_add_f64 v[3:4], v[3:4], v[10:11]
	s_delay_alu instid0(VALU_DEP_2)
	v_add_f64 v[1:2], v[1:2], v[15:16]
	s_and_not1_b32 exec_lo, exec_lo, s3
	s_cbranch_execnz .LBB106_153
; %bb.154:
	s_or_b32 exec_lo, exec_lo, s3
	v_mov_b32_e32 v7, 0
	ds_load_b128 v[7:10], v7 offset:560
	s_waitcnt lgkmcnt(0)
	v_mul_f64 v[11:12], v[1:2], v[9:10]
	v_mul_f64 v[15:16], v[3:4], v[9:10]
	s_delay_alu instid0(VALU_DEP_2) | instskip(NEXT) | instid1(VALU_DEP_2)
	v_fma_f64 v[9:10], v[3:4], v[7:8], -v[11:12]
	v_fma_f64 v[11:12], v[1:2], v[7:8], v[15:16]
	scratch_store_b128 off, v[9:12], off offset:560
.LBB106_155:
	s_or_b32 exec_lo, exec_lo, s2
	s_waitcnt_vscnt null, 0x0
	s_barrier
	buffer_gl0_inv
	scratch_load_b128 v[1:4], v156, off
	s_mov_b32 s2, exec_lo
	s_waitcnt vmcnt(0)
	ds_store_b128 v5, v[1:4]
	s_waitcnt lgkmcnt(0)
	s_barrier
	buffer_gl0_inv
	v_cmpx_gt_u32_e32 36, v132
	s_cbranch_execz .LBB106_159
; %bb.156:
	v_dual_mov_b32 v1, 0 :: v_dual_add_nc_u32 v8, 0x2b0, v13
	v_dual_mov_b32 v2, 0 :: v_dual_add_nc_u32 v7, -1, v132
	v_or_b32_e32 v9, 8, v14
	s_mov_b32 s3, 0
	s_delay_alu instid0(VALU_DEP_2)
	v_dual_mov_b32 v4, v2 :: v_dual_mov_b32 v3, v1
	.p2align	6
.LBB106_157:                            ; =>This Inner Loop Header: Depth=1
	scratch_load_b128 v[15:18], v9, off offset:-8
	ds_load_b128 v[19:22], v8
	v_add_nc_u32_e32 v7, 1, v7
	v_add_nc_u32_e32 v8, 16, v8
	;; [unrolled: 1-line block ×3, first 2 shown]
	s_delay_alu instid0(VALU_DEP_3) | instskip(SKIP_4) | instid1(VALU_DEP_2)
	v_cmp_lt_u32_e32 vcc_lo, 34, v7
	s_or_b32 s3, vcc_lo, s3
	s_waitcnt vmcnt(0) lgkmcnt(0)
	v_mul_f64 v[10:11], v[21:22], v[17:18]
	v_mul_f64 v[17:18], v[19:20], v[17:18]
	v_fma_f64 v[10:11], v[19:20], v[15:16], -v[10:11]
	s_delay_alu instid0(VALU_DEP_2) | instskip(NEXT) | instid1(VALU_DEP_2)
	v_fma_f64 v[15:16], v[21:22], v[15:16], v[17:18]
	v_add_f64 v[3:4], v[3:4], v[10:11]
	s_delay_alu instid0(VALU_DEP_2)
	v_add_f64 v[1:2], v[1:2], v[15:16]
	s_and_not1_b32 exec_lo, exec_lo, s3
	s_cbranch_execnz .LBB106_157
; %bb.158:
	s_or_b32 exec_lo, exec_lo, s3
	v_mov_b32_e32 v7, 0
	ds_load_b128 v[7:10], v7 offset:576
	s_waitcnt lgkmcnt(0)
	v_mul_f64 v[11:12], v[1:2], v[9:10]
	v_mul_f64 v[15:16], v[3:4], v[9:10]
	s_delay_alu instid0(VALU_DEP_2) | instskip(NEXT) | instid1(VALU_DEP_2)
	v_fma_f64 v[9:10], v[3:4], v[7:8], -v[11:12]
	v_fma_f64 v[11:12], v[1:2], v[7:8], v[15:16]
	scratch_store_b128 off, v[9:12], off offset:576
.LBB106_159:
	s_or_b32 exec_lo, exec_lo, s2
	s_waitcnt_vscnt null, 0x0
	s_barrier
	buffer_gl0_inv
	scratch_load_b128 v[1:4], v152, off
	s_mov_b32 s2, exec_lo
	s_waitcnt vmcnt(0)
	ds_store_b128 v5, v[1:4]
	s_waitcnt lgkmcnt(0)
	s_barrier
	buffer_gl0_inv
	v_cmpx_gt_u32_e32 37, v132
	s_cbranch_execz .LBB106_163
; %bb.160:
	v_dual_mov_b32 v1, 0 :: v_dual_add_nc_u32 v8, 0x2b0, v13
	v_dual_mov_b32 v2, 0 :: v_dual_add_nc_u32 v7, -1, v132
	v_or_b32_e32 v9, 8, v14
	s_mov_b32 s3, 0
	s_delay_alu instid0(VALU_DEP_2)
	v_dual_mov_b32 v4, v2 :: v_dual_mov_b32 v3, v1
	.p2align	6
.LBB106_161:                            ; =>This Inner Loop Header: Depth=1
	scratch_load_b128 v[15:18], v9, off offset:-8
	ds_load_b128 v[19:22], v8
	v_add_nc_u32_e32 v7, 1, v7
	v_add_nc_u32_e32 v8, 16, v8
	;; [unrolled: 1-line block ×3, first 2 shown]
	s_delay_alu instid0(VALU_DEP_3) | instskip(SKIP_4) | instid1(VALU_DEP_2)
	v_cmp_lt_u32_e32 vcc_lo, 35, v7
	s_or_b32 s3, vcc_lo, s3
	s_waitcnt vmcnt(0) lgkmcnt(0)
	v_mul_f64 v[10:11], v[21:22], v[17:18]
	v_mul_f64 v[17:18], v[19:20], v[17:18]
	v_fma_f64 v[10:11], v[19:20], v[15:16], -v[10:11]
	s_delay_alu instid0(VALU_DEP_2) | instskip(NEXT) | instid1(VALU_DEP_2)
	v_fma_f64 v[15:16], v[21:22], v[15:16], v[17:18]
	v_add_f64 v[3:4], v[3:4], v[10:11]
	s_delay_alu instid0(VALU_DEP_2)
	v_add_f64 v[1:2], v[1:2], v[15:16]
	s_and_not1_b32 exec_lo, exec_lo, s3
	s_cbranch_execnz .LBB106_161
; %bb.162:
	s_or_b32 exec_lo, exec_lo, s3
	v_mov_b32_e32 v7, 0
	ds_load_b128 v[7:10], v7 offset:592
	s_waitcnt lgkmcnt(0)
	v_mul_f64 v[11:12], v[1:2], v[9:10]
	v_mul_f64 v[15:16], v[3:4], v[9:10]
	s_delay_alu instid0(VALU_DEP_2) | instskip(NEXT) | instid1(VALU_DEP_2)
	v_fma_f64 v[9:10], v[3:4], v[7:8], -v[11:12]
	v_fma_f64 v[11:12], v[1:2], v[7:8], v[15:16]
	scratch_store_b128 off, v[9:12], off offset:592
.LBB106_163:
	s_or_b32 exec_lo, exec_lo, s2
	s_waitcnt_vscnt null, 0x0
	s_barrier
	buffer_gl0_inv
	scratch_load_b128 v[1:4], v150, off
	s_mov_b32 s2, exec_lo
	s_waitcnt vmcnt(0)
	ds_store_b128 v5, v[1:4]
	s_waitcnt lgkmcnt(0)
	s_barrier
	buffer_gl0_inv
	v_cmpx_gt_u32_e32 38, v132
	s_cbranch_execz .LBB106_167
; %bb.164:
	v_dual_mov_b32 v1, 0 :: v_dual_add_nc_u32 v8, 0x2b0, v13
	v_dual_mov_b32 v2, 0 :: v_dual_add_nc_u32 v7, -1, v132
	v_or_b32_e32 v9, 8, v14
	s_mov_b32 s3, 0
	s_delay_alu instid0(VALU_DEP_2)
	v_dual_mov_b32 v4, v2 :: v_dual_mov_b32 v3, v1
	.p2align	6
.LBB106_165:                            ; =>This Inner Loop Header: Depth=1
	scratch_load_b128 v[15:18], v9, off offset:-8
	ds_load_b128 v[19:22], v8
	v_add_nc_u32_e32 v7, 1, v7
	v_add_nc_u32_e32 v8, 16, v8
	;; [unrolled: 1-line block ×3, first 2 shown]
	s_delay_alu instid0(VALU_DEP_3) | instskip(SKIP_4) | instid1(VALU_DEP_2)
	v_cmp_lt_u32_e32 vcc_lo, 36, v7
	s_or_b32 s3, vcc_lo, s3
	s_waitcnt vmcnt(0) lgkmcnt(0)
	v_mul_f64 v[10:11], v[21:22], v[17:18]
	v_mul_f64 v[17:18], v[19:20], v[17:18]
	v_fma_f64 v[10:11], v[19:20], v[15:16], -v[10:11]
	s_delay_alu instid0(VALU_DEP_2) | instskip(NEXT) | instid1(VALU_DEP_2)
	v_fma_f64 v[15:16], v[21:22], v[15:16], v[17:18]
	v_add_f64 v[3:4], v[3:4], v[10:11]
	s_delay_alu instid0(VALU_DEP_2)
	v_add_f64 v[1:2], v[1:2], v[15:16]
	s_and_not1_b32 exec_lo, exec_lo, s3
	s_cbranch_execnz .LBB106_165
; %bb.166:
	s_or_b32 exec_lo, exec_lo, s3
	v_mov_b32_e32 v7, 0
	ds_load_b128 v[7:10], v7 offset:608
	s_waitcnt lgkmcnt(0)
	v_mul_f64 v[11:12], v[1:2], v[9:10]
	v_mul_f64 v[15:16], v[3:4], v[9:10]
	s_delay_alu instid0(VALU_DEP_2) | instskip(NEXT) | instid1(VALU_DEP_2)
	v_fma_f64 v[9:10], v[3:4], v[7:8], -v[11:12]
	v_fma_f64 v[11:12], v[1:2], v[7:8], v[15:16]
	scratch_store_b128 off, v[9:12], off offset:608
.LBB106_167:
	s_or_b32 exec_lo, exec_lo, s2
	s_waitcnt_vscnt null, 0x0
	s_barrier
	buffer_gl0_inv
	scratch_load_b128 v[1:4], v146, off
	s_mov_b32 s2, exec_lo
	s_waitcnt vmcnt(0)
	ds_store_b128 v5, v[1:4]
	s_waitcnt lgkmcnt(0)
	s_barrier
	buffer_gl0_inv
	v_cmpx_gt_u32_e32 39, v132
	s_cbranch_execz .LBB106_171
; %bb.168:
	v_dual_mov_b32 v1, 0 :: v_dual_add_nc_u32 v8, 0x2b0, v13
	v_dual_mov_b32 v2, 0 :: v_dual_add_nc_u32 v7, -1, v132
	v_or_b32_e32 v9, 8, v14
	s_mov_b32 s3, 0
	s_delay_alu instid0(VALU_DEP_2)
	v_dual_mov_b32 v4, v2 :: v_dual_mov_b32 v3, v1
	.p2align	6
.LBB106_169:                            ; =>This Inner Loop Header: Depth=1
	scratch_load_b128 v[15:18], v9, off offset:-8
	ds_load_b128 v[19:22], v8
	v_add_nc_u32_e32 v7, 1, v7
	v_add_nc_u32_e32 v8, 16, v8
	;; [unrolled: 1-line block ×3, first 2 shown]
	s_delay_alu instid0(VALU_DEP_3) | instskip(SKIP_4) | instid1(VALU_DEP_2)
	v_cmp_lt_u32_e32 vcc_lo, 37, v7
	s_or_b32 s3, vcc_lo, s3
	s_waitcnt vmcnt(0) lgkmcnt(0)
	v_mul_f64 v[10:11], v[21:22], v[17:18]
	v_mul_f64 v[17:18], v[19:20], v[17:18]
	v_fma_f64 v[10:11], v[19:20], v[15:16], -v[10:11]
	s_delay_alu instid0(VALU_DEP_2) | instskip(NEXT) | instid1(VALU_DEP_2)
	v_fma_f64 v[15:16], v[21:22], v[15:16], v[17:18]
	v_add_f64 v[3:4], v[3:4], v[10:11]
	s_delay_alu instid0(VALU_DEP_2)
	v_add_f64 v[1:2], v[1:2], v[15:16]
	s_and_not1_b32 exec_lo, exec_lo, s3
	s_cbranch_execnz .LBB106_169
; %bb.170:
	s_or_b32 exec_lo, exec_lo, s3
	v_mov_b32_e32 v7, 0
	ds_load_b128 v[7:10], v7 offset:624
	s_waitcnt lgkmcnt(0)
	v_mul_f64 v[11:12], v[1:2], v[9:10]
	v_mul_f64 v[15:16], v[3:4], v[9:10]
	s_delay_alu instid0(VALU_DEP_2) | instskip(NEXT) | instid1(VALU_DEP_2)
	v_fma_f64 v[9:10], v[3:4], v[7:8], -v[11:12]
	v_fma_f64 v[11:12], v[1:2], v[7:8], v[15:16]
	scratch_store_b128 off, v[9:12], off offset:624
.LBB106_171:
	s_or_b32 exec_lo, exec_lo, s2
	s_waitcnt_vscnt null, 0x0
	s_barrier
	buffer_gl0_inv
	scratch_load_b128 v[1:4], v144, off
	s_mov_b32 s2, exec_lo
	s_waitcnt vmcnt(0)
	ds_store_b128 v5, v[1:4]
	s_waitcnt lgkmcnt(0)
	s_barrier
	buffer_gl0_inv
	v_cmpx_gt_u32_e32 40, v132
	s_cbranch_execz .LBB106_175
; %bb.172:
	v_dual_mov_b32 v1, 0 :: v_dual_add_nc_u32 v8, 0x2b0, v13
	v_dual_mov_b32 v2, 0 :: v_dual_add_nc_u32 v7, -1, v132
	v_or_b32_e32 v9, 8, v14
	s_mov_b32 s3, 0
	s_delay_alu instid0(VALU_DEP_2)
	v_dual_mov_b32 v4, v2 :: v_dual_mov_b32 v3, v1
	.p2align	6
.LBB106_173:                            ; =>This Inner Loop Header: Depth=1
	scratch_load_b128 v[15:18], v9, off offset:-8
	ds_load_b128 v[19:22], v8
	v_add_nc_u32_e32 v7, 1, v7
	v_add_nc_u32_e32 v8, 16, v8
	;; [unrolled: 1-line block ×3, first 2 shown]
	s_delay_alu instid0(VALU_DEP_3) | instskip(SKIP_4) | instid1(VALU_DEP_2)
	v_cmp_lt_u32_e32 vcc_lo, 38, v7
	s_or_b32 s3, vcc_lo, s3
	s_waitcnt vmcnt(0) lgkmcnt(0)
	v_mul_f64 v[10:11], v[21:22], v[17:18]
	v_mul_f64 v[17:18], v[19:20], v[17:18]
	v_fma_f64 v[10:11], v[19:20], v[15:16], -v[10:11]
	s_delay_alu instid0(VALU_DEP_2) | instskip(NEXT) | instid1(VALU_DEP_2)
	v_fma_f64 v[15:16], v[21:22], v[15:16], v[17:18]
	v_add_f64 v[3:4], v[3:4], v[10:11]
	s_delay_alu instid0(VALU_DEP_2)
	v_add_f64 v[1:2], v[1:2], v[15:16]
	s_and_not1_b32 exec_lo, exec_lo, s3
	s_cbranch_execnz .LBB106_173
; %bb.174:
	s_or_b32 exec_lo, exec_lo, s3
	v_mov_b32_e32 v7, 0
	ds_load_b128 v[7:10], v7 offset:640
	s_waitcnt lgkmcnt(0)
	v_mul_f64 v[11:12], v[1:2], v[9:10]
	v_mul_f64 v[15:16], v[3:4], v[9:10]
	s_delay_alu instid0(VALU_DEP_2) | instskip(NEXT) | instid1(VALU_DEP_2)
	v_fma_f64 v[9:10], v[3:4], v[7:8], -v[11:12]
	v_fma_f64 v[11:12], v[1:2], v[7:8], v[15:16]
	scratch_store_b128 off, v[9:12], off offset:640
.LBB106_175:
	s_or_b32 exec_lo, exec_lo, s2
	s_waitcnt_vscnt null, 0x0
	s_barrier
	buffer_gl0_inv
	scratch_load_b128 v[1:4], v142, off
	s_mov_b32 s2, exec_lo
	s_waitcnt vmcnt(0)
	ds_store_b128 v5, v[1:4]
	s_waitcnt lgkmcnt(0)
	s_barrier
	buffer_gl0_inv
	v_cmpx_gt_u32_e32 41, v132
	s_cbranch_execz .LBB106_179
; %bb.176:
	v_dual_mov_b32 v1, 0 :: v_dual_add_nc_u32 v8, 0x2b0, v13
	v_dual_mov_b32 v2, 0 :: v_dual_add_nc_u32 v7, -1, v132
	v_or_b32_e32 v9, 8, v14
	s_mov_b32 s3, 0
	s_delay_alu instid0(VALU_DEP_2)
	v_dual_mov_b32 v4, v2 :: v_dual_mov_b32 v3, v1
	.p2align	6
.LBB106_177:                            ; =>This Inner Loop Header: Depth=1
	scratch_load_b128 v[10:13], v9, off offset:-8
	ds_load_b128 v[15:18], v8
	v_add_nc_u32_e32 v7, 1, v7
	v_add_nc_u32_e32 v8, 16, v8
	v_add_nc_u32_e32 v9, 16, v9
	s_delay_alu instid0(VALU_DEP_3) | instskip(SKIP_4) | instid1(VALU_DEP_2)
	v_cmp_lt_u32_e32 vcc_lo, 39, v7
	s_or_b32 s3, vcc_lo, s3
	s_waitcnt vmcnt(0) lgkmcnt(0)
	v_mul_f64 v[19:20], v[17:18], v[12:13]
	v_mul_f64 v[12:13], v[15:16], v[12:13]
	v_fma_f64 v[15:16], v[15:16], v[10:11], -v[19:20]
	s_delay_alu instid0(VALU_DEP_2) | instskip(NEXT) | instid1(VALU_DEP_2)
	v_fma_f64 v[10:11], v[17:18], v[10:11], v[12:13]
	v_add_f64 v[3:4], v[3:4], v[15:16]
	s_delay_alu instid0(VALU_DEP_2)
	v_add_f64 v[1:2], v[1:2], v[10:11]
	s_and_not1_b32 exec_lo, exec_lo, s3
	s_cbranch_execnz .LBB106_177
; %bb.178:
	s_or_b32 exec_lo, exec_lo, s3
	v_mov_b32_e32 v7, 0
	ds_load_b128 v[7:10], v7 offset:656
	s_waitcnt lgkmcnt(0)
	v_mul_f64 v[11:12], v[1:2], v[9:10]
	v_mul_f64 v[15:16], v[3:4], v[9:10]
	s_delay_alu instid0(VALU_DEP_2) | instskip(NEXT) | instid1(VALU_DEP_2)
	v_fma_f64 v[9:10], v[3:4], v[7:8], -v[11:12]
	v_fma_f64 v[11:12], v[1:2], v[7:8], v[15:16]
	scratch_store_b128 off, v[9:12], off offset:656
.LBB106_179:
	s_or_b32 exec_lo, exec_lo, s2
	s_waitcnt_vscnt null, 0x0
	s_barrier
	buffer_gl0_inv
	scratch_load_b128 v[1:4], v140, off
	s_mov_b32 s2, exec_lo
	s_waitcnt vmcnt(0)
	ds_store_b128 v5, v[1:4]
	s_waitcnt lgkmcnt(0)
	s_barrier
	buffer_gl0_inv
	v_cmpx_ne_u32_e32 42, v132
	s_cbranch_execz .LBB106_183
; %bb.180:
	v_mov_b32_e32 v1, 0
	v_mov_b32_e32 v2, 0
	v_or_b32_e32 v7, 8, v14
	s_mov_b32 s3, 0
	s_delay_alu instid0(VALU_DEP_2)
	v_dual_mov_b32 v4, v2 :: v_dual_mov_b32 v3, v1
	.p2align	6
.LBB106_181:                            ; =>This Inner Loop Header: Depth=1
	scratch_load_b128 v[8:11], v7, off offset:-8
	ds_load_b128 v[12:15], v5
	v_add_nc_u32_e32 v6, 1, v6
	v_add_nc_u32_e32 v5, 16, v5
	;; [unrolled: 1-line block ×3, first 2 shown]
	s_delay_alu instid0(VALU_DEP_3) | instskip(SKIP_4) | instid1(VALU_DEP_2)
	v_cmp_lt_u32_e32 vcc_lo, 40, v6
	s_or_b32 s3, vcc_lo, s3
	s_waitcnt vmcnt(0) lgkmcnt(0)
	v_mul_f64 v[16:17], v[14:15], v[10:11]
	v_mul_f64 v[10:11], v[12:13], v[10:11]
	v_fma_f64 v[12:13], v[12:13], v[8:9], -v[16:17]
	s_delay_alu instid0(VALU_DEP_2) | instskip(NEXT) | instid1(VALU_DEP_2)
	v_fma_f64 v[8:9], v[14:15], v[8:9], v[10:11]
	v_add_f64 v[3:4], v[3:4], v[12:13]
	s_delay_alu instid0(VALU_DEP_2)
	v_add_f64 v[1:2], v[1:2], v[8:9]
	s_and_not1_b32 exec_lo, exec_lo, s3
	s_cbranch_execnz .LBB106_181
; %bb.182:
	s_or_b32 exec_lo, exec_lo, s3
	v_mov_b32_e32 v5, 0
	ds_load_b128 v[5:8], v5 offset:672
	s_waitcnt lgkmcnt(0)
	v_mul_f64 v[9:10], v[1:2], v[7:8]
	v_mul_f64 v[7:8], v[3:4], v[7:8]
	s_delay_alu instid0(VALU_DEP_2) | instskip(NEXT) | instid1(VALU_DEP_2)
	v_fma_f64 v[3:4], v[3:4], v[5:6], -v[9:10]
	v_fma_f64 v[5:6], v[1:2], v[5:6], v[7:8]
	scratch_store_b128 off, v[3:6], off offset:672
.LBB106_183:
	s_or_b32 exec_lo, exec_lo, s2
	s_mov_b32 s3, -1
	s_waitcnt_vscnt null, 0x0
	s_barrier
	buffer_gl0_inv
.LBB106_184:
	s_and_b32 vcc_lo, exec_lo, s3
	s_cbranch_vccz .LBB106_186
; %bb.185:
	s_lshl_b64 s[2:3], s[10:11], 2
	v_mov_b32_e32 v1, 0
	s_add_u32 s2, s6, s2
	s_addc_u32 s3, s7, s3
	global_load_b32 v1, v1, s[2:3]
	s_waitcnt vmcnt(0)
	v_cmp_ne_u32_e32 vcc_lo, 0, v1
	s_cbranch_vccz .LBB106_187
.LBB106_186:
	s_endpgm
.LBB106_187:
	v_lshl_add_u32 v175, v132, 4, 0x2b0
	s_mov_b32 s2, exec_lo
	v_cmpx_eq_u32_e32 42, v132
	s_cbranch_execz .LBB106_189
; %bb.188:
	scratch_load_b128 v[1:4], v142, off
	v_mov_b32_e32 v5, 0
	s_delay_alu instid0(VALU_DEP_1)
	v_mov_b32_e32 v6, v5
	v_mov_b32_e32 v7, v5
	;; [unrolled: 1-line block ×3, first 2 shown]
	scratch_store_b128 off, v[5:8], off offset:656
	s_waitcnt vmcnt(0)
	ds_store_b128 v175, v[1:4]
.LBB106_189:
	s_or_b32 exec_lo, exec_lo, s2
	s_waitcnt lgkmcnt(0)
	s_waitcnt_vscnt null, 0x0
	s_barrier
	buffer_gl0_inv
	s_clause 0x1
	scratch_load_b128 v[2:5], off, off offset:672
	scratch_load_b128 v[6:9], off, off offset:656
	v_mov_b32_e32 v1, 0
	s_mov_b32 s2, exec_lo
	ds_load_b128 v[10:13], v1 offset:1360
	s_waitcnt vmcnt(1) lgkmcnt(0)
	v_mul_f64 v[14:15], v[12:13], v[4:5]
	v_mul_f64 v[4:5], v[10:11], v[4:5]
	s_delay_alu instid0(VALU_DEP_2) | instskip(NEXT) | instid1(VALU_DEP_2)
	v_fma_f64 v[10:11], v[10:11], v[2:3], -v[14:15]
	v_fma_f64 v[2:3], v[12:13], v[2:3], v[4:5]
	s_delay_alu instid0(VALU_DEP_2) | instskip(NEXT) | instid1(VALU_DEP_2)
	v_add_f64 v[4:5], v[10:11], 0
	v_add_f64 v[10:11], v[2:3], 0
	s_waitcnt vmcnt(0)
	s_delay_alu instid0(VALU_DEP_2) | instskip(NEXT) | instid1(VALU_DEP_2)
	v_add_f64 v[2:3], v[6:7], -v[4:5]
	v_add_f64 v[4:5], v[8:9], -v[10:11]
	scratch_store_b128 off, v[2:5], off offset:656
	v_cmpx_lt_u32_e32 40, v132
	s_cbranch_execz .LBB106_191
; %bb.190:
	scratch_load_b128 v[5:8], v144, off
	v_mov_b32_e32 v2, v1
	v_mov_b32_e32 v3, v1
	;; [unrolled: 1-line block ×3, first 2 shown]
	scratch_store_b128 off, v[1:4], off offset:640
	s_waitcnt vmcnt(0)
	ds_store_b128 v175, v[5:8]
.LBB106_191:
	s_or_b32 exec_lo, exec_lo, s2
	s_waitcnt lgkmcnt(0)
	s_waitcnt_vscnt null, 0x0
	s_barrier
	buffer_gl0_inv
	s_clause 0x2
	scratch_load_b128 v[2:5], off, off offset:656
	scratch_load_b128 v[6:9], off, off offset:672
	scratch_load_b128 v[10:13], off, off offset:640
	ds_load_b128 v[14:17], v1 offset:1344
	ds_load_b128 v[18:21], v1 offset:1360
	s_mov_b32 s2, exec_lo
	s_waitcnt vmcnt(2) lgkmcnt(1)
	v_mul_f64 v[22:23], v[16:17], v[4:5]
	v_mul_f64 v[4:5], v[14:15], v[4:5]
	s_waitcnt vmcnt(1) lgkmcnt(0)
	v_mul_f64 v[24:25], v[18:19], v[8:9]
	v_mul_f64 v[8:9], v[20:21], v[8:9]
	s_delay_alu instid0(VALU_DEP_4) | instskip(NEXT) | instid1(VALU_DEP_4)
	v_fma_f64 v[14:15], v[14:15], v[2:3], -v[22:23]
	v_fma_f64 v[1:2], v[16:17], v[2:3], v[4:5]
	s_delay_alu instid0(VALU_DEP_4) | instskip(NEXT) | instid1(VALU_DEP_4)
	v_fma_f64 v[3:4], v[20:21], v[6:7], v[24:25]
	v_fma_f64 v[5:6], v[18:19], v[6:7], -v[8:9]
	s_delay_alu instid0(VALU_DEP_4) | instskip(NEXT) | instid1(VALU_DEP_4)
	v_add_f64 v[7:8], v[14:15], 0
	v_add_f64 v[1:2], v[1:2], 0
	s_delay_alu instid0(VALU_DEP_2) | instskip(NEXT) | instid1(VALU_DEP_2)
	v_add_f64 v[5:6], v[7:8], v[5:6]
	v_add_f64 v[3:4], v[1:2], v[3:4]
	s_waitcnt vmcnt(0)
	s_delay_alu instid0(VALU_DEP_2) | instskip(NEXT) | instid1(VALU_DEP_2)
	v_add_f64 v[1:2], v[10:11], -v[5:6]
	v_add_f64 v[3:4], v[12:13], -v[3:4]
	scratch_store_b128 off, v[1:4], off offset:640
	v_cmpx_lt_u32_e32 39, v132
	s_cbranch_execz .LBB106_193
; %bb.192:
	scratch_load_b128 v[1:4], v146, off
	v_mov_b32_e32 v5, 0
	s_delay_alu instid0(VALU_DEP_1)
	v_mov_b32_e32 v6, v5
	v_mov_b32_e32 v7, v5
	v_mov_b32_e32 v8, v5
	scratch_store_b128 off, v[5:8], off offset:624
	s_waitcnt vmcnt(0)
	ds_store_b128 v175, v[1:4]
.LBB106_193:
	s_or_b32 exec_lo, exec_lo, s2
	s_waitcnt lgkmcnt(0)
	s_waitcnt_vscnt null, 0x0
	s_barrier
	buffer_gl0_inv
	s_clause 0x3
	scratch_load_b128 v[2:5], off, off offset:640
	scratch_load_b128 v[6:9], off, off offset:656
	;; [unrolled: 1-line block ×4, first 2 shown]
	v_mov_b32_e32 v1, 0
	ds_load_b128 v[18:21], v1 offset:1328
	ds_load_b128 v[22:25], v1 offset:1344
	s_mov_b32 s2, exec_lo
	s_waitcnt vmcnt(3) lgkmcnt(1)
	v_mul_f64 v[26:27], v[20:21], v[4:5]
	v_mul_f64 v[4:5], v[18:19], v[4:5]
	s_waitcnt vmcnt(2) lgkmcnt(0)
	v_mul_f64 v[28:29], v[22:23], v[8:9]
	v_mul_f64 v[8:9], v[24:25], v[8:9]
	s_delay_alu instid0(VALU_DEP_4) | instskip(NEXT) | instid1(VALU_DEP_4)
	v_fma_f64 v[18:19], v[18:19], v[2:3], -v[26:27]
	v_fma_f64 v[20:21], v[20:21], v[2:3], v[4:5]
	ds_load_b128 v[2:5], v1 offset:1360
	v_fma_f64 v[24:25], v[24:25], v[6:7], v[28:29]
	v_fma_f64 v[6:7], v[22:23], v[6:7], -v[8:9]
	s_waitcnt vmcnt(1) lgkmcnt(0)
	v_mul_f64 v[26:27], v[2:3], v[12:13]
	v_mul_f64 v[12:13], v[4:5], v[12:13]
	v_add_f64 v[8:9], v[18:19], 0
	v_add_f64 v[18:19], v[20:21], 0
	s_delay_alu instid0(VALU_DEP_4) | instskip(NEXT) | instid1(VALU_DEP_4)
	v_fma_f64 v[4:5], v[4:5], v[10:11], v[26:27]
	v_fma_f64 v[2:3], v[2:3], v[10:11], -v[12:13]
	s_delay_alu instid0(VALU_DEP_4) | instskip(NEXT) | instid1(VALU_DEP_4)
	v_add_f64 v[6:7], v[8:9], v[6:7]
	v_add_f64 v[8:9], v[18:19], v[24:25]
	s_delay_alu instid0(VALU_DEP_2) | instskip(NEXT) | instid1(VALU_DEP_2)
	v_add_f64 v[2:3], v[6:7], v[2:3]
	v_add_f64 v[4:5], v[8:9], v[4:5]
	s_waitcnt vmcnt(0)
	s_delay_alu instid0(VALU_DEP_2) | instskip(NEXT) | instid1(VALU_DEP_2)
	v_add_f64 v[2:3], v[14:15], -v[2:3]
	v_add_f64 v[4:5], v[16:17], -v[4:5]
	scratch_store_b128 off, v[2:5], off offset:624
	v_cmpx_lt_u32_e32 38, v132
	s_cbranch_execz .LBB106_195
; %bb.194:
	scratch_load_b128 v[5:8], v150, off
	v_mov_b32_e32 v2, v1
	v_mov_b32_e32 v3, v1
	;; [unrolled: 1-line block ×3, first 2 shown]
	scratch_store_b128 off, v[1:4], off offset:608
	s_waitcnt vmcnt(0)
	ds_store_b128 v175, v[5:8]
.LBB106_195:
	s_or_b32 exec_lo, exec_lo, s2
	s_waitcnt lgkmcnt(0)
	s_waitcnt_vscnt null, 0x0
	s_barrier
	buffer_gl0_inv
	s_clause 0x4
	scratch_load_b128 v[2:5], off, off offset:624
	scratch_load_b128 v[6:9], off, off offset:640
	;; [unrolled: 1-line block ×5, first 2 shown]
	ds_load_b128 v[22:25], v1 offset:1312
	ds_load_b128 v[26:29], v1 offset:1328
	s_mov_b32 s2, exec_lo
	s_waitcnt vmcnt(4) lgkmcnt(1)
	v_mul_f64 v[30:31], v[24:25], v[4:5]
	v_mul_f64 v[4:5], v[22:23], v[4:5]
	s_waitcnt vmcnt(3) lgkmcnt(0)
	v_mul_f64 v[32:33], v[26:27], v[8:9]
	v_mul_f64 v[8:9], v[28:29], v[8:9]
	s_delay_alu instid0(VALU_DEP_4) | instskip(NEXT) | instid1(VALU_DEP_4)
	v_fma_f64 v[30:31], v[22:23], v[2:3], -v[30:31]
	v_fma_f64 v[34:35], v[24:25], v[2:3], v[4:5]
	ds_load_b128 v[2:5], v1 offset:1344
	ds_load_b128 v[22:25], v1 offset:1360
	v_fma_f64 v[28:29], v[28:29], v[6:7], v[32:33]
	v_fma_f64 v[6:7], v[26:27], v[6:7], -v[8:9]
	s_waitcnt vmcnt(2) lgkmcnt(1)
	v_mul_f64 v[36:37], v[2:3], v[12:13]
	v_mul_f64 v[12:13], v[4:5], v[12:13]
	v_add_f64 v[8:9], v[30:31], 0
	v_add_f64 v[26:27], v[34:35], 0
	s_waitcnt vmcnt(1) lgkmcnt(0)
	v_mul_f64 v[30:31], v[22:23], v[16:17]
	v_mul_f64 v[16:17], v[24:25], v[16:17]
	v_fma_f64 v[4:5], v[4:5], v[10:11], v[36:37]
	v_fma_f64 v[1:2], v[2:3], v[10:11], -v[12:13]
	v_add_f64 v[6:7], v[8:9], v[6:7]
	v_add_f64 v[8:9], v[26:27], v[28:29]
	v_fma_f64 v[10:11], v[24:25], v[14:15], v[30:31]
	v_fma_f64 v[12:13], v[22:23], v[14:15], -v[16:17]
	s_delay_alu instid0(VALU_DEP_4) | instskip(NEXT) | instid1(VALU_DEP_4)
	v_add_f64 v[1:2], v[6:7], v[1:2]
	v_add_f64 v[3:4], v[8:9], v[4:5]
	s_delay_alu instid0(VALU_DEP_2) | instskip(NEXT) | instid1(VALU_DEP_2)
	v_add_f64 v[1:2], v[1:2], v[12:13]
	v_add_f64 v[3:4], v[3:4], v[10:11]
	s_waitcnt vmcnt(0)
	s_delay_alu instid0(VALU_DEP_2) | instskip(NEXT) | instid1(VALU_DEP_2)
	v_add_f64 v[1:2], v[18:19], -v[1:2]
	v_add_f64 v[3:4], v[20:21], -v[3:4]
	scratch_store_b128 off, v[1:4], off offset:608
	v_cmpx_lt_u32_e32 37, v132
	s_cbranch_execz .LBB106_197
; %bb.196:
	scratch_load_b128 v[1:4], v152, off
	v_mov_b32_e32 v5, 0
	s_delay_alu instid0(VALU_DEP_1)
	v_mov_b32_e32 v6, v5
	v_mov_b32_e32 v7, v5
	;; [unrolled: 1-line block ×3, first 2 shown]
	scratch_store_b128 off, v[5:8], off offset:592
	s_waitcnt vmcnt(0)
	ds_store_b128 v175, v[1:4]
.LBB106_197:
	s_or_b32 exec_lo, exec_lo, s2
	s_waitcnt lgkmcnt(0)
	s_waitcnt_vscnt null, 0x0
	s_barrier
	buffer_gl0_inv
	s_clause 0x5
	scratch_load_b128 v[2:5], off, off offset:608
	scratch_load_b128 v[6:9], off, off offset:624
	;; [unrolled: 1-line block ×6, first 2 shown]
	v_mov_b32_e32 v1, 0
	ds_load_b128 v[26:29], v1 offset:1296
	ds_load_b128 v[30:33], v1 offset:1312
	s_mov_b32 s2, exec_lo
	s_waitcnt vmcnt(5) lgkmcnt(1)
	v_mul_f64 v[34:35], v[28:29], v[4:5]
	v_mul_f64 v[4:5], v[26:27], v[4:5]
	s_waitcnt vmcnt(4) lgkmcnt(0)
	v_mul_f64 v[36:37], v[30:31], v[8:9]
	v_mul_f64 v[8:9], v[32:33], v[8:9]
	s_delay_alu instid0(VALU_DEP_4) | instskip(NEXT) | instid1(VALU_DEP_4)
	v_fma_f64 v[34:35], v[26:27], v[2:3], -v[34:35]
	v_fma_f64 v[38:39], v[28:29], v[2:3], v[4:5]
	ds_load_b128 v[2:5], v1 offset:1328
	ds_load_b128 v[26:29], v1 offset:1344
	v_fma_f64 v[32:33], v[32:33], v[6:7], v[36:37]
	v_fma_f64 v[6:7], v[30:31], v[6:7], -v[8:9]
	s_waitcnt vmcnt(3) lgkmcnt(1)
	v_mul_f64 v[40:41], v[2:3], v[12:13]
	v_mul_f64 v[12:13], v[4:5], v[12:13]
	v_add_f64 v[8:9], v[34:35], 0
	v_add_f64 v[30:31], v[38:39], 0
	s_waitcnt vmcnt(2) lgkmcnt(0)
	v_mul_f64 v[34:35], v[26:27], v[16:17]
	v_mul_f64 v[16:17], v[28:29], v[16:17]
	v_fma_f64 v[36:37], v[4:5], v[10:11], v[40:41]
	v_fma_f64 v[10:11], v[2:3], v[10:11], -v[12:13]
	ds_load_b128 v[2:5], v1 offset:1360
	v_add_f64 v[6:7], v[8:9], v[6:7]
	v_add_f64 v[8:9], v[30:31], v[32:33]
	v_fma_f64 v[28:29], v[28:29], v[14:15], v[34:35]
	v_fma_f64 v[14:15], v[26:27], v[14:15], -v[16:17]
	s_waitcnt vmcnt(1) lgkmcnt(0)
	v_mul_f64 v[12:13], v[2:3], v[20:21]
	v_mul_f64 v[20:21], v[4:5], v[20:21]
	v_add_f64 v[6:7], v[6:7], v[10:11]
	v_add_f64 v[8:9], v[8:9], v[36:37]
	s_delay_alu instid0(VALU_DEP_4) | instskip(NEXT) | instid1(VALU_DEP_4)
	v_fma_f64 v[4:5], v[4:5], v[18:19], v[12:13]
	v_fma_f64 v[2:3], v[2:3], v[18:19], -v[20:21]
	s_delay_alu instid0(VALU_DEP_4) | instskip(NEXT) | instid1(VALU_DEP_4)
	v_add_f64 v[6:7], v[6:7], v[14:15]
	v_add_f64 v[8:9], v[8:9], v[28:29]
	s_delay_alu instid0(VALU_DEP_2) | instskip(NEXT) | instid1(VALU_DEP_2)
	v_add_f64 v[2:3], v[6:7], v[2:3]
	v_add_f64 v[4:5], v[8:9], v[4:5]
	s_waitcnt vmcnt(0)
	s_delay_alu instid0(VALU_DEP_2) | instskip(NEXT) | instid1(VALU_DEP_2)
	v_add_f64 v[2:3], v[22:23], -v[2:3]
	v_add_f64 v[4:5], v[24:25], -v[4:5]
	scratch_store_b128 off, v[2:5], off offset:592
	v_cmpx_lt_u32_e32 36, v132
	s_cbranch_execz .LBB106_199
; %bb.198:
	scratch_load_b128 v[5:8], v156, off
	v_mov_b32_e32 v2, v1
	v_mov_b32_e32 v3, v1
	;; [unrolled: 1-line block ×3, first 2 shown]
	scratch_store_b128 off, v[1:4], off offset:576
	s_waitcnt vmcnt(0)
	ds_store_b128 v175, v[5:8]
.LBB106_199:
	s_or_b32 exec_lo, exec_lo, s2
	s_waitcnt lgkmcnt(0)
	s_waitcnt_vscnt null, 0x0
	s_barrier
	buffer_gl0_inv
	s_clause 0x5
	scratch_load_b128 v[2:5], off, off offset:592
	scratch_load_b128 v[6:9], off, off offset:608
	;; [unrolled: 1-line block ×6, first 2 shown]
	ds_load_b128 v[26:29], v1 offset:1280
	ds_load_b128 v[34:37], v1 offset:1296
	scratch_load_b128 v[30:33], off, off offset:576
	s_mov_b32 s2, exec_lo
	s_waitcnt vmcnt(6) lgkmcnt(1)
	v_mul_f64 v[38:39], v[28:29], v[4:5]
	v_mul_f64 v[4:5], v[26:27], v[4:5]
	s_waitcnt vmcnt(5) lgkmcnt(0)
	v_mul_f64 v[40:41], v[34:35], v[8:9]
	v_mul_f64 v[8:9], v[36:37], v[8:9]
	s_delay_alu instid0(VALU_DEP_4) | instskip(NEXT) | instid1(VALU_DEP_4)
	v_fma_f64 v[38:39], v[26:27], v[2:3], -v[38:39]
	v_fma_f64 v[42:43], v[28:29], v[2:3], v[4:5]
	ds_load_b128 v[2:5], v1 offset:1312
	ds_load_b128 v[26:29], v1 offset:1328
	v_fma_f64 v[36:37], v[36:37], v[6:7], v[40:41]
	v_fma_f64 v[6:7], v[34:35], v[6:7], -v[8:9]
	s_waitcnt vmcnt(4) lgkmcnt(1)
	v_mul_f64 v[44:45], v[2:3], v[12:13]
	v_mul_f64 v[12:13], v[4:5], v[12:13]
	v_add_f64 v[8:9], v[38:39], 0
	v_add_f64 v[34:35], v[42:43], 0
	s_waitcnt vmcnt(3) lgkmcnt(0)
	v_mul_f64 v[38:39], v[26:27], v[16:17]
	v_mul_f64 v[16:17], v[28:29], v[16:17]
	v_fma_f64 v[40:41], v[4:5], v[10:11], v[44:45]
	v_fma_f64 v[10:11], v[2:3], v[10:11], -v[12:13]
	v_add_f64 v[12:13], v[8:9], v[6:7]
	v_add_f64 v[34:35], v[34:35], v[36:37]
	ds_load_b128 v[2:5], v1 offset:1344
	ds_load_b128 v[6:9], v1 offset:1360
	v_fma_f64 v[28:29], v[28:29], v[14:15], v[38:39]
	v_fma_f64 v[14:15], v[26:27], v[14:15], -v[16:17]
	s_waitcnt vmcnt(2) lgkmcnt(1)
	v_mul_f64 v[36:37], v[2:3], v[20:21]
	v_mul_f64 v[20:21], v[4:5], v[20:21]
	s_waitcnt vmcnt(1) lgkmcnt(0)
	v_mul_f64 v[16:17], v[6:7], v[24:25]
	v_mul_f64 v[24:25], v[8:9], v[24:25]
	v_add_f64 v[10:11], v[12:13], v[10:11]
	v_add_f64 v[12:13], v[34:35], v[40:41]
	v_fma_f64 v[4:5], v[4:5], v[18:19], v[36:37]
	v_fma_f64 v[1:2], v[2:3], v[18:19], -v[20:21]
	v_fma_f64 v[8:9], v[8:9], v[22:23], v[16:17]
	v_fma_f64 v[6:7], v[6:7], v[22:23], -v[24:25]
	v_add_f64 v[10:11], v[10:11], v[14:15]
	v_add_f64 v[12:13], v[12:13], v[28:29]
	s_delay_alu instid0(VALU_DEP_2) | instskip(NEXT) | instid1(VALU_DEP_2)
	v_add_f64 v[1:2], v[10:11], v[1:2]
	v_add_f64 v[3:4], v[12:13], v[4:5]
	s_delay_alu instid0(VALU_DEP_2) | instskip(NEXT) | instid1(VALU_DEP_2)
	v_add_f64 v[1:2], v[1:2], v[6:7]
	v_add_f64 v[3:4], v[3:4], v[8:9]
	s_waitcnt vmcnt(0)
	s_delay_alu instid0(VALU_DEP_2) | instskip(NEXT) | instid1(VALU_DEP_2)
	v_add_f64 v[1:2], v[30:31], -v[1:2]
	v_add_f64 v[3:4], v[32:33], -v[3:4]
	scratch_store_b128 off, v[1:4], off offset:576
	v_cmpx_lt_u32_e32 35, v132
	s_cbranch_execz .LBB106_201
; %bb.200:
	scratch_load_b128 v[1:4], v158, off
	v_mov_b32_e32 v5, 0
	s_delay_alu instid0(VALU_DEP_1)
	v_mov_b32_e32 v6, v5
	v_mov_b32_e32 v7, v5
	;; [unrolled: 1-line block ×3, first 2 shown]
	scratch_store_b128 off, v[5:8], off offset:560
	s_waitcnt vmcnt(0)
	ds_store_b128 v175, v[1:4]
.LBB106_201:
	s_or_b32 exec_lo, exec_lo, s2
	s_waitcnt lgkmcnt(0)
	s_waitcnt_vscnt null, 0x0
	s_barrier
	buffer_gl0_inv
	s_clause 0x6
	scratch_load_b128 v[2:5], off, off offset:576
	scratch_load_b128 v[6:9], off, off offset:592
	;; [unrolled: 1-line block ×7, first 2 shown]
	v_mov_b32_e32 v1, 0
	scratch_load_b128 v[34:37], off, off offset:560
	s_mov_b32 s2, exec_lo
	ds_load_b128 v[30:33], v1 offset:1264
	ds_load_b128 v[38:41], v1 offset:1280
	s_waitcnt vmcnt(7) lgkmcnt(1)
	v_mul_f64 v[42:43], v[32:33], v[4:5]
	v_mul_f64 v[4:5], v[30:31], v[4:5]
	s_waitcnt vmcnt(6) lgkmcnt(0)
	v_mul_f64 v[44:45], v[38:39], v[8:9]
	v_mul_f64 v[8:9], v[40:41], v[8:9]
	s_delay_alu instid0(VALU_DEP_4) | instskip(NEXT) | instid1(VALU_DEP_4)
	v_fma_f64 v[42:43], v[30:31], v[2:3], -v[42:43]
	v_fma_f64 v[176:177], v[32:33], v[2:3], v[4:5]
	ds_load_b128 v[2:5], v1 offset:1296
	ds_load_b128 v[30:33], v1 offset:1312
	v_fma_f64 v[40:41], v[40:41], v[6:7], v[44:45]
	v_fma_f64 v[6:7], v[38:39], v[6:7], -v[8:9]
	s_waitcnt vmcnt(5) lgkmcnt(1)
	v_mul_f64 v[178:179], v[2:3], v[12:13]
	v_mul_f64 v[12:13], v[4:5], v[12:13]
	v_add_f64 v[8:9], v[42:43], 0
	v_add_f64 v[38:39], v[176:177], 0
	s_waitcnt vmcnt(4) lgkmcnt(0)
	v_mul_f64 v[42:43], v[30:31], v[16:17]
	v_mul_f64 v[16:17], v[32:33], v[16:17]
	v_fma_f64 v[44:45], v[4:5], v[10:11], v[178:179]
	v_fma_f64 v[10:11], v[2:3], v[10:11], -v[12:13]
	v_add_f64 v[12:13], v[8:9], v[6:7]
	v_add_f64 v[38:39], v[38:39], v[40:41]
	ds_load_b128 v[2:5], v1 offset:1328
	ds_load_b128 v[6:9], v1 offset:1344
	v_fma_f64 v[32:33], v[32:33], v[14:15], v[42:43]
	v_fma_f64 v[14:15], v[30:31], v[14:15], -v[16:17]
	s_waitcnt vmcnt(3) lgkmcnt(1)
	v_mul_f64 v[40:41], v[2:3], v[20:21]
	v_mul_f64 v[20:21], v[4:5], v[20:21]
	s_waitcnt vmcnt(2) lgkmcnt(0)
	v_mul_f64 v[16:17], v[6:7], v[24:25]
	v_mul_f64 v[24:25], v[8:9], v[24:25]
	v_add_f64 v[10:11], v[12:13], v[10:11]
	v_add_f64 v[12:13], v[38:39], v[44:45]
	v_fma_f64 v[30:31], v[4:5], v[18:19], v[40:41]
	v_fma_f64 v[18:19], v[2:3], v[18:19], -v[20:21]
	ds_load_b128 v[2:5], v1 offset:1360
	v_fma_f64 v[8:9], v[8:9], v[22:23], v[16:17]
	v_fma_f64 v[6:7], v[6:7], v[22:23], -v[24:25]
	v_add_f64 v[10:11], v[10:11], v[14:15]
	v_add_f64 v[12:13], v[12:13], v[32:33]
	s_waitcnt vmcnt(1) lgkmcnt(0)
	v_mul_f64 v[14:15], v[2:3], v[28:29]
	v_mul_f64 v[20:21], v[4:5], v[28:29]
	s_delay_alu instid0(VALU_DEP_4) | instskip(NEXT) | instid1(VALU_DEP_4)
	v_add_f64 v[10:11], v[10:11], v[18:19]
	v_add_f64 v[12:13], v[12:13], v[30:31]
	s_delay_alu instid0(VALU_DEP_4) | instskip(NEXT) | instid1(VALU_DEP_4)
	v_fma_f64 v[4:5], v[4:5], v[26:27], v[14:15]
	v_fma_f64 v[2:3], v[2:3], v[26:27], -v[20:21]
	s_delay_alu instid0(VALU_DEP_4) | instskip(NEXT) | instid1(VALU_DEP_4)
	v_add_f64 v[6:7], v[10:11], v[6:7]
	v_add_f64 v[8:9], v[12:13], v[8:9]
	s_delay_alu instid0(VALU_DEP_2) | instskip(NEXT) | instid1(VALU_DEP_2)
	v_add_f64 v[2:3], v[6:7], v[2:3]
	v_add_f64 v[4:5], v[8:9], v[4:5]
	s_waitcnt vmcnt(0)
	s_delay_alu instid0(VALU_DEP_2) | instskip(NEXT) | instid1(VALU_DEP_2)
	v_add_f64 v[2:3], v[34:35], -v[2:3]
	v_add_f64 v[4:5], v[36:37], -v[4:5]
	scratch_store_b128 off, v[2:5], off offset:560
	v_cmpx_lt_u32_e32 34, v132
	s_cbranch_execz .LBB106_203
; %bb.202:
	scratch_load_b128 v[5:8], v162, off
	v_mov_b32_e32 v2, v1
	v_mov_b32_e32 v3, v1
	;; [unrolled: 1-line block ×3, first 2 shown]
	scratch_store_b128 off, v[1:4], off offset:544
	s_waitcnt vmcnt(0)
	ds_store_b128 v175, v[5:8]
.LBB106_203:
	s_or_b32 exec_lo, exec_lo, s2
	s_waitcnt lgkmcnt(0)
	s_waitcnt_vscnt null, 0x0
	s_barrier
	buffer_gl0_inv
	s_clause 0x7
	scratch_load_b128 v[2:5], off, off offset:560
	scratch_load_b128 v[6:9], off, off offset:576
	;; [unrolled: 1-line block ×8, first 2 shown]
	ds_load_b128 v[34:37], v1 offset:1248
	ds_load_b128 v[38:41], v1 offset:1264
	scratch_load_b128 v[42:45], off, off offset:544
	s_mov_b32 s2, exec_lo
	s_waitcnt vmcnt(8) lgkmcnt(1)
	v_mul_f64 v[176:177], v[36:37], v[4:5]
	v_mul_f64 v[4:5], v[34:35], v[4:5]
	s_waitcnt vmcnt(7) lgkmcnt(0)
	v_mul_f64 v[178:179], v[38:39], v[8:9]
	v_mul_f64 v[8:9], v[40:41], v[8:9]
	s_delay_alu instid0(VALU_DEP_4) | instskip(NEXT) | instid1(VALU_DEP_4)
	v_fma_f64 v[176:177], v[34:35], v[2:3], -v[176:177]
	v_fma_f64 v[180:181], v[36:37], v[2:3], v[4:5]
	ds_load_b128 v[2:5], v1 offset:1280
	ds_load_b128 v[34:37], v1 offset:1296
	v_fma_f64 v[40:41], v[40:41], v[6:7], v[178:179]
	v_fma_f64 v[6:7], v[38:39], v[6:7], -v[8:9]
	s_waitcnt vmcnt(6) lgkmcnt(1)
	v_mul_f64 v[182:183], v[2:3], v[12:13]
	v_mul_f64 v[12:13], v[4:5], v[12:13]
	v_add_f64 v[8:9], v[176:177], 0
	v_add_f64 v[38:39], v[180:181], 0
	s_waitcnt vmcnt(5) lgkmcnt(0)
	v_mul_f64 v[176:177], v[34:35], v[16:17]
	v_mul_f64 v[16:17], v[36:37], v[16:17]
	v_fma_f64 v[178:179], v[4:5], v[10:11], v[182:183]
	v_fma_f64 v[10:11], v[2:3], v[10:11], -v[12:13]
	v_add_f64 v[12:13], v[8:9], v[6:7]
	v_add_f64 v[38:39], v[38:39], v[40:41]
	ds_load_b128 v[2:5], v1 offset:1312
	ds_load_b128 v[6:9], v1 offset:1328
	v_fma_f64 v[36:37], v[36:37], v[14:15], v[176:177]
	v_fma_f64 v[14:15], v[34:35], v[14:15], -v[16:17]
	s_waitcnt vmcnt(4) lgkmcnt(1)
	v_mul_f64 v[40:41], v[2:3], v[20:21]
	v_mul_f64 v[20:21], v[4:5], v[20:21]
	s_waitcnt vmcnt(3) lgkmcnt(0)
	v_mul_f64 v[16:17], v[6:7], v[24:25]
	v_mul_f64 v[24:25], v[8:9], v[24:25]
	v_add_f64 v[10:11], v[12:13], v[10:11]
	v_add_f64 v[12:13], v[38:39], v[178:179]
	v_fma_f64 v[34:35], v[4:5], v[18:19], v[40:41]
	v_fma_f64 v[18:19], v[2:3], v[18:19], -v[20:21]
	v_fma_f64 v[8:9], v[8:9], v[22:23], v[16:17]
	v_fma_f64 v[6:7], v[6:7], v[22:23], -v[24:25]
	v_add_f64 v[14:15], v[10:11], v[14:15]
	v_add_f64 v[20:21], v[12:13], v[36:37]
	ds_load_b128 v[2:5], v1 offset:1344
	ds_load_b128 v[10:13], v1 offset:1360
	s_waitcnt vmcnt(2) lgkmcnt(1)
	v_mul_f64 v[36:37], v[2:3], v[28:29]
	v_mul_f64 v[28:29], v[4:5], v[28:29]
	v_add_f64 v[14:15], v[14:15], v[18:19]
	v_add_f64 v[16:17], v[20:21], v[34:35]
	s_waitcnt vmcnt(1) lgkmcnt(0)
	v_mul_f64 v[18:19], v[10:11], v[32:33]
	v_mul_f64 v[20:21], v[12:13], v[32:33]
	v_fma_f64 v[4:5], v[4:5], v[26:27], v[36:37]
	v_fma_f64 v[1:2], v[2:3], v[26:27], -v[28:29]
	v_add_f64 v[6:7], v[14:15], v[6:7]
	v_add_f64 v[8:9], v[16:17], v[8:9]
	v_fma_f64 v[12:13], v[12:13], v[30:31], v[18:19]
	v_fma_f64 v[10:11], v[10:11], v[30:31], -v[20:21]
	s_delay_alu instid0(VALU_DEP_4) | instskip(NEXT) | instid1(VALU_DEP_4)
	v_add_f64 v[1:2], v[6:7], v[1:2]
	v_add_f64 v[3:4], v[8:9], v[4:5]
	s_delay_alu instid0(VALU_DEP_2) | instskip(NEXT) | instid1(VALU_DEP_2)
	v_add_f64 v[1:2], v[1:2], v[10:11]
	v_add_f64 v[3:4], v[3:4], v[12:13]
	s_waitcnt vmcnt(0)
	s_delay_alu instid0(VALU_DEP_2) | instskip(NEXT) | instid1(VALU_DEP_2)
	v_add_f64 v[1:2], v[42:43], -v[1:2]
	v_add_f64 v[3:4], v[44:45], -v[3:4]
	scratch_store_b128 off, v[1:4], off offset:544
	v_cmpx_lt_u32_e32 33, v132
	s_cbranch_execz .LBB106_205
; %bb.204:
	scratch_load_b128 v[1:4], v164, off
	v_mov_b32_e32 v5, 0
	s_delay_alu instid0(VALU_DEP_1)
	v_mov_b32_e32 v6, v5
	v_mov_b32_e32 v7, v5
	;; [unrolled: 1-line block ×3, first 2 shown]
	scratch_store_b128 off, v[5:8], off offset:528
	s_waitcnt vmcnt(0)
	ds_store_b128 v175, v[1:4]
.LBB106_205:
	s_or_b32 exec_lo, exec_lo, s2
	s_waitcnt lgkmcnt(0)
	s_waitcnt_vscnt null, 0x0
	s_barrier
	buffer_gl0_inv
	s_clause 0x7
	scratch_load_b128 v[2:5], off, off offset:544
	scratch_load_b128 v[6:9], off, off offset:560
	;; [unrolled: 1-line block ×8, first 2 shown]
	v_mov_b32_e32 v1, 0
	s_mov_b32 s2, exec_lo
	ds_load_b128 v[34:37], v1 offset:1232
	s_clause 0x1
	scratch_load_b128 v[38:41], off, off offset:672
	scratch_load_b128 v[42:45], off, off offset:528
	ds_load_b128 v[176:179], v1 offset:1248
	s_waitcnt vmcnt(9) lgkmcnt(1)
	v_mul_f64 v[180:181], v[36:37], v[4:5]
	v_mul_f64 v[4:5], v[34:35], v[4:5]
	s_waitcnt vmcnt(8) lgkmcnt(0)
	v_mul_f64 v[182:183], v[176:177], v[8:9]
	v_mul_f64 v[8:9], v[178:179], v[8:9]
	s_delay_alu instid0(VALU_DEP_4) | instskip(NEXT) | instid1(VALU_DEP_4)
	v_fma_f64 v[180:181], v[34:35], v[2:3], -v[180:181]
	v_fma_f64 v[184:185], v[36:37], v[2:3], v[4:5]
	ds_load_b128 v[2:5], v1 offset:1264
	ds_load_b128 v[34:37], v1 offset:1280
	v_fma_f64 v[178:179], v[178:179], v[6:7], v[182:183]
	v_fma_f64 v[6:7], v[176:177], v[6:7], -v[8:9]
	s_waitcnt vmcnt(7) lgkmcnt(1)
	v_mul_f64 v[186:187], v[2:3], v[12:13]
	v_mul_f64 v[12:13], v[4:5], v[12:13]
	v_add_f64 v[8:9], v[180:181], 0
	v_add_f64 v[176:177], v[184:185], 0
	s_waitcnt vmcnt(6) lgkmcnt(0)
	v_mul_f64 v[180:181], v[34:35], v[16:17]
	v_mul_f64 v[16:17], v[36:37], v[16:17]
	v_fma_f64 v[182:183], v[4:5], v[10:11], v[186:187]
	v_fma_f64 v[10:11], v[2:3], v[10:11], -v[12:13]
	v_add_f64 v[12:13], v[8:9], v[6:7]
	v_add_f64 v[176:177], v[176:177], v[178:179]
	ds_load_b128 v[2:5], v1 offset:1296
	ds_load_b128 v[6:9], v1 offset:1312
	v_fma_f64 v[36:37], v[36:37], v[14:15], v[180:181]
	v_fma_f64 v[14:15], v[34:35], v[14:15], -v[16:17]
	s_waitcnt vmcnt(5) lgkmcnt(1)
	v_mul_f64 v[178:179], v[2:3], v[20:21]
	v_mul_f64 v[20:21], v[4:5], v[20:21]
	s_waitcnt vmcnt(4) lgkmcnt(0)
	v_mul_f64 v[16:17], v[6:7], v[24:25]
	v_mul_f64 v[24:25], v[8:9], v[24:25]
	v_add_f64 v[10:11], v[12:13], v[10:11]
	v_add_f64 v[12:13], v[176:177], v[182:183]
	v_fma_f64 v[34:35], v[4:5], v[18:19], v[178:179]
	v_fma_f64 v[18:19], v[2:3], v[18:19], -v[20:21]
	v_fma_f64 v[8:9], v[8:9], v[22:23], v[16:17]
	v_fma_f64 v[6:7], v[6:7], v[22:23], -v[24:25]
	v_add_f64 v[14:15], v[10:11], v[14:15]
	v_add_f64 v[20:21], v[12:13], v[36:37]
	ds_load_b128 v[2:5], v1 offset:1328
	ds_load_b128 v[10:13], v1 offset:1344
	s_waitcnt vmcnt(3) lgkmcnt(1)
	v_mul_f64 v[36:37], v[2:3], v[28:29]
	v_mul_f64 v[28:29], v[4:5], v[28:29]
	v_add_f64 v[14:15], v[14:15], v[18:19]
	v_add_f64 v[16:17], v[20:21], v[34:35]
	s_waitcnt vmcnt(2) lgkmcnt(0)
	v_mul_f64 v[18:19], v[10:11], v[32:33]
	v_mul_f64 v[20:21], v[12:13], v[32:33]
	v_fma_f64 v[22:23], v[4:5], v[26:27], v[36:37]
	v_fma_f64 v[24:25], v[2:3], v[26:27], -v[28:29]
	ds_load_b128 v[2:5], v1 offset:1360
	v_add_f64 v[6:7], v[14:15], v[6:7]
	v_add_f64 v[8:9], v[16:17], v[8:9]
	v_fma_f64 v[12:13], v[12:13], v[30:31], v[18:19]
	v_fma_f64 v[10:11], v[10:11], v[30:31], -v[20:21]
	s_waitcnt vmcnt(1) lgkmcnt(0)
	v_mul_f64 v[14:15], v[2:3], v[40:41]
	v_mul_f64 v[16:17], v[4:5], v[40:41]
	v_add_f64 v[6:7], v[6:7], v[24:25]
	v_add_f64 v[8:9], v[8:9], v[22:23]
	s_delay_alu instid0(VALU_DEP_4) | instskip(NEXT) | instid1(VALU_DEP_4)
	v_fma_f64 v[4:5], v[4:5], v[38:39], v[14:15]
	v_fma_f64 v[2:3], v[2:3], v[38:39], -v[16:17]
	s_delay_alu instid0(VALU_DEP_4) | instskip(NEXT) | instid1(VALU_DEP_4)
	v_add_f64 v[6:7], v[6:7], v[10:11]
	v_add_f64 v[8:9], v[8:9], v[12:13]
	s_delay_alu instid0(VALU_DEP_2) | instskip(NEXT) | instid1(VALU_DEP_2)
	v_add_f64 v[2:3], v[6:7], v[2:3]
	v_add_f64 v[4:5], v[8:9], v[4:5]
	s_waitcnt vmcnt(0)
	s_delay_alu instid0(VALU_DEP_2) | instskip(NEXT) | instid1(VALU_DEP_2)
	v_add_f64 v[2:3], v[42:43], -v[2:3]
	v_add_f64 v[4:5], v[44:45], -v[4:5]
	scratch_store_b128 off, v[2:5], off offset:528
	v_cmpx_lt_u32_e32 32, v132
	s_cbranch_execz .LBB106_207
; %bb.206:
	scratch_load_b128 v[5:8], v168, off
	v_mov_b32_e32 v2, v1
	v_mov_b32_e32 v3, v1
	;; [unrolled: 1-line block ×3, first 2 shown]
	scratch_store_b128 off, v[1:4], off offset:512
	s_waitcnt vmcnt(0)
	ds_store_b128 v175, v[5:8]
.LBB106_207:
	s_or_b32 exec_lo, exec_lo, s2
	s_waitcnt lgkmcnt(0)
	s_waitcnt_vscnt null, 0x0
	s_barrier
	buffer_gl0_inv
	s_clause 0x7
	scratch_load_b128 v[2:5], off, off offset:528
	scratch_load_b128 v[6:9], off, off offset:544
	;; [unrolled: 1-line block ×8, first 2 shown]
	ds_load_b128 v[34:37], v1 offset:1216
	ds_load_b128 v[42:45], v1 offset:1232
	s_clause 0x1
	scratch_load_b128 v[38:41], off, off offset:656
	scratch_load_b128 v[176:179], off, off offset:672
	s_mov_b32 s2, exec_lo
	s_waitcnt vmcnt(9) lgkmcnt(1)
	v_mul_f64 v[180:181], v[36:37], v[4:5]
	v_mul_f64 v[4:5], v[34:35], v[4:5]
	s_waitcnt vmcnt(8) lgkmcnt(0)
	v_mul_f64 v[182:183], v[42:43], v[8:9]
	v_mul_f64 v[8:9], v[44:45], v[8:9]
	s_delay_alu instid0(VALU_DEP_4) | instskip(NEXT) | instid1(VALU_DEP_4)
	v_fma_f64 v[34:35], v[34:35], v[2:3], -v[180:181]
	v_fma_f64 v[36:37], v[36:37], v[2:3], v[4:5]
	ds_load_b128 v[2:5], v1 offset:1248
	v_fma_f64 v[44:45], v[44:45], v[6:7], v[182:183]
	v_fma_f64 v[42:43], v[42:43], v[6:7], -v[8:9]
	ds_load_b128 v[6:9], v1 offset:1264
	s_waitcnt vmcnt(7) lgkmcnt(1)
	v_mul_f64 v[180:181], v[2:3], v[12:13]
	v_mul_f64 v[12:13], v[4:5], v[12:13]
	s_waitcnt vmcnt(6) lgkmcnt(0)
	v_mul_f64 v[182:183], v[6:7], v[16:17]
	v_mul_f64 v[16:17], v[8:9], v[16:17]
	v_add_f64 v[34:35], v[34:35], 0
	v_add_f64 v[36:37], v[36:37], 0
	v_fma_f64 v[180:181], v[4:5], v[10:11], v[180:181]
	v_fma_f64 v[184:185], v[2:3], v[10:11], -v[12:13]
	ds_load_b128 v[2:5], v1 offset:1280
	scratch_load_b128 v[10:13], off, off offset:512
	v_add_f64 v[34:35], v[34:35], v[42:43]
	v_add_f64 v[36:37], v[36:37], v[44:45]
	v_fma_f64 v[44:45], v[8:9], v[14:15], v[182:183]
	v_fma_f64 v[14:15], v[6:7], v[14:15], -v[16:17]
	ds_load_b128 v[6:9], v1 offset:1296
	s_waitcnt vmcnt(6) lgkmcnt(1)
	v_mul_f64 v[42:43], v[2:3], v[20:21]
	v_mul_f64 v[20:21], v[4:5], v[20:21]
	v_add_f64 v[16:17], v[34:35], v[184:185]
	v_add_f64 v[34:35], v[36:37], v[180:181]
	s_waitcnt vmcnt(5) lgkmcnt(0)
	v_mul_f64 v[36:37], v[6:7], v[24:25]
	v_mul_f64 v[24:25], v[8:9], v[24:25]
	v_fma_f64 v[42:43], v[4:5], v[18:19], v[42:43]
	v_fma_f64 v[18:19], v[2:3], v[18:19], -v[20:21]
	ds_load_b128 v[2:5], v1 offset:1312
	v_add_f64 v[14:15], v[16:17], v[14:15]
	v_add_f64 v[16:17], v[34:35], v[44:45]
	v_fma_f64 v[34:35], v[8:9], v[22:23], v[36:37]
	v_fma_f64 v[22:23], v[6:7], v[22:23], -v[24:25]
	ds_load_b128 v[6:9], v1 offset:1328
	s_waitcnt vmcnt(4) lgkmcnt(1)
	v_mul_f64 v[20:21], v[2:3], v[28:29]
	v_mul_f64 v[28:29], v[4:5], v[28:29]
	s_waitcnt vmcnt(3) lgkmcnt(0)
	v_mul_f64 v[24:25], v[8:9], v[32:33]
	v_add_f64 v[14:15], v[14:15], v[18:19]
	v_add_f64 v[16:17], v[16:17], v[42:43]
	v_mul_f64 v[18:19], v[6:7], v[32:33]
	v_fma_f64 v[20:21], v[4:5], v[26:27], v[20:21]
	v_fma_f64 v[26:27], v[2:3], v[26:27], -v[28:29]
	ds_load_b128 v[2:5], v1 offset:1344
	v_fma_f64 v[24:25], v[6:7], v[30:31], -v[24:25]
	v_add_f64 v[14:15], v[14:15], v[22:23]
	v_add_f64 v[16:17], v[16:17], v[34:35]
	v_fma_f64 v[18:19], v[8:9], v[30:31], v[18:19]
	ds_load_b128 v[6:9], v1 offset:1360
	s_waitcnt vmcnt(2) lgkmcnt(1)
	v_mul_f64 v[22:23], v[2:3], v[40:41]
	v_mul_f64 v[28:29], v[4:5], v[40:41]
	v_add_f64 v[14:15], v[14:15], v[26:27]
	v_add_f64 v[16:17], v[16:17], v[20:21]
	s_waitcnt vmcnt(1) lgkmcnt(0)
	v_mul_f64 v[20:21], v[6:7], v[178:179]
	v_mul_f64 v[26:27], v[8:9], v[178:179]
	v_fma_f64 v[4:5], v[4:5], v[38:39], v[22:23]
	v_fma_f64 v[1:2], v[2:3], v[38:39], -v[28:29]
	v_add_f64 v[14:15], v[14:15], v[24:25]
	v_add_f64 v[16:17], v[16:17], v[18:19]
	v_fma_f64 v[8:9], v[8:9], v[176:177], v[20:21]
	v_fma_f64 v[6:7], v[6:7], v[176:177], -v[26:27]
	s_delay_alu instid0(VALU_DEP_4) | instskip(NEXT) | instid1(VALU_DEP_4)
	v_add_f64 v[1:2], v[14:15], v[1:2]
	v_add_f64 v[3:4], v[16:17], v[4:5]
	s_delay_alu instid0(VALU_DEP_2) | instskip(NEXT) | instid1(VALU_DEP_2)
	v_add_f64 v[1:2], v[1:2], v[6:7]
	v_add_f64 v[3:4], v[3:4], v[8:9]
	s_waitcnt vmcnt(0)
	s_delay_alu instid0(VALU_DEP_2) | instskip(NEXT) | instid1(VALU_DEP_2)
	v_add_f64 v[1:2], v[10:11], -v[1:2]
	v_add_f64 v[3:4], v[12:13], -v[3:4]
	scratch_store_b128 off, v[1:4], off offset:512
	v_cmpx_lt_u32_e32 31, v132
	s_cbranch_execz .LBB106_209
; %bb.208:
	scratch_load_b128 v[1:4], v137, off
	v_mov_b32_e32 v5, 0
	s_delay_alu instid0(VALU_DEP_1)
	v_mov_b32_e32 v6, v5
	v_mov_b32_e32 v7, v5
	;; [unrolled: 1-line block ×3, first 2 shown]
	scratch_store_b128 off, v[5:8], off offset:496
	s_waitcnt vmcnt(0)
	ds_store_b128 v175, v[1:4]
.LBB106_209:
	s_or_b32 exec_lo, exec_lo, s2
	s_waitcnt lgkmcnt(0)
	s_waitcnt_vscnt null, 0x0
	s_barrier
	buffer_gl0_inv
	s_clause 0x7
	scratch_load_b128 v[2:5], off, off offset:512
	scratch_load_b128 v[6:9], off, off offset:528
	;; [unrolled: 1-line block ×8, first 2 shown]
	v_mov_b32_e32 v1, 0
	s_clause 0x1
	scratch_load_b128 v[38:41], off, off offset:640
	scratch_load_b128 v[176:179], off, off offset:656
	s_mov_b32 s2, exec_lo
	ds_load_b128 v[34:37], v1 offset:1200
	ds_load_b128 v[42:45], v1 offset:1216
	s_waitcnt vmcnt(9) lgkmcnt(1)
	v_mul_f64 v[180:181], v[36:37], v[4:5]
	v_mul_f64 v[4:5], v[34:35], v[4:5]
	s_waitcnt vmcnt(8) lgkmcnt(0)
	v_mul_f64 v[182:183], v[42:43], v[8:9]
	v_mul_f64 v[8:9], v[44:45], v[8:9]
	s_delay_alu instid0(VALU_DEP_4) | instskip(NEXT) | instid1(VALU_DEP_4)
	v_fma_f64 v[180:181], v[34:35], v[2:3], -v[180:181]
	v_fma_f64 v[184:185], v[36:37], v[2:3], v[4:5]
	ds_load_b128 v[2:5], v1 offset:1232
	scratch_load_b128 v[34:37], off, off offset:672
	v_fma_f64 v[44:45], v[44:45], v[6:7], v[182:183]
	v_fma_f64 v[42:43], v[42:43], v[6:7], -v[8:9]
	ds_load_b128 v[6:9], v1 offset:1248
	s_waitcnt vmcnt(8) lgkmcnt(1)
	v_mul_f64 v[186:187], v[2:3], v[12:13]
	v_mul_f64 v[12:13], v[4:5], v[12:13]
	v_add_f64 v[180:181], v[180:181], 0
	v_add_f64 v[182:183], v[184:185], 0
	s_waitcnt vmcnt(7) lgkmcnt(0)
	v_mul_f64 v[184:185], v[6:7], v[16:17]
	v_mul_f64 v[16:17], v[8:9], v[16:17]
	v_fma_f64 v[186:187], v[4:5], v[10:11], v[186:187]
	v_fma_f64 v[10:11], v[2:3], v[10:11], -v[12:13]
	ds_load_b128 v[2:5], v1 offset:1264
	v_add_f64 v[12:13], v[180:181], v[42:43]
	v_add_f64 v[42:43], v[182:183], v[44:45]
	v_fma_f64 v[180:181], v[8:9], v[14:15], v[184:185]
	v_fma_f64 v[14:15], v[6:7], v[14:15], -v[16:17]
	ds_load_b128 v[6:9], v1 offset:1280
	s_waitcnt vmcnt(6) lgkmcnt(1)
	v_mul_f64 v[44:45], v[2:3], v[20:21]
	v_mul_f64 v[20:21], v[4:5], v[20:21]
	s_waitcnt vmcnt(5) lgkmcnt(0)
	v_mul_f64 v[182:183], v[6:7], v[24:25]
	v_mul_f64 v[24:25], v[8:9], v[24:25]
	v_add_f64 v[16:17], v[12:13], v[10:11]
	v_add_f64 v[42:43], v[42:43], v[186:187]
	scratch_load_b128 v[10:13], off, off offset:496
	v_fma_f64 v[44:45], v[4:5], v[18:19], v[44:45]
	v_fma_f64 v[18:19], v[2:3], v[18:19], -v[20:21]
	ds_load_b128 v[2:5], v1 offset:1296
	v_add_f64 v[14:15], v[16:17], v[14:15]
	v_add_f64 v[16:17], v[42:43], v[180:181]
	v_fma_f64 v[42:43], v[8:9], v[22:23], v[182:183]
	v_fma_f64 v[22:23], v[6:7], v[22:23], -v[24:25]
	ds_load_b128 v[6:9], v1 offset:1312
	s_waitcnt vmcnt(5) lgkmcnt(1)
	v_mul_f64 v[20:21], v[2:3], v[28:29]
	v_mul_f64 v[28:29], v[4:5], v[28:29]
	s_waitcnt vmcnt(4) lgkmcnt(0)
	v_mul_f64 v[24:25], v[8:9], v[32:33]
	v_add_f64 v[14:15], v[14:15], v[18:19]
	v_add_f64 v[16:17], v[16:17], v[44:45]
	v_mul_f64 v[18:19], v[6:7], v[32:33]
	v_fma_f64 v[20:21], v[4:5], v[26:27], v[20:21]
	v_fma_f64 v[26:27], v[2:3], v[26:27], -v[28:29]
	ds_load_b128 v[2:5], v1 offset:1328
	v_fma_f64 v[24:25], v[6:7], v[30:31], -v[24:25]
	v_add_f64 v[14:15], v[14:15], v[22:23]
	v_add_f64 v[16:17], v[16:17], v[42:43]
	v_fma_f64 v[18:19], v[8:9], v[30:31], v[18:19]
	ds_load_b128 v[6:9], v1 offset:1344
	s_waitcnt vmcnt(3) lgkmcnt(1)
	v_mul_f64 v[22:23], v[2:3], v[40:41]
	v_mul_f64 v[28:29], v[4:5], v[40:41]
	v_add_f64 v[14:15], v[14:15], v[26:27]
	v_add_f64 v[16:17], v[16:17], v[20:21]
	s_waitcnt vmcnt(2) lgkmcnt(0)
	v_mul_f64 v[20:21], v[6:7], v[178:179]
	v_mul_f64 v[26:27], v[8:9], v[178:179]
	v_fma_f64 v[22:23], v[4:5], v[38:39], v[22:23]
	v_fma_f64 v[28:29], v[2:3], v[38:39], -v[28:29]
	ds_load_b128 v[2:5], v1 offset:1360
	v_add_f64 v[14:15], v[14:15], v[24:25]
	v_add_f64 v[16:17], v[16:17], v[18:19]
	v_fma_f64 v[8:9], v[8:9], v[176:177], v[20:21]
	v_fma_f64 v[6:7], v[6:7], v[176:177], -v[26:27]
	s_waitcnt vmcnt(1) lgkmcnt(0)
	v_mul_f64 v[18:19], v[2:3], v[36:37]
	v_mul_f64 v[24:25], v[4:5], v[36:37]
	v_add_f64 v[14:15], v[14:15], v[28:29]
	v_add_f64 v[16:17], v[16:17], v[22:23]
	s_delay_alu instid0(VALU_DEP_4) | instskip(NEXT) | instid1(VALU_DEP_4)
	v_fma_f64 v[4:5], v[4:5], v[34:35], v[18:19]
	v_fma_f64 v[2:3], v[2:3], v[34:35], -v[24:25]
	s_delay_alu instid0(VALU_DEP_4) | instskip(NEXT) | instid1(VALU_DEP_4)
	v_add_f64 v[6:7], v[14:15], v[6:7]
	v_add_f64 v[8:9], v[16:17], v[8:9]
	s_delay_alu instid0(VALU_DEP_2) | instskip(NEXT) | instid1(VALU_DEP_2)
	v_add_f64 v[2:3], v[6:7], v[2:3]
	v_add_f64 v[4:5], v[8:9], v[4:5]
	s_waitcnt vmcnt(0)
	s_delay_alu instid0(VALU_DEP_2) | instskip(NEXT) | instid1(VALU_DEP_2)
	v_add_f64 v[2:3], v[10:11], -v[2:3]
	v_add_f64 v[4:5], v[12:13], -v[4:5]
	scratch_store_b128 off, v[2:5], off offset:496
	v_cmpx_lt_u32_e32 30, v132
	s_cbranch_execz .LBB106_211
; %bb.210:
	scratch_load_b128 v[5:8], v138, off
	v_mov_b32_e32 v2, v1
	v_mov_b32_e32 v3, v1
	;; [unrolled: 1-line block ×3, first 2 shown]
	scratch_store_b128 off, v[1:4], off offset:480
	s_waitcnt vmcnt(0)
	ds_store_b128 v175, v[5:8]
.LBB106_211:
	s_or_b32 exec_lo, exec_lo, s2
	s_waitcnt lgkmcnt(0)
	s_waitcnt_vscnt null, 0x0
	s_barrier
	buffer_gl0_inv
	s_clause 0x7
	scratch_load_b128 v[2:5], off, off offset:496
	scratch_load_b128 v[6:9], off, off offset:512
	;; [unrolled: 1-line block ×8, first 2 shown]
	ds_load_b128 v[34:37], v1 offset:1184
	ds_load_b128 v[42:45], v1 offset:1200
	s_clause 0x1
	scratch_load_b128 v[38:41], off, off offset:624
	scratch_load_b128 v[176:179], off, off offset:640
	s_mov_b32 s2, exec_lo
	s_waitcnt vmcnt(9) lgkmcnt(1)
	v_mul_f64 v[180:181], v[36:37], v[4:5]
	v_mul_f64 v[4:5], v[34:35], v[4:5]
	s_waitcnt vmcnt(8) lgkmcnt(0)
	v_mul_f64 v[182:183], v[42:43], v[8:9]
	v_mul_f64 v[8:9], v[44:45], v[8:9]
	s_delay_alu instid0(VALU_DEP_4) | instskip(NEXT) | instid1(VALU_DEP_4)
	v_fma_f64 v[180:181], v[34:35], v[2:3], -v[180:181]
	v_fma_f64 v[184:185], v[36:37], v[2:3], v[4:5]
	scratch_load_b128 v[34:37], off, off offset:656
	ds_load_b128 v[2:5], v1 offset:1216
	v_fma_f64 v[182:183], v[44:45], v[6:7], v[182:183]
	v_fma_f64 v[188:189], v[42:43], v[6:7], -v[8:9]
	ds_load_b128 v[6:9], v1 offset:1232
	scratch_load_b128 v[42:45], off, off offset:672
	s_waitcnt vmcnt(9) lgkmcnt(1)
	v_mul_f64 v[186:187], v[2:3], v[12:13]
	v_mul_f64 v[12:13], v[4:5], v[12:13]
	s_waitcnt vmcnt(8) lgkmcnt(0)
	v_mul_f64 v[190:191], v[6:7], v[16:17]
	v_mul_f64 v[16:17], v[8:9], v[16:17]
	v_add_f64 v[180:181], v[180:181], 0
	v_add_f64 v[184:185], v[184:185], 0
	v_fma_f64 v[186:187], v[4:5], v[10:11], v[186:187]
	v_fma_f64 v[10:11], v[2:3], v[10:11], -v[12:13]
	ds_load_b128 v[2:5], v1 offset:1248
	v_add_f64 v[12:13], v[180:181], v[188:189]
	v_add_f64 v[180:181], v[184:185], v[182:183]
	v_fma_f64 v[184:185], v[8:9], v[14:15], v[190:191]
	v_fma_f64 v[14:15], v[6:7], v[14:15], -v[16:17]
	ds_load_b128 v[6:9], v1 offset:1264
	s_waitcnt vmcnt(7) lgkmcnt(1)
	v_mul_f64 v[182:183], v[2:3], v[20:21]
	v_mul_f64 v[20:21], v[4:5], v[20:21]
	s_waitcnt vmcnt(6) lgkmcnt(0)
	v_mul_f64 v[16:17], v[6:7], v[24:25]
	v_mul_f64 v[24:25], v[8:9], v[24:25]
	v_add_f64 v[10:11], v[12:13], v[10:11]
	v_add_f64 v[12:13], v[180:181], v[186:187]
	v_fma_f64 v[180:181], v[4:5], v[18:19], v[182:183]
	v_fma_f64 v[18:19], v[2:3], v[18:19], -v[20:21]
	ds_load_b128 v[2:5], v1 offset:1280
	v_fma_f64 v[16:17], v[8:9], v[22:23], v[16:17]
	v_fma_f64 v[22:23], v[6:7], v[22:23], -v[24:25]
	ds_load_b128 v[6:9], v1 offset:1296
	s_waitcnt vmcnt(5) lgkmcnt(1)
	v_mul_f64 v[182:183], v[2:3], v[28:29]
	v_mul_f64 v[28:29], v[4:5], v[28:29]
	v_add_f64 v[14:15], v[10:11], v[14:15]
	v_add_f64 v[20:21], v[12:13], v[184:185]
	scratch_load_b128 v[10:13], off, off offset:480
	s_waitcnt vmcnt(5) lgkmcnt(0)
	v_mul_f64 v[24:25], v[8:9], v[32:33]
	v_add_f64 v[14:15], v[14:15], v[18:19]
	v_add_f64 v[18:19], v[20:21], v[180:181]
	v_mul_f64 v[20:21], v[6:7], v[32:33]
	v_fma_f64 v[32:33], v[4:5], v[26:27], v[182:183]
	v_fma_f64 v[26:27], v[2:3], v[26:27], -v[28:29]
	ds_load_b128 v[2:5], v1 offset:1312
	v_fma_f64 v[24:25], v[6:7], v[30:31], -v[24:25]
	v_add_f64 v[14:15], v[14:15], v[22:23]
	v_add_f64 v[16:17], v[18:19], v[16:17]
	v_fma_f64 v[20:21], v[8:9], v[30:31], v[20:21]
	ds_load_b128 v[6:9], v1 offset:1328
	s_waitcnt vmcnt(4) lgkmcnt(1)
	v_mul_f64 v[18:19], v[2:3], v[40:41]
	v_mul_f64 v[22:23], v[4:5], v[40:41]
	s_waitcnt vmcnt(3) lgkmcnt(0)
	v_mul_f64 v[28:29], v[8:9], v[178:179]
	v_add_f64 v[14:15], v[14:15], v[26:27]
	v_add_f64 v[16:17], v[16:17], v[32:33]
	v_mul_f64 v[26:27], v[6:7], v[178:179]
	v_fma_f64 v[18:19], v[4:5], v[38:39], v[18:19]
	v_fma_f64 v[22:23], v[2:3], v[38:39], -v[22:23]
	ds_load_b128 v[2:5], v1 offset:1344
	v_fma_f64 v[28:29], v[6:7], v[176:177], -v[28:29]
	v_add_f64 v[14:15], v[14:15], v[24:25]
	v_add_f64 v[16:17], v[16:17], v[20:21]
	v_fma_f64 v[26:27], v[8:9], v[176:177], v[26:27]
	ds_load_b128 v[6:9], v1 offset:1360
	s_waitcnt vmcnt(2) lgkmcnt(1)
	v_mul_f64 v[20:21], v[2:3], v[36:37]
	v_mul_f64 v[24:25], v[4:5], v[36:37]
	v_add_f64 v[14:15], v[14:15], v[22:23]
	v_add_f64 v[16:17], v[16:17], v[18:19]
	s_waitcnt vmcnt(1) lgkmcnt(0)
	v_mul_f64 v[18:19], v[6:7], v[44:45]
	v_mul_f64 v[22:23], v[8:9], v[44:45]
	v_fma_f64 v[4:5], v[4:5], v[34:35], v[20:21]
	v_fma_f64 v[1:2], v[2:3], v[34:35], -v[24:25]
	v_add_f64 v[14:15], v[14:15], v[28:29]
	v_add_f64 v[16:17], v[16:17], v[26:27]
	v_fma_f64 v[8:9], v[8:9], v[42:43], v[18:19]
	v_fma_f64 v[6:7], v[6:7], v[42:43], -v[22:23]
	s_delay_alu instid0(VALU_DEP_4) | instskip(NEXT) | instid1(VALU_DEP_4)
	v_add_f64 v[1:2], v[14:15], v[1:2]
	v_add_f64 v[3:4], v[16:17], v[4:5]
	s_delay_alu instid0(VALU_DEP_2) | instskip(NEXT) | instid1(VALU_DEP_2)
	v_add_f64 v[1:2], v[1:2], v[6:7]
	v_add_f64 v[3:4], v[3:4], v[8:9]
	s_waitcnt vmcnt(0)
	s_delay_alu instid0(VALU_DEP_2) | instskip(NEXT) | instid1(VALU_DEP_2)
	v_add_f64 v[1:2], v[10:11], -v[1:2]
	v_add_f64 v[3:4], v[12:13], -v[3:4]
	scratch_store_b128 off, v[1:4], off offset:480
	v_cmpx_lt_u32_e32 29, v132
	s_cbranch_execz .LBB106_213
; %bb.212:
	scratch_load_b128 v[1:4], v139, off
	v_mov_b32_e32 v5, 0
	s_delay_alu instid0(VALU_DEP_1)
	v_mov_b32_e32 v6, v5
	v_mov_b32_e32 v7, v5
	;; [unrolled: 1-line block ×3, first 2 shown]
	scratch_store_b128 off, v[5:8], off offset:464
	s_waitcnt vmcnt(0)
	ds_store_b128 v175, v[1:4]
.LBB106_213:
	s_or_b32 exec_lo, exec_lo, s2
	s_waitcnt lgkmcnt(0)
	s_waitcnt_vscnt null, 0x0
	s_barrier
	buffer_gl0_inv
	s_clause 0x7
	scratch_load_b128 v[2:5], off, off offset:480
	scratch_load_b128 v[6:9], off, off offset:496
	;; [unrolled: 1-line block ×8, first 2 shown]
	v_mov_b32_e32 v1, 0
	s_mov_b32 s2, exec_lo
	ds_load_b128 v[34:37], v1 offset:1168
	s_clause 0x1
	scratch_load_b128 v[38:41], off, off offset:608
	scratch_load_b128 v[42:45], off, off offset:464
	ds_load_b128 v[176:179], v1 offset:1184
	scratch_load_b128 v[180:183], off, off offset:624
	s_waitcnt vmcnt(10) lgkmcnt(1)
	v_mul_f64 v[184:185], v[36:37], v[4:5]
	v_mul_f64 v[4:5], v[34:35], v[4:5]
	s_delay_alu instid0(VALU_DEP_2) | instskip(NEXT) | instid1(VALU_DEP_2)
	v_fma_f64 v[190:191], v[34:35], v[2:3], -v[184:185]
	v_fma_f64 v[192:193], v[36:37], v[2:3], v[4:5]
	scratch_load_b128 v[34:37], off, off offset:640
	ds_load_b128 v[2:5], v1 offset:1200
	s_waitcnt vmcnt(10) lgkmcnt(1)
	v_mul_f64 v[188:189], v[176:177], v[8:9]
	v_mul_f64 v[8:9], v[178:179], v[8:9]
	ds_load_b128 v[184:187], v1 offset:1216
	s_waitcnt vmcnt(9) lgkmcnt(1)
	v_mul_f64 v[194:195], v[2:3], v[12:13]
	v_mul_f64 v[12:13], v[4:5], v[12:13]
	v_fma_f64 v[178:179], v[178:179], v[6:7], v[188:189]
	v_fma_f64 v[176:177], v[176:177], v[6:7], -v[8:9]
	v_add_f64 v[188:189], v[190:191], 0
	v_add_f64 v[190:191], v[192:193], 0
	scratch_load_b128 v[6:9], off, off offset:656
	v_fma_f64 v[194:195], v[4:5], v[10:11], v[194:195]
	v_fma_f64 v[196:197], v[2:3], v[10:11], -v[12:13]
	scratch_load_b128 v[10:13], off, off offset:672
	ds_load_b128 v[2:5], v1 offset:1232
	s_waitcnt vmcnt(10) lgkmcnt(1)
	v_mul_f64 v[192:193], v[184:185], v[16:17]
	v_mul_f64 v[16:17], v[186:187], v[16:17]
	v_add_f64 v[188:189], v[188:189], v[176:177]
	v_add_f64 v[190:191], v[190:191], v[178:179]
	s_waitcnt vmcnt(9) lgkmcnt(0)
	v_mul_f64 v[198:199], v[2:3], v[20:21]
	v_mul_f64 v[20:21], v[4:5], v[20:21]
	ds_load_b128 v[176:179], v1 offset:1248
	v_fma_f64 v[186:187], v[186:187], v[14:15], v[192:193]
	v_fma_f64 v[14:15], v[184:185], v[14:15], -v[16:17]
	v_add_f64 v[16:17], v[188:189], v[196:197]
	v_add_f64 v[184:185], v[190:191], v[194:195]
	s_waitcnt vmcnt(8) lgkmcnt(0)
	v_mul_f64 v[188:189], v[176:177], v[24:25]
	v_mul_f64 v[24:25], v[178:179], v[24:25]
	v_fma_f64 v[190:191], v[4:5], v[18:19], v[198:199]
	v_fma_f64 v[18:19], v[2:3], v[18:19], -v[20:21]
	v_add_f64 v[20:21], v[16:17], v[14:15]
	v_add_f64 v[184:185], v[184:185], v[186:187]
	ds_load_b128 v[2:5], v1 offset:1264
	ds_load_b128 v[14:17], v1 offset:1280
	v_fma_f64 v[178:179], v[178:179], v[22:23], v[188:189]
	v_fma_f64 v[22:23], v[176:177], v[22:23], -v[24:25]
	s_waitcnt vmcnt(7) lgkmcnt(1)
	v_mul_f64 v[186:187], v[2:3], v[28:29]
	v_mul_f64 v[28:29], v[4:5], v[28:29]
	s_waitcnt vmcnt(6) lgkmcnt(0)
	v_mul_f64 v[24:25], v[14:15], v[32:33]
	v_mul_f64 v[32:33], v[16:17], v[32:33]
	v_add_f64 v[18:19], v[20:21], v[18:19]
	v_add_f64 v[20:21], v[184:185], v[190:191]
	v_fma_f64 v[176:177], v[4:5], v[26:27], v[186:187]
	v_fma_f64 v[26:27], v[2:3], v[26:27], -v[28:29]
	v_fma_f64 v[16:17], v[16:17], v[30:31], v[24:25]
	v_fma_f64 v[14:15], v[14:15], v[30:31], -v[32:33]
	v_add_f64 v[22:23], v[18:19], v[22:23]
	v_add_f64 v[28:29], v[20:21], v[178:179]
	ds_load_b128 v[2:5], v1 offset:1296
	ds_load_b128 v[18:21], v1 offset:1312
	s_waitcnt vmcnt(5) lgkmcnt(1)
	v_mul_f64 v[178:179], v[2:3], v[40:41]
	v_mul_f64 v[40:41], v[4:5], v[40:41]
	v_add_f64 v[22:23], v[22:23], v[26:27]
	v_add_f64 v[24:25], v[28:29], v[176:177]
	s_waitcnt vmcnt(3) lgkmcnt(0)
	v_mul_f64 v[26:27], v[18:19], v[182:183]
	v_mul_f64 v[28:29], v[20:21], v[182:183]
	v_fma_f64 v[30:31], v[4:5], v[38:39], v[178:179]
	v_fma_f64 v[32:33], v[2:3], v[38:39], -v[40:41]
	v_add_f64 v[22:23], v[22:23], v[14:15]
	v_add_f64 v[24:25], v[24:25], v[16:17]
	ds_load_b128 v[2:5], v1 offset:1328
	ds_load_b128 v[14:17], v1 offset:1344
	v_fma_f64 v[20:21], v[20:21], v[180:181], v[26:27]
	v_fma_f64 v[18:19], v[18:19], v[180:181], -v[28:29]
	s_waitcnt vmcnt(2) lgkmcnt(1)
	v_mul_f64 v[38:39], v[2:3], v[36:37]
	v_mul_f64 v[36:37], v[4:5], v[36:37]
	v_add_f64 v[22:23], v[22:23], v[32:33]
	v_add_f64 v[24:25], v[24:25], v[30:31]
	s_waitcnt vmcnt(1) lgkmcnt(0)
	v_mul_f64 v[26:27], v[14:15], v[8:9]
	v_mul_f64 v[8:9], v[16:17], v[8:9]
	v_fma_f64 v[28:29], v[4:5], v[34:35], v[38:39]
	v_fma_f64 v[30:31], v[2:3], v[34:35], -v[36:37]
	ds_load_b128 v[2:5], v1 offset:1360
	v_add_f64 v[18:19], v[22:23], v[18:19]
	v_add_f64 v[20:21], v[24:25], v[20:21]
	s_waitcnt vmcnt(0) lgkmcnt(0)
	v_mul_f64 v[22:23], v[2:3], v[12:13]
	v_mul_f64 v[12:13], v[4:5], v[12:13]
	v_fma_f64 v[16:17], v[16:17], v[6:7], v[26:27]
	v_fma_f64 v[6:7], v[14:15], v[6:7], -v[8:9]
	v_add_f64 v[8:9], v[18:19], v[30:31]
	v_add_f64 v[14:15], v[20:21], v[28:29]
	v_fma_f64 v[4:5], v[4:5], v[10:11], v[22:23]
	v_fma_f64 v[2:3], v[2:3], v[10:11], -v[12:13]
	s_delay_alu instid0(VALU_DEP_4) | instskip(NEXT) | instid1(VALU_DEP_4)
	v_add_f64 v[6:7], v[8:9], v[6:7]
	v_add_f64 v[8:9], v[14:15], v[16:17]
	s_delay_alu instid0(VALU_DEP_2) | instskip(NEXT) | instid1(VALU_DEP_2)
	v_add_f64 v[2:3], v[6:7], v[2:3]
	v_add_f64 v[4:5], v[8:9], v[4:5]
	s_delay_alu instid0(VALU_DEP_2) | instskip(NEXT) | instid1(VALU_DEP_2)
	v_add_f64 v[2:3], v[42:43], -v[2:3]
	v_add_f64 v[4:5], v[44:45], -v[4:5]
	scratch_store_b128 off, v[2:5], off offset:464
	v_cmpx_lt_u32_e32 28, v132
	s_cbranch_execz .LBB106_215
; %bb.214:
	scratch_load_b128 v[5:8], v141, off
	v_mov_b32_e32 v2, v1
	v_mov_b32_e32 v3, v1
	;; [unrolled: 1-line block ×3, first 2 shown]
	scratch_store_b128 off, v[1:4], off offset:448
	s_waitcnt vmcnt(0)
	ds_store_b128 v175, v[5:8]
.LBB106_215:
	s_or_b32 exec_lo, exec_lo, s2
	s_waitcnt lgkmcnt(0)
	s_waitcnt_vscnt null, 0x0
	s_barrier
	buffer_gl0_inv
	s_clause 0x8
	scratch_load_b128 v[2:5], off, off offset:464
	scratch_load_b128 v[6:9], off, off offset:480
	;; [unrolled: 1-line block ×9, first 2 shown]
	ds_load_b128 v[38:41], v1 offset:1152
	ds_load_b128 v[42:45], v1 offset:1168
	s_clause 0x1
	scratch_load_b128 v[176:179], off, off offset:448
	scratch_load_b128 v[180:183], off, off offset:608
	s_mov_b32 s2, exec_lo
	s_waitcnt vmcnt(10) lgkmcnt(1)
	v_mul_f64 v[184:185], v[40:41], v[4:5]
	v_mul_f64 v[4:5], v[38:39], v[4:5]
	s_waitcnt vmcnt(9) lgkmcnt(0)
	v_mul_f64 v[188:189], v[42:43], v[8:9]
	v_mul_f64 v[8:9], v[44:45], v[8:9]
	s_delay_alu instid0(VALU_DEP_4) | instskip(NEXT) | instid1(VALU_DEP_4)
	v_fma_f64 v[190:191], v[38:39], v[2:3], -v[184:185]
	v_fma_f64 v[192:193], v[40:41], v[2:3], v[4:5]
	ds_load_b128 v[2:5], v1 offset:1184
	ds_load_b128 v[184:187], v1 offset:1200
	scratch_load_b128 v[38:41], off, off offset:624
	v_fma_f64 v[44:45], v[44:45], v[6:7], v[188:189]
	v_fma_f64 v[42:43], v[42:43], v[6:7], -v[8:9]
	scratch_load_b128 v[6:9], off, off offset:640
	s_waitcnt vmcnt(10) lgkmcnt(1)
	v_mul_f64 v[194:195], v[2:3], v[12:13]
	v_mul_f64 v[12:13], v[4:5], v[12:13]
	v_add_f64 v[188:189], v[190:191], 0
	v_add_f64 v[190:191], v[192:193], 0
	s_waitcnt vmcnt(9) lgkmcnt(0)
	v_mul_f64 v[192:193], v[184:185], v[16:17]
	v_mul_f64 v[16:17], v[186:187], v[16:17]
	v_fma_f64 v[194:195], v[4:5], v[10:11], v[194:195]
	v_fma_f64 v[196:197], v[2:3], v[10:11], -v[12:13]
	ds_load_b128 v[2:5], v1 offset:1216
	scratch_load_b128 v[10:13], off, off offset:656
	v_add_f64 v[188:189], v[188:189], v[42:43]
	v_add_f64 v[190:191], v[190:191], v[44:45]
	ds_load_b128 v[42:45], v1 offset:1232
	v_fma_f64 v[186:187], v[186:187], v[14:15], v[192:193]
	v_fma_f64 v[184:185], v[184:185], v[14:15], -v[16:17]
	scratch_load_b128 v[14:17], off, off offset:672
	s_waitcnt vmcnt(10) lgkmcnt(1)
	v_mul_f64 v[198:199], v[2:3], v[20:21]
	v_mul_f64 v[20:21], v[4:5], v[20:21]
	s_waitcnt vmcnt(9) lgkmcnt(0)
	v_mul_f64 v[192:193], v[42:43], v[24:25]
	v_mul_f64 v[24:25], v[44:45], v[24:25]
	v_add_f64 v[188:189], v[188:189], v[196:197]
	v_add_f64 v[190:191], v[190:191], v[194:195]
	v_fma_f64 v[194:195], v[4:5], v[18:19], v[198:199]
	v_fma_f64 v[196:197], v[2:3], v[18:19], -v[20:21]
	ds_load_b128 v[2:5], v1 offset:1248
	ds_load_b128 v[18:21], v1 offset:1264
	v_fma_f64 v[44:45], v[44:45], v[22:23], v[192:193]
	v_fma_f64 v[22:23], v[42:43], v[22:23], -v[24:25]
	v_add_f64 v[184:185], v[188:189], v[184:185]
	v_add_f64 v[186:187], v[190:191], v[186:187]
	s_waitcnt vmcnt(8) lgkmcnt(1)
	v_mul_f64 v[188:189], v[2:3], v[28:29]
	v_mul_f64 v[28:29], v[4:5], v[28:29]
	s_delay_alu instid0(VALU_DEP_4) | instskip(NEXT) | instid1(VALU_DEP_4)
	v_add_f64 v[24:25], v[184:185], v[196:197]
	v_add_f64 v[42:43], v[186:187], v[194:195]
	s_waitcnt vmcnt(7) lgkmcnt(0)
	v_mul_f64 v[184:185], v[18:19], v[32:33]
	v_mul_f64 v[32:33], v[20:21], v[32:33]
	v_fma_f64 v[186:187], v[4:5], v[26:27], v[188:189]
	v_fma_f64 v[26:27], v[2:3], v[26:27], -v[28:29]
	v_add_f64 v[28:29], v[24:25], v[22:23]
	v_add_f64 v[42:43], v[42:43], v[44:45]
	ds_load_b128 v[2:5], v1 offset:1280
	ds_load_b128 v[22:25], v1 offset:1296
	v_fma_f64 v[20:21], v[20:21], v[30:31], v[184:185]
	v_fma_f64 v[18:19], v[18:19], v[30:31], -v[32:33]
	s_waitcnt vmcnt(6) lgkmcnt(1)
	v_mul_f64 v[44:45], v[2:3], v[36:37]
	v_mul_f64 v[36:37], v[4:5], v[36:37]
	s_waitcnt vmcnt(4) lgkmcnt(0)
	v_mul_f64 v[30:31], v[22:23], v[182:183]
	v_mul_f64 v[32:33], v[24:25], v[182:183]
	v_add_f64 v[26:27], v[28:29], v[26:27]
	v_add_f64 v[28:29], v[42:43], v[186:187]
	v_fma_f64 v[42:43], v[4:5], v[34:35], v[44:45]
	v_fma_f64 v[34:35], v[2:3], v[34:35], -v[36:37]
	v_fma_f64 v[24:25], v[24:25], v[180:181], v[30:31]
	v_fma_f64 v[22:23], v[22:23], v[180:181], -v[32:33]
	v_add_f64 v[26:27], v[26:27], v[18:19]
	v_add_f64 v[28:29], v[28:29], v[20:21]
	ds_load_b128 v[2:5], v1 offset:1312
	ds_load_b128 v[18:21], v1 offset:1328
	s_waitcnt vmcnt(3) lgkmcnt(1)
	v_mul_f64 v[36:37], v[2:3], v[40:41]
	v_mul_f64 v[40:41], v[4:5], v[40:41]
	s_waitcnt vmcnt(2) lgkmcnt(0)
	v_mul_f64 v[30:31], v[18:19], v[8:9]
	v_mul_f64 v[8:9], v[20:21], v[8:9]
	v_add_f64 v[26:27], v[26:27], v[34:35]
	v_add_f64 v[28:29], v[28:29], v[42:43]
	v_fma_f64 v[32:33], v[4:5], v[38:39], v[36:37]
	v_fma_f64 v[34:35], v[2:3], v[38:39], -v[40:41]
	v_fma_f64 v[20:21], v[20:21], v[6:7], v[30:31]
	v_fma_f64 v[6:7], v[18:19], v[6:7], -v[8:9]
	v_add_f64 v[26:27], v[26:27], v[22:23]
	v_add_f64 v[28:29], v[28:29], v[24:25]
	ds_load_b128 v[2:5], v1 offset:1344
	ds_load_b128 v[22:25], v1 offset:1360
	s_waitcnt vmcnt(1) lgkmcnt(1)
	v_mul_f64 v[36:37], v[2:3], v[12:13]
	v_mul_f64 v[12:13], v[4:5], v[12:13]
	v_add_f64 v[8:9], v[26:27], v[34:35]
	v_add_f64 v[18:19], v[28:29], v[32:33]
	s_waitcnt vmcnt(0) lgkmcnt(0)
	v_mul_f64 v[26:27], v[22:23], v[16:17]
	v_mul_f64 v[16:17], v[24:25], v[16:17]
	v_fma_f64 v[4:5], v[4:5], v[10:11], v[36:37]
	v_fma_f64 v[1:2], v[2:3], v[10:11], -v[12:13]
	v_add_f64 v[6:7], v[8:9], v[6:7]
	v_add_f64 v[8:9], v[18:19], v[20:21]
	v_fma_f64 v[10:11], v[24:25], v[14:15], v[26:27]
	v_fma_f64 v[12:13], v[22:23], v[14:15], -v[16:17]
	s_delay_alu instid0(VALU_DEP_4) | instskip(NEXT) | instid1(VALU_DEP_4)
	v_add_f64 v[1:2], v[6:7], v[1:2]
	v_add_f64 v[3:4], v[8:9], v[4:5]
	s_delay_alu instid0(VALU_DEP_2) | instskip(NEXT) | instid1(VALU_DEP_2)
	v_add_f64 v[1:2], v[1:2], v[12:13]
	v_add_f64 v[3:4], v[3:4], v[10:11]
	s_delay_alu instid0(VALU_DEP_2) | instskip(NEXT) | instid1(VALU_DEP_2)
	v_add_f64 v[1:2], v[176:177], -v[1:2]
	v_add_f64 v[3:4], v[178:179], -v[3:4]
	scratch_store_b128 off, v[1:4], off offset:448
	v_cmpx_lt_u32_e32 27, v132
	s_cbranch_execz .LBB106_217
; %bb.216:
	scratch_load_b128 v[1:4], v143, off
	v_mov_b32_e32 v5, 0
	s_delay_alu instid0(VALU_DEP_1)
	v_mov_b32_e32 v6, v5
	v_mov_b32_e32 v7, v5
	v_mov_b32_e32 v8, v5
	scratch_store_b128 off, v[5:8], off offset:432
	s_waitcnt vmcnt(0)
	ds_store_b128 v175, v[1:4]
.LBB106_217:
	s_or_b32 exec_lo, exec_lo, s2
	s_waitcnt lgkmcnt(0)
	s_waitcnt_vscnt null, 0x0
	s_barrier
	buffer_gl0_inv
	s_clause 0x7
	scratch_load_b128 v[2:5], off, off offset:448
	scratch_load_b128 v[6:9], off, off offset:464
	scratch_load_b128 v[10:13], off, off offset:480
	scratch_load_b128 v[14:17], off, off offset:496
	scratch_load_b128 v[18:21], off, off offset:512
	scratch_load_b128 v[22:25], off, off offset:528
	scratch_load_b128 v[26:29], off, off offset:544
	scratch_load_b128 v[30:33], off, off offset:560
	v_mov_b32_e32 v1, 0
	s_mov_b32 s2, exec_lo
	ds_load_b128 v[34:37], v1 offset:1136
	s_clause 0x1
	scratch_load_b128 v[38:41], off, off offset:576
	scratch_load_b128 v[42:45], off, off offset:432
	ds_load_b128 v[176:179], v1 offset:1152
	scratch_load_b128 v[180:183], off, off offset:592
	s_waitcnt vmcnt(10) lgkmcnt(1)
	v_mul_f64 v[184:185], v[36:37], v[4:5]
	v_mul_f64 v[4:5], v[34:35], v[4:5]
	s_delay_alu instid0(VALU_DEP_2) | instskip(NEXT) | instid1(VALU_DEP_2)
	v_fma_f64 v[190:191], v[34:35], v[2:3], -v[184:185]
	v_fma_f64 v[192:193], v[36:37], v[2:3], v[4:5]
	scratch_load_b128 v[34:37], off, off offset:608
	ds_load_b128 v[2:5], v1 offset:1168
	s_waitcnt vmcnt(10) lgkmcnt(1)
	v_mul_f64 v[188:189], v[176:177], v[8:9]
	v_mul_f64 v[8:9], v[178:179], v[8:9]
	ds_load_b128 v[184:187], v1 offset:1184
	s_waitcnt vmcnt(9) lgkmcnt(1)
	v_mul_f64 v[194:195], v[2:3], v[12:13]
	v_mul_f64 v[12:13], v[4:5], v[12:13]
	v_fma_f64 v[178:179], v[178:179], v[6:7], v[188:189]
	v_fma_f64 v[176:177], v[176:177], v[6:7], -v[8:9]
	v_add_f64 v[188:189], v[190:191], 0
	v_add_f64 v[190:191], v[192:193], 0
	scratch_load_b128 v[6:9], off, off offset:624
	v_fma_f64 v[194:195], v[4:5], v[10:11], v[194:195]
	v_fma_f64 v[196:197], v[2:3], v[10:11], -v[12:13]
	scratch_load_b128 v[10:13], off, off offset:640
	ds_load_b128 v[2:5], v1 offset:1200
	s_waitcnt vmcnt(10) lgkmcnt(1)
	v_mul_f64 v[192:193], v[184:185], v[16:17]
	v_mul_f64 v[16:17], v[186:187], v[16:17]
	v_add_f64 v[188:189], v[188:189], v[176:177]
	v_add_f64 v[190:191], v[190:191], v[178:179]
	s_waitcnt vmcnt(9) lgkmcnt(0)
	v_mul_f64 v[198:199], v[2:3], v[20:21]
	v_mul_f64 v[20:21], v[4:5], v[20:21]
	ds_load_b128 v[176:179], v1 offset:1216
	v_fma_f64 v[186:187], v[186:187], v[14:15], v[192:193]
	v_fma_f64 v[184:185], v[184:185], v[14:15], -v[16:17]
	scratch_load_b128 v[14:17], off, off offset:656
	v_add_f64 v[188:189], v[188:189], v[196:197]
	v_add_f64 v[190:191], v[190:191], v[194:195]
	v_fma_f64 v[194:195], v[4:5], v[18:19], v[198:199]
	v_fma_f64 v[196:197], v[2:3], v[18:19], -v[20:21]
	scratch_load_b128 v[18:21], off, off offset:672
	ds_load_b128 v[2:5], v1 offset:1232
	s_waitcnt vmcnt(10) lgkmcnt(1)
	v_mul_f64 v[192:193], v[176:177], v[24:25]
	v_mul_f64 v[24:25], v[178:179], v[24:25]
	s_waitcnt vmcnt(9) lgkmcnt(0)
	v_mul_f64 v[198:199], v[2:3], v[28:29]
	v_mul_f64 v[28:29], v[4:5], v[28:29]
	v_add_f64 v[188:189], v[188:189], v[184:185]
	v_add_f64 v[190:191], v[190:191], v[186:187]
	ds_load_b128 v[184:187], v1 offset:1248
	v_fma_f64 v[178:179], v[178:179], v[22:23], v[192:193]
	v_fma_f64 v[22:23], v[176:177], v[22:23], -v[24:25]
	v_add_f64 v[24:25], v[188:189], v[196:197]
	v_add_f64 v[176:177], v[190:191], v[194:195]
	s_waitcnt vmcnt(8) lgkmcnt(0)
	v_mul_f64 v[188:189], v[184:185], v[32:33]
	v_mul_f64 v[32:33], v[186:187], v[32:33]
	v_fma_f64 v[190:191], v[4:5], v[26:27], v[198:199]
	v_fma_f64 v[26:27], v[2:3], v[26:27], -v[28:29]
	v_add_f64 v[28:29], v[24:25], v[22:23]
	v_add_f64 v[176:177], v[176:177], v[178:179]
	ds_load_b128 v[2:5], v1 offset:1264
	ds_load_b128 v[22:25], v1 offset:1280
	v_fma_f64 v[186:187], v[186:187], v[30:31], v[188:189]
	v_fma_f64 v[30:31], v[184:185], v[30:31], -v[32:33]
	s_waitcnt vmcnt(7) lgkmcnt(1)
	v_mul_f64 v[178:179], v[2:3], v[40:41]
	v_mul_f64 v[40:41], v[4:5], v[40:41]
	s_waitcnt vmcnt(5) lgkmcnt(0)
	v_mul_f64 v[32:33], v[22:23], v[182:183]
	v_add_f64 v[26:27], v[28:29], v[26:27]
	v_add_f64 v[28:29], v[176:177], v[190:191]
	v_mul_f64 v[176:177], v[24:25], v[182:183]
	v_fma_f64 v[178:179], v[4:5], v[38:39], v[178:179]
	v_fma_f64 v[38:39], v[2:3], v[38:39], -v[40:41]
	v_fma_f64 v[24:25], v[24:25], v[180:181], v[32:33]
	v_add_f64 v[30:31], v[26:27], v[30:31]
	v_add_f64 v[40:41], v[28:29], v[186:187]
	ds_load_b128 v[2:5], v1 offset:1296
	ds_load_b128 v[26:29], v1 offset:1312
	v_fma_f64 v[22:23], v[22:23], v[180:181], -v[176:177]
	s_waitcnt vmcnt(4) lgkmcnt(1)
	v_mul_f64 v[182:183], v[2:3], v[36:37]
	v_mul_f64 v[36:37], v[4:5], v[36:37]
	v_add_f64 v[30:31], v[30:31], v[38:39]
	v_add_f64 v[32:33], v[40:41], v[178:179]
	s_waitcnt vmcnt(3) lgkmcnt(0)
	v_mul_f64 v[38:39], v[26:27], v[8:9]
	v_mul_f64 v[8:9], v[28:29], v[8:9]
	v_fma_f64 v[40:41], v[4:5], v[34:35], v[182:183]
	v_fma_f64 v[34:35], v[2:3], v[34:35], -v[36:37]
	v_add_f64 v[30:31], v[30:31], v[22:23]
	v_add_f64 v[32:33], v[32:33], v[24:25]
	ds_load_b128 v[2:5], v1 offset:1328
	ds_load_b128 v[22:25], v1 offset:1344
	v_fma_f64 v[28:29], v[28:29], v[6:7], v[38:39]
	v_fma_f64 v[6:7], v[26:27], v[6:7], -v[8:9]
	s_waitcnt vmcnt(2) lgkmcnt(1)
	v_mul_f64 v[36:37], v[2:3], v[12:13]
	v_mul_f64 v[12:13], v[4:5], v[12:13]
	v_add_f64 v[8:9], v[30:31], v[34:35]
	v_add_f64 v[26:27], v[32:33], v[40:41]
	s_waitcnt vmcnt(1) lgkmcnt(0)
	v_mul_f64 v[30:31], v[22:23], v[16:17]
	v_mul_f64 v[16:17], v[24:25], v[16:17]
	v_fma_f64 v[32:33], v[4:5], v[10:11], v[36:37]
	v_fma_f64 v[10:11], v[2:3], v[10:11], -v[12:13]
	ds_load_b128 v[2:5], v1 offset:1360
	v_add_f64 v[6:7], v[8:9], v[6:7]
	v_add_f64 v[8:9], v[26:27], v[28:29]
	v_fma_f64 v[24:25], v[24:25], v[14:15], v[30:31]
	v_fma_f64 v[14:15], v[22:23], v[14:15], -v[16:17]
	s_waitcnt vmcnt(0) lgkmcnt(0)
	v_mul_f64 v[12:13], v[2:3], v[20:21]
	v_mul_f64 v[20:21], v[4:5], v[20:21]
	v_add_f64 v[6:7], v[6:7], v[10:11]
	v_add_f64 v[8:9], v[8:9], v[32:33]
	s_delay_alu instid0(VALU_DEP_4) | instskip(NEXT) | instid1(VALU_DEP_4)
	v_fma_f64 v[4:5], v[4:5], v[18:19], v[12:13]
	v_fma_f64 v[2:3], v[2:3], v[18:19], -v[20:21]
	s_delay_alu instid0(VALU_DEP_4) | instskip(NEXT) | instid1(VALU_DEP_4)
	v_add_f64 v[6:7], v[6:7], v[14:15]
	v_add_f64 v[8:9], v[8:9], v[24:25]
	s_delay_alu instid0(VALU_DEP_2) | instskip(NEXT) | instid1(VALU_DEP_2)
	v_add_f64 v[2:3], v[6:7], v[2:3]
	v_add_f64 v[4:5], v[8:9], v[4:5]
	s_delay_alu instid0(VALU_DEP_2) | instskip(NEXT) | instid1(VALU_DEP_2)
	v_add_f64 v[2:3], v[42:43], -v[2:3]
	v_add_f64 v[4:5], v[44:45], -v[4:5]
	scratch_store_b128 off, v[2:5], off offset:432
	v_cmpx_lt_u32_e32 26, v132
	s_cbranch_execz .LBB106_219
; %bb.218:
	scratch_load_b128 v[5:8], v145, off
	v_mov_b32_e32 v2, v1
	v_mov_b32_e32 v3, v1
	;; [unrolled: 1-line block ×3, first 2 shown]
	scratch_store_b128 off, v[1:4], off offset:416
	s_waitcnt vmcnt(0)
	ds_store_b128 v175, v[5:8]
.LBB106_219:
	s_or_b32 exec_lo, exec_lo, s2
	s_waitcnt lgkmcnt(0)
	s_waitcnt_vscnt null, 0x0
	s_barrier
	buffer_gl0_inv
	s_clause 0x8
	scratch_load_b128 v[2:5], off, off offset:432
	scratch_load_b128 v[6:9], off, off offset:448
	;; [unrolled: 1-line block ×9, first 2 shown]
	ds_load_b128 v[38:41], v1 offset:1120
	ds_load_b128 v[42:45], v1 offset:1136
	s_clause 0x1
	scratch_load_b128 v[176:179], off, off offset:416
	scratch_load_b128 v[180:183], off, off offset:576
	s_mov_b32 s2, exec_lo
	s_waitcnt vmcnt(10) lgkmcnt(1)
	v_mul_f64 v[184:185], v[40:41], v[4:5]
	v_mul_f64 v[4:5], v[38:39], v[4:5]
	s_waitcnt vmcnt(9) lgkmcnt(0)
	v_mul_f64 v[188:189], v[42:43], v[8:9]
	v_mul_f64 v[8:9], v[44:45], v[8:9]
	s_delay_alu instid0(VALU_DEP_4) | instskip(NEXT) | instid1(VALU_DEP_4)
	v_fma_f64 v[190:191], v[38:39], v[2:3], -v[184:185]
	v_fma_f64 v[192:193], v[40:41], v[2:3], v[4:5]
	ds_load_b128 v[2:5], v1 offset:1152
	ds_load_b128 v[184:187], v1 offset:1168
	scratch_load_b128 v[38:41], off, off offset:592
	v_fma_f64 v[44:45], v[44:45], v[6:7], v[188:189]
	v_fma_f64 v[42:43], v[42:43], v[6:7], -v[8:9]
	scratch_load_b128 v[6:9], off, off offset:608
	s_waitcnt vmcnt(10) lgkmcnt(1)
	v_mul_f64 v[194:195], v[2:3], v[12:13]
	v_mul_f64 v[12:13], v[4:5], v[12:13]
	v_add_f64 v[188:189], v[190:191], 0
	v_add_f64 v[190:191], v[192:193], 0
	s_waitcnt vmcnt(9) lgkmcnt(0)
	v_mul_f64 v[192:193], v[184:185], v[16:17]
	v_mul_f64 v[16:17], v[186:187], v[16:17]
	v_fma_f64 v[194:195], v[4:5], v[10:11], v[194:195]
	v_fma_f64 v[196:197], v[2:3], v[10:11], -v[12:13]
	ds_load_b128 v[2:5], v1 offset:1184
	scratch_load_b128 v[10:13], off, off offset:624
	v_add_f64 v[188:189], v[188:189], v[42:43]
	v_add_f64 v[190:191], v[190:191], v[44:45]
	ds_load_b128 v[42:45], v1 offset:1200
	v_fma_f64 v[186:187], v[186:187], v[14:15], v[192:193]
	v_fma_f64 v[184:185], v[184:185], v[14:15], -v[16:17]
	scratch_load_b128 v[14:17], off, off offset:640
	s_waitcnt vmcnt(10) lgkmcnt(1)
	v_mul_f64 v[198:199], v[2:3], v[20:21]
	v_mul_f64 v[20:21], v[4:5], v[20:21]
	s_waitcnt vmcnt(9) lgkmcnt(0)
	v_mul_f64 v[192:193], v[42:43], v[24:25]
	v_mul_f64 v[24:25], v[44:45], v[24:25]
	v_add_f64 v[188:189], v[188:189], v[196:197]
	v_add_f64 v[190:191], v[190:191], v[194:195]
	v_fma_f64 v[194:195], v[4:5], v[18:19], v[198:199]
	v_fma_f64 v[196:197], v[2:3], v[18:19], -v[20:21]
	ds_load_b128 v[2:5], v1 offset:1216
	scratch_load_b128 v[18:21], off, off offset:656
	v_fma_f64 v[44:45], v[44:45], v[22:23], v[192:193]
	v_fma_f64 v[42:43], v[42:43], v[22:23], -v[24:25]
	scratch_load_b128 v[22:25], off, off offset:672
	v_add_f64 v[188:189], v[188:189], v[184:185]
	v_add_f64 v[190:191], v[190:191], v[186:187]
	ds_load_b128 v[184:187], v1 offset:1232
	s_waitcnt vmcnt(10) lgkmcnt(1)
	v_mul_f64 v[198:199], v[2:3], v[28:29]
	v_mul_f64 v[28:29], v[4:5], v[28:29]
	s_waitcnt vmcnt(9) lgkmcnt(0)
	v_mul_f64 v[192:193], v[184:185], v[32:33]
	v_mul_f64 v[32:33], v[186:187], v[32:33]
	v_add_f64 v[188:189], v[188:189], v[196:197]
	v_add_f64 v[190:191], v[190:191], v[194:195]
	v_fma_f64 v[194:195], v[4:5], v[26:27], v[198:199]
	v_fma_f64 v[196:197], v[2:3], v[26:27], -v[28:29]
	ds_load_b128 v[2:5], v1 offset:1248
	ds_load_b128 v[26:29], v1 offset:1264
	v_fma_f64 v[186:187], v[186:187], v[30:31], v[192:193]
	v_fma_f64 v[30:31], v[184:185], v[30:31], -v[32:33]
	v_add_f64 v[42:43], v[188:189], v[42:43]
	v_add_f64 v[44:45], v[190:191], v[44:45]
	s_waitcnt vmcnt(8) lgkmcnt(1)
	v_mul_f64 v[188:189], v[2:3], v[36:37]
	v_mul_f64 v[36:37], v[4:5], v[36:37]
	s_delay_alu instid0(VALU_DEP_4) | instskip(NEXT) | instid1(VALU_DEP_4)
	v_add_f64 v[32:33], v[42:43], v[196:197]
	v_add_f64 v[42:43], v[44:45], v[194:195]
	s_waitcnt vmcnt(6) lgkmcnt(0)
	v_mul_f64 v[44:45], v[26:27], v[182:183]
	v_mul_f64 v[182:183], v[28:29], v[182:183]
	v_fma_f64 v[184:185], v[4:5], v[34:35], v[188:189]
	v_fma_f64 v[34:35], v[2:3], v[34:35], -v[36:37]
	v_add_f64 v[36:37], v[32:33], v[30:31]
	v_add_f64 v[42:43], v[42:43], v[186:187]
	ds_load_b128 v[2:5], v1 offset:1280
	ds_load_b128 v[30:33], v1 offset:1296
	v_fma_f64 v[28:29], v[28:29], v[180:181], v[44:45]
	v_fma_f64 v[26:27], v[26:27], v[180:181], -v[182:183]
	s_waitcnt vmcnt(5) lgkmcnt(1)
	v_mul_f64 v[186:187], v[2:3], v[40:41]
	v_mul_f64 v[40:41], v[4:5], v[40:41]
	v_add_f64 v[34:35], v[36:37], v[34:35]
	v_add_f64 v[36:37], v[42:43], v[184:185]
	s_waitcnt vmcnt(4) lgkmcnt(0)
	v_mul_f64 v[42:43], v[30:31], v[8:9]
	v_mul_f64 v[8:9], v[32:33], v[8:9]
	v_fma_f64 v[44:45], v[4:5], v[38:39], v[186:187]
	v_fma_f64 v[38:39], v[2:3], v[38:39], -v[40:41]
	v_add_f64 v[34:35], v[34:35], v[26:27]
	v_add_f64 v[36:37], v[36:37], v[28:29]
	ds_load_b128 v[2:5], v1 offset:1312
	ds_load_b128 v[26:29], v1 offset:1328
	v_fma_f64 v[32:33], v[32:33], v[6:7], v[42:43]
	v_fma_f64 v[6:7], v[30:31], v[6:7], -v[8:9]
	s_waitcnt vmcnt(3) lgkmcnt(1)
	v_mul_f64 v[40:41], v[2:3], v[12:13]
	v_mul_f64 v[12:13], v[4:5], v[12:13]
	;; [unrolled: 16-line block ×3, first 2 shown]
	s_waitcnt vmcnt(0) lgkmcnt(0)
	v_mul_f64 v[16:17], v[6:7], v[24:25]
	v_mul_f64 v[24:25], v[8:9], v[24:25]
	v_add_f64 v[10:11], v[12:13], v[10:11]
	v_add_f64 v[12:13], v[30:31], v[36:37]
	v_fma_f64 v[4:5], v[4:5], v[18:19], v[32:33]
	v_fma_f64 v[1:2], v[2:3], v[18:19], -v[20:21]
	v_fma_f64 v[8:9], v[8:9], v[22:23], v[16:17]
	v_fma_f64 v[6:7], v[6:7], v[22:23], -v[24:25]
	v_add_f64 v[10:11], v[10:11], v[14:15]
	v_add_f64 v[12:13], v[12:13], v[28:29]
	s_delay_alu instid0(VALU_DEP_2) | instskip(NEXT) | instid1(VALU_DEP_2)
	v_add_f64 v[1:2], v[10:11], v[1:2]
	v_add_f64 v[3:4], v[12:13], v[4:5]
	s_delay_alu instid0(VALU_DEP_2) | instskip(NEXT) | instid1(VALU_DEP_2)
	;; [unrolled: 3-line block ×3, first 2 shown]
	v_add_f64 v[1:2], v[176:177], -v[1:2]
	v_add_f64 v[3:4], v[178:179], -v[3:4]
	scratch_store_b128 off, v[1:4], off offset:416
	v_cmpx_lt_u32_e32 25, v132
	s_cbranch_execz .LBB106_221
; %bb.220:
	scratch_load_b128 v[1:4], v147, off
	v_mov_b32_e32 v5, 0
	s_delay_alu instid0(VALU_DEP_1)
	v_mov_b32_e32 v6, v5
	v_mov_b32_e32 v7, v5
	;; [unrolled: 1-line block ×3, first 2 shown]
	scratch_store_b128 off, v[5:8], off offset:400
	s_waitcnt vmcnt(0)
	ds_store_b128 v175, v[1:4]
.LBB106_221:
	s_or_b32 exec_lo, exec_lo, s2
	s_waitcnt lgkmcnt(0)
	s_waitcnt_vscnt null, 0x0
	s_barrier
	buffer_gl0_inv
	s_clause 0x7
	scratch_load_b128 v[2:5], off, off offset:416
	scratch_load_b128 v[6:9], off, off offset:432
	;; [unrolled: 1-line block ×8, first 2 shown]
	v_mov_b32_e32 v1, 0
	s_mov_b32 s2, exec_lo
	ds_load_b128 v[34:37], v1 offset:1104
	s_clause 0x1
	scratch_load_b128 v[38:41], off, off offset:544
	scratch_load_b128 v[42:45], off, off offset:400
	ds_load_b128 v[176:179], v1 offset:1120
	scratch_load_b128 v[180:183], off, off offset:560
	s_waitcnt vmcnt(10) lgkmcnt(1)
	v_mul_f64 v[184:185], v[36:37], v[4:5]
	v_mul_f64 v[4:5], v[34:35], v[4:5]
	s_delay_alu instid0(VALU_DEP_2) | instskip(NEXT) | instid1(VALU_DEP_2)
	v_fma_f64 v[190:191], v[34:35], v[2:3], -v[184:185]
	v_fma_f64 v[192:193], v[36:37], v[2:3], v[4:5]
	scratch_load_b128 v[34:37], off, off offset:576
	ds_load_b128 v[2:5], v1 offset:1136
	s_waitcnt vmcnt(10) lgkmcnt(1)
	v_mul_f64 v[188:189], v[176:177], v[8:9]
	v_mul_f64 v[8:9], v[178:179], v[8:9]
	ds_load_b128 v[184:187], v1 offset:1152
	s_waitcnt vmcnt(9) lgkmcnt(1)
	v_mul_f64 v[194:195], v[2:3], v[12:13]
	v_mul_f64 v[12:13], v[4:5], v[12:13]
	v_fma_f64 v[178:179], v[178:179], v[6:7], v[188:189]
	v_fma_f64 v[176:177], v[176:177], v[6:7], -v[8:9]
	v_add_f64 v[188:189], v[190:191], 0
	v_add_f64 v[190:191], v[192:193], 0
	scratch_load_b128 v[6:9], off, off offset:592
	v_fma_f64 v[194:195], v[4:5], v[10:11], v[194:195]
	v_fma_f64 v[196:197], v[2:3], v[10:11], -v[12:13]
	scratch_load_b128 v[10:13], off, off offset:608
	ds_load_b128 v[2:5], v1 offset:1168
	s_waitcnt vmcnt(10) lgkmcnt(1)
	v_mul_f64 v[192:193], v[184:185], v[16:17]
	v_mul_f64 v[16:17], v[186:187], v[16:17]
	v_add_f64 v[188:189], v[188:189], v[176:177]
	v_add_f64 v[190:191], v[190:191], v[178:179]
	s_waitcnt vmcnt(9) lgkmcnt(0)
	v_mul_f64 v[198:199], v[2:3], v[20:21]
	v_mul_f64 v[20:21], v[4:5], v[20:21]
	ds_load_b128 v[176:179], v1 offset:1184
	v_fma_f64 v[186:187], v[186:187], v[14:15], v[192:193]
	v_fma_f64 v[184:185], v[184:185], v[14:15], -v[16:17]
	scratch_load_b128 v[14:17], off, off offset:624
	v_add_f64 v[188:189], v[188:189], v[196:197]
	v_add_f64 v[190:191], v[190:191], v[194:195]
	v_fma_f64 v[194:195], v[4:5], v[18:19], v[198:199]
	v_fma_f64 v[196:197], v[2:3], v[18:19], -v[20:21]
	scratch_load_b128 v[18:21], off, off offset:640
	ds_load_b128 v[2:5], v1 offset:1200
	s_waitcnt vmcnt(10) lgkmcnt(1)
	v_mul_f64 v[192:193], v[176:177], v[24:25]
	v_mul_f64 v[24:25], v[178:179], v[24:25]
	s_waitcnt vmcnt(9) lgkmcnt(0)
	v_mul_f64 v[198:199], v[2:3], v[28:29]
	v_mul_f64 v[28:29], v[4:5], v[28:29]
	v_add_f64 v[188:189], v[188:189], v[184:185]
	v_add_f64 v[190:191], v[190:191], v[186:187]
	ds_load_b128 v[184:187], v1 offset:1216
	v_fma_f64 v[178:179], v[178:179], v[22:23], v[192:193]
	v_fma_f64 v[176:177], v[176:177], v[22:23], -v[24:25]
	scratch_load_b128 v[22:25], off, off offset:656
	v_add_f64 v[188:189], v[188:189], v[196:197]
	v_add_f64 v[190:191], v[190:191], v[194:195]
	v_fma_f64 v[194:195], v[4:5], v[26:27], v[198:199]
	v_fma_f64 v[196:197], v[2:3], v[26:27], -v[28:29]
	scratch_load_b128 v[26:29], off, off offset:672
	ds_load_b128 v[2:5], v1 offset:1232
	s_waitcnt vmcnt(10) lgkmcnt(1)
	v_mul_f64 v[192:193], v[184:185], v[32:33]
	v_mul_f64 v[32:33], v[186:187], v[32:33]
	s_waitcnt vmcnt(9) lgkmcnt(0)
	v_mul_f64 v[198:199], v[2:3], v[40:41]
	v_mul_f64 v[40:41], v[4:5], v[40:41]
	v_add_f64 v[188:189], v[188:189], v[176:177]
	v_add_f64 v[190:191], v[190:191], v[178:179]
	ds_load_b128 v[176:179], v1 offset:1248
	v_fma_f64 v[186:187], v[186:187], v[30:31], v[192:193]
	v_fma_f64 v[30:31], v[184:185], v[30:31], -v[32:33]
	v_add_f64 v[32:33], v[188:189], v[196:197]
	v_add_f64 v[184:185], v[190:191], v[194:195]
	s_waitcnt vmcnt(7) lgkmcnt(0)
	v_mul_f64 v[188:189], v[176:177], v[182:183]
	v_mul_f64 v[182:183], v[178:179], v[182:183]
	v_fma_f64 v[190:191], v[4:5], v[38:39], v[198:199]
	v_fma_f64 v[38:39], v[2:3], v[38:39], -v[40:41]
	v_add_f64 v[40:41], v[32:33], v[30:31]
	v_add_f64 v[184:185], v[184:185], v[186:187]
	ds_load_b128 v[2:5], v1 offset:1264
	ds_load_b128 v[30:33], v1 offset:1280
	v_fma_f64 v[178:179], v[178:179], v[180:181], v[188:189]
	v_fma_f64 v[176:177], v[176:177], v[180:181], -v[182:183]
	s_waitcnt vmcnt(6) lgkmcnt(1)
	v_mul_f64 v[186:187], v[2:3], v[36:37]
	v_mul_f64 v[36:37], v[4:5], v[36:37]
	v_add_f64 v[38:39], v[40:41], v[38:39]
	v_add_f64 v[40:41], v[184:185], v[190:191]
	s_waitcnt vmcnt(5) lgkmcnt(0)
	v_mul_f64 v[180:181], v[30:31], v[8:9]
	v_mul_f64 v[8:9], v[32:33], v[8:9]
	v_fma_f64 v[182:183], v[4:5], v[34:35], v[186:187]
	v_fma_f64 v[184:185], v[2:3], v[34:35], -v[36:37]
	ds_load_b128 v[2:5], v1 offset:1296
	ds_load_b128 v[34:37], v1 offset:1312
	v_add_f64 v[38:39], v[38:39], v[176:177]
	v_add_f64 v[40:41], v[40:41], v[178:179]
	s_waitcnt vmcnt(4) lgkmcnt(1)
	v_mul_f64 v[176:177], v[2:3], v[12:13]
	v_mul_f64 v[12:13], v[4:5], v[12:13]
	v_fma_f64 v[32:33], v[32:33], v[6:7], v[180:181]
	v_fma_f64 v[6:7], v[30:31], v[6:7], -v[8:9]
	v_add_f64 v[8:9], v[38:39], v[184:185]
	v_add_f64 v[30:31], v[40:41], v[182:183]
	s_waitcnt vmcnt(3) lgkmcnt(0)
	v_mul_f64 v[38:39], v[34:35], v[16:17]
	v_mul_f64 v[16:17], v[36:37], v[16:17]
	v_fma_f64 v[40:41], v[4:5], v[10:11], v[176:177]
	v_fma_f64 v[10:11], v[2:3], v[10:11], -v[12:13]
	v_add_f64 v[12:13], v[8:9], v[6:7]
	v_add_f64 v[30:31], v[30:31], v[32:33]
	ds_load_b128 v[2:5], v1 offset:1328
	ds_load_b128 v[6:9], v1 offset:1344
	v_fma_f64 v[36:37], v[36:37], v[14:15], v[38:39]
	v_fma_f64 v[14:15], v[34:35], v[14:15], -v[16:17]
	s_waitcnt vmcnt(2) lgkmcnt(1)
	v_mul_f64 v[32:33], v[2:3], v[20:21]
	v_mul_f64 v[20:21], v[4:5], v[20:21]
	s_waitcnt vmcnt(1) lgkmcnt(0)
	v_mul_f64 v[16:17], v[6:7], v[24:25]
	v_mul_f64 v[24:25], v[8:9], v[24:25]
	v_add_f64 v[10:11], v[12:13], v[10:11]
	v_add_f64 v[12:13], v[30:31], v[40:41]
	v_fma_f64 v[30:31], v[4:5], v[18:19], v[32:33]
	v_fma_f64 v[18:19], v[2:3], v[18:19], -v[20:21]
	ds_load_b128 v[2:5], v1 offset:1360
	v_fma_f64 v[8:9], v[8:9], v[22:23], v[16:17]
	v_fma_f64 v[6:7], v[6:7], v[22:23], -v[24:25]
	v_add_f64 v[10:11], v[10:11], v[14:15]
	v_add_f64 v[12:13], v[12:13], v[36:37]
	s_waitcnt vmcnt(0) lgkmcnt(0)
	v_mul_f64 v[14:15], v[2:3], v[28:29]
	v_mul_f64 v[20:21], v[4:5], v[28:29]
	s_delay_alu instid0(VALU_DEP_4) | instskip(NEXT) | instid1(VALU_DEP_4)
	v_add_f64 v[10:11], v[10:11], v[18:19]
	v_add_f64 v[12:13], v[12:13], v[30:31]
	s_delay_alu instid0(VALU_DEP_4) | instskip(NEXT) | instid1(VALU_DEP_4)
	v_fma_f64 v[4:5], v[4:5], v[26:27], v[14:15]
	v_fma_f64 v[2:3], v[2:3], v[26:27], -v[20:21]
	s_delay_alu instid0(VALU_DEP_4) | instskip(NEXT) | instid1(VALU_DEP_4)
	v_add_f64 v[6:7], v[10:11], v[6:7]
	v_add_f64 v[8:9], v[12:13], v[8:9]
	s_delay_alu instid0(VALU_DEP_2) | instskip(NEXT) | instid1(VALU_DEP_2)
	v_add_f64 v[2:3], v[6:7], v[2:3]
	v_add_f64 v[4:5], v[8:9], v[4:5]
	s_delay_alu instid0(VALU_DEP_2) | instskip(NEXT) | instid1(VALU_DEP_2)
	v_add_f64 v[2:3], v[42:43], -v[2:3]
	v_add_f64 v[4:5], v[44:45], -v[4:5]
	scratch_store_b128 off, v[2:5], off offset:400
	v_cmpx_lt_u32_e32 24, v132
	s_cbranch_execz .LBB106_223
; %bb.222:
	scratch_load_b128 v[5:8], v148, off
	v_mov_b32_e32 v2, v1
	v_mov_b32_e32 v3, v1
	;; [unrolled: 1-line block ×3, first 2 shown]
	scratch_store_b128 off, v[1:4], off offset:384
	s_waitcnt vmcnt(0)
	ds_store_b128 v175, v[5:8]
.LBB106_223:
	s_or_b32 exec_lo, exec_lo, s2
	s_waitcnt lgkmcnt(0)
	s_waitcnt_vscnt null, 0x0
	s_barrier
	buffer_gl0_inv
	s_clause 0x8
	scratch_load_b128 v[2:5], off, off offset:400
	scratch_load_b128 v[6:9], off, off offset:416
	;; [unrolled: 1-line block ×9, first 2 shown]
	ds_load_b128 v[38:41], v1 offset:1088
	ds_load_b128 v[42:45], v1 offset:1104
	s_clause 0x1
	scratch_load_b128 v[176:179], off, off offset:384
	scratch_load_b128 v[180:183], off, off offset:544
	s_mov_b32 s2, exec_lo
	s_waitcnt vmcnt(10) lgkmcnt(1)
	v_mul_f64 v[184:185], v[40:41], v[4:5]
	v_mul_f64 v[4:5], v[38:39], v[4:5]
	s_waitcnt vmcnt(9) lgkmcnt(0)
	v_mul_f64 v[188:189], v[42:43], v[8:9]
	v_mul_f64 v[8:9], v[44:45], v[8:9]
	s_delay_alu instid0(VALU_DEP_4) | instskip(NEXT) | instid1(VALU_DEP_4)
	v_fma_f64 v[190:191], v[38:39], v[2:3], -v[184:185]
	v_fma_f64 v[192:193], v[40:41], v[2:3], v[4:5]
	ds_load_b128 v[2:5], v1 offset:1120
	ds_load_b128 v[184:187], v1 offset:1136
	scratch_load_b128 v[38:41], off, off offset:560
	v_fma_f64 v[44:45], v[44:45], v[6:7], v[188:189]
	v_fma_f64 v[42:43], v[42:43], v[6:7], -v[8:9]
	scratch_load_b128 v[6:9], off, off offset:576
	s_waitcnt vmcnt(10) lgkmcnt(1)
	v_mul_f64 v[194:195], v[2:3], v[12:13]
	v_mul_f64 v[12:13], v[4:5], v[12:13]
	v_add_f64 v[188:189], v[190:191], 0
	v_add_f64 v[190:191], v[192:193], 0
	s_waitcnt vmcnt(9) lgkmcnt(0)
	v_mul_f64 v[192:193], v[184:185], v[16:17]
	v_mul_f64 v[16:17], v[186:187], v[16:17]
	v_fma_f64 v[194:195], v[4:5], v[10:11], v[194:195]
	v_fma_f64 v[196:197], v[2:3], v[10:11], -v[12:13]
	ds_load_b128 v[2:5], v1 offset:1152
	scratch_load_b128 v[10:13], off, off offset:592
	v_add_f64 v[188:189], v[188:189], v[42:43]
	v_add_f64 v[190:191], v[190:191], v[44:45]
	ds_load_b128 v[42:45], v1 offset:1168
	v_fma_f64 v[186:187], v[186:187], v[14:15], v[192:193]
	v_fma_f64 v[184:185], v[184:185], v[14:15], -v[16:17]
	scratch_load_b128 v[14:17], off, off offset:608
	s_waitcnt vmcnt(10) lgkmcnt(1)
	v_mul_f64 v[198:199], v[2:3], v[20:21]
	v_mul_f64 v[20:21], v[4:5], v[20:21]
	s_waitcnt vmcnt(9) lgkmcnt(0)
	v_mul_f64 v[192:193], v[42:43], v[24:25]
	v_mul_f64 v[24:25], v[44:45], v[24:25]
	v_add_f64 v[188:189], v[188:189], v[196:197]
	v_add_f64 v[190:191], v[190:191], v[194:195]
	v_fma_f64 v[194:195], v[4:5], v[18:19], v[198:199]
	v_fma_f64 v[196:197], v[2:3], v[18:19], -v[20:21]
	ds_load_b128 v[2:5], v1 offset:1184
	scratch_load_b128 v[18:21], off, off offset:624
	v_fma_f64 v[44:45], v[44:45], v[22:23], v[192:193]
	v_fma_f64 v[42:43], v[42:43], v[22:23], -v[24:25]
	scratch_load_b128 v[22:25], off, off offset:640
	v_add_f64 v[188:189], v[188:189], v[184:185]
	v_add_f64 v[190:191], v[190:191], v[186:187]
	ds_load_b128 v[184:187], v1 offset:1200
	s_waitcnt vmcnt(10) lgkmcnt(1)
	v_mul_f64 v[198:199], v[2:3], v[28:29]
	v_mul_f64 v[28:29], v[4:5], v[28:29]
	s_waitcnt vmcnt(9) lgkmcnt(0)
	v_mul_f64 v[192:193], v[184:185], v[32:33]
	v_mul_f64 v[32:33], v[186:187], v[32:33]
	v_add_f64 v[188:189], v[188:189], v[196:197]
	v_add_f64 v[190:191], v[190:191], v[194:195]
	v_fma_f64 v[194:195], v[4:5], v[26:27], v[198:199]
	v_fma_f64 v[196:197], v[2:3], v[26:27], -v[28:29]
	ds_load_b128 v[2:5], v1 offset:1216
	scratch_load_b128 v[26:29], off, off offset:656
	v_fma_f64 v[186:187], v[186:187], v[30:31], v[192:193]
	v_fma_f64 v[184:185], v[184:185], v[30:31], -v[32:33]
	scratch_load_b128 v[30:33], off, off offset:672
	v_add_f64 v[188:189], v[188:189], v[42:43]
	v_add_f64 v[190:191], v[190:191], v[44:45]
	ds_load_b128 v[42:45], v1 offset:1232
	s_waitcnt vmcnt(10) lgkmcnt(1)
	v_mul_f64 v[198:199], v[2:3], v[36:37]
	v_mul_f64 v[36:37], v[4:5], v[36:37]
	s_waitcnt vmcnt(8) lgkmcnt(0)
	v_mul_f64 v[192:193], v[42:43], v[182:183]
	v_mul_f64 v[182:183], v[44:45], v[182:183]
	v_add_f64 v[188:189], v[188:189], v[196:197]
	v_add_f64 v[190:191], v[190:191], v[194:195]
	v_fma_f64 v[194:195], v[4:5], v[34:35], v[198:199]
	v_fma_f64 v[196:197], v[2:3], v[34:35], -v[36:37]
	ds_load_b128 v[2:5], v1 offset:1248
	ds_load_b128 v[34:37], v1 offset:1264
	v_fma_f64 v[44:45], v[44:45], v[180:181], v[192:193]
	v_fma_f64 v[42:43], v[42:43], v[180:181], -v[182:183]
	v_add_f64 v[184:185], v[188:189], v[184:185]
	v_add_f64 v[186:187], v[190:191], v[186:187]
	s_waitcnt vmcnt(7) lgkmcnt(1)
	v_mul_f64 v[188:189], v[2:3], v[40:41]
	v_mul_f64 v[40:41], v[4:5], v[40:41]
	s_delay_alu instid0(VALU_DEP_4) | instskip(NEXT) | instid1(VALU_DEP_4)
	v_add_f64 v[180:181], v[184:185], v[196:197]
	v_add_f64 v[182:183], v[186:187], v[194:195]
	s_waitcnt vmcnt(6) lgkmcnt(0)
	v_mul_f64 v[184:185], v[34:35], v[8:9]
	v_mul_f64 v[8:9], v[36:37], v[8:9]
	v_fma_f64 v[186:187], v[4:5], v[38:39], v[188:189]
	v_fma_f64 v[188:189], v[2:3], v[38:39], -v[40:41]
	ds_load_b128 v[2:5], v1 offset:1280
	ds_load_b128 v[38:41], v1 offset:1296
	v_add_f64 v[42:43], v[180:181], v[42:43]
	v_add_f64 v[44:45], v[182:183], v[44:45]
	v_fma_f64 v[36:37], v[36:37], v[6:7], v[184:185]
	s_waitcnt vmcnt(5) lgkmcnt(1)
	v_mul_f64 v[180:181], v[2:3], v[12:13]
	v_mul_f64 v[12:13], v[4:5], v[12:13]
	v_fma_f64 v[6:7], v[34:35], v[6:7], -v[8:9]
	v_add_f64 v[8:9], v[42:43], v[188:189]
	v_add_f64 v[34:35], v[44:45], v[186:187]
	s_waitcnt vmcnt(4) lgkmcnt(0)
	v_mul_f64 v[42:43], v[38:39], v[16:17]
	v_mul_f64 v[16:17], v[40:41], v[16:17]
	v_fma_f64 v[44:45], v[4:5], v[10:11], v[180:181]
	v_fma_f64 v[10:11], v[2:3], v[10:11], -v[12:13]
	v_add_f64 v[12:13], v[8:9], v[6:7]
	v_add_f64 v[34:35], v[34:35], v[36:37]
	ds_load_b128 v[2:5], v1 offset:1312
	ds_load_b128 v[6:9], v1 offset:1328
	v_fma_f64 v[40:41], v[40:41], v[14:15], v[42:43]
	v_fma_f64 v[14:15], v[38:39], v[14:15], -v[16:17]
	s_waitcnt vmcnt(3) lgkmcnt(1)
	v_mul_f64 v[36:37], v[2:3], v[20:21]
	v_mul_f64 v[20:21], v[4:5], v[20:21]
	s_waitcnt vmcnt(2) lgkmcnt(0)
	v_mul_f64 v[16:17], v[6:7], v[24:25]
	v_mul_f64 v[24:25], v[8:9], v[24:25]
	v_add_f64 v[10:11], v[12:13], v[10:11]
	v_add_f64 v[12:13], v[34:35], v[44:45]
	v_fma_f64 v[34:35], v[4:5], v[18:19], v[36:37]
	v_fma_f64 v[18:19], v[2:3], v[18:19], -v[20:21]
	v_fma_f64 v[8:9], v[8:9], v[22:23], v[16:17]
	v_fma_f64 v[6:7], v[6:7], v[22:23], -v[24:25]
	v_add_f64 v[14:15], v[10:11], v[14:15]
	v_add_f64 v[20:21], v[12:13], v[40:41]
	ds_load_b128 v[2:5], v1 offset:1344
	ds_load_b128 v[10:13], v1 offset:1360
	s_waitcnt vmcnt(1) lgkmcnt(1)
	v_mul_f64 v[36:37], v[2:3], v[28:29]
	v_mul_f64 v[28:29], v[4:5], v[28:29]
	v_add_f64 v[14:15], v[14:15], v[18:19]
	v_add_f64 v[16:17], v[20:21], v[34:35]
	s_waitcnt vmcnt(0) lgkmcnt(0)
	v_mul_f64 v[18:19], v[10:11], v[32:33]
	v_mul_f64 v[20:21], v[12:13], v[32:33]
	v_fma_f64 v[4:5], v[4:5], v[26:27], v[36:37]
	v_fma_f64 v[1:2], v[2:3], v[26:27], -v[28:29]
	v_add_f64 v[6:7], v[14:15], v[6:7]
	v_add_f64 v[8:9], v[16:17], v[8:9]
	v_fma_f64 v[12:13], v[12:13], v[30:31], v[18:19]
	v_fma_f64 v[10:11], v[10:11], v[30:31], -v[20:21]
	s_delay_alu instid0(VALU_DEP_4) | instskip(NEXT) | instid1(VALU_DEP_4)
	v_add_f64 v[1:2], v[6:7], v[1:2]
	v_add_f64 v[3:4], v[8:9], v[4:5]
	s_delay_alu instid0(VALU_DEP_2) | instskip(NEXT) | instid1(VALU_DEP_2)
	v_add_f64 v[1:2], v[1:2], v[10:11]
	v_add_f64 v[3:4], v[3:4], v[12:13]
	s_delay_alu instid0(VALU_DEP_2) | instskip(NEXT) | instid1(VALU_DEP_2)
	v_add_f64 v[1:2], v[176:177], -v[1:2]
	v_add_f64 v[3:4], v[178:179], -v[3:4]
	scratch_store_b128 off, v[1:4], off offset:384
	v_cmpx_lt_u32_e32 23, v132
	s_cbranch_execz .LBB106_225
; %bb.224:
	scratch_load_b128 v[1:4], v149, off
	v_mov_b32_e32 v5, 0
	s_delay_alu instid0(VALU_DEP_1)
	v_mov_b32_e32 v6, v5
	v_mov_b32_e32 v7, v5
	;; [unrolled: 1-line block ×3, first 2 shown]
	scratch_store_b128 off, v[5:8], off offset:368
	s_waitcnt vmcnt(0)
	ds_store_b128 v175, v[1:4]
.LBB106_225:
	s_or_b32 exec_lo, exec_lo, s2
	s_waitcnt lgkmcnt(0)
	s_waitcnt_vscnt null, 0x0
	s_barrier
	buffer_gl0_inv
	s_clause 0x7
	scratch_load_b128 v[2:5], off, off offset:384
	scratch_load_b128 v[6:9], off, off offset:400
	;; [unrolled: 1-line block ×8, first 2 shown]
	v_mov_b32_e32 v1, 0
	s_mov_b32 s2, exec_lo
	ds_load_b128 v[34:37], v1 offset:1072
	s_clause 0x1
	scratch_load_b128 v[38:41], off, off offset:512
	scratch_load_b128 v[42:45], off, off offset:368
	ds_load_b128 v[176:179], v1 offset:1088
	scratch_load_b128 v[180:183], off, off offset:528
	s_waitcnt vmcnt(10) lgkmcnt(1)
	v_mul_f64 v[184:185], v[36:37], v[4:5]
	v_mul_f64 v[4:5], v[34:35], v[4:5]
	s_delay_alu instid0(VALU_DEP_2) | instskip(NEXT) | instid1(VALU_DEP_2)
	v_fma_f64 v[190:191], v[34:35], v[2:3], -v[184:185]
	v_fma_f64 v[192:193], v[36:37], v[2:3], v[4:5]
	scratch_load_b128 v[34:37], off, off offset:544
	ds_load_b128 v[2:5], v1 offset:1104
	s_waitcnt vmcnt(10) lgkmcnt(1)
	v_mul_f64 v[188:189], v[176:177], v[8:9]
	v_mul_f64 v[8:9], v[178:179], v[8:9]
	ds_load_b128 v[184:187], v1 offset:1120
	s_waitcnt vmcnt(9) lgkmcnt(1)
	v_mul_f64 v[194:195], v[2:3], v[12:13]
	v_mul_f64 v[12:13], v[4:5], v[12:13]
	v_fma_f64 v[178:179], v[178:179], v[6:7], v[188:189]
	v_fma_f64 v[176:177], v[176:177], v[6:7], -v[8:9]
	v_add_f64 v[188:189], v[190:191], 0
	v_add_f64 v[190:191], v[192:193], 0
	scratch_load_b128 v[6:9], off, off offset:560
	v_fma_f64 v[194:195], v[4:5], v[10:11], v[194:195]
	v_fma_f64 v[196:197], v[2:3], v[10:11], -v[12:13]
	scratch_load_b128 v[10:13], off, off offset:576
	ds_load_b128 v[2:5], v1 offset:1136
	s_waitcnt vmcnt(10) lgkmcnt(1)
	v_mul_f64 v[192:193], v[184:185], v[16:17]
	v_mul_f64 v[16:17], v[186:187], v[16:17]
	v_add_f64 v[188:189], v[188:189], v[176:177]
	v_add_f64 v[190:191], v[190:191], v[178:179]
	s_waitcnt vmcnt(9) lgkmcnt(0)
	v_mul_f64 v[198:199], v[2:3], v[20:21]
	v_mul_f64 v[20:21], v[4:5], v[20:21]
	ds_load_b128 v[176:179], v1 offset:1152
	v_fma_f64 v[186:187], v[186:187], v[14:15], v[192:193]
	v_fma_f64 v[184:185], v[184:185], v[14:15], -v[16:17]
	scratch_load_b128 v[14:17], off, off offset:592
	v_add_f64 v[188:189], v[188:189], v[196:197]
	v_add_f64 v[190:191], v[190:191], v[194:195]
	v_fma_f64 v[194:195], v[4:5], v[18:19], v[198:199]
	v_fma_f64 v[196:197], v[2:3], v[18:19], -v[20:21]
	scratch_load_b128 v[18:21], off, off offset:608
	ds_load_b128 v[2:5], v1 offset:1168
	s_waitcnt vmcnt(10) lgkmcnt(1)
	v_mul_f64 v[192:193], v[176:177], v[24:25]
	v_mul_f64 v[24:25], v[178:179], v[24:25]
	s_waitcnt vmcnt(9) lgkmcnt(0)
	v_mul_f64 v[198:199], v[2:3], v[28:29]
	v_mul_f64 v[28:29], v[4:5], v[28:29]
	v_add_f64 v[188:189], v[188:189], v[184:185]
	v_add_f64 v[190:191], v[190:191], v[186:187]
	ds_load_b128 v[184:187], v1 offset:1184
	v_fma_f64 v[178:179], v[178:179], v[22:23], v[192:193]
	v_fma_f64 v[176:177], v[176:177], v[22:23], -v[24:25]
	scratch_load_b128 v[22:25], off, off offset:624
	v_add_f64 v[188:189], v[188:189], v[196:197]
	v_add_f64 v[190:191], v[190:191], v[194:195]
	v_fma_f64 v[194:195], v[4:5], v[26:27], v[198:199]
	v_fma_f64 v[196:197], v[2:3], v[26:27], -v[28:29]
	scratch_load_b128 v[26:29], off, off offset:640
	ds_load_b128 v[2:5], v1 offset:1200
	s_waitcnt vmcnt(10) lgkmcnt(1)
	v_mul_f64 v[192:193], v[184:185], v[32:33]
	v_mul_f64 v[32:33], v[186:187], v[32:33]
	s_waitcnt vmcnt(9) lgkmcnt(0)
	v_mul_f64 v[198:199], v[2:3], v[40:41]
	v_mul_f64 v[40:41], v[4:5], v[40:41]
	v_add_f64 v[188:189], v[188:189], v[176:177]
	v_add_f64 v[190:191], v[190:191], v[178:179]
	ds_load_b128 v[176:179], v1 offset:1216
	v_fma_f64 v[186:187], v[186:187], v[30:31], v[192:193]
	v_fma_f64 v[184:185], v[184:185], v[30:31], -v[32:33]
	scratch_load_b128 v[30:33], off, off offset:656
	v_add_f64 v[188:189], v[188:189], v[196:197]
	v_add_f64 v[190:191], v[190:191], v[194:195]
	v_fma_f64 v[196:197], v[4:5], v[38:39], v[198:199]
	v_fma_f64 v[198:199], v[2:3], v[38:39], -v[40:41]
	scratch_load_b128 v[38:41], off, off offset:672
	ds_load_b128 v[2:5], v1 offset:1232
	s_waitcnt vmcnt(9) lgkmcnt(1)
	v_mul_f64 v[192:193], v[176:177], v[182:183]
	v_mul_f64 v[194:195], v[178:179], v[182:183]
	v_add_f64 v[188:189], v[188:189], v[184:185]
	v_add_f64 v[186:187], v[190:191], v[186:187]
	ds_load_b128 v[182:185], v1 offset:1248
	v_fma_f64 v[178:179], v[178:179], v[180:181], v[192:193]
	v_fma_f64 v[176:177], v[176:177], v[180:181], -v[194:195]
	s_waitcnt vmcnt(8) lgkmcnt(1)
	v_mul_f64 v[190:191], v[2:3], v[36:37]
	v_mul_f64 v[36:37], v[4:5], v[36:37]
	v_add_f64 v[180:181], v[188:189], v[198:199]
	v_add_f64 v[186:187], v[186:187], v[196:197]
	s_delay_alu instid0(VALU_DEP_4) | instskip(NEXT) | instid1(VALU_DEP_4)
	v_fma_f64 v[190:191], v[4:5], v[34:35], v[190:191]
	v_fma_f64 v[192:193], v[2:3], v[34:35], -v[36:37]
	ds_load_b128 v[2:5], v1 offset:1264
	ds_load_b128 v[34:37], v1 offset:1280
	s_waitcnt vmcnt(7) lgkmcnt(2)
	v_mul_f64 v[188:189], v[182:183], v[8:9]
	v_mul_f64 v[8:9], v[184:185], v[8:9]
	v_add_f64 v[176:177], v[180:181], v[176:177]
	v_add_f64 v[178:179], v[186:187], v[178:179]
	s_waitcnt vmcnt(6) lgkmcnt(1)
	v_mul_f64 v[180:181], v[2:3], v[12:13]
	v_mul_f64 v[12:13], v[4:5], v[12:13]
	v_fma_f64 v[184:185], v[184:185], v[6:7], v[188:189]
	v_fma_f64 v[6:7], v[182:183], v[6:7], -v[8:9]
	v_add_f64 v[8:9], v[176:177], v[192:193]
	v_add_f64 v[176:177], v[178:179], v[190:191]
	s_waitcnt vmcnt(5) lgkmcnt(0)
	v_mul_f64 v[178:179], v[34:35], v[16:17]
	v_mul_f64 v[16:17], v[36:37], v[16:17]
	v_fma_f64 v[180:181], v[4:5], v[10:11], v[180:181]
	v_fma_f64 v[10:11], v[2:3], v[10:11], -v[12:13]
	v_add_f64 v[12:13], v[8:9], v[6:7]
	v_add_f64 v[176:177], v[176:177], v[184:185]
	ds_load_b128 v[2:5], v1 offset:1296
	ds_load_b128 v[6:9], v1 offset:1312
	v_fma_f64 v[36:37], v[36:37], v[14:15], v[178:179]
	v_fma_f64 v[14:15], v[34:35], v[14:15], -v[16:17]
	s_waitcnt vmcnt(4) lgkmcnt(1)
	v_mul_f64 v[182:183], v[2:3], v[20:21]
	v_mul_f64 v[20:21], v[4:5], v[20:21]
	s_waitcnt vmcnt(3) lgkmcnt(0)
	v_mul_f64 v[16:17], v[6:7], v[24:25]
	v_mul_f64 v[24:25], v[8:9], v[24:25]
	v_add_f64 v[10:11], v[12:13], v[10:11]
	v_add_f64 v[12:13], v[176:177], v[180:181]
	v_fma_f64 v[34:35], v[4:5], v[18:19], v[182:183]
	v_fma_f64 v[18:19], v[2:3], v[18:19], -v[20:21]
	v_fma_f64 v[8:9], v[8:9], v[22:23], v[16:17]
	v_fma_f64 v[6:7], v[6:7], v[22:23], -v[24:25]
	v_add_f64 v[14:15], v[10:11], v[14:15]
	v_add_f64 v[20:21], v[12:13], v[36:37]
	ds_load_b128 v[2:5], v1 offset:1328
	ds_load_b128 v[10:13], v1 offset:1344
	s_waitcnt vmcnt(2) lgkmcnt(1)
	v_mul_f64 v[36:37], v[2:3], v[28:29]
	v_mul_f64 v[28:29], v[4:5], v[28:29]
	v_add_f64 v[14:15], v[14:15], v[18:19]
	v_add_f64 v[16:17], v[20:21], v[34:35]
	s_waitcnt vmcnt(1) lgkmcnt(0)
	v_mul_f64 v[18:19], v[10:11], v[32:33]
	v_mul_f64 v[20:21], v[12:13], v[32:33]
	v_fma_f64 v[22:23], v[4:5], v[26:27], v[36:37]
	v_fma_f64 v[24:25], v[2:3], v[26:27], -v[28:29]
	ds_load_b128 v[2:5], v1 offset:1360
	v_add_f64 v[6:7], v[14:15], v[6:7]
	v_add_f64 v[8:9], v[16:17], v[8:9]
	v_fma_f64 v[12:13], v[12:13], v[30:31], v[18:19]
	v_fma_f64 v[10:11], v[10:11], v[30:31], -v[20:21]
	s_waitcnt vmcnt(0) lgkmcnt(0)
	v_mul_f64 v[14:15], v[2:3], v[40:41]
	v_mul_f64 v[16:17], v[4:5], v[40:41]
	v_add_f64 v[6:7], v[6:7], v[24:25]
	v_add_f64 v[8:9], v[8:9], v[22:23]
	s_delay_alu instid0(VALU_DEP_4) | instskip(NEXT) | instid1(VALU_DEP_4)
	v_fma_f64 v[4:5], v[4:5], v[38:39], v[14:15]
	v_fma_f64 v[2:3], v[2:3], v[38:39], -v[16:17]
	s_delay_alu instid0(VALU_DEP_4) | instskip(NEXT) | instid1(VALU_DEP_4)
	v_add_f64 v[6:7], v[6:7], v[10:11]
	v_add_f64 v[8:9], v[8:9], v[12:13]
	s_delay_alu instid0(VALU_DEP_2) | instskip(NEXT) | instid1(VALU_DEP_2)
	v_add_f64 v[2:3], v[6:7], v[2:3]
	v_add_f64 v[4:5], v[8:9], v[4:5]
	s_delay_alu instid0(VALU_DEP_2) | instskip(NEXT) | instid1(VALU_DEP_2)
	v_add_f64 v[2:3], v[42:43], -v[2:3]
	v_add_f64 v[4:5], v[44:45], -v[4:5]
	scratch_store_b128 off, v[2:5], off offset:368
	v_cmpx_lt_u32_e32 22, v132
	s_cbranch_execz .LBB106_227
; %bb.226:
	scratch_load_b128 v[5:8], v151, off
	v_mov_b32_e32 v2, v1
	v_mov_b32_e32 v3, v1
	;; [unrolled: 1-line block ×3, first 2 shown]
	scratch_store_b128 off, v[1:4], off offset:352
	s_waitcnt vmcnt(0)
	ds_store_b128 v175, v[5:8]
.LBB106_227:
	s_or_b32 exec_lo, exec_lo, s2
	s_waitcnt lgkmcnt(0)
	s_waitcnt_vscnt null, 0x0
	s_barrier
	buffer_gl0_inv
	s_clause 0x8
	scratch_load_b128 v[2:5], off, off offset:368
	scratch_load_b128 v[6:9], off, off offset:384
	;; [unrolled: 1-line block ×9, first 2 shown]
	ds_load_b128 v[38:41], v1 offset:1056
	ds_load_b128 v[42:45], v1 offset:1072
	s_clause 0x1
	scratch_load_b128 v[176:179], off, off offset:352
	scratch_load_b128 v[180:183], off, off offset:512
	s_mov_b32 s2, exec_lo
	s_waitcnt vmcnt(10) lgkmcnt(1)
	v_mul_f64 v[184:185], v[40:41], v[4:5]
	v_mul_f64 v[4:5], v[38:39], v[4:5]
	s_waitcnt vmcnt(9) lgkmcnt(0)
	v_mul_f64 v[188:189], v[42:43], v[8:9]
	v_mul_f64 v[8:9], v[44:45], v[8:9]
	s_delay_alu instid0(VALU_DEP_4) | instskip(NEXT) | instid1(VALU_DEP_4)
	v_fma_f64 v[190:191], v[38:39], v[2:3], -v[184:185]
	v_fma_f64 v[192:193], v[40:41], v[2:3], v[4:5]
	ds_load_b128 v[2:5], v1 offset:1088
	ds_load_b128 v[184:187], v1 offset:1104
	scratch_load_b128 v[38:41], off, off offset:528
	v_fma_f64 v[44:45], v[44:45], v[6:7], v[188:189]
	v_fma_f64 v[42:43], v[42:43], v[6:7], -v[8:9]
	scratch_load_b128 v[6:9], off, off offset:544
	s_waitcnt vmcnt(10) lgkmcnt(1)
	v_mul_f64 v[194:195], v[2:3], v[12:13]
	v_mul_f64 v[12:13], v[4:5], v[12:13]
	v_add_f64 v[188:189], v[190:191], 0
	v_add_f64 v[190:191], v[192:193], 0
	s_waitcnt vmcnt(9) lgkmcnt(0)
	v_mul_f64 v[192:193], v[184:185], v[16:17]
	v_mul_f64 v[16:17], v[186:187], v[16:17]
	v_fma_f64 v[194:195], v[4:5], v[10:11], v[194:195]
	v_fma_f64 v[196:197], v[2:3], v[10:11], -v[12:13]
	ds_load_b128 v[2:5], v1 offset:1120
	scratch_load_b128 v[10:13], off, off offset:560
	v_add_f64 v[188:189], v[188:189], v[42:43]
	v_add_f64 v[190:191], v[190:191], v[44:45]
	ds_load_b128 v[42:45], v1 offset:1136
	v_fma_f64 v[186:187], v[186:187], v[14:15], v[192:193]
	v_fma_f64 v[184:185], v[184:185], v[14:15], -v[16:17]
	scratch_load_b128 v[14:17], off, off offset:576
	s_waitcnt vmcnt(10) lgkmcnt(1)
	v_mul_f64 v[198:199], v[2:3], v[20:21]
	v_mul_f64 v[20:21], v[4:5], v[20:21]
	s_waitcnt vmcnt(9) lgkmcnt(0)
	v_mul_f64 v[192:193], v[42:43], v[24:25]
	v_mul_f64 v[24:25], v[44:45], v[24:25]
	v_add_f64 v[188:189], v[188:189], v[196:197]
	v_add_f64 v[190:191], v[190:191], v[194:195]
	v_fma_f64 v[194:195], v[4:5], v[18:19], v[198:199]
	v_fma_f64 v[196:197], v[2:3], v[18:19], -v[20:21]
	ds_load_b128 v[2:5], v1 offset:1152
	scratch_load_b128 v[18:21], off, off offset:592
	v_fma_f64 v[44:45], v[44:45], v[22:23], v[192:193]
	v_fma_f64 v[42:43], v[42:43], v[22:23], -v[24:25]
	scratch_load_b128 v[22:25], off, off offset:608
	v_add_f64 v[188:189], v[188:189], v[184:185]
	v_add_f64 v[190:191], v[190:191], v[186:187]
	ds_load_b128 v[184:187], v1 offset:1168
	s_waitcnt vmcnt(10) lgkmcnt(1)
	v_mul_f64 v[198:199], v[2:3], v[28:29]
	v_mul_f64 v[28:29], v[4:5], v[28:29]
	s_waitcnt vmcnt(9) lgkmcnt(0)
	v_mul_f64 v[192:193], v[184:185], v[32:33]
	v_mul_f64 v[32:33], v[186:187], v[32:33]
	v_add_f64 v[188:189], v[188:189], v[196:197]
	v_add_f64 v[190:191], v[190:191], v[194:195]
	v_fma_f64 v[194:195], v[4:5], v[26:27], v[198:199]
	v_fma_f64 v[196:197], v[2:3], v[26:27], -v[28:29]
	ds_load_b128 v[2:5], v1 offset:1184
	scratch_load_b128 v[26:29], off, off offset:624
	v_fma_f64 v[186:187], v[186:187], v[30:31], v[192:193]
	v_fma_f64 v[184:185], v[184:185], v[30:31], -v[32:33]
	scratch_load_b128 v[30:33], off, off offset:640
	v_add_f64 v[188:189], v[188:189], v[42:43]
	v_add_f64 v[190:191], v[190:191], v[44:45]
	ds_load_b128 v[42:45], v1 offset:1200
	s_waitcnt vmcnt(10) lgkmcnt(1)
	v_mul_f64 v[198:199], v[2:3], v[36:37]
	v_mul_f64 v[36:37], v[4:5], v[36:37]
	s_waitcnt vmcnt(8) lgkmcnt(0)
	v_mul_f64 v[192:193], v[42:43], v[182:183]
	v_add_f64 v[188:189], v[188:189], v[196:197]
	v_add_f64 v[190:191], v[190:191], v[194:195]
	v_mul_f64 v[194:195], v[44:45], v[182:183]
	v_fma_f64 v[196:197], v[4:5], v[34:35], v[198:199]
	v_fma_f64 v[198:199], v[2:3], v[34:35], -v[36:37]
	ds_load_b128 v[2:5], v1 offset:1216
	scratch_load_b128 v[34:37], off, off offset:656
	v_fma_f64 v[44:45], v[44:45], v[180:181], v[192:193]
	v_add_f64 v[188:189], v[188:189], v[184:185]
	v_add_f64 v[186:187], v[190:191], v[186:187]
	ds_load_b128 v[182:185], v1 offset:1232
	v_fma_f64 v[180:181], v[42:43], v[180:181], -v[194:195]
	s_waitcnt vmcnt(8) lgkmcnt(1)
	v_mul_f64 v[190:191], v[2:3], v[40:41]
	v_mul_f64 v[200:201], v[4:5], v[40:41]
	scratch_load_b128 v[40:43], off, off offset:672
	s_waitcnt vmcnt(8) lgkmcnt(0)
	v_mul_f64 v[192:193], v[182:183], v[8:9]
	v_mul_f64 v[8:9], v[184:185], v[8:9]
	v_add_f64 v[188:189], v[188:189], v[198:199]
	v_add_f64 v[186:187], v[186:187], v[196:197]
	v_fma_f64 v[190:191], v[4:5], v[38:39], v[190:191]
	v_fma_f64 v[38:39], v[2:3], v[38:39], -v[200:201]
	v_fma_f64 v[184:185], v[184:185], v[6:7], v[192:193]
	v_fma_f64 v[6:7], v[182:183], v[6:7], -v[8:9]
	v_add_f64 v[180:181], v[188:189], v[180:181]
	v_add_f64 v[44:45], v[186:187], v[44:45]
	ds_load_b128 v[2:5], v1 offset:1248
	ds_load_b128 v[186:189], v1 offset:1264
	s_waitcnt vmcnt(7) lgkmcnt(1)
	v_mul_f64 v[194:195], v[2:3], v[12:13]
	v_mul_f64 v[12:13], v[4:5], v[12:13]
	v_add_f64 v[8:9], v[180:181], v[38:39]
	v_add_f64 v[38:39], v[44:45], v[190:191]
	s_waitcnt vmcnt(6) lgkmcnt(0)
	v_mul_f64 v[44:45], v[186:187], v[16:17]
	v_mul_f64 v[16:17], v[188:189], v[16:17]
	v_fma_f64 v[180:181], v[4:5], v[10:11], v[194:195]
	v_fma_f64 v[10:11], v[2:3], v[10:11], -v[12:13]
	v_add_f64 v[12:13], v[8:9], v[6:7]
	v_add_f64 v[38:39], v[38:39], v[184:185]
	ds_load_b128 v[2:5], v1 offset:1280
	ds_load_b128 v[6:9], v1 offset:1296
	v_fma_f64 v[44:45], v[188:189], v[14:15], v[44:45]
	v_fma_f64 v[14:15], v[186:187], v[14:15], -v[16:17]
	s_waitcnt vmcnt(5) lgkmcnt(1)
	v_mul_f64 v[182:183], v[2:3], v[20:21]
	v_mul_f64 v[20:21], v[4:5], v[20:21]
	s_waitcnt vmcnt(4) lgkmcnt(0)
	v_mul_f64 v[16:17], v[6:7], v[24:25]
	v_mul_f64 v[24:25], v[8:9], v[24:25]
	v_add_f64 v[10:11], v[12:13], v[10:11]
	v_add_f64 v[12:13], v[38:39], v[180:181]
	v_fma_f64 v[38:39], v[4:5], v[18:19], v[182:183]
	v_fma_f64 v[18:19], v[2:3], v[18:19], -v[20:21]
	v_fma_f64 v[8:9], v[8:9], v[22:23], v[16:17]
	v_fma_f64 v[6:7], v[6:7], v[22:23], -v[24:25]
	v_add_f64 v[14:15], v[10:11], v[14:15]
	v_add_f64 v[20:21], v[12:13], v[44:45]
	ds_load_b128 v[2:5], v1 offset:1312
	ds_load_b128 v[10:13], v1 offset:1328
	s_waitcnt vmcnt(3) lgkmcnt(1)
	v_mul_f64 v[44:45], v[2:3], v[28:29]
	v_mul_f64 v[28:29], v[4:5], v[28:29]
	v_add_f64 v[14:15], v[14:15], v[18:19]
	v_add_f64 v[16:17], v[20:21], v[38:39]
	s_waitcnt vmcnt(2) lgkmcnt(0)
	v_mul_f64 v[18:19], v[10:11], v[32:33]
	v_mul_f64 v[20:21], v[12:13], v[32:33]
	v_fma_f64 v[22:23], v[4:5], v[26:27], v[44:45]
	v_fma_f64 v[24:25], v[2:3], v[26:27], -v[28:29]
	v_add_f64 v[14:15], v[14:15], v[6:7]
	v_add_f64 v[16:17], v[16:17], v[8:9]
	ds_load_b128 v[2:5], v1 offset:1344
	ds_load_b128 v[6:9], v1 offset:1360
	v_fma_f64 v[12:13], v[12:13], v[30:31], v[18:19]
	v_fma_f64 v[10:11], v[10:11], v[30:31], -v[20:21]
	s_waitcnt vmcnt(1) lgkmcnt(1)
	v_mul_f64 v[26:27], v[2:3], v[36:37]
	v_mul_f64 v[28:29], v[4:5], v[36:37]
	s_waitcnt vmcnt(0) lgkmcnt(0)
	v_mul_f64 v[18:19], v[6:7], v[42:43]
	v_add_f64 v[14:15], v[14:15], v[24:25]
	v_add_f64 v[16:17], v[16:17], v[22:23]
	v_mul_f64 v[20:21], v[8:9], v[42:43]
	v_fma_f64 v[4:5], v[4:5], v[34:35], v[26:27]
	v_fma_f64 v[1:2], v[2:3], v[34:35], -v[28:29]
	v_fma_f64 v[8:9], v[8:9], v[40:41], v[18:19]
	v_add_f64 v[10:11], v[14:15], v[10:11]
	v_add_f64 v[12:13], v[16:17], v[12:13]
	v_fma_f64 v[6:7], v[6:7], v[40:41], -v[20:21]
	s_delay_alu instid0(VALU_DEP_3) | instskip(NEXT) | instid1(VALU_DEP_3)
	v_add_f64 v[1:2], v[10:11], v[1:2]
	v_add_f64 v[3:4], v[12:13], v[4:5]
	s_delay_alu instid0(VALU_DEP_2) | instskip(NEXT) | instid1(VALU_DEP_2)
	v_add_f64 v[1:2], v[1:2], v[6:7]
	v_add_f64 v[3:4], v[3:4], v[8:9]
	s_delay_alu instid0(VALU_DEP_2) | instskip(NEXT) | instid1(VALU_DEP_2)
	v_add_f64 v[1:2], v[176:177], -v[1:2]
	v_add_f64 v[3:4], v[178:179], -v[3:4]
	scratch_store_b128 off, v[1:4], off offset:352
	v_cmpx_lt_u32_e32 21, v132
	s_cbranch_execz .LBB106_229
; %bb.228:
	scratch_load_b128 v[1:4], v153, off
	v_mov_b32_e32 v5, 0
	s_delay_alu instid0(VALU_DEP_1)
	v_mov_b32_e32 v6, v5
	v_mov_b32_e32 v7, v5
	;; [unrolled: 1-line block ×3, first 2 shown]
	scratch_store_b128 off, v[5:8], off offset:336
	s_waitcnt vmcnt(0)
	ds_store_b128 v175, v[1:4]
.LBB106_229:
	s_or_b32 exec_lo, exec_lo, s2
	s_waitcnt lgkmcnt(0)
	s_waitcnt_vscnt null, 0x0
	s_barrier
	buffer_gl0_inv
	s_clause 0x7
	scratch_load_b128 v[2:5], off, off offset:352
	scratch_load_b128 v[6:9], off, off offset:368
	;; [unrolled: 1-line block ×8, first 2 shown]
	v_mov_b32_e32 v1, 0
	s_mov_b32 s2, exec_lo
	ds_load_b128 v[34:37], v1 offset:1040
	s_clause 0x1
	scratch_load_b128 v[38:41], off, off offset:480
	scratch_load_b128 v[42:45], off, off offset:336
	ds_load_b128 v[176:179], v1 offset:1056
	scratch_load_b128 v[180:183], off, off offset:496
	s_waitcnt vmcnt(10) lgkmcnt(1)
	v_mul_f64 v[184:185], v[36:37], v[4:5]
	v_mul_f64 v[4:5], v[34:35], v[4:5]
	s_delay_alu instid0(VALU_DEP_2) | instskip(NEXT) | instid1(VALU_DEP_2)
	v_fma_f64 v[190:191], v[34:35], v[2:3], -v[184:185]
	v_fma_f64 v[192:193], v[36:37], v[2:3], v[4:5]
	scratch_load_b128 v[34:37], off, off offset:512
	ds_load_b128 v[2:5], v1 offset:1072
	s_waitcnt vmcnt(10) lgkmcnt(1)
	v_mul_f64 v[188:189], v[176:177], v[8:9]
	v_mul_f64 v[8:9], v[178:179], v[8:9]
	ds_load_b128 v[184:187], v1 offset:1088
	s_waitcnt vmcnt(9) lgkmcnt(1)
	v_mul_f64 v[194:195], v[2:3], v[12:13]
	v_mul_f64 v[12:13], v[4:5], v[12:13]
	v_fma_f64 v[178:179], v[178:179], v[6:7], v[188:189]
	v_fma_f64 v[176:177], v[176:177], v[6:7], -v[8:9]
	v_add_f64 v[188:189], v[190:191], 0
	v_add_f64 v[190:191], v[192:193], 0
	scratch_load_b128 v[6:9], off, off offset:528
	v_fma_f64 v[194:195], v[4:5], v[10:11], v[194:195]
	v_fma_f64 v[196:197], v[2:3], v[10:11], -v[12:13]
	scratch_load_b128 v[10:13], off, off offset:544
	ds_load_b128 v[2:5], v1 offset:1104
	s_waitcnt vmcnt(10) lgkmcnt(1)
	v_mul_f64 v[192:193], v[184:185], v[16:17]
	v_mul_f64 v[16:17], v[186:187], v[16:17]
	v_add_f64 v[188:189], v[188:189], v[176:177]
	v_add_f64 v[190:191], v[190:191], v[178:179]
	s_waitcnt vmcnt(9) lgkmcnt(0)
	v_mul_f64 v[198:199], v[2:3], v[20:21]
	v_mul_f64 v[20:21], v[4:5], v[20:21]
	ds_load_b128 v[176:179], v1 offset:1120
	v_fma_f64 v[186:187], v[186:187], v[14:15], v[192:193]
	v_fma_f64 v[184:185], v[184:185], v[14:15], -v[16:17]
	scratch_load_b128 v[14:17], off, off offset:560
	v_add_f64 v[188:189], v[188:189], v[196:197]
	v_add_f64 v[190:191], v[190:191], v[194:195]
	v_fma_f64 v[194:195], v[4:5], v[18:19], v[198:199]
	v_fma_f64 v[196:197], v[2:3], v[18:19], -v[20:21]
	scratch_load_b128 v[18:21], off, off offset:576
	ds_load_b128 v[2:5], v1 offset:1136
	s_waitcnt vmcnt(10) lgkmcnt(1)
	v_mul_f64 v[192:193], v[176:177], v[24:25]
	v_mul_f64 v[24:25], v[178:179], v[24:25]
	s_waitcnt vmcnt(9) lgkmcnt(0)
	v_mul_f64 v[198:199], v[2:3], v[28:29]
	v_mul_f64 v[28:29], v[4:5], v[28:29]
	v_add_f64 v[188:189], v[188:189], v[184:185]
	v_add_f64 v[190:191], v[190:191], v[186:187]
	ds_load_b128 v[184:187], v1 offset:1152
	v_fma_f64 v[178:179], v[178:179], v[22:23], v[192:193]
	v_fma_f64 v[176:177], v[176:177], v[22:23], -v[24:25]
	scratch_load_b128 v[22:25], off, off offset:592
	v_add_f64 v[188:189], v[188:189], v[196:197]
	v_add_f64 v[190:191], v[190:191], v[194:195]
	v_fma_f64 v[194:195], v[4:5], v[26:27], v[198:199]
	v_fma_f64 v[196:197], v[2:3], v[26:27], -v[28:29]
	scratch_load_b128 v[26:29], off, off offset:608
	ds_load_b128 v[2:5], v1 offset:1168
	s_waitcnt vmcnt(10) lgkmcnt(1)
	v_mul_f64 v[192:193], v[184:185], v[32:33]
	v_mul_f64 v[32:33], v[186:187], v[32:33]
	s_waitcnt vmcnt(9) lgkmcnt(0)
	v_mul_f64 v[198:199], v[2:3], v[40:41]
	v_mul_f64 v[40:41], v[4:5], v[40:41]
	v_add_f64 v[188:189], v[188:189], v[176:177]
	v_add_f64 v[190:191], v[190:191], v[178:179]
	ds_load_b128 v[176:179], v1 offset:1184
	v_fma_f64 v[186:187], v[186:187], v[30:31], v[192:193]
	v_fma_f64 v[184:185], v[184:185], v[30:31], -v[32:33]
	scratch_load_b128 v[30:33], off, off offset:624
	v_add_f64 v[188:189], v[188:189], v[196:197]
	v_add_f64 v[190:191], v[190:191], v[194:195]
	v_fma_f64 v[196:197], v[4:5], v[38:39], v[198:199]
	v_fma_f64 v[198:199], v[2:3], v[38:39], -v[40:41]
	scratch_load_b128 v[38:41], off, off offset:640
	ds_load_b128 v[2:5], v1 offset:1200
	s_waitcnt vmcnt(9) lgkmcnt(1)
	v_mul_f64 v[192:193], v[176:177], v[182:183]
	v_mul_f64 v[194:195], v[178:179], v[182:183]
	v_add_f64 v[188:189], v[188:189], v[184:185]
	v_add_f64 v[186:187], v[190:191], v[186:187]
	ds_load_b128 v[182:185], v1 offset:1216
	v_fma_f64 v[192:193], v[178:179], v[180:181], v[192:193]
	v_fma_f64 v[180:181], v[176:177], v[180:181], -v[194:195]
	scratch_load_b128 v[176:179], off, off offset:656
	s_waitcnt vmcnt(9) lgkmcnt(1)
	v_mul_f64 v[190:191], v[2:3], v[36:37]
	v_mul_f64 v[36:37], v[4:5], v[36:37]
	v_add_f64 v[188:189], v[188:189], v[198:199]
	v_add_f64 v[186:187], v[186:187], v[196:197]
	s_delay_alu instid0(VALU_DEP_4) | instskip(NEXT) | instid1(VALU_DEP_4)
	v_fma_f64 v[190:191], v[4:5], v[34:35], v[190:191]
	v_fma_f64 v[196:197], v[2:3], v[34:35], -v[36:37]
	scratch_load_b128 v[34:37], off, off offset:672
	ds_load_b128 v[2:5], v1 offset:1232
	s_waitcnt vmcnt(9) lgkmcnt(1)
	v_mul_f64 v[194:195], v[182:183], v[8:9]
	v_mul_f64 v[8:9], v[184:185], v[8:9]
	s_waitcnt vmcnt(8) lgkmcnt(0)
	v_mul_f64 v[198:199], v[2:3], v[12:13]
	v_mul_f64 v[12:13], v[4:5], v[12:13]
	v_add_f64 v[180:181], v[188:189], v[180:181]
	v_add_f64 v[192:193], v[186:187], v[192:193]
	ds_load_b128 v[186:189], v1 offset:1248
	v_fma_f64 v[184:185], v[184:185], v[6:7], v[194:195]
	v_fma_f64 v[6:7], v[182:183], v[6:7], -v[8:9]
	v_add_f64 v[8:9], v[180:181], v[196:197]
	v_add_f64 v[180:181], v[192:193], v[190:191]
	s_waitcnt vmcnt(7) lgkmcnt(0)
	v_mul_f64 v[182:183], v[186:187], v[16:17]
	v_mul_f64 v[16:17], v[188:189], v[16:17]
	v_fma_f64 v[190:191], v[4:5], v[10:11], v[198:199]
	v_fma_f64 v[10:11], v[2:3], v[10:11], -v[12:13]
	v_add_f64 v[12:13], v[8:9], v[6:7]
	v_add_f64 v[180:181], v[180:181], v[184:185]
	ds_load_b128 v[2:5], v1 offset:1264
	ds_load_b128 v[6:9], v1 offset:1280
	v_fma_f64 v[182:183], v[188:189], v[14:15], v[182:183]
	v_fma_f64 v[14:15], v[186:187], v[14:15], -v[16:17]
	s_waitcnt vmcnt(6) lgkmcnt(1)
	v_mul_f64 v[184:185], v[2:3], v[20:21]
	v_mul_f64 v[20:21], v[4:5], v[20:21]
	s_waitcnt vmcnt(5) lgkmcnt(0)
	v_mul_f64 v[16:17], v[6:7], v[24:25]
	v_mul_f64 v[24:25], v[8:9], v[24:25]
	v_add_f64 v[10:11], v[12:13], v[10:11]
	v_add_f64 v[12:13], v[180:181], v[190:191]
	v_fma_f64 v[180:181], v[4:5], v[18:19], v[184:185]
	v_fma_f64 v[18:19], v[2:3], v[18:19], -v[20:21]
	v_fma_f64 v[8:9], v[8:9], v[22:23], v[16:17]
	v_fma_f64 v[6:7], v[6:7], v[22:23], -v[24:25]
	v_add_f64 v[14:15], v[10:11], v[14:15]
	v_add_f64 v[20:21], v[12:13], v[182:183]
	ds_load_b128 v[2:5], v1 offset:1296
	ds_load_b128 v[10:13], v1 offset:1312
	s_waitcnt vmcnt(4) lgkmcnt(1)
	v_mul_f64 v[182:183], v[2:3], v[28:29]
	v_mul_f64 v[28:29], v[4:5], v[28:29]
	v_add_f64 v[14:15], v[14:15], v[18:19]
	v_add_f64 v[16:17], v[20:21], v[180:181]
	s_waitcnt vmcnt(3) lgkmcnt(0)
	v_mul_f64 v[18:19], v[10:11], v[32:33]
	v_mul_f64 v[20:21], v[12:13], v[32:33]
	v_fma_f64 v[22:23], v[4:5], v[26:27], v[182:183]
	v_fma_f64 v[24:25], v[2:3], v[26:27], -v[28:29]
	v_add_f64 v[14:15], v[14:15], v[6:7]
	v_add_f64 v[16:17], v[16:17], v[8:9]
	ds_load_b128 v[2:5], v1 offset:1328
	ds_load_b128 v[6:9], v1 offset:1344
	v_fma_f64 v[12:13], v[12:13], v[30:31], v[18:19]
	v_fma_f64 v[10:11], v[10:11], v[30:31], -v[20:21]
	s_waitcnt vmcnt(2) lgkmcnt(1)
	v_mul_f64 v[26:27], v[2:3], v[40:41]
	v_mul_f64 v[28:29], v[4:5], v[40:41]
	s_waitcnt vmcnt(1) lgkmcnt(0)
	v_mul_f64 v[18:19], v[6:7], v[178:179]
	v_mul_f64 v[20:21], v[8:9], v[178:179]
	v_add_f64 v[14:15], v[14:15], v[24:25]
	v_add_f64 v[16:17], v[16:17], v[22:23]
	v_fma_f64 v[22:23], v[4:5], v[38:39], v[26:27]
	v_fma_f64 v[24:25], v[2:3], v[38:39], -v[28:29]
	ds_load_b128 v[2:5], v1 offset:1360
	v_fma_f64 v[8:9], v[8:9], v[176:177], v[18:19]
	v_fma_f64 v[6:7], v[6:7], v[176:177], -v[20:21]
	v_add_f64 v[10:11], v[14:15], v[10:11]
	v_add_f64 v[12:13], v[16:17], v[12:13]
	s_waitcnt vmcnt(0) lgkmcnt(0)
	v_mul_f64 v[14:15], v[2:3], v[36:37]
	v_mul_f64 v[16:17], v[4:5], v[36:37]
	s_delay_alu instid0(VALU_DEP_4) | instskip(NEXT) | instid1(VALU_DEP_4)
	v_add_f64 v[10:11], v[10:11], v[24:25]
	v_add_f64 v[12:13], v[12:13], v[22:23]
	s_delay_alu instid0(VALU_DEP_4) | instskip(NEXT) | instid1(VALU_DEP_4)
	v_fma_f64 v[4:5], v[4:5], v[34:35], v[14:15]
	v_fma_f64 v[2:3], v[2:3], v[34:35], -v[16:17]
	s_delay_alu instid0(VALU_DEP_4) | instskip(NEXT) | instid1(VALU_DEP_4)
	v_add_f64 v[6:7], v[10:11], v[6:7]
	v_add_f64 v[8:9], v[12:13], v[8:9]
	s_delay_alu instid0(VALU_DEP_2) | instskip(NEXT) | instid1(VALU_DEP_2)
	v_add_f64 v[2:3], v[6:7], v[2:3]
	v_add_f64 v[4:5], v[8:9], v[4:5]
	s_delay_alu instid0(VALU_DEP_2) | instskip(NEXT) | instid1(VALU_DEP_2)
	v_add_f64 v[2:3], v[42:43], -v[2:3]
	v_add_f64 v[4:5], v[44:45], -v[4:5]
	scratch_store_b128 off, v[2:5], off offset:336
	v_cmpx_lt_u32_e32 20, v132
	s_cbranch_execz .LBB106_231
; %bb.230:
	scratch_load_b128 v[5:8], v154, off
	v_mov_b32_e32 v2, v1
	v_mov_b32_e32 v3, v1
	;; [unrolled: 1-line block ×3, first 2 shown]
	scratch_store_b128 off, v[1:4], off offset:320
	s_waitcnt vmcnt(0)
	ds_store_b128 v175, v[5:8]
.LBB106_231:
	s_or_b32 exec_lo, exec_lo, s2
	s_waitcnt lgkmcnt(0)
	s_waitcnt_vscnt null, 0x0
	s_barrier
	buffer_gl0_inv
	s_clause 0x8
	scratch_load_b128 v[2:5], off, off offset:336
	scratch_load_b128 v[6:9], off, off offset:352
	;; [unrolled: 1-line block ×9, first 2 shown]
	ds_load_b128 v[38:41], v1 offset:1024
	ds_load_b128 v[42:45], v1 offset:1040
	s_clause 0x1
	scratch_load_b128 v[176:179], off, off offset:320
	scratch_load_b128 v[180:183], off, off offset:480
	s_mov_b32 s2, exec_lo
	s_waitcnt vmcnt(10) lgkmcnt(1)
	v_mul_f64 v[184:185], v[40:41], v[4:5]
	v_mul_f64 v[4:5], v[38:39], v[4:5]
	s_waitcnt vmcnt(9) lgkmcnt(0)
	v_mul_f64 v[188:189], v[42:43], v[8:9]
	v_mul_f64 v[8:9], v[44:45], v[8:9]
	s_delay_alu instid0(VALU_DEP_4) | instskip(NEXT) | instid1(VALU_DEP_4)
	v_fma_f64 v[190:191], v[38:39], v[2:3], -v[184:185]
	v_fma_f64 v[192:193], v[40:41], v[2:3], v[4:5]
	ds_load_b128 v[2:5], v1 offset:1056
	ds_load_b128 v[184:187], v1 offset:1072
	scratch_load_b128 v[38:41], off, off offset:496
	v_fma_f64 v[44:45], v[44:45], v[6:7], v[188:189]
	v_fma_f64 v[42:43], v[42:43], v[6:7], -v[8:9]
	scratch_load_b128 v[6:9], off, off offset:512
	s_waitcnt vmcnt(10) lgkmcnt(1)
	v_mul_f64 v[194:195], v[2:3], v[12:13]
	v_mul_f64 v[12:13], v[4:5], v[12:13]
	v_add_f64 v[188:189], v[190:191], 0
	v_add_f64 v[190:191], v[192:193], 0
	s_waitcnt vmcnt(9) lgkmcnt(0)
	v_mul_f64 v[192:193], v[184:185], v[16:17]
	v_mul_f64 v[16:17], v[186:187], v[16:17]
	v_fma_f64 v[194:195], v[4:5], v[10:11], v[194:195]
	v_fma_f64 v[196:197], v[2:3], v[10:11], -v[12:13]
	ds_load_b128 v[2:5], v1 offset:1088
	scratch_load_b128 v[10:13], off, off offset:528
	v_add_f64 v[188:189], v[188:189], v[42:43]
	v_add_f64 v[190:191], v[190:191], v[44:45]
	ds_load_b128 v[42:45], v1 offset:1104
	v_fma_f64 v[186:187], v[186:187], v[14:15], v[192:193]
	v_fma_f64 v[184:185], v[184:185], v[14:15], -v[16:17]
	scratch_load_b128 v[14:17], off, off offset:544
	s_waitcnt vmcnt(10) lgkmcnt(1)
	v_mul_f64 v[198:199], v[2:3], v[20:21]
	v_mul_f64 v[20:21], v[4:5], v[20:21]
	s_waitcnt vmcnt(9) lgkmcnt(0)
	v_mul_f64 v[192:193], v[42:43], v[24:25]
	v_mul_f64 v[24:25], v[44:45], v[24:25]
	v_add_f64 v[188:189], v[188:189], v[196:197]
	v_add_f64 v[190:191], v[190:191], v[194:195]
	v_fma_f64 v[194:195], v[4:5], v[18:19], v[198:199]
	v_fma_f64 v[196:197], v[2:3], v[18:19], -v[20:21]
	ds_load_b128 v[2:5], v1 offset:1120
	scratch_load_b128 v[18:21], off, off offset:560
	v_fma_f64 v[44:45], v[44:45], v[22:23], v[192:193]
	v_fma_f64 v[42:43], v[42:43], v[22:23], -v[24:25]
	scratch_load_b128 v[22:25], off, off offset:576
	v_add_f64 v[188:189], v[188:189], v[184:185]
	v_add_f64 v[190:191], v[190:191], v[186:187]
	ds_load_b128 v[184:187], v1 offset:1136
	s_waitcnt vmcnt(10) lgkmcnt(1)
	v_mul_f64 v[198:199], v[2:3], v[28:29]
	v_mul_f64 v[28:29], v[4:5], v[28:29]
	s_waitcnt vmcnt(9) lgkmcnt(0)
	v_mul_f64 v[192:193], v[184:185], v[32:33]
	v_mul_f64 v[32:33], v[186:187], v[32:33]
	v_add_f64 v[188:189], v[188:189], v[196:197]
	v_add_f64 v[190:191], v[190:191], v[194:195]
	v_fma_f64 v[194:195], v[4:5], v[26:27], v[198:199]
	v_fma_f64 v[196:197], v[2:3], v[26:27], -v[28:29]
	ds_load_b128 v[2:5], v1 offset:1152
	scratch_load_b128 v[26:29], off, off offset:592
	v_fma_f64 v[186:187], v[186:187], v[30:31], v[192:193]
	v_fma_f64 v[184:185], v[184:185], v[30:31], -v[32:33]
	scratch_load_b128 v[30:33], off, off offset:608
	v_add_f64 v[188:189], v[188:189], v[42:43]
	v_add_f64 v[190:191], v[190:191], v[44:45]
	ds_load_b128 v[42:45], v1 offset:1168
	s_waitcnt vmcnt(10) lgkmcnt(1)
	v_mul_f64 v[198:199], v[2:3], v[36:37]
	v_mul_f64 v[36:37], v[4:5], v[36:37]
	s_waitcnt vmcnt(8) lgkmcnt(0)
	v_mul_f64 v[192:193], v[42:43], v[182:183]
	v_add_f64 v[188:189], v[188:189], v[196:197]
	v_add_f64 v[190:191], v[190:191], v[194:195]
	v_mul_f64 v[194:195], v[44:45], v[182:183]
	v_fma_f64 v[196:197], v[4:5], v[34:35], v[198:199]
	v_fma_f64 v[198:199], v[2:3], v[34:35], -v[36:37]
	ds_load_b128 v[2:5], v1 offset:1184
	scratch_load_b128 v[34:37], off, off offset:624
	v_fma_f64 v[44:45], v[44:45], v[180:181], v[192:193]
	v_add_f64 v[188:189], v[188:189], v[184:185]
	v_add_f64 v[186:187], v[190:191], v[186:187]
	ds_load_b128 v[182:185], v1 offset:1200
	v_fma_f64 v[180:181], v[42:43], v[180:181], -v[194:195]
	s_waitcnt vmcnt(8) lgkmcnt(1)
	v_mul_f64 v[190:191], v[2:3], v[40:41]
	v_mul_f64 v[200:201], v[4:5], v[40:41]
	scratch_load_b128 v[40:43], off, off offset:640
	s_waitcnt vmcnt(8) lgkmcnt(0)
	v_mul_f64 v[194:195], v[182:183], v[8:9]
	v_mul_f64 v[8:9], v[184:185], v[8:9]
	v_add_f64 v[188:189], v[188:189], v[198:199]
	v_add_f64 v[186:187], v[186:187], v[196:197]
	v_fma_f64 v[196:197], v[4:5], v[38:39], v[190:191]
	v_fma_f64 v[38:39], v[2:3], v[38:39], -v[200:201]
	ds_load_b128 v[2:5], v1 offset:1216
	ds_load_b128 v[190:193], v1 offset:1232
	v_fma_f64 v[184:185], v[184:185], v[6:7], v[194:195]
	v_fma_f64 v[182:183], v[182:183], v[6:7], -v[8:9]
	scratch_load_b128 v[6:9], off, off offset:672
	v_add_f64 v[180:181], v[188:189], v[180:181]
	v_add_f64 v[44:45], v[186:187], v[44:45]
	scratch_load_b128 v[186:189], off, off offset:656
	s_waitcnt vmcnt(9) lgkmcnt(1)
	v_mul_f64 v[198:199], v[2:3], v[12:13]
	v_mul_f64 v[12:13], v[4:5], v[12:13]
	v_add_f64 v[38:39], v[180:181], v[38:39]
	v_add_f64 v[44:45], v[44:45], v[196:197]
	s_waitcnt vmcnt(8) lgkmcnt(0)
	v_mul_f64 v[180:181], v[190:191], v[16:17]
	v_mul_f64 v[16:17], v[192:193], v[16:17]
	v_fma_f64 v[194:195], v[4:5], v[10:11], v[198:199]
	v_fma_f64 v[196:197], v[2:3], v[10:11], -v[12:13]
	ds_load_b128 v[2:5], v1 offset:1248
	ds_load_b128 v[10:13], v1 offset:1264
	v_add_f64 v[38:39], v[38:39], v[182:183]
	v_add_f64 v[44:45], v[44:45], v[184:185]
	s_waitcnt vmcnt(7) lgkmcnt(1)
	v_mul_f64 v[182:183], v[2:3], v[20:21]
	v_mul_f64 v[20:21], v[4:5], v[20:21]
	v_fma_f64 v[180:181], v[192:193], v[14:15], v[180:181]
	v_fma_f64 v[14:15], v[190:191], v[14:15], -v[16:17]
	v_add_f64 v[16:17], v[38:39], v[196:197]
	v_add_f64 v[38:39], v[44:45], v[194:195]
	s_waitcnt vmcnt(6) lgkmcnt(0)
	v_mul_f64 v[44:45], v[10:11], v[24:25]
	v_mul_f64 v[24:25], v[12:13], v[24:25]
	v_fma_f64 v[182:183], v[4:5], v[18:19], v[182:183]
	v_fma_f64 v[18:19], v[2:3], v[18:19], -v[20:21]
	v_add_f64 v[20:21], v[16:17], v[14:15]
	v_add_f64 v[38:39], v[38:39], v[180:181]
	ds_load_b128 v[2:5], v1 offset:1280
	ds_load_b128 v[14:17], v1 offset:1296
	v_fma_f64 v[12:13], v[12:13], v[22:23], v[44:45]
	v_fma_f64 v[10:11], v[10:11], v[22:23], -v[24:25]
	s_waitcnt vmcnt(5) lgkmcnt(1)
	v_mul_f64 v[180:181], v[2:3], v[28:29]
	v_mul_f64 v[28:29], v[4:5], v[28:29]
	s_waitcnt vmcnt(4) lgkmcnt(0)
	v_mul_f64 v[22:23], v[14:15], v[32:33]
	v_mul_f64 v[24:25], v[16:17], v[32:33]
	v_add_f64 v[18:19], v[20:21], v[18:19]
	v_add_f64 v[20:21], v[38:39], v[182:183]
	v_fma_f64 v[32:33], v[4:5], v[26:27], v[180:181]
	v_fma_f64 v[26:27], v[2:3], v[26:27], -v[28:29]
	v_fma_f64 v[16:17], v[16:17], v[30:31], v[22:23]
	v_fma_f64 v[14:15], v[14:15], v[30:31], -v[24:25]
	v_add_f64 v[18:19], v[18:19], v[10:11]
	v_add_f64 v[20:21], v[20:21], v[12:13]
	ds_load_b128 v[2:5], v1 offset:1312
	ds_load_b128 v[10:13], v1 offset:1328
	s_waitcnt vmcnt(3) lgkmcnt(1)
	v_mul_f64 v[28:29], v[2:3], v[36:37]
	v_mul_f64 v[36:37], v[4:5], v[36:37]
	s_waitcnt vmcnt(2) lgkmcnt(0)
	v_mul_f64 v[22:23], v[10:11], v[42:43]
	v_add_f64 v[18:19], v[18:19], v[26:27]
	v_add_f64 v[20:21], v[20:21], v[32:33]
	v_mul_f64 v[24:25], v[12:13], v[42:43]
	v_fma_f64 v[26:27], v[4:5], v[34:35], v[28:29]
	v_fma_f64 v[28:29], v[2:3], v[34:35], -v[36:37]
	v_fma_f64 v[12:13], v[12:13], v[40:41], v[22:23]
	v_add_f64 v[18:19], v[18:19], v[14:15]
	v_add_f64 v[20:21], v[20:21], v[16:17]
	ds_load_b128 v[2:5], v1 offset:1344
	ds_load_b128 v[14:17], v1 offset:1360
	v_fma_f64 v[10:11], v[10:11], v[40:41], -v[24:25]
	s_waitcnt vmcnt(0) lgkmcnt(1)
	v_mul_f64 v[30:31], v[2:3], v[188:189]
	v_mul_f64 v[32:33], v[4:5], v[188:189]
	s_waitcnt lgkmcnt(0)
	v_mul_f64 v[22:23], v[14:15], v[8:9]
	v_mul_f64 v[8:9], v[16:17], v[8:9]
	v_add_f64 v[18:19], v[18:19], v[28:29]
	v_add_f64 v[20:21], v[20:21], v[26:27]
	v_fma_f64 v[4:5], v[4:5], v[186:187], v[30:31]
	v_fma_f64 v[1:2], v[2:3], v[186:187], -v[32:33]
	v_fma_f64 v[16:17], v[16:17], v[6:7], v[22:23]
	v_fma_f64 v[6:7], v[14:15], v[6:7], -v[8:9]
	v_add_f64 v[10:11], v[18:19], v[10:11]
	v_add_f64 v[12:13], v[20:21], v[12:13]
	s_delay_alu instid0(VALU_DEP_2) | instskip(NEXT) | instid1(VALU_DEP_2)
	v_add_f64 v[1:2], v[10:11], v[1:2]
	v_add_f64 v[3:4], v[12:13], v[4:5]
	s_delay_alu instid0(VALU_DEP_2) | instskip(NEXT) | instid1(VALU_DEP_2)
	;; [unrolled: 3-line block ×3, first 2 shown]
	v_add_f64 v[1:2], v[176:177], -v[1:2]
	v_add_f64 v[3:4], v[178:179], -v[3:4]
	scratch_store_b128 off, v[1:4], off offset:320
	v_cmpx_lt_u32_e32 19, v132
	s_cbranch_execz .LBB106_233
; %bb.232:
	scratch_load_b128 v[1:4], v155, off
	v_mov_b32_e32 v5, 0
	s_delay_alu instid0(VALU_DEP_1)
	v_mov_b32_e32 v6, v5
	v_mov_b32_e32 v7, v5
	;; [unrolled: 1-line block ×3, first 2 shown]
	scratch_store_b128 off, v[5:8], off offset:304
	s_waitcnt vmcnt(0)
	ds_store_b128 v175, v[1:4]
.LBB106_233:
	s_or_b32 exec_lo, exec_lo, s2
	s_waitcnt lgkmcnt(0)
	s_waitcnt_vscnt null, 0x0
	s_barrier
	buffer_gl0_inv
	s_clause 0x7
	scratch_load_b128 v[2:5], off, off offset:320
	scratch_load_b128 v[6:9], off, off offset:336
	;; [unrolled: 1-line block ×8, first 2 shown]
	v_mov_b32_e32 v1, 0
	s_mov_b32 s2, exec_lo
	ds_load_b128 v[34:37], v1 offset:1008
	s_clause 0x1
	scratch_load_b128 v[38:41], off, off offset:448
	scratch_load_b128 v[42:45], off, off offset:304
	ds_load_b128 v[176:179], v1 offset:1024
	scratch_load_b128 v[180:183], off, off offset:464
	s_waitcnt vmcnt(10) lgkmcnt(1)
	v_mul_f64 v[184:185], v[36:37], v[4:5]
	v_mul_f64 v[4:5], v[34:35], v[4:5]
	s_delay_alu instid0(VALU_DEP_2) | instskip(NEXT) | instid1(VALU_DEP_2)
	v_fma_f64 v[190:191], v[34:35], v[2:3], -v[184:185]
	v_fma_f64 v[192:193], v[36:37], v[2:3], v[4:5]
	scratch_load_b128 v[34:37], off, off offset:480
	ds_load_b128 v[2:5], v1 offset:1040
	s_waitcnt vmcnt(10) lgkmcnt(1)
	v_mul_f64 v[188:189], v[176:177], v[8:9]
	v_mul_f64 v[8:9], v[178:179], v[8:9]
	ds_load_b128 v[184:187], v1 offset:1056
	s_waitcnt vmcnt(9) lgkmcnt(1)
	v_mul_f64 v[194:195], v[2:3], v[12:13]
	v_mul_f64 v[12:13], v[4:5], v[12:13]
	v_fma_f64 v[178:179], v[178:179], v[6:7], v[188:189]
	v_fma_f64 v[176:177], v[176:177], v[6:7], -v[8:9]
	v_add_f64 v[188:189], v[190:191], 0
	v_add_f64 v[190:191], v[192:193], 0
	scratch_load_b128 v[6:9], off, off offset:496
	v_fma_f64 v[194:195], v[4:5], v[10:11], v[194:195]
	v_fma_f64 v[196:197], v[2:3], v[10:11], -v[12:13]
	scratch_load_b128 v[10:13], off, off offset:512
	ds_load_b128 v[2:5], v1 offset:1072
	s_waitcnt vmcnt(10) lgkmcnt(1)
	v_mul_f64 v[192:193], v[184:185], v[16:17]
	v_mul_f64 v[16:17], v[186:187], v[16:17]
	v_add_f64 v[188:189], v[188:189], v[176:177]
	v_add_f64 v[190:191], v[190:191], v[178:179]
	s_waitcnt vmcnt(9) lgkmcnt(0)
	v_mul_f64 v[198:199], v[2:3], v[20:21]
	v_mul_f64 v[20:21], v[4:5], v[20:21]
	ds_load_b128 v[176:179], v1 offset:1088
	v_fma_f64 v[186:187], v[186:187], v[14:15], v[192:193]
	v_fma_f64 v[184:185], v[184:185], v[14:15], -v[16:17]
	scratch_load_b128 v[14:17], off, off offset:528
	v_add_f64 v[188:189], v[188:189], v[196:197]
	v_add_f64 v[190:191], v[190:191], v[194:195]
	v_fma_f64 v[194:195], v[4:5], v[18:19], v[198:199]
	v_fma_f64 v[196:197], v[2:3], v[18:19], -v[20:21]
	scratch_load_b128 v[18:21], off, off offset:544
	ds_load_b128 v[2:5], v1 offset:1104
	s_waitcnt vmcnt(10) lgkmcnt(1)
	v_mul_f64 v[192:193], v[176:177], v[24:25]
	v_mul_f64 v[24:25], v[178:179], v[24:25]
	s_waitcnt vmcnt(9) lgkmcnt(0)
	v_mul_f64 v[198:199], v[2:3], v[28:29]
	v_mul_f64 v[28:29], v[4:5], v[28:29]
	v_add_f64 v[188:189], v[188:189], v[184:185]
	v_add_f64 v[190:191], v[190:191], v[186:187]
	ds_load_b128 v[184:187], v1 offset:1120
	v_fma_f64 v[178:179], v[178:179], v[22:23], v[192:193]
	v_fma_f64 v[176:177], v[176:177], v[22:23], -v[24:25]
	scratch_load_b128 v[22:25], off, off offset:560
	v_add_f64 v[188:189], v[188:189], v[196:197]
	v_add_f64 v[190:191], v[190:191], v[194:195]
	v_fma_f64 v[194:195], v[4:5], v[26:27], v[198:199]
	v_fma_f64 v[196:197], v[2:3], v[26:27], -v[28:29]
	scratch_load_b128 v[26:29], off, off offset:576
	ds_load_b128 v[2:5], v1 offset:1136
	s_waitcnt vmcnt(10) lgkmcnt(1)
	v_mul_f64 v[192:193], v[184:185], v[32:33]
	v_mul_f64 v[32:33], v[186:187], v[32:33]
	s_waitcnt vmcnt(9) lgkmcnt(0)
	v_mul_f64 v[198:199], v[2:3], v[40:41]
	v_mul_f64 v[40:41], v[4:5], v[40:41]
	v_add_f64 v[188:189], v[188:189], v[176:177]
	v_add_f64 v[190:191], v[190:191], v[178:179]
	ds_load_b128 v[176:179], v1 offset:1152
	v_fma_f64 v[186:187], v[186:187], v[30:31], v[192:193]
	v_fma_f64 v[184:185], v[184:185], v[30:31], -v[32:33]
	scratch_load_b128 v[30:33], off, off offset:592
	v_add_f64 v[188:189], v[188:189], v[196:197]
	v_add_f64 v[190:191], v[190:191], v[194:195]
	v_fma_f64 v[196:197], v[4:5], v[38:39], v[198:199]
	v_fma_f64 v[198:199], v[2:3], v[38:39], -v[40:41]
	scratch_load_b128 v[38:41], off, off offset:608
	ds_load_b128 v[2:5], v1 offset:1168
	s_waitcnt vmcnt(9) lgkmcnt(1)
	v_mul_f64 v[192:193], v[176:177], v[182:183]
	v_mul_f64 v[194:195], v[178:179], v[182:183]
	v_add_f64 v[188:189], v[188:189], v[184:185]
	v_add_f64 v[186:187], v[190:191], v[186:187]
	ds_load_b128 v[182:185], v1 offset:1184
	v_fma_f64 v[192:193], v[178:179], v[180:181], v[192:193]
	v_fma_f64 v[180:181], v[176:177], v[180:181], -v[194:195]
	scratch_load_b128 v[176:179], off, off offset:624
	s_waitcnt vmcnt(9) lgkmcnt(1)
	v_mul_f64 v[190:191], v[2:3], v[36:37]
	v_mul_f64 v[36:37], v[4:5], v[36:37]
	v_add_f64 v[188:189], v[188:189], v[198:199]
	v_add_f64 v[186:187], v[186:187], v[196:197]
	s_delay_alu instid0(VALU_DEP_4) | instskip(NEXT) | instid1(VALU_DEP_4)
	v_fma_f64 v[190:191], v[4:5], v[34:35], v[190:191]
	v_fma_f64 v[196:197], v[2:3], v[34:35], -v[36:37]
	scratch_load_b128 v[34:37], off, off offset:640
	ds_load_b128 v[2:5], v1 offset:1200
	s_waitcnt vmcnt(9) lgkmcnt(1)
	v_mul_f64 v[194:195], v[182:183], v[8:9]
	v_mul_f64 v[8:9], v[184:185], v[8:9]
	s_waitcnt vmcnt(8) lgkmcnt(0)
	v_mul_f64 v[198:199], v[2:3], v[12:13]
	v_mul_f64 v[12:13], v[4:5], v[12:13]
	v_add_f64 v[180:181], v[188:189], v[180:181]
	v_add_f64 v[192:193], v[186:187], v[192:193]
	ds_load_b128 v[186:189], v1 offset:1216
	v_fma_f64 v[184:185], v[184:185], v[6:7], v[194:195]
	v_fma_f64 v[182:183], v[182:183], v[6:7], -v[8:9]
	scratch_load_b128 v[6:9], off, off offset:656
	v_fma_f64 v[194:195], v[4:5], v[10:11], v[198:199]
	v_add_f64 v[180:181], v[180:181], v[196:197]
	v_add_f64 v[190:191], v[192:193], v[190:191]
	v_fma_f64 v[196:197], v[2:3], v[10:11], -v[12:13]
	scratch_load_b128 v[10:13], off, off offset:672
	ds_load_b128 v[2:5], v1 offset:1232
	s_waitcnt vmcnt(9) lgkmcnt(1)
	v_mul_f64 v[192:193], v[186:187], v[16:17]
	v_mul_f64 v[16:17], v[188:189], v[16:17]
	v_add_f64 v[198:199], v[180:181], v[182:183]
	v_add_f64 v[184:185], v[190:191], v[184:185]
	s_waitcnt vmcnt(8) lgkmcnt(0)
	v_mul_f64 v[190:191], v[2:3], v[20:21]
	v_mul_f64 v[20:21], v[4:5], v[20:21]
	ds_load_b128 v[180:183], v1 offset:1248
	v_fma_f64 v[188:189], v[188:189], v[14:15], v[192:193]
	v_fma_f64 v[14:15], v[186:187], v[14:15], -v[16:17]
	s_waitcnt vmcnt(7) lgkmcnt(0)
	v_mul_f64 v[186:187], v[180:181], v[24:25]
	v_mul_f64 v[24:25], v[182:183], v[24:25]
	v_add_f64 v[16:17], v[198:199], v[196:197]
	v_add_f64 v[184:185], v[184:185], v[194:195]
	v_fma_f64 v[190:191], v[4:5], v[18:19], v[190:191]
	v_fma_f64 v[18:19], v[2:3], v[18:19], -v[20:21]
	v_fma_f64 v[182:183], v[182:183], v[22:23], v[186:187]
	v_fma_f64 v[22:23], v[180:181], v[22:23], -v[24:25]
	v_add_f64 v[20:21], v[16:17], v[14:15]
	v_add_f64 v[184:185], v[184:185], v[188:189]
	ds_load_b128 v[2:5], v1 offset:1264
	ds_load_b128 v[14:17], v1 offset:1280
	s_waitcnt vmcnt(6) lgkmcnt(1)
	v_mul_f64 v[188:189], v[2:3], v[28:29]
	v_mul_f64 v[28:29], v[4:5], v[28:29]
	s_waitcnt vmcnt(5) lgkmcnt(0)
	v_mul_f64 v[24:25], v[14:15], v[32:33]
	v_mul_f64 v[32:33], v[16:17], v[32:33]
	v_add_f64 v[18:19], v[20:21], v[18:19]
	v_add_f64 v[20:21], v[184:185], v[190:191]
	v_fma_f64 v[180:181], v[4:5], v[26:27], v[188:189]
	v_fma_f64 v[26:27], v[2:3], v[26:27], -v[28:29]
	v_fma_f64 v[16:17], v[16:17], v[30:31], v[24:25]
	v_fma_f64 v[14:15], v[14:15], v[30:31], -v[32:33]
	v_add_f64 v[22:23], v[18:19], v[22:23]
	v_add_f64 v[28:29], v[20:21], v[182:183]
	ds_load_b128 v[2:5], v1 offset:1296
	ds_load_b128 v[18:21], v1 offset:1312
	s_waitcnt vmcnt(4) lgkmcnt(1)
	v_mul_f64 v[182:183], v[2:3], v[40:41]
	v_mul_f64 v[40:41], v[4:5], v[40:41]
	v_add_f64 v[22:23], v[22:23], v[26:27]
	v_add_f64 v[24:25], v[28:29], v[180:181]
	s_waitcnt vmcnt(3) lgkmcnt(0)
	v_mul_f64 v[26:27], v[18:19], v[178:179]
	v_mul_f64 v[28:29], v[20:21], v[178:179]
	v_fma_f64 v[30:31], v[4:5], v[38:39], v[182:183]
	v_fma_f64 v[32:33], v[2:3], v[38:39], -v[40:41]
	v_add_f64 v[22:23], v[22:23], v[14:15]
	v_add_f64 v[24:25], v[24:25], v[16:17]
	ds_load_b128 v[2:5], v1 offset:1328
	ds_load_b128 v[14:17], v1 offset:1344
	v_fma_f64 v[20:21], v[20:21], v[176:177], v[26:27]
	v_fma_f64 v[18:19], v[18:19], v[176:177], -v[28:29]
	s_waitcnt vmcnt(2) lgkmcnt(1)
	v_mul_f64 v[38:39], v[2:3], v[36:37]
	v_mul_f64 v[36:37], v[4:5], v[36:37]
	s_waitcnt vmcnt(1) lgkmcnt(0)
	v_mul_f64 v[26:27], v[14:15], v[8:9]
	v_mul_f64 v[8:9], v[16:17], v[8:9]
	v_add_f64 v[22:23], v[22:23], v[32:33]
	v_add_f64 v[24:25], v[24:25], v[30:31]
	v_fma_f64 v[28:29], v[4:5], v[34:35], v[38:39]
	v_fma_f64 v[30:31], v[2:3], v[34:35], -v[36:37]
	ds_load_b128 v[2:5], v1 offset:1360
	v_fma_f64 v[16:17], v[16:17], v[6:7], v[26:27]
	v_fma_f64 v[6:7], v[14:15], v[6:7], -v[8:9]
	v_add_f64 v[18:19], v[22:23], v[18:19]
	v_add_f64 v[20:21], v[24:25], v[20:21]
	s_waitcnt vmcnt(0) lgkmcnt(0)
	v_mul_f64 v[22:23], v[2:3], v[12:13]
	v_mul_f64 v[12:13], v[4:5], v[12:13]
	s_delay_alu instid0(VALU_DEP_4) | instskip(NEXT) | instid1(VALU_DEP_4)
	v_add_f64 v[8:9], v[18:19], v[30:31]
	v_add_f64 v[14:15], v[20:21], v[28:29]
	s_delay_alu instid0(VALU_DEP_4) | instskip(NEXT) | instid1(VALU_DEP_4)
	v_fma_f64 v[4:5], v[4:5], v[10:11], v[22:23]
	v_fma_f64 v[2:3], v[2:3], v[10:11], -v[12:13]
	s_delay_alu instid0(VALU_DEP_4) | instskip(NEXT) | instid1(VALU_DEP_4)
	v_add_f64 v[6:7], v[8:9], v[6:7]
	v_add_f64 v[8:9], v[14:15], v[16:17]
	s_delay_alu instid0(VALU_DEP_2) | instskip(NEXT) | instid1(VALU_DEP_2)
	v_add_f64 v[2:3], v[6:7], v[2:3]
	v_add_f64 v[4:5], v[8:9], v[4:5]
	s_delay_alu instid0(VALU_DEP_2) | instskip(NEXT) | instid1(VALU_DEP_2)
	v_add_f64 v[2:3], v[42:43], -v[2:3]
	v_add_f64 v[4:5], v[44:45], -v[4:5]
	scratch_store_b128 off, v[2:5], off offset:304
	v_cmpx_lt_u32_e32 18, v132
	s_cbranch_execz .LBB106_235
; %bb.234:
	scratch_load_b128 v[5:8], v157, off
	v_mov_b32_e32 v2, v1
	v_mov_b32_e32 v3, v1
	;; [unrolled: 1-line block ×3, first 2 shown]
	scratch_store_b128 off, v[1:4], off offset:288
	s_waitcnt vmcnt(0)
	ds_store_b128 v175, v[5:8]
.LBB106_235:
	s_or_b32 exec_lo, exec_lo, s2
	s_waitcnt lgkmcnt(0)
	s_waitcnt_vscnt null, 0x0
	s_barrier
	buffer_gl0_inv
	s_clause 0x8
	scratch_load_b128 v[2:5], off, off offset:304
	scratch_load_b128 v[6:9], off, off offset:320
	;; [unrolled: 1-line block ×9, first 2 shown]
	ds_load_b128 v[38:41], v1 offset:992
	ds_load_b128 v[42:45], v1 offset:1008
	s_clause 0x1
	scratch_load_b128 v[176:179], off, off offset:288
	scratch_load_b128 v[180:183], off, off offset:448
	s_mov_b32 s2, exec_lo
	s_waitcnt vmcnt(10) lgkmcnt(1)
	v_mul_f64 v[184:185], v[40:41], v[4:5]
	v_mul_f64 v[4:5], v[38:39], v[4:5]
	s_waitcnt vmcnt(9) lgkmcnt(0)
	v_mul_f64 v[188:189], v[42:43], v[8:9]
	v_mul_f64 v[8:9], v[44:45], v[8:9]
	s_delay_alu instid0(VALU_DEP_4) | instskip(NEXT) | instid1(VALU_DEP_4)
	v_fma_f64 v[190:191], v[38:39], v[2:3], -v[184:185]
	v_fma_f64 v[192:193], v[40:41], v[2:3], v[4:5]
	ds_load_b128 v[2:5], v1 offset:1024
	ds_load_b128 v[184:187], v1 offset:1040
	scratch_load_b128 v[38:41], off, off offset:464
	v_fma_f64 v[44:45], v[44:45], v[6:7], v[188:189]
	v_fma_f64 v[42:43], v[42:43], v[6:7], -v[8:9]
	scratch_load_b128 v[6:9], off, off offset:480
	s_waitcnt vmcnt(10) lgkmcnt(1)
	v_mul_f64 v[194:195], v[2:3], v[12:13]
	v_mul_f64 v[12:13], v[4:5], v[12:13]
	v_add_f64 v[188:189], v[190:191], 0
	v_add_f64 v[190:191], v[192:193], 0
	s_waitcnt vmcnt(9) lgkmcnt(0)
	v_mul_f64 v[192:193], v[184:185], v[16:17]
	v_mul_f64 v[16:17], v[186:187], v[16:17]
	v_fma_f64 v[194:195], v[4:5], v[10:11], v[194:195]
	v_fma_f64 v[196:197], v[2:3], v[10:11], -v[12:13]
	ds_load_b128 v[2:5], v1 offset:1056
	scratch_load_b128 v[10:13], off, off offset:496
	v_add_f64 v[188:189], v[188:189], v[42:43]
	v_add_f64 v[190:191], v[190:191], v[44:45]
	ds_load_b128 v[42:45], v1 offset:1072
	v_fma_f64 v[186:187], v[186:187], v[14:15], v[192:193]
	v_fma_f64 v[184:185], v[184:185], v[14:15], -v[16:17]
	scratch_load_b128 v[14:17], off, off offset:512
	s_waitcnt vmcnt(10) lgkmcnt(1)
	v_mul_f64 v[198:199], v[2:3], v[20:21]
	v_mul_f64 v[20:21], v[4:5], v[20:21]
	s_waitcnt vmcnt(9) lgkmcnt(0)
	v_mul_f64 v[192:193], v[42:43], v[24:25]
	v_mul_f64 v[24:25], v[44:45], v[24:25]
	v_add_f64 v[188:189], v[188:189], v[196:197]
	v_add_f64 v[190:191], v[190:191], v[194:195]
	v_fma_f64 v[194:195], v[4:5], v[18:19], v[198:199]
	v_fma_f64 v[196:197], v[2:3], v[18:19], -v[20:21]
	ds_load_b128 v[2:5], v1 offset:1088
	scratch_load_b128 v[18:21], off, off offset:528
	v_fma_f64 v[44:45], v[44:45], v[22:23], v[192:193]
	v_fma_f64 v[42:43], v[42:43], v[22:23], -v[24:25]
	scratch_load_b128 v[22:25], off, off offset:544
	v_add_f64 v[188:189], v[188:189], v[184:185]
	v_add_f64 v[190:191], v[190:191], v[186:187]
	ds_load_b128 v[184:187], v1 offset:1104
	s_waitcnt vmcnt(10) lgkmcnt(1)
	v_mul_f64 v[198:199], v[2:3], v[28:29]
	v_mul_f64 v[28:29], v[4:5], v[28:29]
	s_waitcnt vmcnt(9) lgkmcnt(0)
	v_mul_f64 v[192:193], v[184:185], v[32:33]
	v_mul_f64 v[32:33], v[186:187], v[32:33]
	v_add_f64 v[188:189], v[188:189], v[196:197]
	v_add_f64 v[190:191], v[190:191], v[194:195]
	v_fma_f64 v[194:195], v[4:5], v[26:27], v[198:199]
	v_fma_f64 v[196:197], v[2:3], v[26:27], -v[28:29]
	ds_load_b128 v[2:5], v1 offset:1120
	scratch_load_b128 v[26:29], off, off offset:560
	v_fma_f64 v[186:187], v[186:187], v[30:31], v[192:193]
	v_fma_f64 v[184:185], v[184:185], v[30:31], -v[32:33]
	scratch_load_b128 v[30:33], off, off offset:576
	v_add_f64 v[188:189], v[188:189], v[42:43]
	v_add_f64 v[190:191], v[190:191], v[44:45]
	ds_load_b128 v[42:45], v1 offset:1136
	s_waitcnt vmcnt(10) lgkmcnt(1)
	v_mul_f64 v[198:199], v[2:3], v[36:37]
	v_mul_f64 v[36:37], v[4:5], v[36:37]
	s_waitcnt vmcnt(8) lgkmcnt(0)
	v_mul_f64 v[192:193], v[42:43], v[182:183]
	v_add_f64 v[188:189], v[188:189], v[196:197]
	v_add_f64 v[190:191], v[190:191], v[194:195]
	v_mul_f64 v[194:195], v[44:45], v[182:183]
	v_fma_f64 v[196:197], v[4:5], v[34:35], v[198:199]
	v_fma_f64 v[198:199], v[2:3], v[34:35], -v[36:37]
	ds_load_b128 v[2:5], v1 offset:1152
	scratch_load_b128 v[34:37], off, off offset:592
	v_fma_f64 v[44:45], v[44:45], v[180:181], v[192:193]
	v_add_f64 v[188:189], v[188:189], v[184:185]
	v_add_f64 v[186:187], v[190:191], v[186:187]
	ds_load_b128 v[182:185], v1 offset:1168
	v_fma_f64 v[180:181], v[42:43], v[180:181], -v[194:195]
	s_waitcnt vmcnt(8) lgkmcnt(1)
	v_mul_f64 v[190:191], v[2:3], v[40:41]
	v_mul_f64 v[200:201], v[4:5], v[40:41]
	scratch_load_b128 v[40:43], off, off offset:608
	s_waitcnt vmcnt(8) lgkmcnt(0)
	v_mul_f64 v[194:195], v[182:183], v[8:9]
	v_mul_f64 v[8:9], v[184:185], v[8:9]
	v_add_f64 v[188:189], v[188:189], v[198:199]
	v_add_f64 v[186:187], v[186:187], v[196:197]
	v_fma_f64 v[196:197], v[4:5], v[38:39], v[190:191]
	v_fma_f64 v[38:39], v[2:3], v[38:39], -v[200:201]
	ds_load_b128 v[2:5], v1 offset:1184
	ds_load_b128 v[190:193], v1 offset:1200
	v_fma_f64 v[184:185], v[184:185], v[6:7], v[194:195]
	v_fma_f64 v[182:183], v[182:183], v[6:7], -v[8:9]
	scratch_load_b128 v[6:9], off, off offset:640
	v_add_f64 v[180:181], v[188:189], v[180:181]
	v_add_f64 v[44:45], v[186:187], v[44:45]
	scratch_load_b128 v[186:189], off, off offset:624
	s_waitcnt vmcnt(9) lgkmcnt(1)
	v_mul_f64 v[198:199], v[2:3], v[12:13]
	v_mul_f64 v[12:13], v[4:5], v[12:13]
	s_waitcnt vmcnt(8) lgkmcnt(0)
	v_mul_f64 v[194:195], v[190:191], v[16:17]
	v_mul_f64 v[16:17], v[192:193], v[16:17]
	v_add_f64 v[38:39], v[180:181], v[38:39]
	v_add_f64 v[44:45], v[44:45], v[196:197]
	v_fma_f64 v[196:197], v[4:5], v[10:11], v[198:199]
	v_fma_f64 v[198:199], v[2:3], v[10:11], -v[12:13]
	ds_load_b128 v[2:5], v1 offset:1216
	scratch_load_b128 v[10:13], off, off offset:656
	v_fma_f64 v[192:193], v[192:193], v[14:15], v[194:195]
	v_fma_f64 v[190:191], v[190:191], v[14:15], -v[16:17]
	scratch_load_b128 v[14:17], off, off offset:672
	v_add_f64 v[38:39], v[38:39], v[182:183]
	v_add_f64 v[44:45], v[44:45], v[184:185]
	ds_load_b128 v[180:183], v1 offset:1232
	s_waitcnt vmcnt(9) lgkmcnt(1)
	v_mul_f64 v[184:185], v[2:3], v[20:21]
	v_mul_f64 v[20:21], v[4:5], v[20:21]
	s_waitcnt vmcnt(8) lgkmcnt(0)
	v_mul_f64 v[194:195], v[180:181], v[24:25]
	v_mul_f64 v[24:25], v[182:183], v[24:25]
	v_add_f64 v[38:39], v[38:39], v[198:199]
	v_add_f64 v[44:45], v[44:45], v[196:197]
	v_fma_f64 v[184:185], v[4:5], v[18:19], v[184:185]
	v_fma_f64 v[196:197], v[2:3], v[18:19], -v[20:21]
	ds_load_b128 v[2:5], v1 offset:1248
	ds_load_b128 v[18:21], v1 offset:1264
	v_fma_f64 v[182:183], v[182:183], v[22:23], v[194:195]
	v_fma_f64 v[22:23], v[180:181], v[22:23], -v[24:25]
	v_add_f64 v[38:39], v[38:39], v[190:191]
	v_add_f64 v[44:45], v[44:45], v[192:193]
	s_waitcnt vmcnt(7) lgkmcnt(1)
	v_mul_f64 v[190:191], v[2:3], v[28:29]
	v_mul_f64 v[28:29], v[4:5], v[28:29]
	s_delay_alu instid0(VALU_DEP_4) | instskip(NEXT) | instid1(VALU_DEP_4)
	v_add_f64 v[24:25], v[38:39], v[196:197]
	v_add_f64 v[38:39], v[44:45], v[184:185]
	s_waitcnt vmcnt(6) lgkmcnt(0)
	v_mul_f64 v[44:45], v[18:19], v[32:33]
	v_mul_f64 v[32:33], v[20:21], v[32:33]
	v_fma_f64 v[180:181], v[4:5], v[26:27], v[190:191]
	v_fma_f64 v[26:27], v[2:3], v[26:27], -v[28:29]
	v_add_f64 v[28:29], v[24:25], v[22:23]
	v_add_f64 v[38:39], v[38:39], v[182:183]
	ds_load_b128 v[2:5], v1 offset:1280
	ds_load_b128 v[22:25], v1 offset:1296
	v_fma_f64 v[20:21], v[20:21], v[30:31], v[44:45]
	v_fma_f64 v[18:19], v[18:19], v[30:31], -v[32:33]
	s_waitcnt vmcnt(5) lgkmcnt(1)
	v_mul_f64 v[182:183], v[2:3], v[36:37]
	v_mul_f64 v[36:37], v[4:5], v[36:37]
	s_waitcnt vmcnt(4) lgkmcnt(0)
	v_mul_f64 v[30:31], v[22:23], v[42:43]
	v_add_f64 v[26:27], v[28:29], v[26:27]
	v_add_f64 v[28:29], v[38:39], v[180:181]
	v_mul_f64 v[32:33], v[24:25], v[42:43]
	v_fma_f64 v[38:39], v[4:5], v[34:35], v[182:183]
	v_fma_f64 v[34:35], v[2:3], v[34:35], -v[36:37]
	v_fma_f64 v[24:25], v[24:25], v[40:41], v[30:31]
	v_add_f64 v[26:27], v[26:27], v[18:19]
	v_add_f64 v[28:29], v[28:29], v[20:21]
	ds_load_b128 v[2:5], v1 offset:1312
	ds_load_b128 v[18:21], v1 offset:1328
	v_fma_f64 v[22:23], v[22:23], v[40:41], -v[32:33]
	s_waitcnt vmcnt(2) lgkmcnt(1)
	v_mul_f64 v[36:37], v[2:3], v[188:189]
	v_mul_f64 v[42:43], v[4:5], v[188:189]
	s_waitcnt lgkmcnt(0)
	v_mul_f64 v[30:31], v[18:19], v[8:9]
	v_mul_f64 v[8:9], v[20:21], v[8:9]
	v_add_f64 v[26:27], v[26:27], v[34:35]
	v_add_f64 v[28:29], v[28:29], v[38:39]
	v_fma_f64 v[32:33], v[4:5], v[186:187], v[36:37]
	v_fma_f64 v[34:35], v[2:3], v[186:187], -v[42:43]
	v_fma_f64 v[20:21], v[20:21], v[6:7], v[30:31]
	v_fma_f64 v[6:7], v[18:19], v[6:7], -v[8:9]
	v_add_f64 v[26:27], v[26:27], v[22:23]
	v_add_f64 v[28:29], v[28:29], v[24:25]
	ds_load_b128 v[2:5], v1 offset:1344
	ds_load_b128 v[22:25], v1 offset:1360
	s_waitcnt vmcnt(1) lgkmcnt(1)
	v_mul_f64 v[36:37], v[2:3], v[12:13]
	v_mul_f64 v[12:13], v[4:5], v[12:13]
	v_add_f64 v[8:9], v[26:27], v[34:35]
	v_add_f64 v[18:19], v[28:29], v[32:33]
	s_waitcnt vmcnt(0) lgkmcnt(0)
	v_mul_f64 v[26:27], v[22:23], v[16:17]
	v_mul_f64 v[16:17], v[24:25], v[16:17]
	v_fma_f64 v[4:5], v[4:5], v[10:11], v[36:37]
	v_fma_f64 v[1:2], v[2:3], v[10:11], -v[12:13]
	v_add_f64 v[6:7], v[8:9], v[6:7]
	v_add_f64 v[8:9], v[18:19], v[20:21]
	v_fma_f64 v[10:11], v[24:25], v[14:15], v[26:27]
	v_fma_f64 v[12:13], v[22:23], v[14:15], -v[16:17]
	s_delay_alu instid0(VALU_DEP_4) | instskip(NEXT) | instid1(VALU_DEP_4)
	v_add_f64 v[1:2], v[6:7], v[1:2]
	v_add_f64 v[3:4], v[8:9], v[4:5]
	s_delay_alu instid0(VALU_DEP_2) | instskip(NEXT) | instid1(VALU_DEP_2)
	v_add_f64 v[1:2], v[1:2], v[12:13]
	v_add_f64 v[3:4], v[3:4], v[10:11]
	s_delay_alu instid0(VALU_DEP_2) | instskip(NEXT) | instid1(VALU_DEP_2)
	v_add_f64 v[1:2], v[176:177], -v[1:2]
	v_add_f64 v[3:4], v[178:179], -v[3:4]
	scratch_store_b128 off, v[1:4], off offset:288
	v_cmpx_lt_u32_e32 17, v132
	s_cbranch_execz .LBB106_237
; %bb.236:
	scratch_load_b128 v[1:4], v159, off
	v_mov_b32_e32 v5, 0
	s_delay_alu instid0(VALU_DEP_1)
	v_mov_b32_e32 v6, v5
	v_mov_b32_e32 v7, v5
	;; [unrolled: 1-line block ×3, first 2 shown]
	scratch_store_b128 off, v[5:8], off offset:272
	s_waitcnt vmcnt(0)
	ds_store_b128 v175, v[1:4]
.LBB106_237:
	s_or_b32 exec_lo, exec_lo, s2
	s_waitcnt lgkmcnt(0)
	s_waitcnt_vscnt null, 0x0
	s_barrier
	buffer_gl0_inv
	s_clause 0x7
	scratch_load_b128 v[2:5], off, off offset:288
	scratch_load_b128 v[6:9], off, off offset:304
	;; [unrolled: 1-line block ×8, first 2 shown]
	v_mov_b32_e32 v1, 0
	s_mov_b32 s2, exec_lo
	ds_load_b128 v[34:37], v1 offset:976
	s_clause 0x1
	scratch_load_b128 v[38:41], off, off offset:416
	scratch_load_b128 v[42:45], off, off offset:272
	ds_load_b128 v[176:179], v1 offset:992
	scratch_load_b128 v[180:183], off, off offset:432
	s_waitcnt vmcnt(10) lgkmcnt(1)
	v_mul_f64 v[184:185], v[36:37], v[4:5]
	v_mul_f64 v[4:5], v[34:35], v[4:5]
	s_delay_alu instid0(VALU_DEP_2) | instskip(NEXT) | instid1(VALU_DEP_2)
	v_fma_f64 v[190:191], v[34:35], v[2:3], -v[184:185]
	v_fma_f64 v[192:193], v[36:37], v[2:3], v[4:5]
	scratch_load_b128 v[34:37], off, off offset:448
	ds_load_b128 v[2:5], v1 offset:1008
	s_waitcnt vmcnt(10) lgkmcnt(1)
	v_mul_f64 v[188:189], v[176:177], v[8:9]
	v_mul_f64 v[8:9], v[178:179], v[8:9]
	ds_load_b128 v[184:187], v1 offset:1024
	s_waitcnt vmcnt(9) lgkmcnt(1)
	v_mul_f64 v[194:195], v[2:3], v[12:13]
	v_mul_f64 v[12:13], v[4:5], v[12:13]
	v_fma_f64 v[178:179], v[178:179], v[6:7], v[188:189]
	v_fma_f64 v[176:177], v[176:177], v[6:7], -v[8:9]
	v_add_f64 v[188:189], v[190:191], 0
	v_add_f64 v[190:191], v[192:193], 0
	scratch_load_b128 v[6:9], off, off offset:464
	v_fma_f64 v[194:195], v[4:5], v[10:11], v[194:195]
	v_fma_f64 v[196:197], v[2:3], v[10:11], -v[12:13]
	scratch_load_b128 v[10:13], off, off offset:480
	ds_load_b128 v[2:5], v1 offset:1040
	s_waitcnt vmcnt(10) lgkmcnt(1)
	v_mul_f64 v[192:193], v[184:185], v[16:17]
	v_mul_f64 v[16:17], v[186:187], v[16:17]
	v_add_f64 v[188:189], v[188:189], v[176:177]
	v_add_f64 v[190:191], v[190:191], v[178:179]
	s_waitcnt vmcnt(9) lgkmcnt(0)
	v_mul_f64 v[198:199], v[2:3], v[20:21]
	v_mul_f64 v[20:21], v[4:5], v[20:21]
	ds_load_b128 v[176:179], v1 offset:1056
	v_fma_f64 v[186:187], v[186:187], v[14:15], v[192:193]
	v_fma_f64 v[184:185], v[184:185], v[14:15], -v[16:17]
	scratch_load_b128 v[14:17], off, off offset:496
	v_add_f64 v[188:189], v[188:189], v[196:197]
	v_add_f64 v[190:191], v[190:191], v[194:195]
	v_fma_f64 v[194:195], v[4:5], v[18:19], v[198:199]
	v_fma_f64 v[196:197], v[2:3], v[18:19], -v[20:21]
	scratch_load_b128 v[18:21], off, off offset:512
	ds_load_b128 v[2:5], v1 offset:1072
	s_waitcnt vmcnt(10) lgkmcnt(1)
	v_mul_f64 v[192:193], v[176:177], v[24:25]
	v_mul_f64 v[24:25], v[178:179], v[24:25]
	s_waitcnt vmcnt(9) lgkmcnt(0)
	v_mul_f64 v[198:199], v[2:3], v[28:29]
	v_mul_f64 v[28:29], v[4:5], v[28:29]
	v_add_f64 v[188:189], v[188:189], v[184:185]
	v_add_f64 v[190:191], v[190:191], v[186:187]
	ds_load_b128 v[184:187], v1 offset:1088
	v_fma_f64 v[178:179], v[178:179], v[22:23], v[192:193]
	v_fma_f64 v[176:177], v[176:177], v[22:23], -v[24:25]
	scratch_load_b128 v[22:25], off, off offset:528
	v_add_f64 v[188:189], v[188:189], v[196:197]
	v_add_f64 v[190:191], v[190:191], v[194:195]
	v_fma_f64 v[194:195], v[4:5], v[26:27], v[198:199]
	v_fma_f64 v[196:197], v[2:3], v[26:27], -v[28:29]
	scratch_load_b128 v[26:29], off, off offset:544
	ds_load_b128 v[2:5], v1 offset:1104
	s_waitcnt vmcnt(10) lgkmcnt(1)
	v_mul_f64 v[192:193], v[184:185], v[32:33]
	v_mul_f64 v[32:33], v[186:187], v[32:33]
	s_waitcnt vmcnt(9) lgkmcnt(0)
	v_mul_f64 v[198:199], v[2:3], v[40:41]
	v_mul_f64 v[40:41], v[4:5], v[40:41]
	v_add_f64 v[188:189], v[188:189], v[176:177]
	v_add_f64 v[190:191], v[190:191], v[178:179]
	ds_load_b128 v[176:179], v1 offset:1120
	v_fma_f64 v[186:187], v[186:187], v[30:31], v[192:193]
	v_fma_f64 v[184:185], v[184:185], v[30:31], -v[32:33]
	scratch_load_b128 v[30:33], off, off offset:560
	v_add_f64 v[188:189], v[188:189], v[196:197]
	v_add_f64 v[190:191], v[190:191], v[194:195]
	v_fma_f64 v[196:197], v[4:5], v[38:39], v[198:199]
	v_fma_f64 v[198:199], v[2:3], v[38:39], -v[40:41]
	scratch_load_b128 v[38:41], off, off offset:576
	ds_load_b128 v[2:5], v1 offset:1136
	s_waitcnt vmcnt(9) lgkmcnt(1)
	v_mul_f64 v[192:193], v[176:177], v[182:183]
	v_mul_f64 v[194:195], v[178:179], v[182:183]
	v_add_f64 v[188:189], v[188:189], v[184:185]
	v_add_f64 v[186:187], v[190:191], v[186:187]
	ds_load_b128 v[182:185], v1 offset:1152
	v_fma_f64 v[192:193], v[178:179], v[180:181], v[192:193]
	v_fma_f64 v[180:181], v[176:177], v[180:181], -v[194:195]
	scratch_load_b128 v[176:179], off, off offset:592
	s_waitcnt vmcnt(9) lgkmcnt(1)
	v_mul_f64 v[190:191], v[2:3], v[36:37]
	v_mul_f64 v[36:37], v[4:5], v[36:37]
	v_add_f64 v[188:189], v[188:189], v[198:199]
	v_add_f64 v[186:187], v[186:187], v[196:197]
	s_delay_alu instid0(VALU_DEP_4) | instskip(NEXT) | instid1(VALU_DEP_4)
	v_fma_f64 v[190:191], v[4:5], v[34:35], v[190:191]
	v_fma_f64 v[196:197], v[2:3], v[34:35], -v[36:37]
	scratch_load_b128 v[34:37], off, off offset:608
	ds_load_b128 v[2:5], v1 offset:1168
	s_waitcnt vmcnt(9) lgkmcnt(1)
	v_mul_f64 v[194:195], v[182:183], v[8:9]
	v_mul_f64 v[8:9], v[184:185], v[8:9]
	s_waitcnt vmcnt(8) lgkmcnt(0)
	v_mul_f64 v[198:199], v[2:3], v[12:13]
	v_mul_f64 v[12:13], v[4:5], v[12:13]
	v_add_f64 v[180:181], v[188:189], v[180:181]
	v_add_f64 v[192:193], v[186:187], v[192:193]
	ds_load_b128 v[186:189], v1 offset:1184
	v_fma_f64 v[184:185], v[184:185], v[6:7], v[194:195]
	v_fma_f64 v[182:183], v[182:183], v[6:7], -v[8:9]
	scratch_load_b128 v[6:9], off, off offset:624
	v_fma_f64 v[194:195], v[4:5], v[10:11], v[198:199]
	v_add_f64 v[180:181], v[180:181], v[196:197]
	v_add_f64 v[190:191], v[192:193], v[190:191]
	v_fma_f64 v[196:197], v[2:3], v[10:11], -v[12:13]
	scratch_load_b128 v[10:13], off, off offset:640
	ds_load_b128 v[2:5], v1 offset:1200
	s_waitcnt vmcnt(9) lgkmcnt(1)
	v_mul_f64 v[192:193], v[186:187], v[16:17]
	v_mul_f64 v[16:17], v[188:189], v[16:17]
	v_add_f64 v[198:199], v[180:181], v[182:183]
	v_add_f64 v[184:185], v[190:191], v[184:185]
	s_waitcnt vmcnt(8) lgkmcnt(0)
	v_mul_f64 v[190:191], v[2:3], v[20:21]
	v_mul_f64 v[20:21], v[4:5], v[20:21]
	ds_load_b128 v[180:183], v1 offset:1216
	v_fma_f64 v[188:189], v[188:189], v[14:15], v[192:193]
	v_fma_f64 v[186:187], v[186:187], v[14:15], -v[16:17]
	scratch_load_b128 v[14:17], off, off offset:656
	v_add_f64 v[192:193], v[198:199], v[196:197]
	v_add_f64 v[184:185], v[184:185], v[194:195]
	v_fma_f64 v[190:191], v[4:5], v[18:19], v[190:191]
	v_fma_f64 v[196:197], v[2:3], v[18:19], -v[20:21]
	scratch_load_b128 v[18:21], off, off offset:672
	ds_load_b128 v[2:5], v1 offset:1232
	s_waitcnt vmcnt(9) lgkmcnt(1)
	v_mul_f64 v[194:195], v[180:181], v[24:25]
	v_mul_f64 v[24:25], v[182:183], v[24:25]
	s_waitcnt vmcnt(8) lgkmcnt(0)
	v_mul_f64 v[198:199], v[2:3], v[28:29]
	v_mul_f64 v[28:29], v[4:5], v[28:29]
	v_add_f64 v[192:193], v[192:193], v[186:187]
	v_add_f64 v[188:189], v[184:185], v[188:189]
	ds_load_b128 v[184:187], v1 offset:1248
	v_fma_f64 v[182:183], v[182:183], v[22:23], v[194:195]
	v_fma_f64 v[22:23], v[180:181], v[22:23], -v[24:25]
	v_add_f64 v[24:25], v[192:193], v[196:197]
	v_add_f64 v[180:181], v[188:189], v[190:191]
	s_waitcnt vmcnt(7) lgkmcnt(0)
	v_mul_f64 v[188:189], v[184:185], v[32:33]
	v_mul_f64 v[32:33], v[186:187], v[32:33]
	v_fma_f64 v[190:191], v[4:5], v[26:27], v[198:199]
	v_fma_f64 v[26:27], v[2:3], v[26:27], -v[28:29]
	v_add_f64 v[28:29], v[24:25], v[22:23]
	v_add_f64 v[180:181], v[180:181], v[182:183]
	ds_load_b128 v[2:5], v1 offset:1264
	ds_load_b128 v[22:25], v1 offset:1280
	v_fma_f64 v[186:187], v[186:187], v[30:31], v[188:189]
	v_fma_f64 v[30:31], v[184:185], v[30:31], -v[32:33]
	s_waitcnt vmcnt(6) lgkmcnt(1)
	v_mul_f64 v[182:183], v[2:3], v[40:41]
	v_mul_f64 v[40:41], v[4:5], v[40:41]
	s_waitcnt vmcnt(5) lgkmcnt(0)
	v_mul_f64 v[32:33], v[22:23], v[178:179]
	v_mul_f64 v[178:179], v[24:25], v[178:179]
	v_add_f64 v[26:27], v[28:29], v[26:27]
	v_add_f64 v[28:29], v[180:181], v[190:191]
	v_fma_f64 v[180:181], v[4:5], v[38:39], v[182:183]
	v_fma_f64 v[38:39], v[2:3], v[38:39], -v[40:41]
	v_fma_f64 v[24:25], v[24:25], v[176:177], v[32:33]
	v_fma_f64 v[22:23], v[22:23], v[176:177], -v[178:179]
	v_add_f64 v[30:31], v[26:27], v[30:31]
	v_add_f64 v[40:41], v[28:29], v[186:187]
	ds_load_b128 v[2:5], v1 offset:1296
	ds_load_b128 v[26:29], v1 offset:1312
	s_waitcnt vmcnt(4) lgkmcnt(1)
	v_mul_f64 v[182:183], v[2:3], v[36:37]
	v_mul_f64 v[36:37], v[4:5], v[36:37]
	v_add_f64 v[30:31], v[30:31], v[38:39]
	v_add_f64 v[32:33], v[40:41], v[180:181]
	s_waitcnt vmcnt(3) lgkmcnt(0)
	v_mul_f64 v[38:39], v[26:27], v[8:9]
	v_mul_f64 v[8:9], v[28:29], v[8:9]
	v_fma_f64 v[40:41], v[4:5], v[34:35], v[182:183]
	v_fma_f64 v[34:35], v[2:3], v[34:35], -v[36:37]
	v_add_f64 v[30:31], v[30:31], v[22:23]
	v_add_f64 v[32:33], v[32:33], v[24:25]
	ds_load_b128 v[2:5], v1 offset:1328
	ds_load_b128 v[22:25], v1 offset:1344
	v_fma_f64 v[28:29], v[28:29], v[6:7], v[38:39]
	v_fma_f64 v[6:7], v[26:27], v[6:7], -v[8:9]
	s_waitcnt vmcnt(2) lgkmcnt(1)
	v_mul_f64 v[36:37], v[2:3], v[12:13]
	v_mul_f64 v[12:13], v[4:5], v[12:13]
	v_add_f64 v[8:9], v[30:31], v[34:35]
	v_add_f64 v[26:27], v[32:33], v[40:41]
	s_waitcnt vmcnt(1) lgkmcnt(0)
	v_mul_f64 v[30:31], v[22:23], v[16:17]
	v_mul_f64 v[16:17], v[24:25], v[16:17]
	v_fma_f64 v[32:33], v[4:5], v[10:11], v[36:37]
	v_fma_f64 v[10:11], v[2:3], v[10:11], -v[12:13]
	ds_load_b128 v[2:5], v1 offset:1360
	v_add_f64 v[6:7], v[8:9], v[6:7]
	v_add_f64 v[8:9], v[26:27], v[28:29]
	v_fma_f64 v[24:25], v[24:25], v[14:15], v[30:31]
	v_fma_f64 v[14:15], v[22:23], v[14:15], -v[16:17]
	s_waitcnt vmcnt(0) lgkmcnt(0)
	v_mul_f64 v[12:13], v[2:3], v[20:21]
	v_mul_f64 v[20:21], v[4:5], v[20:21]
	v_add_f64 v[6:7], v[6:7], v[10:11]
	v_add_f64 v[8:9], v[8:9], v[32:33]
	s_delay_alu instid0(VALU_DEP_4) | instskip(NEXT) | instid1(VALU_DEP_4)
	v_fma_f64 v[4:5], v[4:5], v[18:19], v[12:13]
	v_fma_f64 v[2:3], v[2:3], v[18:19], -v[20:21]
	s_delay_alu instid0(VALU_DEP_4) | instskip(NEXT) | instid1(VALU_DEP_4)
	v_add_f64 v[6:7], v[6:7], v[14:15]
	v_add_f64 v[8:9], v[8:9], v[24:25]
	s_delay_alu instid0(VALU_DEP_2) | instskip(NEXT) | instid1(VALU_DEP_2)
	v_add_f64 v[2:3], v[6:7], v[2:3]
	v_add_f64 v[4:5], v[8:9], v[4:5]
	s_delay_alu instid0(VALU_DEP_2) | instskip(NEXT) | instid1(VALU_DEP_2)
	v_add_f64 v[2:3], v[42:43], -v[2:3]
	v_add_f64 v[4:5], v[44:45], -v[4:5]
	scratch_store_b128 off, v[2:5], off offset:272
	v_cmpx_lt_u32_e32 16, v132
	s_cbranch_execz .LBB106_239
; %bb.238:
	scratch_load_b128 v[5:8], v160, off
	v_mov_b32_e32 v2, v1
	v_mov_b32_e32 v3, v1
	v_mov_b32_e32 v4, v1
	scratch_store_b128 off, v[1:4], off offset:256
	s_waitcnt vmcnt(0)
	ds_store_b128 v175, v[5:8]
.LBB106_239:
	s_or_b32 exec_lo, exec_lo, s2
	s_waitcnt lgkmcnt(0)
	s_waitcnt_vscnt null, 0x0
	s_barrier
	buffer_gl0_inv
	s_clause 0x8
	scratch_load_b128 v[2:5], off, off offset:272
	scratch_load_b128 v[6:9], off, off offset:288
	;; [unrolled: 1-line block ×9, first 2 shown]
	ds_load_b128 v[38:41], v1 offset:960
	ds_load_b128 v[42:45], v1 offset:976
	s_clause 0x1
	scratch_load_b128 v[176:179], off, off offset:256
	scratch_load_b128 v[180:183], off, off offset:416
	s_mov_b32 s2, exec_lo
	s_waitcnt vmcnt(10) lgkmcnt(1)
	v_mul_f64 v[184:185], v[40:41], v[4:5]
	v_mul_f64 v[4:5], v[38:39], v[4:5]
	s_waitcnt vmcnt(9) lgkmcnt(0)
	v_mul_f64 v[188:189], v[42:43], v[8:9]
	v_mul_f64 v[8:9], v[44:45], v[8:9]
	s_delay_alu instid0(VALU_DEP_4) | instskip(NEXT) | instid1(VALU_DEP_4)
	v_fma_f64 v[190:191], v[38:39], v[2:3], -v[184:185]
	v_fma_f64 v[192:193], v[40:41], v[2:3], v[4:5]
	ds_load_b128 v[2:5], v1 offset:992
	ds_load_b128 v[184:187], v1 offset:1008
	scratch_load_b128 v[38:41], off, off offset:432
	v_fma_f64 v[44:45], v[44:45], v[6:7], v[188:189]
	v_fma_f64 v[42:43], v[42:43], v[6:7], -v[8:9]
	scratch_load_b128 v[6:9], off, off offset:448
	s_waitcnt vmcnt(10) lgkmcnt(1)
	v_mul_f64 v[194:195], v[2:3], v[12:13]
	v_mul_f64 v[12:13], v[4:5], v[12:13]
	v_add_f64 v[188:189], v[190:191], 0
	v_add_f64 v[190:191], v[192:193], 0
	s_waitcnt vmcnt(9) lgkmcnt(0)
	v_mul_f64 v[192:193], v[184:185], v[16:17]
	v_mul_f64 v[16:17], v[186:187], v[16:17]
	v_fma_f64 v[194:195], v[4:5], v[10:11], v[194:195]
	v_fma_f64 v[196:197], v[2:3], v[10:11], -v[12:13]
	ds_load_b128 v[2:5], v1 offset:1024
	scratch_load_b128 v[10:13], off, off offset:464
	v_add_f64 v[188:189], v[188:189], v[42:43]
	v_add_f64 v[190:191], v[190:191], v[44:45]
	ds_load_b128 v[42:45], v1 offset:1040
	v_fma_f64 v[186:187], v[186:187], v[14:15], v[192:193]
	v_fma_f64 v[184:185], v[184:185], v[14:15], -v[16:17]
	scratch_load_b128 v[14:17], off, off offset:480
	s_waitcnt vmcnt(10) lgkmcnt(1)
	v_mul_f64 v[198:199], v[2:3], v[20:21]
	v_mul_f64 v[20:21], v[4:5], v[20:21]
	s_waitcnt vmcnt(9) lgkmcnt(0)
	v_mul_f64 v[192:193], v[42:43], v[24:25]
	v_mul_f64 v[24:25], v[44:45], v[24:25]
	v_add_f64 v[188:189], v[188:189], v[196:197]
	v_add_f64 v[190:191], v[190:191], v[194:195]
	v_fma_f64 v[194:195], v[4:5], v[18:19], v[198:199]
	v_fma_f64 v[196:197], v[2:3], v[18:19], -v[20:21]
	ds_load_b128 v[2:5], v1 offset:1056
	scratch_load_b128 v[18:21], off, off offset:496
	v_fma_f64 v[44:45], v[44:45], v[22:23], v[192:193]
	v_fma_f64 v[42:43], v[42:43], v[22:23], -v[24:25]
	scratch_load_b128 v[22:25], off, off offset:512
	v_add_f64 v[188:189], v[188:189], v[184:185]
	v_add_f64 v[190:191], v[190:191], v[186:187]
	ds_load_b128 v[184:187], v1 offset:1072
	s_waitcnt vmcnt(10) lgkmcnt(1)
	v_mul_f64 v[198:199], v[2:3], v[28:29]
	v_mul_f64 v[28:29], v[4:5], v[28:29]
	s_waitcnt vmcnt(9) lgkmcnt(0)
	v_mul_f64 v[192:193], v[184:185], v[32:33]
	v_mul_f64 v[32:33], v[186:187], v[32:33]
	v_add_f64 v[188:189], v[188:189], v[196:197]
	v_add_f64 v[190:191], v[190:191], v[194:195]
	v_fma_f64 v[194:195], v[4:5], v[26:27], v[198:199]
	v_fma_f64 v[196:197], v[2:3], v[26:27], -v[28:29]
	ds_load_b128 v[2:5], v1 offset:1088
	scratch_load_b128 v[26:29], off, off offset:528
	v_fma_f64 v[186:187], v[186:187], v[30:31], v[192:193]
	v_fma_f64 v[184:185], v[184:185], v[30:31], -v[32:33]
	scratch_load_b128 v[30:33], off, off offset:544
	v_add_f64 v[188:189], v[188:189], v[42:43]
	v_add_f64 v[190:191], v[190:191], v[44:45]
	ds_load_b128 v[42:45], v1 offset:1104
	s_waitcnt vmcnt(10) lgkmcnt(1)
	v_mul_f64 v[198:199], v[2:3], v[36:37]
	v_mul_f64 v[36:37], v[4:5], v[36:37]
	s_waitcnt vmcnt(8) lgkmcnt(0)
	v_mul_f64 v[192:193], v[42:43], v[182:183]
	v_add_f64 v[188:189], v[188:189], v[196:197]
	v_add_f64 v[190:191], v[190:191], v[194:195]
	v_mul_f64 v[194:195], v[44:45], v[182:183]
	v_fma_f64 v[196:197], v[4:5], v[34:35], v[198:199]
	v_fma_f64 v[198:199], v[2:3], v[34:35], -v[36:37]
	ds_load_b128 v[2:5], v1 offset:1120
	scratch_load_b128 v[34:37], off, off offset:560
	v_fma_f64 v[44:45], v[44:45], v[180:181], v[192:193]
	v_add_f64 v[188:189], v[188:189], v[184:185]
	v_add_f64 v[186:187], v[190:191], v[186:187]
	ds_load_b128 v[182:185], v1 offset:1136
	v_fma_f64 v[180:181], v[42:43], v[180:181], -v[194:195]
	s_waitcnt vmcnt(8) lgkmcnt(1)
	v_mul_f64 v[190:191], v[2:3], v[40:41]
	v_mul_f64 v[200:201], v[4:5], v[40:41]
	scratch_load_b128 v[40:43], off, off offset:576
	s_waitcnt vmcnt(8) lgkmcnt(0)
	v_mul_f64 v[194:195], v[182:183], v[8:9]
	v_mul_f64 v[8:9], v[184:185], v[8:9]
	v_add_f64 v[188:189], v[188:189], v[198:199]
	v_add_f64 v[186:187], v[186:187], v[196:197]
	v_fma_f64 v[196:197], v[4:5], v[38:39], v[190:191]
	v_fma_f64 v[38:39], v[2:3], v[38:39], -v[200:201]
	ds_load_b128 v[2:5], v1 offset:1152
	ds_load_b128 v[190:193], v1 offset:1168
	v_fma_f64 v[184:185], v[184:185], v[6:7], v[194:195]
	v_fma_f64 v[182:183], v[182:183], v[6:7], -v[8:9]
	scratch_load_b128 v[6:9], off, off offset:608
	v_add_f64 v[180:181], v[188:189], v[180:181]
	v_add_f64 v[44:45], v[186:187], v[44:45]
	scratch_load_b128 v[186:189], off, off offset:592
	s_waitcnt vmcnt(9) lgkmcnt(1)
	v_mul_f64 v[198:199], v[2:3], v[12:13]
	v_mul_f64 v[12:13], v[4:5], v[12:13]
	s_waitcnt vmcnt(8) lgkmcnt(0)
	v_mul_f64 v[194:195], v[190:191], v[16:17]
	v_mul_f64 v[16:17], v[192:193], v[16:17]
	v_add_f64 v[38:39], v[180:181], v[38:39]
	v_add_f64 v[44:45], v[44:45], v[196:197]
	v_fma_f64 v[196:197], v[4:5], v[10:11], v[198:199]
	v_fma_f64 v[198:199], v[2:3], v[10:11], -v[12:13]
	ds_load_b128 v[2:5], v1 offset:1184
	scratch_load_b128 v[10:13], off, off offset:624
	v_fma_f64 v[192:193], v[192:193], v[14:15], v[194:195]
	v_fma_f64 v[190:191], v[190:191], v[14:15], -v[16:17]
	scratch_load_b128 v[14:17], off, off offset:640
	v_add_f64 v[38:39], v[38:39], v[182:183]
	v_add_f64 v[44:45], v[44:45], v[184:185]
	ds_load_b128 v[180:183], v1 offset:1200
	s_waitcnt vmcnt(9) lgkmcnt(1)
	v_mul_f64 v[184:185], v[2:3], v[20:21]
	v_mul_f64 v[20:21], v[4:5], v[20:21]
	s_waitcnt vmcnt(8) lgkmcnt(0)
	v_mul_f64 v[194:195], v[180:181], v[24:25]
	v_mul_f64 v[24:25], v[182:183], v[24:25]
	v_add_f64 v[38:39], v[38:39], v[198:199]
	v_add_f64 v[44:45], v[44:45], v[196:197]
	v_fma_f64 v[184:185], v[4:5], v[18:19], v[184:185]
	v_fma_f64 v[196:197], v[2:3], v[18:19], -v[20:21]
	ds_load_b128 v[2:5], v1 offset:1216
	scratch_load_b128 v[18:21], off, off offset:656
	v_fma_f64 v[182:183], v[182:183], v[22:23], v[194:195]
	v_fma_f64 v[180:181], v[180:181], v[22:23], -v[24:25]
	scratch_load_b128 v[22:25], off, off offset:672
	v_add_f64 v[38:39], v[38:39], v[190:191]
	v_add_f64 v[44:45], v[44:45], v[192:193]
	ds_load_b128 v[190:193], v1 offset:1232
	s_waitcnt vmcnt(9) lgkmcnt(1)
	v_mul_f64 v[198:199], v[2:3], v[28:29]
	v_mul_f64 v[28:29], v[4:5], v[28:29]
	v_add_f64 v[38:39], v[38:39], v[196:197]
	v_add_f64 v[44:45], v[44:45], v[184:185]
	s_waitcnt vmcnt(8) lgkmcnt(0)
	v_mul_f64 v[184:185], v[190:191], v[32:33]
	v_mul_f64 v[32:33], v[192:193], v[32:33]
	v_fma_f64 v[194:195], v[4:5], v[26:27], v[198:199]
	v_fma_f64 v[196:197], v[2:3], v[26:27], -v[28:29]
	ds_load_b128 v[2:5], v1 offset:1248
	ds_load_b128 v[26:29], v1 offset:1264
	v_add_f64 v[38:39], v[38:39], v[180:181]
	v_add_f64 v[44:45], v[44:45], v[182:183]
	s_waitcnt vmcnt(7) lgkmcnt(1)
	v_mul_f64 v[180:181], v[2:3], v[36:37]
	v_mul_f64 v[36:37], v[4:5], v[36:37]
	v_fma_f64 v[182:183], v[192:193], v[30:31], v[184:185]
	v_fma_f64 v[30:31], v[190:191], v[30:31], -v[32:33]
	v_add_f64 v[32:33], v[38:39], v[196:197]
	v_add_f64 v[38:39], v[44:45], v[194:195]
	s_waitcnt vmcnt(6) lgkmcnt(0)
	v_mul_f64 v[44:45], v[26:27], v[42:43]
	v_mul_f64 v[42:43], v[28:29], v[42:43]
	v_fma_f64 v[180:181], v[4:5], v[34:35], v[180:181]
	v_fma_f64 v[34:35], v[2:3], v[34:35], -v[36:37]
	v_add_f64 v[36:37], v[32:33], v[30:31]
	v_add_f64 v[38:39], v[38:39], v[182:183]
	ds_load_b128 v[2:5], v1 offset:1280
	ds_load_b128 v[30:33], v1 offset:1296
	v_fma_f64 v[28:29], v[28:29], v[40:41], v[44:45]
	v_fma_f64 v[26:27], v[26:27], v[40:41], -v[42:43]
	s_waitcnt vmcnt(4) lgkmcnt(1)
	v_mul_f64 v[182:183], v[2:3], v[188:189]
	v_mul_f64 v[184:185], v[4:5], v[188:189]
	v_add_f64 v[34:35], v[36:37], v[34:35]
	v_add_f64 v[36:37], v[38:39], v[180:181]
	s_waitcnt lgkmcnt(0)
	v_mul_f64 v[38:39], v[30:31], v[8:9]
	v_mul_f64 v[8:9], v[32:33], v[8:9]
	v_fma_f64 v[40:41], v[4:5], v[186:187], v[182:183]
	v_fma_f64 v[42:43], v[2:3], v[186:187], -v[184:185]
	v_add_f64 v[34:35], v[34:35], v[26:27]
	v_add_f64 v[36:37], v[36:37], v[28:29]
	ds_load_b128 v[2:5], v1 offset:1312
	ds_load_b128 v[26:29], v1 offset:1328
	v_fma_f64 v[32:33], v[32:33], v[6:7], v[38:39]
	v_fma_f64 v[6:7], v[30:31], v[6:7], -v[8:9]
	s_waitcnt vmcnt(3) lgkmcnt(1)
	v_mul_f64 v[44:45], v[2:3], v[12:13]
	v_mul_f64 v[12:13], v[4:5], v[12:13]
	v_add_f64 v[8:9], v[34:35], v[42:43]
	v_add_f64 v[30:31], v[36:37], v[40:41]
	s_waitcnt vmcnt(2) lgkmcnt(0)
	v_mul_f64 v[34:35], v[26:27], v[16:17]
	v_mul_f64 v[16:17], v[28:29], v[16:17]
	v_fma_f64 v[36:37], v[4:5], v[10:11], v[44:45]
	v_fma_f64 v[10:11], v[2:3], v[10:11], -v[12:13]
	v_add_f64 v[12:13], v[8:9], v[6:7]
	v_add_f64 v[30:31], v[30:31], v[32:33]
	ds_load_b128 v[2:5], v1 offset:1344
	ds_load_b128 v[6:9], v1 offset:1360
	v_fma_f64 v[28:29], v[28:29], v[14:15], v[34:35]
	v_fma_f64 v[14:15], v[26:27], v[14:15], -v[16:17]
	s_waitcnt vmcnt(1) lgkmcnt(1)
	v_mul_f64 v[32:33], v[2:3], v[20:21]
	v_mul_f64 v[20:21], v[4:5], v[20:21]
	s_waitcnt vmcnt(0) lgkmcnt(0)
	v_mul_f64 v[16:17], v[6:7], v[24:25]
	v_mul_f64 v[24:25], v[8:9], v[24:25]
	v_add_f64 v[10:11], v[12:13], v[10:11]
	v_add_f64 v[12:13], v[30:31], v[36:37]
	v_fma_f64 v[4:5], v[4:5], v[18:19], v[32:33]
	v_fma_f64 v[1:2], v[2:3], v[18:19], -v[20:21]
	v_fma_f64 v[8:9], v[8:9], v[22:23], v[16:17]
	v_fma_f64 v[6:7], v[6:7], v[22:23], -v[24:25]
	v_add_f64 v[10:11], v[10:11], v[14:15]
	v_add_f64 v[12:13], v[12:13], v[28:29]
	s_delay_alu instid0(VALU_DEP_2) | instskip(NEXT) | instid1(VALU_DEP_2)
	v_add_f64 v[1:2], v[10:11], v[1:2]
	v_add_f64 v[3:4], v[12:13], v[4:5]
	s_delay_alu instid0(VALU_DEP_2) | instskip(NEXT) | instid1(VALU_DEP_2)
	;; [unrolled: 3-line block ×3, first 2 shown]
	v_add_f64 v[1:2], v[176:177], -v[1:2]
	v_add_f64 v[3:4], v[178:179], -v[3:4]
	scratch_store_b128 off, v[1:4], off offset:256
	v_cmpx_lt_u32_e32 15, v132
	s_cbranch_execz .LBB106_241
; %bb.240:
	scratch_load_b128 v[1:4], v161, off
	v_mov_b32_e32 v5, 0
	s_delay_alu instid0(VALU_DEP_1)
	v_mov_b32_e32 v6, v5
	v_mov_b32_e32 v7, v5
	;; [unrolled: 1-line block ×3, first 2 shown]
	scratch_store_b128 off, v[5:8], off offset:240
	s_waitcnt vmcnt(0)
	ds_store_b128 v175, v[1:4]
.LBB106_241:
	s_or_b32 exec_lo, exec_lo, s2
	s_waitcnt lgkmcnt(0)
	s_waitcnt_vscnt null, 0x0
	s_barrier
	buffer_gl0_inv
	s_clause 0x7
	scratch_load_b128 v[2:5], off, off offset:256
	scratch_load_b128 v[6:9], off, off offset:272
	;; [unrolled: 1-line block ×8, first 2 shown]
	v_mov_b32_e32 v1, 0
	s_mov_b32 s2, exec_lo
	ds_load_b128 v[38:41], v1 offset:944
	s_clause 0x1
	scratch_load_b128 v[34:37], off, off offset:384
	scratch_load_b128 v[42:45], off, off offset:240
	ds_load_b128 v[176:179], v1 offset:960
	scratch_load_b128 v[180:183], off, off offset:400
	s_waitcnt vmcnt(10) lgkmcnt(1)
	v_mul_f64 v[184:185], v[40:41], v[4:5]
	v_mul_f64 v[4:5], v[38:39], v[4:5]
	s_delay_alu instid0(VALU_DEP_2) | instskip(NEXT) | instid1(VALU_DEP_2)
	v_fma_f64 v[190:191], v[38:39], v[2:3], -v[184:185]
	v_fma_f64 v[192:193], v[40:41], v[2:3], v[4:5]
	scratch_load_b128 v[38:41], off, off offset:416
	ds_load_b128 v[2:5], v1 offset:976
	s_waitcnt vmcnt(10) lgkmcnt(1)
	v_mul_f64 v[188:189], v[176:177], v[8:9]
	v_mul_f64 v[8:9], v[178:179], v[8:9]
	ds_load_b128 v[184:187], v1 offset:992
	s_waitcnt vmcnt(9) lgkmcnt(1)
	v_mul_f64 v[194:195], v[2:3], v[12:13]
	v_mul_f64 v[12:13], v[4:5], v[12:13]
	v_fma_f64 v[178:179], v[178:179], v[6:7], v[188:189]
	v_fma_f64 v[176:177], v[176:177], v[6:7], -v[8:9]
	v_add_f64 v[188:189], v[190:191], 0
	v_add_f64 v[190:191], v[192:193], 0
	scratch_load_b128 v[6:9], off, off offset:432
	v_fma_f64 v[194:195], v[4:5], v[10:11], v[194:195]
	v_fma_f64 v[196:197], v[2:3], v[10:11], -v[12:13]
	scratch_load_b128 v[10:13], off, off offset:448
	ds_load_b128 v[2:5], v1 offset:1008
	s_waitcnt vmcnt(10) lgkmcnt(1)
	v_mul_f64 v[192:193], v[184:185], v[16:17]
	v_mul_f64 v[16:17], v[186:187], v[16:17]
	v_add_f64 v[188:189], v[188:189], v[176:177]
	v_add_f64 v[190:191], v[190:191], v[178:179]
	s_waitcnt vmcnt(9) lgkmcnt(0)
	v_mul_f64 v[198:199], v[2:3], v[20:21]
	v_mul_f64 v[20:21], v[4:5], v[20:21]
	ds_load_b128 v[176:179], v1 offset:1024
	v_fma_f64 v[186:187], v[186:187], v[14:15], v[192:193]
	v_fma_f64 v[184:185], v[184:185], v[14:15], -v[16:17]
	scratch_load_b128 v[14:17], off, off offset:464
	v_add_f64 v[188:189], v[188:189], v[196:197]
	v_add_f64 v[190:191], v[190:191], v[194:195]
	v_fma_f64 v[194:195], v[4:5], v[18:19], v[198:199]
	v_fma_f64 v[196:197], v[2:3], v[18:19], -v[20:21]
	scratch_load_b128 v[18:21], off, off offset:480
	ds_load_b128 v[2:5], v1 offset:1040
	s_waitcnt vmcnt(10) lgkmcnt(1)
	v_mul_f64 v[192:193], v[176:177], v[24:25]
	v_mul_f64 v[24:25], v[178:179], v[24:25]
	s_waitcnt vmcnt(9) lgkmcnt(0)
	v_mul_f64 v[198:199], v[2:3], v[28:29]
	v_mul_f64 v[28:29], v[4:5], v[28:29]
	v_add_f64 v[188:189], v[188:189], v[184:185]
	v_add_f64 v[190:191], v[190:191], v[186:187]
	ds_load_b128 v[184:187], v1 offset:1056
	v_fma_f64 v[178:179], v[178:179], v[22:23], v[192:193]
	v_fma_f64 v[176:177], v[176:177], v[22:23], -v[24:25]
	scratch_load_b128 v[22:25], off, off offset:496
	v_add_f64 v[188:189], v[188:189], v[196:197]
	v_add_f64 v[190:191], v[190:191], v[194:195]
	v_fma_f64 v[194:195], v[4:5], v[26:27], v[198:199]
	v_fma_f64 v[196:197], v[2:3], v[26:27], -v[28:29]
	scratch_load_b128 v[26:29], off, off offset:512
	ds_load_b128 v[2:5], v1 offset:1072
	s_waitcnt vmcnt(10) lgkmcnt(1)
	v_mul_f64 v[192:193], v[184:185], v[32:33]
	v_mul_f64 v[32:33], v[186:187], v[32:33]
	s_waitcnt vmcnt(9) lgkmcnt(0)
	v_mul_f64 v[198:199], v[2:3], v[36:37]
	v_mul_f64 v[36:37], v[4:5], v[36:37]
	v_add_f64 v[188:189], v[188:189], v[176:177]
	v_add_f64 v[190:191], v[190:191], v[178:179]
	ds_load_b128 v[176:179], v1 offset:1088
	v_fma_f64 v[186:187], v[186:187], v[30:31], v[192:193]
	v_fma_f64 v[184:185], v[184:185], v[30:31], -v[32:33]
	scratch_load_b128 v[30:33], off, off offset:528
	v_add_f64 v[188:189], v[188:189], v[196:197]
	v_add_f64 v[190:191], v[190:191], v[194:195]
	v_fma_f64 v[196:197], v[4:5], v[34:35], v[198:199]
	v_fma_f64 v[198:199], v[2:3], v[34:35], -v[36:37]
	scratch_load_b128 v[34:37], off, off offset:544
	ds_load_b128 v[2:5], v1 offset:1104
	s_waitcnt vmcnt(9) lgkmcnt(1)
	v_mul_f64 v[192:193], v[176:177], v[182:183]
	v_mul_f64 v[194:195], v[178:179], v[182:183]
	v_add_f64 v[188:189], v[188:189], v[184:185]
	v_add_f64 v[186:187], v[190:191], v[186:187]
	ds_load_b128 v[182:185], v1 offset:1120
	v_fma_f64 v[192:193], v[178:179], v[180:181], v[192:193]
	v_fma_f64 v[180:181], v[176:177], v[180:181], -v[194:195]
	scratch_load_b128 v[176:179], off, off offset:560
	s_waitcnt vmcnt(9) lgkmcnt(1)
	v_mul_f64 v[190:191], v[2:3], v[40:41]
	v_mul_f64 v[40:41], v[4:5], v[40:41]
	v_add_f64 v[188:189], v[188:189], v[198:199]
	v_add_f64 v[186:187], v[186:187], v[196:197]
	s_delay_alu instid0(VALU_DEP_4) | instskip(NEXT) | instid1(VALU_DEP_4)
	v_fma_f64 v[190:191], v[4:5], v[38:39], v[190:191]
	v_fma_f64 v[196:197], v[2:3], v[38:39], -v[40:41]
	scratch_load_b128 v[38:41], off, off offset:576
	ds_load_b128 v[2:5], v1 offset:1136
	s_waitcnt vmcnt(9) lgkmcnt(1)
	v_mul_f64 v[194:195], v[182:183], v[8:9]
	v_mul_f64 v[8:9], v[184:185], v[8:9]
	s_waitcnt vmcnt(8) lgkmcnt(0)
	v_mul_f64 v[198:199], v[2:3], v[12:13]
	v_mul_f64 v[12:13], v[4:5], v[12:13]
	v_add_f64 v[180:181], v[188:189], v[180:181]
	v_add_f64 v[192:193], v[186:187], v[192:193]
	ds_load_b128 v[186:189], v1 offset:1152
	v_fma_f64 v[184:185], v[184:185], v[6:7], v[194:195]
	v_fma_f64 v[182:183], v[182:183], v[6:7], -v[8:9]
	scratch_load_b128 v[6:9], off, off offset:592
	v_fma_f64 v[194:195], v[4:5], v[10:11], v[198:199]
	v_add_f64 v[180:181], v[180:181], v[196:197]
	v_add_f64 v[190:191], v[192:193], v[190:191]
	v_fma_f64 v[196:197], v[2:3], v[10:11], -v[12:13]
	scratch_load_b128 v[10:13], off, off offset:608
	ds_load_b128 v[2:5], v1 offset:1168
	s_waitcnt vmcnt(9) lgkmcnt(1)
	v_mul_f64 v[192:193], v[186:187], v[16:17]
	v_mul_f64 v[16:17], v[188:189], v[16:17]
	v_add_f64 v[198:199], v[180:181], v[182:183]
	v_add_f64 v[184:185], v[190:191], v[184:185]
	s_waitcnt vmcnt(8) lgkmcnt(0)
	v_mul_f64 v[190:191], v[2:3], v[20:21]
	v_mul_f64 v[20:21], v[4:5], v[20:21]
	ds_load_b128 v[180:183], v1 offset:1184
	v_fma_f64 v[188:189], v[188:189], v[14:15], v[192:193]
	v_fma_f64 v[186:187], v[186:187], v[14:15], -v[16:17]
	scratch_load_b128 v[14:17], off, off offset:624
	v_add_f64 v[192:193], v[198:199], v[196:197]
	v_add_f64 v[184:185], v[184:185], v[194:195]
	v_fma_f64 v[190:191], v[4:5], v[18:19], v[190:191]
	v_fma_f64 v[196:197], v[2:3], v[18:19], -v[20:21]
	scratch_load_b128 v[18:21], off, off offset:640
	ds_load_b128 v[2:5], v1 offset:1200
	s_waitcnt vmcnt(9) lgkmcnt(1)
	v_mul_f64 v[194:195], v[180:181], v[24:25]
	v_mul_f64 v[24:25], v[182:183], v[24:25]
	s_waitcnt vmcnt(8) lgkmcnt(0)
	v_mul_f64 v[198:199], v[2:3], v[28:29]
	v_mul_f64 v[28:29], v[4:5], v[28:29]
	v_add_f64 v[192:193], v[192:193], v[186:187]
	v_add_f64 v[188:189], v[184:185], v[188:189]
	ds_load_b128 v[184:187], v1 offset:1216
	v_fma_f64 v[182:183], v[182:183], v[22:23], v[194:195]
	v_fma_f64 v[180:181], v[180:181], v[22:23], -v[24:25]
	scratch_load_b128 v[22:25], off, off offset:656
	v_fma_f64 v[194:195], v[4:5], v[26:27], v[198:199]
	v_add_f64 v[192:193], v[192:193], v[196:197]
	v_add_f64 v[188:189], v[188:189], v[190:191]
	v_fma_f64 v[196:197], v[2:3], v[26:27], -v[28:29]
	scratch_load_b128 v[26:29], off, off offset:672
	ds_load_b128 v[2:5], v1 offset:1232
	s_waitcnt vmcnt(9) lgkmcnt(1)
	v_mul_f64 v[190:191], v[184:185], v[32:33]
	v_mul_f64 v[32:33], v[186:187], v[32:33]
	s_waitcnt vmcnt(8) lgkmcnt(0)
	v_mul_f64 v[198:199], v[2:3], v[36:37]
	v_mul_f64 v[36:37], v[4:5], v[36:37]
	v_add_f64 v[192:193], v[192:193], v[180:181]
	v_add_f64 v[188:189], v[188:189], v[182:183]
	ds_load_b128 v[180:183], v1 offset:1248
	v_fma_f64 v[186:187], v[186:187], v[30:31], v[190:191]
	v_fma_f64 v[30:31], v[184:185], v[30:31], -v[32:33]
	v_fma_f64 v[190:191], v[4:5], v[34:35], v[198:199]
	v_fma_f64 v[34:35], v[2:3], v[34:35], -v[36:37]
	v_add_f64 v[32:33], v[192:193], v[196:197]
	v_add_f64 v[184:185], v[188:189], v[194:195]
	s_waitcnt vmcnt(7) lgkmcnt(0)
	v_mul_f64 v[188:189], v[180:181], v[178:179]
	v_mul_f64 v[178:179], v[182:183], v[178:179]
	s_delay_alu instid0(VALU_DEP_4) | instskip(NEXT) | instid1(VALU_DEP_4)
	v_add_f64 v[36:37], v[32:33], v[30:31]
	v_add_f64 v[184:185], v[184:185], v[186:187]
	ds_load_b128 v[2:5], v1 offset:1264
	ds_load_b128 v[30:33], v1 offset:1280
	v_fma_f64 v[182:183], v[182:183], v[176:177], v[188:189]
	v_fma_f64 v[176:177], v[180:181], v[176:177], -v[178:179]
	s_waitcnt vmcnt(6) lgkmcnt(1)
	v_mul_f64 v[186:187], v[2:3], v[40:41]
	v_mul_f64 v[40:41], v[4:5], v[40:41]
	s_waitcnt vmcnt(5) lgkmcnt(0)
	v_mul_f64 v[178:179], v[30:31], v[8:9]
	v_mul_f64 v[8:9], v[32:33], v[8:9]
	v_add_f64 v[34:35], v[36:37], v[34:35]
	v_add_f64 v[36:37], v[184:185], v[190:191]
	v_fma_f64 v[180:181], v[4:5], v[38:39], v[186:187]
	v_fma_f64 v[38:39], v[2:3], v[38:39], -v[40:41]
	v_fma_f64 v[32:33], v[32:33], v[6:7], v[178:179]
	v_fma_f64 v[6:7], v[30:31], v[6:7], -v[8:9]
	v_add_f64 v[40:41], v[34:35], v[176:177]
	v_add_f64 v[176:177], v[36:37], v[182:183]
	ds_load_b128 v[2:5], v1 offset:1296
	ds_load_b128 v[34:37], v1 offset:1312
	s_waitcnt vmcnt(4) lgkmcnt(1)
	v_mul_f64 v[182:183], v[2:3], v[12:13]
	v_mul_f64 v[12:13], v[4:5], v[12:13]
	v_add_f64 v[8:9], v[40:41], v[38:39]
	v_add_f64 v[30:31], v[176:177], v[180:181]
	s_waitcnt vmcnt(3) lgkmcnt(0)
	v_mul_f64 v[38:39], v[34:35], v[16:17]
	v_mul_f64 v[16:17], v[36:37], v[16:17]
	v_fma_f64 v[40:41], v[4:5], v[10:11], v[182:183]
	v_fma_f64 v[10:11], v[2:3], v[10:11], -v[12:13]
	v_add_f64 v[12:13], v[8:9], v[6:7]
	v_add_f64 v[30:31], v[30:31], v[32:33]
	ds_load_b128 v[2:5], v1 offset:1328
	ds_load_b128 v[6:9], v1 offset:1344
	v_fma_f64 v[36:37], v[36:37], v[14:15], v[38:39]
	v_fma_f64 v[14:15], v[34:35], v[14:15], -v[16:17]
	s_waitcnt vmcnt(2) lgkmcnt(1)
	v_mul_f64 v[32:33], v[2:3], v[20:21]
	v_mul_f64 v[20:21], v[4:5], v[20:21]
	s_waitcnt vmcnt(1) lgkmcnt(0)
	v_mul_f64 v[16:17], v[6:7], v[24:25]
	v_mul_f64 v[24:25], v[8:9], v[24:25]
	v_add_f64 v[10:11], v[12:13], v[10:11]
	v_add_f64 v[12:13], v[30:31], v[40:41]
	v_fma_f64 v[30:31], v[4:5], v[18:19], v[32:33]
	v_fma_f64 v[18:19], v[2:3], v[18:19], -v[20:21]
	ds_load_b128 v[2:5], v1 offset:1360
	v_fma_f64 v[8:9], v[8:9], v[22:23], v[16:17]
	v_fma_f64 v[6:7], v[6:7], v[22:23], -v[24:25]
	v_add_f64 v[10:11], v[10:11], v[14:15]
	v_add_f64 v[12:13], v[12:13], v[36:37]
	s_waitcnt vmcnt(0) lgkmcnt(0)
	v_mul_f64 v[14:15], v[2:3], v[28:29]
	v_mul_f64 v[20:21], v[4:5], v[28:29]
	s_delay_alu instid0(VALU_DEP_4) | instskip(NEXT) | instid1(VALU_DEP_4)
	v_add_f64 v[10:11], v[10:11], v[18:19]
	v_add_f64 v[12:13], v[12:13], v[30:31]
	s_delay_alu instid0(VALU_DEP_4) | instskip(NEXT) | instid1(VALU_DEP_4)
	v_fma_f64 v[4:5], v[4:5], v[26:27], v[14:15]
	v_fma_f64 v[2:3], v[2:3], v[26:27], -v[20:21]
	s_delay_alu instid0(VALU_DEP_4) | instskip(NEXT) | instid1(VALU_DEP_4)
	v_add_f64 v[6:7], v[10:11], v[6:7]
	v_add_f64 v[8:9], v[12:13], v[8:9]
	s_delay_alu instid0(VALU_DEP_2) | instskip(NEXT) | instid1(VALU_DEP_2)
	v_add_f64 v[2:3], v[6:7], v[2:3]
	v_add_f64 v[4:5], v[8:9], v[4:5]
	s_delay_alu instid0(VALU_DEP_2) | instskip(NEXT) | instid1(VALU_DEP_2)
	v_add_f64 v[2:3], v[42:43], -v[2:3]
	v_add_f64 v[4:5], v[44:45], -v[4:5]
	scratch_store_b128 off, v[2:5], off offset:240
	v_cmpx_lt_u32_e32 14, v132
	s_cbranch_execz .LBB106_243
; %bb.242:
	scratch_load_b128 v[5:8], v163, off
	v_mov_b32_e32 v2, v1
	v_mov_b32_e32 v3, v1
	;; [unrolled: 1-line block ×3, first 2 shown]
	scratch_store_b128 off, v[1:4], off offset:224
	s_waitcnt vmcnt(0)
	ds_store_b128 v175, v[5:8]
.LBB106_243:
	s_or_b32 exec_lo, exec_lo, s2
	s_waitcnt lgkmcnt(0)
	s_waitcnt_vscnt null, 0x0
	s_barrier
	buffer_gl0_inv
	s_clause 0x8
	scratch_load_b128 v[2:5], off, off offset:240
	scratch_load_b128 v[6:9], off, off offset:256
	;; [unrolled: 1-line block ×9, first 2 shown]
	ds_load_b128 v[42:45], v1 offset:928
	ds_load_b128 v[38:41], v1 offset:944
	s_clause 0x1
	scratch_load_b128 v[176:179], off, off offset:224
	scratch_load_b128 v[180:183], off, off offset:384
	s_mov_b32 s2, exec_lo
	s_waitcnt vmcnt(10) lgkmcnt(1)
	v_mul_f64 v[184:185], v[44:45], v[4:5]
	v_mul_f64 v[4:5], v[42:43], v[4:5]
	s_waitcnt vmcnt(9) lgkmcnt(0)
	v_mul_f64 v[188:189], v[38:39], v[8:9]
	v_mul_f64 v[8:9], v[40:41], v[8:9]
	s_delay_alu instid0(VALU_DEP_4) | instskip(NEXT) | instid1(VALU_DEP_4)
	v_fma_f64 v[190:191], v[42:43], v[2:3], -v[184:185]
	v_fma_f64 v[192:193], v[44:45], v[2:3], v[4:5]
	ds_load_b128 v[2:5], v1 offset:960
	ds_load_b128 v[184:187], v1 offset:976
	scratch_load_b128 v[42:45], off, off offset:400
	v_fma_f64 v[40:41], v[40:41], v[6:7], v[188:189]
	v_fma_f64 v[38:39], v[38:39], v[6:7], -v[8:9]
	scratch_load_b128 v[6:9], off, off offset:416
	s_waitcnt vmcnt(10) lgkmcnt(1)
	v_mul_f64 v[194:195], v[2:3], v[12:13]
	v_mul_f64 v[12:13], v[4:5], v[12:13]
	v_add_f64 v[188:189], v[190:191], 0
	v_add_f64 v[190:191], v[192:193], 0
	s_waitcnt vmcnt(9) lgkmcnt(0)
	v_mul_f64 v[192:193], v[184:185], v[16:17]
	v_mul_f64 v[16:17], v[186:187], v[16:17]
	v_fma_f64 v[194:195], v[4:5], v[10:11], v[194:195]
	v_fma_f64 v[196:197], v[2:3], v[10:11], -v[12:13]
	ds_load_b128 v[2:5], v1 offset:992
	scratch_load_b128 v[10:13], off, off offset:432
	v_add_f64 v[188:189], v[188:189], v[38:39]
	v_add_f64 v[190:191], v[190:191], v[40:41]
	ds_load_b128 v[38:41], v1 offset:1008
	v_fma_f64 v[186:187], v[186:187], v[14:15], v[192:193]
	v_fma_f64 v[184:185], v[184:185], v[14:15], -v[16:17]
	scratch_load_b128 v[14:17], off, off offset:448
	s_waitcnt vmcnt(10) lgkmcnt(1)
	v_mul_f64 v[198:199], v[2:3], v[20:21]
	v_mul_f64 v[20:21], v[4:5], v[20:21]
	s_waitcnt vmcnt(9) lgkmcnt(0)
	v_mul_f64 v[192:193], v[38:39], v[24:25]
	v_mul_f64 v[24:25], v[40:41], v[24:25]
	v_add_f64 v[188:189], v[188:189], v[196:197]
	v_add_f64 v[190:191], v[190:191], v[194:195]
	v_fma_f64 v[194:195], v[4:5], v[18:19], v[198:199]
	v_fma_f64 v[196:197], v[2:3], v[18:19], -v[20:21]
	ds_load_b128 v[2:5], v1 offset:1024
	scratch_load_b128 v[18:21], off, off offset:464
	v_fma_f64 v[40:41], v[40:41], v[22:23], v[192:193]
	v_fma_f64 v[38:39], v[38:39], v[22:23], -v[24:25]
	scratch_load_b128 v[22:25], off, off offset:480
	v_add_f64 v[188:189], v[188:189], v[184:185]
	v_add_f64 v[190:191], v[190:191], v[186:187]
	ds_load_b128 v[184:187], v1 offset:1040
	s_waitcnt vmcnt(10) lgkmcnt(1)
	v_mul_f64 v[198:199], v[2:3], v[28:29]
	v_mul_f64 v[28:29], v[4:5], v[28:29]
	s_waitcnt vmcnt(9) lgkmcnt(0)
	v_mul_f64 v[192:193], v[184:185], v[32:33]
	v_mul_f64 v[32:33], v[186:187], v[32:33]
	v_add_f64 v[188:189], v[188:189], v[196:197]
	v_add_f64 v[190:191], v[190:191], v[194:195]
	v_fma_f64 v[194:195], v[4:5], v[26:27], v[198:199]
	v_fma_f64 v[196:197], v[2:3], v[26:27], -v[28:29]
	ds_load_b128 v[2:5], v1 offset:1056
	scratch_load_b128 v[26:29], off, off offset:496
	v_fma_f64 v[186:187], v[186:187], v[30:31], v[192:193]
	v_fma_f64 v[184:185], v[184:185], v[30:31], -v[32:33]
	scratch_load_b128 v[30:33], off, off offset:512
	v_add_f64 v[188:189], v[188:189], v[38:39]
	v_add_f64 v[190:191], v[190:191], v[40:41]
	ds_load_b128 v[38:41], v1 offset:1072
	s_waitcnt vmcnt(10) lgkmcnt(1)
	v_mul_f64 v[198:199], v[2:3], v[36:37]
	v_mul_f64 v[36:37], v[4:5], v[36:37]
	s_waitcnt vmcnt(8) lgkmcnt(0)
	v_mul_f64 v[192:193], v[38:39], v[182:183]
	v_add_f64 v[188:189], v[188:189], v[196:197]
	v_add_f64 v[190:191], v[190:191], v[194:195]
	v_mul_f64 v[194:195], v[40:41], v[182:183]
	v_fma_f64 v[196:197], v[4:5], v[34:35], v[198:199]
	v_fma_f64 v[198:199], v[2:3], v[34:35], -v[36:37]
	ds_load_b128 v[2:5], v1 offset:1088
	scratch_load_b128 v[34:37], off, off offset:528
	v_fma_f64 v[192:193], v[40:41], v[180:181], v[192:193]
	v_add_f64 v[188:189], v[188:189], v[184:185]
	v_add_f64 v[186:187], v[190:191], v[186:187]
	ds_load_b128 v[182:185], v1 offset:1104
	v_fma_f64 v[180:181], v[38:39], v[180:181], -v[194:195]
	scratch_load_b128 v[38:41], off, off offset:544
	s_waitcnt vmcnt(9) lgkmcnt(1)
	v_mul_f64 v[190:191], v[2:3], v[44:45]
	v_mul_f64 v[44:45], v[4:5], v[44:45]
	s_waitcnt vmcnt(8) lgkmcnt(0)
	v_mul_f64 v[194:195], v[182:183], v[8:9]
	v_mul_f64 v[8:9], v[184:185], v[8:9]
	v_add_f64 v[188:189], v[188:189], v[198:199]
	v_add_f64 v[186:187], v[186:187], v[196:197]
	v_fma_f64 v[190:191], v[4:5], v[42:43], v[190:191]
	v_fma_f64 v[196:197], v[2:3], v[42:43], -v[44:45]
	ds_load_b128 v[2:5], v1 offset:1120
	scratch_load_b128 v[42:45], off, off offset:560
	v_fma_f64 v[184:185], v[184:185], v[6:7], v[194:195]
	v_fma_f64 v[182:183], v[182:183], v[6:7], -v[8:9]
	scratch_load_b128 v[6:9], off, off offset:576
	v_add_f64 v[180:181], v[188:189], v[180:181]
	v_add_f64 v[192:193], v[186:187], v[192:193]
	ds_load_b128 v[186:189], v1 offset:1136
	s_waitcnt vmcnt(9) lgkmcnt(1)
	v_mul_f64 v[198:199], v[2:3], v[12:13]
	v_mul_f64 v[12:13], v[4:5], v[12:13]
	v_add_f64 v[180:181], v[180:181], v[196:197]
	v_add_f64 v[190:191], v[192:193], v[190:191]
	s_waitcnt vmcnt(8) lgkmcnt(0)
	v_mul_f64 v[192:193], v[186:187], v[16:17]
	v_mul_f64 v[16:17], v[188:189], v[16:17]
	v_fma_f64 v[194:195], v[4:5], v[10:11], v[198:199]
	v_fma_f64 v[196:197], v[2:3], v[10:11], -v[12:13]
	ds_load_b128 v[2:5], v1 offset:1152
	scratch_load_b128 v[10:13], off, off offset:592
	v_add_f64 v[198:199], v[180:181], v[182:183]
	v_add_f64 v[184:185], v[190:191], v[184:185]
	ds_load_b128 v[180:183], v1 offset:1168
	s_waitcnt vmcnt(8) lgkmcnt(1)
	v_mul_f64 v[190:191], v[2:3], v[20:21]
	v_mul_f64 v[20:21], v[4:5], v[20:21]
	v_fma_f64 v[188:189], v[188:189], v[14:15], v[192:193]
	v_fma_f64 v[186:187], v[186:187], v[14:15], -v[16:17]
	scratch_load_b128 v[14:17], off, off offset:608
	v_add_f64 v[192:193], v[198:199], v[196:197]
	v_add_f64 v[184:185], v[184:185], v[194:195]
	s_waitcnt vmcnt(8) lgkmcnt(0)
	v_mul_f64 v[194:195], v[180:181], v[24:25]
	v_mul_f64 v[24:25], v[182:183], v[24:25]
	v_fma_f64 v[190:191], v[4:5], v[18:19], v[190:191]
	v_fma_f64 v[196:197], v[2:3], v[18:19], -v[20:21]
	ds_load_b128 v[2:5], v1 offset:1184
	scratch_load_b128 v[18:21], off, off offset:624
	v_add_f64 v[192:193], v[192:193], v[186:187]
	v_add_f64 v[188:189], v[184:185], v[188:189]
	ds_load_b128 v[184:187], v1 offset:1200
	s_waitcnt vmcnt(8) lgkmcnt(1)
	v_mul_f64 v[198:199], v[2:3], v[28:29]
	v_mul_f64 v[28:29], v[4:5], v[28:29]
	v_fma_f64 v[182:183], v[182:183], v[22:23], v[194:195]
	v_fma_f64 v[180:181], v[180:181], v[22:23], -v[24:25]
	scratch_load_b128 v[22:25], off, off offset:640
	;; [unrolled: 18-line block ×3, first 2 shown]
	v_add_f64 v[190:191], v[192:193], v[196:197]
	v_add_f64 v[188:189], v[188:189], v[194:195]
	s_waitcnt vmcnt(8) lgkmcnt(0)
	v_mul_f64 v[192:193], v[180:181], v[40:41]
	v_mul_f64 v[40:41], v[182:183], v[40:41]
	v_fma_f64 v[194:195], v[4:5], v[34:35], v[198:199]
	v_fma_f64 v[196:197], v[2:3], v[34:35], -v[36:37]
	ds_load_b128 v[2:5], v1 offset:1248
	ds_load_b128 v[34:37], v1 offset:1264
	v_add_f64 v[184:185], v[190:191], v[184:185]
	v_add_f64 v[186:187], v[188:189], v[186:187]
	s_waitcnt vmcnt(7) lgkmcnt(1)
	v_mul_f64 v[188:189], v[2:3], v[44:45]
	v_mul_f64 v[44:45], v[4:5], v[44:45]
	v_fma_f64 v[182:183], v[182:183], v[38:39], v[192:193]
	v_fma_f64 v[38:39], v[180:181], v[38:39], -v[40:41]
	v_add_f64 v[40:41], v[184:185], v[196:197]
	v_add_f64 v[180:181], v[186:187], v[194:195]
	s_waitcnt vmcnt(6) lgkmcnt(0)
	v_mul_f64 v[184:185], v[34:35], v[8:9]
	v_mul_f64 v[8:9], v[36:37], v[8:9]
	v_fma_f64 v[186:187], v[4:5], v[42:43], v[188:189]
	v_fma_f64 v[42:43], v[2:3], v[42:43], -v[44:45]
	v_add_f64 v[44:45], v[40:41], v[38:39]
	v_add_f64 v[180:181], v[180:181], v[182:183]
	ds_load_b128 v[2:5], v1 offset:1280
	ds_load_b128 v[38:41], v1 offset:1296
	v_fma_f64 v[36:37], v[36:37], v[6:7], v[184:185]
	v_fma_f64 v[6:7], v[34:35], v[6:7], -v[8:9]
	s_waitcnt vmcnt(5) lgkmcnt(1)
	v_mul_f64 v[182:183], v[2:3], v[12:13]
	v_mul_f64 v[12:13], v[4:5], v[12:13]
	v_add_f64 v[8:9], v[44:45], v[42:43]
	v_add_f64 v[34:35], v[180:181], v[186:187]
	s_waitcnt vmcnt(4) lgkmcnt(0)
	v_mul_f64 v[42:43], v[38:39], v[16:17]
	v_mul_f64 v[16:17], v[40:41], v[16:17]
	v_fma_f64 v[44:45], v[4:5], v[10:11], v[182:183]
	v_fma_f64 v[10:11], v[2:3], v[10:11], -v[12:13]
	v_add_f64 v[12:13], v[8:9], v[6:7]
	v_add_f64 v[34:35], v[34:35], v[36:37]
	ds_load_b128 v[2:5], v1 offset:1312
	ds_load_b128 v[6:9], v1 offset:1328
	v_fma_f64 v[40:41], v[40:41], v[14:15], v[42:43]
	v_fma_f64 v[14:15], v[38:39], v[14:15], -v[16:17]
	s_waitcnt vmcnt(3) lgkmcnt(1)
	v_mul_f64 v[36:37], v[2:3], v[20:21]
	v_mul_f64 v[20:21], v[4:5], v[20:21]
	s_waitcnt vmcnt(2) lgkmcnt(0)
	v_mul_f64 v[16:17], v[6:7], v[24:25]
	v_mul_f64 v[24:25], v[8:9], v[24:25]
	v_add_f64 v[10:11], v[12:13], v[10:11]
	v_add_f64 v[12:13], v[34:35], v[44:45]
	v_fma_f64 v[34:35], v[4:5], v[18:19], v[36:37]
	v_fma_f64 v[18:19], v[2:3], v[18:19], -v[20:21]
	v_fma_f64 v[8:9], v[8:9], v[22:23], v[16:17]
	v_fma_f64 v[6:7], v[6:7], v[22:23], -v[24:25]
	v_add_f64 v[14:15], v[10:11], v[14:15]
	v_add_f64 v[20:21], v[12:13], v[40:41]
	ds_load_b128 v[2:5], v1 offset:1344
	ds_load_b128 v[10:13], v1 offset:1360
	s_waitcnt vmcnt(1) lgkmcnt(1)
	v_mul_f64 v[36:37], v[2:3], v[28:29]
	v_mul_f64 v[28:29], v[4:5], v[28:29]
	v_add_f64 v[14:15], v[14:15], v[18:19]
	v_add_f64 v[16:17], v[20:21], v[34:35]
	s_waitcnt vmcnt(0) lgkmcnt(0)
	v_mul_f64 v[18:19], v[10:11], v[32:33]
	v_mul_f64 v[20:21], v[12:13], v[32:33]
	v_fma_f64 v[4:5], v[4:5], v[26:27], v[36:37]
	v_fma_f64 v[1:2], v[2:3], v[26:27], -v[28:29]
	v_add_f64 v[6:7], v[14:15], v[6:7]
	v_add_f64 v[8:9], v[16:17], v[8:9]
	v_fma_f64 v[12:13], v[12:13], v[30:31], v[18:19]
	v_fma_f64 v[10:11], v[10:11], v[30:31], -v[20:21]
	s_delay_alu instid0(VALU_DEP_4) | instskip(NEXT) | instid1(VALU_DEP_4)
	v_add_f64 v[1:2], v[6:7], v[1:2]
	v_add_f64 v[3:4], v[8:9], v[4:5]
	s_delay_alu instid0(VALU_DEP_2) | instskip(NEXT) | instid1(VALU_DEP_2)
	v_add_f64 v[1:2], v[1:2], v[10:11]
	v_add_f64 v[3:4], v[3:4], v[12:13]
	s_delay_alu instid0(VALU_DEP_2) | instskip(NEXT) | instid1(VALU_DEP_2)
	v_add_f64 v[1:2], v[176:177], -v[1:2]
	v_add_f64 v[3:4], v[178:179], -v[3:4]
	scratch_store_b128 off, v[1:4], off offset:224
	v_cmpx_lt_u32_e32 13, v132
	s_cbranch_execz .LBB106_245
; %bb.244:
	scratch_load_b128 v[1:4], v165, off
	v_mov_b32_e32 v5, 0
	s_delay_alu instid0(VALU_DEP_1)
	v_mov_b32_e32 v6, v5
	v_mov_b32_e32 v7, v5
	;; [unrolled: 1-line block ×3, first 2 shown]
	scratch_store_b128 off, v[5:8], off offset:208
	s_waitcnt vmcnt(0)
	ds_store_b128 v175, v[1:4]
.LBB106_245:
	s_or_b32 exec_lo, exec_lo, s2
	s_waitcnt lgkmcnt(0)
	s_waitcnt_vscnt null, 0x0
	s_barrier
	buffer_gl0_inv
	s_clause 0x7
	scratch_load_b128 v[2:5], off, off offset:224
	scratch_load_b128 v[6:9], off, off offset:240
	;; [unrolled: 1-line block ×8, first 2 shown]
	v_mov_b32_e32 v1, 0
	s_mov_b32 s2, exec_lo
	ds_load_b128 v[38:41], v1 offset:912
	s_clause 0x1
	scratch_load_b128 v[34:37], off, off offset:352
	scratch_load_b128 v[42:45], off, off offset:208
	ds_load_b128 v[176:179], v1 offset:928
	scratch_load_b128 v[180:183], off, off offset:368
	s_waitcnt vmcnt(10) lgkmcnt(1)
	v_mul_f64 v[184:185], v[40:41], v[4:5]
	v_mul_f64 v[4:5], v[38:39], v[4:5]
	s_delay_alu instid0(VALU_DEP_2) | instskip(NEXT) | instid1(VALU_DEP_2)
	v_fma_f64 v[190:191], v[38:39], v[2:3], -v[184:185]
	v_fma_f64 v[192:193], v[40:41], v[2:3], v[4:5]
	scratch_load_b128 v[38:41], off, off offset:384
	ds_load_b128 v[2:5], v1 offset:944
	s_waitcnt vmcnt(10) lgkmcnt(1)
	v_mul_f64 v[188:189], v[176:177], v[8:9]
	v_mul_f64 v[8:9], v[178:179], v[8:9]
	ds_load_b128 v[184:187], v1 offset:960
	s_waitcnt vmcnt(9) lgkmcnt(1)
	v_mul_f64 v[194:195], v[2:3], v[12:13]
	v_mul_f64 v[12:13], v[4:5], v[12:13]
	v_fma_f64 v[178:179], v[178:179], v[6:7], v[188:189]
	v_fma_f64 v[176:177], v[176:177], v[6:7], -v[8:9]
	v_add_f64 v[188:189], v[190:191], 0
	v_add_f64 v[190:191], v[192:193], 0
	scratch_load_b128 v[6:9], off, off offset:400
	v_fma_f64 v[194:195], v[4:5], v[10:11], v[194:195]
	v_fma_f64 v[196:197], v[2:3], v[10:11], -v[12:13]
	scratch_load_b128 v[10:13], off, off offset:416
	ds_load_b128 v[2:5], v1 offset:976
	s_waitcnt vmcnt(10) lgkmcnt(1)
	v_mul_f64 v[192:193], v[184:185], v[16:17]
	v_mul_f64 v[16:17], v[186:187], v[16:17]
	v_add_f64 v[188:189], v[188:189], v[176:177]
	v_add_f64 v[190:191], v[190:191], v[178:179]
	s_waitcnt vmcnt(9) lgkmcnt(0)
	v_mul_f64 v[198:199], v[2:3], v[20:21]
	v_mul_f64 v[20:21], v[4:5], v[20:21]
	ds_load_b128 v[176:179], v1 offset:992
	v_fma_f64 v[186:187], v[186:187], v[14:15], v[192:193]
	v_fma_f64 v[184:185], v[184:185], v[14:15], -v[16:17]
	scratch_load_b128 v[14:17], off, off offset:432
	v_add_f64 v[188:189], v[188:189], v[196:197]
	v_add_f64 v[190:191], v[190:191], v[194:195]
	v_fma_f64 v[194:195], v[4:5], v[18:19], v[198:199]
	v_fma_f64 v[196:197], v[2:3], v[18:19], -v[20:21]
	scratch_load_b128 v[18:21], off, off offset:448
	ds_load_b128 v[2:5], v1 offset:1008
	s_waitcnt vmcnt(10) lgkmcnt(1)
	v_mul_f64 v[192:193], v[176:177], v[24:25]
	v_mul_f64 v[24:25], v[178:179], v[24:25]
	s_waitcnt vmcnt(9) lgkmcnt(0)
	v_mul_f64 v[198:199], v[2:3], v[28:29]
	v_mul_f64 v[28:29], v[4:5], v[28:29]
	v_add_f64 v[188:189], v[188:189], v[184:185]
	v_add_f64 v[190:191], v[190:191], v[186:187]
	ds_load_b128 v[184:187], v1 offset:1024
	v_fma_f64 v[178:179], v[178:179], v[22:23], v[192:193]
	v_fma_f64 v[176:177], v[176:177], v[22:23], -v[24:25]
	scratch_load_b128 v[22:25], off, off offset:464
	v_add_f64 v[188:189], v[188:189], v[196:197]
	v_add_f64 v[190:191], v[190:191], v[194:195]
	v_fma_f64 v[194:195], v[4:5], v[26:27], v[198:199]
	v_fma_f64 v[196:197], v[2:3], v[26:27], -v[28:29]
	scratch_load_b128 v[26:29], off, off offset:480
	ds_load_b128 v[2:5], v1 offset:1040
	s_waitcnt vmcnt(10) lgkmcnt(1)
	v_mul_f64 v[192:193], v[184:185], v[32:33]
	v_mul_f64 v[32:33], v[186:187], v[32:33]
	s_waitcnt vmcnt(9) lgkmcnt(0)
	v_mul_f64 v[198:199], v[2:3], v[36:37]
	v_mul_f64 v[36:37], v[4:5], v[36:37]
	v_add_f64 v[188:189], v[188:189], v[176:177]
	v_add_f64 v[190:191], v[190:191], v[178:179]
	ds_load_b128 v[176:179], v1 offset:1056
	v_fma_f64 v[186:187], v[186:187], v[30:31], v[192:193]
	v_fma_f64 v[184:185], v[184:185], v[30:31], -v[32:33]
	scratch_load_b128 v[30:33], off, off offset:496
	v_add_f64 v[188:189], v[188:189], v[196:197]
	v_add_f64 v[190:191], v[190:191], v[194:195]
	v_fma_f64 v[196:197], v[4:5], v[34:35], v[198:199]
	v_fma_f64 v[198:199], v[2:3], v[34:35], -v[36:37]
	scratch_load_b128 v[34:37], off, off offset:512
	ds_load_b128 v[2:5], v1 offset:1072
	s_waitcnt vmcnt(9) lgkmcnt(1)
	v_mul_f64 v[192:193], v[176:177], v[182:183]
	v_mul_f64 v[194:195], v[178:179], v[182:183]
	v_add_f64 v[188:189], v[188:189], v[184:185]
	v_add_f64 v[186:187], v[190:191], v[186:187]
	ds_load_b128 v[182:185], v1 offset:1088
	v_fma_f64 v[192:193], v[178:179], v[180:181], v[192:193]
	v_fma_f64 v[180:181], v[176:177], v[180:181], -v[194:195]
	scratch_load_b128 v[176:179], off, off offset:528
	s_waitcnt vmcnt(9) lgkmcnt(1)
	v_mul_f64 v[190:191], v[2:3], v[40:41]
	v_mul_f64 v[40:41], v[4:5], v[40:41]
	v_add_f64 v[188:189], v[188:189], v[198:199]
	v_add_f64 v[186:187], v[186:187], v[196:197]
	s_delay_alu instid0(VALU_DEP_4) | instskip(NEXT) | instid1(VALU_DEP_4)
	v_fma_f64 v[190:191], v[4:5], v[38:39], v[190:191]
	v_fma_f64 v[196:197], v[2:3], v[38:39], -v[40:41]
	scratch_load_b128 v[38:41], off, off offset:544
	ds_load_b128 v[2:5], v1 offset:1104
	s_waitcnt vmcnt(9) lgkmcnt(1)
	v_mul_f64 v[194:195], v[182:183], v[8:9]
	v_mul_f64 v[8:9], v[184:185], v[8:9]
	s_waitcnt vmcnt(8) lgkmcnt(0)
	v_mul_f64 v[198:199], v[2:3], v[12:13]
	v_mul_f64 v[12:13], v[4:5], v[12:13]
	v_add_f64 v[180:181], v[188:189], v[180:181]
	v_add_f64 v[192:193], v[186:187], v[192:193]
	ds_load_b128 v[186:189], v1 offset:1120
	v_fma_f64 v[184:185], v[184:185], v[6:7], v[194:195]
	v_fma_f64 v[182:183], v[182:183], v[6:7], -v[8:9]
	scratch_load_b128 v[6:9], off, off offset:560
	v_fma_f64 v[194:195], v[4:5], v[10:11], v[198:199]
	v_add_f64 v[180:181], v[180:181], v[196:197]
	v_add_f64 v[190:191], v[192:193], v[190:191]
	v_fma_f64 v[196:197], v[2:3], v[10:11], -v[12:13]
	scratch_load_b128 v[10:13], off, off offset:576
	ds_load_b128 v[2:5], v1 offset:1136
	s_waitcnt vmcnt(9) lgkmcnt(1)
	v_mul_f64 v[192:193], v[186:187], v[16:17]
	v_mul_f64 v[16:17], v[188:189], v[16:17]
	v_add_f64 v[198:199], v[180:181], v[182:183]
	v_add_f64 v[184:185], v[190:191], v[184:185]
	s_waitcnt vmcnt(8) lgkmcnt(0)
	v_mul_f64 v[190:191], v[2:3], v[20:21]
	v_mul_f64 v[20:21], v[4:5], v[20:21]
	ds_load_b128 v[180:183], v1 offset:1152
	v_fma_f64 v[188:189], v[188:189], v[14:15], v[192:193]
	v_fma_f64 v[186:187], v[186:187], v[14:15], -v[16:17]
	scratch_load_b128 v[14:17], off, off offset:592
	v_add_f64 v[192:193], v[198:199], v[196:197]
	v_add_f64 v[184:185], v[184:185], v[194:195]
	v_fma_f64 v[190:191], v[4:5], v[18:19], v[190:191]
	v_fma_f64 v[196:197], v[2:3], v[18:19], -v[20:21]
	scratch_load_b128 v[18:21], off, off offset:608
	ds_load_b128 v[2:5], v1 offset:1168
	s_waitcnt vmcnt(9) lgkmcnt(1)
	v_mul_f64 v[194:195], v[180:181], v[24:25]
	v_mul_f64 v[24:25], v[182:183], v[24:25]
	s_waitcnt vmcnt(8) lgkmcnt(0)
	v_mul_f64 v[198:199], v[2:3], v[28:29]
	v_mul_f64 v[28:29], v[4:5], v[28:29]
	v_add_f64 v[192:193], v[192:193], v[186:187]
	v_add_f64 v[188:189], v[184:185], v[188:189]
	ds_load_b128 v[184:187], v1 offset:1184
	v_fma_f64 v[182:183], v[182:183], v[22:23], v[194:195]
	v_fma_f64 v[180:181], v[180:181], v[22:23], -v[24:25]
	scratch_load_b128 v[22:25], off, off offset:624
	v_fma_f64 v[194:195], v[4:5], v[26:27], v[198:199]
	v_add_f64 v[192:193], v[192:193], v[196:197]
	v_add_f64 v[188:189], v[188:189], v[190:191]
	v_fma_f64 v[196:197], v[2:3], v[26:27], -v[28:29]
	scratch_load_b128 v[26:29], off, off offset:640
	ds_load_b128 v[2:5], v1 offset:1200
	s_waitcnt vmcnt(9) lgkmcnt(1)
	v_mul_f64 v[190:191], v[184:185], v[32:33]
	v_mul_f64 v[32:33], v[186:187], v[32:33]
	s_waitcnt vmcnt(8) lgkmcnt(0)
	v_mul_f64 v[198:199], v[2:3], v[36:37]
	v_mul_f64 v[36:37], v[4:5], v[36:37]
	v_add_f64 v[192:193], v[192:193], v[180:181]
	v_add_f64 v[188:189], v[188:189], v[182:183]
	ds_load_b128 v[180:183], v1 offset:1216
	v_fma_f64 v[186:187], v[186:187], v[30:31], v[190:191]
	v_fma_f64 v[184:185], v[184:185], v[30:31], -v[32:33]
	scratch_load_b128 v[30:33], off, off offset:656
	v_add_f64 v[190:191], v[192:193], v[196:197]
	v_add_f64 v[188:189], v[188:189], v[194:195]
	v_fma_f64 v[194:195], v[4:5], v[34:35], v[198:199]
	v_fma_f64 v[196:197], v[2:3], v[34:35], -v[36:37]
	scratch_load_b128 v[34:37], off, off offset:672
	ds_load_b128 v[2:5], v1 offset:1232
	s_waitcnt vmcnt(9) lgkmcnt(1)
	v_mul_f64 v[192:193], v[180:181], v[178:179]
	v_mul_f64 v[178:179], v[182:183], v[178:179]
	s_waitcnt vmcnt(8) lgkmcnt(0)
	v_mul_f64 v[198:199], v[2:3], v[40:41]
	v_mul_f64 v[40:41], v[4:5], v[40:41]
	v_add_f64 v[190:191], v[190:191], v[184:185]
	v_add_f64 v[188:189], v[188:189], v[186:187]
	ds_load_b128 v[184:187], v1 offset:1248
	v_fma_f64 v[182:183], v[182:183], v[176:177], v[192:193]
	v_fma_f64 v[176:177], v[180:181], v[176:177], -v[178:179]
	v_fma_f64 v[192:193], v[2:3], v[38:39], -v[40:41]
	v_add_f64 v[178:179], v[190:191], v[196:197]
	v_add_f64 v[180:181], v[188:189], v[194:195]
	s_waitcnt vmcnt(7) lgkmcnt(0)
	v_mul_f64 v[188:189], v[184:185], v[8:9]
	v_mul_f64 v[8:9], v[186:187], v[8:9]
	v_fma_f64 v[190:191], v[4:5], v[38:39], v[198:199]
	ds_load_b128 v[2:5], v1 offset:1264
	ds_load_b128 v[38:41], v1 offset:1280
	v_add_f64 v[176:177], v[178:179], v[176:177]
	v_add_f64 v[178:179], v[180:181], v[182:183]
	s_waitcnt vmcnt(6) lgkmcnt(1)
	v_mul_f64 v[180:181], v[2:3], v[12:13]
	v_mul_f64 v[12:13], v[4:5], v[12:13]
	v_fma_f64 v[182:183], v[186:187], v[6:7], v[188:189]
	v_fma_f64 v[6:7], v[184:185], v[6:7], -v[8:9]
	v_add_f64 v[8:9], v[176:177], v[192:193]
	v_add_f64 v[176:177], v[178:179], v[190:191]
	s_waitcnt vmcnt(5) lgkmcnt(0)
	v_mul_f64 v[178:179], v[38:39], v[16:17]
	v_mul_f64 v[16:17], v[40:41], v[16:17]
	v_fma_f64 v[180:181], v[4:5], v[10:11], v[180:181]
	v_fma_f64 v[10:11], v[2:3], v[10:11], -v[12:13]
	v_add_f64 v[12:13], v[8:9], v[6:7]
	v_add_f64 v[176:177], v[176:177], v[182:183]
	ds_load_b128 v[2:5], v1 offset:1296
	ds_load_b128 v[6:9], v1 offset:1312
	v_fma_f64 v[40:41], v[40:41], v[14:15], v[178:179]
	v_fma_f64 v[14:15], v[38:39], v[14:15], -v[16:17]
	s_waitcnt vmcnt(4) lgkmcnt(1)
	v_mul_f64 v[182:183], v[2:3], v[20:21]
	v_mul_f64 v[20:21], v[4:5], v[20:21]
	s_waitcnt vmcnt(3) lgkmcnt(0)
	v_mul_f64 v[16:17], v[6:7], v[24:25]
	v_mul_f64 v[24:25], v[8:9], v[24:25]
	v_add_f64 v[10:11], v[12:13], v[10:11]
	v_add_f64 v[12:13], v[176:177], v[180:181]
	v_fma_f64 v[38:39], v[4:5], v[18:19], v[182:183]
	v_fma_f64 v[18:19], v[2:3], v[18:19], -v[20:21]
	v_fma_f64 v[8:9], v[8:9], v[22:23], v[16:17]
	v_fma_f64 v[6:7], v[6:7], v[22:23], -v[24:25]
	v_add_f64 v[14:15], v[10:11], v[14:15]
	v_add_f64 v[20:21], v[12:13], v[40:41]
	ds_load_b128 v[2:5], v1 offset:1328
	ds_load_b128 v[10:13], v1 offset:1344
	s_waitcnt vmcnt(2) lgkmcnt(1)
	v_mul_f64 v[40:41], v[2:3], v[28:29]
	v_mul_f64 v[28:29], v[4:5], v[28:29]
	v_add_f64 v[14:15], v[14:15], v[18:19]
	v_add_f64 v[16:17], v[20:21], v[38:39]
	s_waitcnt vmcnt(1) lgkmcnt(0)
	v_mul_f64 v[18:19], v[10:11], v[32:33]
	v_mul_f64 v[20:21], v[12:13], v[32:33]
	v_fma_f64 v[22:23], v[4:5], v[26:27], v[40:41]
	v_fma_f64 v[24:25], v[2:3], v[26:27], -v[28:29]
	ds_load_b128 v[2:5], v1 offset:1360
	v_add_f64 v[6:7], v[14:15], v[6:7]
	v_add_f64 v[8:9], v[16:17], v[8:9]
	v_fma_f64 v[12:13], v[12:13], v[30:31], v[18:19]
	v_fma_f64 v[10:11], v[10:11], v[30:31], -v[20:21]
	s_waitcnt vmcnt(0) lgkmcnt(0)
	v_mul_f64 v[14:15], v[2:3], v[36:37]
	v_mul_f64 v[16:17], v[4:5], v[36:37]
	v_add_f64 v[6:7], v[6:7], v[24:25]
	v_add_f64 v[8:9], v[8:9], v[22:23]
	s_delay_alu instid0(VALU_DEP_4) | instskip(NEXT) | instid1(VALU_DEP_4)
	v_fma_f64 v[4:5], v[4:5], v[34:35], v[14:15]
	v_fma_f64 v[2:3], v[2:3], v[34:35], -v[16:17]
	s_delay_alu instid0(VALU_DEP_4) | instskip(NEXT) | instid1(VALU_DEP_4)
	v_add_f64 v[6:7], v[6:7], v[10:11]
	v_add_f64 v[8:9], v[8:9], v[12:13]
	s_delay_alu instid0(VALU_DEP_2) | instskip(NEXT) | instid1(VALU_DEP_2)
	v_add_f64 v[2:3], v[6:7], v[2:3]
	v_add_f64 v[4:5], v[8:9], v[4:5]
	s_delay_alu instid0(VALU_DEP_2) | instskip(NEXT) | instid1(VALU_DEP_2)
	v_add_f64 v[2:3], v[42:43], -v[2:3]
	v_add_f64 v[4:5], v[44:45], -v[4:5]
	scratch_store_b128 off, v[2:5], off offset:208
	v_cmpx_lt_u32_e32 12, v132
	s_cbranch_execz .LBB106_247
; %bb.246:
	scratch_load_b128 v[5:8], v166, off
	v_mov_b32_e32 v2, v1
	v_mov_b32_e32 v3, v1
	;; [unrolled: 1-line block ×3, first 2 shown]
	scratch_store_b128 off, v[1:4], off offset:192
	s_waitcnt vmcnt(0)
	ds_store_b128 v175, v[5:8]
.LBB106_247:
	s_or_b32 exec_lo, exec_lo, s2
	s_waitcnt lgkmcnt(0)
	s_waitcnt_vscnt null, 0x0
	s_barrier
	buffer_gl0_inv
	s_clause 0x8
	scratch_load_b128 v[2:5], off, off offset:208
	scratch_load_b128 v[6:9], off, off offset:224
	;; [unrolled: 1-line block ×9, first 2 shown]
	ds_load_b128 v[42:45], v1 offset:896
	ds_load_b128 v[38:41], v1 offset:912
	s_clause 0x1
	scratch_load_b128 v[176:179], off, off offset:192
	scratch_load_b128 v[180:183], off, off offset:352
	s_mov_b32 s2, exec_lo
	s_waitcnt vmcnt(10) lgkmcnt(1)
	v_mul_f64 v[184:185], v[44:45], v[4:5]
	v_mul_f64 v[4:5], v[42:43], v[4:5]
	s_waitcnt vmcnt(9) lgkmcnt(0)
	v_mul_f64 v[188:189], v[38:39], v[8:9]
	v_mul_f64 v[8:9], v[40:41], v[8:9]
	s_delay_alu instid0(VALU_DEP_4) | instskip(NEXT) | instid1(VALU_DEP_4)
	v_fma_f64 v[190:191], v[42:43], v[2:3], -v[184:185]
	v_fma_f64 v[192:193], v[44:45], v[2:3], v[4:5]
	ds_load_b128 v[2:5], v1 offset:928
	ds_load_b128 v[184:187], v1 offset:944
	scratch_load_b128 v[42:45], off, off offset:368
	v_fma_f64 v[40:41], v[40:41], v[6:7], v[188:189]
	v_fma_f64 v[38:39], v[38:39], v[6:7], -v[8:9]
	scratch_load_b128 v[6:9], off, off offset:384
	s_waitcnt vmcnt(10) lgkmcnt(1)
	v_mul_f64 v[194:195], v[2:3], v[12:13]
	v_mul_f64 v[12:13], v[4:5], v[12:13]
	v_add_f64 v[188:189], v[190:191], 0
	v_add_f64 v[190:191], v[192:193], 0
	s_waitcnt vmcnt(9) lgkmcnt(0)
	v_mul_f64 v[192:193], v[184:185], v[16:17]
	v_mul_f64 v[16:17], v[186:187], v[16:17]
	v_fma_f64 v[194:195], v[4:5], v[10:11], v[194:195]
	v_fma_f64 v[196:197], v[2:3], v[10:11], -v[12:13]
	ds_load_b128 v[2:5], v1 offset:960
	scratch_load_b128 v[10:13], off, off offset:400
	v_add_f64 v[188:189], v[188:189], v[38:39]
	v_add_f64 v[190:191], v[190:191], v[40:41]
	ds_load_b128 v[38:41], v1 offset:976
	v_fma_f64 v[186:187], v[186:187], v[14:15], v[192:193]
	v_fma_f64 v[184:185], v[184:185], v[14:15], -v[16:17]
	scratch_load_b128 v[14:17], off, off offset:416
	s_waitcnt vmcnt(10) lgkmcnt(1)
	v_mul_f64 v[198:199], v[2:3], v[20:21]
	v_mul_f64 v[20:21], v[4:5], v[20:21]
	s_waitcnt vmcnt(9) lgkmcnt(0)
	v_mul_f64 v[192:193], v[38:39], v[24:25]
	v_mul_f64 v[24:25], v[40:41], v[24:25]
	v_add_f64 v[188:189], v[188:189], v[196:197]
	v_add_f64 v[190:191], v[190:191], v[194:195]
	v_fma_f64 v[194:195], v[4:5], v[18:19], v[198:199]
	v_fma_f64 v[196:197], v[2:3], v[18:19], -v[20:21]
	ds_load_b128 v[2:5], v1 offset:992
	scratch_load_b128 v[18:21], off, off offset:432
	v_fma_f64 v[40:41], v[40:41], v[22:23], v[192:193]
	v_fma_f64 v[38:39], v[38:39], v[22:23], -v[24:25]
	scratch_load_b128 v[22:25], off, off offset:448
	v_add_f64 v[188:189], v[188:189], v[184:185]
	v_add_f64 v[190:191], v[190:191], v[186:187]
	ds_load_b128 v[184:187], v1 offset:1008
	s_waitcnt vmcnt(10) lgkmcnt(1)
	v_mul_f64 v[198:199], v[2:3], v[28:29]
	v_mul_f64 v[28:29], v[4:5], v[28:29]
	s_waitcnt vmcnt(9) lgkmcnt(0)
	v_mul_f64 v[192:193], v[184:185], v[32:33]
	v_mul_f64 v[32:33], v[186:187], v[32:33]
	v_add_f64 v[188:189], v[188:189], v[196:197]
	v_add_f64 v[190:191], v[190:191], v[194:195]
	v_fma_f64 v[194:195], v[4:5], v[26:27], v[198:199]
	v_fma_f64 v[196:197], v[2:3], v[26:27], -v[28:29]
	ds_load_b128 v[2:5], v1 offset:1024
	scratch_load_b128 v[26:29], off, off offset:464
	v_fma_f64 v[186:187], v[186:187], v[30:31], v[192:193]
	v_fma_f64 v[184:185], v[184:185], v[30:31], -v[32:33]
	scratch_load_b128 v[30:33], off, off offset:480
	v_add_f64 v[188:189], v[188:189], v[38:39]
	v_add_f64 v[190:191], v[190:191], v[40:41]
	ds_load_b128 v[38:41], v1 offset:1040
	s_waitcnt vmcnt(10) lgkmcnt(1)
	v_mul_f64 v[198:199], v[2:3], v[36:37]
	v_mul_f64 v[36:37], v[4:5], v[36:37]
	s_waitcnt vmcnt(8) lgkmcnt(0)
	v_mul_f64 v[192:193], v[38:39], v[182:183]
	v_add_f64 v[188:189], v[188:189], v[196:197]
	v_add_f64 v[190:191], v[190:191], v[194:195]
	v_mul_f64 v[194:195], v[40:41], v[182:183]
	v_fma_f64 v[196:197], v[4:5], v[34:35], v[198:199]
	v_fma_f64 v[198:199], v[2:3], v[34:35], -v[36:37]
	ds_load_b128 v[2:5], v1 offset:1056
	scratch_load_b128 v[34:37], off, off offset:496
	v_fma_f64 v[192:193], v[40:41], v[180:181], v[192:193]
	v_add_f64 v[188:189], v[188:189], v[184:185]
	v_add_f64 v[186:187], v[190:191], v[186:187]
	ds_load_b128 v[182:185], v1 offset:1072
	v_fma_f64 v[180:181], v[38:39], v[180:181], -v[194:195]
	scratch_load_b128 v[38:41], off, off offset:512
	s_waitcnt vmcnt(9) lgkmcnt(1)
	v_mul_f64 v[190:191], v[2:3], v[44:45]
	v_mul_f64 v[44:45], v[4:5], v[44:45]
	s_waitcnt vmcnt(8) lgkmcnt(0)
	v_mul_f64 v[194:195], v[182:183], v[8:9]
	v_mul_f64 v[8:9], v[184:185], v[8:9]
	v_add_f64 v[188:189], v[188:189], v[198:199]
	v_add_f64 v[186:187], v[186:187], v[196:197]
	v_fma_f64 v[190:191], v[4:5], v[42:43], v[190:191]
	v_fma_f64 v[196:197], v[2:3], v[42:43], -v[44:45]
	ds_load_b128 v[2:5], v1 offset:1088
	scratch_load_b128 v[42:45], off, off offset:528
	v_fma_f64 v[184:185], v[184:185], v[6:7], v[194:195]
	v_fma_f64 v[182:183], v[182:183], v[6:7], -v[8:9]
	scratch_load_b128 v[6:9], off, off offset:544
	v_add_f64 v[180:181], v[188:189], v[180:181]
	v_add_f64 v[192:193], v[186:187], v[192:193]
	ds_load_b128 v[186:189], v1 offset:1104
	s_waitcnt vmcnt(9) lgkmcnt(1)
	v_mul_f64 v[198:199], v[2:3], v[12:13]
	v_mul_f64 v[12:13], v[4:5], v[12:13]
	v_add_f64 v[180:181], v[180:181], v[196:197]
	v_add_f64 v[190:191], v[192:193], v[190:191]
	s_waitcnt vmcnt(8) lgkmcnt(0)
	v_mul_f64 v[192:193], v[186:187], v[16:17]
	v_mul_f64 v[16:17], v[188:189], v[16:17]
	v_fma_f64 v[194:195], v[4:5], v[10:11], v[198:199]
	v_fma_f64 v[196:197], v[2:3], v[10:11], -v[12:13]
	ds_load_b128 v[2:5], v1 offset:1120
	scratch_load_b128 v[10:13], off, off offset:560
	v_add_f64 v[198:199], v[180:181], v[182:183]
	v_add_f64 v[184:185], v[190:191], v[184:185]
	ds_load_b128 v[180:183], v1 offset:1136
	s_waitcnt vmcnt(8) lgkmcnt(1)
	v_mul_f64 v[190:191], v[2:3], v[20:21]
	v_mul_f64 v[20:21], v[4:5], v[20:21]
	v_fma_f64 v[188:189], v[188:189], v[14:15], v[192:193]
	v_fma_f64 v[186:187], v[186:187], v[14:15], -v[16:17]
	scratch_load_b128 v[14:17], off, off offset:576
	v_add_f64 v[192:193], v[198:199], v[196:197]
	v_add_f64 v[184:185], v[184:185], v[194:195]
	s_waitcnt vmcnt(8) lgkmcnt(0)
	v_mul_f64 v[194:195], v[180:181], v[24:25]
	v_mul_f64 v[24:25], v[182:183], v[24:25]
	v_fma_f64 v[190:191], v[4:5], v[18:19], v[190:191]
	v_fma_f64 v[196:197], v[2:3], v[18:19], -v[20:21]
	ds_load_b128 v[2:5], v1 offset:1152
	scratch_load_b128 v[18:21], off, off offset:592
	v_add_f64 v[192:193], v[192:193], v[186:187]
	v_add_f64 v[188:189], v[184:185], v[188:189]
	ds_load_b128 v[184:187], v1 offset:1168
	s_waitcnt vmcnt(8) lgkmcnt(1)
	v_mul_f64 v[198:199], v[2:3], v[28:29]
	v_mul_f64 v[28:29], v[4:5], v[28:29]
	v_fma_f64 v[182:183], v[182:183], v[22:23], v[194:195]
	v_fma_f64 v[180:181], v[180:181], v[22:23], -v[24:25]
	scratch_load_b128 v[22:25], off, off offset:608
	;; [unrolled: 18-line block ×4, first 2 shown]
	s_waitcnt vmcnt(8) lgkmcnt(0)
	v_mul_f64 v[192:193], v[184:185], v[8:9]
	v_mul_f64 v[8:9], v[186:187], v[8:9]
	v_add_f64 v[190:191], v[190:191], v[196:197]
	v_add_f64 v[188:189], v[188:189], v[194:195]
	v_fma_f64 v[194:195], v[4:5], v[42:43], v[198:199]
	v_fma_f64 v[196:197], v[2:3], v[42:43], -v[44:45]
	ds_load_b128 v[2:5], v1 offset:1248
	ds_load_b128 v[42:45], v1 offset:1264
	v_fma_f64 v[186:187], v[186:187], v[6:7], v[192:193]
	v_fma_f64 v[6:7], v[184:185], v[6:7], -v[8:9]
	v_add_f64 v[180:181], v[190:191], v[180:181]
	v_add_f64 v[182:183], v[188:189], v[182:183]
	s_waitcnt vmcnt(7) lgkmcnt(1)
	v_mul_f64 v[188:189], v[2:3], v[12:13]
	v_mul_f64 v[12:13], v[4:5], v[12:13]
	s_delay_alu instid0(VALU_DEP_4) | instskip(NEXT) | instid1(VALU_DEP_4)
	v_add_f64 v[8:9], v[180:181], v[196:197]
	v_add_f64 v[180:181], v[182:183], v[194:195]
	s_waitcnt vmcnt(6) lgkmcnt(0)
	v_mul_f64 v[182:183], v[42:43], v[16:17]
	v_mul_f64 v[16:17], v[44:45], v[16:17]
	v_fma_f64 v[184:185], v[4:5], v[10:11], v[188:189]
	v_fma_f64 v[10:11], v[2:3], v[10:11], -v[12:13]
	v_add_f64 v[12:13], v[8:9], v[6:7]
	v_add_f64 v[180:181], v[180:181], v[186:187]
	ds_load_b128 v[2:5], v1 offset:1280
	ds_load_b128 v[6:9], v1 offset:1296
	v_fma_f64 v[44:45], v[44:45], v[14:15], v[182:183]
	v_fma_f64 v[14:15], v[42:43], v[14:15], -v[16:17]
	s_waitcnt vmcnt(5) lgkmcnt(1)
	v_mul_f64 v[186:187], v[2:3], v[20:21]
	v_mul_f64 v[20:21], v[4:5], v[20:21]
	s_waitcnt vmcnt(4) lgkmcnt(0)
	v_mul_f64 v[16:17], v[6:7], v[24:25]
	v_mul_f64 v[24:25], v[8:9], v[24:25]
	v_add_f64 v[10:11], v[12:13], v[10:11]
	v_add_f64 v[12:13], v[180:181], v[184:185]
	v_fma_f64 v[42:43], v[4:5], v[18:19], v[186:187]
	v_fma_f64 v[18:19], v[2:3], v[18:19], -v[20:21]
	v_fma_f64 v[8:9], v[8:9], v[22:23], v[16:17]
	v_fma_f64 v[6:7], v[6:7], v[22:23], -v[24:25]
	v_add_f64 v[14:15], v[10:11], v[14:15]
	v_add_f64 v[20:21], v[12:13], v[44:45]
	ds_load_b128 v[2:5], v1 offset:1312
	ds_load_b128 v[10:13], v1 offset:1328
	s_waitcnt vmcnt(3) lgkmcnt(1)
	v_mul_f64 v[44:45], v[2:3], v[28:29]
	v_mul_f64 v[28:29], v[4:5], v[28:29]
	v_add_f64 v[14:15], v[14:15], v[18:19]
	v_add_f64 v[16:17], v[20:21], v[42:43]
	s_waitcnt vmcnt(2) lgkmcnt(0)
	v_mul_f64 v[18:19], v[10:11], v[32:33]
	v_mul_f64 v[20:21], v[12:13], v[32:33]
	v_fma_f64 v[22:23], v[4:5], v[26:27], v[44:45]
	v_fma_f64 v[24:25], v[2:3], v[26:27], -v[28:29]
	v_add_f64 v[14:15], v[14:15], v[6:7]
	v_add_f64 v[16:17], v[16:17], v[8:9]
	ds_load_b128 v[2:5], v1 offset:1344
	ds_load_b128 v[6:9], v1 offset:1360
	v_fma_f64 v[12:13], v[12:13], v[30:31], v[18:19]
	v_fma_f64 v[10:11], v[10:11], v[30:31], -v[20:21]
	s_waitcnt vmcnt(1) lgkmcnt(1)
	v_mul_f64 v[26:27], v[2:3], v[36:37]
	v_mul_f64 v[28:29], v[4:5], v[36:37]
	s_waitcnt vmcnt(0) lgkmcnt(0)
	v_mul_f64 v[18:19], v[6:7], v[40:41]
	v_mul_f64 v[20:21], v[8:9], v[40:41]
	v_add_f64 v[14:15], v[14:15], v[24:25]
	v_add_f64 v[16:17], v[16:17], v[22:23]
	v_fma_f64 v[4:5], v[4:5], v[34:35], v[26:27]
	v_fma_f64 v[1:2], v[2:3], v[34:35], -v[28:29]
	v_fma_f64 v[8:9], v[8:9], v[38:39], v[18:19]
	v_fma_f64 v[6:7], v[6:7], v[38:39], -v[20:21]
	v_add_f64 v[10:11], v[14:15], v[10:11]
	v_add_f64 v[12:13], v[16:17], v[12:13]
	s_delay_alu instid0(VALU_DEP_2) | instskip(NEXT) | instid1(VALU_DEP_2)
	v_add_f64 v[1:2], v[10:11], v[1:2]
	v_add_f64 v[3:4], v[12:13], v[4:5]
	s_delay_alu instid0(VALU_DEP_2) | instskip(NEXT) | instid1(VALU_DEP_2)
	;; [unrolled: 3-line block ×3, first 2 shown]
	v_add_f64 v[1:2], v[176:177], -v[1:2]
	v_add_f64 v[3:4], v[178:179], -v[3:4]
	scratch_store_b128 off, v[1:4], off offset:192
	v_cmpx_lt_u32_e32 11, v132
	s_cbranch_execz .LBB106_249
; %bb.248:
	scratch_load_b128 v[1:4], v167, off
	v_mov_b32_e32 v5, 0
	s_delay_alu instid0(VALU_DEP_1)
	v_mov_b32_e32 v6, v5
	v_mov_b32_e32 v7, v5
	;; [unrolled: 1-line block ×3, first 2 shown]
	scratch_store_b128 off, v[5:8], off offset:176
	s_waitcnt vmcnt(0)
	ds_store_b128 v175, v[1:4]
.LBB106_249:
	s_or_b32 exec_lo, exec_lo, s2
	s_waitcnt lgkmcnt(0)
	s_waitcnt_vscnt null, 0x0
	s_barrier
	buffer_gl0_inv
	s_clause 0x7
	scratch_load_b128 v[2:5], off, off offset:192
	scratch_load_b128 v[6:9], off, off offset:208
	;; [unrolled: 1-line block ×8, first 2 shown]
	v_mov_b32_e32 v1, 0
	s_mov_b32 s2, exec_lo
	ds_load_b128 v[38:41], v1 offset:880
	s_clause 0x1
	scratch_load_b128 v[34:37], off, off offset:320
	scratch_load_b128 v[42:45], off, off offset:176
	ds_load_b128 v[176:179], v1 offset:896
	scratch_load_b128 v[180:183], off, off offset:336
	s_waitcnt vmcnt(10) lgkmcnt(1)
	v_mul_f64 v[184:185], v[40:41], v[4:5]
	v_mul_f64 v[4:5], v[38:39], v[4:5]
	s_delay_alu instid0(VALU_DEP_2) | instskip(NEXT) | instid1(VALU_DEP_2)
	v_fma_f64 v[190:191], v[38:39], v[2:3], -v[184:185]
	v_fma_f64 v[192:193], v[40:41], v[2:3], v[4:5]
	scratch_load_b128 v[38:41], off, off offset:352
	ds_load_b128 v[2:5], v1 offset:912
	s_waitcnt vmcnt(10) lgkmcnt(1)
	v_mul_f64 v[188:189], v[176:177], v[8:9]
	v_mul_f64 v[8:9], v[178:179], v[8:9]
	ds_load_b128 v[184:187], v1 offset:928
	s_waitcnt vmcnt(9) lgkmcnt(1)
	v_mul_f64 v[194:195], v[2:3], v[12:13]
	v_mul_f64 v[12:13], v[4:5], v[12:13]
	v_fma_f64 v[178:179], v[178:179], v[6:7], v[188:189]
	v_fma_f64 v[176:177], v[176:177], v[6:7], -v[8:9]
	v_add_f64 v[188:189], v[190:191], 0
	v_add_f64 v[190:191], v[192:193], 0
	scratch_load_b128 v[6:9], off, off offset:368
	v_fma_f64 v[194:195], v[4:5], v[10:11], v[194:195]
	v_fma_f64 v[196:197], v[2:3], v[10:11], -v[12:13]
	scratch_load_b128 v[10:13], off, off offset:384
	ds_load_b128 v[2:5], v1 offset:944
	s_waitcnt vmcnt(10) lgkmcnt(1)
	v_mul_f64 v[192:193], v[184:185], v[16:17]
	v_mul_f64 v[16:17], v[186:187], v[16:17]
	v_add_f64 v[188:189], v[188:189], v[176:177]
	v_add_f64 v[190:191], v[190:191], v[178:179]
	s_waitcnt vmcnt(9) lgkmcnt(0)
	v_mul_f64 v[198:199], v[2:3], v[20:21]
	v_mul_f64 v[20:21], v[4:5], v[20:21]
	ds_load_b128 v[176:179], v1 offset:960
	v_fma_f64 v[186:187], v[186:187], v[14:15], v[192:193]
	v_fma_f64 v[184:185], v[184:185], v[14:15], -v[16:17]
	scratch_load_b128 v[14:17], off, off offset:400
	v_add_f64 v[188:189], v[188:189], v[196:197]
	v_add_f64 v[190:191], v[190:191], v[194:195]
	v_fma_f64 v[194:195], v[4:5], v[18:19], v[198:199]
	v_fma_f64 v[196:197], v[2:3], v[18:19], -v[20:21]
	scratch_load_b128 v[18:21], off, off offset:416
	ds_load_b128 v[2:5], v1 offset:976
	s_waitcnt vmcnt(10) lgkmcnt(1)
	v_mul_f64 v[192:193], v[176:177], v[24:25]
	v_mul_f64 v[24:25], v[178:179], v[24:25]
	s_waitcnt vmcnt(9) lgkmcnt(0)
	v_mul_f64 v[198:199], v[2:3], v[28:29]
	v_mul_f64 v[28:29], v[4:5], v[28:29]
	v_add_f64 v[188:189], v[188:189], v[184:185]
	v_add_f64 v[190:191], v[190:191], v[186:187]
	ds_load_b128 v[184:187], v1 offset:992
	v_fma_f64 v[178:179], v[178:179], v[22:23], v[192:193]
	v_fma_f64 v[176:177], v[176:177], v[22:23], -v[24:25]
	scratch_load_b128 v[22:25], off, off offset:432
	v_add_f64 v[188:189], v[188:189], v[196:197]
	v_add_f64 v[190:191], v[190:191], v[194:195]
	v_fma_f64 v[194:195], v[4:5], v[26:27], v[198:199]
	v_fma_f64 v[196:197], v[2:3], v[26:27], -v[28:29]
	scratch_load_b128 v[26:29], off, off offset:448
	ds_load_b128 v[2:5], v1 offset:1008
	s_waitcnt vmcnt(10) lgkmcnt(1)
	v_mul_f64 v[192:193], v[184:185], v[32:33]
	v_mul_f64 v[32:33], v[186:187], v[32:33]
	s_waitcnt vmcnt(9) lgkmcnt(0)
	v_mul_f64 v[198:199], v[2:3], v[36:37]
	v_mul_f64 v[36:37], v[4:5], v[36:37]
	v_add_f64 v[188:189], v[188:189], v[176:177]
	v_add_f64 v[190:191], v[190:191], v[178:179]
	ds_load_b128 v[176:179], v1 offset:1024
	v_fma_f64 v[186:187], v[186:187], v[30:31], v[192:193]
	v_fma_f64 v[184:185], v[184:185], v[30:31], -v[32:33]
	scratch_load_b128 v[30:33], off, off offset:464
	v_add_f64 v[188:189], v[188:189], v[196:197]
	v_add_f64 v[190:191], v[190:191], v[194:195]
	v_fma_f64 v[196:197], v[4:5], v[34:35], v[198:199]
	v_fma_f64 v[198:199], v[2:3], v[34:35], -v[36:37]
	scratch_load_b128 v[34:37], off, off offset:480
	ds_load_b128 v[2:5], v1 offset:1040
	s_waitcnt vmcnt(9) lgkmcnt(1)
	v_mul_f64 v[192:193], v[176:177], v[182:183]
	v_mul_f64 v[194:195], v[178:179], v[182:183]
	v_add_f64 v[188:189], v[188:189], v[184:185]
	v_add_f64 v[186:187], v[190:191], v[186:187]
	ds_load_b128 v[182:185], v1 offset:1056
	v_fma_f64 v[192:193], v[178:179], v[180:181], v[192:193]
	v_fma_f64 v[180:181], v[176:177], v[180:181], -v[194:195]
	scratch_load_b128 v[176:179], off, off offset:496
	s_waitcnt vmcnt(9) lgkmcnt(1)
	v_mul_f64 v[190:191], v[2:3], v[40:41]
	v_mul_f64 v[40:41], v[4:5], v[40:41]
	v_add_f64 v[188:189], v[188:189], v[198:199]
	v_add_f64 v[186:187], v[186:187], v[196:197]
	s_delay_alu instid0(VALU_DEP_4) | instskip(NEXT) | instid1(VALU_DEP_4)
	v_fma_f64 v[190:191], v[4:5], v[38:39], v[190:191]
	v_fma_f64 v[196:197], v[2:3], v[38:39], -v[40:41]
	scratch_load_b128 v[38:41], off, off offset:512
	ds_load_b128 v[2:5], v1 offset:1072
	s_waitcnt vmcnt(9) lgkmcnt(1)
	v_mul_f64 v[194:195], v[182:183], v[8:9]
	v_mul_f64 v[8:9], v[184:185], v[8:9]
	s_waitcnt vmcnt(8) lgkmcnt(0)
	v_mul_f64 v[198:199], v[2:3], v[12:13]
	v_mul_f64 v[12:13], v[4:5], v[12:13]
	v_add_f64 v[180:181], v[188:189], v[180:181]
	v_add_f64 v[192:193], v[186:187], v[192:193]
	ds_load_b128 v[186:189], v1 offset:1088
	v_fma_f64 v[184:185], v[184:185], v[6:7], v[194:195]
	v_fma_f64 v[182:183], v[182:183], v[6:7], -v[8:9]
	scratch_load_b128 v[6:9], off, off offset:528
	v_fma_f64 v[194:195], v[4:5], v[10:11], v[198:199]
	v_add_f64 v[180:181], v[180:181], v[196:197]
	v_add_f64 v[190:191], v[192:193], v[190:191]
	v_fma_f64 v[196:197], v[2:3], v[10:11], -v[12:13]
	scratch_load_b128 v[10:13], off, off offset:544
	ds_load_b128 v[2:5], v1 offset:1104
	s_waitcnt vmcnt(9) lgkmcnt(1)
	v_mul_f64 v[192:193], v[186:187], v[16:17]
	v_mul_f64 v[16:17], v[188:189], v[16:17]
	v_add_f64 v[198:199], v[180:181], v[182:183]
	v_add_f64 v[184:185], v[190:191], v[184:185]
	s_waitcnt vmcnt(8) lgkmcnt(0)
	v_mul_f64 v[190:191], v[2:3], v[20:21]
	v_mul_f64 v[20:21], v[4:5], v[20:21]
	ds_load_b128 v[180:183], v1 offset:1120
	v_fma_f64 v[188:189], v[188:189], v[14:15], v[192:193]
	v_fma_f64 v[186:187], v[186:187], v[14:15], -v[16:17]
	scratch_load_b128 v[14:17], off, off offset:560
	v_add_f64 v[192:193], v[198:199], v[196:197]
	v_add_f64 v[184:185], v[184:185], v[194:195]
	v_fma_f64 v[190:191], v[4:5], v[18:19], v[190:191]
	v_fma_f64 v[196:197], v[2:3], v[18:19], -v[20:21]
	scratch_load_b128 v[18:21], off, off offset:576
	ds_load_b128 v[2:5], v1 offset:1136
	s_waitcnt vmcnt(9) lgkmcnt(1)
	v_mul_f64 v[194:195], v[180:181], v[24:25]
	v_mul_f64 v[24:25], v[182:183], v[24:25]
	s_waitcnt vmcnt(8) lgkmcnt(0)
	v_mul_f64 v[198:199], v[2:3], v[28:29]
	v_mul_f64 v[28:29], v[4:5], v[28:29]
	v_add_f64 v[192:193], v[192:193], v[186:187]
	v_add_f64 v[188:189], v[184:185], v[188:189]
	ds_load_b128 v[184:187], v1 offset:1152
	v_fma_f64 v[182:183], v[182:183], v[22:23], v[194:195]
	v_fma_f64 v[180:181], v[180:181], v[22:23], -v[24:25]
	scratch_load_b128 v[22:25], off, off offset:592
	v_fma_f64 v[194:195], v[4:5], v[26:27], v[198:199]
	v_add_f64 v[192:193], v[192:193], v[196:197]
	v_add_f64 v[188:189], v[188:189], v[190:191]
	v_fma_f64 v[196:197], v[2:3], v[26:27], -v[28:29]
	scratch_load_b128 v[26:29], off, off offset:608
	ds_load_b128 v[2:5], v1 offset:1168
	s_waitcnt vmcnt(9) lgkmcnt(1)
	v_mul_f64 v[190:191], v[184:185], v[32:33]
	v_mul_f64 v[32:33], v[186:187], v[32:33]
	s_waitcnt vmcnt(8) lgkmcnt(0)
	v_mul_f64 v[198:199], v[2:3], v[36:37]
	v_mul_f64 v[36:37], v[4:5], v[36:37]
	v_add_f64 v[192:193], v[192:193], v[180:181]
	v_add_f64 v[188:189], v[188:189], v[182:183]
	ds_load_b128 v[180:183], v1 offset:1184
	v_fma_f64 v[186:187], v[186:187], v[30:31], v[190:191]
	v_fma_f64 v[184:185], v[184:185], v[30:31], -v[32:33]
	scratch_load_b128 v[30:33], off, off offset:624
	v_add_f64 v[190:191], v[192:193], v[196:197]
	v_add_f64 v[188:189], v[188:189], v[194:195]
	v_fma_f64 v[194:195], v[4:5], v[34:35], v[198:199]
	v_fma_f64 v[196:197], v[2:3], v[34:35], -v[36:37]
	scratch_load_b128 v[34:37], off, off offset:640
	ds_load_b128 v[2:5], v1 offset:1200
	s_waitcnt vmcnt(9) lgkmcnt(1)
	v_mul_f64 v[192:193], v[180:181], v[178:179]
	v_mul_f64 v[178:179], v[182:183], v[178:179]
	s_waitcnt vmcnt(8) lgkmcnt(0)
	v_mul_f64 v[198:199], v[2:3], v[40:41]
	v_mul_f64 v[40:41], v[4:5], v[40:41]
	v_add_f64 v[190:191], v[190:191], v[184:185]
	v_add_f64 v[188:189], v[188:189], v[186:187]
	ds_load_b128 v[184:187], v1 offset:1216
	v_fma_f64 v[182:183], v[182:183], v[176:177], v[192:193]
	v_fma_f64 v[180:181], v[180:181], v[176:177], -v[178:179]
	scratch_load_b128 v[176:179], off, off offset:656
	v_add_f64 v[190:191], v[190:191], v[196:197]
	v_add_f64 v[188:189], v[188:189], v[194:195]
	v_fma_f64 v[194:195], v[4:5], v[38:39], v[198:199]
	v_fma_f64 v[196:197], v[2:3], v[38:39], -v[40:41]
	scratch_load_b128 v[38:41], off, off offset:672
	ds_load_b128 v[2:5], v1 offset:1232
	s_waitcnt vmcnt(9) lgkmcnt(1)
	v_mul_f64 v[192:193], v[184:185], v[8:9]
	v_mul_f64 v[8:9], v[186:187], v[8:9]
	s_waitcnt vmcnt(8) lgkmcnt(0)
	v_mul_f64 v[198:199], v[2:3], v[12:13]
	v_mul_f64 v[12:13], v[4:5], v[12:13]
	v_add_f64 v[190:191], v[190:191], v[180:181]
	v_add_f64 v[188:189], v[188:189], v[182:183]
	ds_load_b128 v[180:183], v1 offset:1248
	v_fma_f64 v[186:187], v[186:187], v[6:7], v[192:193]
	v_fma_f64 v[6:7], v[184:185], v[6:7], -v[8:9]
	v_add_f64 v[8:9], v[190:191], v[196:197]
	v_add_f64 v[184:185], v[188:189], v[194:195]
	s_waitcnt vmcnt(7) lgkmcnt(0)
	v_mul_f64 v[188:189], v[180:181], v[16:17]
	v_mul_f64 v[16:17], v[182:183], v[16:17]
	v_fma_f64 v[190:191], v[4:5], v[10:11], v[198:199]
	v_fma_f64 v[10:11], v[2:3], v[10:11], -v[12:13]
	v_add_f64 v[12:13], v[8:9], v[6:7]
	v_add_f64 v[184:185], v[184:185], v[186:187]
	ds_load_b128 v[2:5], v1 offset:1264
	ds_load_b128 v[6:9], v1 offset:1280
	v_fma_f64 v[182:183], v[182:183], v[14:15], v[188:189]
	v_fma_f64 v[14:15], v[180:181], v[14:15], -v[16:17]
	s_waitcnt vmcnt(6) lgkmcnt(1)
	v_mul_f64 v[186:187], v[2:3], v[20:21]
	v_mul_f64 v[20:21], v[4:5], v[20:21]
	s_waitcnt vmcnt(5) lgkmcnt(0)
	v_mul_f64 v[16:17], v[6:7], v[24:25]
	v_mul_f64 v[24:25], v[8:9], v[24:25]
	v_add_f64 v[10:11], v[12:13], v[10:11]
	v_add_f64 v[12:13], v[184:185], v[190:191]
	v_fma_f64 v[180:181], v[4:5], v[18:19], v[186:187]
	v_fma_f64 v[18:19], v[2:3], v[18:19], -v[20:21]
	v_fma_f64 v[8:9], v[8:9], v[22:23], v[16:17]
	v_fma_f64 v[6:7], v[6:7], v[22:23], -v[24:25]
	v_add_f64 v[14:15], v[10:11], v[14:15]
	v_add_f64 v[20:21], v[12:13], v[182:183]
	ds_load_b128 v[2:5], v1 offset:1296
	ds_load_b128 v[10:13], v1 offset:1312
	s_waitcnt vmcnt(4) lgkmcnt(1)
	v_mul_f64 v[182:183], v[2:3], v[28:29]
	v_mul_f64 v[28:29], v[4:5], v[28:29]
	v_add_f64 v[14:15], v[14:15], v[18:19]
	v_add_f64 v[16:17], v[20:21], v[180:181]
	s_waitcnt vmcnt(3) lgkmcnt(0)
	v_mul_f64 v[18:19], v[10:11], v[32:33]
	v_mul_f64 v[20:21], v[12:13], v[32:33]
	v_fma_f64 v[22:23], v[4:5], v[26:27], v[182:183]
	v_fma_f64 v[24:25], v[2:3], v[26:27], -v[28:29]
	v_add_f64 v[14:15], v[14:15], v[6:7]
	v_add_f64 v[16:17], v[16:17], v[8:9]
	ds_load_b128 v[2:5], v1 offset:1328
	ds_load_b128 v[6:9], v1 offset:1344
	v_fma_f64 v[12:13], v[12:13], v[30:31], v[18:19]
	v_fma_f64 v[10:11], v[10:11], v[30:31], -v[20:21]
	s_waitcnt vmcnt(2) lgkmcnt(1)
	v_mul_f64 v[26:27], v[2:3], v[36:37]
	v_mul_f64 v[28:29], v[4:5], v[36:37]
	s_waitcnt vmcnt(1) lgkmcnt(0)
	v_mul_f64 v[18:19], v[6:7], v[178:179]
	v_mul_f64 v[20:21], v[8:9], v[178:179]
	v_add_f64 v[14:15], v[14:15], v[24:25]
	v_add_f64 v[16:17], v[16:17], v[22:23]
	v_fma_f64 v[22:23], v[4:5], v[34:35], v[26:27]
	v_fma_f64 v[24:25], v[2:3], v[34:35], -v[28:29]
	ds_load_b128 v[2:5], v1 offset:1360
	v_fma_f64 v[8:9], v[8:9], v[176:177], v[18:19]
	v_fma_f64 v[6:7], v[6:7], v[176:177], -v[20:21]
	v_add_f64 v[10:11], v[14:15], v[10:11]
	v_add_f64 v[12:13], v[16:17], v[12:13]
	s_waitcnt vmcnt(0) lgkmcnt(0)
	v_mul_f64 v[14:15], v[2:3], v[40:41]
	v_mul_f64 v[16:17], v[4:5], v[40:41]
	s_delay_alu instid0(VALU_DEP_4) | instskip(NEXT) | instid1(VALU_DEP_4)
	v_add_f64 v[10:11], v[10:11], v[24:25]
	v_add_f64 v[12:13], v[12:13], v[22:23]
	s_delay_alu instid0(VALU_DEP_4) | instskip(NEXT) | instid1(VALU_DEP_4)
	v_fma_f64 v[4:5], v[4:5], v[38:39], v[14:15]
	v_fma_f64 v[2:3], v[2:3], v[38:39], -v[16:17]
	s_delay_alu instid0(VALU_DEP_4) | instskip(NEXT) | instid1(VALU_DEP_4)
	v_add_f64 v[6:7], v[10:11], v[6:7]
	v_add_f64 v[8:9], v[12:13], v[8:9]
	s_delay_alu instid0(VALU_DEP_2) | instskip(NEXT) | instid1(VALU_DEP_2)
	v_add_f64 v[2:3], v[6:7], v[2:3]
	v_add_f64 v[4:5], v[8:9], v[4:5]
	s_delay_alu instid0(VALU_DEP_2) | instskip(NEXT) | instid1(VALU_DEP_2)
	v_add_f64 v[2:3], v[42:43], -v[2:3]
	v_add_f64 v[4:5], v[44:45], -v[4:5]
	scratch_store_b128 off, v[2:5], off offset:176
	v_cmpx_lt_u32_e32 10, v132
	s_cbranch_execz .LBB106_251
; %bb.250:
	scratch_load_b128 v[5:8], v169, off
	v_mov_b32_e32 v2, v1
	v_mov_b32_e32 v3, v1
	;; [unrolled: 1-line block ×3, first 2 shown]
	scratch_store_b128 off, v[1:4], off offset:160
	s_waitcnt vmcnt(0)
	ds_store_b128 v175, v[5:8]
.LBB106_251:
	s_or_b32 exec_lo, exec_lo, s2
	s_waitcnt lgkmcnt(0)
	s_waitcnt_vscnt null, 0x0
	s_barrier
	buffer_gl0_inv
	s_clause 0x8
	scratch_load_b128 v[2:5], off, off offset:176
	scratch_load_b128 v[6:9], off, off offset:192
	;; [unrolled: 1-line block ×9, first 2 shown]
	ds_load_b128 v[42:45], v1 offset:864
	ds_load_b128 v[38:41], v1 offset:880
	s_clause 0x1
	scratch_load_b128 v[176:179], off, off offset:160
	scratch_load_b128 v[180:183], off, off offset:320
	s_mov_b32 s2, exec_lo
	s_waitcnt vmcnt(10) lgkmcnt(1)
	v_mul_f64 v[184:185], v[44:45], v[4:5]
	v_mul_f64 v[4:5], v[42:43], v[4:5]
	s_waitcnt vmcnt(9) lgkmcnt(0)
	v_mul_f64 v[188:189], v[38:39], v[8:9]
	v_mul_f64 v[8:9], v[40:41], v[8:9]
	s_delay_alu instid0(VALU_DEP_4) | instskip(NEXT) | instid1(VALU_DEP_4)
	v_fma_f64 v[190:191], v[42:43], v[2:3], -v[184:185]
	v_fma_f64 v[192:193], v[44:45], v[2:3], v[4:5]
	ds_load_b128 v[2:5], v1 offset:896
	ds_load_b128 v[184:187], v1 offset:912
	scratch_load_b128 v[42:45], off, off offset:336
	v_fma_f64 v[40:41], v[40:41], v[6:7], v[188:189]
	v_fma_f64 v[38:39], v[38:39], v[6:7], -v[8:9]
	scratch_load_b128 v[6:9], off, off offset:352
	s_waitcnt vmcnt(10) lgkmcnt(1)
	v_mul_f64 v[194:195], v[2:3], v[12:13]
	v_mul_f64 v[12:13], v[4:5], v[12:13]
	v_add_f64 v[188:189], v[190:191], 0
	v_add_f64 v[190:191], v[192:193], 0
	s_waitcnt vmcnt(9) lgkmcnt(0)
	v_mul_f64 v[192:193], v[184:185], v[16:17]
	v_mul_f64 v[16:17], v[186:187], v[16:17]
	v_fma_f64 v[194:195], v[4:5], v[10:11], v[194:195]
	v_fma_f64 v[196:197], v[2:3], v[10:11], -v[12:13]
	ds_load_b128 v[2:5], v1 offset:928
	scratch_load_b128 v[10:13], off, off offset:368
	v_add_f64 v[188:189], v[188:189], v[38:39]
	v_add_f64 v[190:191], v[190:191], v[40:41]
	ds_load_b128 v[38:41], v1 offset:944
	v_fma_f64 v[186:187], v[186:187], v[14:15], v[192:193]
	v_fma_f64 v[184:185], v[184:185], v[14:15], -v[16:17]
	scratch_load_b128 v[14:17], off, off offset:384
	s_waitcnt vmcnt(10) lgkmcnt(1)
	v_mul_f64 v[198:199], v[2:3], v[20:21]
	v_mul_f64 v[20:21], v[4:5], v[20:21]
	s_waitcnt vmcnt(9) lgkmcnt(0)
	v_mul_f64 v[192:193], v[38:39], v[24:25]
	v_mul_f64 v[24:25], v[40:41], v[24:25]
	v_add_f64 v[188:189], v[188:189], v[196:197]
	v_add_f64 v[190:191], v[190:191], v[194:195]
	v_fma_f64 v[194:195], v[4:5], v[18:19], v[198:199]
	v_fma_f64 v[196:197], v[2:3], v[18:19], -v[20:21]
	ds_load_b128 v[2:5], v1 offset:960
	scratch_load_b128 v[18:21], off, off offset:400
	v_fma_f64 v[40:41], v[40:41], v[22:23], v[192:193]
	v_fma_f64 v[38:39], v[38:39], v[22:23], -v[24:25]
	scratch_load_b128 v[22:25], off, off offset:416
	v_add_f64 v[188:189], v[188:189], v[184:185]
	v_add_f64 v[190:191], v[190:191], v[186:187]
	ds_load_b128 v[184:187], v1 offset:976
	s_waitcnt vmcnt(10) lgkmcnt(1)
	v_mul_f64 v[198:199], v[2:3], v[28:29]
	v_mul_f64 v[28:29], v[4:5], v[28:29]
	s_waitcnt vmcnt(9) lgkmcnt(0)
	v_mul_f64 v[192:193], v[184:185], v[32:33]
	v_mul_f64 v[32:33], v[186:187], v[32:33]
	v_add_f64 v[188:189], v[188:189], v[196:197]
	v_add_f64 v[190:191], v[190:191], v[194:195]
	v_fma_f64 v[194:195], v[4:5], v[26:27], v[198:199]
	v_fma_f64 v[196:197], v[2:3], v[26:27], -v[28:29]
	ds_load_b128 v[2:5], v1 offset:992
	scratch_load_b128 v[26:29], off, off offset:432
	v_fma_f64 v[186:187], v[186:187], v[30:31], v[192:193]
	v_fma_f64 v[184:185], v[184:185], v[30:31], -v[32:33]
	scratch_load_b128 v[30:33], off, off offset:448
	v_add_f64 v[188:189], v[188:189], v[38:39]
	v_add_f64 v[190:191], v[190:191], v[40:41]
	ds_load_b128 v[38:41], v1 offset:1008
	s_waitcnt vmcnt(10) lgkmcnt(1)
	v_mul_f64 v[198:199], v[2:3], v[36:37]
	v_mul_f64 v[36:37], v[4:5], v[36:37]
	s_waitcnt vmcnt(8) lgkmcnt(0)
	v_mul_f64 v[192:193], v[38:39], v[182:183]
	v_add_f64 v[188:189], v[188:189], v[196:197]
	v_add_f64 v[190:191], v[190:191], v[194:195]
	v_mul_f64 v[194:195], v[40:41], v[182:183]
	v_fma_f64 v[196:197], v[4:5], v[34:35], v[198:199]
	v_fma_f64 v[198:199], v[2:3], v[34:35], -v[36:37]
	ds_load_b128 v[2:5], v1 offset:1024
	scratch_load_b128 v[34:37], off, off offset:464
	v_fma_f64 v[192:193], v[40:41], v[180:181], v[192:193]
	v_add_f64 v[188:189], v[188:189], v[184:185]
	v_add_f64 v[186:187], v[190:191], v[186:187]
	ds_load_b128 v[182:185], v1 offset:1040
	v_fma_f64 v[180:181], v[38:39], v[180:181], -v[194:195]
	scratch_load_b128 v[38:41], off, off offset:480
	s_waitcnt vmcnt(9) lgkmcnt(1)
	v_mul_f64 v[190:191], v[2:3], v[44:45]
	v_mul_f64 v[44:45], v[4:5], v[44:45]
	s_waitcnt vmcnt(8) lgkmcnt(0)
	v_mul_f64 v[194:195], v[182:183], v[8:9]
	v_mul_f64 v[8:9], v[184:185], v[8:9]
	v_add_f64 v[188:189], v[188:189], v[198:199]
	v_add_f64 v[186:187], v[186:187], v[196:197]
	v_fma_f64 v[190:191], v[4:5], v[42:43], v[190:191]
	v_fma_f64 v[196:197], v[2:3], v[42:43], -v[44:45]
	ds_load_b128 v[2:5], v1 offset:1056
	scratch_load_b128 v[42:45], off, off offset:496
	v_fma_f64 v[184:185], v[184:185], v[6:7], v[194:195]
	v_fma_f64 v[182:183], v[182:183], v[6:7], -v[8:9]
	scratch_load_b128 v[6:9], off, off offset:512
	v_add_f64 v[180:181], v[188:189], v[180:181]
	v_add_f64 v[192:193], v[186:187], v[192:193]
	ds_load_b128 v[186:189], v1 offset:1072
	s_waitcnt vmcnt(9) lgkmcnt(1)
	v_mul_f64 v[198:199], v[2:3], v[12:13]
	v_mul_f64 v[12:13], v[4:5], v[12:13]
	v_add_f64 v[180:181], v[180:181], v[196:197]
	v_add_f64 v[190:191], v[192:193], v[190:191]
	s_waitcnt vmcnt(8) lgkmcnt(0)
	v_mul_f64 v[192:193], v[186:187], v[16:17]
	v_mul_f64 v[16:17], v[188:189], v[16:17]
	v_fma_f64 v[194:195], v[4:5], v[10:11], v[198:199]
	v_fma_f64 v[196:197], v[2:3], v[10:11], -v[12:13]
	ds_load_b128 v[2:5], v1 offset:1088
	scratch_load_b128 v[10:13], off, off offset:528
	v_add_f64 v[198:199], v[180:181], v[182:183]
	v_add_f64 v[184:185], v[190:191], v[184:185]
	ds_load_b128 v[180:183], v1 offset:1104
	s_waitcnt vmcnt(8) lgkmcnt(1)
	v_mul_f64 v[190:191], v[2:3], v[20:21]
	v_mul_f64 v[20:21], v[4:5], v[20:21]
	v_fma_f64 v[188:189], v[188:189], v[14:15], v[192:193]
	v_fma_f64 v[186:187], v[186:187], v[14:15], -v[16:17]
	scratch_load_b128 v[14:17], off, off offset:544
	v_add_f64 v[192:193], v[198:199], v[196:197]
	v_add_f64 v[184:185], v[184:185], v[194:195]
	s_waitcnt vmcnt(8) lgkmcnt(0)
	v_mul_f64 v[194:195], v[180:181], v[24:25]
	v_mul_f64 v[24:25], v[182:183], v[24:25]
	v_fma_f64 v[190:191], v[4:5], v[18:19], v[190:191]
	v_fma_f64 v[196:197], v[2:3], v[18:19], -v[20:21]
	ds_load_b128 v[2:5], v1 offset:1120
	scratch_load_b128 v[18:21], off, off offset:560
	v_add_f64 v[192:193], v[192:193], v[186:187]
	v_add_f64 v[188:189], v[184:185], v[188:189]
	ds_load_b128 v[184:187], v1 offset:1136
	s_waitcnt vmcnt(8) lgkmcnt(1)
	v_mul_f64 v[198:199], v[2:3], v[28:29]
	v_mul_f64 v[28:29], v[4:5], v[28:29]
	v_fma_f64 v[182:183], v[182:183], v[22:23], v[194:195]
	v_fma_f64 v[180:181], v[180:181], v[22:23], -v[24:25]
	scratch_load_b128 v[22:25], off, off offset:576
	;; [unrolled: 18-line block ×4, first 2 shown]
	s_waitcnt vmcnt(8) lgkmcnt(0)
	v_mul_f64 v[192:193], v[184:185], v[8:9]
	v_mul_f64 v[8:9], v[186:187], v[8:9]
	v_add_f64 v[190:191], v[190:191], v[196:197]
	v_add_f64 v[188:189], v[188:189], v[194:195]
	v_fma_f64 v[194:195], v[4:5], v[42:43], v[198:199]
	v_fma_f64 v[196:197], v[2:3], v[42:43], -v[44:45]
	ds_load_b128 v[2:5], v1 offset:1216
	scratch_load_b128 v[42:45], off, off offset:656
	v_fma_f64 v[186:187], v[186:187], v[6:7], v[192:193]
	v_fma_f64 v[184:185], v[184:185], v[6:7], -v[8:9]
	scratch_load_b128 v[6:9], off, off offset:672
	v_add_f64 v[190:191], v[190:191], v[180:181]
	v_add_f64 v[188:189], v[188:189], v[182:183]
	ds_load_b128 v[180:183], v1 offset:1232
	s_waitcnt vmcnt(9) lgkmcnt(1)
	v_mul_f64 v[198:199], v[2:3], v[12:13]
	v_mul_f64 v[12:13], v[4:5], v[12:13]
	s_waitcnt vmcnt(8) lgkmcnt(0)
	v_mul_f64 v[192:193], v[180:181], v[16:17]
	v_mul_f64 v[16:17], v[182:183], v[16:17]
	v_add_f64 v[190:191], v[190:191], v[196:197]
	v_add_f64 v[188:189], v[188:189], v[194:195]
	v_fma_f64 v[194:195], v[4:5], v[10:11], v[198:199]
	v_fma_f64 v[196:197], v[2:3], v[10:11], -v[12:13]
	ds_load_b128 v[2:5], v1 offset:1248
	ds_load_b128 v[10:13], v1 offset:1264
	v_fma_f64 v[182:183], v[182:183], v[14:15], v[192:193]
	v_fma_f64 v[14:15], v[180:181], v[14:15], -v[16:17]
	v_add_f64 v[184:185], v[190:191], v[184:185]
	v_add_f64 v[186:187], v[188:189], v[186:187]
	s_waitcnt vmcnt(7) lgkmcnt(1)
	v_mul_f64 v[188:189], v[2:3], v[20:21]
	v_mul_f64 v[20:21], v[4:5], v[20:21]
	s_delay_alu instid0(VALU_DEP_4) | instskip(NEXT) | instid1(VALU_DEP_4)
	v_add_f64 v[16:17], v[184:185], v[196:197]
	v_add_f64 v[180:181], v[186:187], v[194:195]
	s_waitcnt vmcnt(6) lgkmcnt(0)
	v_mul_f64 v[184:185], v[10:11], v[24:25]
	v_mul_f64 v[24:25], v[12:13], v[24:25]
	v_fma_f64 v[186:187], v[4:5], v[18:19], v[188:189]
	v_fma_f64 v[18:19], v[2:3], v[18:19], -v[20:21]
	v_add_f64 v[20:21], v[16:17], v[14:15]
	v_add_f64 v[180:181], v[180:181], v[182:183]
	ds_load_b128 v[2:5], v1 offset:1280
	ds_load_b128 v[14:17], v1 offset:1296
	v_fma_f64 v[12:13], v[12:13], v[22:23], v[184:185]
	v_fma_f64 v[10:11], v[10:11], v[22:23], -v[24:25]
	s_waitcnt vmcnt(5) lgkmcnt(1)
	v_mul_f64 v[182:183], v[2:3], v[28:29]
	v_mul_f64 v[28:29], v[4:5], v[28:29]
	s_waitcnt vmcnt(4) lgkmcnt(0)
	v_mul_f64 v[22:23], v[14:15], v[32:33]
	v_mul_f64 v[24:25], v[16:17], v[32:33]
	v_add_f64 v[18:19], v[20:21], v[18:19]
	v_add_f64 v[20:21], v[180:181], v[186:187]
	v_fma_f64 v[32:33], v[4:5], v[26:27], v[182:183]
	v_fma_f64 v[26:27], v[2:3], v[26:27], -v[28:29]
	v_fma_f64 v[16:17], v[16:17], v[30:31], v[22:23]
	v_fma_f64 v[14:15], v[14:15], v[30:31], -v[24:25]
	v_add_f64 v[18:19], v[18:19], v[10:11]
	v_add_f64 v[20:21], v[20:21], v[12:13]
	ds_load_b128 v[2:5], v1 offset:1312
	ds_load_b128 v[10:13], v1 offset:1328
	s_waitcnt vmcnt(3) lgkmcnt(1)
	v_mul_f64 v[28:29], v[2:3], v[36:37]
	v_mul_f64 v[36:37], v[4:5], v[36:37]
	s_waitcnt vmcnt(2) lgkmcnt(0)
	v_mul_f64 v[22:23], v[10:11], v[40:41]
	v_mul_f64 v[24:25], v[12:13], v[40:41]
	v_add_f64 v[18:19], v[18:19], v[26:27]
	v_add_f64 v[20:21], v[20:21], v[32:33]
	v_fma_f64 v[26:27], v[4:5], v[34:35], v[28:29]
	v_fma_f64 v[28:29], v[2:3], v[34:35], -v[36:37]
	v_fma_f64 v[12:13], v[12:13], v[38:39], v[22:23]
	v_fma_f64 v[10:11], v[10:11], v[38:39], -v[24:25]
	v_add_f64 v[18:19], v[18:19], v[14:15]
	v_add_f64 v[20:21], v[20:21], v[16:17]
	ds_load_b128 v[2:5], v1 offset:1344
	ds_load_b128 v[14:17], v1 offset:1360
	s_waitcnt vmcnt(1) lgkmcnt(1)
	v_mul_f64 v[30:31], v[2:3], v[44:45]
	v_mul_f64 v[32:33], v[4:5], v[44:45]
	s_waitcnt vmcnt(0) lgkmcnt(0)
	v_mul_f64 v[22:23], v[14:15], v[8:9]
	v_mul_f64 v[8:9], v[16:17], v[8:9]
	v_add_f64 v[18:19], v[18:19], v[28:29]
	v_add_f64 v[20:21], v[20:21], v[26:27]
	v_fma_f64 v[4:5], v[4:5], v[42:43], v[30:31]
	v_fma_f64 v[1:2], v[2:3], v[42:43], -v[32:33]
	v_fma_f64 v[16:17], v[16:17], v[6:7], v[22:23]
	v_fma_f64 v[6:7], v[14:15], v[6:7], -v[8:9]
	v_add_f64 v[10:11], v[18:19], v[10:11]
	v_add_f64 v[12:13], v[20:21], v[12:13]
	s_delay_alu instid0(VALU_DEP_2) | instskip(NEXT) | instid1(VALU_DEP_2)
	v_add_f64 v[1:2], v[10:11], v[1:2]
	v_add_f64 v[3:4], v[12:13], v[4:5]
	s_delay_alu instid0(VALU_DEP_2) | instskip(NEXT) | instid1(VALU_DEP_2)
	;; [unrolled: 3-line block ×3, first 2 shown]
	v_add_f64 v[1:2], v[176:177], -v[1:2]
	v_add_f64 v[3:4], v[178:179], -v[3:4]
	scratch_store_b128 off, v[1:4], off offset:160
	v_cmpx_lt_u32_e32 9, v132
	s_cbranch_execz .LBB106_253
; %bb.252:
	scratch_load_b128 v[1:4], v170, off
	v_mov_b32_e32 v5, 0
	s_delay_alu instid0(VALU_DEP_1)
	v_mov_b32_e32 v6, v5
	v_mov_b32_e32 v7, v5
	;; [unrolled: 1-line block ×3, first 2 shown]
	scratch_store_b128 off, v[5:8], off offset:144
	s_waitcnt vmcnt(0)
	ds_store_b128 v175, v[1:4]
.LBB106_253:
	s_or_b32 exec_lo, exec_lo, s2
	s_waitcnt lgkmcnt(0)
	s_waitcnt_vscnt null, 0x0
	s_barrier
	buffer_gl0_inv
	s_clause 0x7
	scratch_load_b128 v[2:5], off, off offset:160
	scratch_load_b128 v[6:9], off, off offset:176
	;; [unrolled: 1-line block ×8, first 2 shown]
	v_mov_b32_e32 v1, 0
	s_mov_b32 s2, exec_lo
	ds_load_b128 v[38:41], v1 offset:848
	s_clause 0x1
	scratch_load_b128 v[34:37], off, off offset:288
	scratch_load_b128 v[42:45], off, off offset:144
	ds_load_b128 v[176:179], v1 offset:864
	scratch_load_b128 v[180:183], off, off offset:304
	s_waitcnt vmcnt(10) lgkmcnt(1)
	v_mul_f64 v[184:185], v[40:41], v[4:5]
	v_mul_f64 v[4:5], v[38:39], v[4:5]
	s_delay_alu instid0(VALU_DEP_2) | instskip(NEXT) | instid1(VALU_DEP_2)
	v_fma_f64 v[190:191], v[38:39], v[2:3], -v[184:185]
	v_fma_f64 v[192:193], v[40:41], v[2:3], v[4:5]
	scratch_load_b128 v[38:41], off, off offset:320
	ds_load_b128 v[2:5], v1 offset:880
	s_waitcnt vmcnt(10) lgkmcnt(1)
	v_mul_f64 v[188:189], v[176:177], v[8:9]
	v_mul_f64 v[8:9], v[178:179], v[8:9]
	ds_load_b128 v[184:187], v1 offset:896
	s_waitcnt vmcnt(9) lgkmcnt(1)
	v_mul_f64 v[194:195], v[2:3], v[12:13]
	v_mul_f64 v[12:13], v[4:5], v[12:13]
	v_fma_f64 v[178:179], v[178:179], v[6:7], v[188:189]
	v_fma_f64 v[176:177], v[176:177], v[6:7], -v[8:9]
	v_add_f64 v[188:189], v[190:191], 0
	v_add_f64 v[190:191], v[192:193], 0
	scratch_load_b128 v[6:9], off, off offset:336
	v_fma_f64 v[194:195], v[4:5], v[10:11], v[194:195]
	v_fma_f64 v[196:197], v[2:3], v[10:11], -v[12:13]
	scratch_load_b128 v[10:13], off, off offset:352
	ds_load_b128 v[2:5], v1 offset:912
	s_waitcnt vmcnt(10) lgkmcnt(1)
	v_mul_f64 v[192:193], v[184:185], v[16:17]
	v_mul_f64 v[16:17], v[186:187], v[16:17]
	v_add_f64 v[188:189], v[188:189], v[176:177]
	v_add_f64 v[190:191], v[190:191], v[178:179]
	s_waitcnt vmcnt(9) lgkmcnt(0)
	v_mul_f64 v[198:199], v[2:3], v[20:21]
	v_mul_f64 v[20:21], v[4:5], v[20:21]
	ds_load_b128 v[176:179], v1 offset:928
	v_fma_f64 v[186:187], v[186:187], v[14:15], v[192:193]
	v_fma_f64 v[184:185], v[184:185], v[14:15], -v[16:17]
	scratch_load_b128 v[14:17], off, off offset:368
	v_add_f64 v[188:189], v[188:189], v[196:197]
	v_add_f64 v[190:191], v[190:191], v[194:195]
	v_fma_f64 v[194:195], v[4:5], v[18:19], v[198:199]
	v_fma_f64 v[196:197], v[2:3], v[18:19], -v[20:21]
	scratch_load_b128 v[18:21], off, off offset:384
	ds_load_b128 v[2:5], v1 offset:944
	s_waitcnt vmcnt(10) lgkmcnt(1)
	v_mul_f64 v[192:193], v[176:177], v[24:25]
	v_mul_f64 v[24:25], v[178:179], v[24:25]
	s_waitcnt vmcnt(9) lgkmcnt(0)
	v_mul_f64 v[198:199], v[2:3], v[28:29]
	v_mul_f64 v[28:29], v[4:5], v[28:29]
	v_add_f64 v[188:189], v[188:189], v[184:185]
	v_add_f64 v[190:191], v[190:191], v[186:187]
	ds_load_b128 v[184:187], v1 offset:960
	v_fma_f64 v[178:179], v[178:179], v[22:23], v[192:193]
	v_fma_f64 v[176:177], v[176:177], v[22:23], -v[24:25]
	scratch_load_b128 v[22:25], off, off offset:400
	v_add_f64 v[188:189], v[188:189], v[196:197]
	v_add_f64 v[190:191], v[190:191], v[194:195]
	v_fma_f64 v[194:195], v[4:5], v[26:27], v[198:199]
	v_fma_f64 v[196:197], v[2:3], v[26:27], -v[28:29]
	scratch_load_b128 v[26:29], off, off offset:416
	ds_load_b128 v[2:5], v1 offset:976
	s_waitcnt vmcnt(10) lgkmcnt(1)
	v_mul_f64 v[192:193], v[184:185], v[32:33]
	v_mul_f64 v[32:33], v[186:187], v[32:33]
	s_waitcnt vmcnt(9) lgkmcnt(0)
	v_mul_f64 v[198:199], v[2:3], v[36:37]
	v_mul_f64 v[36:37], v[4:5], v[36:37]
	v_add_f64 v[188:189], v[188:189], v[176:177]
	v_add_f64 v[190:191], v[190:191], v[178:179]
	ds_load_b128 v[176:179], v1 offset:992
	v_fma_f64 v[186:187], v[186:187], v[30:31], v[192:193]
	v_fma_f64 v[184:185], v[184:185], v[30:31], -v[32:33]
	scratch_load_b128 v[30:33], off, off offset:432
	v_add_f64 v[188:189], v[188:189], v[196:197]
	v_add_f64 v[190:191], v[190:191], v[194:195]
	v_fma_f64 v[196:197], v[4:5], v[34:35], v[198:199]
	v_fma_f64 v[198:199], v[2:3], v[34:35], -v[36:37]
	scratch_load_b128 v[34:37], off, off offset:448
	ds_load_b128 v[2:5], v1 offset:1008
	s_waitcnt vmcnt(9) lgkmcnt(1)
	v_mul_f64 v[192:193], v[176:177], v[182:183]
	v_mul_f64 v[194:195], v[178:179], v[182:183]
	v_add_f64 v[188:189], v[188:189], v[184:185]
	v_add_f64 v[186:187], v[190:191], v[186:187]
	ds_load_b128 v[182:185], v1 offset:1024
	v_fma_f64 v[192:193], v[178:179], v[180:181], v[192:193]
	v_fma_f64 v[180:181], v[176:177], v[180:181], -v[194:195]
	scratch_load_b128 v[176:179], off, off offset:464
	s_waitcnt vmcnt(9) lgkmcnt(1)
	v_mul_f64 v[190:191], v[2:3], v[40:41]
	v_mul_f64 v[40:41], v[4:5], v[40:41]
	v_add_f64 v[188:189], v[188:189], v[198:199]
	v_add_f64 v[186:187], v[186:187], v[196:197]
	s_delay_alu instid0(VALU_DEP_4) | instskip(NEXT) | instid1(VALU_DEP_4)
	v_fma_f64 v[190:191], v[4:5], v[38:39], v[190:191]
	v_fma_f64 v[196:197], v[2:3], v[38:39], -v[40:41]
	scratch_load_b128 v[38:41], off, off offset:480
	ds_load_b128 v[2:5], v1 offset:1040
	s_waitcnt vmcnt(9) lgkmcnt(1)
	v_mul_f64 v[194:195], v[182:183], v[8:9]
	v_mul_f64 v[8:9], v[184:185], v[8:9]
	s_waitcnt vmcnt(8) lgkmcnt(0)
	v_mul_f64 v[198:199], v[2:3], v[12:13]
	v_mul_f64 v[12:13], v[4:5], v[12:13]
	v_add_f64 v[180:181], v[188:189], v[180:181]
	v_add_f64 v[192:193], v[186:187], v[192:193]
	ds_load_b128 v[186:189], v1 offset:1056
	v_fma_f64 v[184:185], v[184:185], v[6:7], v[194:195]
	v_fma_f64 v[182:183], v[182:183], v[6:7], -v[8:9]
	scratch_load_b128 v[6:9], off, off offset:496
	v_fma_f64 v[194:195], v[4:5], v[10:11], v[198:199]
	v_add_f64 v[180:181], v[180:181], v[196:197]
	v_add_f64 v[190:191], v[192:193], v[190:191]
	v_fma_f64 v[196:197], v[2:3], v[10:11], -v[12:13]
	scratch_load_b128 v[10:13], off, off offset:512
	ds_load_b128 v[2:5], v1 offset:1072
	s_waitcnt vmcnt(9) lgkmcnt(1)
	v_mul_f64 v[192:193], v[186:187], v[16:17]
	v_mul_f64 v[16:17], v[188:189], v[16:17]
	v_add_f64 v[198:199], v[180:181], v[182:183]
	v_add_f64 v[184:185], v[190:191], v[184:185]
	s_waitcnt vmcnt(8) lgkmcnt(0)
	v_mul_f64 v[190:191], v[2:3], v[20:21]
	v_mul_f64 v[20:21], v[4:5], v[20:21]
	ds_load_b128 v[180:183], v1 offset:1088
	v_fma_f64 v[188:189], v[188:189], v[14:15], v[192:193]
	v_fma_f64 v[186:187], v[186:187], v[14:15], -v[16:17]
	scratch_load_b128 v[14:17], off, off offset:528
	v_add_f64 v[192:193], v[198:199], v[196:197]
	v_add_f64 v[184:185], v[184:185], v[194:195]
	v_fma_f64 v[190:191], v[4:5], v[18:19], v[190:191]
	v_fma_f64 v[196:197], v[2:3], v[18:19], -v[20:21]
	scratch_load_b128 v[18:21], off, off offset:544
	ds_load_b128 v[2:5], v1 offset:1104
	s_waitcnt vmcnt(9) lgkmcnt(1)
	v_mul_f64 v[194:195], v[180:181], v[24:25]
	v_mul_f64 v[24:25], v[182:183], v[24:25]
	s_waitcnt vmcnt(8) lgkmcnt(0)
	v_mul_f64 v[198:199], v[2:3], v[28:29]
	v_mul_f64 v[28:29], v[4:5], v[28:29]
	v_add_f64 v[192:193], v[192:193], v[186:187]
	v_add_f64 v[188:189], v[184:185], v[188:189]
	ds_load_b128 v[184:187], v1 offset:1120
	v_fma_f64 v[182:183], v[182:183], v[22:23], v[194:195]
	v_fma_f64 v[180:181], v[180:181], v[22:23], -v[24:25]
	scratch_load_b128 v[22:25], off, off offset:560
	v_fma_f64 v[194:195], v[4:5], v[26:27], v[198:199]
	v_add_f64 v[192:193], v[192:193], v[196:197]
	v_add_f64 v[188:189], v[188:189], v[190:191]
	v_fma_f64 v[196:197], v[2:3], v[26:27], -v[28:29]
	scratch_load_b128 v[26:29], off, off offset:576
	ds_load_b128 v[2:5], v1 offset:1136
	s_waitcnt vmcnt(9) lgkmcnt(1)
	v_mul_f64 v[190:191], v[184:185], v[32:33]
	v_mul_f64 v[32:33], v[186:187], v[32:33]
	s_waitcnt vmcnt(8) lgkmcnt(0)
	v_mul_f64 v[198:199], v[2:3], v[36:37]
	v_mul_f64 v[36:37], v[4:5], v[36:37]
	v_add_f64 v[192:193], v[192:193], v[180:181]
	v_add_f64 v[188:189], v[188:189], v[182:183]
	ds_load_b128 v[180:183], v1 offset:1152
	v_fma_f64 v[186:187], v[186:187], v[30:31], v[190:191]
	v_fma_f64 v[184:185], v[184:185], v[30:31], -v[32:33]
	scratch_load_b128 v[30:33], off, off offset:592
	v_add_f64 v[190:191], v[192:193], v[196:197]
	v_add_f64 v[188:189], v[188:189], v[194:195]
	v_fma_f64 v[194:195], v[4:5], v[34:35], v[198:199]
	v_fma_f64 v[196:197], v[2:3], v[34:35], -v[36:37]
	scratch_load_b128 v[34:37], off, off offset:608
	ds_load_b128 v[2:5], v1 offset:1168
	s_waitcnt vmcnt(9) lgkmcnt(1)
	v_mul_f64 v[192:193], v[180:181], v[178:179]
	v_mul_f64 v[178:179], v[182:183], v[178:179]
	s_waitcnt vmcnt(8) lgkmcnt(0)
	v_mul_f64 v[198:199], v[2:3], v[40:41]
	v_mul_f64 v[40:41], v[4:5], v[40:41]
	v_add_f64 v[190:191], v[190:191], v[184:185]
	v_add_f64 v[188:189], v[188:189], v[186:187]
	ds_load_b128 v[184:187], v1 offset:1184
	v_fma_f64 v[182:183], v[182:183], v[176:177], v[192:193]
	v_fma_f64 v[180:181], v[180:181], v[176:177], -v[178:179]
	scratch_load_b128 v[176:179], off, off offset:624
	v_add_f64 v[190:191], v[190:191], v[196:197]
	v_add_f64 v[188:189], v[188:189], v[194:195]
	v_fma_f64 v[194:195], v[4:5], v[38:39], v[198:199]
	;; [unrolled: 18-line block ×3, first 2 shown]
	v_fma_f64 v[196:197], v[2:3], v[10:11], -v[12:13]
	scratch_load_b128 v[10:13], off, off offset:672
	ds_load_b128 v[2:5], v1 offset:1232
	s_waitcnt vmcnt(9) lgkmcnt(1)
	v_mul_f64 v[192:193], v[180:181], v[16:17]
	v_mul_f64 v[16:17], v[182:183], v[16:17]
	s_waitcnt vmcnt(8) lgkmcnt(0)
	v_mul_f64 v[198:199], v[2:3], v[20:21]
	v_mul_f64 v[20:21], v[4:5], v[20:21]
	v_add_f64 v[190:191], v[190:191], v[184:185]
	v_add_f64 v[188:189], v[188:189], v[186:187]
	ds_load_b128 v[184:187], v1 offset:1248
	v_fma_f64 v[182:183], v[182:183], v[14:15], v[192:193]
	v_fma_f64 v[14:15], v[180:181], v[14:15], -v[16:17]
	v_add_f64 v[16:17], v[190:191], v[196:197]
	v_add_f64 v[180:181], v[188:189], v[194:195]
	s_waitcnt vmcnt(7) lgkmcnt(0)
	v_mul_f64 v[188:189], v[184:185], v[24:25]
	v_mul_f64 v[24:25], v[186:187], v[24:25]
	v_fma_f64 v[190:191], v[4:5], v[18:19], v[198:199]
	v_fma_f64 v[18:19], v[2:3], v[18:19], -v[20:21]
	v_add_f64 v[20:21], v[16:17], v[14:15]
	v_add_f64 v[180:181], v[180:181], v[182:183]
	ds_load_b128 v[2:5], v1 offset:1264
	ds_load_b128 v[14:17], v1 offset:1280
	v_fma_f64 v[186:187], v[186:187], v[22:23], v[188:189]
	v_fma_f64 v[22:23], v[184:185], v[22:23], -v[24:25]
	s_waitcnt vmcnt(6) lgkmcnt(1)
	v_mul_f64 v[182:183], v[2:3], v[28:29]
	v_mul_f64 v[28:29], v[4:5], v[28:29]
	s_waitcnt vmcnt(5) lgkmcnt(0)
	v_mul_f64 v[24:25], v[14:15], v[32:33]
	v_mul_f64 v[32:33], v[16:17], v[32:33]
	v_add_f64 v[18:19], v[20:21], v[18:19]
	v_add_f64 v[20:21], v[180:181], v[190:191]
	v_fma_f64 v[180:181], v[4:5], v[26:27], v[182:183]
	v_fma_f64 v[26:27], v[2:3], v[26:27], -v[28:29]
	v_fma_f64 v[16:17], v[16:17], v[30:31], v[24:25]
	v_fma_f64 v[14:15], v[14:15], v[30:31], -v[32:33]
	v_add_f64 v[22:23], v[18:19], v[22:23]
	v_add_f64 v[28:29], v[20:21], v[186:187]
	ds_load_b128 v[2:5], v1 offset:1296
	ds_load_b128 v[18:21], v1 offset:1312
	s_waitcnt vmcnt(4) lgkmcnt(1)
	v_mul_f64 v[182:183], v[2:3], v[36:37]
	v_mul_f64 v[36:37], v[4:5], v[36:37]
	v_add_f64 v[22:23], v[22:23], v[26:27]
	v_add_f64 v[24:25], v[28:29], v[180:181]
	s_waitcnt vmcnt(3) lgkmcnt(0)
	v_mul_f64 v[26:27], v[18:19], v[178:179]
	v_mul_f64 v[28:29], v[20:21], v[178:179]
	v_fma_f64 v[30:31], v[4:5], v[34:35], v[182:183]
	v_fma_f64 v[32:33], v[2:3], v[34:35], -v[36:37]
	v_add_f64 v[22:23], v[22:23], v[14:15]
	v_add_f64 v[24:25], v[24:25], v[16:17]
	ds_load_b128 v[2:5], v1 offset:1328
	ds_load_b128 v[14:17], v1 offset:1344
	v_fma_f64 v[20:21], v[20:21], v[176:177], v[26:27]
	v_fma_f64 v[18:19], v[18:19], v[176:177], -v[28:29]
	s_waitcnt vmcnt(2) lgkmcnt(1)
	v_mul_f64 v[34:35], v[2:3], v[40:41]
	v_mul_f64 v[36:37], v[4:5], v[40:41]
	s_waitcnt vmcnt(1) lgkmcnt(0)
	v_mul_f64 v[26:27], v[14:15], v[8:9]
	v_mul_f64 v[8:9], v[16:17], v[8:9]
	v_add_f64 v[22:23], v[22:23], v[32:33]
	v_add_f64 v[24:25], v[24:25], v[30:31]
	v_fma_f64 v[28:29], v[4:5], v[38:39], v[34:35]
	v_fma_f64 v[30:31], v[2:3], v[38:39], -v[36:37]
	ds_load_b128 v[2:5], v1 offset:1360
	v_fma_f64 v[16:17], v[16:17], v[6:7], v[26:27]
	v_fma_f64 v[6:7], v[14:15], v[6:7], -v[8:9]
	v_add_f64 v[18:19], v[22:23], v[18:19]
	v_add_f64 v[20:21], v[24:25], v[20:21]
	s_waitcnt vmcnt(0) lgkmcnt(0)
	v_mul_f64 v[22:23], v[2:3], v[12:13]
	v_mul_f64 v[12:13], v[4:5], v[12:13]
	s_delay_alu instid0(VALU_DEP_4) | instskip(NEXT) | instid1(VALU_DEP_4)
	v_add_f64 v[8:9], v[18:19], v[30:31]
	v_add_f64 v[14:15], v[20:21], v[28:29]
	s_delay_alu instid0(VALU_DEP_4) | instskip(NEXT) | instid1(VALU_DEP_4)
	v_fma_f64 v[4:5], v[4:5], v[10:11], v[22:23]
	v_fma_f64 v[2:3], v[2:3], v[10:11], -v[12:13]
	s_delay_alu instid0(VALU_DEP_4) | instskip(NEXT) | instid1(VALU_DEP_4)
	v_add_f64 v[6:7], v[8:9], v[6:7]
	v_add_f64 v[8:9], v[14:15], v[16:17]
	s_delay_alu instid0(VALU_DEP_2) | instskip(NEXT) | instid1(VALU_DEP_2)
	v_add_f64 v[2:3], v[6:7], v[2:3]
	v_add_f64 v[4:5], v[8:9], v[4:5]
	s_delay_alu instid0(VALU_DEP_2) | instskip(NEXT) | instid1(VALU_DEP_2)
	v_add_f64 v[2:3], v[42:43], -v[2:3]
	v_add_f64 v[4:5], v[44:45], -v[4:5]
	scratch_store_b128 off, v[2:5], off offset:144
	v_cmpx_lt_u32_e32 8, v132
	s_cbranch_execz .LBB106_255
; %bb.254:
	scratch_load_b128 v[5:8], v171, off
	v_mov_b32_e32 v2, v1
	v_mov_b32_e32 v3, v1
	;; [unrolled: 1-line block ×3, first 2 shown]
	scratch_store_b128 off, v[1:4], off offset:128
	s_waitcnt vmcnt(0)
	ds_store_b128 v175, v[5:8]
.LBB106_255:
	s_or_b32 exec_lo, exec_lo, s2
	s_waitcnt lgkmcnt(0)
	s_waitcnt_vscnt null, 0x0
	s_barrier
	buffer_gl0_inv
	s_clause 0x8
	scratch_load_b128 v[2:5], off, off offset:144
	scratch_load_b128 v[6:9], off, off offset:160
	;; [unrolled: 1-line block ×9, first 2 shown]
	ds_load_b128 v[42:45], v1 offset:832
	ds_load_b128 v[38:41], v1 offset:848
	s_clause 0x1
	scratch_load_b128 v[176:179], off, off offset:128
	scratch_load_b128 v[180:183], off, off offset:288
	s_mov_b32 s2, exec_lo
	s_waitcnt vmcnt(10) lgkmcnt(1)
	v_mul_f64 v[184:185], v[44:45], v[4:5]
	v_mul_f64 v[4:5], v[42:43], v[4:5]
	s_waitcnt vmcnt(9) lgkmcnt(0)
	v_mul_f64 v[188:189], v[38:39], v[8:9]
	v_mul_f64 v[8:9], v[40:41], v[8:9]
	s_delay_alu instid0(VALU_DEP_4) | instskip(NEXT) | instid1(VALU_DEP_4)
	v_fma_f64 v[190:191], v[42:43], v[2:3], -v[184:185]
	v_fma_f64 v[192:193], v[44:45], v[2:3], v[4:5]
	ds_load_b128 v[2:5], v1 offset:864
	ds_load_b128 v[184:187], v1 offset:880
	scratch_load_b128 v[42:45], off, off offset:304
	v_fma_f64 v[40:41], v[40:41], v[6:7], v[188:189]
	v_fma_f64 v[38:39], v[38:39], v[6:7], -v[8:9]
	scratch_load_b128 v[6:9], off, off offset:320
	s_waitcnt vmcnt(10) lgkmcnt(1)
	v_mul_f64 v[194:195], v[2:3], v[12:13]
	v_mul_f64 v[12:13], v[4:5], v[12:13]
	v_add_f64 v[188:189], v[190:191], 0
	v_add_f64 v[190:191], v[192:193], 0
	s_waitcnt vmcnt(9) lgkmcnt(0)
	v_mul_f64 v[192:193], v[184:185], v[16:17]
	v_mul_f64 v[16:17], v[186:187], v[16:17]
	v_fma_f64 v[194:195], v[4:5], v[10:11], v[194:195]
	v_fma_f64 v[196:197], v[2:3], v[10:11], -v[12:13]
	ds_load_b128 v[2:5], v1 offset:896
	scratch_load_b128 v[10:13], off, off offset:336
	v_add_f64 v[188:189], v[188:189], v[38:39]
	v_add_f64 v[190:191], v[190:191], v[40:41]
	ds_load_b128 v[38:41], v1 offset:912
	v_fma_f64 v[186:187], v[186:187], v[14:15], v[192:193]
	v_fma_f64 v[184:185], v[184:185], v[14:15], -v[16:17]
	scratch_load_b128 v[14:17], off, off offset:352
	s_waitcnt vmcnt(10) lgkmcnt(1)
	v_mul_f64 v[198:199], v[2:3], v[20:21]
	v_mul_f64 v[20:21], v[4:5], v[20:21]
	s_waitcnt vmcnt(9) lgkmcnt(0)
	v_mul_f64 v[192:193], v[38:39], v[24:25]
	v_mul_f64 v[24:25], v[40:41], v[24:25]
	v_add_f64 v[188:189], v[188:189], v[196:197]
	v_add_f64 v[190:191], v[190:191], v[194:195]
	v_fma_f64 v[194:195], v[4:5], v[18:19], v[198:199]
	v_fma_f64 v[196:197], v[2:3], v[18:19], -v[20:21]
	ds_load_b128 v[2:5], v1 offset:928
	scratch_load_b128 v[18:21], off, off offset:368
	v_fma_f64 v[40:41], v[40:41], v[22:23], v[192:193]
	v_fma_f64 v[38:39], v[38:39], v[22:23], -v[24:25]
	scratch_load_b128 v[22:25], off, off offset:384
	v_add_f64 v[188:189], v[188:189], v[184:185]
	v_add_f64 v[190:191], v[190:191], v[186:187]
	ds_load_b128 v[184:187], v1 offset:944
	s_waitcnt vmcnt(10) lgkmcnt(1)
	v_mul_f64 v[198:199], v[2:3], v[28:29]
	v_mul_f64 v[28:29], v[4:5], v[28:29]
	s_waitcnt vmcnt(9) lgkmcnt(0)
	v_mul_f64 v[192:193], v[184:185], v[32:33]
	v_mul_f64 v[32:33], v[186:187], v[32:33]
	v_add_f64 v[188:189], v[188:189], v[196:197]
	v_add_f64 v[190:191], v[190:191], v[194:195]
	v_fma_f64 v[194:195], v[4:5], v[26:27], v[198:199]
	v_fma_f64 v[196:197], v[2:3], v[26:27], -v[28:29]
	ds_load_b128 v[2:5], v1 offset:960
	scratch_load_b128 v[26:29], off, off offset:400
	v_fma_f64 v[186:187], v[186:187], v[30:31], v[192:193]
	v_fma_f64 v[184:185], v[184:185], v[30:31], -v[32:33]
	scratch_load_b128 v[30:33], off, off offset:416
	v_add_f64 v[188:189], v[188:189], v[38:39]
	v_add_f64 v[190:191], v[190:191], v[40:41]
	ds_load_b128 v[38:41], v1 offset:976
	s_waitcnt vmcnt(10) lgkmcnt(1)
	v_mul_f64 v[198:199], v[2:3], v[36:37]
	v_mul_f64 v[36:37], v[4:5], v[36:37]
	s_waitcnt vmcnt(8) lgkmcnt(0)
	v_mul_f64 v[192:193], v[38:39], v[182:183]
	v_add_f64 v[188:189], v[188:189], v[196:197]
	v_add_f64 v[190:191], v[190:191], v[194:195]
	v_mul_f64 v[194:195], v[40:41], v[182:183]
	v_fma_f64 v[196:197], v[4:5], v[34:35], v[198:199]
	v_fma_f64 v[198:199], v[2:3], v[34:35], -v[36:37]
	ds_load_b128 v[2:5], v1 offset:992
	scratch_load_b128 v[34:37], off, off offset:432
	v_fma_f64 v[192:193], v[40:41], v[180:181], v[192:193]
	v_add_f64 v[188:189], v[188:189], v[184:185]
	v_add_f64 v[186:187], v[190:191], v[186:187]
	ds_load_b128 v[182:185], v1 offset:1008
	v_fma_f64 v[180:181], v[38:39], v[180:181], -v[194:195]
	scratch_load_b128 v[38:41], off, off offset:448
	s_waitcnt vmcnt(9) lgkmcnt(1)
	v_mul_f64 v[190:191], v[2:3], v[44:45]
	v_mul_f64 v[44:45], v[4:5], v[44:45]
	s_waitcnt vmcnt(8) lgkmcnt(0)
	v_mul_f64 v[194:195], v[182:183], v[8:9]
	v_mul_f64 v[8:9], v[184:185], v[8:9]
	v_add_f64 v[188:189], v[188:189], v[198:199]
	v_add_f64 v[186:187], v[186:187], v[196:197]
	v_fma_f64 v[190:191], v[4:5], v[42:43], v[190:191]
	v_fma_f64 v[196:197], v[2:3], v[42:43], -v[44:45]
	ds_load_b128 v[2:5], v1 offset:1024
	scratch_load_b128 v[42:45], off, off offset:464
	v_fma_f64 v[184:185], v[184:185], v[6:7], v[194:195]
	v_fma_f64 v[182:183], v[182:183], v[6:7], -v[8:9]
	scratch_load_b128 v[6:9], off, off offset:480
	v_add_f64 v[180:181], v[188:189], v[180:181]
	v_add_f64 v[192:193], v[186:187], v[192:193]
	ds_load_b128 v[186:189], v1 offset:1040
	s_waitcnt vmcnt(9) lgkmcnt(1)
	v_mul_f64 v[198:199], v[2:3], v[12:13]
	v_mul_f64 v[12:13], v[4:5], v[12:13]
	v_add_f64 v[180:181], v[180:181], v[196:197]
	v_add_f64 v[190:191], v[192:193], v[190:191]
	s_waitcnt vmcnt(8) lgkmcnt(0)
	v_mul_f64 v[192:193], v[186:187], v[16:17]
	v_mul_f64 v[16:17], v[188:189], v[16:17]
	v_fma_f64 v[194:195], v[4:5], v[10:11], v[198:199]
	v_fma_f64 v[196:197], v[2:3], v[10:11], -v[12:13]
	ds_load_b128 v[2:5], v1 offset:1056
	scratch_load_b128 v[10:13], off, off offset:496
	v_add_f64 v[198:199], v[180:181], v[182:183]
	v_add_f64 v[184:185], v[190:191], v[184:185]
	ds_load_b128 v[180:183], v1 offset:1072
	s_waitcnt vmcnt(8) lgkmcnt(1)
	v_mul_f64 v[190:191], v[2:3], v[20:21]
	v_mul_f64 v[20:21], v[4:5], v[20:21]
	v_fma_f64 v[188:189], v[188:189], v[14:15], v[192:193]
	v_fma_f64 v[186:187], v[186:187], v[14:15], -v[16:17]
	scratch_load_b128 v[14:17], off, off offset:512
	v_add_f64 v[192:193], v[198:199], v[196:197]
	v_add_f64 v[184:185], v[184:185], v[194:195]
	s_waitcnt vmcnt(8) lgkmcnt(0)
	v_mul_f64 v[194:195], v[180:181], v[24:25]
	v_mul_f64 v[24:25], v[182:183], v[24:25]
	v_fma_f64 v[190:191], v[4:5], v[18:19], v[190:191]
	v_fma_f64 v[196:197], v[2:3], v[18:19], -v[20:21]
	ds_load_b128 v[2:5], v1 offset:1088
	scratch_load_b128 v[18:21], off, off offset:528
	v_add_f64 v[192:193], v[192:193], v[186:187]
	v_add_f64 v[188:189], v[184:185], v[188:189]
	ds_load_b128 v[184:187], v1 offset:1104
	s_waitcnt vmcnt(8) lgkmcnt(1)
	v_mul_f64 v[198:199], v[2:3], v[28:29]
	v_mul_f64 v[28:29], v[4:5], v[28:29]
	v_fma_f64 v[182:183], v[182:183], v[22:23], v[194:195]
	v_fma_f64 v[180:181], v[180:181], v[22:23], -v[24:25]
	scratch_load_b128 v[22:25], off, off offset:544
	;; [unrolled: 18-line block ×4, first 2 shown]
	s_waitcnt vmcnt(8) lgkmcnt(0)
	v_mul_f64 v[192:193], v[184:185], v[8:9]
	v_mul_f64 v[8:9], v[186:187], v[8:9]
	v_add_f64 v[190:191], v[190:191], v[196:197]
	v_add_f64 v[188:189], v[188:189], v[194:195]
	v_fma_f64 v[194:195], v[4:5], v[42:43], v[198:199]
	v_fma_f64 v[196:197], v[2:3], v[42:43], -v[44:45]
	ds_load_b128 v[2:5], v1 offset:1184
	scratch_load_b128 v[42:45], off, off offset:624
	v_fma_f64 v[186:187], v[186:187], v[6:7], v[192:193]
	v_fma_f64 v[184:185], v[184:185], v[6:7], -v[8:9]
	scratch_load_b128 v[6:9], off, off offset:640
	v_add_f64 v[190:191], v[190:191], v[180:181]
	v_add_f64 v[188:189], v[188:189], v[182:183]
	ds_load_b128 v[180:183], v1 offset:1200
	s_waitcnt vmcnt(9) lgkmcnt(1)
	v_mul_f64 v[198:199], v[2:3], v[12:13]
	v_mul_f64 v[12:13], v[4:5], v[12:13]
	s_waitcnt vmcnt(8) lgkmcnt(0)
	v_mul_f64 v[192:193], v[180:181], v[16:17]
	v_mul_f64 v[16:17], v[182:183], v[16:17]
	v_add_f64 v[190:191], v[190:191], v[196:197]
	v_add_f64 v[188:189], v[188:189], v[194:195]
	v_fma_f64 v[194:195], v[4:5], v[10:11], v[198:199]
	v_fma_f64 v[196:197], v[2:3], v[10:11], -v[12:13]
	ds_load_b128 v[2:5], v1 offset:1216
	scratch_load_b128 v[10:13], off, off offset:656
	v_fma_f64 v[182:183], v[182:183], v[14:15], v[192:193]
	v_fma_f64 v[180:181], v[180:181], v[14:15], -v[16:17]
	scratch_load_b128 v[14:17], off, off offset:672
	v_add_f64 v[190:191], v[190:191], v[184:185]
	v_add_f64 v[188:189], v[188:189], v[186:187]
	ds_load_b128 v[184:187], v1 offset:1232
	s_waitcnt vmcnt(9) lgkmcnt(1)
	v_mul_f64 v[198:199], v[2:3], v[20:21]
	v_mul_f64 v[20:21], v[4:5], v[20:21]
	s_waitcnt vmcnt(8) lgkmcnt(0)
	v_mul_f64 v[192:193], v[184:185], v[24:25]
	v_mul_f64 v[24:25], v[186:187], v[24:25]
	v_add_f64 v[190:191], v[190:191], v[196:197]
	v_add_f64 v[188:189], v[188:189], v[194:195]
	v_fma_f64 v[194:195], v[4:5], v[18:19], v[198:199]
	v_fma_f64 v[196:197], v[2:3], v[18:19], -v[20:21]
	ds_load_b128 v[2:5], v1 offset:1248
	ds_load_b128 v[18:21], v1 offset:1264
	v_fma_f64 v[186:187], v[186:187], v[22:23], v[192:193]
	v_fma_f64 v[22:23], v[184:185], v[22:23], -v[24:25]
	v_add_f64 v[180:181], v[190:191], v[180:181]
	v_add_f64 v[182:183], v[188:189], v[182:183]
	s_waitcnt vmcnt(7) lgkmcnt(1)
	v_mul_f64 v[188:189], v[2:3], v[28:29]
	v_mul_f64 v[28:29], v[4:5], v[28:29]
	s_delay_alu instid0(VALU_DEP_4) | instskip(NEXT) | instid1(VALU_DEP_4)
	v_add_f64 v[24:25], v[180:181], v[196:197]
	v_add_f64 v[180:181], v[182:183], v[194:195]
	s_waitcnt vmcnt(6) lgkmcnt(0)
	v_mul_f64 v[182:183], v[18:19], v[32:33]
	v_mul_f64 v[32:33], v[20:21], v[32:33]
	v_fma_f64 v[184:185], v[4:5], v[26:27], v[188:189]
	v_fma_f64 v[26:27], v[2:3], v[26:27], -v[28:29]
	v_add_f64 v[28:29], v[24:25], v[22:23]
	v_add_f64 v[180:181], v[180:181], v[186:187]
	ds_load_b128 v[2:5], v1 offset:1280
	ds_load_b128 v[22:25], v1 offset:1296
	v_fma_f64 v[20:21], v[20:21], v[30:31], v[182:183]
	v_fma_f64 v[18:19], v[18:19], v[30:31], -v[32:33]
	s_waitcnt vmcnt(5) lgkmcnt(1)
	v_mul_f64 v[186:187], v[2:3], v[36:37]
	v_mul_f64 v[36:37], v[4:5], v[36:37]
	s_waitcnt vmcnt(4) lgkmcnt(0)
	v_mul_f64 v[30:31], v[22:23], v[40:41]
	v_mul_f64 v[32:33], v[24:25], v[40:41]
	v_add_f64 v[26:27], v[28:29], v[26:27]
	v_add_f64 v[28:29], v[180:181], v[184:185]
	v_fma_f64 v[40:41], v[4:5], v[34:35], v[186:187]
	v_fma_f64 v[34:35], v[2:3], v[34:35], -v[36:37]
	v_fma_f64 v[24:25], v[24:25], v[38:39], v[30:31]
	v_fma_f64 v[22:23], v[22:23], v[38:39], -v[32:33]
	v_add_f64 v[26:27], v[26:27], v[18:19]
	v_add_f64 v[28:29], v[28:29], v[20:21]
	ds_load_b128 v[2:5], v1 offset:1312
	ds_load_b128 v[18:21], v1 offset:1328
	s_waitcnt vmcnt(3) lgkmcnt(1)
	v_mul_f64 v[36:37], v[2:3], v[44:45]
	v_mul_f64 v[44:45], v[4:5], v[44:45]
	s_waitcnt vmcnt(2) lgkmcnt(0)
	v_mul_f64 v[30:31], v[18:19], v[8:9]
	v_mul_f64 v[8:9], v[20:21], v[8:9]
	v_add_f64 v[26:27], v[26:27], v[34:35]
	v_add_f64 v[28:29], v[28:29], v[40:41]
	v_fma_f64 v[32:33], v[4:5], v[42:43], v[36:37]
	v_fma_f64 v[34:35], v[2:3], v[42:43], -v[44:45]
	v_fma_f64 v[20:21], v[20:21], v[6:7], v[30:31]
	v_fma_f64 v[6:7], v[18:19], v[6:7], -v[8:9]
	v_add_f64 v[26:27], v[26:27], v[22:23]
	v_add_f64 v[28:29], v[28:29], v[24:25]
	ds_load_b128 v[2:5], v1 offset:1344
	ds_load_b128 v[22:25], v1 offset:1360
	s_waitcnt vmcnt(1) lgkmcnt(1)
	v_mul_f64 v[36:37], v[2:3], v[12:13]
	v_mul_f64 v[12:13], v[4:5], v[12:13]
	v_add_f64 v[8:9], v[26:27], v[34:35]
	v_add_f64 v[18:19], v[28:29], v[32:33]
	s_waitcnt vmcnt(0) lgkmcnt(0)
	v_mul_f64 v[26:27], v[22:23], v[16:17]
	v_mul_f64 v[16:17], v[24:25], v[16:17]
	v_fma_f64 v[4:5], v[4:5], v[10:11], v[36:37]
	v_fma_f64 v[1:2], v[2:3], v[10:11], -v[12:13]
	v_add_f64 v[6:7], v[8:9], v[6:7]
	v_add_f64 v[8:9], v[18:19], v[20:21]
	v_fma_f64 v[10:11], v[24:25], v[14:15], v[26:27]
	v_fma_f64 v[12:13], v[22:23], v[14:15], -v[16:17]
	s_delay_alu instid0(VALU_DEP_4) | instskip(NEXT) | instid1(VALU_DEP_4)
	v_add_f64 v[1:2], v[6:7], v[1:2]
	v_add_f64 v[3:4], v[8:9], v[4:5]
	s_delay_alu instid0(VALU_DEP_2) | instskip(NEXT) | instid1(VALU_DEP_2)
	v_add_f64 v[1:2], v[1:2], v[12:13]
	v_add_f64 v[3:4], v[3:4], v[10:11]
	s_delay_alu instid0(VALU_DEP_2) | instskip(NEXT) | instid1(VALU_DEP_2)
	v_add_f64 v[1:2], v[176:177], -v[1:2]
	v_add_f64 v[3:4], v[178:179], -v[3:4]
	scratch_store_b128 off, v[1:4], off offset:128
	v_cmpx_lt_u32_e32 7, v132
	s_cbranch_execz .LBB106_257
; %bb.256:
	scratch_load_b128 v[1:4], v172, off
	v_mov_b32_e32 v5, 0
	s_delay_alu instid0(VALU_DEP_1)
	v_mov_b32_e32 v6, v5
	v_mov_b32_e32 v7, v5
	;; [unrolled: 1-line block ×3, first 2 shown]
	scratch_store_b128 off, v[5:8], off offset:112
	s_waitcnt vmcnt(0)
	ds_store_b128 v175, v[1:4]
.LBB106_257:
	s_or_b32 exec_lo, exec_lo, s2
	s_waitcnt lgkmcnt(0)
	s_waitcnt_vscnt null, 0x0
	s_barrier
	buffer_gl0_inv
	s_clause 0x7
	scratch_load_b128 v[2:5], off, off offset:128
	scratch_load_b128 v[6:9], off, off offset:144
	;; [unrolled: 1-line block ×8, first 2 shown]
	v_mov_b32_e32 v1, 0
	s_mov_b32 s2, exec_lo
	ds_load_b128 v[38:41], v1 offset:816
	s_clause 0x1
	scratch_load_b128 v[34:37], off, off offset:256
	scratch_load_b128 v[42:45], off, off offset:112
	ds_load_b128 v[176:179], v1 offset:832
	scratch_load_b128 v[180:183], off, off offset:272
	s_waitcnt vmcnt(10) lgkmcnt(1)
	v_mul_f64 v[184:185], v[40:41], v[4:5]
	v_mul_f64 v[4:5], v[38:39], v[4:5]
	s_delay_alu instid0(VALU_DEP_2) | instskip(NEXT) | instid1(VALU_DEP_2)
	v_fma_f64 v[190:191], v[38:39], v[2:3], -v[184:185]
	v_fma_f64 v[192:193], v[40:41], v[2:3], v[4:5]
	scratch_load_b128 v[38:41], off, off offset:288
	ds_load_b128 v[2:5], v1 offset:848
	s_waitcnt vmcnt(10) lgkmcnt(1)
	v_mul_f64 v[188:189], v[176:177], v[8:9]
	v_mul_f64 v[8:9], v[178:179], v[8:9]
	ds_load_b128 v[184:187], v1 offset:864
	s_waitcnt vmcnt(9) lgkmcnt(1)
	v_mul_f64 v[194:195], v[2:3], v[12:13]
	v_mul_f64 v[12:13], v[4:5], v[12:13]
	v_fma_f64 v[178:179], v[178:179], v[6:7], v[188:189]
	v_fma_f64 v[176:177], v[176:177], v[6:7], -v[8:9]
	v_add_f64 v[188:189], v[190:191], 0
	v_add_f64 v[190:191], v[192:193], 0
	scratch_load_b128 v[6:9], off, off offset:304
	v_fma_f64 v[194:195], v[4:5], v[10:11], v[194:195]
	v_fma_f64 v[196:197], v[2:3], v[10:11], -v[12:13]
	scratch_load_b128 v[10:13], off, off offset:320
	ds_load_b128 v[2:5], v1 offset:880
	s_waitcnt vmcnt(10) lgkmcnt(1)
	v_mul_f64 v[192:193], v[184:185], v[16:17]
	v_mul_f64 v[16:17], v[186:187], v[16:17]
	v_add_f64 v[188:189], v[188:189], v[176:177]
	v_add_f64 v[190:191], v[190:191], v[178:179]
	s_waitcnt vmcnt(9) lgkmcnt(0)
	v_mul_f64 v[198:199], v[2:3], v[20:21]
	v_mul_f64 v[20:21], v[4:5], v[20:21]
	ds_load_b128 v[176:179], v1 offset:896
	v_fma_f64 v[186:187], v[186:187], v[14:15], v[192:193]
	v_fma_f64 v[184:185], v[184:185], v[14:15], -v[16:17]
	scratch_load_b128 v[14:17], off, off offset:336
	v_add_f64 v[188:189], v[188:189], v[196:197]
	v_add_f64 v[190:191], v[190:191], v[194:195]
	v_fma_f64 v[194:195], v[4:5], v[18:19], v[198:199]
	v_fma_f64 v[196:197], v[2:3], v[18:19], -v[20:21]
	scratch_load_b128 v[18:21], off, off offset:352
	ds_load_b128 v[2:5], v1 offset:912
	s_waitcnt vmcnt(10) lgkmcnt(1)
	v_mul_f64 v[192:193], v[176:177], v[24:25]
	v_mul_f64 v[24:25], v[178:179], v[24:25]
	s_waitcnt vmcnt(9) lgkmcnt(0)
	v_mul_f64 v[198:199], v[2:3], v[28:29]
	v_mul_f64 v[28:29], v[4:5], v[28:29]
	v_add_f64 v[188:189], v[188:189], v[184:185]
	v_add_f64 v[190:191], v[190:191], v[186:187]
	ds_load_b128 v[184:187], v1 offset:928
	v_fma_f64 v[178:179], v[178:179], v[22:23], v[192:193]
	v_fma_f64 v[176:177], v[176:177], v[22:23], -v[24:25]
	scratch_load_b128 v[22:25], off, off offset:368
	v_add_f64 v[188:189], v[188:189], v[196:197]
	v_add_f64 v[190:191], v[190:191], v[194:195]
	v_fma_f64 v[194:195], v[4:5], v[26:27], v[198:199]
	v_fma_f64 v[196:197], v[2:3], v[26:27], -v[28:29]
	scratch_load_b128 v[26:29], off, off offset:384
	ds_load_b128 v[2:5], v1 offset:944
	s_waitcnt vmcnt(10) lgkmcnt(1)
	v_mul_f64 v[192:193], v[184:185], v[32:33]
	v_mul_f64 v[32:33], v[186:187], v[32:33]
	s_waitcnt vmcnt(9) lgkmcnt(0)
	v_mul_f64 v[198:199], v[2:3], v[36:37]
	v_mul_f64 v[36:37], v[4:5], v[36:37]
	v_add_f64 v[188:189], v[188:189], v[176:177]
	v_add_f64 v[190:191], v[190:191], v[178:179]
	ds_load_b128 v[176:179], v1 offset:960
	v_fma_f64 v[186:187], v[186:187], v[30:31], v[192:193]
	v_fma_f64 v[184:185], v[184:185], v[30:31], -v[32:33]
	scratch_load_b128 v[30:33], off, off offset:400
	v_add_f64 v[188:189], v[188:189], v[196:197]
	v_add_f64 v[190:191], v[190:191], v[194:195]
	v_fma_f64 v[196:197], v[4:5], v[34:35], v[198:199]
	v_fma_f64 v[198:199], v[2:3], v[34:35], -v[36:37]
	scratch_load_b128 v[34:37], off, off offset:416
	ds_load_b128 v[2:5], v1 offset:976
	s_waitcnt vmcnt(9) lgkmcnt(1)
	v_mul_f64 v[192:193], v[176:177], v[182:183]
	v_mul_f64 v[194:195], v[178:179], v[182:183]
	v_add_f64 v[188:189], v[188:189], v[184:185]
	v_add_f64 v[186:187], v[190:191], v[186:187]
	ds_load_b128 v[182:185], v1 offset:992
	v_fma_f64 v[192:193], v[178:179], v[180:181], v[192:193]
	v_fma_f64 v[180:181], v[176:177], v[180:181], -v[194:195]
	scratch_load_b128 v[176:179], off, off offset:432
	s_waitcnt vmcnt(9) lgkmcnt(1)
	v_mul_f64 v[190:191], v[2:3], v[40:41]
	v_mul_f64 v[40:41], v[4:5], v[40:41]
	v_add_f64 v[188:189], v[188:189], v[198:199]
	v_add_f64 v[186:187], v[186:187], v[196:197]
	s_delay_alu instid0(VALU_DEP_4) | instskip(NEXT) | instid1(VALU_DEP_4)
	v_fma_f64 v[190:191], v[4:5], v[38:39], v[190:191]
	v_fma_f64 v[196:197], v[2:3], v[38:39], -v[40:41]
	scratch_load_b128 v[38:41], off, off offset:448
	ds_load_b128 v[2:5], v1 offset:1008
	s_waitcnt vmcnt(9) lgkmcnt(1)
	v_mul_f64 v[194:195], v[182:183], v[8:9]
	v_mul_f64 v[8:9], v[184:185], v[8:9]
	s_waitcnt vmcnt(8) lgkmcnt(0)
	v_mul_f64 v[198:199], v[2:3], v[12:13]
	v_mul_f64 v[12:13], v[4:5], v[12:13]
	v_add_f64 v[180:181], v[188:189], v[180:181]
	v_add_f64 v[192:193], v[186:187], v[192:193]
	ds_load_b128 v[186:189], v1 offset:1024
	v_fma_f64 v[184:185], v[184:185], v[6:7], v[194:195]
	v_fma_f64 v[182:183], v[182:183], v[6:7], -v[8:9]
	scratch_load_b128 v[6:9], off, off offset:464
	v_fma_f64 v[194:195], v[4:5], v[10:11], v[198:199]
	v_add_f64 v[180:181], v[180:181], v[196:197]
	v_add_f64 v[190:191], v[192:193], v[190:191]
	v_fma_f64 v[196:197], v[2:3], v[10:11], -v[12:13]
	scratch_load_b128 v[10:13], off, off offset:480
	ds_load_b128 v[2:5], v1 offset:1040
	s_waitcnt vmcnt(9) lgkmcnt(1)
	v_mul_f64 v[192:193], v[186:187], v[16:17]
	v_mul_f64 v[16:17], v[188:189], v[16:17]
	v_add_f64 v[198:199], v[180:181], v[182:183]
	v_add_f64 v[184:185], v[190:191], v[184:185]
	s_waitcnt vmcnt(8) lgkmcnt(0)
	v_mul_f64 v[190:191], v[2:3], v[20:21]
	v_mul_f64 v[20:21], v[4:5], v[20:21]
	ds_load_b128 v[180:183], v1 offset:1056
	v_fma_f64 v[188:189], v[188:189], v[14:15], v[192:193]
	v_fma_f64 v[186:187], v[186:187], v[14:15], -v[16:17]
	scratch_load_b128 v[14:17], off, off offset:496
	v_add_f64 v[192:193], v[198:199], v[196:197]
	v_add_f64 v[184:185], v[184:185], v[194:195]
	v_fma_f64 v[190:191], v[4:5], v[18:19], v[190:191]
	v_fma_f64 v[196:197], v[2:3], v[18:19], -v[20:21]
	scratch_load_b128 v[18:21], off, off offset:512
	ds_load_b128 v[2:5], v1 offset:1072
	s_waitcnt vmcnt(9) lgkmcnt(1)
	v_mul_f64 v[194:195], v[180:181], v[24:25]
	v_mul_f64 v[24:25], v[182:183], v[24:25]
	s_waitcnt vmcnt(8) lgkmcnt(0)
	v_mul_f64 v[198:199], v[2:3], v[28:29]
	v_mul_f64 v[28:29], v[4:5], v[28:29]
	v_add_f64 v[192:193], v[192:193], v[186:187]
	v_add_f64 v[188:189], v[184:185], v[188:189]
	ds_load_b128 v[184:187], v1 offset:1088
	v_fma_f64 v[182:183], v[182:183], v[22:23], v[194:195]
	v_fma_f64 v[180:181], v[180:181], v[22:23], -v[24:25]
	scratch_load_b128 v[22:25], off, off offset:528
	v_fma_f64 v[194:195], v[4:5], v[26:27], v[198:199]
	v_add_f64 v[192:193], v[192:193], v[196:197]
	v_add_f64 v[188:189], v[188:189], v[190:191]
	v_fma_f64 v[196:197], v[2:3], v[26:27], -v[28:29]
	scratch_load_b128 v[26:29], off, off offset:544
	ds_load_b128 v[2:5], v1 offset:1104
	s_waitcnt vmcnt(9) lgkmcnt(1)
	v_mul_f64 v[190:191], v[184:185], v[32:33]
	v_mul_f64 v[32:33], v[186:187], v[32:33]
	s_waitcnt vmcnt(8) lgkmcnt(0)
	v_mul_f64 v[198:199], v[2:3], v[36:37]
	v_mul_f64 v[36:37], v[4:5], v[36:37]
	v_add_f64 v[192:193], v[192:193], v[180:181]
	v_add_f64 v[188:189], v[188:189], v[182:183]
	ds_load_b128 v[180:183], v1 offset:1120
	v_fma_f64 v[186:187], v[186:187], v[30:31], v[190:191]
	v_fma_f64 v[184:185], v[184:185], v[30:31], -v[32:33]
	scratch_load_b128 v[30:33], off, off offset:560
	v_add_f64 v[190:191], v[192:193], v[196:197]
	v_add_f64 v[188:189], v[188:189], v[194:195]
	v_fma_f64 v[194:195], v[4:5], v[34:35], v[198:199]
	v_fma_f64 v[196:197], v[2:3], v[34:35], -v[36:37]
	scratch_load_b128 v[34:37], off, off offset:576
	ds_load_b128 v[2:5], v1 offset:1136
	s_waitcnt vmcnt(9) lgkmcnt(1)
	v_mul_f64 v[192:193], v[180:181], v[178:179]
	v_mul_f64 v[178:179], v[182:183], v[178:179]
	s_waitcnt vmcnt(8) lgkmcnt(0)
	v_mul_f64 v[198:199], v[2:3], v[40:41]
	v_mul_f64 v[40:41], v[4:5], v[40:41]
	v_add_f64 v[190:191], v[190:191], v[184:185]
	v_add_f64 v[188:189], v[188:189], v[186:187]
	ds_load_b128 v[184:187], v1 offset:1152
	v_fma_f64 v[182:183], v[182:183], v[176:177], v[192:193]
	v_fma_f64 v[180:181], v[180:181], v[176:177], -v[178:179]
	scratch_load_b128 v[176:179], off, off offset:592
	v_add_f64 v[190:191], v[190:191], v[196:197]
	v_add_f64 v[188:189], v[188:189], v[194:195]
	v_fma_f64 v[194:195], v[4:5], v[38:39], v[198:199]
	;; [unrolled: 18-line block ×4, first 2 shown]
	v_fma_f64 v[196:197], v[2:3], v[18:19], -v[20:21]
	scratch_load_b128 v[18:21], off, off offset:672
	ds_load_b128 v[2:5], v1 offset:1232
	s_waitcnt vmcnt(9) lgkmcnt(1)
	v_mul_f64 v[192:193], v[184:185], v[24:25]
	v_mul_f64 v[24:25], v[186:187], v[24:25]
	s_waitcnt vmcnt(8) lgkmcnt(0)
	v_mul_f64 v[198:199], v[2:3], v[28:29]
	v_mul_f64 v[28:29], v[4:5], v[28:29]
	v_add_f64 v[190:191], v[190:191], v[180:181]
	v_add_f64 v[188:189], v[188:189], v[182:183]
	ds_load_b128 v[180:183], v1 offset:1248
	v_fma_f64 v[186:187], v[186:187], v[22:23], v[192:193]
	v_fma_f64 v[22:23], v[184:185], v[22:23], -v[24:25]
	v_add_f64 v[24:25], v[190:191], v[196:197]
	v_add_f64 v[184:185], v[188:189], v[194:195]
	s_waitcnt vmcnt(7) lgkmcnt(0)
	v_mul_f64 v[188:189], v[180:181], v[32:33]
	v_mul_f64 v[32:33], v[182:183], v[32:33]
	v_fma_f64 v[190:191], v[4:5], v[26:27], v[198:199]
	v_fma_f64 v[26:27], v[2:3], v[26:27], -v[28:29]
	v_add_f64 v[28:29], v[24:25], v[22:23]
	v_add_f64 v[184:185], v[184:185], v[186:187]
	ds_load_b128 v[2:5], v1 offset:1264
	ds_load_b128 v[22:25], v1 offset:1280
	v_fma_f64 v[182:183], v[182:183], v[30:31], v[188:189]
	v_fma_f64 v[30:31], v[180:181], v[30:31], -v[32:33]
	s_waitcnt vmcnt(6) lgkmcnt(1)
	v_mul_f64 v[186:187], v[2:3], v[36:37]
	v_mul_f64 v[36:37], v[4:5], v[36:37]
	s_waitcnt vmcnt(5) lgkmcnt(0)
	v_mul_f64 v[32:33], v[22:23], v[178:179]
	v_mul_f64 v[178:179], v[24:25], v[178:179]
	v_add_f64 v[26:27], v[28:29], v[26:27]
	v_add_f64 v[28:29], v[184:185], v[190:191]
	v_fma_f64 v[180:181], v[4:5], v[34:35], v[186:187]
	v_fma_f64 v[34:35], v[2:3], v[34:35], -v[36:37]
	v_fma_f64 v[24:25], v[24:25], v[176:177], v[32:33]
	v_fma_f64 v[22:23], v[22:23], v[176:177], -v[178:179]
	v_add_f64 v[30:31], v[26:27], v[30:31]
	v_add_f64 v[36:37], v[28:29], v[182:183]
	ds_load_b128 v[2:5], v1 offset:1296
	ds_load_b128 v[26:29], v1 offset:1312
	s_waitcnt vmcnt(4) lgkmcnt(1)
	v_mul_f64 v[182:183], v[2:3], v[40:41]
	v_mul_f64 v[40:41], v[4:5], v[40:41]
	v_add_f64 v[30:31], v[30:31], v[34:35]
	v_add_f64 v[32:33], v[36:37], v[180:181]
	s_waitcnt vmcnt(3) lgkmcnt(0)
	v_mul_f64 v[34:35], v[26:27], v[8:9]
	v_mul_f64 v[8:9], v[28:29], v[8:9]
	v_fma_f64 v[36:37], v[4:5], v[38:39], v[182:183]
	v_fma_f64 v[38:39], v[2:3], v[38:39], -v[40:41]
	v_add_f64 v[30:31], v[30:31], v[22:23]
	v_add_f64 v[32:33], v[32:33], v[24:25]
	ds_load_b128 v[2:5], v1 offset:1328
	ds_load_b128 v[22:25], v1 offset:1344
	v_fma_f64 v[28:29], v[28:29], v[6:7], v[34:35]
	v_fma_f64 v[6:7], v[26:27], v[6:7], -v[8:9]
	s_waitcnt vmcnt(2) lgkmcnt(1)
	v_mul_f64 v[40:41], v[2:3], v[12:13]
	v_mul_f64 v[12:13], v[4:5], v[12:13]
	v_add_f64 v[8:9], v[30:31], v[38:39]
	v_add_f64 v[26:27], v[32:33], v[36:37]
	s_waitcnt vmcnt(1) lgkmcnt(0)
	v_mul_f64 v[30:31], v[22:23], v[16:17]
	v_mul_f64 v[16:17], v[24:25], v[16:17]
	v_fma_f64 v[32:33], v[4:5], v[10:11], v[40:41]
	v_fma_f64 v[10:11], v[2:3], v[10:11], -v[12:13]
	ds_load_b128 v[2:5], v1 offset:1360
	v_add_f64 v[6:7], v[8:9], v[6:7]
	v_add_f64 v[8:9], v[26:27], v[28:29]
	v_fma_f64 v[24:25], v[24:25], v[14:15], v[30:31]
	v_fma_f64 v[14:15], v[22:23], v[14:15], -v[16:17]
	s_waitcnt vmcnt(0) lgkmcnt(0)
	v_mul_f64 v[12:13], v[2:3], v[20:21]
	v_mul_f64 v[20:21], v[4:5], v[20:21]
	v_add_f64 v[6:7], v[6:7], v[10:11]
	v_add_f64 v[8:9], v[8:9], v[32:33]
	s_delay_alu instid0(VALU_DEP_4) | instskip(NEXT) | instid1(VALU_DEP_4)
	v_fma_f64 v[4:5], v[4:5], v[18:19], v[12:13]
	v_fma_f64 v[2:3], v[2:3], v[18:19], -v[20:21]
	s_delay_alu instid0(VALU_DEP_4) | instskip(NEXT) | instid1(VALU_DEP_4)
	v_add_f64 v[6:7], v[6:7], v[14:15]
	v_add_f64 v[8:9], v[8:9], v[24:25]
	s_delay_alu instid0(VALU_DEP_2) | instskip(NEXT) | instid1(VALU_DEP_2)
	v_add_f64 v[2:3], v[6:7], v[2:3]
	v_add_f64 v[4:5], v[8:9], v[4:5]
	s_delay_alu instid0(VALU_DEP_2) | instskip(NEXT) | instid1(VALU_DEP_2)
	v_add_f64 v[2:3], v[42:43], -v[2:3]
	v_add_f64 v[4:5], v[44:45], -v[4:5]
	scratch_store_b128 off, v[2:5], off offset:112
	v_cmpx_lt_u32_e32 6, v132
	s_cbranch_execz .LBB106_259
; %bb.258:
	scratch_load_b128 v[5:8], v173, off
	v_mov_b32_e32 v2, v1
	v_mov_b32_e32 v3, v1
	;; [unrolled: 1-line block ×3, first 2 shown]
	scratch_store_b128 off, v[1:4], off offset:96
	s_waitcnt vmcnt(0)
	ds_store_b128 v175, v[5:8]
.LBB106_259:
	s_or_b32 exec_lo, exec_lo, s2
	s_waitcnt lgkmcnt(0)
	s_waitcnt_vscnt null, 0x0
	s_barrier
	buffer_gl0_inv
	s_clause 0x8
	scratch_load_b128 v[2:5], off, off offset:112
	scratch_load_b128 v[6:9], off, off offset:128
	;; [unrolled: 1-line block ×9, first 2 shown]
	ds_load_b128 v[42:45], v1 offset:800
	ds_load_b128 v[38:41], v1 offset:816
	s_clause 0x1
	scratch_load_b128 v[176:179], off, off offset:96
	scratch_load_b128 v[180:183], off, off offset:256
	s_mov_b32 s2, exec_lo
	s_waitcnt vmcnt(10) lgkmcnt(1)
	v_mul_f64 v[184:185], v[44:45], v[4:5]
	v_mul_f64 v[4:5], v[42:43], v[4:5]
	s_waitcnt vmcnt(9) lgkmcnt(0)
	v_mul_f64 v[188:189], v[38:39], v[8:9]
	v_mul_f64 v[8:9], v[40:41], v[8:9]
	s_delay_alu instid0(VALU_DEP_4) | instskip(NEXT) | instid1(VALU_DEP_4)
	v_fma_f64 v[190:191], v[42:43], v[2:3], -v[184:185]
	v_fma_f64 v[192:193], v[44:45], v[2:3], v[4:5]
	ds_load_b128 v[2:5], v1 offset:832
	ds_load_b128 v[184:187], v1 offset:848
	scratch_load_b128 v[42:45], off, off offset:272
	v_fma_f64 v[40:41], v[40:41], v[6:7], v[188:189]
	v_fma_f64 v[38:39], v[38:39], v[6:7], -v[8:9]
	scratch_load_b128 v[6:9], off, off offset:288
	s_waitcnt vmcnt(10) lgkmcnt(1)
	v_mul_f64 v[194:195], v[2:3], v[12:13]
	v_mul_f64 v[12:13], v[4:5], v[12:13]
	v_add_f64 v[188:189], v[190:191], 0
	v_add_f64 v[190:191], v[192:193], 0
	s_waitcnt vmcnt(9) lgkmcnt(0)
	v_mul_f64 v[192:193], v[184:185], v[16:17]
	v_mul_f64 v[16:17], v[186:187], v[16:17]
	v_fma_f64 v[194:195], v[4:5], v[10:11], v[194:195]
	v_fma_f64 v[196:197], v[2:3], v[10:11], -v[12:13]
	ds_load_b128 v[2:5], v1 offset:864
	scratch_load_b128 v[10:13], off, off offset:304
	v_add_f64 v[188:189], v[188:189], v[38:39]
	v_add_f64 v[190:191], v[190:191], v[40:41]
	ds_load_b128 v[38:41], v1 offset:880
	v_fma_f64 v[186:187], v[186:187], v[14:15], v[192:193]
	v_fma_f64 v[184:185], v[184:185], v[14:15], -v[16:17]
	scratch_load_b128 v[14:17], off, off offset:320
	s_waitcnt vmcnt(10) lgkmcnt(1)
	v_mul_f64 v[198:199], v[2:3], v[20:21]
	v_mul_f64 v[20:21], v[4:5], v[20:21]
	s_waitcnt vmcnt(9) lgkmcnt(0)
	v_mul_f64 v[192:193], v[38:39], v[24:25]
	v_mul_f64 v[24:25], v[40:41], v[24:25]
	v_add_f64 v[188:189], v[188:189], v[196:197]
	v_add_f64 v[190:191], v[190:191], v[194:195]
	v_fma_f64 v[194:195], v[4:5], v[18:19], v[198:199]
	v_fma_f64 v[196:197], v[2:3], v[18:19], -v[20:21]
	ds_load_b128 v[2:5], v1 offset:896
	scratch_load_b128 v[18:21], off, off offset:336
	v_fma_f64 v[40:41], v[40:41], v[22:23], v[192:193]
	v_fma_f64 v[38:39], v[38:39], v[22:23], -v[24:25]
	scratch_load_b128 v[22:25], off, off offset:352
	v_add_f64 v[188:189], v[188:189], v[184:185]
	v_add_f64 v[190:191], v[190:191], v[186:187]
	ds_load_b128 v[184:187], v1 offset:912
	s_waitcnt vmcnt(10) lgkmcnt(1)
	v_mul_f64 v[198:199], v[2:3], v[28:29]
	v_mul_f64 v[28:29], v[4:5], v[28:29]
	s_waitcnt vmcnt(9) lgkmcnt(0)
	v_mul_f64 v[192:193], v[184:185], v[32:33]
	v_mul_f64 v[32:33], v[186:187], v[32:33]
	v_add_f64 v[188:189], v[188:189], v[196:197]
	v_add_f64 v[190:191], v[190:191], v[194:195]
	v_fma_f64 v[194:195], v[4:5], v[26:27], v[198:199]
	v_fma_f64 v[196:197], v[2:3], v[26:27], -v[28:29]
	ds_load_b128 v[2:5], v1 offset:928
	scratch_load_b128 v[26:29], off, off offset:368
	v_fma_f64 v[186:187], v[186:187], v[30:31], v[192:193]
	v_fma_f64 v[184:185], v[184:185], v[30:31], -v[32:33]
	scratch_load_b128 v[30:33], off, off offset:384
	v_add_f64 v[188:189], v[188:189], v[38:39]
	v_add_f64 v[190:191], v[190:191], v[40:41]
	ds_load_b128 v[38:41], v1 offset:944
	s_waitcnt vmcnt(10) lgkmcnt(1)
	v_mul_f64 v[198:199], v[2:3], v[36:37]
	v_mul_f64 v[36:37], v[4:5], v[36:37]
	s_waitcnt vmcnt(8) lgkmcnt(0)
	v_mul_f64 v[192:193], v[38:39], v[182:183]
	v_add_f64 v[188:189], v[188:189], v[196:197]
	v_add_f64 v[190:191], v[190:191], v[194:195]
	v_mul_f64 v[194:195], v[40:41], v[182:183]
	v_fma_f64 v[196:197], v[4:5], v[34:35], v[198:199]
	v_fma_f64 v[198:199], v[2:3], v[34:35], -v[36:37]
	ds_load_b128 v[2:5], v1 offset:960
	scratch_load_b128 v[34:37], off, off offset:400
	v_fma_f64 v[192:193], v[40:41], v[180:181], v[192:193]
	v_add_f64 v[188:189], v[188:189], v[184:185]
	v_add_f64 v[186:187], v[190:191], v[186:187]
	ds_load_b128 v[182:185], v1 offset:976
	v_fma_f64 v[180:181], v[38:39], v[180:181], -v[194:195]
	scratch_load_b128 v[38:41], off, off offset:416
	s_waitcnt vmcnt(9) lgkmcnt(1)
	v_mul_f64 v[190:191], v[2:3], v[44:45]
	v_mul_f64 v[44:45], v[4:5], v[44:45]
	s_waitcnt vmcnt(8) lgkmcnt(0)
	v_mul_f64 v[194:195], v[182:183], v[8:9]
	v_mul_f64 v[8:9], v[184:185], v[8:9]
	v_add_f64 v[188:189], v[188:189], v[198:199]
	v_add_f64 v[186:187], v[186:187], v[196:197]
	v_fma_f64 v[190:191], v[4:5], v[42:43], v[190:191]
	v_fma_f64 v[196:197], v[2:3], v[42:43], -v[44:45]
	ds_load_b128 v[2:5], v1 offset:992
	scratch_load_b128 v[42:45], off, off offset:432
	v_fma_f64 v[184:185], v[184:185], v[6:7], v[194:195]
	v_fma_f64 v[182:183], v[182:183], v[6:7], -v[8:9]
	scratch_load_b128 v[6:9], off, off offset:448
	v_add_f64 v[180:181], v[188:189], v[180:181]
	v_add_f64 v[192:193], v[186:187], v[192:193]
	ds_load_b128 v[186:189], v1 offset:1008
	s_waitcnt vmcnt(9) lgkmcnt(1)
	v_mul_f64 v[198:199], v[2:3], v[12:13]
	v_mul_f64 v[12:13], v[4:5], v[12:13]
	v_add_f64 v[180:181], v[180:181], v[196:197]
	v_add_f64 v[190:191], v[192:193], v[190:191]
	s_waitcnt vmcnt(8) lgkmcnt(0)
	v_mul_f64 v[192:193], v[186:187], v[16:17]
	v_mul_f64 v[16:17], v[188:189], v[16:17]
	v_fma_f64 v[194:195], v[4:5], v[10:11], v[198:199]
	v_fma_f64 v[196:197], v[2:3], v[10:11], -v[12:13]
	ds_load_b128 v[2:5], v1 offset:1024
	scratch_load_b128 v[10:13], off, off offset:464
	v_add_f64 v[198:199], v[180:181], v[182:183]
	v_add_f64 v[184:185], v[190:191], v[184:185]
	ds_load_b128 v[180:183], v1 offset:1040
	s_waitcnt vmcnt(8) lgkmcnt(1)
	v_mul_f64 v[190:191], v[2:3], v[20:21]
	v_mul_f64 v[20:21], v[4:5], v[20:21]
	v_fma_f64 v[188:189], v[188:189], v[14:15], v[192:193]
	v_fma_f64 v[186:187], v[186:187], v[14:15], -v[16:17]
	scratch_load_b128 v[14:17], off, off offset:480
	v_add_f64 v[192:193], v[198:199], v[196:197]
	v_add_f64 v[184:185], v[184:185], v[194:195]
	s_waitcnt vmcnt(8) lgkmcnt(0)
	v_mul_f64 v[194:195], v[180:181], v[24:25]
	v_mul_f64 v[24:25], v[182:183], v[24:25]
	v_fma_f64 v[190:191], v[4:5], v[18:19], v[190:191]
	v_fma_f64 v[196:197], v[2:3], v[18:19], -v[20:21]
	ds_load_b128 v[2:5], v1 offset:1056
	scratch_load_b128 v[18:21], off, off offset:496
	v_add_f64 v[192:193], v[192:193], v[186:187]
	v_add_f64 v[188:189], v[184:185], v[188:189]
	ds_load_b128 v[184:187], v1 offset:1072
	s_waitcnt vmcnt(8) lgkmcnt(1)
	v_mul_f64 v[198:199], v[2:3], v[28:29]
	v_mul_f64 v[28:29], v[4:5], v[28:29]
	v_fma_f64 v[182:183], v[182:183], v[22:23], v[194:195]
	v_fma_f64 v[180:181], v[180:181], v[22:23], -v[24:25]
	scratch_load_b128 v[22:25], off, off offset:512
	;; [unrolled: 18-line block ×4, first 2 shown]
	s_waitcnt vmcnt(8) lgkmcnt(0)
	v_mul_f64 v[192:193], v[184:185], v[8:9]
	v_mul_f64 v[8:9], v[186:187], v[8:9]
	v_add_f64 v[190:191], v[190:191], v[196:197]
	v_add_f64 v[188:189], v[188:189], v[194:195]
	v_fma_f64 v[194:195], v[4:5], v[42:43], v[198:199]
	v_fma_f64 v[196:197], v[2:3], v[42:43], -v[44:45]
	ds_load_b128 v[2:5], v1 offset:1152
	scratch_load_b128 v[42:45], off, off offset:592
	v_fma_f64 v[186:187], v[186:187], v[6:7], v[192:193]
	v_fma_f64 v[184:185], v[184:185], v[6:7], -v[8:9]
	scratch_load_b128 v[6:9], off, off offset:608
	v_add_f64 v[190:191], v[190:191], v[180:181]
	v_add_f64 v[188:189], v[188:189], v[182:183]
	ds_load_b128 v[180:183], v1 offset:1168
	s_waitcnt vmcnt(9) lgkmcnt(1)
	v_mul_f64 v[198:199], v[2:3], v[12:13]
	v_mul_f64 v[12:13], v[4:5], v[12:13]
	s_waitcnt vmcnt(8) lgkmcnt(0)
	v_mul_f64 v[192:193], v[180:181], v[16:17]
	v_mul_f64 v[16:17], v[182:183], v[16:17]
	v_add_f64 v[190:191], v[190:191], v[196:197]
	v_add_f64 v[188:189], v[188:189], v[194:195]
	v_fma_f64 v[194:195], v[4:5], v[10:11], v[198:199]
	v_fma_f64 v[196:197], v[2:3], v[10:11], -v[12:13]
	ds_load_b128 v[2:5], v1 offset:1184
	scratch_load_b128 v[10:13], off, off offset:624
	v_fma_f64 v[182:183], v[182:183], v[14:15], v[192:193]
	v_fma_f64 v[180:181], v[180:181], v[14:15], -v[16:17]
	scratch_load_b128 v[14:17], off, off offset:640
	v_add_f64 v[190:191], v[190:191], v[184:185]
	v_add_f64 v[188:189], v[188:189], v[186:187]
	ds_load_b128 v[184:187], v1 offset:1200
	s_waitcnt vmcnt(9) lgkmcnt(1)
	v_mul_f64 v[198:199], v[2:3], v[20:21]
	v_mul_f64 v[20:21], v[4:5], v[20:21]
	;; [unrolled: 18-line block ×3, first 2 shown]
	s_waitcnt vmcnt(8) lgkmcnt(0)
	v_mul_f64 v[192:193], v[180:181], v[32:33]
	v_mul_f64 v[32:33], v[182:183], v[32:33]
	v_add_f64 v[190:191], v[190:191], v[196:197]
	v_add_f64 v[188:189], v[188:189], v[194:195]
	v_fma_f64 v[194:195], v[4:5], v[26:27], v[198:199]
	v_fma_f64 v[196:197], v[2:3], v[26:27], -v[28:29]
	ds_load_b128 v[2:5], v1 offset:1248
	ds_load_b128 v[26:29], v1 offset:1264
	v_fma_f64 v[182:183], v[182:183], v[30:31], v[192:193]
	v_fma_f64 v[30:31], v[180:181], v[30:31], -v[32:33]
	v_add_f64 v[184:185], v[190:191], v[184:185]
	v_add_f64 v[186:187], v[188:189], v[186:187]
	s_waitcnt vmcnt(7) lgkmcnt(1)
	v_mul_f64 v[188:189], v[2:3], v[36:37]
	v_mul_f64 v[36:37], v[4:5], v[36:37]
	s_delay_alu instid0(VALU_DEP_4) | instskip(NEXT) | instid1(VALU_DEP_4)
	v_add_f64 v[32:33], v[184:185], v[196:197]
	v_add_f64 v[180:181], v[186:187], v[194:195]
	s_waitcnt vmcnt(6) lgkmcnt(0)
	v_mul_f64 v[184:185], v[26:27], v[40:41]
	v_mul_f64 v[40:41], v[28:29], v[40:41]
	v_fma_f64 v[186:187], v[4:5], v[34:35], v[188:189]
	v_fma_f64 v[34:35], v[2:3], v[34:35], -v[36:37]
	v_add_f64 v[36:37], v[32:33], v[30:31]
	v_add_f64 v[180:181], v[180:181], v[182:183]
	ds_load_b128 v[2:5], v1 offset:1280
	ds_load_b128 v[30:33], v1 offset:1296
	v_fma_f64 v[28:29], v[28:29], v[38:39], v[184:185]
	v_fma_f64 v[26:27], v[26:27], v[38:39], -v[40:41]
	s_waitcnt vmcnt(5) lgkmcnt(1)
	v_mul_f64 v[182:183], v[2:3], v[44:45]
	v_mul_f64 v[44:45], v[4:5], v[44:45]
	s_waitcnt vmcnt(4) lgkmcnt(0)
	v_mul_f64 v[38:39], v[30:31], v[8:9]
	v_mul_f64 v[8:9], v[32:33], v[8:9]
	v_add_f64 v[34:35], v[36:37], v[34:35]
	v_add_f64 v[36:37], v[180:181], v[186:187]
	v_fma_f64 v[40:41], v[4:5], v[42:43], v[182:183]
	v_fma_f64 v[42:43], v[2:3], v[42:43], -v[44:45]
	v_fma_f64 v[32:33], v[32:33], v[6:7], v[38:39]
	v_fma_f64 v[6:7], v[30:31], v[6:7], -v[8:9]
	v_add_f64 v[34:35], v[34:35], v[26:27]
	v_add_f64 v[36:37], v[36:37], v[28:29]
	ds_load_b128 v[2:5], v1 offset:1312
	ds_load_b128 v[26:29], v1 offset:1328
	s_waitcnt vmcnt(3) lgkmcnt(1)
	v_mul_f64 v[44:45], v[2:3], v[12:13]
	v_mul_f64 v[12:13], v[4:5], v[12:13]
	v_add_f64 v[8:9], v[34:35], v[42:43]
	v_add_f64 v[30:31], v[36:37], v[40:41]
	s_waitcnt vmcnt(2) lgkmcnt(0)
	v_mul_f64 v[34:35], v[26:27], v[16:17]
	v_mul_f64 v[16:17], v[28:29], v[16:17]
	v_fma_f64 v[36:37], v[4:5], v[10:11], v[44:45]
	v_fma_f64 v[10:11], v[2:3], v[10:11], -v[12:13]
	v_add_f64 v[12:13], v[8:9], v[6:7]
	v_add_f64 v[30:31], v[30:31], v[32:33]
	ds_load_b128 v[2:5], v1 offset:1344
	ds_load_b128 v[6:9], v1 offset:1360
	v_fma_f64 v[28:29], v[28:29], v[14:15], v[34:35]
	v_fma_f64 v[14:15], v[26:27], v[14:15], -v[16:17]
	s_waitcnt vmcnt(1) lgkmcnt(1)
	v_mul_f64 v[32:33], v[2:3], v[20:21]
	v_mul_f64 v[20:21], v[4:5], v[20:21]
	s_waitcnt vmcnt(0) lgkmcnt(0)
	v_mul_f64 v[16:17], v[6:7], v[24:25]
	v_mul_f64 v[24:25], v[8:9], v[24:25]
	v_add_f64 v[10:11], v[12:13], v[10:11]
	v_add_f64 v[12:13], v[30:31], v[36:37]
	v_fma_f64 v[4:5], v[4:5], v[18:19], v[32:33]
	v_fma_f64 v[1:2], v[2:3], v[18:19], -v[20:21]
	v_fma_f64 v[8:9], v[8:9], v[22:23], v[16:17]
	v_fma_f64 v[6:7], v[6:7], v[22:23], -v[24:25]
	v_add_f64 v[10:11], v[10:11], v[14:15]
	v_add_f64 v[12:13], v[12:13], v[28:29]
	s_delay_alu instid0(VALU_DEP_2) | instskip(NEXT) | instid1(VALU_DEP_2)
	v_add_f64 v[1:2], v[10:11], v[1:2]
	v_add_f64 v[3:4], v[12:13], v[4:5]
	s_delay_alu instid0(VALU_DEP_2) | instskip(NEXT) | instid1(VALU_DEP_2)
	;; [unrolled: 3-line block ×3, first 2 shown]
	v_add_f64 v[1:2], v[176:177], -v[1:2]
	v_add_f64 v[3:4], v[178:179], -v[3:4]
	scratch_store_b128 off, v[1:4], off offset:96
	v_cmpx_lt_u32_e32 5, v132
	s_cbranch_execz .LBB106_261
; %bb.260:
	scratch_load_b128 v[1:4], v174, off
	v_mov_b32_e32 v5, 0
	s_delay_alu instid0(VALU_DEP_1)
	v_mov_b32_e32 v6, v5
	v_mov_b32_e32 v7, v5
	;; [unrolled: 1-line block ×3, first 2 shown]
	scratch_store_b128 off, v[5:8], off offset:80
	s_waitcnt vmcnt(0)
	ds_store_b128 v175, v[1:4]
.LBB106_261:
	s_or_b32 exec_lo, exec_lo, s2
	s_waitcnt lgkmcnt(0)
	s_waitcnt_vscnt null, 0x0
	s_barrier
	buffer_gl0_inv
	s_clause 0x7
	scratch_load_b128 v[2:5], off, off offset:96
	scratch_load_b128 v[6:9], off, off offset:112
	;; [unrolled: 1-line block ×8, first 2 shown]
	v_mov_b32_e32 v1, 0
	s_mov_b32 s2, exec_lo
	ds_load_b128 v[38:41], v1 offset:784
	s_clause 0x1
	scratch_load_b128 v[34:37], off, off offset:224
	scratch_load_b128 v[42:45], off, off offset:80
	ds_load_b128 v[176:179], v1 offset:800
	scratch_load_b128 v[180:183], off, off offset:240
	s_waitcnt vmcnt(10) lgkmcnt(1)
	v_mul_f64 v[184:185], v[40:41], v[4:5]
	v_mul_f64 v[4:5], v[38:39], v[4:5]
	s_delay_alu instid0(VALU_DEP_2) | instskip(NEXT) | instid1(VALU_DEP_2)
	v_fma_f64 v[190:191], v[38:39], v[2:3], -v[184:185]
	v_fma_f64 v[192:193], v[40:41], v[2:3], v[4:5]
	scratch_load_b128 v[38:41], off, off offset:256
	ds_load_b128 v[2:5], v1 offset:816
	s_waitcnt vmcnt(10) lgkmcnt(1)
	v_mul_f64 v[188:189], v[176:177], v[8:9]
	v_mul_f64 v[8:9], v[178:179], v[8:9]
	ds_load_b128 v[184:187], v1 offset:832
	s_waitcnt vmcnt(9) lgkmcnt(1)
	v_mul_f64 v[194:195], v[2:3], v[12:13]
	v_mul_f64 v[12:13], v[4:5], v[12:13]
	v_fma_f64 v[178:179], v[178:179], v[6:7], v[188:189]
	v_fma_f64 v[176:177], v[176:177], v[6:7], -v[8:9]
	v_add_f64 v[188:189], v[190:191], 0
	v_add_f64 v[190:191], v[192:193], 0
	scratch_load_b128 v[6:9], off, off offset:272
	v_fma_f64 v[194:195], v[4:5], v[10:11], v[194:195]
	v_fma_f64 v[196:197], v[2:3], v[10:11], -v[12:13]
	scratch_load_b128 v[10:13], off, off offset:288
	ds_load_b128 v[2:5], v1 offset:848
	s_waitcnt vmcnt(10) lgkmcnt(1)
	v_mul_f64 v[192:193], v[184:185], v[16:17]
	v_mul_f64 v[16:17], v[186:187], v[16:17]
	v_add_f64 v[188:189], v[188:189], v[176:177]
	v_add_f64 v[190:191], v[190:191], v[178:179]
	s_waitcnt vmcnt(9) lgkmcnt(0)
	v_mul_f64 v[198:199], v[2:3], v[20:21]
	v_mul_f64 v[20:21], v[4:5], v[20:21]
	ds_load_b128 v[176:179], v1 offset:864
	v_fma_f64 v[186:187], v[186:187], v[14:15], v[192:193]
	v_fma_f64 v[184:185], v[184:185], v[14:15], -v[16:17]
	scratch_load_b128 v[14:17], off, off offset:304
	v_add_f64 v[188:189], v[188:189], v[196:197]
	v_add_f64 v[190:191], v[190:191], v[194:195]
	v_fma_f64 v[194:195], v[4:5], v[18:19], v[198:199]
	v_fma_f64 v[196:197], v[2:3], v[18:19], -v[20:21]
	scratch_load_b128 v[18:21], off, off offset:320
	ds_load_b128 v[2:5], v1 offset:880
	s_waitcnt vmcnt(10) lgkmcnt(1)
	v_mul_f64 v[192:193], v[176:177], v[24:25]
	v_mul_f64 v[24:25], v[178:179], v[24:25]
	s_waitcnt vmcnt(9) lgkmcnt(0)
	v_mul_f64 v[198:199], v[2:3], v[28:29]
	v_mul_f64 v[28:29], v[4:5], v[28:29]
	v_add_f64 v[188:189], v[188:189], v[184:185]
	v_add_f64 v[190:191], v[190:191], v[186:187]
	ds_load_b128 v[184:187], v1 offset:896
	v_fma_f64 v[178:179], v[178:179], v[22:23], v[192:193]
	v_fma_f64 v[176:177], v[176:177], v[22:23], -v[24:25]
	scratch_load_b128 v[22:25], off, off offset:336
	v_add_f64 v[188:189], v[188:189], v[196:197]
	v_add_f64 v[190:191], v[190:191], v[194:195]
	v_fma_f64 v[194:195], v[4:5], v[26:27], v[198:199]
	v_fma_f64 v[196:197], v[2:3], v[26:27], -v[28:29]
	scratch_load_b128 v[26:29], off, off offset:352
	ds_load_b128 v[2:5], v1 offset:912
	s_waitcnt vmcnt(10) lgkmcnt(1)
	v_mul_f64 v[192:193], v[184:185], v[32:33]
	v_mul_f64 v[32:33], v[186:187], v[32:33]
	s_waitcnt vmcnt(9) lgkmcnt(0)
	v_mul_f64 v[198:199], v[2:3], v[36:37]
	v_mul_f64 v[36:37], v[4:5], v[36:37]
	v_add_f64 v[188:189], v[188:189], v[176:177]
	v_add_f64 v[190:191], v[190:191], v[178:179]
	ds_load_b128 v[176:179], v1 offset:928
	v_fma_f64 v[186:187], v[186:187], v[30:31], v[192:193]
	v_fma_f64 v[184:185], v[184:185], v[30:31], -v[32:33]
	scratch_load_b128 v[30:33], off, off offset:368
	v_add_f64 v[188:189], v[188:189], v[196:197]
	v_add_f64 v[190:191], v[190:191], v[194:195]
	v_fma_f64 v[196:197], v[4:5], v[34:35], v[198:199]
	v_fma_f64 v[198:199], v[2:3], v[34:35], -v[36:37]
	scratch_load_b128 v[34:37], off, off offset:384
	ds_load_b128 v[2:5], v1 offset:944
	s_waitcnt vmcnt(9) lgkmcnt(1)
	v_mul_f64 v[192:193], v[176:177], v[182:183]
	v_mul_f64 v[194:195], v[178:179], v[182:183]
	v_add_f64 v[188:189], v[188:189], v[184:185]
	v_add_f64 v[186:187], v[190:191], v[186:187]
	ds_load_b128 v[182:185], v1 offset:960
	v_fma_f64 v[192:193], v[178:179], v[180:181], v[192:193]
	v_fma_f64 v[180:181], v[176:177], v[180:181], -v[194:195]
	scratch_load_b128 v[176:179], off, off offset:400
	s_waitcnt vmcnt(9) lgkmcnt(1)
	v_mul_f64 v[190:191], v[2:3], v[40:41]
	v_mul_f64 v[40:41], v[4:5], v[40:41]
	v_add_f64 v[188:189], v[188:189], v[198:199]
	v_add_f64 v[186:187], v[186:187], v[196:197]
	s_delay_alu instid0(VALU_DEP_4) | instskip(NEXT) | instid1(VALU_DEP_4)
	v_fma_f64 v[190:191], v[4:5], v[38:39], v[190:191]
	v_fma_f64 v[196:197], v[2:3], v[38:39], -v[40:41]
	scratch_load_b128 v[38:41], off, off offset:416
	ds_load_b128 v[2:5], v1 offset:976
	s_waitcnt vmcnt(9) lgkmcnt(1)
	v_mul_f64 v[194:195], v[182:183], v[8:9]
	v_mul_f64 v[8:9], v[184:185], v[8:9]
	s_waitcnt vmcnt(8) lgkmcnt(0)
	v_mul_f64 v[198:199], v[2:3], v[12:13]
	v_mul_f64 v[12:13], v[4:5], v[12:13]
	v_add_f64 v[180:181], v[188:189], v[180:181]
	v_add_f64 v[192:193], v[186:187], v[192:193]
	ds_load_b128 v[186:189], v1 offset:992
	v_fma_f64 v[184:185], v[184:185], v[6:7], v[194:195]
	v_fma_f64 v[182:183], v[182:183], v[6:7], -v[8:9]
	scratch_load_b128 v[6:9], off, off offset:432
	v_fma_f64 v[194:195], v[4:5], v[10:11], v[198:199]
	v_add_f64 v[180:181], v[180:181], v[196:197]
	v_add_f64 v[190:191], v[192:193], v[190:191]
	v_fma_f64 v[196:197], v[2:3], v[10:11], -v[12:13]
	scratch_load_b128 v[10:13], off, off offset:448
	ds_load_b128 v[2:5], v1 offset:1008
	s_waitcnt vmcnt(9) lgkmcnt(1)
	v_mul_f64 v[192:193], v[186:187], v[16:17]
	v_mul_f64 v[16:17], v[188:189], v[16:17]
	v_add_f64 v[198:199], v[180:181], v[182:183]
	v_add_f64 v[184:185], v[190:191], v[184:185]
	s_waitcnt vmcnt(8) lgkmcnt(0)
	v_mul_f64 v[190:191], v[2:3], v[20:21]
	v_mul_f64 v[20:21], v[4:5], v[20:21]
	ds_load_b128 v[180:183], v1 offset:1024
	v_fma_f64 v[188:189], v[188:189], v[14:15], v[192:193]
	v_fma_f64 v[186:187], v[186:187], v[14:15], -v[16:17]
	scratch_load_b128 v[14:17], off, off offset:464
	v_add_f64 v[192:193], v[198:199], v[196:197]
	v_add_f64 v[184:185], v[184:185], v[194:195]
	v_fma_f64 v[190:191], v[4:5], v[18:19], v[190:191]
	v_fma_f64 v[196:197], v[2:3], v[18:19], -v[20:21]
	scratch_load_b128 v[18:21], off, off offset:480
	ds_load_b128 v[2:5], v1 offset:1040
	s_waitcnt vmcnt(9) lgkmcnt(1)
	v_mul_f64 v[194:195], v[180:181], v[24:25]
	v_mul_f64 v[24:25], v[182:183], v[24:25]
	s_waitcnt vmcnt(8) lgkmcnt(0)
	v_mul_f64 v[198:199], v[2:3], v[28:29]
	v_mul_f64 v[28:29], v[4:5], v[28:29]
	v_add_f64 v[192:193], v[192:193], v[186:187]
	v_add_f64 v[188:189], v[184:185], v[188:189]
	ds_load_b128 v[184:187], v1 offset:1056
	v_fma_f64 v[182:183], v[182:183], v[22:23], v[194:195]
	v_fma_f64 v[180:181], v[180:181], v[22:23], -v[24:25]
	scratch_load_b128 v[22:25], off, off offset:496
	v_fma_f64 v[194:195], v[4:5], v[26:27], v[198:199]
	v_add_f64 v[192:193], v[192:193], v[196:197]
	v_add_f64 v[188:189], v[188:189], v[190:191]
	v_fma_f64 v[196:197], v[2:3], v[26:27], -v[28:29]
	scratch_load_b128 v[26:29], off, off offset:512
	ds_load_b128 v[2:5], v1 offset:1072
	s_waitcnt vmcnt(9) lgkmcnt(1)
	v_mul_f64 v[190:191], v[184:185], v[32:33]
	v_mul_f64 v[32:33], v[186:187], v[32:33]
	s_waitcnt vmcnt(8) lgkmcnt(0)
	v_mul_f64 v[198:199], v[2:3], v[36:37]
	v_mul_f64 v[36:37], v[4:5], v[36:37]
	v_add_f64 v[192:193], v[192:193], v[180:181]
	v_add_f64 v[188:189], v[188:189], v[182:183]
	ds_load_b128 v[180:183], v1 offset:1088
	v_fma_f64 v[186:187], v[186:187], v[30:31], v[190:191]
	v_fma_f64 v[184:185], v[184:185], v[30:31], -v[32:33]
	scratch_load_b128 v[30:33], off, off offset:528
	v_add_f64 v[190:191], v[192:193], v[196:197]
	v_add_f64 v[188:189], v[188:189], v[194:195]
	v_fma_f64 v[194:195], v[4:5], v[34:35], v[198:199]
	v_fma_f64 v[196:197], v[2:3], v[34:35], -v[36:37]
	scratch_load_b128 v[34:37], off, off offset:544
	ds_load_b128 v[2:5], v1 offset:1104
	s_waitcnt vmcnt(9) lgkmcnt(1)
	v_mul_f64 v[192:193], v[180:181], v[178:179]
	v_mul_f64 v[178:179], v[182:183], v[178:179]
	s_waitcnt vmcnt(8) lgkmcnt(0)
	v_mul_f64 v[198:199], v[2:3], v[40:41]
	v_mul_f64 v[40:41], v[4:5], v[40:41]
	v_add_f64 v[190:191], v[190:191], v[184:185]
	v_add_f64 v[188:189], v[188:189], v[186:187]
	ds_load_b128 v[184:187], v1 offset:1120
	v_fma_f64 v[182:183], v[182:183], v[176:177], v[192:193]
	v_fma_f64 v[180:181], v[180:181], v[176:177], -v[178:179]
	scratch_load_b128 v[176:179], off, off offset:560
	v_add_f64 v[190:191], v[190:191], v[196:197]
	v_add_f64 v[188:189], v[188:189], v[194:195]
	v_fma_f64 v[194:195], v[4:5], v[38:39], v[198:199]
	;; [unrolled: 18-line block ×5, first 2 shown]
	v_fma_f64 v[196:197], v[2:3], v[26:27], -v[28:29]
	scratch_load_b128 v[26:29], off, off offset:672
	ds_load_b128 v[2:5], v1 offset:1232
	s_waitcnt vmcnt(9) lgkmcnt(1)
	v_mul_f64 v[192:193], v[180:181], v[32:33]
	v_mul_f64 v[32:33], v[182:183], v[32:33]
	s_waitcnt vmcnt(8) lgkmcnt(0)
	v_mul_f64 v[198:199], v[2:3], v[36:37]
	v_mul_f64 v[36:37], v[4:5], v[36:37]
	v_add_f64 v[190:191], v[190:191], v[184:185]
	v_add_f64 v[188:189], v[188:189], v[186:187]
	ds_load_b128 v[184:187], v1 offset:1248
	v_fma_f64 v[182:183], v[182:183], v[30:31], v[192:193]
	v_fma_f64 v[30:31], v[180:181], v[30:31], -v[32:33]
	v_add_f64 v[32:33], v[190:191], v[196:197]
	v_add_f64 v[180:181], v[188:189], v[194:195]
	s_waitcnt vmcnt(7) lgkmcnt(0)
	v_mul_f64 v[188:189], v[184:185], v[178:179]
	v_mul_f64 v[178:179], v[186:187], v[178:179]
	v_fma_f64 v[190:191], v[4:5], v[34:35], v[198:199]
	v_fma_f64 v[34:35], v[2:3], v[34:35], -v[36:37]
	v_add_f64 v[36:37], v[32:33], v[30:31]
	v_add_f64 v[180:181], v[180:181], v[182:183]
	ds_load_b128 v[2:5], v1 offset:1264
	ds_load_b128 v[30:33], v1 offset:1280
	v_fma_f64 v[186:187], v[186:187], v[176:177], v[188:189]
	v_fma_f64 v[176:177], v[184:185], v[176:177], -v[178:179]
	s_waitcnt vmcnt(6) lgkmcnt(1)
	v_mul_f64 v[182:183], v[2:3], v[40:41]
	v_mul_f64 v[40:41], v[4:5], v[40:41]
	s_waitcnt vmcnt(5) lgkmcnt(0)
	v_mul_f64 v[178:179], v[30:31], v[8:9]
	v_mul_f64 v[8:9], v[32:33], v[8:9]
	v_add_f64 v[34:35], v[36:37], v[34:35]
	v_add_f64 v[36:37], v[180:181], v[190:191]
	v_fma_f64 v[180:181], v[4:5], v[38:39], v[182:183]
	v_fma_f64 v[38:39], v[2:3], v[38:39], -v[40:41]
	v_fma_f64 v[32:33], v[32:33], v[6:7], v[178:179]
	v_fma_f64 v[6:7], v[30:31], v[6:7], -v[8:9]
	v_add_f64 v[40:41], v[34:35], v[176:177]
	v_add_f64 v[176:177], v[36:37], v[186:187]
	ds_load_b128 v[2:5], v1 offset:1296
	ds_load_b128 v[34:37], v1 offset:1312
	s_waitcnt vmcnt(4) lgkmcnt(1)
	v_mul_f64 v[182:183], v[2:3], v[12:13]
	v_mul_f64 v[12:13], v[4:5], v[12:13]
	v_add_f64 v[8:9], v[40:41], v[38:39]
	v_add_f64 v[30:31], v[176:177], v[180:181]
	s_waitcnt vmcnt(3) lgkmcnt(0)
	v_mul_f64 v[38:39], v[34:35], v[16:17]
	v_mul_f64 v[16:17], v[36:37], v[16:17]
	v_fma_f64 v[40:41], v[4:5], v[10:11], v[182:183]
	v_fma_f64 v[10:11], v[2:3], v[10:11], -v[12:13]
	v_add_f64 v[12:13], v[8:9], v[6:7]
	v_add_f64 v[30:31], v[30:31], v[32:33]
	ds_load_b128 v[2:5], v1 offset:1328
	ds_load_b128 v[6:9], v1 offset:1344
	v_fma_f64 v[36:37], v[36:37], v[14:15], v[38:39]
	v_fma_f64 v[14:15], v[34:35], v[14:15], -v[16:17]
	s_waitcnt vmcnt(2) lgkmcnt(1)
	v_mul_f64 v[32:33], v[2:3], v[20:21]
	v_mul_f64 v[20:21], v[4:5], v[20:21]
	s_waitcnt vmcnt(1) lgkmcnt(0)
	v_mul_f64 v[16:17], v[6:7], v[24:25]
	v_mul_f64 v[24:25], v[8:9], v[24:25]
	v_add_f64 v[10:11], v[12:13], v[10:11]
	v_add_f64 v[12:13], v[30:31], v[40:41]
	v_fma_f64 v[30:31], v[4:5], v[18:19], v[32:33]
	v_fma_f64 v[18:19], v[2:3], v[18:19], -v[20:21]
	ds_load_b128 v[2:5], v1 offset:1360
	v_fma_f64 v[8:9], v[8:9], v[22:23], v[16:17]
	v_fma_f64 v[6:7], v[6:7], v[22:23], -v[24:25]
	v_add_f64 v[10:11], v[10:11], v[14:15]
	v_add_f64 v[12:13], v[12:13], v[36:37]
	s_waitcnt vmcnt(0) lgkmcnt(0)
	v_mul_f64 v[14:15], v[2:3], v[28:29]
	v_mul_f64 v[20:21], v[4:5], v[28:29]
	s_delay_alu instid0(VALU_DEP_4) | instskip(NEXT) | instid1(VALU_DEP_4)
	v_add_f64 v[10:11], v[10:11], v[18:19]
	v_add_f64 v[12:13], v[12:13], v[30:31]
	s_delay_alu instid0(VALU_DEP_4) | instskip(NEXT) | instid1(VALU_DEP_4)
	v_fma_f64 v[4:5], v[4:5], v[26:27], v[14:15]
	v_fma_f64 v[2:3], v[2:3], v[26:27], -v[20:21]
	s_delay_alu instid0(VALU_DEP_4) | instskip(NEXT) | instid1(VALU_DEP_4)
	v_add_f64 v[6:7], v[10:11], v[6:7]
	v_add_f64 v[8:9], v[12:13], v[8:9]
	s_delay_alu instid0(VALU_DEP_2) | instskip(NEXT) | instid1(VALU_DEP_2)
	v_add_f64 v[2:3], v[6:7], v[2:3]
	v_add_f64 v[4:5], v[8:9], v[4:5]
	s_delay_alu instid0(VALU_DEP_2) | instskip(NEXT) | instid1(VALU_DEP_2)
	v_add_f64 v[2:3], v[42:43], -v[2:3]
	v_add_f64 v[4:5], v[44:45], -v[4:5]
	scratch_store_b128 off, v[2:5], off offset:80
	v_cmpx_lt_u32_e32 4, v132
	s_cbranch_execz .LBB106_263
; %bb.262:
	scratch_load_b128 v[5:8], v133, off
	v_mov_b32_e32 v2, v1
	v_mov_b32_e32 v3, v1
	;; [unrolled: 1-line block ×3, first 2 shown]
	scratch_store_b128 off, v[1:4], off offset:64
	s_waitcnt vmcnt(0)
	ds_store_b128 v175, v[5:8]
.LBB106_263:
	s_or_b32 exec_lo, exec_lo, s2
	s_waitcnt lgkmcnt(0)
	s_waitcnt_vscnt null, 0x0
	s_barrier
	buffer_gl0_inv
	s_clause 0x8
	scratch_load_b128 v[2:5], off, off offset:80
	scratch_load_b128 v[6:9], off, off offset:96
	;; [unrolled: 1-line block ×9, first 2 shown]
	ds_load_b128 v[42:45], v1 offset:768
	ds_load_b128 v[38:41], v1 offset:784
	s_clause 0x1
	scratch_load_b128 v[176:179], off, off offset:64
	scratch_load_b128 v[180:183], off, off offset:224
	s_mov_b32 s2, exec_lo
	s_waitcnt vmcnt(10) lgkmcnt(1)
	v_mul_f64 v[184:185], v[44:45], v[4:5]
	v_mul_f64 v[4:5], v[42:43], v[4:5]
	s_waitcnt vmcnt(9) lgkmcnt(0)
	v_mul_f64 v[188:189], v[38:39], v[8:9]
	v_mul_f64 v[8:9], v[40:41], v[8:9]
	s_delay_alu instid0(VALU_DEP_4) | instskip(NEXT) | instid1(VALU_DEP_4)
	v_fma_f64 v[190:191], v[42:43], v[2:3], -v[184:185]
	v_fma_f64 v[192:193], v[44:45], v[2:3], v[4:5]
	ds_load_b128 v[2:5], v1 offset:800
	ds_load_b128 v[184:187], v1 offset:816
	scratch_load_b128 v[42:45], off, off offset:240
	v_fma_f64 v[40:41], v[40:41], v[6:7], v[188:189]
	v_fma_f64 v[38:39], v[38:39], v[6:7], -v[8:9]
	scratch_load_b128 v[6:9], off, off offset:256
	s_waitcnt vmcnt(10) lgkmcnt(1)
	v_mul_f64 v[194:195], v[2:3], v[12:13]
	v_mul_f64 v[12:13], v[4:5], v[12:13]
	v_add_f64 v[188:189], v[190:191], 0
	v_add_f64 v[190:191], v[192:193], 0
	s_waitcnt vmcnt(9) lgkmcnt(0)
	v_mul_f64 v[192:193], v[184:185], v[16:17]
	v_mul_f64 v[16:17], v[186:187], v[16:17]
	v_fma_f64 v[194:195], v[4:5], v[10:11], v[194:195]
	v_fma_f64 v[196:197], v[2:3], v[10:11], -v[12:13]
	ds_load_b128 v[2:5], v1 offset:832
	scratch_load_b128 v[10:13], off, off offset:272
	v_add_f64 v[188:189], v[188:189], v[38:39]
	v_add_f64 v[190:191], v[190:191], v[40:41]
	ds_load_b128 v[38:41], v1 offset:848
	v_fma_f64 v[186:187], v[186:187], v[14:15], v[192:193]
	v_fma_f64 v[184:185], v[184:185], v[14:15], -v[16:17]
	scratch_load_b128 v[14:17], off, off offset:288
	s_waitcnt vmcnt(10) lgkmcnt(1)
	v_mul_f64 v[198:199], v[2:3], v[20:21]
	v_mul_f64 v[20:21], v[4:5], v[20:21]
	s_waitcnt vmcnt(9) lgkmcnt(0)
	v_mul_f64 v[192:193], v[38:39], v[24:25]
	v_mul_f64 v[24:25], v[40:41], v[24:25]
	v_add_f64 v[188:189], v[188:189], v[196:197]
	v_add_f64 v[190:191], v[190:191], v[194:195]
	v_fma_f64 v[194:195], v[4:5], v[18:19], v[198:199]
	v_fma_f64 v[196:197], v[2:3], v[18:19], -v[20:21]
	ds_load_b128 v[2:5], v1 offset:864
	scratch_load_b128 v[18:21], off, off offset:304
	v_fma_f64 v[40:41], v[40:41], v[22:23], v[192:193]
	v_fma_f64 v[38:39], v[38:39], v[22:23], -v[24:25]
	scratch_load_b128 v[22:25], off, off offset:320
	v_add_f64 v[188:189], v[188:189], v[184:185]
	v_add_f64 v[190:191], v[190:191], v[186:187]
	ds_load_b128 v[184:187], v1 offset:880
	s_waitcnt vmcnt(10) lgkmcnt(1)
	v_mul_f64 v[198:199], v[2:3], v[28:29]
	v_mul_f64 v[28:29], v[4:5], v[28:29]
	s_waitcnt vmcnt(9) lgkmcnt(0)
	v_mul_f64 v[192:193], v[184:185], v[32:33]
	v_mul_f64 v[32:33], v[186:187], v[32:33]
	v_add_f64 v[188:189], v[188:189], v[196:197]
	v_add_f64 v[190:191], v[190:191], v[194:195]
	v_fma_f64 v[194:195], v[4:5], v[26:27], v[198:199]
	v_fma_f64 v[196:197], v[2:3], v[26:27], -v[28:29]
	ds_load_b128 v[2:5], v1 offset:896
	scratch_load_b128 v[26:29], off, off offset:336
	v_fma_f64 v[186:187], v[186:187], v[30:31], v[192:193]
	v_fma_f64 v[184:185], v[184:185], v[30:31], -v[32:33]
	scratch_load_b128 v[30:33], off, off offset:352
	v_add_f64 v[188:189], v[188:189], v[38:39]
	v_add_f64 v[190:191], v[190:191], v[40:41]
	ds_load_b128 v[38:41], v1 offset:912
	s_waitcnt vmcnt(10) lgkmcnt(1)
	v_mul_f64 v[198:199], v[2:3], v[36:37]
	v_mul_f64 v[36:37], v[4:5], v[36:37]
	s_waitcnt vmcnt(8) lgkmcnt(0)
	v_mul_f64 v[192:193], v[38:39], v[182:183]
	v_add_f64 v[188:189], v[188:189], v[196:197]
	v_add_f64 v[190:191], v[190:191], v[194:195]
	v_mul_f64 v[194:195], v[40:41], v[182:183]
	v_fma_f64 v[196:197], v[4:5], v[34:35], v[198:199]
	v_fma_f64 v[198:199], v[2:3], v[34:35], -v[36:37]
	ds_load_b128 v[2:5], v1 offset:928
	scratch_load_b128 v[34:37], off, off offset:368
	v_fma_f64 v[192:193], v[40:41], v[180:181], v[192:193]
	v_add_f64 v[188:189], v[188:189], v[184:185]
	v_add_f64 v[186:187], v[190:191], v[186:187]
	ds_load_b128 v[182:185], v1 offset:944
	v_fma_f64 v[180:181], v[38:39], v[180:181], -v[194:195]
	scratch_load_b128 v[38:41], off, off offset:384
	s_waitcnt vmcnt(9) lgkmcnt(1)
	v_mul_f64 v[190:191], v[2:3], v[44:45]
	v_mul_f64 v[44:45], v[4:5], v[44:45]
	s_waitcnt vmcnt(8) lgkmcnt(0)
	v_mul_f64 v[194:195], v[182:183], v[8:9]
	v_mul_f64 v[8:9], v[184:185], v[8:9]
	v_add_f64 v[188:189], v[188:189], v[198:199]
	v_add_f64 v[186:187], v[186:187], v[196:197]
	v_fma_f64 v[190:191], v[4:5], v[42:43], v[190:191]
	v_fma_f64 v[196:197], v[2:3], v[42:43], -v[44:45]
	ds_load_b128 v[2:5], v1 offset:960
	scratch_load_b128 v[42:45], off, off offset:400
	v_fma_f64 v[184:185], v[184:185], v[6:7], v[194:195]
	v_fma_f64 v[182:183], v[182:183], v[6:7], -v[8:9]
	scratch_load_b128 v[6:9], off, off offset:416
	v_add_f64 v[180:181], v[188:189], v[180:181]
	v_add_f64 v[192:193], v[186:187], v[192:193]
	ds_load_b128 v[186:189], v1 offset:976
	s_waitcnt vmcnt(9) lgkmcnt(1)
	v_mul_f64 v[198:199], v[2:3], v[12:13]
	v_mul_f64 v[12:13], v[4:5], v[12:13]
	v_add_f64 v[180:181], v[180:181], v[196:197]
	v_add_f64 v[190:191], v[192:193], v[190:191]
	s_waitcnt vmcnt(8) lgkmcnt(0)
	v_mul_f64 v[192:193], v[186:187], v[16:17]
	v_mul_f64 v[16:17], v[188:189], v[16:17]
	v_fma_f64 v[194:195], v[4:5], v[10:11], v[198:199]
	v_fma_f64 v[196:197], v[2:3], v[10:11], -v[12:13]
	ds_load_b128 v[2:5], v1 offset:992
	scratch_load_b128 v[10:13], off, off offset:432
	v_add_f64 v[198:199], v[180:181], v[182:183]
	v_add_f64 v[184:185], v[190:191], v[184:185]
	ds_load_b128 v[180:183], v1 offset:1008
	s_waitcnt vmcnt(8) lgkmcnt(1)
	v_mul_f64 v[190:191], v[2:3], v[20:21]
	v_mul_f64 v[20:21], v[4:5], v[20:21]
	v_fma_f64 v[188:189], v[188:189], v[14:15], v[192:193]
	v_fma_f64 v[186:187], v[186:187], v[14:15], -v[16:17]
	scratch_load_b128 v[14:17], off, off offset:448
	v_add_f64 v[192:193], v[198:199], v[196:197]
	v_add_f64 v[184:185], v[184:185], v[194:195]
	s_waitcnt vmcnt(8) lgkmcnt(0)
	v_mul_f64 v[194:195], v[180:181], v[24:25]
	v_mul_f64 v[24:25], v[182:183], v[24:25]
	v_fma_f64 v[190:191], v[4:5], v[18:19], v[190:191]
	v_fma_f64 v[196:197], v[2:3], v[18:19], -v[20:21]
	ds_load_b128 v[2:5], v1 offset:1024
	scratch_load_b128 v[18:21], off, off offset:464
	v_add_f64 v[192:193], v[192:193], v[186:187]
	v_add_f64 v[188:189], v[184:185], v[188:189]
	ds_load_b128 v[184:187], v1 offset:1040
	s_waitcnt vmcnt(8) lgkmcnt(1)
	v_mul_f64 v[198:199], v[2:3], v[28:29]
	v_mul_f64 v[28:29], v[4:5], v[28:29]
	v_fma_f64 v[182:183], v[182:183], v[22:23], v[194:195]
	v_fma_f64 v[180:181], v[180:181], v[22:23], -v[24:25]
	scratch_load_b128 v[22:25], off, off offset:480
	;; [unrolled: 18-line block ×4, first 2 shown]
	s_waitcnt vmcnt(8) lgkmcnt(0)
	v_mul_f64 v[192:193], v[184:185], v[8:9]
	v_mul_f64 v[8:9], v[186:187], v[8:9]
	v_add_f64 v[190:191], v[190:191], v[196:197]
	v_add_f64 v[188:189], v[188:189], v[194:195]
	v_fma_f64 v[194:195], v[4:5], v[42:43], v[198:199]
	v_fma_f64 v[196:197], v[2:3], v[42:43], -v[44:45]
	ds_load_b128 v[2:5], v1 offset:1120
	scratch_load_b128 v[42:45], off, off offset:560
	v_fma_f64 v[186:187], v[186:187], v[6:7], v[192:193]
	v_fma_f64 v[184:185], v[184:185], v[6:7], -v[8:9]
	scratch_load_b128 v[6:9], off, off offset:576
	v_add_f64 v[190:191], v[190:191], v[180:181]
	v_add_f64 v[188:189], v[188:189], v[182:183]
	ds_load_b128 v[180:183], v1 offset:1136
	s_waitcnt vmcnt(9) lgkmcnt(1)
	v_mul_f64 v[198:199], v[2:3], v[12:13]
	v_mul_f64 v[12:13], v[4:5], v[12:13]
	s_waitcnt vmcnt(8) lgkmcnt(0)
	v_mul_f64 v[192:193], v[180:181], v[16:17]
	v_mul_f64 v[16:17], v[182:183], v[16:17]
	v_add_f64 v[190:191], v[190:191], v[196:197]
	v_add_f64 v[188:189], v[188:189], v[194:195]
	v_fma_f64 v[194:195], v[4:5], v[10:11], v[198:199]
	v_fma_f64 v[196:197], v[2:3], v[10:11], -v[12:13]
	ds_load_b128 v[2:5], v1 offset:1152
	scratch_load_b128 v[10:13], off, off offset:592
	v_fma_f64 v[182:183], v[182:183], v[14:15], v[192:193]
	v_fma_f64 v[180:181], v[180:181], v[14:15], -v[16:17]
	scratch_load_b128 v[14:17], off, off offset:608
	v_add_f64 v[190:191], v[190:191], v[184:185]
	v_add_f64 v[188:189], v[188:189], v[186:187]
	ds_load_b128 v[184:187], v1 offset:1168
	s_waitcnt vmcnt(9) lgkmcnt(1)
	v_mul_f64 v[198:199], v[2:3], v[20:21]
	v_mul_f64 v[20:21], v[4:5], v[20:21]
	;; [unrolled: 18-line block ×4, first 2 shown]
	s_waitcnt vmcnt(8) lgkmcnt(0)
	v_mul_f64 v[192:193], v[184:185], v[40:41]
	v_mul_f64 v[40:41], v[186:187], v[40:41]
	v_add_f64 v[190:191], v[190:191], v[196:197]
	v_add_f64 v[188:189], v[188:189], v[194:195]
	v_fma_f64 v[194:195], v[4:5], v[34:35], v[198:199]
	v_fma_f64 v[196:197], v[2:3], v[34:35], -v[36:37]
	ds_load_b128 v[2:5], v1 offset:1248
	ds_load_b128 v[34:37], v1 offset:1264
	v_fma_f64 v[186:187], v[186:187], v[38:39], v[192:193]
	v_fma_f64 v[38:39], v[184:185], v[38:39], -v[40:41]
	v_add_f64 v[180:181], v[190:191], v[180:181]
	v_add_f64 v[182:183], v[188:189], v[182:183]
	s_waitcnt vmcnt(7) lgkmcnt(1)
	v_mul_f64 v[188:189], v[2:3], v[44:45]
	v_mul_f64 v[44:45], v[4:5], v[44:45]
	s_delay_alu instid0(VALU_DEP_4) | instskip(NEXT) | instid1(VALU_DEP_4)
	v_add_f64 v[40:41], v[180:181], v[196:197]
	v_add_f64 v[180:181], v[182:183], v[194:195]
	s_waitcnt vmcnt(6) lgkmcnt(0)
	v_mul_f64 v[182:183], v[34:35], v[8:9]
	v_mul_f64 v[8:9], v[36:37], v[8:9]
	v_fma_f64 v[184:185], v[4:5], v[42:43], v[188:189]
	v_fma_f64 v[42:43], v[2:3], v[42:43], -v[44:45]
	v_add_f64 v[44:45], v[40:41], v[38:39]
	v_add_f64 v[180:181], v[180:181], v[186:187]
	ds_load_b128 v[2:5], v1 offset:1280
	ds_load_b128 v[38:41], v1 offset:1296
	v_fma_f64 v[36:37], v[36:37], v[6:7], v[182:183]
	v_fma_f64 v[6:7], v[34:35], v[6:7], -v[8:9]
	s_waitcnt vmcnt(5) lgkmcnt(1)
	v_mul_f64 v[186:187], v[2:3], v[12:13]
	v_mul_f64 v[12:13], v[4:5], v[12:13]
	v_add_f64 v[8:9], v[44:45], v[42:43]
	v_add_f64 v[34:35], v[180:181], v[184:185]
	s_waitcnt vmcnt(4) lgkmcnt(0)
	v_mul_f64 v[42:43], v[38:39], v[16:17]
	v_mul_f64 v[16:17], v[40:41], v[16:17]
	v_fma_f64 v[44:45], v[4:5], v[10:11], v[186:187]
	v_fma_f64 v[10:11], v[2:3], v[10:11], -v[12:13]
	v_add_f64 v[12:13], v[8:9], v[6:7]
	v_add_f64 v[34:35], v[34:35], v[36:37]
	ds_load_b128 v[2:5], v1 offset:1312
	ds_load_b128 v[6:9], v1 offset:1328
	v_fma_f64 v[40:41], v[40:41], v[14:15], v[42:43]
	v_fma_f64 v[14:15], v[38:39], v[14:15], -v[16:17]
	s_waitcnt vmcnt(3) lgkmcnt(1)
	v_mul_f64 v[36:37], v[2:3], v[20:21]
	v_mul_f64 v[20:21], v[4:5], v[20:21]
	s_waitcnt vmcnt(2) lgkmcnt(0)
	v_mul_f64 v[16:17], v[6:7], v[24:25]
	v_mul_f64 v[24:25], v[8:9], v[24:25]
	v_add_f64 v[10:11], v[12:13], v[10:11]
	v_add_f64 v[12:13], v[34:35], v[44:45]
	v_fma_f64 v[34:35], v[4:5], v[18:19], v[36:37]
	v_fma_f64 v[18:19], v[2:3], v[18:19], -v[20:21]
	v_fma_f64 v[8:9], v[8:9], v[22:23], v[16:17]
	v_fma_f64 v[6:7], v[6:7], v[22:23], -v[24:25]
	v_add_f64 v[14:15], v[10:11], v[14:15]
	v_add_f64 v[20:21], v[12:13], v[40:41]
	ds_load_b128 v[2:5], v1 offset:1344
	ds_load_b128 v[10:13], v1 offset:1360
	s_waitcnt vmcnt(1) lgkmcnt(1)
	v_mul_f64 v[36:37], v[2:3], v[28:29]
	v_mul_f64 v[28:29], v[4:5], v[28:29]
	v_add_f64 v[14:15], v[14:15], v[18:19]
	v_add_f64 v[16:17], v[20:21], v[34:35]
	s_waitcnt vmcnt(0) lgkmcnt(0)
	v_mul_f64 v[18:19], v[10:11], v[32:33]
	v_mul_f64 v[20:21], v[12:13], v[32:33]
	v_fma_f64 v[4:5], v[4:5], v[26:27], v[36:37]
	v_fma_f64 v[1:2], v[2:3], v[26:27], -v[28:29]
	v_add_f64 v[6:7], v[14:15], v[6:7]
	v_add_f64 v[8:9], v[16:17], v[8:9]
	v_fma_f64 v[12:13], v[12:13], v[30:31], v[18:19]
	v_fma_f64 v[10:11], v[10:11], v[30:31], -v[20:21]
	s_delay_alu instid0(VALU_DEP_4) | instskip(NEXT) | instid1(VALU_DEP_4)
	v_add_f64 v[1:2], v[6:7], v[1:2]
	v_add_f64 v[3:4], v[8:9], v[4:5]
	s_delay_alu instid0(VALU_DEP_2) | instskip(NEXT) | instid1(VALU_DEP_2)
	v_add_f64 v[1:2], v[1:2], v[10:11]
	v_add_f64 v[3:4], v[3:4], v[12:13]
	s_delay_alu instid0(VALU_DEP_2) | instskip(NEXT) | instid1(VALU_DEP_2)
	v_add_f64 v[1:2], v[176:177], -v[1:2]
	v_add_f64 v[3:4], v[178:179], -v[3:4]
	scratch_store_b128 off, v[1:4], off offset:64
	v_cmpx_lt_u32_e32 3, v132
	s_cbranch_execz .LBB106_265
; %bb.264:
	scratch_load_b128 v[1:4], v134, off
	v_mov_b32_e32 v5, 0
	s_delay_alu instid0(VALU_DEP_1)
	v_mov_b32_e32 v6, v5
	v_mov_b32_e32 v7, v5
	;; [unrolled: 1-line block ×3, first 2 shown]
	scratch_store_b128 off, v[5:8], off offset:48
	s_waitcnt vmcnt(0)
	ds_store_b128 v175, v[1:4]
.LBB106_265:
	s_or_b32 exec_lo, exec_lo, s2
	s_waitcnt lgkmcnt(0)
	s_waitcnt_vscnt null, 0x0
	s_barrier
	buffer_gl0_inv
	s_clause 0x7
	scratch_load_b128 v[2:5], off, off offset:64
	scratch_load_b128 v[6:9], off, off offset:80
	;; [unrolled: 1-line block ×8, first 2 shown]
	v_mov_b32_e32 v1, 0
	s_mov_b32 s2, exec_lo
	ds_load_b128 v[38:41], v1 offset:752
	s_clause 0x1
	scratch_load_b128 v[34:37], off, off offset:192
	scratch_load_b128 v[42:45], off, off offset:48
	ds_load_b128 v[176:179], v1 offset:768
	scratch_load_b128 v[180:183], off, off offset:208
	s_waitcnt vmcnt(10) lgkmcnt(1)
	v_mul_f64 v[184:185], v[40:41], v[4:5]
	v_mul_f64 v[4:5], v[38:39], v[4:5]
	s_delay_alu instid0(VALU_DEP_2) | instskip(NEXT) | instid1(VALU_DEP_2)
	v_fma_f64 v[190:191], v[38:39], v[2:3], -v[184:185]
	v_fma_f64 v[192:193], v[40:41], v[2:3], v[4:5]
	scratch_load_b128 v[38:41], off, off offset:224
	ds_load_b128 v[2:5], v1 offset:784
	s_waitcnt vmcnt(10) lgkmcnt(1)
	v_mul_f64 v[188:189], v[176:177], v[8:9]
	v_mul_f64 v[8:9], v[178:179], v[8:9]
	ds_load_b128 v[184:187], v1 offset:800
	s_waitcnt vmcnt(9) lgkmcnt(1)
	v_mul_f64 v[194:195], v[2:3], v[12:13]
	v_mul_f64 v[12:13], v[4:5], v[12:13]
	v_fma_f64 v[178:179], v[178:179], v[6:7], v[188:189]
	v_fma_f64 v[176:177], v[176:177], v[6:7], -v[8:9]
	v_add_f64 v[188:189], v[190:191], 0
	v_add_f64 v[190:191], v[192:193], 0
	scratch_load_b128 v[6:9], off, off offset:240
	v_fma_f64 v[194:195], v[4:5], v[10:11], v[194:195]
	v_fma_f64 v[196:197], v[2:3], v[10:11], -v[12:13]
	scratch_load_b128 v[10:13], off, off offset:256
	ds_load_b128 v[2:5], v1 offset:816
	s_waitcnt vmcnt(10) lgkmcnt(1)
	v_mul_f64 v[192:193], v[184:185], v[16:17]
	v_mul_f64 v[16:17], v[186:187], v[16:17]
	v_add_f64 v[188:189], v[188:189], v[176:177]
	v_add_f64 v[190:191], v[190:191], v[178:179]
	s_waitcnt vmcnt(9) lgkmcnt(0)
	v_mul_f64 v[198:199], v[2:3], v[20:21]
	v_mul_f64 v[20:21], v[4:5], v[20:21]
	ds_load_b128 v[176:179], v1 offset:832
	v_fma_f64 v[186:187], v[186:187], v[14:15], v[192:193]
	v_fma_f64 v[184:185], v[184:185], v[14:15], -v[16:17]
	scratch_load_b128 v[14:17], off, off offset:272
	v_add_f64 v[188:189], v[188:189], v[196:197]
	v_add_f64 v[190:191], v[190:191], v[194:195]
	v_fma_f64 v[194:195], v[4:5], v[18:19], v[198:199]
	v_fma_f64 v[196:197], v[2:3], v[18:19], -v[20:21]
	scratch_load_b128 v[18:21], off, off offset:288
	ds_load_b128 v[2:5], v1 offset:848
	s_waitcnt vmcnt(10) lgkmcnt(1)
	v_mul_f64 v[192:193], v[176:177], v[24:25]
	v_mul_f64 v[24:25], v[178:179], v[24:25]
	s_waitcnt vmcnt(9) lgkmcnt(0)
	v_mul_f64 v[198:199], v[2:3], v[28:29]
	v_mul_f64 v[28:29], v[4:5], v[28:29]
	v_add_f64 v[188:189], v[188:189], v[184:185]
	v_add_f64 v[190:191], v[190:191], v[186:187]
	ds_load_b128 v[184:187], v1 offset:864
	v_fma_f64 v[178:179], v[178:179], v[22:23], v[192:193]
	v_fma_f64 v[176:177], v[176:177], v[22:23], -v[24:25]
	scratch_load_b128 v[22:25], off, off offset:304
	v_add_f64 v[188:189], v[188:189], v[196:197]
	v_add_f64 v[190:191], v[190:191], v[194:195]
	v_fma_f64 v[194:195], v[4:5], v[26:27], v[198:199]
	v_fma_f64 v[196:197], v[2:3], v[26:27], -v[28:29]
	scratch_load_b128 v[26:29], off, off offset:320
	ds_load_b128 v[2:5], v1 offset:880
	s_waitcnt vmcnt(10) lgkmcnt(1)
	v_mul_f64 v[192:193], v[184:185], v[32:33]
	v_mul_f64 v[32:33], v[186:187], v[32:33]
	s_waitcnt vmcnt(9) lgkmcnt(0)
	v_mul_f64 v[198:199], v[2:3], v[36:37]
	v_mul_f64 v[36:37], v[4:5], v[36:37]
	v_add_f64 v[188:189], v[188:189], v[176:177]
	v_add_f64 v[190:191], v[190:191], v[178:179]
	ds_load_b128 v[176:179], v1 offset:896
	v_fma_f64 v[186:187], v[186:187], v[30:31], v[192:193]
	v_fma_f64 v[184:185], v[184:185], v[30:31], -v[32:33]
	scratch_load_b128 v[30:33], off, off offset:336
	v_add_f64 v[188:189], v[188:189], v[196:197]
	v_add_f64 v[190:191], v[190:191], v[194:195]
	v_fma_f64 v[196:197], v[4:5], v[34:35], v[198:199]
	v_fma_f64 v[198:199], v[2:3], v[34:35], -v[36:37]
	scratch_load_b128 v[34:37], off, off offset:352
	ds_load_b128 v[2:5], v1 offset:912
	s_waitcnt vmcnt(9) lgkmcnt(1)
	v_mul_f64 v[192:193], v[176:177], v[182:183]
	v_mul_f64 v[194:195], v[178:179], v[182:183]
	v_add_f64 v[188:189], v[188:189], v[184:185]
	v_add_f64 v[186:187], v[190:191], v[186:187]
	ds_load_b128 v[182:185], v1 offset:928
	v_fma_f64 v[192:193], v[178:179], v[180:181], v[192:193]
	v_fma_f64 v[180:181], v[176:177], v[180:181], -v[194:195]
	scratch_load_b128 v[176:179], off, off offset:368
	s_waitcnt vmcnt(9) lgkmcnt(1)
	v_mul_f64 v[190:191], v[2:3], v[40:41]
	v_mul_f64 v[40:41], v[4:5], v[40:41]
	v_add_f64 v[188:189], v[188:189], v[198:199]
	v_add_f64 v[186:187], v[186:187], v[196:197]
	s_delay_alu instid0(VALU_DEP_4) | instskip(NEXT) | instid1(VALU_DEP_4)
	v_fma_f64 v[190:191], v[4:5], v[38:39], v[190:191]
	v_fma_f64 v[196:197], v[2:3], v[38:39], -v[40:41]
	scratch_load_b128 v[38:41], off, off offset:384
	ds_load_b128 v[2:5], v1 offset:944
	s_waitcnt vmcnt(9) lgkmcnt(1)
	v_mul_f64 v[194:195], v[182:183], v[8:9]
	v_mul_f64 v[8:9], v[184:185], v[8:9]
	s_waitcnt vmcnt(8) lgkmcnt(0)
	v_mul_f64 v[198:199], v[2:3], v[12:13]
	v_mul_f64 v[12:13], v[4:5], v[12:13]
	v_add_f64 v[180:181], v[188:189], v[180:181]
	v_add_f64 v[192:193], v[186:187], v[192:193]
	ds_load_b128 v[186:189], v1 offset:960
	v_fma_f64 v[184:185], v[184:185], v[6:7], v[194:195]
	v_fma_f64 v[182:183], v[182:183], v[6:7], -v[8:9]
	scratch_load_b128 v[6:9], off, off offset:400
	v_fma_f64 v[194:195], v[4:5], v[10:11], v[198:199]
	v_add_f64 v[180:181], v[180:181], v[196:197]
	v_add_f64 v[190:191], v[192:193], v[190:191]
	v_fma_f64 v[196:197], v[2:3], v[10:11], -v[12:13]
	scratch_load_b128 v[10:13], off, off offset:416
	ds_load_b128 v[2:5], v1 offset:976
	s_waitcnt vmcnt(9) lgkmcnt(1)
	v_mul_f64 v[192:193], v[186:187], v[16:17]
	v_mul_f64 v[16:17], v[188:189], v[16:17]
	v_add_f64 v[198:199], v[180:181], v[182:183]
	v_add_f64 v[184:185], v[190:191], v[184:185]
	s_waitcnt vmcnt(8) lgkmcnt(0)
	v_mul_f64 v[190:191], v[2:3], v[20:21]
	v_mul_f64 v[20:21], v[4:5], v[20:21]
	ds_load_b128 v[180:183], v1 offset:992
	v_fma_f64 v[188:189], v[188:189], v[14:15], v[192:193]
	v_fma_f64 v[186:187], v[186:187], v[14:15], -v[16:17]
	scratch_load_b128 v[14:17], off, off offset:432
	v_add_f64 v[192:193], v[198:199], v[196:197]
	v_add_f64 v[184:185], v[184:185], v[194:195]
	v_fma_f64 v[190:191], v[4:5], v[18:19], v[190:191]
	v_fma_f64 v[196:197], v[2:3], v[18:19], -v[20:21]
	scratch_load_b128 v[18:21], off, off offset:448
	ds_load_b128 v[2:5], v1 offset:1008
	s_waitcnt vmcnt(9) lgkmcnt(1)
	v_mul_f64 v[194:195], v[180:181], v[24:25]
	v_mul_f64 v[24:25], v[182:183], v[24:25]
	s_waitcnt vmcnt(8) lgkmcnt(0)
	v_mul_f64 v[198:199], v[2:3], v[28:29]
	v_mul_f64 v[28:29], v[4:5], v[28:29]
	v_add_f64 v[192:193], v[192:193], v[186:187]
	v_add_f64 v[188:189], v[184:185], v[188:189]
	ds_load_b128 v[184:187], v1 offset:1024
	v_fma_f64 v[182:183], v[182:183], v[22:23], v[194:195]
	v_fma_f64 v[180:181], v[180:181], v[22:23], -v[24:25]
	scratch_load_b128 v[22:25], off, off offset:464
	v_fma_f64 v[194:195], v[4:5], v[26:27], v[198:199]
	v_add_f64 v[192:193], v[192:193], v[196:197]
	v_add_f64 v[188:189], v[188:189], v[190:191]
	v_fma_f64 v[196:197], v[2:3], v[26:27], -v[28:29]
	scratch_load_b128 v[26:29], off, off offset:480
	ds_load_b128 v[2:5], v1 offset:1040
	s_waitcnt vmcnt(9) lgkmcnt(1)
	v_mul_f64 v[190:191], v[184:185], v[32:33]
	v_mul_f64 v[32:33], v[186:187], v[32:33]
	s_waitcnt vmcnt(8) lgkmcnt(0)
	v_mul_f64 v[198:199], v[2:3], v[36:37]
	v_mul_f64 v[36:37], v[4:5], v[36:37]
	v_add_f64 v[192:193], v[192:193], v[180:181]
	v_add_f64 v[188:189], v[188:189], v[182:183]
	ds_load_b128 v[180:183], v1 offset:1056
	v_fma_f64 v[186:187], v[186:187], v[30:31], v[190:191]
	v_fma_f64 v[184:185], v[184:185], v[30:31], -v[32:33]
	scratch_load_b128 v[30:33], off, off offset:496
	v_add_f64 v[190:191], v[192:193], v[196:197]
	v_add_f64 v[188:189], v[188:189], v[194:195]
	v_fma_f64 v[194:195], v[4:5], v[34:35], v[198:199]
	v_fma_f64 v[196:197], v[2:3], v[34:35], -v[36:37]
	scratch_load_b128 v[34:37], off, off offset:512
	ds_load_b128 v[2:5], v1 offset:1072
	s_waitcnt vmcnt(9) lgkmcnt(1)
	v_mul_f64 v[192:193], v[180:181], v[178:179]
	v_mul_f64 v[178:179], v[182:183], v[178:179]
	s_waitcnt vmcnt(8) lgkmcnt(0)
	v_mul_f64 v[198:199], v[2:3], v[40:41]
	v_mul_f64 v[40:41], v[4:5], v[40:41]
	v_add_f64 v[190:191], v[190:191], v[184:185]
	v_add_f64 v[188:189], v[188:189], v[186:187]
	ds_load_b128 v[184:187], v1 offset:1088
	v_fma_f64 v[182:183], v[182:183], v[176:177], v[192:193]
	v_fma_f64 v[180:181], v[180:181], v[176:177], -v[178:179]
	scratch_load_b128 v[176:179], off, off offset:528
	v_add_f64 v[190:191], v[190:191], v[196:197]
	v_add_f64 v[188:189], v[188:189], v[194:195]
	v_fma_f64 v[194:195], v[4:5], v[38:39], v[198:199]
	;; [unrolled: 18-line block ×6, first 2 shown]
	v_fma_f64 v[198:199], v[2:3], v[34:35], -v[36:37]
	scratch_load_b128 v[34:37], off, off offset:672
	ds_load_b128 v[2:5], v1 offset:1232
	s_waitcnt vmcnt(9) lgkmcnt(1)
	v_mul_f64 v[192:193], v[184:185], v[178:179]
	v_mul_f64 v[194:195], v[186:187], v[178:179]
	v_add_f64 v[190:191], v[190:191], v[180:181]
	v_add_f64 v[182:183], v[188:189], v[182:183]
	s_waitcnt vmcnt(8) lgkmcnt(0)
	v_mul_f64 v[188:189], v[2:3], v[40:41]
	v_mul_f64 v[40:41], v[4:5], v[40:41]
	ds_load_b128 v[178:181], v1 offset:1248
	v_fma_f64 v[186:187], v[186:187], v[176:177], v[192:193]
	v_fma_f64 v[176:177], v[184:185], v[176:177], -v[194:195]
	v_add_f64 v[184:185], v[190:191], v[198:199]
	v_add_f64 v[182:183], v[182:183], v[196:197]
	s_waitcnt vmcnt(7) lgkmcnt(0)
	v_mul_f64 v[190:191], v[178:179], v[8:9]
	v_mul_f64 v[8:9], v[180:181], v[8:9]
	v_fma_f64 v[188:189], v[4:5], v[38:39], v[188:189]
	v_fma_f64 v[192:193], v[2:3], v[38:39], -v[40:41]
	ds_load_b128 v[2:5], v1 offset:1264
	ds_load_b128 v[38:41], v1 offset:1280
	v_add_f64 v[176:177], v[184:185], v[176:177]
	v_add_f64 v[182:183], v[182:183], v[186:187]
	s_waitcnt vmcnt(6) lgkmcnt(1)
	v_mul_f64 v[184:185], v[2:3], v[12:13]
	v_mul_f64 v[12:13], v[4:5], v[12:13]
	v_fma_f64 v[180:181], v[180:181], v[6:7], v[190:191]
	v_fma_f64 v[6:7], v[178:179], v[6:7], -v[8:9]
	s_waitcnt vmcnt(5) lgkmcnt(0)
	v_mul_f64 v[178:179], v[38:39], v[16:17]
	v_mul_f64 v[16:17], v[40:41], v[16:17]
	v_add_f64 v[8:9], v[176:177], v[192:193]
	v_add_f64 v[176:177], v[182:183], v[188:189]
	v_fma_f64 v[182:183], v[4:5], v[10:11], v[184:185]
	v_fma_f64 v[10:11], v[2:3], v[10:11], -v[12:13]
	v_fma_f64 v[40:41], v[40:41], v[14:15], v[178:179]
	v_fma_f64 v[14:15], v[38:39], v[14:15], -v[16:17]
	v_add_f64 v[12:13], v[8:9], v[6:7]
	v_add_f64 v[176:177], v[176:177], v[180:181]
	ds_load_b128 v[2:5], v1 offset:1296
	ds_load_b128 v[6:9], v1 offset:1312
	s_waitcnt vmcnt(4) lgkmcnt(1)
	v_mul_f64 v[180:181], v[2:3], v[20:21]
	v_mul_f64 v[20:21], v[4:5], v[20:21]
	s_waitcnt vmcnt(3) lgkmcnt(0)
	v_mul_f64 v[16:17], v[6:7], v[24:25]
	v_mul_f64 v[24:25], v[8:9], v[24:25]
	v_add_f64 v[10:11], v[12:13], v[10:11]
	v_add_f64 v[12:13], v[176:177], v[182:183]
	v_fma_f64 v[38:39], v[4:5], v[18:19], v[180:181]
	v_fma_f64 v[18:19], v[2:3], v[18:19], -v[20:21]
	v_fma_f64 v[8:9], v[8:9], v[22:23], v[16:17]
	v_fma_f64 v[6:7], v[6:7], v[22:23], -v[24:25]
	v_add_f64 v[14:15], v[10:11], v[14:15]
	v_add_f64 v[20:21], v[12:13], v[40:41]
	ds_load_b128 v[2:5], v1 offset:1328
	ds_load_b128 v[10:13], v1 offset:1344
	s_waitcnt vmcnt(2) lgkmcnt(1)
	v_mul_f64 v[40:41], v[2:3], v[28:29]
	v_mul_f64 v[28:29], v[4:5], v[28:29]
	v_add_f64 v[14:15], v[14:15], v[18:19]
	v_add_f64 v[16:17], v[20:21], v[38:39]
	s_waitcnt vmcnt(1) lgkmcnt(0)
	v_mul_f64 v[18:19], v[10:11], v[32:33]
	v_mul_f64 v[20:21], v[12:13], v[32:33]
	v_fma_f64 v[22:23], v[4:5], v[26:27], v[40:41]
	v_fma_f64 v[24:25], v[2:3], v[26:27], -v[28:29]
	ds_load_b128 v[2:5], v1 offset:1360
	v_add_f64 v[6:7], v[14:15], v[6:7]
	v_add_f64 v[8:9], v[16:17], v[8:9]
	v_fma_f64 v[12:13], v[12:13], v[30:31], v[18:19]
	v_fma_f64 v[10:11], v[10:11], v[30:31], -v[20:21]
	s_waitcnt vmcnt(0) lgkmcnt(0)
	v_mul_f64 v[14:15], v[2:3], v[36:37]
	v_mul_f64 v[16:17], v[4:5], v[36:37]
	v_add_f64 v[6:7], v[6:7], v[24:25]
	v_add_f64 v[8:9], v[8:9], v[22:23]
	s_delay_alu instid0(VALU_DEP_4) | instskip(NEXT) | instid1(VALU_DEP_4)
	v_fma_f64 v[4:5], v[4:5], v[34:35], v[14:15]
	v_fma_f64 v[2:3], v[2:3], v[34:35], -v[16:17]
	s_delay_alu instid0(VALU_DEP_4) | instskip(NEXT) | instid1(VALU_DEP_4)
	v_add_f64 v[6:7], v[6:7], v[10:11]
	v_add_f64 v[8:9], v[8:9], v[12:13]
	s_delay_alu instid0(VALU_DEP_2) | instskip(NEXT) | instid1(VALU_DEP_2)
	v_add_f64 v[2:3], v[6:7], v[2:3]
	v_add_f64 v[4:5], v[8:9], v[4:5]
	s_delay_alu instid0(VALU_DEP_2) | instskip(NEXT) | instid1(VALU_DEP_2)
	v_add_f64 v[2:3], v[42:43], -v[2:3]
	v_add_f64 v[4:5], v[44:45], -v[4:5]
	scratch_store_b128 off, v[2:5], off offset:48
	v_cmpx_lt_u32_e32 2, v132
	s_cbranch_execz .LBB106_267
; %bb.266:
	scratch_load_b128 v[5:8], v135, off
	v_mov_b32_e32 v2, v1
	v_mov_b32_e32 v3, v1
	;; [unrolled: 1-line block ×3, first 2 shown]
	scratch_store_b128 off, v[1:4], off offset:32
	s_waitcnt vmcnt(0)
	ds_store_b128 v175, v[5:8]
.LBB106_267:
	s_or_b32 exec_lo, exec_lo, s2
	s_waitcnt lgkmcnt(0)
	s_waitcnt_vscnt null, 0x0
	s_barrier
	buffer_gl0_inv
	s_clause 0x8
	scratch_load_b128 v[2:5], off, off offset:48
	scratch_load_b128 v[6:9], off, off offset:64
	;; [unrolled: 1-line block ×9, first 2 shown]
	ds_load_b128 v[42:45], v1 offset:736
	ds_load_b128 v[38:41], v1 offset:752
	s_clause 0x1
	scratch_load_b128 v[176:179], off, off offset:32
	scratch_load_b128 v[180:183], off, off offset:192
	s_mov_b32 s2, exec_lo
	s_waitcnt vmcnt(10) lgkmcnt(1)
	v_mul_f64 v[184:185], v[44:45], v[4:5]
	v_mul_f64 v[4:5], v[42:43], v[4:5]
	s_waitcnt vmcnt(9) lgkmcnt(0)
	v_mul_f64 v[188:189], v[38:39], v[8:9]
	v_mul_f64 v[8:9], v[40:41], v[8:9]
	s_delay_alu instid0(VALU_DEP_4) | instskip(NEXT) | instid1(VALU_DEP_4)
	v_fma_f64 v[190:191], v[42:43], v[2:3], -v[184:185]
	v_fma_f64 v[192:193], v[44:45], v[2:3], v[4:5]
	ds_load_b128 v[2:5], v1 offset:768
	ds_load_b128 v[184:187], v1 offset:784
	scratch_load_b128 v[42:45], off, off offset:208
	v_fma_f64 v[40:41], v[40:41], v[6:7], v[188:189]
	v_fma_f64 v[38:39], v[38:39], v[6:7], -v[8:9]
	scratch_load_b128 v[6:9], off, off offset:224
	s_waitcnt vmcnt(10) lgkmcnt(1)
	v_mul_f64 v[194:195], v[2:3], v[12:13]
	v_mul_f64 v[12:13], v[4:5], v[12:13]
	v_add_f64 v[188:189], v[190:191], 0
	v_add_f64 v[190:191], v[192:193], 0
	s_waitcnt vmcnt(9) lgkmcnt(0)
	v_mul_f64 v[192:193], v[184:185], v[16:17]
	v_mul_f64 v[16:17], v[186:187], v[16:17]
	v_fma_f64 v[194:195], v[4:5], v[10:11], v[194:195]
	v_fma_f64 v[196:197], v[2:3], v[10:11], -v[12:13]
	ds_load_b128 v[2:5], v1 offset:800
	scratch_load_b128 v[10:13], off, off offset:240
	v_add_f64 v[188:189], v[188:189], v[38:39]
	v_add_f64 v[190:191], v[190:191], v[40:41]
	ds_load_b128 v[38:41], v1 offset:816
	v_fma_f64 v[186:187], v[186:187], v[14:15], v[192:193]
	v_fma_f64 v[184:185], v[184:185], v[14:15], -v[16:17]
	scratch_load_b128 v[14:17], off, off offset:256
	s_waitcnt vmcnt(10) lgkmcnt(1)
	v_mul_f64 v[198:199], v[2:3], v[20:21]
	v_mul_f64 v[20:21], v[4:5], v[20:21]
	s_waitcnt vmcnt(9) lgkmcnt(0)
	v_mul_f64 v[192:193], v[38:39], v[24:25]
	v_mul_f64 v[24:25], v[40:41], v[24:25]
	v_add_f64 v[188:189], v[188:189], v[196:197]
	v_add_f64 v[190:191], v[190:191], v[194:195]
	v_fma_f64 v[194:195], v[4:5], v[18:19], v[198:199]
	v_fma_f64 v[196:197], v[2:3], v[18:19], -v[20:21]
	ds_load_b128 v[2:5], v1 offset:832
	scratch_load_b128 v[18:21], off, off offset:272
	v_fma_f64 v[40:41], v[40:41], v[22:23], v[192:193]
	v_fma_f64 v[38:39], v[38:39], v[22:23], -v[24:25]
	scratch_load_b128 v[22:25], off, off offset:288
	v_add_f64 v[188:189], v[188:189], v[184:185]
	v_add_f64 v[190:191], v[190:191], v[186:187]
	ds_load_b128 v[184:187], v1 offset:848
	s_waitcnt vmcnt(10) lgkmcnt(1)
	v_mul_f64 v[198:199], v[2:3], v[28:29]
	v_mul_f64 v[28:29], v[4:5], v[28:29]
	s_waitcnt vmcnt(9) lgkmcnt(0)
	v_mul_f64 v[192:193], v[184:185], v[32:33]
	v_mul_f64 v[32:33], v[186:187], v[32:33]
	v_add_f64 v[188:189], v[188:189], v[196:197]
	v_add_f64 v[190:191], v[190:191], v[194:195]
	v_fma_f64 v[194:195], v[4:5], v[26:27], v[198:199]
	v_fma_f64 v[196:197], v[2:3], v[26:27], -v[28:29]
	ds_load_b128 v[2:5], v1 offset:864
	scratch_load_b128 v[26:29], off, off offset:304
	v_fma_f64 v[186:187], v[186:187], v[30:31], v[192:193]
	v_fma_f64 v[184:185], v[184:185], v[30:31], -v[32:33]
	scratch_load_b128 v[30:33], off, off offset:320
	v_add_f64 v[188:189], v[188:189], v[38:39]
	v_add_f64 v[190:191], v[190:191], v[40:41]
	ds_load_b128 v[38:41], v1 offset:880
	s_waitcnt vmcnt(10) lgkmcnt(1)
	v_mul_f64 v[198:199], v[2:3], v[36:37]
	v_mul_f64 v[36:37], v[4:5], v[36:37]
	s_waitcnt vmcnt(8) lgkmcnt(0)
	v_mul_f64 v[192:193], v[38:39], v[182:183]
	v_add_f64 v[188:189], v[188:189], v[196:197]
	v_add_f64 v[190:191], v[190:191], v[194:195]
	v_mul_f64 v[194:195], v[40:41], v[182:183]
	v_fma_f64 v[196:197], v[4:5], v[34:35], v[198:199]
	v_fma_f64 v[198:199], v[2:3], v[34:35], -v[36:37]
	ds_load_b128 v[2:5], v1 offset:896
	scratch_load_b128 v[34:37], off, off offset:336
	v_fma_f64 v[192:193], v[40:41], v[180:181], v[192:193]
	v_add_f64 v[188:189], v[188:189], v[184:185]
	v_add_f64 v[186:187], v[190:191], v[186:187]
	ds_load_b128 v[182:185], v1 offset:912
	v_fma_f64 v[180:181], v[38:39], v[180:181], -v[194:195]
	scratch_load_b128 v[38:41], off, off offset:352
	s_waitcnt vmcnt(9) lgkmcnt(1)
	v_mul_f64 v[190:191], v[2:3], v[44:45]
	v_mul_f64 v[44:45], v[4:5], v[44:45]
	s_waitcnt vmcnt(8) lgkmcnt(0)
	v_mul_f64 v[194:195], v[182:183], v[8:9]
	v_mul_f64 v[8:9], v[184:185], v[8:9]
	v_add_f64 v[188:189], v[188:189], v[198:199]
	v_add_f64 v[186:187], v[186:187], v[196:197]
	v_fma_f64 v[190:191], v[4:5], v[42:43], v[190:191]
	v_fma_f64 v[196:197], v[2:3], v[42:43], -v[44:45]
	ds_load_b128 v[2:5], v1 offset:928
	scratch_load_b128 v[42:45], off, off offset:368
	v_fma_f64 v[184:185], v[184:185], v[6:7], v[194:195]
	v_fma_f64 v[182:183], v[182:183], v[6:7], -v[8:9]
	scratch_load_b128 v[6:9], off, off offset:384
	v_add_f64 v[180:181], v[188:189], v[180:181]
	v_add_f64 v[192:193], v[186:187], v[192:193]
	ds_load_b128 v[186:189], v1 offset:944
	s_waitcnt vmcnt(9) lgkmcnt(1)
	v_mul_f64 v[198:199], v[2:3], v[12:13]
	v_mul_f64 v[12:13], v[4:5], v[12:13]
	v_add_f64 v[180:181], v[180:181], v[196:197]
	v_add_f64 v[190:191], v[192:193], v[190:191]
	s_waitcnt vmcnt(8) lgkmcnt(0)
	v_mul_f64 v[192:193], v[186:187], v[16:17]
	v_mul_f64 v[16:17], v[188:189], v[16:17]
	v_fma_f64 v[194:195], v[4:5], v[10:11], v[198:199]
	v_fma_f64 v[196:197], v[2:3], v[10:11], -v[12:13]
	ds_load_b128 v[2:5], v1 offset:960
	scratch_load_b128 v[10:13], off, off offset:400
	v_add_f64 v[198:199], v[180:181], v[182:183]
	v_add_f64 v[184:185], v[190:191], v[184:185]
	ds_load_b128 v[180:183], v1 offset:976
	s_waitcnt vmcnt(8) lgkmcnt(1)
	v_mul_f64 v[190:191], v[2:3], v[20:21]
	v_mul_f64 v[20:21], v[4:5], v[20:21]
	v_fma_f64 v[188:189], v[188:189], v[14:15], v[192:193]
	v_fma_f64 v[186:187], v[186:187], v[14:15], -v[16:17]
	scratch_load_b128 v[14:17], off, off offset:416
	v_add_f64 v[192:193], v[198:199], v[196:197]
	v_add_f64 v[184:185], v[184:185], v[194:195]
	s_waitcnt vmcnt(8) lgkmcnt(0)
	v_mul_f64 v[194:195], v[180:181], v[24:25]
	v_mul_f64 v[24:25], v[182:183], v[24:25]
	v_fma_f64 v[190:191], v[4:5], v[18:19], v[190:191]
	v_fma_f64 v[196:197], v[2:3], v[18:19], -v[20:21]
	ds_load_b128 v[2:5], v1 offset:992
	scratch_load_b128 v[18:21], off, off offset:432
	v_add_f64 v[192:193], v[192:193], v[186:187]
	v_add_f64 v[188:189], v[184:185], v[188:189]
	ds_load_b128 v[184:187], v1 offset:1008
	s_waitcnt vmcnt(8) lgkmcnt(1)
	v_mul_f64 v[198:199], v[2:3], v[28:29]
	v_mul_f64 v[28:29], v[4:5], v[28:29]
	v_fma_f64 v[182:183], v[182:183], v[22:23], v[194:195]
	v_fma_f64 v[180:181], v[180:181], v[22:23], -v[24:25]
	scratch_load_b128 v[22:25], off, off offset:448
	;; [unrolled: 18-line block ×4, first 2 shown]
	s_waitcnt vmcnt(8) lgkmcnt(0)
	v_mul_f64 v[192:193], v[184:185], v[8:9]
	v_mul_f64 v[8:9], v[186:187], v[8:9]
	v_add_f64 v[190:191], v[190:191], v[196:197]
	v_add_f64 v[188:189], v[188:189], v[194:195]
	v_fma_f64 v[194:195], v[4:5], v[42:43], v[198:199]
	v_fma_f64 v[196:197], v[2:3], v[42:43], -v[44:45]
	ds_load_b128 v[2:5], v1 offset:1088
	scratch_load_b128 v[42:45], off, off offset:528
	v_fma_f64 v[186:187], v[186:187], v[6:7], v[192:193]
	v_fma_f64 v[184:185], v[184:185], v[6:7], -v[8:9]
	scratch_load_b128 v[6:9], off, off offset:544
	v_add_f64 v[190:191], v[190:191], v[180:181]
	v_add_f64 v[188:189], v[188:189], v[182:183]
	ds_load_b128 v[180:183], v1 offset:1104
	s_waitcnt vmcnt(9) lgkmcnt(1)
	v_mul_f64 v[198:199], v[2:3], v[12:13]
	v_mul_f64 v[12:13], v[4:5], v[12:13]
	s_waitcnt vmcnt(8) lgkmcnt(0)
	v_mul_f64 v[192:193], v[180:181], v[16:17]
	v_mul_f64 v[16:17], v[182:183], v[16:17]
	v_add_f64 v[190:191], v[190:191], v[196:197]
	v_add_f64 v[188:189], v[188:189], v[194:195]
	v_fma_f64 v[194:195], v[4:5], v[10:11], v[198:199]
	v_fma_f64 v[196:197], v[2:3], v[10:11], -v[12:13]
	ds_load_b128 v[2:5], v1 offset:1120
	scratch_load_b128 v[10:13], off, off offset:560
	v_fma_f64 v[182:183], v[182:183], v[14:15], v[192:193]
	v_fma_f64 v[180:181], v[180:181], v[14:15], -v[16:17]
	scratch_load_b128 v[14:17], off, off offset:576
	v_add_f64 v[190:191], v[190:191], v[184:185]
	v_add_f64 v[188:189], v[188:189], v[186:187]
	ds_load_b128 v[184:187], v1 offset:1136
	s_waitcnt vmcnt(9) lgkmcnt(1)
	v_mul_f64 v[198:199], v[2:3], v[20:21]
	v_mul_f64 v[20:21], v[4:5], v[20:21]
	;; [unrolled: 18-line block ×5, first 2 shown]
	s_waitcnt vmcnt(8) lgkmcnt(0)
	v_mul_f64 v[192:193], v[180:181], v[8:9]
	v_mul_f64 v[8:9], v[182:183], v[8:9]
	v_add_f64 v[190:191], v[190:191], v[196:197]
	v_add_f64 v[188:189], v[188:189], v[194:195]
	v_fma_f64 v[194:195], v[4:5], v[42:43], v[198:199]
	v_fma_f64 v[196:197], v[2:3], v[42:43], -v[44:45]
	ds_load_b128 v[2:5], v1 offset:1248
	ds_load_b128 v[42:45], v1 offset:1264
	v_fma_f64 v[182:183], v[182:183], v[6:7], v[192:193]
	v_fma_f64 v[6:7], v[180:181], v[6:7], -v[8:9]
	v_add_f64 v[184:185], v[190:191], v[184:185]
	v_add_f64 v[186:187], v[188:189], v[186:187]
	s_waitcnt vmcnt(7) lgkmcnt(1)
	v_mul_f64 v[188:189], v[2:3], v[12:13]
	v_mul_f64 v[12:13], v[4:5], v[12:13]
	s_delay_alu instid0(VALU_DEP_4) | instskip(NEXT) | instid1(VALU_DEP_4)
	v_add_f64 v[8:9], v[184:185], v[196:197]
	v_add_f64 v[180:181], v[186:187], v[194:195]
	s_waitcnt vmcnt(6) lgkmcnt(0)
	v_mul_f64 v[184:185], v[42:43], v[16:17]
	v_mul_f64 v[16:17], v[44:45], v[16:17]
	v_fma_f64 v[186:187], v[4:5], v[10:11], v[188:189]
	v_fma_f64 v[10:11], v[2:3], v[10:11], -v[12:13]
	v_add_f64 v[12:13], v[8:9], v[6:7]
	v_add_f64 v[180:181], v[180:181], v[182:183]
	ds_load_b128 v[2:5], v1 offset:1280
	ds_load_b128 v[6:9], v1 offset:1296
	v_fma_f64 v[44:45], v[44:45], v[14:15], v[184:185]
	v_fma_f64 v[14:15], v[42:43], v[14:15], -v[16:17]
	s_waitcnt vmcnt(5) lgkmcnt(1)
	v_mul_f64 v[182:183], v[2:3], v[20:21]
	v_mul_f64 v[20:21], v[4:5], v[20:21]
	s_waitcnt vmcnt(4) lgkmcnt(0)
	v_mul_f64 v[16:17], v[6:7], v[24:25]
	v_mul_f64 v[24:25], v[8:9], v[24:25]
	v_add_f64 v[10:11], v[12:13], v[10:11]
	v_add_f64 v[12:13], v[180:181], v[186:187]
	v_fma_f64 v[42:43], v[4:5], v[18:19], v[182:183]
	v_fma_f64 v[18:19], v[2:3], v[18:19], -v[20:21]
	v_fma_f64 v[8:9], v[8:9], v[22:23], v[16:17]
	v_fma_f64 v[6:7], v[6:7], v[22:23], -v[24:25]
	v_add_f64 v[14:15], v[10:11], v[14:15]
	v_add_f64 v[20:21], v[12:13], v[44:45]
	ds_load_b128 v[2:5], v1 offset:1312
	ds_load_b128 v[10:13], v1 offset:1328
	s_waitcnt vmcnt(3) lgkmcnt(1)
	v_mul_f64 v[44:45], v[2:3], v[28:29]
	v_mul_f64 v[28:29], v[4:5], v[28:29]
	v_add_f64 v[14:15], v[14:15], v[18:19]
	v_add_f64 v[16:17], v[20:21], v[42:43]
	s_waitcnt vmcnt(2) lgkmcnt(0)
	v_mul_f64 v[18:19], v[10:11], v[32:33]
	v_mul_f64 v[20:21], v[12:13], v[32:33]
	v_fma_f64 v[22:23], v[4:5], v[26:27], v[44:45]
	v_fma_f64 v[24:25], v[2:3], v[26:27], -v[28:29]
	v_add_f64 v[14:15], v[14:15], v[6:7]
	v_add_f64 v[16:17], v[16:17], v[8:9]
	ds_load_b128 v[2:5], v1 offset:1344
	ds_load_b128 v[6:9], v1 offset:1360
	v_fma_f64 v[12:13], v[12:13], v[30:31], v[18:19]
	v_fma_f64 v[10:11], v[10:11], v[30:31], -v[20:21]
	s_waitcnt vmcnt(1) lgkmcnt(1)
	v_mul_f64 v[26:27], v[2:3], v[36:37]
	v_mul_f64 v[28:29], v[4:5], v[36:37]
	s_waitcnt vmcnt(0) lgkmcnt(0)
	v_mul_f64 v[18:19], v[6:7], v[40:41]
	v_mul_f64 v[20:21], v[8:9], v[40:41]
	v_add_f64 v[14:15], v[14:15], v[24:25]
	v_add_f64 v[16:17], v[16:17], v[22:23]
	v_fma_f64 v[4:5], v[4:5], v[34:35], v[26:27]
	v_fma_f64 v[1:2], v[2:3], v[34:35], -v[28:29]
	v_fma_f64 v[8:9], v[8:9], v[38:39], v[18:19]
	v_fma_f64 v[6:7], v[6:7], v[38:39], -v[20:21]
	v_add_f64 v[10:11], v[14:15], v[10:11]
	v_add_f64 v[12:13], v[16:17], v[12:13]
	s_delay_alu instid0(VALU_DEP_2) | instskip(NEXT) | instid1(VALU_DEP_2)
	v_add_f64 v[1:2], v[10:11], v[1:2]
	v_add_f64 v[3:4], v[12:13], v[4:5]
	s_delay_alu instid0(VALU_DEP_2) | instskip(NEXT) | instid1(VALU_DEP_2)
	;; [unrolled: 3-line block ×3, first 2 shown]
	v_add_f64 v[1:2], v[176:177], -v[1:2]
	v_add_f64 v[3:4], v[178:179], -v[3:4]
	scratch_store_b128 off, v[1:4], off offset:32
	v_cmpx_lt_u32_e32 1, v132
	s_cbranch_execz .LBB106_269
; %bb.268:
	scratch_load_b128 v[1:4], v136, off
	v_mov_b32_e32 v5, 0
	s_delay_alu instid0(VALU_DEP_1)
	v_mov_b32_e32 v6, v5
	v_mov_b32_e32 v7, v5
	;; [unrolled: 1-line block ×3, first 2 shown]
	scratch_store_b128 off, v[5:8], off offset:16
	s_waitcnt vmcnt(0)
	ds_store_b128 v175, v[1:4]
.LBB106_269:
	s_or_b32 exec_lo, exec_lo, s2
	s_waitcnt lgkmcnt(0)
	s_waitcnt_vscnt null, 0x0
	s_barrier
	buffer_gl0_inv
	s_clause 0x7
	scratch_load_b128 v[2:5], off, off offset:32
	scratch_load_b128 v[6:9], off, off offset:48
	;; [unrolled: 1-line block ×8, first 2 shown]
	v_mov_b32_e32 v1, 0
	s_mov_b32 s2, exec_lo
	ds_load_b128 v[38:41], v1 offset:720
	s_clause 0x1
	scratch_load_b128 v[34:37], off, off offset:160
	scratch_load_b128 v[42:45], off, off offset:16
	ds_load_b128 v[176:179], v1 offset:736
	scratch_load_b128 v[180:183], off, off offset:176
	s_waitcnt vmcnt(10) lgkmcnt(1)
	v_mul_f64 v[184:185], v[40:41], v[4:5]
	v_mul_f64 v[4:5], v[38:39], v[4:5]
	s_delay_alu instid0(VALU_DEP_2) | instskip(NEXT) | instid1(VALU_DEP_2)
	v_fma_f64 v[190:191], v[38:39], v[2:3], -v[184:185]
	v_fma_f64 v[192:193], v[40:41], v[2:3], v[4:5]
	scratch_load_b128 v[38:41], off, off offset:192
	ds_load_b128 v[2:5], v1 offset:752
	s_waitcnt vmcnt(10) lgkmcnt(1)
	v_mul_f64 v[188:189], v[176:177], v[8:9]
	v_mul_f64 v[8:9], v[178:179], v[8:9]
	ds_load_b128 v[184:187], v1 offset:768
	s_waitcnt vmcnt(9) lgkmcnt(1)
	v_mul_f64 v[194:195], v[2:3], v[12:13]
	v_mul_f64 v[12:13], v[4:5], v[12:13]
	v_fma_f64 v[178:179], v[178:179], v[6:7], v[188:189]
	v_fma_f64 v[176:177], v[176:177], v[6:7], -v[8:9]
	v_add_f64 v[188:189], v[190:191], 0
	v_add_f64 v[190:191], v[192:193], 0
	scratch_load_b128 v[6:9], off, off offset:208
	v_fma_f64 v[194:195], v[4:5], v[10:11], v[194:195]
	v_fma_f64 v[196:197], v[2:3], v[10:11], -v[12:13]
	scratch_load_b128 v[10:13], off, off offset:224
	ds_load_b128 v[2:5], v1 offset:784
	s_waitcnt vmcnt(10) lgkmcnt(1)
	v_mul_f64 v[192:193], v[184:185], v[16:17]
	v_mul_f64 v[16:17], v[186:187], v[16:17]
	v_add_f64 v[188:189], v[188:189], v[176:177]
	v_add_f64 v[190:191], v[190:191], v[178:179]
	s_waitcnt vmcnt(9) lgkmcnt(0)
	v_mul_f64 v[198:199], v[2:3], v[20:21]
	v_mul_f64 v[20:21], v[4:5], v[20:21]
	ds_load_b128 v[176:179], v1 offset:800
	v_fma_f64 v[186:187], v[186:187], v[14:15], v[192:193]
	v_fma_f64 v[184:185], v[184:185], v[14:15], -v[16:17]
	scratch_load_b128 v[14:17], off, off offset:240
	v_add_f64 v[188:189], v[188:189], v[196:197]
	v_add_f64 v[190:191], v[190:191], v[194:195]
	v_fma_f64 v[194:195], v[4:5], v[18:19], v[198:199]
	v_fma_f64 v[196:197], v[2:3], v[18:19], -v[20:21]
	scratch_load_b128 v[18:21], off, off offset:256
	ds_load_b128 v[2:5], v1 offset:816
	s_waitcnt vmcnt(10) lgkmcnt(1)
	v_mul_f64 v[192:193], v[176:177], v[24:25]
	v_mul_f64 v[24:25], v[178:179], v[24:25]
	s_waitcnt vmcnt(9) lgkmcnt(0)
	v_mul_f64 v[198:199], v[2:3], v[28:29]
	v_mul_f64 v[28:29], v[4:5], v[28:29]
	v_add_f64 v[188:189], v[188:189], v[184:185]
	v_add_f64 v[190:191], v[190:191], v[186:187]
	ds_load_b128 v[184:187], v1 offset:832
	v_fma_f64 v[178:179], v[178:179], v[22:23], v[192:193]
	v_fma_f64 v[176:177], v[176:177], v[22:23], -v[24:25]
	scratch_load_b128 v[22:25], off, off offset:272
	v_add_f64 v[188:189], v[188:189], v[196:197]
	v_add_f64 v[190:191], v[190:191], v[194:195]
	v_fma_f64 v[194:195], v[4:5], v[26:27], v[198:199]
	v_fma_f64 v[196:197], v[2:3], v[26:27], -v[28:29]
	scratch_load_b128 v[26:29], off, off offset:288
	ds_load_b128 v[2:5], v1 offset:848
	s_waitcnt vmcnt(10) lgkmcnt(1)
	v_mul_f64 v[192:193], v[184:185], v[32:33]
	v_mul_f64 v[32:33], v[186:187], v[32:33]
	s_waitcnt vmcnt(9) lgkmcnt(0)
	v_mul_f64 v[198:199], v[2:3], v[36:37]
	v_mul_f64 v[36:37], v[4:5], v[36:37]
	v_add_f64 v[188:189], v[188:189], v[176:177]
	v_add_f64 v[190:191], v[190:191], v[178:179]
	ds_load_b128 v[176:179], v1 offset:864
	v_fma_f64 v[186:187], v[186:187], v[30:31], v[192:193]
	v_fma_f64 v[184:185], v[184:185], v[30:31], -v[32:33]
	scratch_load_b128 v[30:33], off, off offset:304
	v_add_f64 v[188:189], v[188:189], v[196:197]
	v_add_f64 v[190:191], v[190:191], v[194:195]
	v_fma_f64 v[196:197], v[4:5], v[34:35], v[198:199]
	v_fma_f64 v[198:199], v[2:3], v[34:35], -v[36:37]
	scratch_load_b128 v[34:37], off, off offset:320
	ds_load_b128 v[2:5], v1 offset:880
	s_waitcnt vmcnt(9) lgkmcnt(1)
	v_mul_f64 v[192:193], v[176:177], v[182:183]
	v_mul_f64 v[194:195], v[178:179], v[182:183]
	v_add_f64 v[188:189], v[188:189], v[184:185]
	v_add_f64 v[186:187], v[190:191], v[186:187]
	ds_load_b128 v[182:185], v1 offset:896
	v_fma_f64 v[192:193], v[178:179], v[180:181], v[192:193]
	v_fma_f64 v[180:181], v[176:177], v[180:181], -v[194:195]
	scratch_load_b128 v[176:179], off, off offset:336
	s_waitcnt vmcnt(9) lgkmcnt(1)
	v_mul_f64 v[190:191], v[2:3], v[40:41]
	v_mul_f64 v[40:41], v[4:5], v[40:41]
	v_add_f64 v[188:189], v[188:189], v[198:199]
	v_add_f64 v[186:187], v[186:187], v[196:197]
	s_delay_alu instid0(VALU_DEP_4) | instskip(NEXT) | instid1(VALU_DEP_4)
	v_fma_f64 v[190:191], v[4:5], v[38:39], v[190:191]
	v_fma_f64 v[196:197], v[2:3], v[38:39], -v[40:41]
	scratch_load_b128 v[38:41], off, off offset:352
	ds_load_b128 v[2:5], v1 offset:912
	s_waitcnt vmcnt(9) lgkmcnt(1)
	v_mul_f64 v[194:195], v[182:183], v[8:9]
	v_mul_f64 v[8:9], v[184:185], v[8:9]
	s_waitcnt vmcnt(8) lgkmcnt(0)
	v_mul_f64 v[198:199], v[2:3], v[12:13]
	v_mul_f64 v[12:13], v[4:5], v[12:13]
	v_add_f64 v[180:181], v[188:189], v[180:181]
	v_add_f64 v[192:193], v[186:187], v[192:193]
	ds_load_b128 v[186:189], v1 offset:928
	v_fma_f64 v[184:185], v[184:185], v[6:7], v[194:195]
	v_fma_f64 v[182:183], v[182:183], v[6:7], -v[8:9]
	scratch_load_b128 v[6:9], off, off offset:368
	v_fma_f64 v[194:195], v[4:5], v[10:11], v[198:199]
	v_add_f64 v[180:181], v[180:181], v[196:197]
	v_add_f64 v[190:191], v[192:193], v[190:191]
	v_fma_f64 v[196:197], v[2:3], v[10:11], -v[12:13]
	scratch_load_b128 v[10:13], off, off offset:384
	ds_load_b128 v[2:5], v1 offset:944
	s_waitcnt vmcnt(9) lgkmcnt(1)
	v_mul_f64 v[192:193], v[186:187], v[16:17]
	v_mul_f64 v[16:17], v[188:189], v[16:17]
	v_add_f64 v[198:199], v[180:181], v[182:183]
	v_add_f64 v[184:185], v[190:191], v[184:185]
	s_waitcnt vmcnt(8) lgkmcnt(0)
	v_mul_f64 v[190:191], v[2:3], v[20:21]
	v_mul_f64 v[20:21], v[4:5], v[20:21]
	ds_load_b128 v[180:183], v1 offset:960
	v_fma_f64 v[188:189], v[188:189], v[14:15], v[192:193]
	v_fma_f64 v[186:187], v[186:187], v[14:15], -v[16:17]
	scratch_load_b128 v[14:17], off, off offset:400
	v_add_f64 v[192:193], v[198:199], v[196:197]
	v_add_f64 v[184:185], v[184:185], v[194:195]
	v_fma_f64 v[190:191], v[4:5], v[18:19], v[190:191]
	v_fma_f64 v[196:197], v[2:3], v[18:19], -v[20:21]
	scratch_load_b128 v[18:21], off, off offset:416
	ds_load_b128 v[2:5], v1 offset:976
	s_waitcnt vmcnt(9) lgkmcnt(1)
	v_mul_f64 v[194:195], v[180:181], v[24:25]
	v_mul_f64 v[24:25], v[182:183], v[24:25]
	s_waitcnt vmcnt(8) lgkmcnt(0)
	v_mul_f64 v[198:199], v[2:3], v[28:29]
	v_mul_f64 v[28:29], v[4:5], v[28:29]
	v_add_f64 v[192:193], v[192:193], v[186:187]
	v_add_f64 v[188:189], v[184:185], v[188:189]
	ds_load_b128 v[184:187], v1 offset:992
	v_fma_f64 v[182:183], v[182:183], v[22:23], v[194:195]
	v_fma_f64 v[180:181], v[180:181], v[22:23], -v[24:25]
	scratch_load_b128 v[22:25], off, off offset:432
	v_fma_f64 v[194:195], v[4:5], v[26:27], v[198:199]
	v_add_f64 v[192:193], v[192:193], v[196:197]
	v_add_f64 v[188:189], v[188:189], v[190:191]
	v_fma_f64 v[196:197], v[2:3], v[26:27], -v[28:29]
	scratch_load_b128 v[26:29], off, off offset:448
	ds_load_b128 v[2:5], v1 offset:1008
	s_waitcnt vmcnt(9) lgkmcnt(1)
	v_mul_f64 v[190:191], v[184:185], v[32:33]
	v_mul_f64 v[32:33], v[186:187], v[32:33]
	s_waitcnt vmcnt(8) lgkmcnt(0)
	v_mul_f64 v[198:199], v[2:3], v[36:37]
	v_mul_f64 v[36:37], v[4:5], v[36:37]
	v_add_f64 v[192:193], v[192:193], v[180:181]
	v_add_f64 v[188:189], v[188:189], v[182:183]
	ds_load_b128 v[180:183], v1 offset:1024
	v_fma_f64 v[186:187], v[186:187], v[30:31], v[190:191]
	v_fma_f64 v[184:185], v[184:185], v[30:31], -v[32:33]
	scratch_load_b128 v[30:33], off, off offset:464
	v_add_f64 v[190:191], v[192:193], v[196:197]
	v_add_f64 v[188:189], v[188:189], v[194:195]
	v_fma_f64 v[194:195], v[4:5], v[34:35], v[198:199]
	v_fma_f64 v[196:197], v[2:3], v[34:35], -v[36:37]
	scratch_load_b128 v[34:37], off, off offset:480
	ds_load_b128 v[2:5], v1 offset:1040
	s_waitcnt vmcnt(9) lgkmcnt(1)
	v_mul_f64 v[192:193], v[180:181], v[178:179]
	v_mul_f64 v[178:179], v[182:183], v[178:179]
	s_waitcnt vmcnt(8) lgkmcnt(0)
	v_mul_f64 v[198:199], v[2:3], v[40:41]
	v_mul_f64 v[40:41], v[4:5], v[40:41]
	v_add_f64 v[190:191], v[190:191], v[184:185]
	v_add_f64 v[188:189], v[188:189], v[186:187]
	ds_load_b128 v[184:187], v1 offset:1056
	v_fma_f64 v[182:183], v[182:183], v[176:177], v[192:193]
	v_fma_f64 v[180:181], v[180:181], v[176:177], -v[178:179]
	scratch_load_b128 v[176:179], off, off offset:496
	v_add_f64 v[190:191], v[190:191], v[196:197]
	v_add_f64 v[188:189], v[188:189], v[194:195]
	v_fma_f64 v[194:195], v[4:5], v[38:39], v[198:199]
	;; [unrolled: 18-line block ×6, first 2 shown]
	v_fma_f64 v[198:199], v[2:3], v[34:35], -v[36:37]
	scratch_load_b128 v[34:37], off, off offset:640
	ds_load_b128 v[2:5], v1 offset:1200
	s_waitcnt vmcnt(9) lgkmcnt(1)
	v_mul_f64 v[192:193], v[184:185], v[178:179]
	v_mul_f64 v[194:195], v[186:187], v[178:179]
	v_add_f64 v[190:191], v[190:191], v[180:181]
	v_add_f64 v[182:183], v[188:189], v[182:183]
	s_waitcnt vmcnt(8) lgkmcnt(0)
	v_mul_f64 v[188:189], v[2:3], v[40:41]
	v_mul_f64 v[40:41], v[4:5], v[40:41]
	ds_load_b128 v[178:181], v1 offset:1216
	v_fma_f64 v[186:187], v[186:187], v[176:177], v[192:193]
	v_fma_f64 v[176:177], v[184:185], v[176:177], -v[194:195]
	v_add_f64 v[190:191], v[190:191], v[198:199]
	v_add_f64 v[192:193], v[182:183], v[196:197]
	scratch_load_b128 v[182:185], off, off offset:656
	v_fma_f64 v[196:197], v[4:5], v[38:39], v[188:189]
	v_fma_f64 v[198:199], v[2:3], v[38:39], -v[40:41]
	scratch_load_b128 v[38:41], off, off offset:672
	ds_load_b128 v[2:5], v1 offset:1232
	s_waitcnt vmcnt(9) lgkmcnt(1)
	v_mul_f64 v[194:195], v[178:179], v[8:9]
	v_mul_f64 v[8:9], v[180:181], v[8:9]
	v_add_f64 v[176:177], v[190:191], v[176:177]
	v_add_f64 v[190:191], v[192:193], v[186:187]
	s_waitcnt vmcnt(8) lgkmcnt(0)
	v_mul_f64 v[192:193], v[2:3], v[12:13]
	v_mul_f64 v[12:13], v[4:5], v[12:13]
	ds_load_b128 v[186:189], v1 offset:1248
	v_fma_f64 v[180:181], v[180:181], v[6:7], v[194:195]
	v_fma_f64 v[6:7], v[178:179], v[6:7], -v[8:9]
	s_waitcnt vmcnt(7) lgkmcnt(0)
	v_mul_f64 v[178:179], v[186:187], v[16:17]
	v_mul_f64 v[16:17], v[188:189], v[16:17]
	v_add_f64 v[8:9], v[176:177], v[198:199]
	v_add_f64 v[176:177], v[190:191], v[196:197]
	v_fma_f64 v[190:191], v[4:5], v[10:11], v[192:193]
	v_fma_f64 v[10:11], v[2:3], v[10:11], -v[12:13]
	v_fma_f64 v[178:179], v[188:189], v[14:15], v[178:179]
	v_fma_f64 v[14:15], v[186:187], v[14:15], -v[16:17]
	v_add_f64 v[12:13], v[8:9], v[6:7]
	v_add_f64 v[176:177], v[176:177], v[180:181]
	ds_load_b128 v[2:5], v1 offset:1264
	ds_load_b128 v[6:9], v1 offset:1280
	s_waitcnt vmcnt(6) lgkmcnt(1)
	v_mul_f64 v[180:181], v[2:3], v[20:21]
	v_mul_f64 v[20:21], v[4:5], v[20:21]
	s_waitcnt vmcnt(5) lgkmcnt(0)
	v_mul_f64 v[16:17], v[6:7], v[24:25]
	v_mul_f64 v[24:25], v[8:9], v[24:25]
	v_add_f64 v[10:11], v[12:13], v[10:11]
	v_add_f64 v[12:13], v[176:177], v[190:191]
	v_fma_f64 v[176:177], v[4:5], v[18:19], v[180:181]
	v_fma_f64 v[18:19], v[2:3], v[18:19], -v[20:21]
	v_fma_f64 v[8:9], v[8:9], v[22:23], v[16:17]
	v_fma_f64 v[6:7], v[6:7], v[22:23], -v[24:25]
	v_add_f64 v[14:15], v[10:11], v[14:15]
	v_add_f64 v[20:21], v[12:13], v[178:179]
	ds_load_b128 v[2:5], v1 offset:1296
	ds_load_b128 v[10:13], v1 offset:1312
	s_waitcnt vmcnt(4) lgkmcnt(1)
	v_mul_f64 v[178:179], v[2:3], v[28:29]
	v_mul_f64 v[28:29], v[4:5], v[28:29]
	v_add_f64 v[14:15], v[14:15], v[18:19]
	v_add_f64 v[16:17], v[20:21], v[176:177]
	s_waitcnt vmcnt(3) lgkmcnt(0)
	v_mul_f64 v[18:19], v[10:11], v[32:33]
	v_mul_f64 v[20:21], v[12:13], v[32:33]
	v_fma_f64 v[22:23], v[4:5], v[26:27], v[178:179]
	v_fma_f64 v[24:25], v[2:3], v[26:27], -v[28:29]
	v_add_f64 v[14:15], v[14:15], v[6:7]
	v_add_f64 v[16:17], v[16:17], v[8:9]
	ds_load_b128 v[2:5], v1 offset:1328
	ds_load_b128 v[6:9], v1 offset:1344
	v_fma_f64 v[12:13], v[12:13], v[30:31], v[18:19]
	v_fma_f64 v[10:11], v[10:11], v[30:31], -v[20:21]
	s_waitcnt vmcnt(2) lgkmcnt(1)
	v_mul_f64 v[26:27], v[2:3], v[36:37]
	v_mul_f64 v[28:29], v[4:5], v[36:37]
	v_add_f64 v[14:15], v[14:15], v[24:25]
	v_add_f64 v[16:17], v[16:17], v[22:23]
	s_waitcnt vmcnt(1) lgkmcnt(0)
	v_mul_f64 v[18:19], v[6:7], v[184:185]
	v_mul_f64 v[20:21], v[8:9], v[184:185]
	v_fma_f64 v[22:23], v[4:5], v[34:35], v[26:27]
	v_fma_f64 v[24:25], v[2:3], v[34:35], -v[28:29]
	ds_load_b128 v[2:5], v1 offset:1360
	v_add_f64 v[10:11], v[14:15], v[10:11]
	v_add_f64 v[12:13], v[16:17], v[12:13]
	s_waitcnt vmcnt(0) lgkmcnt(0)
	v_mul_f64 v[14:15], v[2:3], v[40:41]
	v_mul_f64 v[16:17], v[4:5], v[40:41]
	v_fma_f64 v[8:9], v[8:9], v[182:183], v[18:19]
	v_fma_f64 v[6:7], v[6:7], v[182:183], -v[20:21]
	v_add_f64 v[10:11], v[10:11], v[24:25]
	v_add_f64 v[12:13], v[12:13], v[22:23]
	v_fma_f64 v[4:5], v[4:5], v[38:39], v[14:15]
	v_fma_f64 v[2:3], v[2:3], v[38:39], -v[16:17]
	s_delay_alu instid0(VALU_DEP_4) | instskip(NEXT) | instid1(VALU_DEP_4)
	v_add_f64 v[6:7], v[10:11], v[6:7]
	v_add_f64 v[8:9], v[12:13], v[8:9]
	s_delay_alu instid0(VALU_DEP_2) | instskip(NEXT) | instid1(VALU_DEP_2)
	v_add_f64 v[2:3], v[6:7], v[2:3]
	v_add_f64 v[4:5], v[8:9], v[4:5]
	s_delay_alu instid0(VALU_DEP_2) | instskip(NEXT) | instid1(VALU_DEP_2)
	v_add_f64 v[2:3], v[42:43], -v[2:3]
	v_add_f64 v[4:5], v[44:45], -v[4:5]
	scratch_store_b128 off, v[2:5], off offset:16
	v_cmpx_ne_u32_e32 0, v132
	s_cbranch_execz .LBB106_271
; %bb.270:
	scratch_load_b128 v[5:8], off, off
	v_mov_b32_e32 v2, v1
	v_mov_b32_e32 v3, v1
	;; [unrolled: 1-line block ×3, first 2 shown]
	scratch_store_b128 off, v[1:4], off
	s_waitcnt vmcnt(0)
	ds_store_b128 v175, v[5:8]
.LBB106_271:
	s_or_b32 exec_lo, exec_lo, s2
	s_waitcnt lgkmcnt(0)
	s_waitcnt_vscnt null, 0x0
	s_barrier
	buffer_gl0_inv
	s_clause 0x8
	scratch_load_b128 v[2:5], off, off offset:16
	scratch_load_b128 v[6:9], off, off offset:32
	;; [unrolled: 1-line block ×9, first 2 shown]
	ds_load_b128 v[42:45], v1 offset:704
	ds_load_b128 v[38:41], v1 offset:720
	s_clause 0x1
	scratch_load_b128 v[175:178], off, off
	scratch_load_b128 v[179:182], off, off offset:160
	s_and_b32 vcc_lo, exec_lo, s14
	s_waitcnt vmcnt(10) lgkmcnt(1)
	v_mul_f64 v[183:184], v[44:45], v[4:5]
	v_mul_f64 v[4:5], v[42:43], v[4:5]
	s_waitcnt vmcnt(9) lgkmcnt(0)
	v_mul_f64 v[187:188], v[38:39], v[8:9]
	v_mul_f64 v[8:9], v[40:41], v[8:9]
	s_delay_alu instid0(VALU_DEP_4) | instskip(NEXT) | instid1(VALU_DEP_4)
	v_fma_f64 v[189:190], v[42:43], v[2:3], -v[183:184]
	v_fma_f64 v[191:192], v[44:45], v[2:3], v[4:5]
	ds_load_b128 v[2:5], v1 offset:736
	ds_load_b128 v[183:186], v1 offset:752
	scratch_load_b128 v[42:45], off, off offset:176
	v_fma_f64 v[40:41], v[40:41], v[6:7], v[187:188]
	v_fma_f64 v[38:39], v[38:39], v[6:7], -v[8:9]
	scratch_load_b128 v[6:9], off, off offset:192
	s_waitcnt vmcnt(10) lgkmcnt(1)
	v_mul_f64 v[193:194], v[2:3], v[12:13]
	v_mul_f64 v[12:13], v[4:5], v[12:13]
	v_add_f64 v[187:188], v[189:190], 0
	v_add_f64 v[189:190], v[191:192], 0
	s_waitcnt vmcnt(9) lgkmcnt(0)
	v_mul_f64 v[191:192], v[183:184], v[16:17]
	v_mul_f64 v[16:17], v[185:186], v[16:17]
	v_fma_f64 v[193:194], v[4:5], v[10:11], v[193:194]
	v_fma_f64 v[195:196], v[2:3], v[10:11], -v[12:13]
	ds_load_b128 v[2:5], v1 offset:768
	scratch_load_b128 v[10:13], off, off offset:208
	v_add_f64 v[187:188], v[187:188], v[38:39]
	v_add_f64 v[189:190], v[189:190], v[40:41]
	ds_load_b128 v[38:41], v1 offset:784
	v_fma_f64 v[185:186], v[185:186], v[14:15], v[191:192]
	v_fma_f64 v[183:184], v[183:184], v[14:15], -v[16:17]
	scratch_load_b128 v[14:17], off, off offset:224
	s_waitcnt vmcnt(10) lgkmcnt(1)
	v_mul_f64 v[197:198], v[2:3], v[20:21]
	v_mul_f64 v[20:21], v[4:5], v[20:21]
	s_waitcnt vmcnt(9) lgkmcnt(0)
	v_mul_f64 v[191:192], v[38:39], v[24:25]
	v_mul_f64 v[24:25], v[40:41], v[24:25]
	v_add_f64 v[187:188], v[187:188], v[195:196]
	v_add_f64 v[189:190], v[189:190], v[193:194]
	v_fma_f64 v[193:194], v[4:5], v[18:19], v[197:198]
	v_fma_f64 v[195:196], v[2:3], v[18:19], -v[20:21]
	ds_load_b128 v[2:5], v1 offset:800
	scratch_load_b128 v[18:21], off, off offset:240
	v_fma_f64 v[40:41], v[40:41], v[22:23], v[191:192]
	v_fma_f64 v[38:39], v[38:39], v[22:23], -v[24:25]
	scratch_load_b128 v[22:25], off, off offset:256
	v_add_f64 v[187:188], v[187:188], v[183:184]
	v_add_f64 v[189:190], v[189:190], v[185:186]
	ds_load_b128 v[183:186], v1 offset:816
	s_waitcnt vmcnt(10) lgkmcnt(1)
	v_mul_f64 v[197:198], v[2:3], v[28:29]
	v_mul_f64 v[28:29], v[4:5], v[28:29]
	s_waitcnt vmcnt(9) lgkmcnt(0)
	v_mul_f64 v[191:192], v[183:184], v[32:33]
	v_mul_f64 v[32:33], v[185:186], v[32:33]
	v_add_f64 v[187:188], v[187:188], v[195:196]
	v_add_f64 v[189:190], v[189:190], v[193:194]
	v_fma_f64 v[193:194], v[4:5], v[26:27], v[197:198]
	v_fma_f64 v[195:196], v[2:3], v[26:27], -v[28:29]
	ds_load_b128 v[2:5], v1 offset:832
	scratch_load_b128 v[26:29], off, off offset:272
	v_fma_f64 v[185:186], v[185:186], v[30:31], v[191:192]
	v_fma_f64 v[183:184], v[183:184], v[30:31], -v[32:33]
	scratch_load_b128 v[30:33], off, off offset:288
	v_add_f64 v[187:188], v[187:188], v[38:39]
	v_add_f64 v[189:190], v[189:190], v[40:41]
	ds_load_b128 v[38:41], v1 offset:848
	s_waitcnt vmcnt(10) lgkmcnt(1)
	v_mul_f64 v[197:198], v[2:3], v[36:37]
	v_mul_f64 v[36:37], v[4:5], v[36:37]
	s_waitcnt vmcnt(8) lgkmcnt(0)
	v_mul_f64 v[191:192], v[38:39], v[181:182]
	v_add_f64 v[187:188], v[187:188], v[195:196]
	v_add_f64 v[189:190], v[189:190], v[193:194]
	v_mul_f64 v[193:194], v[40:41], v[181:182]
	v_fma_f64 v[195:196], v[4:5], v[34:35], v[197:198]
	v_fma_f64 v[197:198], v[2:3], v[34:35], -v[36:37]
	ds_load_b128 v[2:5], v1 offset:864
	scratch_load_b128 v[34:37], off, off offset:304
	v_fma_f64 v[191:192], v[40:41], v[179:180], v[191:192]
	v_add_f64 v[187:188], v[187:188], v[183:184]
	v_add_f64 v[185:186], v[189:190], v[185:186]
	ds_load_b128 v[181:184], v1 offset:880
	v_fma_f64 v[179:180], v[38:39], v[179:180], -v[193:194]
	scratch_load_b128 v[38:41], off, off offset:320
	s_waitcnt vmcnt(9) lgkmcnt(1)
	v_mul_f64 v[189:190], v[2:3], v[44:45]
	v_mul_f64 v[44:45], v[4:5], v[44:45]
	s_waitcnt vmcnt(8) lgkmcnt(0)
	v_mul_f64 v[193:194], v[181:182], v[8:9]
	v_mul_f64 v[8:9], v[183:184], v[8:9]
	v_add_f64 v[187:188], v[187:188], v[197:198]
	v_add_f64 v[185:186], v[185:186], v[195:196]
	v_fma_f64 v[189:190], v[4:5], v[42:43], v[189:190]
	v_fma_f64 v[195:196], v[2:3], v[42:43], -v[44:45]
	ds_load_b128 v[2:5], v1 offset:896
	scratch_load_b128 v[42:45], off, off offset:336
	v_fma_f64 v[183:184], v[183:184], v[6:7], v[193:194]
	v_fma_f64 v[181:182], v[181:182], v[6:7], -v[8:9]
	scratch_load_b128 v[6:9], off, off offset:352
	v_add_f64 v[179:180], v[187:188], v[179:180]
	v_add_f64 v[191:192], v[185:186], v[191:192]
	ds_load_b128 v[185:188], v1 offset:912
	s_waitcnt vmcnt(9) lgkmcnt(1)
	v_mul_f64 v[197:198], v[2:3], v[12:13]
	v_mul_f64 v[12:13], v[4:5], v[12:13]
	v_add_f64 v[179:180], v[179:180], v[195:196]
	v_add_f64 v[189:190], v[191:192], v[189:190]
	s_waitcnt vmcnt(8) lgkmcnt(0)
	v_mul_f64 v[191:192], v[185:186], v[16:17]
	v_mul_f64 v[16:17], v[187:188], v[16:17]
	v_fma_f64 v[193:194], v[4:5], v[10:11], v[197:198]
	v_fma_f64 v[195:196], v[2:3], v[10:11], -v[12:13]
	ds_load_b128 v[2:5], v1 offset:928
	scratch_load_b128 v[10:13], off, off offset:368
	v_add_f64 v[197:198], v[179:180], v[181:182]
	v_add_f64 v[183:184], v[189:190], v[183:184]
	ds_load_b128 v[179:182], v1 offset:944
	s_waitcnt vmcnt(8) lgkmcnt(1)
	v_mul_f64 v[189:190], v[2:3], v[20:21]
	v_mul_f64 v[20:21], v[4:5], v[20:21]
	v_fma_f64 v[187:188], v[187:188], v[14:15], v[191:192]
	v_fma_f64 v[185:186], v[185:186], v[14:15], -v[16:17]
	scratch_load_b128 v[14:17], off, off offset:384
	v_add_f64 v[191:192], v[197:198], v[195:196]
	v_add_f64 v[183:184], v[183:184], v[193:194]
	s_waitcnt vmcnt(8) lgkmcnt(0)
	v_mul_f64 v[193:194], v[179:180], v[24:25]
	v_mul_f64 v[24:25], v[181:182], v[24:25]
	v_fma_f64 v[189:190], v[4:5], v[18:19], v[189:190]
	v_fma_f64 v[195:196], v[2:3], v[18:19], -v[20:21]
	ds_load_b128 v[2:5], v1 offset:960
	scratch_load_b128 v[18:21], off, off offset:400
	v_add_f64 v[191:192], v[191:192], v[185:186]
	v_add_f64 v[187:188], v[183:184], v[187:188]
	ds_load_b128 v[183:186], v1 offset:976
	s_waitcnt vmcnt(8) lgkmcnt(1)
	v_mul_f64 v[197:198], v[2:3], v[28:29]
	v_mul_f64 v[28:29], v[4:5], v[28:29]
	v_fma_f64 v[181:182], v[181:182], v[22:23], v[193:194]
	v_fma_f64 v[179:180], v[179:180], v[22:23], -v[24:25]
	scratch_load_b128 v[22:25], off, off offset:416
	;; [unrolled: 18-line block ×4, first 2 shown]
	s_waitcnt vmcnt(8) lgkmcnt(0)
	v_mul_f64 v[191:192], v[183:184], v[8:9]
	v_mul_f64 v[8:9], v[185:186], v[8:9]
	v_add_f64 v[189:190], v[189:190], v[195:196]
	v_add_f64 v[187:188], v[187:188], v[193:194]
	v_fma_f64 v[193:194], v[4:5], v[42:43], v[197:198]
	v_fma_f64 v[195:196], v[2:3], v[42:43], -v[44:45]
	ds_load_b128 v[2:5], v1 offset:1056
	scratch_load_b128 v[42:45], off, off offset:496
	v_fma_f64 v[185:186], v[185:186], v[6:7], v[191:192]
	v_fma_f64 v[183:184], v[183:184], v[6:7], -v[8:9]
	scratch_load_b128 v[6:9], off, off offset:512
	v_add_f64 v[189:190], v[189:190], v[179:180]
	v_add_f64 v[187:188], v[187:188], v[181:182]
	ds_load_b128 v[179:182], v1 offset:1072
	s_waitcnt vmcnt(9) lgkmcnt(1)
	v_mul_f64 v[197:198], v[2:3], v[12:13]
	v_mul_f64 v[12:13], v[4:5], v[12:13]
	s_waitcnt vmcnt(8) lgkmcnt(0)
	v_mul_f64 v[191:192], v[179:180], v[16:17]
	v_mul_f64 v[16:17], v[181:182], v[16:17]
	v_add_f64 v[189:190], v[189:190], v[195:196]
	v_add_f64 v[187:188], v[187:188], v[193:194]
	v_fma_f64 v[193:194], v[4:5], v[10:11], v[197:198]
	v_fma_f64 v[195:196], v[2:3], v[10:11], -v[12:13]
	ds_load_b128 v[2:5], v1 offset:1088
	scratch_load_b128 v[10:13], off, off offset:528
	v_fma_f64 v[181:182], v[181:182], v[14:15], v[191:192]
	v_fma_f64 v[179:180], v[179:180], v[14:15], -v[16:17]
	scratch_load_b128 v[14:17], off, off offset:544
	v_add_f64 v[189:190], v[189:190], v[183:184]
	v_add_f64 v[187:188], v[187:188], v[185:186]
	ds_load_b128 v[183:186], v1 offset:1104
	s_waitcnt vmcnt(9) lgkmcnt(1)
	v_mul_f64 v[197:198], v[2:3], v[20:21]
	v_mul_f64 v[20:21], v[4:5], v[20:21]
	;; [unrolled: 18-line block ×6, first 2 shown]
	s_waitcnt vmcnt(8) lgkmcnt(0)
	v_mul_f64 v[191:192], v[183:184], v[16:17]
	v_mul_f64 v[16:17], v[185:186], v[16:17]
	v_add_f64 v[189:190], v[189:190], v[195:196]
	v_add_f64 v[187:188], v[187:188], v[193:194]
	v_fma_f64 v[193:194], v[4:5], v[10:11], v[197:198]
	v_fma_f64 v[195:196], v[2:3], v[10:11], -v[12:13]
	ds_load_b128 v[2:5], v1 offset:1248
	ds_load_b128 v[10:13], v1 offset:1264
	v_fma_f64 v[185:186], v[185:186], v[14:15], v[191:192]
	v_fma_f64 v[14:15], v[183:184], v[14:15], -v[16:17]
	v_add_f64 v[179:180], v[189:190], v[179:180]
	v_add_f64 v[181:182], v[187:188], v[181:182]
	s_waitcnt vmcnt(7) lgkmcnt(1)
	v_mul_f64 v[187:188], v[2:3], v[20:21]
	v_mul_f64 v[20:21], v[4:5], v[20:21]
	s_delay_alu instid0(VALU_DEP_4) | instskip(NEXT) | instid1(VALU_DEP_4)
	v_add_f64 v[16:17], v[179:180], v[195:196]
	v_add_f64 v[179:180], v[181:182], v[193:194]
	s_waitcnt vmcnt(6) lgkmcnt(0)
	v_mul_f64 v[181:182], v[10:11], v[24:25]
	v_mul_f64 v[24:25], v[12:13], v[24:25]
	v_fma_f64 v[183:184], v[4:5], v[18:19], v[187:188]
	v_fma_f64 v[18:19], v[2:3], v[18:19], -v[20:21]
	v_add_f64 v[20:21], v[16:17], v[14:15]
	v_add_f64 v[179:180], v[179:180], v[185:186]
	ds_load_b128 v[2:5], v1 offset:1280
	ds_load_b128 v[14:17], v1 offset:1296
	v_fma_f64 v[12:13], v[12:13], v[22:23], v[181:182]
	v_fma_f64 v[10:11], v[10:11], v[22:23], -v[24:25]
	s_waitcnt vmcnt(5) lgkmcnt(1)
	v_mul_f64 v[185:186], v[2:3], v[28:29]
	v_mul_f64 v[28:29], v[4:5], v[28:29]
	s_waitcnt vmcnt(4) lgkmcnt(0)
	v_mul_f64 v[22:23], v[14:15], v[32:33]
	v_mul_f64 v[24:25], v[16:17], v[32:33]
	v_add_f64 v[18:19], v[20:21], v[18:19]
	v_add_f64 v[20:21], v[179:180], v[183:184]
	v_fma_f64 v[32:33], v[4:5], v[26:27], v[185:186]
	v_fma_f64 v[26:27], v[2:3], v[26:27], -v[28:29]
	v_fma_f64 v[16:17], v[16:17], v[30:31], v[22:23]
	v_fma_f64 v[14:15], v[14:15], v[30:31], -v[24:25]
	v_add_f64 v[18:19], v[18:19], v[10:11]
	v_add_f64 v[20:21], v[20:21], v[12:13]
	ds_load_b128 v[2:5], v1 offset:1312
	ds_load_b128 v[10:13], v1 offset:1328
	s_waitcnt vmcnt(3) lgkmcnt(1)
	v_mul_f64 v[28:29], v[2:3], v[36:37]
	v_mul_f64 v[36:37], v[4:5], v[36:37]
	s_waitcnt vmcnt(2) lgkmcnt(0)
	v_mul_f64 v[22:23], v[10:11], v[40:41]
	v_mul_f64 v[24:25], v[12:13], v[40:41]
	v_add_f64 v[18:19], v[18:19], v[26:27]
	v_add_f64 v[20:21], v[20:21], v[32:33]
	v_fma_f64 v[26:27], v[4:5], v[34:35], v[28:29]
	v_fma_f64 v[28:29], v[2:3], v[34:35], -v[36:37]
	v_fma_f64 v[12:13], v[12:13], v[38:39], v[22:23]
	v_fma_f64 v[10:11], v[10:11], v[38:39], -v[24:25]
	v_add_f64 v[18:19], v[18:19], v[14:15]
	v_add_f64 v[20:21], v[20:21], v[16:17]
	ds_load_b128 v[2:5], v1 offset:1344
	ds_load_b128 v[14:17], v1 offset:1360
	s_waitcnt vmcnt(1) lgkmcnt(1)
	v_mul_f64 v[30:31], v[2:3], v[44:45]
	v_mul_f64 v[32:33], v[4:5], v[44:45]
	s_waitcnt vmcnt(0) lgkmcnt(0)
	v_mul_f64 v[22:23], v[14:15], v[8:9]
	v_mul_f64 v[8:9], v[16:17], v[8:9]
	v_add_f64 v[18:19], v[18:19], v[28:29]
	v_add_f64 v[20:21], v[20:21], v[26:27]
	v_fma_f64 v[4:5], v[4:5], v[42:43], v[30:31]
	v_fma_f64 v[1:2], v[2:3], v[42:43], -v[32:33]
	v_fma_f64 v[16:17], v[16:17], v[6:7], v[22:23]
	v_fma_f64 v[6:7], v[14:15], v[6:7], -v[8:9]
	v_add_f64 v[10:11], v[18:19], v[10:11]
	v_add_f64 v[12:13], v[20:21], v[12:13]
	s_delay_alu instid0(VALU_DEP_2) | instskip(NEXT) | instid1(VALU_DEP_2)
	v_add_f64 v[1:2], v[10:11], v[1:2]
	v_add_f64 v[3:4], v[12:13], v[4:5]
	s_delay_alu instid0(VALU_DEP_2) | instskip(NEXT) | instid1(VALU_DEP_2)
	;; [unrolled: 3-line block ×3, first 2 shown]
	v_add_f64 v[1:2], v[175:176], -v[1:2]
	v_add_f64 v[3:4], v[177:178], -v[3:4]
	scratch_store_b128 off, v[1:4], off
	s_cbranch_vccz .LBB106_357
; %bb.272:
	v_dual_mov_b32 v1, s8 :: v_dual_mov_b32 v2, s9
	s_load_b64 s[0:1], s[0:1], 0x4
	flat_load_b32 v1, v[1:2] offset:164
	v_bfe_u32 v2, v0, 10, 10
	v_bfe_u32 v0, v0, 20, 10
	s_waitcnt lgkmcnt(0)
	s_lshr_b32 s0, s0, 16
	s_delay_alu instid0(VALU_DEP_2) | instskip(SKIP_1) | instid1(SALU_CYCLE_1)
	v_mul_u32_u24_e32 v2, s1, v2
	s_mul_i32 s0, s0, s1
	v_mul_u32_u24_e32 v3, s0, v132
	s_mov_b32 s0, exec_lo
	s_delay_alu instid0(VALU_DEP_1) | instskip(NEXT) | instid1(VALU_DEP_1)
	v_add3_u32 v0, v3, v2, v0
	v_lshl_add_u32 v0, v0, 4, 0x568
	s_waitcnt vmcnt(0)
	v_cmpx_ne_u32_e32 42, v1
	s_cbranch_execz .LBB106_274
; %bb.273:
	v_lshl_add_u32 v9, v1, 4, 0
	s_clause 0x1
	scratch_load_b128 v[1:4], v142, off
	scratch_load_b128 v[5:8], v9, off offset:-16
	s_waitcnt vmcnt(1)
	ds_store_2addr_b64 v0, v[1:2], v[3:4] offset1:1
	s_waitcnt vmcnt(0)
	s_clause 0x1
	scratch_store_b128 v142, v[5:8], off
	scratch_store_b128 v9, v[1:4], off offset:-16
.LBB106_274:
	s_or_b32 exec_lo, exec_lo, s0
	v_dual_mov_b32 v1, s8 :: v_dual_mov_b32 v2, s9
	s_mov_b32 s0, exec_lo
	flat_load_b32 v1, v[1:2] offset:160
	s_waitcnt vmcnt(0) lgkmcnt(0)
	v_cmpx_ne_u32_e32 41, v1
	s_cbranch_execz .LBB106_276
; %bb.275:
	v_lshl_add_u32 v9, v1, 4, 0
	s_clause 0x1
	scratch_load_b128 v[1:4], v144, off
	scratch_load_b128 v[5:8], v9, off offset:-16
	s_waitcnt vmcnt(1)
	ds_store_2addr_b64 v0, v[1:2], v[3:4] offset1:1
	s_waitcnt vmcnt(0)
	s_clause 0x1
	scratch_store_b128 v144, v[5:8], off
	scratch_store_b128 v9, v[1:4], off offset:-16
.LBB106_276:
	s_or_b32 exec_lo, exec_lo, s0
	v_dual_mov_b32 v1, s8 :: v_dual_mov_b32 v2, s9
	s_mov_b32 s0, exec_lo
	flat_load_b32 v1, v[1:2] offset:156
	s_waitcnt vmcnt(0) lgkmcnt(0)
	;; [unrolled: 19-line block ×40, first 2 shown]
	v_cmpx_ne_u32_e32 2, v1
	s_cbranch_execz .LBB106_354
; %bb.353:
	v_lshl_add_u32 v9, v1, 4, 0
	s_clause 0x1
	scratch_load_b128 v[1:4], v136, off
	scratch_load_b128 v[5:8], v9, off offset:-16
	s_waitcnt vmcnt(1)
	ds_store_2addr_b64 v0, v[1:2], v[3:4] offset1:1
	s_waitcnt vmcnt(0)
	s_clause 0x1
	scratch_store_b128 v136, v[5:8], off
	scratch_store_b128 v9, v[1:4], off offset:-16
.LBB106_354:
	s_or_b32 exec_lo, exec_lo, s0
	v_dual_mov_b32 v1, s8 :: v_dual_mov_b32 v2, s9
	s_mov_b32 s0, exec_lo
	flat_load_b32 v1, v[1:2]
	s_waitcnt vmcnt(0) lgkmcnt(0)
	v_cmpx_ne_u32_e32 1, v1
	s_cbranch_execz .LBB106_356
; %bb.355:
	v_lshl_add_u32 v9, v1, 4, 0
	scratch_load_b128 v[1:4], off, off
	scratch_load_b128 v[5:8], v9, off offset:-16
	s_waitcnt vmcnt(1)
	ds_store_2addr_b64 v0, v[1:2], v[3:4] offset1:1
	s_waitcnt vmcnt(0)
	scratch_store_b128 off, v[5:8], off
	scratch_store_b128 v9, v[1:4], off offset:-16
.LBB106_356:
	s_or_b32 exec_lo, exec_lo, s0
.LBB106_357:
	scratch_load_b128 v[0:3], off, off
	s_clause 0x19
	scratch_load_b128 v[4:7], v136, off
	scratch_load_b128 v[8:11], v135, off
	;; [unrolled: 1-line block ×26, first 2 shown]
	s_waitcnt vmcnt(26)
	global_store_b128 v[46:47], v[0:3], off
	s_clause 0x1
	scratch_load_b128 v[0:3], v143, off
	scratch_load_b128 v[44:47], v141, off
	s_waitcnt vmcnt(27)
	global_store_b128 v[48:49], v[4:7], off
	s_clause 0x1
	scratch_load_b128 v[4:7], v139, off
	scratch_load_b128 v[229:232], v138, off
	;; [unrolled: 5-line block ×8, first 2 shown]
	s_waitcnt vmcnt(34)
	global_store_b128 v[62:63], v[32:35], off
	s_waitcnt vmcnt(33)
	global_store_b128 v[64:65], v[36:39], off
	s_waitcnt vmcnt(32)
	global_store_b128 v[66:67], v[40:43], off
	s_waitcnt vmcnt(31)
	global_store_b128 v[68:69], v[132:135], off
	s_waitcnt vmcnt(30)
	global_store_b128 v[70:71], v[169:172], off
	s_waitcnt vmcnt(29)
	global_store_b128 v[72:73], v[173:176], off
	s_waitcnt vmcnt(28)
	global_store_b128 v[74:75], v[177:180], off
	s_waitcnt vmcnt(27)
	global_store_b128 v[76:77], v[181:184], off
	s_waitcnt vmcnt(26)
	global_store_b128 v[78:79], v[185:188], off
	s_waitcnt vmcnt(25)
	global_store_b128 v[80:81], v[189:192], off
	s_waitcnt vmcnt(24)
	global_store_b128 v[82:83], v[193:196], off
	s_waitcnt vmcnt(23)
	global_store_b128 v[84:85], v[197:200], off
	s_waitcnt vmcnt(22)
	global_store_b128 v[86:87], v[201:204], off
	s_waitcnt vmcnt(21)
	global_store_b128 v[88:89], v[205:208], off
	s_waitcnt vmcnt(20)
	global_store_b128 v[90:91], v[209:212], off
	s_waitcnt vmcnt(19)
	global_store_b128 v[92:93], v[213:216], off
	s_waitcnt vmcnt(18)
	global_store_b128 v[94:95], v[217:220], off
	s_waitcnt vmcnt(17)
	global_store_b128 v[96:97], v[221:224], off
	s_waitcnt vmcnt(16)
	global_store_b128 v[98:99], v[225:228], off
	s_waitcnt vmcnt(15)
	global_store_b128 v[100:101], v[0:3], off
	s_waitcnt vmcnt(14)
	global_store_b128 v[102:103], v[44:47], off
	s_waitcnt vmcnt(13)
	global_store_b128 v[104:105], v[4:7], off
	s_waitcnt vmcnt(12)
	global_store_b128 v[106:107], v[229:232], off
	s_waitcnt vmcnt(11)
	global_store_b128 v[108:109], v[8:11], off
	s_waitcnt vmcnt(10)
	global_store_b128 v[110:111], v[48:51], off
	s_waitcnt vmcnt(9)
	global_store_b128 v[112:113], v[12:15], off
	s_waitcnt vmcnt(8)
	global_store_b128 v[114:115], v[136:139], off
	s_waitcnt vmcnt(7)
	global_store_b128 v[116:117], v[16:19], off
	s_waitcnt vmcnt(6)
	global_store_b128 v[118:119], v[52:55], off
	s_waitcnt vmcnt(5)
	global_store_b128 v[120:121], v[20:23], off
	s_waitcnt vmcnt(4)
	global_store_b128 v[122:123], v[147:150], off
	s_waitcnt vmcnt(3)
	global_store_b128 v[124:125], v[24:27], off
	s_waitcnt vmcnt(2)
	global_store_b128 v[126:127], v[56:59], off
	s_waitcnt vmcnt(1)
	global_store_b128 v[128:129], v[28:31], off
	s_waitcnt vmcnt(0)
	global_store_b128 v[130:131], v[140:143], off
	s_endpgm
	.section	.rodata,"a",@progbits
	.p2align	6, 0x0
	.amdhsa_kernel _ZN9rocsolver6v33100L18getri_kernel_smallILi43E19rocblas_complex_numIdEPKPS3_EEvT1_iilPiilS8_bb
		.amdhsa_group_segment_fixed_size 2408
		.amdhsa_private_segment_fixed_size 704
		.amdhsa_kernarg_size 60
		.amdhsa_user_sgpr_count 15
		.amdhsa_user_sgpr_dispatch_ptr 1
		.amdhsa_user_sgpr_queue_ptr 0
		.amdhsa_user_sgpr_kernarg_segment_ptr 1
		.amdhsa_user_sgpr_dispatch_id 0
		.amdhsa_user_sgpr_private_segment_size 0
		.amdhsa_wavefront_size32 1
		.amdhsa_uses_dynamic_stack 0
		.amdhsa_enable_private_segment 1
		.amdhsa_system_sgpr_workgroup_id_x 1
		.amdhsa_system_sgpr_workgroup_id_y 0
		.amdhsa_system_sgpr_workgroup_id_z 0
		.amdhsa_system_sgpr_workgroup_info 0
		.amdhsa_system_vgpr_workitem_id 2
		.amdhsa_next_free_vgpr 235
		.amdhsa_next_free_sgpr 49
		.amdhsa_reserve_vcc 1
		.amdhsa_float_round_mode_32 0
		.amdhsa_float_round_mode_16_64 0
		.amdhsa_float_denorm_mode_32 3
		.amdhsa_float_denorm_mode_16_64 3
		.amdhsa_dx10_clamp 1
		.amdhsa_ieee_mode 1
		.amdhsa_fp16_overflow 0
		.amdhsa_workgroup_processor_mode 1
		.amdhsa_memory_ordered 1
		.amdhsa_forward_progress 0
		.amdhsa_shared_vgpr_count 0
		.amdhsa_exception_fp_ieee_invalid_op 0
		.amdhsa_exception_fp_denorm_src 0
		.amdhsa_exception_fp_ieee_div_zero 0
		.amdhsa_exception_fp_ieee_overflow 0
		.amdhsa_exception_fp_ieee_underflow 0
		.amdhsa_exception_fp_ieee_inexact 0
		.amdhsa_exception_int_div_zero 0
	.end_amdhsa_kernel
	.section	.text._ZN9rocsolver6v33100L18getri_kernel_smallILi43E19rocblas_complex_numIdEPKPS3_EEvT1_iilPiilS8_bb,"axG",@progbits,_ZN9rocsolver6v33100L18getri_kernel_smallILi43E19rocblas_complex_numIdEPKPS3_EEvT1_iilPiilS8_bb,comdat
.Lfunc_end106:
	.size	_ZN9rocsolver6v33100L18getri_kernel_smallILi43E19rocblas_complex_numIdEPKPS3_EEvT1_iilPiilS8_bb, .Lfunc_end106-_ZN9rocsolver6v33100L18getri_kernel_smallILi43E19rocblas_complex_numIdEPKPS3_EEvT1_iilPiilS8_bb
                                        ; -- End function
	.section	.AMDGPU.csdata,"",@progbits
; Kernel info:
; codeLenInByte = 88168
; NumSgprs: 51
; NumVgprs: 235
; ScratchSize: 704
; MemoryBound: 0
; FloatMode: 240
; IeeeMode: 1
; LDSByteSize: 2408 bytes/workgroup (compile time only)
; SGPRBlocks: 6
; VGPRBlocks: 29
; NumSGPRsForWavesPerEU: 51
; NumVGPRsForWavesPerEU: 235
; Occupancy: 6
; WaveLimiterHint : 1
; COMPUTE_PGM_RSRC2:SCRATCH_EN: 1
; COMPUTE_PGM_RSRC2:USER_SGPR: 15
; COMPUTE_PGM_RSRC2:TRAP_HANDLER: 0
; COMPUTE_PGM_RSRC2:TGID_X_EN: 1
; COMPUTE_PGM_RSRC2:TGID_Y_EN: 0
; COMPUTE_PGM_RSRC2:TGID_Z_EN: 0
; COMPUTE_PGM_RSRC2:TIDIG_COMP_CNT: 2
	.section	.text._ZN9rocsolver6v33100L18getri_kernel_smallILi44E19rocblas_complex_numIdEPKPS3_EEvT1_iilPiilS8_bb,"axG",@progbits,_ZN9rocsolver6v33100L18getri_kernel_smallILi44E19rocblas_complex_numIdEPKPS3_EEvT1_iilPiilS8_bb,comdat
	.globl	_ZN9rocsolver6v33100L18getri_kernel_smallILi44E19rocblas_complex_numIdEPKPS3_EEvT1_iilPiilS8_bb ; -- Begin function _ZN9rocsolver6v33100L18getri_kernel_smallILi44E19rocblas_complex_numIdEPKPS3_EEvT1_iilPiilS8_bb
	.p2align	8
	.type	_ZN9rocsolver6v33100L18getri_kernel_smallILi44E19rocblas_complex_numIdEPKPS3_EEvT1_iilPiilS8_bb,@function
_ZN9rocsolver6v33100L18getri_kernel_smallILi44E19rocblas_complex_numIdEPKPS3_EEvT1_iilPiilS8_bb: ; @_ZN9rocsolver6v33100L18getri_kernel_smallILi44E19rocblas_complex_numIdEPKPS3_EEvT1_iilPiilS8_bb
; %bb.0:
	v_and_b32_e32 v134, 0x3ff, v0
	s_mov_b32 s4, exec_lo
	s_delay_alu instid0(VALU_DEP_1)
	v_cmpx_gt_u32_e32 44, v134
	s_cbranch_execz .LBB107_190
; %bb.1:
	s_mov_b32 s10, s15
	s_clause 0x2
	s_load_b32 s15, s[2:3], 0x38
	s_load_b64 s[8:9], s[2:3], 0x0
	s_load_b128 s[4:7], s[2:3], 0x28
	s_waitcnt lgkmcnt(0)
	s_bitcmp1_b32 s15, 8
	s_cselect_b32 s14, -1, 0
	s_ashr_i32 s11, s10, 31
	s_delay_alu instid0(SALU_CYCLE_1) | instskip(NEXT) | instid1(SALU_CYCLE_1)
	s_lshl_b64 s[12:13], s[10:11], 3
	s_add_u32 s8, s8, s12
	s_addc_u32 s9, s9, s13
	s_load_b64 s[12:13], s[8:9], 0x0
	s_bfe_u32 s8, s15, 0x10008
	s_delay_alu instid0(SALU_CYCLE_1)
	s_cmp_eq_u32 s8, 0
                                        ; implicit-def: $sgpr8_sgpr9
	s_cbranch_scc1 .LBB107_3
; %bb.2:
	s_clause 0x1
	s_load_b32 s8, s[2:3], 0x20
	s_load_b64 s[16:17], s[2:3], 0x18
	s_mul_i32 s5, s10, s5
	s_mul_hi_u32 s9, s10, s4
	s_mul_i32 s18, s11, s4
	s_add_i32 s5, s9, s5
	s_mul_i32 s4, s10, s4
	s_add_i32 s5, s5, s18
	s_delay_alu instid0(SALU_CYCLE_1)
	s_lshl_b64 s[4:5], s[4:5], 2
	s_waitcnt lgkmcnt(0)
	s_ashr_i32 s9, s8, 31
	s_add_u32 s16, s16, s4
	s_addc_u32 s17, s17, s5
	s_lshl_b64 s[4:5], s[8:9], 2
	s_delay_alu instid0(SALU_CYCLE_1)
	s_add_u32 s8, s16, s4
	s_addc_u32 s9, s17, s5
.LBB107_3:
	s_load_b64 s[2:3], s[2:3], 0x8
	v_lshlrev_b32_e32 v13, 4, v134
	s_movk_i32 s18, 0xd0
	s_movk_i32 s19, 0xe0
	;; [unrolled: 1-line block ×18, first 2 shown]
	s_waitcnt lgkmcnt(0)
	v_add3_u32 v1, s3, s3, v134
	s_ashr_i32 s5, s2, 31
	s_mov_b32 s4, s2
	s_mov_b32 s16, s3
	s_lshl_b64 s[4:5], s[4:5], 4
	v_add_nc_u32_e32 v7, s3, v1
	v_ashrrev_i32_e32 v2, 31, v1
	s_add_u32 s4, s12, s4
	s_addc_u32 s5, s13, s5
	v_add_co_u32 v46, s2, s4, v13
	v_add_nc_u32_e32 v11, s3, v7
	s_ashr_i32 s17, s3, 31
	v_add_co_ci_u32_e64 v47, null, s5, 0, s2
	v_lshlrev_b64 v[1:2], 4, v[1:2]
	s_lshl_b64 s[12:13], s[16:17], 4
	v_add_nc_u32_e32 v18, s3, v11
	v_ashrrev_i32_e32 v8, 31, v7
	v_add_co_u32 v48, vcc_lo, v46, s12
	v_add_co_ci_u32_e32 v49, vcc_lo, s13, v47, vcc_lo
	v_ashrrev_i32_e32 v12, 31, v11
	v_add_co_u32 v50, vcc_lo, s4, v1
	v_add_nc_u32_e32 v1, s3, v18
	v_lshlrev_b64 v[14:15], 4, v[7:8]
	s_delay_alu instid0(VALU_DEP_4) | instskip(SKIP_1) | instid1(VALU_DEP_4)
	v_lshlrev_b64 v[11:12], 4, v[11:12]
	v_add_co_ci_u32_e32 v51, vcc_lo, s5, v2, vcc_lo
	v_add_nc_u32_e32 v26, s3, v1
	v_ashrrev_i32_e32 v19, 31, v18
	v_add_co_u32 v52, vcc_lo, s4, v14
	v_add_co_ci_u32_e32 v53, vcc_lo, s5, v15, vcc_lo
	v_ashrrev_i32_e32 v2, 31, v1
	v_add_co_u32 v54, vcc_lo, s4, v11
	v_add_nc_u32_e32 v11, s3, v26
	v_lshlrev_b64 v[22:23], 4, v[18:19]
	v_ashrrev_i32_e32 v27, 31, v26
	v_lshlrev_b64 v[1:2], 4, v[1:2]
	v_add_co_ci_u32_e32 v55, vcc_lo, s5, v12, vcc_lo
	v_add_nc_u32_e32 v34, s3, v11
	v_add_co_u32 v56, vcc_lo, s4, v22
	v_ashrrev_i32_e32 v12, 31, v11
	v_add_co_ci_u32_e32 v57, vcc_lo, s5, v23, vcc_lo
	v_lshlrev_b64 v[30:31], 4, v[26:27]
	v_add_co_u32 v58, vcc_lo, s4, v1
	v_add_nc_u32_e32 v1, s3, v34
	v_ashrrev_i32_e32 v35, 31, v34
	v_lshlrev_b64 v[11:12], 4, v[11:12]
	v_add_co_ci_u32_e32 v59, vcc_lo, s5, v2, vcc_lo
	v_add_co_u32 v60, vcc_lo, s4, v30
	s_delay_alu instid0(VALU_DEP_4)
	v_lshlrev_b64 v[38:39], 4, v[34:35]
	v_ashrrev_i32_e32 v2, 31, v1
	v_add_nc_u32_e32 v68, s3, v1
	v_add_co_ci_u32_e32 v61, vcc_lo, s5, v31, vcc_lo
	v_add_co_u32 v64, vcc_lo, s4, v11
	v_add_co_ci_u32_e32 v65, vcc_lo, s5, v12, vcc_lo
	v_lshlrev_b64 v[1:2], 4, v[1:2]
	v_add_nc_u32_e32 v11, s3, v68
	v_add_co_u32 v62, vcc_lo, s4, v38
	s_clause 0x1
	global_load_b128 v[3:6], v13, s[4:5]
	global_load_b128 v[7:10], v[48:49], off
	v_add_co_ci_u32_e32 v63, vcc_lo, s5, v39, vcc_lo
	v_ashrrev_i32_e32 v69, 31, v68
	s_clause 0x5
	global_load_b128 v[14:17], v[50:51], off
	global_load_b128 v[18:21], v[52:53], off
	;; [unrolled: 1-line block ×6, first 2 shown]
	v_ashrrev_i32_e32 v12, 31, v11
	v_add_co_u32 v66, vcc_lo, s4, v1
	s_clause 0x1
	global_load_b128 v[38:41], v[64:65], off
	global_load_b128 v[42:45], v[62:63], off
	v_add_co_ci_u32_e32 v67, vcc_lo, s5, v2, vcc_lo
	v_lshlrev_b64 v[1:2], 4, v[68:69]
	v_add_nc_u32_e32 v74, s3, v11
	v_lshlrev_b64 v[11:12], 4, v[11:12]
	global_load_b128 v[135:138], v[66:67], off
	s_movk_i32 s2, 0x50
	s_movk_i32 s12, 0x90
	v_add_co_u32 v68, vcc_lo, s4, v1
	v_add_co_ci_u32_e32 v69, vcc_lo, s5, v2, vcc_lo
	v_add_co_u32 v70, vcc_lo, s4, v11
	v_add_co_ci_u32_e32 v71, vcc_lo, s5, v12, vcc_lo
	s_clause 0x1
	global_load_b128 v[139:142], v[68:69], off
	global_load_b128 v[143:146], v[70:71], off
	v_ashrrev_i32_e32 v75, 31, v74
	s_movk_i32 s13, 0xa0
	s_movk_i32 s16, 0xb0
	;; [unrolled: 1-line block ×4, first 2 shown]
	v_lshlrev_b64 v[1:2], 4, v[74:75]
	s_movk_i32 s38, 0x200
	s_movk_i32 s39, 0x210
	;; [unrolled: 1-line block ×5, first 2 shown]
	v_add_co_u32 v72, vcc_lo, s4, v1
	v_add_nc_u32_e32 v1, s3, v74
	v_add_co_ci_u32_e32 v73, vcc_lo, s5, v2, vcc_lo
	s_movk_i32 s43, 0x250
	s_movk_i32 s44, 0x260
	s_delay_alu instid0(VALU_DEP_2)
	v_add_nc_u32_e32 v11, s3, v1
	v_ashrrev_i32_e32 v2, 31, v1
	global_load_b128 v[147:150], v[72:73], off
	s_movk_i32 s45, 0x270
	s_movk_i32 s46, 0x280
	v_add_nc_u32_e32 v76, s3, v11
	v_lshlrev_b64 v[1:2], 4, v[1:2]
	v_ashrrev_i32_e32 v12, 31, v11
	s_movk_i32 s47, 0x290
	s_movk_i32 s48, 0x2a0
	v_add_nc_u32_e32 v78, s3, v76
	v_ashrrev_i32_e32 v77, 31, v76
	v_add_co_u32 v74, vcc_lo, s4, v1
	v_lshlrev_b64 v[11:12], 4, v[11:12]
	s_delay_alu instid0(VALU_DEP_4) | instskip(SKIP_3) | instid1(VALU_DEP_4)
	v_add_nc_u32_e32 v80, s3, v78
	v_ashrrev_i32_e32 v79, 31, v78
	v_add_co_ci_u32_e32 v75, vcc_lo, s5, v2, vcc_lo
	v_lshlrev_b64 v[89:90], 4, v[76:77]
	v_add_nc_u32_e32 v82, s3, v80
	v_add_co_u32 v76, vcc_lo, s4, v11
	global_load_b128 v[151:154], v[74:75], off
	v_add_co_ci_u32_e32 v77, vcc_lo, s5, v12, vcc_lo
	v_add_nc_u32_e32 v84, s3, v82
	v_lshlrev_b64 v[11:12], 4, v[78:79]
	v_ashrrev_i32_e32 v81, 31, v80
	v_add_co_u32 v78, vcc_lo, s4, v89
	s_delay_alu instid0(VALU_DEP_4) | instskip(SKIP_3) | instid1(VALU_DEP_4)
	v_add_nc_u32_e32 v86, s3, v84
	v_ashrrev_i32_e32 v83, 31, v82
	v_add_co_ci_u32_e32 v79, vcc_lo, s5, v90, vcc_lo
	v_lshlrev_b64 v[89:90], 4, v[80:81]
	v_add_nc_u32_e32 v88, s3, v86
	v_add_co_u32 v80, vcc_lo, s4, v11
	v_add_co_ci_u32_e32 v81, vcc_lo, s5, v12, vcc_lo
	s_delay_alu instid0(VALU_DEP_3) | instskip(SKIP_3) | instid1(VALU_DEP_4)
	v_add_nc_u32_e32 v1, s3, v88
	v_lshlrev_b64 v[11:12], 4, v[82:83]
	v_ashrrev_i32_e32 v85, 31, v84
	v_add_co_u32 v82, vcc_lo, s4, v89
	v_add_nc_u32_e32 v92, s3, v1
	v_ashrrev_i32_e32 v87, 31, v86
	v_add_co_ci_u32_e32 v83, vcc_lo, s5, v90, vcc_lo
	v_lshlrev_b64 v[90:91], 4, v[84:85]
	s_delay_alu instid0(VALU_DEP_4) | instskip(SKIP_2) | instid1(VALU_DEP_3)
	v_add_nc_u32_e32 v94, s3, v92
	v_add_co_u32 v84, vcc_lo, s4, v11
	v_add_co_ci_u32_e32 v85, vcc_lo, s5, v12, vcc_lo
	v_add_nc_u32_e32 v96, s3, v94
	v_lshlrev_b64 v[11:12], 4, v[86:87]
	v_ashrrev_i32_e32 v89, 31, v88
	v_add_co_u32 v86, vcc_lo, s4, v90
	s_delay_alu instid0(VALU_DEP_4) | instskip(SKIP_1) | instid1(VALU_DEP_4)
	v_add_nc_u32_e32 v98, s3, v96
	v_add_co_ci_u32_e32 v87, vcc_lo, s5, v91, vcc_lo
	v_lshlrev_b64 v[90:91], 4, v[88:89]
	v_add_co_u32 v88, vcc_lo, s4, v11
	s_delay_alu instid0(VALU_DEP_4) | instskip(SKIP_3) | instid1(VALU_DEP_4)
	v_add_nc_u32_e32 v100, s3, v98
	v_ashrrev_i32_e32 v2, 31, v1
	v_ashrrev_i32_e32 v93, 31, v92
	v_add_co_ci_u32_e32 v89, vcc_lo, s5, v12, vcc_lo
	v_add_nc_u32_e32 v102, s3, v100
	s_delay_alu instid0(VALU_DEP_4) | instskip(SKIP_2) | instid1(VALU_DEP_4)
	v_lshlrev_b64 v[1:2], 4, v[1:2]
	v_add_co_u32 v90, vcc_lo, s4, v90
	v_ashrrev_i32_e32 v95, 31, v94
	v_add_nc_u32_e32 v104, s3, v102
	v_add_co_ci_u32_e32 v91, vcc_lo, s5, v91, vcc_lo
	v_lshlrev_b64 v[105:106], 4, v[92:93]
	v_add_co_u32 v92, vcc_lo, s4, v1
	s_delay_alu instid0(VALU_DEP_4) | instskip(SKIP_3) | instid1(VALU_DEP_4)
	v_add_nc_u32_e32 v108, s3, v104
	v_add_co_ci_u32_e32 v93, vcc_lo, s5, v2, vcc_lo
	v_lshlrev_b64 v[1:2], 4, v[94:95]
	v_ashrrev_i32_e32 v97, 31, v96
	v_add_nc_u32_e32 v110, s3, v108
	v_add_co_u32 v94, vcc_lo, s4, v105
	v_ashrrev_i32_e32 v99, 31, v98
	v_add_co_ci_u32_e32 v95, vcc_lo, s5, v106, vcc_lo
	s_delay_alu instid0(VALU_DEP_4) | instskip(SKIP_3) | instid1(VALU_DEP_4)
	v_add_nc_u32_e32 v112, s3, v110
	v_lshlrev_b64 v[105:106], 4, v[96:97]
	v_add_co_u32 v96, vcc_lo, s4, v1
	v_add_co_ci_u32_e32 v97, vcc_lo, s5, v2, vcc_lo
	v_add_nc_u32_e32 v11, s3, v112
	v_lshlrev_b64 v[1:2], 4, v[98:99]
	v_ashrrev_i32_e32 v101, 31, v100
	v_add_co_u32 v98, vcc_lo, s4, v105
	s_delay_alu instid0(VALU_DEP_4) | instskip(SKIP_3) | instid1(VALU_DEP_4)
	v_add_nc_u32_e32 v116, s3, v11
	v_ashrrev_i32_e32 v103, 31, v102
	v_add_co_ci_u32_e32 v99, vcc_lo, s5, v106, vcc_lo
	v_lshlrev_b64 v[106:107], 4, v[100:101]
	v_add_nc_u32_e32 v118, s3, v116
	v_add_co_u32 v100, vcc_lo, s4, v1
	v_ashrrev_i32_e32 v105, 31, v104
	v_add_co_ci_u32_e32 v101, vcc_lo, s5, v2, vcc_lo
	s_delay_alu instid0(VALU_DEP_4) | instskip(SKIP_3) | instid1(VALU_DEP_4)
	v_add_nc_u32_e32 v120, s3, v118
	v_lshlrev_b64 v[1:2], 4, v[102:103]
	v_add_co_u32 v102, vcc_lo, s4, v106
	v_lshlrev_b64 v[131:132], 4, v[104:105]
	v_add_nc_u32_e32 v122, s3, v120
	v_add_co_ci_u32_e32 v103, vcc_lo, s5, v107, vcc_lo
	v_ashrrev_i32_e32 v109, 31, v108
	v_add_co_u32 v106, vcc_lo, s4, v1
	s_delay_alu instid0(VALU_DEP_4) | instskip(SKIP_3) | instid1(VALU_DEP_4)
	v_add_nc_u32_e32 v124, s3, v122
	v_add_co_ci_u32_e32 v107, vcc_lo, s5, v2, vcc_lo
	v_ashrrev_i32_e32 v111, 31, v110
	v_ashrrev_i32_e32 v12, 31, v11
	v_add_nc_u32_e32 v126, s3, v124
	v_ashrrev_i32_e32 v117, 31, v116
	v_ashrrev_i32_e32 v119, 31, v118
	;; [unrolled: 1-line block ×4, first 2 shown]
	v_add_nc_u32_e32 v128, s3, v126
	v_lshlrev_b64 v[163:164], 4, v[116:117]
	v_ashrrev_i32_e32 v125, 31, v124
	v_ashrrev_i32_e32 v127, 31, v126
	s_clause 0x1
	global_load_b128 v[155:158], v[76:77], off
	global_load_b128 v[159:162], v[78:79], off
	v_add_nc_u32_e32 v130, s3, v128
	v_ashrrev_i32_e32 v129, 31, v128
	s_clause 0x5
	global_load_b128 v[178:181], v[80:81], off
	global_load_b128 v[182:185], v[82:83], off
	;; [unrolled: 1-line block ×6, first 2 shown]
	v_add_nc_u32_e32 v113, s3, v130
	s_clause 0x5
	global_load_b128 v[202:205], v[92:93], off
	global_load_b128 v[206:209], v[94:95], off
	;; [unrolled: 1-line block ×6, first 2 shown]
	s_movk_i32 s3, 0x60
	v_ashrrev_i32_e32 v114, 31, v113
	s_movk_i32 s49, 0x2b0
	v_add_nc_u32_e64 v177, 0, 48
	v_add_nc_u32_e64 v176, 0, 64
	;; [unrolled: 1-line block ×3, first 2 shown]
	v_lshlrev_b64 v[104:105], 4, v[113:114]
	v_lshlrev_b64 v[114:115], 4, v[108:109]
	v_ashrrev_i32_e32 v113, 31, v112
	v_add_nc_u32_e64 v174, s3, 0
	v_add_nc_u32_e64 v171, s12, 0
	;; [unrolled: 1-line block ×3, first 2 shown]
	v_add_co_u32 v104, vcc_lo, s4, v104
	v_add_co_ci_u32_e32 v105, vcc_lo, s5, v105, vcc_lo
	v_add_co_u32 v108, vcc_lo, s4, v131
	v_add_co_ci_u32_e32 v109, vcc_lo, s5, v132, vcc_lo
	v_lshlrev_b64 v[131:132], 4, v[110:111]
	v_add_co_u32 v110, vcc_lo, s4, v114
	v_add_co_ci_u32_e32 v111, vcc_lo, s5, v115, vcc_lo
	v_lshlrev_b64 v[114:115], 4, v[112:113]
	s_delay_alu instid0(VALU_DEP_4) | instskip(SKIP_2) | instid1(VALU_DEP_4)
	v_add_co_u32 v112, vcc_lo, s4, v131
	v_add_co_ci_u32_e32 v113, vcc_lo, s5, v132, vcc_lo
	v_lshlrev_b64 v[131:132], 4, v[11:12]
	v_add_co_u32 v114, vcc_lo, s4, v114
	v_add_co_ci_u32_e32 v115, vcc_lo, s5, v115, vcc_lo
	global_load_b128 v[226:229], v[104:105], off
	v_add_co_u32 v116, vcc_lo, s4, v131
	v_add_co_ci_u32_e32 v117, vcc_lo, s5, v132, vcc_lo
	v_lshlrev_b64 v[131:132], 4, v[118:119]
	v_add_co_u32 v118, vcc_lo, s4, v163
	v_add_co_ci_u32_e32 v119, vcc_lo, s5, v164, vcc_lo
	v_lshlrev_b64 v[163:164], 4, v[120:121]
	s_delay_alu instid0(VALU_DEP_4) | instskip(SKIP_2) | instid1(VALU_DEP_4)
	v_add_co_u32 v120, vcc_lo, s4, v131
	v_add_co_ci_u32_e32 v121, vcc_lo, s5, v132, vcc_lo
	v_lshlrev_b64 v[131:132], 4, v[122:123]
	v_add_co_u32 v122, vcc_lo, s4, v163
	v_add_co_ci_u32_e32 v123, vcc_lo, s5, v164, vcc_lo
	v_lshlrev_b64 v[163:164], 4, v[124:125]
	s_delay_alu instid0(VALU_DEP_4)
	v_add_co_u32 v124, vcc_lo, s4, v131
	v_add_co_ci_u32_e32 v125, vcc_lo, s5, v132, vcc_lo
	v_lshlrev_b64 v[132:133], 4, v[126:127]
	s_waitcnt vmcnt(29)
	scratch_store_b128 off, v[3:6], off
	s_waitcnt vmcnt(28)
	scratch_store_b128 off, v[7:10], off offset:16
	s_clause 0x1
	global_load_b128 v[1:4], v[106:107], off
	global_load_b128 v[5:8], v[108:109], off
	s_waitcnt vmcnt(29)
	scratch_store_b128 off, v[14:17], off offset:32
	s_waitcnt vmcnt(28)
	scratch_store_b128 off, v[18:21], off offset:48
	s_clause 0x1
	global_load_b128 v[9:12], v[110:111], off
	global_load_b128 v[14:17], v[112:113], off
	s_waitcnt vmcnt(29)
	scratch_store_b128 off, v[22:25], off offset:64
	s_waitcnt vmcnt(28)
	scratch_store_b128 off, v[26:29], off offset:80
	v_add_co_u32 v126, vcc_lo, s4, v163
	v_ashrrev_i32_e32 v131, 31, v130
	s_clause 0x1
	global_load_b128 v[18:21], v[114:115], off
	global_load_b128 v[22:25], v[116:117], off
	s_waitcnt vmcnt(29)
	scratch_store_b128 off, v[30:33], off offset:96
	s_waitcnt vmcnt(28)
	scratch_store_b128 off, v[34:37], off offset:112
	s_clause 0x1
	global_load_b128 v[26:29], v[118:119], off
	global_load_b128 v[30:33], v[120:121], off
	s_waitcnt vmcnt(29)
	scratch_store_b128 off, v[38:41], off offset:128
	s_waitcnt vmcnt(28)
	scratch_store_b128 off, v[42:45], off offset:144
	v_add_co_ci_u32_e32 v127, vcc_lo, s5, v164, vcc_lo
	v_lshlrev_b64 v[42:43], 4, v[128:129]
	v_add_co_u32 v128, vcc_lo, s4, v132
	v_add_co_ci_u32_e32 v129, vcc_lo, s5, v133, vcc_lo
	v_lshlrev_b64 v[132:133], 4, v[130:131]
	s_delay_alu instid0(VALU_DEP_4)
	v_add_co_u32 v130, vcc_lo, s4, v42
	v_add_co_ci_u32_e32 v131, vcc_lo, s5, v43, vcc_lo
	s_clause 0x1
	global_load_b128 v[34:37], v[122:123], off
	global_load_b128 v[38:41], v[124:125], off
	v_add_co_u32 v132, vcc_lo, s4, v132
	v_add_co_ci_u32_e32 v133, vcc_lo, s5, v133, vcc_lo
	s_waitcnt vmcnt(29)
	scratch_store_b128 off, v[135:138], off offset:160
	s_waitcnt vmcnt(28)
	scratch_store_b128 off, v[139:142], off offset:176
	s_clause 0x3
	global_load_b128 v[42:45], v[126:127], off
	global_load_b128 v[230:233], v[128:129], off
	;; [unrolled: 1-line block ×4, first 2 shown]
	s_movk_i32 s4, 0x70
	s_movk_i32 s5, 0x80
	s_waitcnt vmcnt(31)
	scratch_store_b128 off, v[143:146], off offset:192
	v_add_nc_u32_e64 v136, 0, 16
	v_add_nc_u32_e64 v135, 0, 32
	;; [unrolled: 1-line block ×15, first 2 shown]
	s_waitcnt vmcnt(30)
	scratch_store_b128 off, v[147:150], off offset:208
	v_add_nc_u32_e64 v150, s31, 0
	v_add_nc_u32_e64 v149, s33, 0
	;; [unrolled: 1-line block ×10, first 2 shown]
	s_mov_b32 s3, -1
	s_bitcmp0_b32 s15, 0
	s_waitcnt vmcnt(29)
	scratch_store_b128 off, v[151:154], off offset:224
	v_add_nc_u32_e64 v154, s29, 0
	v_add_nc_u32_e64 v152, s30, 0
	v_add_nc_u32_e64 v153, s45, 0
	v_add_nc_u32_e64 v151, s46, 0
	s_waitcnt vmcnt(28)
	scratch_store_b128 off, v[155:158], off offset:240
	s_waitcnt vmcnt(27)
	scratch_store_b128 off, v[159:162], off offset:256
	v_add_nc_u32_e64 v162, s23, 0
	s_waitcnt vmcnt(26)
	scratch_store_b128 off, v[178:181], off offset:272
	v_add_nc_u32_e64 v161, s24, 0
	v_add_nc_u32_e64 v160, s25, 0
	;; [unrolled: 1-line block ×7, first 2 shown]
	s_waitcnt vmcnt(25)
	scratch_store_b128 off, v[182:185], off offset:288
	s_waitcnt vmcnt(24)
	scratch_store_b128 off, v[186:189], off offset:304
	;; [unrolled: 2-line block ×24, first 2 shown]
	s_waitcnt vmcnt(0)
	s_clause 0x1
	scratch_store_b128 off, v[238:241], off offset:672
	scratch_store_b128 off, v[226:229], off offset:688
	s_cbranch_scc1 .LBB107_188
; %bb.4:
	v_cmp_eq_u32_e64 s2, 0, v134
	s_delay_alu instid0(VALU_DEP_1)
	s_and_saveexec_b32 s3, s2
	s_cbranch_execz .LBB107_6
; %bb.5:
	v_mov_b32_e32 v1, 0
	ds_store_b32 v1, v1 offset:1408
.LBB107_6:
	s_or_b32 exec_lo, exec_lo, s3
	s_waitcnt lgkmcnt(0)
	s_waitcnt_vscnt null, 0x0
	s_barrier
	buffer_gl0_inv
	scratch_load_b128 v[1:4], v13, off
	s_waitcnt vmcnt(0)
	v_cmp_eq_f64_e32 vcc_lo, 0, v[1:2]
	v_cmp_eq_f64_e64 s3, 0, v[3:4]
	s_delay_alu instid0(VALU_DEP_1) | instskip(NEXT) | instid1(SALU_CYCLE_1)
	s_and_b32 s3, vcc_lo, s3
	s_and_saveexec_b32 s4, s3
	s_cbranch_execz .LBB107_10
; %bb.7:
	v_mov_b32_e32 v1, 0
	s_mov_b32 s5, 0
	ds_load_b32 v2, v1 offset:1408
	s_waitcnt lgkmcnt(0)
	v_readfirstlane_b32 s3, v2
	v_add_nc_u32_e32 v2, 1, v134
	s_delay_alu instid0(VALU_DEP_2) | instskip(NEXT) | instid1(VALU_DEP_1)
	s_cmp_eq_u32 s3, 0
	v_cmp_gt_i32_e32 vcc_lo, s3, v2
	s_cselect_b32 s12, -1, 0
	s_delay_alu instid0(SALU_CYCLE_1) | instskip(NEXT) | instid1(SALU_CYCLE_1)
	s_or_b32 s12, s12, vcc_lo
	s_and_b32 exec_lo, exec_lo, s12
	s_cbranch_execz .LBB107_10
; %bb.8:
	v_mov_b32_e32 v3, s3
.LBB107_9:                              ; =>This Inner Loop Header: Depth=1
	ds_cmpstore_rtn_b32 v3, v1, v2, v3 offset:1408
	s_waitcnt lgkmcnt(0)
	v_cmp_ne_u32_e32 vcc_lo, 0, v3
	v_cmp_le_i32_e64 s3, v3, v2
	s_delay_alu instid0(VALU_DEP_1) | instskip(NEXT) | instid1(SALU_CYCLE_1)
	s_and_b32 s3, vcc_lo, s3
	s_and_b32 s3, exec_lo, s3
	s_delay_alu instid0(SALU_CYCLE_1) | instskip(NEXT) | instid1(SALU_CYCLE_1)
	s_or_b32 s5, s3, s5
	s_and_not1_b32 exec_lo, exec_lo, s5
	s_cbranch_execnz .LBB107_9
.LBB107_10:
	s_or_b32 exec_lo, exec_lo, s4
	v_mov_b32_e32 v1, 0
	s_barrier
	buffer_gl0_inv
	ds_load_b32 v2, v1 offset:1408
	s_and_saveexec_b32 s3, s2
	s_cbranch_execz .LBB107_12
; %bb.11:
	s_lshl_b64 s[4:5], s[10:11], 2
	s_delay_alu instid0(SALU_CYCLE_1)
	s_add_u32 s4, s6, s4
	s_addc_u32 s5, s7, s5
	s_waitcnt lgkmcnt(0)
	global_store_b32 v1, v2, s[4:5]
.LBB107_12:
	s_or_b32 exec_lo, exec_lo, s3
	s_waitcnt lgkmcnt(0)
	v_cmp_ne_u32_e32 vcc_lo, 0, v2
	s_mov_b32 s3, 0
	s_cbranch_vccnz .LBB107_188
; %bb.13:
	v_add_nc_u32_e32 v14, 0, v13
                                        ; implicit-def: $vgpr9_vgpr10
	scratch_load_b128 v[1:4], v14, off
	s_waitcnt vmcnt(0)
	v_mov_b32_e32 v5, v1
	v_cmp_gt_f64_e32 vcc_lo, 0, v[1:2]
	v_xor_b32_e32 v6, 0x80000000, v2
	v_xor_b32_e32 v7, 0x80000000, v4
	s_delay_alu instid0(VALU_DEP_2) | instskip(SKIP_1) | instid1(VALU_DEP_3)
	v_cndmask_b32_e32 v6, v2, v6, vcc_lo
	v_cmp_gt_f64_e32 vcc_lo, 0, v[3:4]
	v_dual_cndmask_b32 v8, v4, v7 :: v_dual_mov_b32 v7, v3
	s_delay_alu instid0(VALU_DEP_1) | instskip(SKIP_1) | instid1(SALU_CYCLE_1)
	v_cmp_ngt_f64_e32 vcc_lo, v[5:6], v[7:8]
                                        ; implicit-def: $vgpr5_vgpr6
	s_and_saveexec_b32 s3, vcc_lo
	s_xor_b32 s3, exec_lo, s3
	s_cbranch_execz .LBB107_15
; %bb.14:
	v_div_scale_f64 v[5:6], null, v[3:4], v[3:4], v[1:2]
	v_div_scale_f64 v[11:12], vcc_lo, v[1:2], v[3:4], v[1:2]
	s_delay_alu instid0(VALU_DEP_2) | instskip(SKIP_2) | instid1(VALU_DEP_1)
	v_rcp_f64_e32 v[7:8], v[5:6]
	s_waitcnt_depctr 0xfff
	v_fma_f64 v[9:10], -v[5:6], v[7:8], 1.0
	v_fma_f64 v[7:8], v[7:8], v[9:10], v[7:8]
	s_delay_alu instid0(VALU_DEP_1) | instskip(NEXT) | instid1(VALU_DEP_1)
	v_fma_f64 v[9:10], -v[5:6], v[7:8], 1.0
	v_fma_f64 v[7:8], v[7:8], v[9:10], v[7:8]
	s_delay_alu instid0(VALU_DEP_1) | instskip(NEXT) | instid1(VALU_DEP_1)
	v_mul_f64 v[9:10], v[11:12], v[7:8]
	v_fma_f64 v[5:6], -v[5:6], v[9:10], v[11:12]
	s_delay_alu instid0(VALU_DEP_1) | instskip(NEXT) | instid1(VALU_DEP_1)
	v_div_fmas_f64 v[5:6], v[5:6], v[7:8], v[9:10]
	v_div_fixup_f64 v[5:6], v[5:6], v[3:4], v[1:2]
	s_delay_alu instid0(VALU_DEP_1) | instskip(NEXT) | instid1(VALU_DEP_1)
	v_fma_f64 v[1:2], v[1:2], v[5:6], v[3:4]
	v_div_scale_f64 v[3:4], null, v[1:2], v[1:2], 1.0
	v_div_scale_f64 v[11:12], vcc_lo, 1.0, v[1:2], 1.0
	s_delay_alu instid0(VALU_DEP_2) | instskip(SKIP_2) | instid1(VALU_DEP_1)
	v_rcp_f64_e32 v[7:8], v[3:4]
	s_waitcnt_depctr 0xfff
	v_fma_f64 v[9:10], -v[3:4], v[7:8], 1.0
	v_fma_f64 v[7:8], v[7:8], v[9:10], v[7:8]
	s_delay_alu instid0(VALU_DEP_1) | instskip(NEXT) | instid1(VALU_DEP_1)
	v_fma_f64 v[9:10], -v[3:4], v[7:8], 1.0
	v_fma_f64 v[7:8], v[7:8], v[9:10], v[7:8]
	s_delay_alu instid0(VALU_DEP_1) | instskip(NEXT) | instid1(VALU_DEP_1)
	v_mul_f64 v[9:10], v[11:12], v[7:8]
	v_fma_f64 v[3:4], -v[3:4], v[9:10], v[11:12]
	s_delay_alu instid0(VALU_DEP_1) | instskip(NEXT) | instid1(VALU_DEP_1)
	v_div_fmas_f64 v[3:4], v[3:4], v[7:8], v[9:10]
	v_div_fixup_f64 v[7:8], v[3:4], v[1:2], 1.0
                                        ; implicit-def: $vgpr1_vgpr2
	s_delay_alu instid0(VALU_DEP_1) | instskip(SKIP_1) | instid1(VALU_DEP_2)
	v_mul_f64 v[5:6], v[5:6], v[7:8]
	v_xor_b32_e32 v8, 0x80000000, v8
	v_xor_b32_e32 v10, 0x80000000, v6
	s_delay_alu instid0(VALU_DEP_3)
	v_mov_b32_e32 v9, v5
.LBB107_15:
	s_and_not1_saveexec_b32 s3, s3
	s_cbranch_execz .LBB107_17
; %bb.16:
	v_div_scale_f64 v[5:6], null, v[1:2], v[1:2], v[3:4]
	v_div_scale_f64 v[11:12], vcc_lo, v[3:4], v[1:2], v[3:4]
	s_delay_alu instid0(VALU_DEP_2) | instskip(SKIP_2) | instid1(VALU_DEP_1)
	v_rcp_f64_e32 v[7:8], v[5:6]
	s_waitcnt_depctr 0xfff
	v_fma_f64 v[9:10], -v[5:6], v[7:8], 1.0
	v_fma_f64 v[7:8], v[7:8], v[9:10], v[7:8]
	s_delay_alu instid0(VALU_DEP_1) | instskip(NEXT) | instid1(VALU_DEP_1)
	v_fma_f64 v[9:10], -v[5:6], v[7:8], 1.0
	v_fma_f64 v[7:8], v[7:8], v[9:10], v[7:8]
	s_delay_alu instid0(VALU_DEP_1) | instskip(NEXT) | instid1(VALU_DEP_1)
	v_mul_f64 v[9:10], v[11:12], v[7:8]
	v_fma_f64 v[5:6], -v[5:6], v[9:10], v[11:12]
	s_delay_alu instid0(VALU_DEP_1) | instskip(NEXT) | instid1(VALU_DEP_1)
	v_div_fmas_f64 v[5:6], v[5:6], v[7:8], v[9:10]
	v_div_fixup_f64 v[7:8], v[5:6], v[1:2], v[3:4]
	s_delay_alu instid0(VALU_DEP_1) | instskip(NEXT) | instid1(VALU_DEP_1)
	v_fma_f64 v[1:2], v[3:4], v[7:8], v[1:2]
	v_div_scale_f64 v[3:4], null, v[1:2], v[1:2], 1.0
	s_delay_alu instid0(VALU_DEP_1) | instskip(SKIP_2) | instid1(VALU_DEP_1)
	v_rcp_f64_e32 v[5:6], v[3:4]
	s_waitcnt_depctr 0xfff
	v_fma_f64 v[9:10], -v[3:4], v[5:6], 1.0
	v_fma_f64 v[5:6], v[5:6], v[9:10], v[5:6]
	s_delay_alu instid0(VALU_DEP_1) | instskip(NEXT) | instid1(VALU_DEP_1)
	v_fma_f64 v[9:10], -v[3:4], v[5:6], 1.0
	v_fma_f64 v[5:6], v[5:6], v[9:10], v[5:6]
	v_div_scale_f64 v[9:10], vcc_lo, 1.0, v[1:2], 1.0
	s_delay_alu instid0(VALU_DEP_1) | instskip(NEXT) | instid1(VALU_DEP_1)
	v_mul_f64 v[11:12], v[9:10], v[5:6]
	v_fma_f64 v[3:4], -v[3:4], v[11:12], v[9:10]
	s_delay_alu instid0(VALU_DEP_1) | instskip(NEXT) | instid1(VALU_DEP_1)
	v_div_fmas_f64 v[3:4], v[3:4], v[5:6], v[11:12]
	v_div_fixup_f64 v[5:6], v[3:4], v[1:2], 1.0
	s_delay_alu instid0(VALU_DEP_1)
	v_mul_f64 v[7:8], v[7:8], -v[5:6]
	v_xor_b32_e32 v10, 0x80000000, v6
	v_mov_b32_e32 v9, v5
.LBB107_17:
	s_or_b32 exec_lo, exec_lo, s3
	scratch_store_b128 v14, v[5:8], off
	scratch_load_b128 v[1:4], v136, off
	v_xor_b32_e32 v12, 0x80000000, v8
	v_mov_b32_e32 v11, v7
	v_add_nc_u32_e32 v5, 0x2c0, v13
	ds_store_b128 v13, v[9:12]
	s_waitcnt vmcnt(0)
	ds_store_b128 v13, v[1:4] offset:704
	s_waitcnt lgkmcnt(0)
	s_waitcnt_vscnt null, 0x0
	s_barrier
	buffer_gl0_inv
	s_and_saveexec_b32 s3, s2
	s_cbranch_execz .LBB107_19
; %bb.18:
	scratch_load_b128 v[1:4], v14, off
	ds_load_b128 v[6:9], v5
	v_mov_b32_e32 v10, 0
	ds_load_b128 v[15:18], v10 offset:16
	s_waitcnt vmcnt(0) lgkmcnt(1)
	v_mul_f64 v[10:11], v[6:7], v[3:4]
	v_mul_f64 v[3:4], v[8:9], v[3:4]
	s_delay_alu instid0(VALU_DEP_2) | instskip(NEXT) | instid1(VALU_DEP_2)
	v_fma_f64 v[8:9], v[8:9], v[1:2], v[10:11]
	v_fma_f64 v[1:2], v[6:7], v[1:2], -v[3:4]
	s_delay_alu instid0(VALU_DEP_2) | instskip(NEXT) | instid1(VALU_DEP_2)
	v_add_f64 v[3:4], v[8:9], 0
	v_add_f64 v[1:2], v[1:2], 0
	s_waitcnt lgkmcnt(0)
	s_delay_alu instid0(VALU_DEP_2) | instskip(NEXT) | instid1(VALU_DEP_2)
	v_mul_f64 v[6:7], v[3:4], v[17:18]
	v_mul_f64 v[8:9], v[1:2], v[17:18]
	s_delay_alu instid0(VALU_DEP_2) | instskip(NEXT) | instid1(VALU_DEP_2)
	v_fma_f64 v[1:2], v[1:2], v[15:16], -v[6:7]
	v_fma_f64 v[3:4], v[3:4], v[15:16], v[8:9]
	scratch_store_b128 off, v[1:4], off offset:16
.LBB107_19:
	s_or_b32 exec_lo, exec_lo, s3
	s_waitcnt_vscnt null, 0x0
	s_barrier
	buffer_gl0_inv
	scratch_load_b128 v[1:4], v135, off
	s_mov_b32 s3, exec_lo
	s_waitcnt vmcnt(0)
	ds_store_b128 v5, v[1:4]
	s_waitcnt lgkmcnt(0)
	s_barrier
	buffer_gl0_inv
	v_cmpx_gt_u32_e32 2, v134
	s_cbranch_execz .LBB107_23
; %bb.20:
	scratch_load_b128 v[1:4], v14, off
	ds_load_b128 v[6:9], v5
	s_waitcnt vmcnt(0) lgkmcnt(0)
	v_mul_f64 v[10:11], v[8:9], v[3:4]
	v_mul_f64 v[3:4], v[6:7], v[3:4]
	s_delay_alu instid0(VALU_DEP_2) | instskip(NEXT) | instid1(VALU_DEP_2)
	v_fma_f64 v[6:7], v[6:7], v[1:2], -v[10:11]
	v_fma_f64 v[3:4], v[8:9], v[1:2], v[3:4]
	s_delay_alu instid0(VALU_DEP_2) | instskip(NEXT) | instid1(VALU_DEP_2)
	v_add_f64 v[1:2], v[6:7], 0
	v_add_f64 v[3:4], v[3:4], 0
	s_and_saveexec_b32 s4, s2
	s_cbranch_execz .LBB107_22
; %bb.21:
	scratch_load_b128 v[6:9], off, off offset:16
	v_mov_b32_e32 v10, 0
	ds_load_b128 v[15:18], v10 offset:720
	s_waitcnt vmcnt(0) lgkmcnt(0)
	v_mul_f64 v[10:11], v[15:16], v[8:9]
	v_mul_f64 v[8:9], v[17:18], v[8:9]
	s_delay_alu instid0(VALU_DEP_2) | instskip(NEXT) | instid1(VALU_DEP_2)
	v_fma_f64 v[10:11], v[17:18], v[6:7], v[10:11]
	v_fma_f64 v[6:7], v[15:16], v[6:7], -v[8:9]
	s_delay_alu instid0(VALU_DEP_2) | instskip(NEXT) | instid1(VALU_DEP_2)
	v_add_f64 v[3:4], v[3:4], v[10:11]
	v_add_f64 v[1:2], v[1:2], v[6:7]
.LBB107_22:
	s_or_b32 exec_lo, exec_lo, s4
	v_mov_b32_e32 v6, 0
	ds_load_b128 v[6:9], v6 offset:32
	s_waitcnt lgkmcnt(0)
	v_mul_f64 v[10:11], v[3:4], v[8:9]
	v_mul_f64 v[8:9], v[1:2], v[8:9]
	s_delay_alu instid0(VALU_DEP_2) | instskip(NEXT) | instid1(VALU_DEP_2)
	v_fma_f64 v[1:2], v[1:2], v[6:7], -v[10:11]
	v_fma_f64 v[3:4], v[3:4], v[6:7], v[8:9]
	scratch_store_b128 off, v[1:4], off offset:32
.LBB107_23:
	s_or_b32 exec_lo, exec_lo, s3
	s_waitcnt_vscnt null, 0x0
	s_barrier
	buffer_gl0_inv
	scratch_load_b128 v[1:4], v177, off
	v_add_nc_u32_e32 v6, -1, v134
	s_mov_b32 s2, exec_lo
	s_waitcnt vmcnt(0)
	ds_store_b128 v5, v[1:4]
	s_waitcnt lgkmcnt(0)
	s_barrier
	buffer_gl0_inv
	v_cmpx_gt_u32_e32 3, v134
	s_cbranch_execz .LBB107_27
; %bb.24:
	v_dual_mov_b32 v1, 0 :: v_dual_add_nc_u32 v8, 0x2c0, v13
	v_dual_mov_b32 v2, 0 :: v_dual_add_nc_u32 v7, -1, v134
	v_or_b32_e32 v9, 8, v14
	s_mov_b32 s3, 0
	s_delay_alu instid0(VALU_DEP_2)
	v_dual_mov_b32 v4, v2 :: v_dual_mov_b32 v3, v1
	.p2align	6
.LBB107_25:                             ; =>This Inner Loop Header: Depth=1
	scratch_load_b128 v[15:18], v9, off offset:-8
	ds_load_b128 v[19:22], v8
	v_add_nc_u32_e32 v7, 1, v7
	v_add_nc_u32_e32 v8, 16, v8
	v_add_nc_u32_e32 v9, 16, v9
	s_delay_alu instid0(VALU_DEP_3) | instskip(SKIP_4) | instid1(VALU_DEP_2)
	v_cmp_lt_u32_e32 vcc_lo, 1, v7
	s_or_b32 s3, vcc_lo, s3
	s_waitcnt vmcnt(0) lgkmcnt(0)
	v_mul_f64 v[10:11], v[21:22], v[17:18]
	v_mul_f64 v[17:18], v[19:20], v[17:18]
	v_fma_f64 v[10:11], v[19:20], v[15:16], -v[10:11]
	s_delay_alu instid0(VALU_DEP_2) | instskip(NEXT) | instid1(VALU_DEP_2)
	v_fma_f64 v[15:16], v[21:22], v[15:16], v[17:18]
	v_add_f64 v[3:4], v[3:4], v[10:11]
	s_delay_alu instid0(VALU_DEP_2)
	v_add_f64 v[1:2], v[1:2], v[15:16]
	s_and_not1_b32 exec_lo, exec_lo, s3
	s_cbranch_execnz .LBB107_25
; %bb.26:
	s_or_b32 exec_lo, exec_lo, s3
	v_mov_b32_e32 v7, 0
	ds_load_b128 v[7:10], v7 offset:48
	s_waitcnt lgkmcnt(0)
	v_mul_f64 v[11:12], v[1:2], v[9:10]
	v_mul_f64 v[15:16], v[3:4], v[9:10]
	s_delay_alu instid0(VALU_DEP_2) | instskip(NEXT) | instid1(VALU_DEP_2)
	v_fma_f64 v[9:10], v[3:4], v[7:8], -v[11:12]
	v_fma_f64 v[11:12], v[1:2], v[7:8], v[15:16]
	scratch_store_b128 off, v[9:12], off offset:48
.LBB107_27:
	s_or_b32 exec_lo, exec_lo, s2
	s_waitcnt_vscnt null, 0x0
	s_barrier
	buffer_gl0_inv
	scratch_load_b128 v[1:4], v176, off
	s_mov_b32 s2, exec_lo
	s_waitcnt vmcnt(0)
	ds_store_b128 v5, v[1:4]
	s_waitcnt lgkmcnt(0)
	s_barrier
	buffer_gl0_inv
	v_cmpx_gt_u32_e32 4, v134
	s_cbranch_execz .LBB107_31
; %bb.28:
	v_dual_mov_b32 v1, 0 :: v_dual_add_nc_u32 v8, 0x2c0, v13
	v_dual_mov_b32 v2, 0 :: v_dual_add_nc_u32 v7, -1, v134
	v_or_b32_e32 v9, 8, v14
	s_mov_b32 s3, 0
	s_delay_alu instid0(VALU_DEP_2)
	v_dual_mov_b32 v4, v2 :: v_dual_mov_b32 v3, v1
	.p2align	6
.LBB107_29:                             ; =>This Inner Loop Header: Depth=1
	scratch_load_b128 v[15:18], v9, off offset:-8
	ds_load_b128 v[19:22], v8
	v_add_nc_u32_e32 v7, 1, v7
	v_add_nc_u32_e32 v8, 16, v8
	;; [unrolled: 1-line block ×3, first 2 shown]
	s_delay_alu instid0(VALU_DEP_3) | instskip(SKIP_4) | instid1(VALU_DEP_2)
	v_cmp_lt_u32_e32 vcc_lo, 2, v7
	s_or_b32 s3, vcc_lo, s3
	s_waitcnt vmcnt(0) lgkmcnt(0)
	v_mul_f64 v[10:11], v[21:22], v[17:18]
	v_mul_f64 v[17:18], v[19:20], v[17:18]
	v_fma_f64 v[10:11], v[19:20], v[15:16], -v[10:11]
	s_delay_alu instid0(VALU_DEP_2) | instskip(NEXT) | instid1(VALU_DEP_2)
	v_fma_f64 v[15:16], v[21:22], v[15:16], v[17:18]
	v_add_f64 v[3:4], v[3:4], v[10:11]
	s_delay_alu instid0(VALU_DEP_2)
	v_add_f64 v[1:2], v[1:2], v[15:16]
	s_and_not1_b32 exec_lo, exec_lo, s3
	s_cbranch_execnz .LBB107_29
; %bb.30:
	s_or_b32 exec_lo, exec_lo, s3
	v_mov_b32_e32 v7, 0
	ds_load_b128 v[7:10], v7 offset:64
	s_waitcnt lgkmcnt(0)
	v_mul_f64 v[11:12], v[1:2], v[9:10]
	v_mul_f64 v[15:16], v[3:4], v[9:10]
	s_delay_alu instid0(VALU_DEP_2) | instskip(NEXT) | instid1(VALU_DEP_2)
	v_fma_f64 v[9:10], v[3:4], v[7:8], -v[11:12]
	v_fma_f64 v[11:12], v[1:2], v[7:8], v[15:16]
	scratch_store_b128 off, v[9:12], off offset:64
.LBB107_31:
	s_or_b32 exec_lo, exec_lo, s2
	s_waitcnt_vscnt null, 0x0
	s_barrier
	buffer_gl0_inv
	scratch_load_b128 v[1:4], v175, off
	s_mov_b32 s2, exec_lo
	s_waitcnt vmcnt(0)
	ds_store_b128 v5, v[1:4]
	s_waitcnt lgkmcnt(0)
	s_barrier
	buffer_gl0_inv
	v_cmpx_gt_u32_e32 5, v134
	s_cbranch_execz .LBB107_35
; %bb.32:
	v_dual_mov_b32 v1, 0 :: v_dual_add_nc_u32 v8, 0x2c0, v13
	v_dual_mov_b32 v2, 0 :: v_dual_add_nc_u32 v7, -1, v134
	v_or_b32_e32 v9, 8, v14
	s_mov_b32 s3, 0
	s_delay_alu instid0(VALU_DEP_2)
	v_dual_mov_b32 v4, v2 :: v_dual_mov_b32 v3, v1
	.p2align	6
.LBB107_33:                             ; =>This Inner Loop Header: Depth=1
	scratch_load_b128 v[15:18], v9, off offset:-8
	ds_load_b128 v[19:22], v8
	v_add_nc_u32_e32 v7, 1, v7
	v_add_nc_u32_e32 v8, 16, v8
	;; [unrolled: 1-line block ×3, first 2 shown]
	s_delay_alu instid0(VALU_DEP_3) | instskip(SKIP_4) | instid1(VALU_DEP_2)
	v_cmp_lt_u32_e32 vcc_lo, 3, v7
	s_or_b32 s3, vcc_lo, s3
	s_waitcnt vmcnt(0) lgkmcnt(0)
	v_mul_f64 v[10:11], v[21:22], v[17:18]
	v_mul_f64 v[17:18], v[19:20], v[17:18]
	v_fma_f64 v[10:11], v[19:20], v[15:16], -v[10:11]
	s_delay_alu instid0(VALU_DEP_2) | instskip(NEXT) | instid1(VALU_DEP_2)
	v_fma_f64 v[15:16], v[21:22], v[15:16], v[17:18]
	v_add_f64 v[3:4], v[3:4], v[10:11]
	s_delay_alu instid0(VALU_DEP_2)
	v_add_f64 v[1:2], v[1:2], v[15:16]
	s_and_not1_b32 exec_lo, exec_lo, s3
	s_cbranch_execnz .LBB107_33
; %bb.34:
	s_or_b32 exec_lo, exec_lo, s3
	v_mov_b32_e32 v7, 0
	ds_load_b128 v[7:10], v7 offset:80
	s_waitcnt lgkmcnt(0)
	v_mul_f64 v[11:12], v[1:2], v[9:10]
	v_mul_f64 v[15:16], v[3:4], v[9:10]
	s_delay_alu instid0(VALU_DEP_2) | instskip(NEXT) | instid1(VALU_DEP_2)
	v_fma_f64 v[9:10], v[3:4], v[7:8], -v[11:12]
	v_fma_f64 v[11:12], v[1:2], v[7:8], v[15:16]
	scratch_store_b128 off, v[9:12], off offset:80
.LBB107_35:
	s_or_b32 exec_lo, exec_lo, s2
	s_waitcnt_vscnt null, 0x0
	s_barrier
	buffer_gl0_inv
	scratch_load_b128 v[1:4], v174, off
	s_mov_b32 s2, exec_lo
	s_waitcnt vmcnt(0)
	ds_store_b128 v5, v[1:4]
	s_waitcnt lgkmcnt(0)
	s_barrier
	buffer_gl0_inv
	v_cmpx_gt_u32_e32 6, v134
	s_cbranch_execz .LBB107_39
; %bb.36:
	v_dual_mov_b32 v1, 0 :: v_dual_add_nc_u32 v8, 0x2c0, v13
	v_dual_mov_b32 v2, 0 :: v_dual_add_nc_u32 v7, -1, v134
	v_or_b32_e32 v9, 8, v14
	s_mov_b32 s3, 0
	s_delay_alu instid0(VALU_DEP_2)
	v_dual_mov_b32 v4, v2 :: v_dual_mov_b32 v3, v1
	.p2align	6
.LBB107_37:                             ; =>This Inner Loop Header: Depth=1
	scratch_load_b128 v[15:18], v9, off offset:-8
	ds_load_b128 v[19:22], v8
	v_add_nc_u32_e32 v7, 1, v7
	v_add_nc_u32_e32 v8, 16, v8
	;; [unrolled: 1-line block ×3, first 2 shown]
	s_delay_alu instid0(VALU_DEP_3) | instskip(SKIP_4) | instid1(VALU_DEP_2)
	v_cmp_lt_u32_e32 vcc_lo, 4, v7
	s_or_b32 s3, vcc_lo, s3
	s_waitcnt vmcnt(0) lgkmcnt(0)
	v_mul_f64 v[10:11], v[21:22], v[17:18]
	v_mul_f64 v[17:18], v[19:20], v[17:18]
	v_fma_f64 v[10:11], v[19:20], v[15:16], -v[10:11]
	s_delay_alu instid0(VALU_DEP_2) | instskip(NEXT) | instid1(VALU_DEP_2)
	v_fma_f64 v[15:16], v[21:22], v[15:16], v[17:18]
	v_add_f64 v[3:4], v[3:4], v[10:11]
	s_delay_alu instid0(VALU_DEP_2)
	v_add_f64 v[1:2], v[1:2], v[15:16]
	s_and_not1_b32 exec_lo, exec_lo, s3
	s_cbranch_execnz .LBB107_37
; %bb.38:
	s_or_b32 exec_lo, exec_lo, s3
	v_mov_b32_e32 v7, 0
	ds_load_b128 v[7:10], v7 offset:96
	s_waitcnt lgkmcnt(0)
	v_mul_f64 v[11:12], v[1:2], v[9:10]
	v_mul_f64 v[15:16], v[3:4], v[9:10]
	s_delay_alu instid0(VALU_DEP_2) | instskip(NEXT) | instid1(VALU_DEP_2)
	v_fma_f64 v[9:10], v[3:4], v[7:8], -v[11:12]
	v_fma_f64 v[11:12], v[1:2], v[7:8], v[15:16]
	scratch_store_b128 off, v[9:12], off offset:96
.LBB107_39:
	s_or_b32 exec_lo, exec_lo, s2
	s_waitcnt_vscnt null, 0x0
	s_barrier
	buffer_gl0_inv
	scratch_load_b128 v[1:4], v173, off
	s_mov_b32 s2, exec_lo
	s_waitcnt vmcnt(0)
	ds_store_b128 v5, v[1:4]
	s_waitcnt lgkmcnt(0)
	s_barrier
	buffer_gl0_inv
	v_cmpx_gt_u32_e32 7, v134
	s_cbranch_execz .LBB107_43
; %bb.40:
	v_dual_mov_b32 v1, 0 :: v_dual_add_nc_u32 v8, 0x2c0, v13
	v_dual_mov_b32 v2, 0 :: v_dual_add_nc_u32 v7, -1, v134
	v_or_b32_e32 v9, 8, v14
	s_mov_b32 s3, 0
	s_delay_alu instid0(VALU_DEP_2)
	v_dual_mov_b32 v4, v2 :: v_dual_mov_b32 v3, v1
	.p2align	6
.LBB107_41:                             ; =>This Inner Loop Header: Depth=1
	scratch_load_b128 v[15:18], v9, off offset:-8
	ds_load_b128 v[19:22], v8
	v_add_nc_u32_e32 v7, 1, v7
	v_add_nc_u32_e32 v8, 16, v8
	;; [unrolled: 1-line block ×3, first 2 shown]
	s_delay_alu instid0(VALU_DEP_3) | instskip(SKIP_4) | instid1(VALU_DEP_2)
	v_cmp_lt_u32_e32 vcc_lo, 5, v7
	s_or_b32 s3, vcc_lo, s3
	s_waitcnt vmcnt(0) lgkmcnt(0)
	v_mul_f64 v[10:11], v[21:22], v[17:18]
	v_mul_f64 v[17:18], v[19:20], v[17:18]
	v_fma_f64 v[10:11], v[19:20], v[15:16], -v[10:11]
	s_delay_alu instid0(VALU_DEP_2) | instskip(NEXT) | instid1(VALU_DEP_2)
	v_fma_f64 v[15:16], v[21:22], v[15:16], v[17:18]
	v_add_f64 v[3:4], v[3:4], v[10:11]
	s_delay_alu instid0(VALU_DEP_2)
	v_add_f64 v[1:2], v[1:2], v[15:16]
	s_and_not1_b32 exec_lo, exec_lo, s3
	s_cbranch_execnz .LBB107_41
; %bb.42:
	s_or_b32 exec_lo, exec_lo, s3
	v_mov_b32_e32 v7, 0
	ds_load_b128 v[7:10], v7 offset:112
	s_waitcnt lgkmcnt(0)
	v_mul_f64 v[11:12], v[1:2], v[9:10]
	v_mul_f64 v[15:16], v[3:4], v[9:10]
	s_delay_alu instid0(VALU_DEP_2) | instskip(NEXT) | instid1(VALU_DEP_2)
	v_fma_f64 v[9:10], v[3:4], v[7:8], -v[11:12]
	v_fma_f64 v[11:12], v[1:2], v[7:8], v[15:16]
	scratch_store_b128 off, v[9:12], off offset:112
.LBB107_43:
	s_or_b32 exec_lo, exec_lo, s2
	s_waitcnt_vscnt null, 0x0
	s_barrier
	buffer_gl0_inv
	scratch_load_b128 v[1:4], v172, off
	s_mov_b32 s2, exec_lo
	s_waitcnt vmcnt(0)
	ds_store_b128 v5, v[1:4]
	s_waitcnt lgkmcnt(0)
	s_barrier
	buffer_gl0_inv
	v_cmpx_gt_u32_e32 8, v134
	s_cbranch_execz .LBB107_47
; %bb.44:
	v_dual_mov_b32 v1, 0 :: v_dual_add_nc_u32 v8, 0x2c0, v13
	v_dual_mov_b32 v2, 0 :: v_dual_add_nc_u32 v7, -1, v134
	v_or_b32_e32 v9, 8, v14
	s_mov_b32 s3, 0
	s_delay_alu instid0(VALU_DEP_2)
	v_dual_mov_b32 v4, v2 :: v_dual_mov_b32 v3, v1
	.p2align	6
.LBB107_45:                             ; =>This Inner Loop Header: Depth=1
	scratch_load_b128 v[15:18], v9, off offset:-8
	ds_load_b128 v[19:22], v8
	v_add_nc_u32_e32 v7, 1, v7
	v_add_nc_u32_e32 v8, 16, v8
	;; [unrolled: 1-line block ×3, first 2 shown]
	s_delay_alu instid0(VALU_DEP_3) | instskip(SKIP_4) | instid1(VALU_DEP_2)
	v_cmp_lt_u32_e32 vcc_lo, 6, v7
	s_or_b32 s3, vcc_lo, s3
	s_waitcnt vmcnt(0) lgkmcnt(0)
	v_mul_f64 v[10:11], v[21:22], v[17:18]
	v_mul_f64 v[17:18], v[19:20], v[17:18]
	v_fma_f64 v[10:11], v[19:20], v[15:16], -v[10:11]
	s_delay_alu instid0(VALU_DEP_2) | instskip(NEXT) | instid1(VALU_DEP_2)
	v_fma_f64 v[15:16], v[21:22], v[15:16], v[17:18]
	v_add_f64 v[3:4], v[3:4], v[10:11]
	s_delay_alu instid0(VALU_DEP_2)
	v_add_f64 v[1:2], v[1:2], v[15:16]
	s_and_not1_b32 exec_lo, exec_lo, s3
	s_cbranch_execnz .LBB107_45
; %bb.46:
	s_or_b32 exec_lo, exec_lo, s3
	v_mov_b32_e32 v7, 0
	ds_load_b128 v[7:10], v7 offset:128
	s_waitcnt lgkmcnt(0)
	v_mul_f64 v[11:12], v[1:2], v[9:10]
	v_mul_f64 v[15:16], v[3:4], v[9:10]
	s_delay_alu instid0(VALU_DEP_2) | instskip(NEXT) | instid1(VALU_DEP_2)
	v_fma_f64 v[9:10], v[3:4], v[7:8], -v[11:12]
	v_fma_f64 v[11:12], v[1:2], v[7:8], v[15:16]
	scratch_store_b128 off, v[9:12], off offset:128
.LBB107_47:
	s_or_b32 exec_lo, exec_lo, s2
	s_waitcnt_vscnt null, 0x0
	s_barrier
	buffer_gl0_inv
	scratch_load_b128 v[1:4], v171, off
	s_mov_b32 s2, exec_lo
	s_waitcnt vmcnt(0)
	ds_store_b128 v5, v[1:4]
	s_waitcnt lgkmcnt(0)
	s_barrier
	buffer_gl0_inv
	v_cmpx_gt_u32_e32 9, v134
	s_cbranch_execz .LBB107_51
; %bb.48:
	v_dual_mov_b32 v1, 0 :: v_dual_add_nc_u32 v8, 0x2c0, v13
	v_dual_mov_b32 v2, 0 :: v_dual_add_nc_u32 v7, -1, v134
	v_or_b32_e32 v9, 8, v14
	s_mov_b32 s3, 0
	s_delay_alu instid0(VALU_DEP_2)
	v_dual_mov_b32 v4, v2 :: v_dual_mov_b32 v3, v1
	.p2align	6
.LBB107_49:                             ; =>This Inner Loop Header: Depth=1
	scratch_load_b128 v[15:18], v9, off offset:-8
	ds_load_b128 v[19:22], v8
	v_add_nc_u32_e32 v7, 1, v7
	v_add_nc_u32_e32 v8, 16, v8
	;; [unrolled: 1-line block ×3, first 2 shown]
	s_delay_alu instid0(VALU_DEP_3) | instskip(SKIP_4) | instid1(VALU_DEP_2)
	v_cmp_lt_u32_e32 vcc_lo, 7, v7
	s_or_b32 s3, vcc_lo, s3
	s_waitcnt vmcnt(0) lgkmcnt(0)
	v_mul_f64 v[10:11], v[21:22], v[17:18]
	v_mul_f64 v[17:18], v[19:20], v[17:18]
	v_fma_f64 v[10:11], v[19:20], v[15:16], -v[10:11]
	s_delay_alu instid0(VALU_DEP_2) | instskip(NEXT) | instid1(VALU_DEP_2)
	v_fma_f64 v[15:16], v[21:22], v[15:16], v[17:18]
	v_add_f64 v[3:4], v[3:4], v[10:11]
	s_delay_alu instid0(VALU_DEP_2)
	v_add_f64 v[1:2], v[1:2], v[15:16]
	s_and_not1_b32 exec_lo, exec_lo, s3
	s_cbranch_execnz .LBB107_49
; %bb.50:
	s_or_b32 exec_lo, exec_lo, s3
	v_mov_b32_e32 v7, 0
	ds_load_b128 v[7:10], v7 offset:144
	s_waitcnt lgkmcnt(0)
	v_mul_f64 v[11:12], v[1:2], v[9:10]
	v_mul_f64 v[15:16], v[3:4], v[9:10]
	s_delay_alu instid0(VALU_DEP_2) | instskip(NEXT) | instid1(VALU_DEP_2)
	v_fma_f64 v[9:10], v[3:4], v[7:8], -v[11:12]
	v_fma_f64 v[11:12], v[1:2], v[7:8], v[15:16]
	scratch_store_b128 off, v[9:12], off offset:144
.LBB107_51:
	s_or_b32 exec_lo, exec_lo, s2
	s_waitcnt_vscnt null, 0x0
	s_barrier
	buffer_gl0_inv
	scratch_load_b128 v[1:4], v170, off
	s_mov_b32 s2, exec_lo
	s_waitcnt vmcnt(0)
	ds_store_b128 v5, v[1:4]
	s_waitcnt lgkmcnt(0)
	s_barrier
	buffer_gl0_inv
	v_cmpx_gt_u32_e32 10, v134
	s_cbranch_execz .LBB107_55
; %bb.52:
	v_dual_mov_b32 v1, 0 :: v_dual_add_nc_u32 v8, 0x2c0, v13
	v_dual_mov_b32 v2, 0 :: v_dual_add_nc_u32 v7, -1, v134
	v_or_b32_e32 v9, 8, v14
	s_mov_b32 s3, 0
	s_delay_alu instid0(VALU_DEP_2)
	v_dual_mov_b32 v4, v2 :: v_dual_mov_b32 v3, v1
	.p2align	6
.LBB107_53:                             ; =>This Inner Loop Header: Depth=1
	scratch_load_b128 v[15:18], v9, off offset:-8
	ds_load_b128 v[19:22], v8
	v_add_nc_u32_e32 v7, 1, v7
	v_add_nc_u32_e32 v8, 16, v8
	;; [unrolled: 1-line block ×3, first 2 shown]
	s_delay_alu instid0(VALU_DEP_3) | instskip(SKIP_4) | instid1(VALU_DEP_2)
	v_cmp_lt_u32_e32 vcc_lo, 8, v7
	s_or_b32 s3, vcc_lo, s3
	s_waitcnt vmcnt(0) lgkmcnt(0)
	v_mul_f64 v[10:11], v[21:22], v[17:18]
	v_mul_f64 v[17:18], v[19:20], v[17:18]
	v_fma_f64 v[10:11], v[19:20], v[15:16], -v[10:11]
	s_delay_alu instid0(VALU_DEP_2) | instskip(NEXT) | instid1(VALU_DEP_2)
	v_fma_f64 v[15:16], v[21:22], v[15:16], v[17:18]
	v_add_f64 v[3:4], v[3:4], v[10:11]
	s_delay_alu instid0(VALU_DEP_2)
	v_add_f64 v[1:2], v[1:2], v[15:16]
	s_and_not1_b32 exec_lo, exec_lo, s3
	s_cbranch_execnz .LBB107_53
; %bb.54:
	s_or_b32 exec_lo, exec_lo, s3
	v_mov_b32_e32 v7, 0
	ds_load_b128 v[7:10], v7 offset:160
	s_waitcnt lgkmcnt(0)
	v_mul_f64 v[11:12], v[1:2], v[9:10]
	v_mul_f64 v[15:16], v[3:4], v[9:10]
	s_delay_alu instid0(VALU_DEP_2) | instskip(NEXT) | instid1(VALU_DEP_2)
	v_fma_f64 v[9:10], v[3:4], v[7:8], -v[11:12]
	v_fma_f64 v[11:12], v[1:2], v[7:8], v[15:16]
	scratch_store_b128 off, v[9:12], off offset:160
.LBB107_55:
	s_or_b32 exec_lo, exec_lo, s2
	s_waitcnt_vscnt null, 0x0
	s_barrier
	buffer_gl0_inv
	scratch_load_b128 v[1:4], v169, off
	s_mov_b32 s2, exec_lo
	s_waitcnt vmcnt(0)
	ds_store_b128 v5, v[1:4]
	s_waitcnt lgkmcnt(0)
	s_barrier
	buffer_gl0_inv
	v_cmpx_gt_u32_e32 11, v134
	s_cbranch_execz .LBB107_59
; %bb.56:
	v_dual_mov_b32 v1, 0 :: v_dual_add_nc_u32 v8, 0x2c0, v13
	v_dual_mov_b32 v2, 0 :: v_dual_add_nc_u32 v7, -1, v134
	v_or_b32_e32 v9, 8, v14
	s_mov_b32 s3, 0
	s_delay_alu instid0(VALU_DEP_2)
	v_dual_mov_b32 v4, v2 :: v_dual_mov_b32 v3, v1
	.p2align	6
.LBB107_57:                             ; =>This Inner Loop Header: Depth=1
	scratch_load_b128 v[15:18], v9, off offset:-8
	ds_load_b128 v[19:22], v8
	v_add_nc_u32_e32 v7, 1, v7
	v_add_nc_u32_e32 v8, 16, v8
	;; [unrolled: 1-line block ×3, first 2 shown]
	s_delay_alu instid0(VALU_DEP_3) | instskip(SKIP_4) | instid1(VALU_DEP_2)
	v_cmp_lt_u32_e32 vcc_lo, 9, v7
	s_or_b32 s3, vcc_lo, s3
	s_waitcnt vmcnt(0) lgkmcnt(0)
	v_mul_f64 v[10:11], v[21:22], v[17:18]
	v_mul_f64 v[17:18], v[19:20], v[17:18]
	v_fma_f64 v[10:11], v[19:20], v[15:16], -v[10:11]
	s_delay_alu instid0(VALU_DEP_2) | instskip(NEXT) | instid1(VALU_DEP_2)
	v_fma_f64 v[15:16], v[21:22], v[15:16], v[17:18]
	v_add_f64 v[3:4], v[3:4], v[10:11]
	s_delay_alu instid0(VALU_DEP_2)
	v_add_f64 v[1:2], v[1:2], v[15:16]
	s_and_not1_b32 exec_lo, exec_lo, s3
	s_cbranch_execnz .LBB107_57
; %bb.58:
	s_or_b32 exec_lo, exec_lo, s3
	v_mov_b32_e32 v7, 0
	ds_load_b128 v[7:10], v7 offset:176
	s_waitcnt lgkmcnt(0)
	v_mul_f64 v[11:12], v[1:2], v[9:10]
	v_mul_f64 v[15:16], v[3:4], v[9:10]
	s_delay_alu instid0(VALU_DEP_2) | instskip(NEXT) | instid1(VALU_DEP_2)
	v_fma_f64 v[9:10], v[3:4], v[7:8], -v[11:12]
	v_fma_f64 v[11:12], v[1:2], v[7:8], v[15:16]
	scratch_store_b128 off, v[9:12], off offset:176
.LBB107_59:
	s_or_b32 exec_lo, exec_lo, s2
	s_waitcnt_vscnt null, 0x0
	s_barrier
	buffer_gl0_inv
	scratch_load_b128 v[1:4], v168, off
	s_mov_b32 s2, exec_lo
	s_waitcnt vmcnt(0)
	ds_store_b128 v5, v[1:4]
	s_waitcnt lgkmcnt(0)
	s_barrier
	buffer_gl0_inv
	v_cmpx_gt_u32_e32 12, v134
	s_cbranch_execz .LBB107_63
; %bb.60:
	v_dual_mov_b32 v1, 0 :: v_dual_add_nc_u32 v8, 0x2c0, v13
	v_dual_mov_b32 v2, 0 :: v_dual_add_nc_u32 v7, -1, v134
	v_or_b32_e32 v9, 8, v14
	s_mov_b32 s3, 0
	s_delay_alu instid0(VALU_DEP_2)
	v_dual_mov_b32 v4, v2 :: v_dual_mov_b32 v3, v1
	.p2align	6
.LBB107_61:                             ; =>This Inner Loop Header: Depth=1
	scratch_load_b128 v[15:18], v9, off offset:-8
	ds_load_b128 v[19:22], v8
	v_add_nc_u32_e32 v7, 1, v7
	v_add_nc_u32_e32 v8, 16, v8
	;; [unrolled: 1-line block ×3, first 2 shown]
	s_delay_alu instid0(VALU_DEP_3) | instskip(SKIP_4) | instid1(VALU_DEP_2)
	v_cmp_lt_u32_e32 vcc_lo, 10, v7
	s_or_b32 s3, vcc_lo, s3
	s_waitcnt vmcnt(0) lgkmcnt(0)
	v_mul_f64 v[10:11], v[21:22], v[17:18]
	v_mul_f64 v[17:18], v[19:20], v[17:18]
	v_fma_f64 v[10:11], v[19:20], v[15:16], -v[10:11]
	s_delay_alu instid0(VALU_DEP_2) | instskip(NEXT) | instid1(VALU_DEP_2)
	v_fma_f64 v[15:16], v[21:22], v[15:16], v[17:18]
	v_add_f64 v[3:4], v[3:4], v[10:11]
	s_delay_alu instid0(VALU_DEP_2)
	v_add_f64 v[1:2], v[1:2], v[15:16]
	s_and_not1_b32 exec_lo, exec_lo, s3
	s_cbranch_execnz .LBB107_61
; %bb.62:
	s_or_b32 exec_lo, exec_lo, s3
	v_mov_b32_e32 v7, 0
	ds_load_b128 v[7:10], v7 offset:192
	s_waitcnt lgkmcnt(0)
	v_mul_f64 v[11:12], v[1:2], v[9:10]
	v_mul_f64 v[15:16], v[3:4], v[9:10]
	s_delay_alu instid0(VALU_DEP_2) | instskip(NEXT) | instid1(VALU_DEP_2)
	v_fma_f64 v[9:10], v[3:4], v[7:8], -v[11:12]
	v_fma_f64 v[11:12], v[1:2], v[7:8], v[15:16]
	scratch_store_b128 off, v[9:12], off offset:192
.LBB107_63:
	s_or_b32 exec_lo, exec_lo, s2
	s_waitcnt_vscnt null, 0x0
	s_barrier
	buffer_gl0_inv
	scratch_load_b128 v[1:4], v167, off
	s_mov_b32 s2, exec_lo
	s_waitcnt vmcnt(0)
	ds_store_b128 v5, v[1:4]
	s_waitcnt lgkmcnt(0)
	s_barrier
	buffer_gl0_inv
	v_cmpx_gt_u32_e32 13, v134
	s_cbranch_execz .LBB107_67
; %bb.64:
	v_dual_mov_b32 v1, 0 :: v_dual_add_nc_u32 v8, 0x2c0, v13
	v_dual_mov_b32 v2, 0 :: v_dual_add_nc_u32 v7, -1, v134
	v_or_b32_e32 v9, 8, v14
	s_mov_b32 s3, 0
	s_delay_alu instid0(VALU_DEP_2)
	v_dual_mov_b32 v4, v2 :: v_dual_mov_b32 v3, v1
	.p2align	6
.LBB107_65:                             ; =>This Inner Loop Header: Depth=1
	scratch_load_b128 v[15:18], v9, off offset:-8
	ds_load_b128 v[19:22], v8
	v_add_nc_u32_e32 v7, 1, v7
	v_add_nc_u32_e32 v8, 16, v8
	;; [unrolled: 1-line block ×3, first 2 shown]
	s_delay_alu instid0(VALU_DEP_3) | instskip(SKIP_4) | instid1(VALU_DEP_2)
	v_cmp_lt_u32_e32 vcc_lo, 11, v7
	s_or_b32 s3, vcc_lo, s3
	s_waitcnt vmcnt(0) lgkmcnt(0)
	v_mul_f64 v[10:11], v[21:22], v[17:18]
	v_mul_f64 v[17:18], v[19:20], v[17:18]
	v_fma_f64 v[10:11], v[19:20], v[15:16], -v[10:11]
	s_delay_alu instid0(VALU_DEP_2) | instskip(NEXT) | instid1(VALU_DEP_2)
	v_fma_f64 v[15:16], v[21:22], v[15:16], v[17:18]
	v_add_f64 v[3:4], v[3:4], v[10:11]
	s_delay_alu instid0(VALU_DEP_2)
	v_add_f64 v[1:2], v[1:2], v[15:16]
	s_and_not1_b32 exec_lo, exec_lo, s3
	s_cbranch_execnz .LBB107_65
; %bb.66:
	s_or_b32 exec_lo, exec_lo, s3
	v_mov_b32_e32 v7, 0
	ds_load_b128 v[7:10], v7 offset:208
	s_waitcnt lgkmcnt(0)
	v_mul_f64 v[11:12], v[1:2], v[9:10]
	v_mul_f64 v[15:16], v[3:4], v[9:10]
	s_delay_alu instid0(VALU_DEP_2) | instskip(NEXT) | instid1(VALU_DEP_2)
	v_fma_f64 v[9:10], v[3:4], v[7:8], -v[11:12]
	v_fma_f64 v[11:12], v[1:2], v[7:8], v[15:16]
	scratch_store_b128 off, v[9:12], off offset:208
.LBB107_67:
	s_or_b32 exec_lo, exec_lo, s2
	s_waitcnt_vscnt null, 0x0
	s_barrier
	buffer_gl0_inv
	scratch_load_b128 v[1:4], v166, off
	s_mov_b32 s2, exec_lo
	s_waitcnt vmcnt(0)
	ds_store_b128 v5, v[1:4]
	s_waitcnt lgkmcnt(0)
	s_barrier
	buffer_gl0_inv
	v_cmpx_gt_u32_e32 14, v134
	s_cbranch_execz .LBB107_71
; %bb.68:
	v_dual_mov_b32 v1, 0 :: v_dual_add_nc_u32 v8, 0x2c0, v13
	v_dual_mov_b32 v2, 0 :: v_dual_add_nc_u32 v7, -1, v134
	v_or_b32_e32 v9, 8, v14
	s_mov_b32 s3, 0
	s_delay_alu instid0(VALU_DEP_2)
	v_dual_mov_b32 v4, v2 :: v_dual_mov_b32 v3, v1
	.p2align	6
.LBB107_69:                             ; =>This Inner Loop Header: Depth=1
	scratch_load_b128 v[15:18], v9, off offset:-8
	ds_load_b128 v[19:22], v8
	v_add_nc_u32_e32 v7, 1, v7
	v_add_nc_u32_e32 v8, 16, v8
	;; [unrolled: 1-line block ×3, first 2 shown]
	s_delay_alu instid0(VALU_DEP_3) | instskip(SKIP_4) | instid1(VALU_DEP_2)
	v_cmp_lt_u32_e32 vcc_lo, 12, v7
	s_or_b32 s3, vcc_lo, s3
	s_waitcnt vmcnt(0) lgkmcnt(0)
	v_mul_f64 v[10:11], v[21:22], v[17:18]
	v_mul_f64 v[17:18], v[19:20], v[17:18]
	v_fma_f64 v[10:11], v[19:20], v[15:16], -v[10:11]
	s_delay_alu instid0(VALU_DEP_2) | instskip(NEXT) | instid1(VALU_DEP_2)
	v_fma_f64 v[15:16], v[21:22], v[15:16], v[17:18]
	v_add_f64 v[3:4], v[3:4], v[10:11]
	s_delay_alu instid0(VALU_DEP_2)
	v_add_f64 v[1:2], v[1:2], v[15:16]
	s_and_not1_b32 exec_lo, exec_lo, s3
	s_cbranch_execnz .LBB107_69
; %bb.70:
	s_or_b32 exec_lo, exec_lo, s3
	v_mov_b32_e32 v7, 0
	ds_load_b128 v[7:10], v7 offset:224
	s_waitcnt lgkmcnt(0)
	v_mul_f64 v[11:12], v[1:2], v[9:10]
	v_mul_f64 v[15:16], v[3:4], v[9:10]
	s_delay_alu instid0(VALU_DEP_2) | instskip(NEXT) | instid1(VALU_DEP_2)
	v_fma_f64 v[9:10], v[3:4], v[7:8], -v[11:12]
	v_fma_f64 v[11:12], v[1:2], v[7:8], v[15:16]
	scratch_store_b128 off, v[9:12], off offset:224
.LBB107_71:
	s_or_b32 exec_lo, exec_lo, s2
	s_waitcnt_vscnt null, 0x0
	s_barrier
	buffer_gl0_inv
	scratch_load_b128 v[1:4], v165, off
	s_mov_b32 s2, exec_lo
	s_waitcnt vmcnt(0)
	ds_store_b128 v5, v[1:4]
	s_waitcnt lgkmcnt(0)
	s_barrier
	buffer_gl0_inv
	v_cmpx_gt_u32_e32 15, v134
	s_cbranch_execz .LBB107_75
; %bb.72:
	v_dual_mov_b32 v1, 0 :: v_dual_add_nc_u32 v8, 0x2c0, v13
	v_dual_mov_b32 v2, 0 :: v_dual_add_nc_u32 v7, -1, v134
	v_or_b32_e32 v9, 8, v14
	s_mov_b32 s3, 0
	s_delay_alu instid0(VALU_DEP_2)
	v_dual_mov_b32 v4, v2 :: v_dual_mov_b32 v3, v1
	.p2align	6
.LBB107_73:                             ; =>This Inner Loop Header: Depth=1
	scratch_load_b128 v[15:18], v9, off offset:-8
	ds_load_b128 v[19:22], v8
	v_add_nc_u32_e32 v7, 1, v7
	v_add_nc_u32_e32 v8, 16, v8
	;; [unrolled: 1-line block ×3, first 2 shown]
	s_delay_alu instid0(VALU_DEP_3) | instskip(SKIP_4) | instid1(VALU_DEP_2)
	v_cmp_lt_u32_e32 vcc_lo, 13, v7
	s_or_b32 s3, vcc_lo, s3
	s_waitcnt vmcnt(0) lgkmcnt(0)
	v_mul_f64 v[10:11], v[21:22], v[17:18]
	v_mul_f64 v[17:18], v[19:20], v[17:18]
	v_fma_f64 v[10:11], v[19:20], v[15:16], -v[10:11]
	s_delay_alu instid0(VALU_DEP_2) | instskip(NEXT) | instid1(VALU_DEP_2)
	v_fma_f64 v[15:16], v[21:22], v[15:16], v[17:18]
	v_add_f64 v[3:4], v[3:4], v[10:11]
	s_delay_alu instid0(VALU_DEP_2)
	v_add_f64 v[1:2], v[1:2], v[15:16]
	s_and_not1_b32 exec_lo, exec_lo, s3
	s_cbranch_execnz .LBB107_73
; %bb.74:
	s_or_b32 exec_lo, exec_lo, s3
	v_mov_b32_e32 v7, 0
	ds_load_b128 v[7:10], v7 offset:240
	s_waitcnt lgkmcnt(0)
	v_mul_f64 v[11:12], v[1:2], v[9:10]
	v_mul_f64 v[15:16], v[3:4], v[9:10]
	s_delay_alu instid0(VALU_DEP_2) | instskip(NEXT) | instid1(VALU_DEP_2)
	v_fma_f64 v[9:10], v[3:4], v[7:8], -v[11:12]
	v_fma_f64 v[11:12], v[1:2], v[7:8], v[15:16]
	scratch_store_b128 off, v[9:12], off offset:240
.LBB107_75:
	s_or_b32 exec_lo, exec_lo, s2
	s_waitcnt_vscnt null, 0x0
	s_barrier
	buffer_gl0_inv
	scratch_load_b128 v[1:4], v164, off
	s_mov_b32 s2, exec_lo
	s_waitcnt vmcnt(0)
	ds_store_b128 v5, v[1:4]
	s_waitcnt lgkmcnt(0)
	s_barrier
	buffer_gl0_inv
	v_cmpx_gt_u32_e32 16, v134
	s_cbranch_execz .LBB107_79
; %bb.76:
	v_dual_mov_b32 v1, 0 :: v_dual_add_nc_u32 v8, 0x2c0, v13
	v_dual_mov_b32 v2, 0 :: v_dual_add_nc_u32 v7, -1, v134
	v_or_b32_e32 v9, 8, v14
	s_mov_b32 s3, 0
	s_delay_alu instid0(VALU_DEP_2)
	v_dual_mov_b32 v4, v2 :: v_dual_mov_b32 v3, v1
	.p2align	6
.LBB107_77:                             ; =>This Inner Loop Header: Depth=1
	scratch_load_b128 v[15:18], v9, off offset:-8
	ds_load_b128 v[19:22], v8
	v_add_nc_u32_e32 v7, 1, v7
	v_add_nc_u32_e32 v8, 16, v8
	;; [unrolled: 1-line block ×3, first 2 shown]
	s_delay_alu instid0(VALU_DEP_3) | instskip(SKIP_4) | instid1(VALU_DEP_2)
	v_cmp_lt_u32_e32 vcc_lo, 14, v7
	s_or_b32 s3, vcc_lo, s3
	s_waitcnt vmcnt(0) lgkmcnt(0)
	v_mul_f64 v[10:11], v[21:22], v[17:18]
	v_mul_f64 v[17:18], v[19:20], v[17:18]
	v_fma_f64 v[10:11], v[19:20], v[15:16], -v[10:11]
	s_delay_alu instid0(VALU_DEP_2) | instskip(NEXT) | instid1(VALU_DEP_2)
	v_fma_f64 v[15:16], v[21:22], v[15:16], v[17:18]
	v_add_f64 v[3:4], v[3:4], v[10:11]
	s_delay_alu instid0(VALU_DEP_2)
	v_add_f64 v[1:2], v[1:2], v[15:16]
	s_and_not1_b32 exec_lo, exec_lo, s3
	s_cbranch_execnz .LBB107_77
; %bb.78:
	s_or_b32 exec_lo, exec_lo, s3
	v_mov_b32_e32 v7, 0
	ds_load_b128 v[7:10], v7 offset:256
	s_waitcnt lgkmcnt(0)
	v_mul_f64 v[11:12], v[1:2], v[9:10]
	v_mul_f64 v[15:16], v[3:4], v[9:10]
	s_delay_alu instid0(VALU_DEP_2) | instskip(NEXT) | instid1(VALU_DEP_2)
	v_fma_f64 v[9:10], v[3:4], v[7:8], -v[11:12]
	v_fma_f64 v[11:12], v[1:2], v[7:8], v[15:16]
	scratch_store_b128 off, v[9:12], off offset:256
.LBB107_79:
	s_or_b32 exec_lo, exec_lo, s2
	s_waitcnt_vscnt null, 0x0
	s_barrier
	buffer_gl0_inv
	scratch_load_b128 v[1:4], v163, off
	s_mov_b32 s2, exec_lo
	s_waitcnt vmcnt(0)
	ds_store_b128 v5, v[1:4]
	s_waitcnt lgkmcnt(0)
	s_barrier
	buffer_gl0_inv
	v_cmpx_gt_u32_e32 17, v134
	s_cbranch_execz .LBB107_83
; %bb.80:
	v_dual_mov_b32 v1, 0 :: v_dual_add_nc_u32 v8, 0x2c0, v13
	v_dual_mov_b32 v2, 0 :: v_dual_add_nc_u32 v7, -1, v134
	v_or_b32_e32 v9, 8, v14
	s_mov_b32 s3, 0
	s_delay_alu instid0(VALU_DEP_2)
	v_dual_mov_b32 v4, v2 :: v_dual_mov_b32 v3, v1
	.p2align	6
.LBB107_81:                             ; =>This Inner Loop Header: Depth=1
	scratch_load_b128 v[15:18], v9, off offset:-8
	ds_load_b128 v[19:22], v8
	v_add_nc_u32_e32 v7, 1, v7
	v_add_nc_u32_e32 v8, 16, v8
	;; [unrolled: 1-line block ×3, first 2 shown]
	s_delay_alu instid0(VALU_DEP_3) | instskip(SKIP_4) | instid1(VALU_DEP_2)
	v_cmp_lt_u32_e32 vcc_lo, 15, v7
	s_or_b32 s3, vcc_lo, s3
	s_waitcnt vmcnt(0) lgkmcnt(0)
	v_mul_f64 v[10:11], v[21:22], v[17:18]
	v_mul_f64 v[17:18], v[19:20], v[17:18]
	v_fma_f64 v[10:11], v[19:20], v[15:16], -v[10:11]
	s_delay_alu instid0(VALU_DEP_2) | instskip(NEXT) | instid1(VALU_DEP_2)
	v_fma_f64 v[15:16], v[21:22], v[15:16], v[17:18]
	v_add_f64 v[3:4], v[3:4], v[10:11]
	s_delay_alu instid0(VALU_DEP_2)
	v_add_f64 v[1:2], v[1:2], v[15:16]
	s_and_not1_b32 exec_lo, exec_lo, s3
	s_cbranch_execnz .LBB107_81
; %bb.82:
	s_or_b32 exec_lo, exec_lo, s3
	v_mov_b32_e32 v7, 0
	ds_load_b128 v[7:10], v7 offset:272
	s_waitcnt lgkmcnt(0)
	v_mul_f64 v[11:12], v[1:2], v[9:10]
	v_mul_f64 v[15:16], v[3:4], v[9:10]
	s_delay_alu instid0(VALU_DEP_2) | instskip(NEXT) | instid1(VALU_DEP_2)
	v_fma_f64 v[9:10], v[3:4], v[7:8], -v[11:12]
	v_fma_f64 v[11:12], v[1:2], v[7:8], v[15:16]
	scratch_store_b128 off, v[9:12], off offset:272
.LBB107_83:
	s_or_b32 exec_lo, exec_lo, s2
	s_waitcnt_vscnt null, 0x0
	s_barrier
	buffer_gl0_inv
	scratch_load_b128 v[1:4], v162, off
	s_mov_b32 s2, exec_lo
	s_waitcnt vmcnt(0)
	ds_store_b128 v5, v[1:4]
	s_waitcnt lgkmcnt(0)
	s_barrier
	buffer_gl0_inv
	v_cmpx_gt_u32_e32 18, v134
	s_cbranch_execz .LBB107_87
; %bb.84:
	v_dual_mov_b32 v1, 0 :: v_dual_add_nc_u32 v8, 0x2c0, v13
	v_dual_mov_b32 v2, 0 :: v_dual_add_nc_u32 v7, -1, v134
	v_or_b32_e32 v9, 8, v14
	s_mov_b32 s3, 0
	s_delay_alu instid0(VALU_DEP_2)
	v_dual_mov_b32 v4, v2 :: v_dual_mov_b32 v3, v1
	.p2align	6
.LBB107_85:                             ; =>This Inner Loop Header: Depth=1
	scratch_load_b128 v[15:18], v9, off offset:-8
	ds_load_b128 v[19:22], v8
	v_add_nc_u32_e32 v7, 1, v7
	v_add_nc_u32_e32 v8, 16, v8
	;; [unrolled: 1-line block ×3, first 2 shown]
	s_delay_alu instid0(VALU_DEP_3) | instskip(SKIP_4) | instid1(VALU_DEP_2)
	v_cmp_lt_u32_e32 vcc_lo, 16, v7
	s_or_b32 s3, vcc_lo, s3
	s_waitcnt vmcnt(0) lgkmcnt(0)
	v_mul_f64 v[10:11], v[21:22], v[17:18]
	v_mul_f64 v[17:18], v[19:20], v[17:18]
	v_fma_f64 v[10:11], v[19:20], v[15:16], -v[10:11]
	s_delay_alu instid0(VALU_DEP_2) | instskip(NEXT) | instid1(VALU_DEP_2)
	v_fma_f64 v[15:16], v[21:22], v[15:16], v[17:18]
	v_add_f64 v[3:4], v[3:4], v[10:11]
	s_delay_alu instid0(VALU_DEP_2)
	v_add_f64 v[1:2], v[1:2], v[15:16]
	s_and_not1_b32 exec_lo, exec_lo, s3
	s_cbranch_execnz .LBB107_85
; %bb.86:
	s_or_b32 exec_lo, exec_lo, s3
	v_mov_b32_e32 v7, 0
	ds_load_b128 v[7:10], v7 offset:288
	s_waitcnt lgkmcnt(0)
	v_mul_f64 v[11:12], v[1:2], v[9:10]
	v_mul_f64 v[15:16], v[3:4], v[9:10]
	s_delay_alu instid0(VALU_DEP_2) | instskip(NEXT) | instid1(VALU_DEP_2)
	v_fma_f64 v[9:10], v[3:4], v[7:8], -v[11:12]
	v_fma_f64 v[11:12], v[1:2], v[7:8], v[15:16]
	scratch_store_b128 off, v[9:12], off offset:288
.LBB107_87:
	s_or_b32 exec_lo, exec_lo, s2
	s_waitcnt_vscnt null, 0x0
	s_barrier
	buffer_gl0_inv
	scratch_load_b128 v[1:4], v161, off
	s_mov_b32 s2, exec_lo
	s_waitcnt vmcnt(0)
	ds_store_b128 v5, v[1:4]
	s_waitcnt lgkmcnt(0)
	s_barrier
	buffer_gl0_inv
	v_cmpx_gt_u32_e32 19, v134
	s_cbranch_execz .LBB107_91
; %bb.88:
	v_dual_mov_b32 v1, 0 :: v_dual_add_nc_u32 v8, 0x2c0, v13
	v_dual_mov_b32 v2, 0 :: v_dual_add_nc_u32 v7, -1, v134
	v_or_b32_e32 v9, 8, v14
	s_mov_b32 s3, 0
	s_delay_alu instid0(VALU_DEP_2)
	v_dual_mov_b32 v4, v2 :: v_dual_mov_b32 v3, v1
	.p2align	6
.LBB107_89:                             ; =>This Inner Loop Header: Depth=1
	scratch_load_b128 v[15:18], v9, off offset:-8
	ds_load_b128 v[19:22], v8
	v_add_nc_u32_e32 v7, 1, v7
	v_add_nc_u32_e32 v8, 16, v8
	;; [unrolled: 1-line block ×3, first 2 shown]
	s_delay_alu instid0(VALU_DEP_3) | instskip(SKIP_4) | instid1(VALU_DEP_2)
	v_cmp_lt_u32_e32 vcc_lo, 17, v7
	s_or_b32 s3, vcc_lo, s3
	s_waitcnt vmcnt(0) lgkmcnt(0)
	v_mul_f64 v[10:11], v[21:22], v[17:18]
	v_mul_f64 v[17:18], v[19:20], v[17:18]
	v_fma_f64 v[10:11], v[19:20], v[15:16], -v[10:11]
	s_delay_alu instid0(VALU_DEP_2) | instskip(NEXT) | instid1(VALU_DEP_2)
	v_fma_f64 v[15:16], v[21:22], v[15:16], v[17:18]
	v_add_f64 v[3:4], v[3:4], v[10:11]
	s_delay_alu instid0(VALU_DEP_2)
	v_add_f64 v[1:2], v[1:2], v[15:16]
	s_and_not1_b32 exec_lo, exec_lo, s3
	s_cbranch_execnz .LBB107_89
; %bb.90:
	s_or_b32 exec_lo, exec_lo, s3
	v_mov_b32_e32 v7, 0
	ds_load_b128 v[7:10], v7 offset:304
	s_waitcnt lgkmcnt(0)
	v_mul_f64 v[11:12], v[1:2], v[9:10]
	v_mul_f64 v[15:16], v[3:4], v[9:10]
	s_delay_alu instid0(VALU_DEP_2) | instskip(NEXT) | instid1(VALU_DEP_2)
	v_fma_f64 v[9:10], v[3:4], v[7:8], -v[11:12]
	v_fma_f64 v[11:12], v[1:2], v[7:8], v[15:16]
	scratch_store_b128 off, v[9:12], off offset:304
.LBB107_91:
	s_or_b32 exec_lo, exec_lo, s2
	s_waitcnt_vscnt null, 0x0
	s_barrier
	buffer_gl0_inv
	scratch_load_b128 v[1:4], v160, off
	s_mov_b32 s2, exec_lo
	s_waitcnt vmcnt(0)
	ds_store_b128 v5, v[1:4]
	s_waitcnt lgkmcnt(0)
	s_barrier
	buffer_gl0_inv
	v_cmpx_gt_u32_e32 20, v134
	s_cbranch_execz .LBB107_95
; %bb.92:
	v_dual_mov_b32 v1, 0 :: v_dual_add_nc_u32 v8, 0x2c0, v13
	v_dual_mov_b32 v2, 0 :: v_dual_add_nc_u32 v7, -1, v134
	v_or_b32_e32 v9, 8, v14
	s_mov_b32 s3, 0
	s_delay_alu instid0(VALU_DEP_2)
	v_dual_mov_b32 v4, v2 :: v_dual_mov_b32 v3, v1
	.p2align	6
.LBB107_93:                             ; =>This Inner Loop Header: Depth=1
	scratch_load_b128 v[15:18], v9, off offset:-8
	ds_load_b128 v[19:22], v8
	v_add_nc_u32_e32 v7, 1, v7
	v_add_nc_u32_e32 v8, 16, v8
	;; [unrolled: 1-line block ×3, first 2 shown]
	s_delay_alu instid0(VALU_DEP_3) | instskip(SKIP_4) | instid1(VALU_DEP_2)
	v_cmp_lt_u32_e32 vcc_lo, 18, v7
	s_or_b32 s3, vcc_lo, s3
	s_waitcnt vmcnt(0) lgkmcnt(0)
	v_mul_f64 v[10:11], v[21:22], v[17:18]
	v_mul_f64 v[17:18], v[19:20], v[17:18]
	v_fma_f64 v[10:11], v[19:20], v[15:16], -v[10:11]
	s_delay_alu instid0(VALU_DEP_2) | instskip(NEXT) | instid1(VALU_DEP_2)
	v_fma_f64 v[15:16], v[21:22], v[15:16], v[17:18]
	v_add_f64 v[3:4], v[3:4], v[10:11]
	s_delay_alu instid0(VALU_DEP_2)
	v_add_f64 v[1:2], v[1:2], v[15:16]
	s_and_not1_b32 exec_lo, exec_lo, s3
	s_cbranch_execnz .LBB107_93
; %bb.94:
	s_or_b32 exec_lo, exec_lo, s3
	v_mov_b32_e32 v7, 0
	ds_load_b128 v[7:10], v7 offset:320
	s_waitcnt lgkmcnt(0)
	v_mul_f64 v[11:12], v[1:2], v[9:10]
	v_mul_f64 v[15:16], v[3:4], v[9:10]
	s_delay_alu instid0(VALU_DEP_2) | instskip(NEXT) | instid1(VALU_DEP_2)
	v_fma_f64 v[9:10], v[3:4], v[7:8], -v[11:12]
	v_fma_f64 v[11:12], v[1:2], v[7:8], v[15:16]
	scratch_store_b128 off, v[9:12], off offset:320
.LBB107_95:
	s_or_b32 exec_lo, exec_lo, s2
	s_waitcnt_vscnt null, 0x0
	s_barrier
	buffer_gl0_inv
	scratch_load_b128 v[1:4], v158, off
	s_mov_b32 s2, exec_lo
	s_waitcnt vmcnt(0)
	ds_store_b128 v5, v[1:4]
	s_waitcnt lgkmcnt(0)
	s_barrier
	buffer_gl0_inv
	v_cmpx_gt_u32_e32 21, v134
	s_cbranch_execz .LBB107_99
; %bb.96:
	v_dual_mov_b32 v1, 0 :: v_dual_add_nc_u32 v8, 0x2c0, v13
	v_dual_mov_b32 v2, 0 :: v_dual_add_nc_u32 v7, -1, v134
	v_or_b32_e32 v9, 8, v14
	s_mov_b32 s3, 0
	s_delay_alu instid0(VALU_DEP_2)
	v_dual_mov_b32 v4, v2 :: v_dual_mov_b32 v3, v1
	.p2align	6
.LBB107_97:                             ; =>This Inner Loop Header: Depth=1
	scratch_load_b128 v[15:18], v9, off offset:-8
	ds_load_b128 v[19:22], v8
	v_add_nc_u32_e32 v7, 1, v7
	v_add_nc_u32_e32 v8, 16, v8
	;; [unrolled: 1-line block ×3, first 2 shown]
	s_delay_alu instid0(VALU_DEP_3) | instskip(SKIP_4) | instid1(VALU_DEP_2)
	v_cmp_lt_u32_e32 vcc_lo, 19, v7
	s_or_b32 s3, vcc_lo, s3
	s_waitcnt vmcnt(0) lgkmcnt(0)
	v_mul_f64 v[10:11], v[21:22], v[17:18]
	v_mul_f64 v[17:18], v[19:20], v[17:18]
	v_fma_f64 v[10:11], v[19:20], v[15:16], -v[10:11]
	s_delay_alu instid0(VALU_DEP_2) | instskip(NEXT) | instid1(VALU_DEP_2)
	v_fma_f64 v[15:16], v[21:22], v[15:16], v[17:18]
	v_add_f64 v[3:4], v[3:4], v[10:11]
	s_delay_alu instid0(VALU_DEP_2)
	v_add_f64 v[1:2], v[1:2], v[15:16]
	s_and_not1_b32 exec_lo, exec_lo, s3
	s_cbranch_execnz .LBB107_97
; %bb.98:
	s_or_b32 exec_lo, exec_lo, s3
	v_mov_b32_e32 v7, 0
	ds_load_b128 v[7:10], v7 offset:336
	s_waitcnt lgkmcnt(0)
	v_mul_f64 v[11:12], v[1:2], v[9:10]
	v_mul_f64 v[15:16], v[3:4], v[9:10]
	s_delay_alu instid0(VALU_DEP_2) | instskip(NEXT) | instid1(VALU_DEP_2)
	v_fma_f64 v[9:10], v[3:4], v[7:8], -v[11:12]
	v_fma_f64 v[11:12], v[1:2], v[7:8], v[15:16]
	scratch_store_b128 off, v[9:12], off offset:336
.LBB107_99:
	s_or_b32 exec_lo, exec_lo, s2
	s_waitcnt_vscnt null, 0x0
	s_barrier
	buffer_gl0_inv
	scratch_load_b128 v[1:4], v157, off
	s_mov_b32 s2, exec_lo
	s_waitcnt vmcnt(0)
	ds_store_b128 v5, v[1:4]
	s_waitcnt lgkmcnt(0)
	s_barrier
	buffer_gl0_inv
	v_cmpx_gt_u32_e32 22, v134
	s_cbranch_execz .LBB107_103
; %bb.100:
	v_dual_mov_b32 v1, 0 :: v_dual_add_nc_u32 v8, 0x2c0, v13
	v_dual_mov_b32 v2, 0 :: v_dual_add_nc_u32 v7, -1, v134
	v_or_b32_e32 v9, 8, v14
	s_mov_b32 s3, 0
	s_delay_alu instid0(VALU_DEP_2)
	v_dual_mov_b32 v4, v2 :: v_dual_mov_b32 v3, v1
	.p2align	6
.LBB107_101:                            ; =>This Inner Loop Header: Depth=1
	scratch_load_b128 v[15:18], v9, off offset:-8
	ds_load_b128 v[19:22], v8
	v_add_nc_u32_e32 v7, 1, v7
	v_add_nc_u32_e32 v8, 16, v8
	;; [unrolled: 1-line block ×3, first 2 shown]
	s_delay_alu instid0(VALU_DEP_3) | instskip(SKIP_4) | instid1(VALU_DEP_2)
	v_cmp_lt_u32_e32 vcc_lo, 20, v7
	s_or_b32 s3, vcc_lo, s3
	s_waitcnt vmcnt(0) lgkmcnt(0)
	v_mul_f64 v[10:11], v[21:22], v[17:18]
	v_mul_f64 v[17:18], v[19:20], v[17:18]
	v_fma_f64 v[10:11], v[19:20], v[15:16], -v[10:11]
	s_delay_alu instid0(VALU_DEP_2) | instskip(NEXT) | instid1(VALU_DEP_2)
	v_fma_f64 v[15:16], v[21:22], v[15:16], v[17:18]
	v_add_f64 v[3:4], v[3:4], v[10:11]
	s_delay_alu instid0(VALU_DEP_2)
	v_add_f64 v[1:2], v[1:2], v[15:16]
	s_and_not1_b32 exec_lo, exec_lo, s3
	s_cbranch_execnz .LBB107_101
; %bb.102:
	s_or_b32 exec_lo, exec_lo, s3
	v_mov_b32_e32 v7, 0
	ds_load_b128 v[7:10], v7 offset:352
	s_waitcnt lgkmcnt(0)
	v_mul_f64 v[11:12], v[1:2], v[9:10]
	v_mul_f64 v[15:16], v[3:4], v[9:10]
	s_delay_alu instid0(VALU_DEP_2) | instskip(NEXT) | instid1(VALU_DEP_2)
	v_fma_f64 v[9:10], v[3:4], v[7:8], -v[11:12]
	v_fma_f64 v[11:12], v[1:2], v[7:8], v[15:16]
	scratch_store_b128 off, v[9:12], off offset:352
.LBB107_103:
	s_or_b32 exec_lo, exec_lo, s2
	s_waitcnt_vscnt null, 0x0
	s_barrier
	buffer_gl0_inv
	scratch_load_b128 v[1:4], v156, off
	s_mov_b32 s2, exec_lo
	s_waitcnt vmcnt(0)
	ds_store_b128 v5, v[1:4]
	s_waitcnt lgkmcnt(0)
	s_barrier
	buffer_gl0_inv
	v_cmpx_gt_u32_e32 23, v134
	s_cbranch_execz .LBB107_107
; %bb.104:
	v_dual_mov_b32 v1, 0 :: v_dual_add_nc_u32 v8, 0x2c0, v13
	v_dual_mov_b32 v2, 0 :: v_dual_add_nc_u32 v7, -1, v134
	v_or_b32_e32 v9, 8, v14
	s_mov_b32 s3, 0
	s_delay_alu instid0(VALU_DEP_2)
	v_dual_mov_b32 v4, v2 :: v_dual_mov_b32 v3, v1
	.p2align	6
.LBB107_105:                            ; =>This Inner Loop Header: Depth=1
	scratch_load_b128 v[15:18], v9, off offset:-8
	ds_load_b128 v[19:22], v8
	v_add_nc_u32_e32 v7, 1, v7
	v_add_nc_u32_e32 v8, 16, v8
	v_add_nc_u32_e32 v9, 16, v9
	s_delay_alu instid0(VALU_DEP_3) | instskip(SKIP_4) | instid1(VALU_DEP_2)
	v_cmp_lt_u32_e32 vcc_lo, 21, v7
	s_or_b32 s3, vcc_lo, s3
	s_waitcnt vmcnt(0) lgkmcnt(0)
	v_mul_f64 v[10:11], v[21:22], v[17:18]
	v_mul_f64 v[17:18], v[19:20], v[17:18]
	v_fma_f64 v[10:11], v[19:20], v[15:16], -v[10:11]
	s_delay_alu instid0(VALU_DEP_2) | instskip(NEXT) | instid1(VALU_DEP_2)
	v_fma_f64 v[15:16], v[21:22], v[15:16], v[17:18]
	v_add_f64 v[3:4], v[3:4], v[10:11]
	s_delay_alu instid0(VALU_DEP_2)
	v_add_f64 v[1:2], v[1:2], v[15:16]
	s_and_not1_b32 exec_lo, exec_lo, s3
	s_cbranch_execnz .LBB107_105
; %bb.106:
	s_or_b32 exec_lo, exec_lo, s3
	v_mov_b32_e32 v7, 0
	ds_load_b128 v[7:10], v7 offset:368
	s_waitcnt lgkmcnt(0)
	v_mul_f64 v[11:12], v[1:2], v[9:10]
	v_mul_f64 v[15:16], v[3:4], v[9:10]
	s_delay_alu instid0(VALU_DEP_2) | instskip(NEXT) | instid1(VALU_DEP_2)
	v_fma_f64 v[9:10], v[3:4], v[7:8], -v[11:12]
	v_fma_f64 v[11:12], v[1:2], v[7:8], v[15:16]
	scratch_store_b128 off, v[9:12], off offset:368
.LBB107_107:
	s_or_b32 exec_lo, exec_lo, s2
	s_waitcnt_vscnt null, 0x0
	s_barrier
	buffer_gl0_inv
	scratch_load_b128 v[1:4], v154, off
	s_mov_b32 s2, exec_lo
	s_waitcnt vmcnt(0)
	ds_store_b128 v5, v[1:4]
	s_waitcnt lgkmcnt(0)
	s_barrier
	buffer_gl0_inv
	v_cmpx_gt_u32_e32 24, v134
	s_cbranch_execz .LBB107_111
; %bb.108:
	v_dual_mov_b32 v1, 0 :: v_dual_add_nc_u32 v8, 0x2c0, v13
	v_dual_mov_b32 v2, 0 :: v_dual_add_nc_u32 v7, -1, v134
	v_or_b32_e32 v9, 8, v14
	s_mov_b32 s3, 0
	s_delay_alu instid0(VALU_DEP_2)
	v_dual_mov_b32 v4, v2 :: v_dual_mov_b32 v3, v1
	.p2align	6
.LBB107_109:                            ; =>This Inner Loop Header: Depth=1
	scratch_load_b128 v[15:18], v9, off offset:-8
	ds_load_b128 v[19:22], v8
	v_add_nc_u32_e32 v7, 1, v7
	v_add_nc_u32_e32 v8, 16, v8
	;; [unrolled: 1-line block ×3, first 2 shown]
	s_delay_alu instid0(VALU_DEP_3) | instskip(SKIP_4) | instid1(VALU_DEP_2)
	v_cmp_lt_u32_e32 vcc_lo, 22, v7
	s_or_b32 s3, vcc_lo, s3
	s_waitcnt vmcnt(0) lgkmcnt(0)
	v_mul_f64 v[10:11], v[21:22], v[17:18]
	v_mul_f64 v[17:18], v[19:20], v[17:18]
	v_fma_f64 v[10:11], v[19:20], v[15:16], -v[10:11]
	s_delay_alu instid0(VALU_DEP_2) | instskip(NEXT) | instid1(VALU_DEP_2)
	v_fma_f64 v[15:16], v[21:22], v[15:16], v[17:18]
	v_add_f64 v[3:4], v[3:4], v[10:11]
	s_delay_alu instid0(VALU_DEP_2)
	v_add_f64 v[1:2], v[1:2], v[15:16]
	s_and_not1_b32 exec_lo, exec_lo, s3
	s_cbranch_execnz .LBB107_109
; %bb.110:
	s_or_b32 exec_lo, exec_lo, s3
	v_mov_b32_e32 v7, 0
	ds_load_b128 v[7:10], v7 offset:384
	s_waitcnt lgkmcnt(0)
	v_mul_f64 v[11:12], v[1:2], v[9:10]
	v_mul_f64 v[15:16], v[3:4], v[9:10]
	s_delay_alu instid0(VALU_DEP_2) | instskip(NEXT) | instid1(VALU_DEP_2)
	v_fma_f64 v[9:10], v[3:4], v[7:8], -v[11:12]
	v_fma_f64 v[11:12], v[1:2], v[7:8], v[15:16]
	scratch_store_b128 off, v[9:12], off offset:384
.LBB107_111:
	s_or_b32 exec_lo, exec_lo, s2
	s_waitcnt_vscnt null, 0x0
	s_barrier
	buffer_gl0_inv
	scratch_load_b128 v[1:4], v152, off
	s_mov_b32 s2, exec_lo
	s_waitcnt vmcnt(0)
	ds_store_b128 v5, v[1:4]
	s_waitcnt lgkmcnt(0)
	s_barrier
	buffer_gl0_inv
	v_cmpx_gt_u32_e32 25, v134
	s_cbranch_execz .LBB107_115
; %bb.112:
	v_dual_mov_b32 v1, 0 :: v_dual_add_nc_u32 v8, 0x2c0, v13
	v_dual_mov_b32 v2, 0 :: v_dual_add_nc_u32 v7, -1, v134
	v_or_b32_e32 v9, 8, v14
	s_mov_b32 s3, 0
	s_delay_alu instid0(VALU_DEP_2)
	v_dual_mov_b32 v4, v2 :: v_dual_mov_b32 v3, v1
	.p2align	6
.LBB107_113:                            ; =>This Inner Loop Header: Depth=1
	scratch_load_b128 v[15:18], v9, off offset:-8
	ds_load_b128 v[19:22], v8
	v_add_nc_u32_e32 v7, 1, v7
	v_add_nc_u32_e32 v8, 16, v8
	;; [unrolled: 1-line block ×3, first 2 shown]
	s_delay_alu instid0(VALU_DEP_3) | instskip(SKIP_4) | instid1(VALU_DEP_2)
	v_cmp_lt_u32_e32 vcc_lo, 23, v7
	s_or_b32 s3, vcc_lo, s3
	s_waitcnt vmcnt(0) lgkmcnt(0)
	v_mul_f64 v[10:11], v[21:22], v[17:18]
	v_mul_f64 v[17:18], v[19:20], v[17:18]
	v_fma_f64 v[10:11], v[19:20], v[15:16], -v[10:11]
	s_delay_alu instid0(VALU_DEP_2) | instskip(NEXT) | instid1(VALU_DEP_2)
	v_fma_f64 v[15:16], v[21:22], v[15:16], v[17:18]
	v_add_f64 v[3:4], v[3:4], v[10:11]
	s_delay_alu instid0(VALU_DEP_2)
	v_add_f64 v[1:2], v[1:2], v[15:16]
	s_and_not1_b32 exec_lo, exec_lo, s3
	s_cbranch_execnz .LBB107_113
; %bb.114:
	s_or_b32 exec_lo, exec_lo, s3
	v_mov_b32_e32 v7, 0
	ds_load_b128 v[7:10], v7 offset:400
	s_waitcnt lgkmcnt(0)
	v_mul_f64 v[11:12], v[1:2], v[9:10]
	v_mul_f64 v[15:16], v[3:4], v[9:10]
	s_delay_alu instid0(VALU_DEP_2) | instskip(NEXT) | instid1(VALU_DEP_2)
	v_fma_f64 v[9:10], v[3:4], v[7:8], -v[11:12]
	v_fma_f64 v[11:12], v[1:2], v[7:8], v[15:16]
	scratch_store_b128 off, v[9:12], off offset:400
.LBB107_115:
	s_or_b32 exec_lo, exec_lo, s2
	s_waitcnt_vscnt null, 0x0
	s_barrier
	buffer_gl0_inv
	scratch_load_b128 v[1:4], v150, off
	s_mov_b32 s2, exec_lo
	s_waitcnt vmcnt(0)
	ds_store_b128 v5, v[1:4]
	s_waitcnt lgkmcnt(0)
	s_barrier
	buffer_gl0_inv
	v_cmpx_gt_u32_e32 26, v134
	s_cbranch_execz .LBB107_119
; %bb.116:
	v_dual_mov_b32 v1, 0 :: v_dual_add_nc_u32 v8, 0x2c0, v13
	v_dual_mov_b32 v2, 0 :: v_dual_add_nc_u32 v7, -1, v134
	v_or_b32_e32 v9, 8, v14
	s_mov_b32 s3, 0
	s_delay_alu instid0(VALU_DEP_2)
	v_dual_mov_b32 v4, v2 :: v_dual_mov_b32 v3, v1
	.p2align	6
.LBB107_117:                            ; =>This Inner Loop Header: Depth=1
	scratch_load_b128 v[15:18], v9, off offset:-8
	ds_load_b128 v[19:22], v8
	v_add_nc_u32_e32 v7, 1, v7
	v_add_nc_u32_e32 v8, 16, v8
	;; [unrolled: 1-line block ×3, first 2 shown]
	s_delay_alu instid0(VALU_DEP_3) | instskip(SKIP_4) | instid1(VALU_DEP_2)
	v_cmp_lt_u32_e32 vcc_lo, 24, v7
	s_or_b32 s3, vcc_lo, s3
	s_waitcnt vmcnt(0) lgkmcnt(0)
	v_mul_f64 v[10:11], v[21:22], v[17:18]
	v_mul_f64 v[17:18], v[19:20], v[17:18]
	v_fma_f64 v[10:11], v[19:20], v[15:16], -v[10:11]
	s_delay_alu instid0(VALU_DEP_2) | instskip(NEXT) | instid1(VALU_DEP_2)
	v_fma_f64 v[15:16], v[21:22], v[15:16], v[17:18]
	v_add_f64 v[3:4], v[3:4], v[10:11]
	s_delay_alu instid0(VALU_DEP_2)
	v_add_f64 v[1:2], v[1:2], v[15:16]
	s_and_not1_b32 exec_lo, exec_lo, s3
	s_cbranch_execnz .LBB107_117
; %bb.118:
	s_or_b32 exec_lo, exec_lo, s3
	v_mov_b32_e32 v7, 0
	ds_load_b128 v[7:10], v7 offset:416
	s_waitcnt lgkmcnt(0)
	v_mul_f64 v[11:12], v[1:2], v[9:10]
	v_mul_f64 v[15:16], v[3:4], v[9:10]
	s_delay_alu instid0(VALU_DEP_2) | instskip(NEXT) | instid1(VALU_DEP_2)
	v_fma_f64 v[9:10], v[3:4], v[7:8], -v[11:12]
	v_fma_f64 v[11:12], v[1:2], v[7:8], v[15:16]
	scratch_store_b128 off, v[9:12], off offset:416
.LBB107_119:
	s_or_b32 exec_lo, exec_lo, s2
	s_waitcnt_vscnt null, 0x0
	s_barrier
	buffer_gl0_inv
	scratch_load_b128 v[1:4], v149, off
	s_mov_b32 s2, exec_lo
	s_waitcnt vmcnt(0)
	ds_store_b128 v5, v[1:4]
	s_waitcnt lgkmcnt(0)
	s_barrier
	buffer_gl0_inv
	v_cmpx_gt_u32_e32 27, v134
	s_cbranch_execz .LBB107_123
; %bb.120:
	v_dual_mov_b32 v1, 0 :: v_dual_add_nc_u32 v8, 0x2c0, v13
	v_dual_mov_b32 v2, 0 :: v_dual_add_nc_u32 v7, -1, v134
	v_or_b32_e32 v9, 8, v14
	s_mov_b32 s3, 0
	s_delay_alu instid0(VALU_DEP_2)
	v_dual_mov_b32 v4, v2 :: v_dual_mov_b32 v3, v1
	.p2align	6
.LBB107_121:                            ; =>This Inner Loop Header: Depth=1
	scratch_load_b128 v[15:18], v9, off offset:-8
	ds_load_b128 v[19:22], v8
	v_add_nc_u32_e32 v7, 1, v7
	v_add_nc_u32_e32 v8, 16, v8
	;; [unrolled: 1-line block ×3, first 2 shown]
	s_delay_alu instid0(VALU_DEP_3) | instskip(SKIP_4) | instid1(VALU_DEP_2)
	v_cmp_lt_u32_e32 vcc_lo, 25, v7
	s_or_b32 s3, vcc_lo, s3
	s_waitcnt vmcnt(0) lgkmcnt(0)
	v_mul_f64 v[10:11], v[21:22], v[17:18]
	v_mul_f64 v[17:18], v[19:20], v[17:18]
	v_fma_f64 v[10:11], v[19:20], v[15:16], -v[10:11]
	s_delay_alu instid0(VALU_DEP_2) | instskip(NEXT) | instid1(VALU_DEP_2)
	v_fma_f64 v[15:16], v[21:22], v[15:16], v[17:18]
	v_add_f64 v[3:4], v[3:4], v[10:11]
	s_delay_alu instid0(VALU_DEP_2)
	v_add_f64 v[1:2], v[1:2], v[15:16]
	s_and_not1_b32 exec_lo, exec_lo, s3
	s_cbranch_execnz .LBB107_121
; %bb.122:
	s_or_b32 exec_lo, exec_lo, s3
	v_mov_b32_e32 v7, 0
	ds_load_b128 v[7:10], v7 offset:432
	s_waitcnt lgkmcnt(0)
	v_mul_f64 v[11:12], v[1:2], v[9:10]
	v_mul_f64 v[15:16], v[3:4], v[9:10]
	s_delay_alu instid0(VALU_DEP_2) | instskip(NEXT) | instid1(VALU_DEP_2)
	v_fma_f64 v[9:10], v[3:4], v[7:8], -v[11:12]
	v_fma_f64 v[11:12], v[1:2], v[7:8], v[15:16]
	scratch_store_b128 off, v[9:12], off offset:432
.LBB107_123:
	s_or_b32 exec_lo, exec_lo, s2
	s_waitcnt_vscnt null, 0x0
	s_barrier
	buffer_gl0_inv
	scratch_load_b128 v[1:4], v147, off
	s_mov_b32 s2, exec_lo
	s_waitcnt vmcnt(0)
	ds_store_b128 v5, v[1:4]
	s_waitcnt lgkmcnt(0)
	s_barrier
	buffer_gl0_inv
	v_cmpx_gt_u32_e32 28, v134
	s_cbranch_execz .LBB107_127
; %bb.124:
	v_dual_mov_b32 v1, 0 :: v_dual_add_nc_u32 v8, 0x2c0, v13
	v_dual_mov_b32 v2, 0 :: v_dual_add_nc_u32 v7, -1, v134
	v_or_b32_e32 v9, 8, v14
	s_mov_b32 s3, 0
	s_delay_alu instid0(VALU_DEP_2)
	v_dual_mov_b32 v4, v2 :: v_dual_mov_b32 v3, v1
	.p2align	6
.LBB107_125:                            ; =>This Inner Loop Header: Depth=1
	scratch_load_b128 v[15:18], v9, off offset:-8
	ds_load_b128 v[19:22], v8
	v_add_nc_u32_e32 v7, 1, v7
	v_add_nc_u32_e32 v8, 16, v8
	;; [unrolled: 1-line block ×3, first 2 shown]
	s_delay_alu instid0(VALU_DEP_3) | instskip(SKIP_4) | instid1(VALU_DEP_2)
	v_cmp_lt_u32_e32 vcc_lo, 26, v7
	s_or_b32 s3, vcc_lo, s3
	s_waitcnt vmcnt(0) lgkmcnt(0)
	v_mul_f64 v[10:11], v[21:22], v[17:18]
	v_mul_f64 v[17:18], v[19:20], v[17:18]
	v_fma_f64 v[10:11], v[19:20], v[15:16], -v[10:11]
	s_delay_alu instid0(VALU_DEP_2) | instskip(NEXT) | instid1(VALU_DEP_2)
	v_fma_f64 v[15:16], v[21:22], v[15:16], v[17:18]
	v_add_f64 v[3:4], v[3:4], v[10:11]
	s_delay_alu instid0(VALU_DEP_2)
	v_add_f64 v[1:2], v[1:2], v[15:16]
	s_and_not1_b32 exec_lo, exec_lo, s3
	s_cbranch_execnz .LBB107_125
; %bb.126:
	s_or_b32 exec_lo, exec_lo, s3
	v_mov_b32_e32 v7, 0
	ds_load_b128 v[7:10], v7 offset:448
	s_waitcnt lgkmcnt(0)
	v_mul_f64 v[11:12], v[1:2], v[9:10]
	v_mul_f64 v[15:16], v[3:4], v[9:10]
	s_delay_alu instid0(VALU_DEP_2) | instskip(NEXT) | instid1(VALU_DEP_2)
	v_fma_f64 v[9:10], v[3:4], v[7:8], -v[11:12]
	v_fma_f64 v[11:12], v[1:2], v[7:8], v[15:16]
	scratch_store_b128 off, v[9:12], off offset:448
.LBB107_127:
	s_or_b32 exec_lo, exec_lo, s2
	s_waitcnt_vscnt null, 0x0
	s_barrier
	buffer_gl0_inv
	scratch_load_b128 v[1:4], v145, off
	s_mov_b32 s2, exec_lo
	s_waitcnt vmcnt(0)
	ds_store_b128 v5, v[1:4]
	s_waitcnt lgkmcnt(0)
	s_barrier
	buffer_gl0_inv
	v_cmpx_gt_u32_e32 29, v134
	s_cbranch_execz .LBB107_131
; %bb.128:
	v_dual_mov_b32 v1, 0 :: v_dual_add_nc_u32 v8, 0x2c0, v13
	v_dual_mov_b32 v2, 0 :: v_dual_add_nc_u32 v7, -1, v134
	v_or_b32_e32 v9, 8, v14
	s_mov_b32 s3, 0
	s_delay_alu instid0(VALU_DEP_2)
	v_dual_mov_b32 v4, v2 :: v_dual_mov_b32 v3, v1
	.p2align	6
.LBB107_129:                            ; =>This Inner Loop Header: Depth=1
	scratch_load_b128 v[15:18], v9, off offset:-8
	ds_load_b128 v[19:22], v8
	v_add_nc_u32_e32 v7, 1, v7
	v_add_nc_u32_e32 v8, 16, v8
	;; [unrolled: 1-line block ×3, first 2 shown]
	s_delay_alu instid0(VALU_DEP_3) | instskip(SKIP_4) | instid1(VALU_DEP_2)
	v_cmp_lt_u32_e32 vcc_lo, 27, v7
	s_or_b32 s3, vcc_lo, s3
	s_waitcnt vmcnt(0) lgkmcnt(0)
	v_mul_f64 v[10:11], v[21:22], v[17:18]
	v_mul_f64 v[17:18], v[19:20], v[17:18]
	v_fma_f64 v[10:11], v[19:20], v[15:16], -v[10:11]
	s_delay_alu instid0(VALU_DEP_2) | instskip(NEXT) | instid1(VALU_DEP_2)
	v_fma_f64 v[15:16], v[21:22], v[15:16], v[17:18]
	v_add_f64 v[3:4], v[3:4], v[10:11]
	s_delay_alu instid0(VALU_DEP_2)
	v_add_f64 v[1:2], v[1:2], v[15:16]
	s_and_not1_b32 exec_lo, exec_lo, s3
	s_cbranch_execnz .LBB107_129
; %bb.130:
	s_or_b32 exec_lo, exec_lo, s3
	v_mov_b32_e32 v7, 0
	ds_load_b128 v[7:10], v7 offset:464
	s_waitcnt lgkmcnt(0)
	v_mul_f64 v[11:12], v[1:2], v[9:10]
	v_mul_f64 v[15:16], v[3:4], v[9:10]
	s_delay_alu instid0(VALU_DEP_2) | instskip(NEXT) | instid1(VALU_DEP_2)
	v_fma_f64 v[9:10], v[3:4], v[7:8], -v[11:12]
	v_fma_f64 v[11:12], v[1:2], v[7:8], v[15:16]
	scratch_store_b128 off, v[9:12], off offset:464
.LBB107_131:
	s_or_b32 exec_lo, exec_lo, s2
	s_waitcnt_vscnt null, 0x0
	s_barrier
	buffer_gl0_inv
	scratch_load_b128 v[1:4], v143, off
	s_mov_b32 s2, exec_lo
	s_waitcnt vmcnt(0)
	ds_store_b128 v5, v[1:4]
	s_waitcnt lgkmcnt(0)
	s_barrier
	buffer_gl0_inv
	v_cmpx_gt_u32_e32 30, v134
	s_cbranch_execz .LBB107_135
; %bb.132:
	v_dual_mov_b32 v1, 0 :: v_dual_add_nc_u32 v8, 0x2c0, v13
	v_dual_mov_b32 v2, 0 :: v_dual_add_nc_u32 v7, -1, v134
	v_or_b32_e32 v9, 8, v14
	s_mov_b32 s3, 0
	s_delay_alu instid0(VALU_DEP_2)
	v_dual_mov_b32 v4, v2 :: v_dual_mov_b32 v3, v1
	.p2align	6
.LBB107_133:                            ; =>This Inner Loop Header: Depth=1
	scratch_load_b128 v[15:18], v9, off offset:-8
	ds_load_b128 v[19:22], v8
	v_add_nc_u32_e32 v7, 1, v7
	v_add_nc_u32_e32 v8, 16, v8
	;; [unrolled: 1-line block ×3, first 2 shown]
	s_delay_alu instid0(VALU_DEP_3) | instskip(SKIP_4) | instid1(VALU_DEP_2)
	v_cmp_lt_u32_e32 vcc_lo, 28, v7
	s_or_b32 s3, vcc_lo, s3
	s_waitcnt vmcnt(0) lgkmcnt(0)
	v_mul_f64 v[10:11], v[21:22], v[17:18]
	v_mul_f64 v[17:18], v[19:20], v[17:18]
	v_fma_f64 v[10:11], v[19:20], v[15:16], -v[10:11]
	s_delay_alu instid0(VALU_DEP_2) | instskip(NEXT) | instid1(VALU_DEP_2)
	v_fma_f64 v[15:16], v[21:22], v[15:16], v[17:18]
	v_add_f64 v[3:4], v[3:4], v[10:11]
	s_delay_alu instid0(VALU_DEP_2)
	v_add_f64 v[1:2], v[1:2], v[15:16]
	s_and_not1_b32 exec_lo, exec_lo, s3
	s_cbranch_execnz .LBB107_133
; %bb.134:
	s_or_b32 exec_lo, exec_lo, s3
	v_mov_b32_e32 v7, 0
	ds_load_b128 v[7:10], v7 offset:480
	s_waitcnt lgkmcnt(0)
	v_mul_f64 v[11:12], v[1:2], v[9:10]
	v_mul_f64 v[15:16], v[3:4], v[9:10]
	s_delay_alu instid0(VALU_DEP_2) | instskip(NEXT) | instid1(VALU_DEP_2)
	v_fma_f64 v[9:10], v[3:4], v[7:8], -v[11:12]
	v_fma_f64 v[11:12], v[1:2], v[7:8], v[15:16]
	scratch_store_b128 off, v[9:12], off offset:480
.LBB107_135:
	s_or_b32 exec_lo, exec_lo, s2
	s_waitcnt_vscnt null, 0x0
	s_barrier
	buffer_gl0_inv
	scratch_load_b128 v[1:4], v142, off
	s_mov_b32 s2, exec_lo
	s_waitcnt vmcnt(0)
	ds_store_b128 v5, v[1:4]
	s_waitcnt lgkmcnt(0)
	s_barrier
	buffer_gl0_inv
	v_cmpx_gt_u32_e32 31, v134
	s_cbranch_execz .LBB107_139
; %bb.136:
	v_dual_mov_b32 v1, 0 :: v_dual_add_nc_u32 v8, 0x2c0, v13
	v_dual_mov_b32 v2, 0 :: v_dual_add_nc_u32 v7, -1, v134
	v_or_b32_e32 v9, 8, v14
	s_mov_b32 s3, 0
	s_delay_alu instid0(VALU_DEP_2)
	v_dual_mov_b32 v4, v2 :: v_dual_mov_b32 v3, v1
	.p2align	6
.LBB107_137:                            ; =>This Inner Loop Header: Depth=1
	scratch_load_b128 v[15:18], v9, off offset:-8
	ds_load_b128 v[19:22], v8
	v_add_nc_u32_e32 v7, 1, v7
	v_add_nc_u32_e32 v8, 16, v8
	;; [unrolled: 1-line block ×3, first 2 shown]
	s_delay_alu instid0(VALU_DEP_3) | instskip(SKIP_4) | instid1(VALU_DEP_2)
	v_cmp_lt_u32_e32 vcc_lo, 29, v7
	s_or_b32 s3, vcc_lo, s3
	s_waitcnt vmcnt(0) lgkmcnt(0)
	v_mul_f64 v[10:11], v[21:22], v[17:18]
	v_mul_f64 v[17:18], v[19:20], v[17:18]
	v_fma_f64 v[10:11], v[19:20], v[15:16], -v[10:11]
	s_delay_alu instid0(VALU_DEP_2) | instskip(NEXT) | instid1(VALU_DEP_2)
	v_fma_f64 v[15:16], v[21:22], v[15:16], v[17:18]
	v_add_f64 v[3:4], v[3:4], v[10:11]
	s_delay_alu instid0(VALU_DEP_2)
	v_add_f64 v[1:2], v[1:2], v[15:16]
	s_and_not1_b32 exec_lo, exec_lo, s3
	s_cbranch_execnz .LBB107_137
; %bb.138:
	s_or_b32 exec_lo, exec_lo, s3
	v_mov_b32_e32 v7, 0
	ds_load_b128 v[7:10], v7 offset:496
	s_waitcnt lgkmcnt(0)
	v_mul_f64 v[11:12], v[1:2], v[9:10]
	v_mul_f64 v[15:16], v[3:4], v[9:10]
	s_delay_alu instid0(VALU_DEP_2) | instskip(NEXT) | instid1(VALU_DEP_2)
	v_fma_f64 v[9:10], v[3:4], v[7:8], -v[11:12]
	v_fma_f64 v[11:12], v[1:2], v[7:8], v[15:16]
	scratch_store_b128 off, v[9:12], off offset:496
.LBB107_139:
	s_or_b32 exec_lo, exec_lo, s2
	s_waitcnt_vscnt null, 0x0
	s_barrier
	buffer_gl0_inv
	scratch_load_b128 v[1:4], v141, off
	s_mov_b32 s2, exec_lo
	s_waitcnt vmcnt(0)
	ds_store_b128 v5, v[1:4]
	s_waitcnt lgkmcnt(0)
	s_barrier
	buffer_gl0_inv
	v_cmpx_gt_u32_e32 32, v134
	s_cbranch_execz .LBB107_143
; %bb.140:
	v_dual_mov_b32 v1, 0 :: v_dual_add_nc_u32 v8, 0x2c0, v13
	v_dual_mov_b32 v2, 0 :: v_dual_add_nc_u32 v7, -1, v134
	v_or_b32_e32 v9, 8, v14
	s_mov_b32 s3, 0
	s_delay_alu instid0(VALU_DEP_2)
	v_dual_mov_b32 v4, v2 :: v_dual_mov_b32 v3, v1
	.p2align	6
.LBB107_141:                            ; =>This Inner Loop Header: Depth=1
	scratch_load_b128 v[15:18], v9, off offset:-8
	ds_load_b128 v[19:22], v8
	v_add_nc_u32_e32 v7, 1, v7
	v_add_nc_u32_e32 v8, 16, v8
	;; [unrolled: 1-line block ×3, first 2 shown]
	s_delay_alu instid0(VALU_DEP_3) | instskip(SKIP_4) | instid1(VALU_DEP_2)
	v_cmp_lt_u32_e32 vcc_lo, 30, v7
	s_or_b32 s3, vcc_lo, s3
	s_waitcnt vmcnt(0) lgkmcnt(0)
	v_mul_f64 v[10:11], v[21:22], v[17:18]
	v_mul_f64 v[17:18], v[19:20], v[17:18]
	v_fma_f64 v[10:11], v[19:20], v[15:16], -v[10:11]
	s_delay_alu instid0(VALU_DEP_2) | instskip(NEXT) | instid1(VALU_DEP_2)
	v_fma_f64 v[15:16], v[21:22], v[15:16], v[17:18]
	v_add_f64 v[3:4], v[3:4], v[10:11]
	s_delay_alu instid0(VALU_DEP_2)
	v_add_f64 v[1:2], v[1:2], v[15:16]
	s_and_not1_b32 exec_lo, exec_lo, s3
	s_cbranch_execnz .LBB107_141
; %bb.142:
	s_or_b32 exec_lo, exec_lo, s3
	v_mov_b32_e32 v7, 0
	ds_load_b128 v[7:10], v7 offset:512
	s_waitcnt lgkmcnt(0)
	v_mul_f64 v[11:12], v[1:2], v[9:10]
	v_mul_f64 v[15:16], v[3:4], v[9:10]
	s_delay_alu instid0(VALU_DEP_2) | instskip(NEXT) | instid1(VALU_DEP_2)
	v_fma_f64 v[9:10], v[3:4], v[7:8], -v[11:12]
	v_fma_f64 v[11:12], v[1:2], v[7:8], v[15:16]
	scratch_store_b128 off, v[9:12], off offset:512
.LBB107_143:
	s_or_b32 exec_lo, exec_lo, s2
	s_waitcnt_vscnt null, 0x0
	s_barrier
	buffer_gl0_inv
	scratch_load_b128 v[1:4], v140, off
	s_mov_b32 s2, exec_lo
	s_waitcnt vmcnt(0)
	ds_store_b128 v5, v[1:4]
	s_waitcnt lgkmcnt(0)
	s_barrier
	buffer_gl0_inv
	v_cmpx_gt_u32_e32 33, v134
	s_cbranch_execz .LBB107_147
; %bb.144:
	v_dual_mov_b32 v1, 0 :: v_dual_add_nc_u32 v8, 0x2c0, v13
	v_dual_mov_b32 v2, 0 :: v_dual_add_nc_u32 v7, -1, v134
	v_or_b32_e32 v9, 8, v14
	s_mov_b32 s3, 0
	s_delay_alu instid0(VALU_DEP_2)
	v_dual_mov_b32 v4, v2 :: v_dual_mov_b32 v3, v1
	.p2align	6
.LBB107_145:                            ; =>This Inner Loop Header: Depth=1
	scratch_load_b128 v[15:18], v9, off offset:-8
	ds_load_b128 v[19:22], v8
	v_add_nc_u32_e32 v7, 1, v7
	v_add_nc_u32_e32 v8, 16, v8
	;; [unrolled: 1-line block ×3, first 2 shown]
	s_delay_alu instid0(VALU_DEP_3) | instskip(SKIP_4) | instid1(VALU_DEP_2)
	v_cmp_lt_u32_e32 vcc_lo, 31, v7
	s_or_b32 s3, vcc_lo, s3
	s_waitcnt vmcnt(0) lgkmcnt(0)
	v_mul_f64 v[10:11], v[21:22], v[17:18]
	v_mul_f64 v[17:18], v[19:20], v[17:18]
	v_fma_f64 v[10:11], v[19:20], v[15:16], -v[10:11]
	s_delay_alu instid0(VALU_DEP_2) | instskip(NEXT) | instid1(VALU_DEP_2)
	v_fma_f64 v[15:16], v[21:22], v[15:16], v[17:18]
	v_add_f64 v[3:4], v[3:4], v[10:11]
	s_delay_alu instid0(VALU_DEP_2)
	v_add_f64 v[1:2], v[1:2], v[15:16]
	s_and_not1_b32 exec_lo, exec_lo, s3
	s_cbranch_execnz .LBB107_145
; %bb.146:
	s_or_b32 exec_lo, exec_lo, s3
	v_mov_b32_e32 v7, 0
	ds_load_b128 v[7:10], v7 offset:528
	s_waitcnt lgkmcnt(0)
	v_mul_f64 v[11:12], v[1:2], v[9:10]
	v_mul_f64 v[15:16], v[3:4], v[9:10]
	s_delay_alu instid0(VALU_DEP_2) | instskip(NEXT) | instid1(VALU_DEP_2)
	v_fma_f64 v[9:10], v[3:4], v[7:8], -v[11:12]
	v_fma_f64 v[11:12], v[1:2], v[7:8], v[15:16]
	scratch_store_b128 off, v[9:12], off offset:528
.LBB107_147:
	s_or_b32 exec_lo, exec_lo, s2
	s_waitcnt_vscnt null, 0x0
	s_barrier
	buffer_gl0_inv
	scratch_load_b128 v[1:4], v139, off
	s_mov_b32 s2, exec_lo
	s_waitcnt vmcnt(0)
	ds_store_b128 v5, v[1:4]
	s_waitcnt lgkmcnt(0)
	s_barrier
	buffer_gl0_inv
	v_cmpx_gt_u32_e32 34, v134
	s_cbranch_execz .LBB107_151
; %bb.148:
	v_dual_mov_b32 v1, 0 :: v_dual_add_nc_u32 v8, 0x2c0, v13
	v_dual_mov_b32 v2, 0 :: v_dual_add_nc_u32 v7, -1, v134
	v_or_b32_e32 v9, 8, v14
	s_mov_b32 s3, 0
	s_delay_alu instid0(VALU_DEP_2)
	v_dual_mov_b32 v4, v2 :: v_dual_mov_b32 v3, v1
	.p2align	6
.LBB107_149:                            ; =>This Inner Loop Header: Depth=1
	scratch_load_b128 v[15:18], v9, off offset:-8
	ds_load_b128 v[19:22], v8
	v_add_nc_u32_e32 v7, 1, v7
	v_add_nc_u32_e32 v8, 16, v8
	;; [unrolled: 1-line block ×3, first 2 shown]
	s_delay_alu instid0(VALU_DEP_3) | instskip(SKIP_4) | instid1(VALU_DEP_2)
	v_cmp_lt_u32_e32 vcc_lo, 32, v7
	s_or_b32 s3, vcc_lo, s3
	s_waitcnt vmcnt(0) lgkmcnt(0)
	v_mul_f64 v[10:11], v[21:22], v[17:18]
	v_mul_f64 v[17:18], v[19:20], v[17:18]
	v_fma_f64 v[10:11], v[19:20], v[15:16], -v[10:11]
	s_delay_alu instid0(VALU_DEP_2) | instskip(NEXT) | instid1(VALU_DEP_2)
	v_fma_f64 v[15:16], v[21:22], v[15:16], v[17:18]
	v_add_f64 v[3:4], v[3:4], v[10:11]
	s_delay_alu instid0(VALU_DEP_2)
	v_add_f64 v[1:2], v[1:2], v[15:16]
	s_and_not1_b32 exec_lo, exec_lo, s3
	s_cbranch_execnz .LBB107_149
; %bb.150:
	s_or_b32 exec_lo, exec_lo, s3
	v_mov_b32_e32 v7, 0
	ds_load_b128 v[7:10], v7 offset:544
	s_waitcnt lgkmcnt(0)
	v_mul_f64 v[11:12], v[1:2], v[9:10]
	v_mul_f64 v[15:16], v[3:4], v[9:10]
	s_delay_alu instid0(VALU_DEP_2) | instskip(NEXT) | instid1(VALU_DEP_2)
	v_fma_f64 v[9:10], v[3:4], v[7:8], -v[11:12]
	v_fma_f64 v[11:12], v[1:2], v[7:8], v[15:16]
	scratch_store_b128 off, v[9:12], off offset:544
.LBB107_151:
	s_or_b32 exec_lo, exec_lo, s2
	s_waitcnt_vscnt null, 0x0
	s_barrier
	buffer_gl0_inv
	scratch_load_b128 v[1:4], v138, off
	s_mov_b32 s2, exec_lo
	s_waitcnt vmcnt(0)
	ds_store_b128 v5, v[1:4]
	s_waitcnt lgkmcnt(0)
	s_barrier
	buffer_gl0_inv
	v_cmpx_gt_u32_e32 35, v134
	s_cbranch_execz .LBB107_155
; %bb.152:
	v_dual_mov_b32 v1, 0 :: v_dual_add_nc_u32 v8, 0x2c0, v13
	v_dual_mov_b32 v2, 0 :: v_dual_add_nc_u32 v7, -1, v134
	v_or_b32_e32 v9, 8, v14
	s_mov_b32 s3, 0
	s_delay_alu instid0(VALU_DEP_2)
	v_dual_mov_b32 v4, v2 :: v_dual_mov_b32 v3, v1
	.p2align	6
.LBB107_153:                            ; =>This Inner Loop Header: Depth=1
	scratch_load_b128 v[15:18], v9, off offset:-8
	ds_load_b128 v[19:22], v8
	v_add_nc_u32_e32 v7, 1, v7
	v_add_nc_u32_e32 v8, 16, v8
	;; [unrolled: 1-line block ×3, first 2 shown]
	s_delay_alu instid0(VALU_DEP_3) | instskip(SKIP_4) | instid1(VALU_DEP_2)
	v_cmp_lt_u32_e32 vcc_lo, 33, v7
	s_or_b32 s3, vcc_lo, s3
	s_waitcnt vmcnt(0) lgkmcnt(0)
	v_mul_f64 v[10:11], v[21:22], v[17:18]
	v_mul_f64 v[17:18], v[19:20], v[17:18]
	v_fma_f64 v[10:11], v[19:20], v[15:16], -v[10:11]
	s_delay_alu instid0(VALU_DEP_2) | instskip(NEXT) | instid1(VALU_DEP_2)
	v_fma_f64 v[15:16], v[21:22], v[15:16], v[17:18]
	v_add_f64 v[3:4], v[3:4], v[10:11]
	s_delay_alu instid0(VALU_DEP_2)
	v_add_f64 v[1:2], v[1:2], v[15:16]
	s_and_not1_b32 exec_lo, exec_lo, s3
	s_cbranch_execnz .LBB107_153
; %bb.154:
	s_or_b32 exec_lo, exec_lo, s3
	v_mov_b32_e32 v7, 0
	ds_load_b128 v[7:10], v7 offset:560
	s_waitcnt lgkmcnt(0)
	v_mul_f64 v[11:12], v[1:2], v[9:10]
	v_mul_f64 v[15:16], v[3:4], v[9:10]
	s_delay_alu instid0(VALU_DEP_2) | instskip(NEXT) | instid1(VALU_DEP_2)
	v_fma_f64 v[9:10], v[3:4], v[7:8], -v[11:12]
	v_fma_f64 v[11:12], v[1:2], v[7:8], v[15:16]
	scratch_store_b128 off, v[9:12], off offset:560
.LBB107_155:
	s_or_b32 exec_lo, exec_lo, s2
	s_waitcnt_vscnt null, 0x0
	s_barrier
	buffer_gl0_inv
	scratch_load_b128 v[1:4], v137, off
	s_mov_b32 s2, exec_lo
	s_waitcnt vmcnt(0)
	ds_store_b128 v5, v[1:4]
	s_waitcnt lgkmcnt(0)
	s_barrier
	buffer_gl0_inv
	v_cmpx_gt_u32_e32 36, v134
	s_cbranch_execz .LBB107_159
; %bb.156:
	v_dual_mov_b32 v1, 0 :: v_dual_add_nc_u32 v8, 0x2c0, v13
	v_dual_mov_b32 v2, 0 :: v_dual_add_nc_u32 v7, -1, v134
	v_or_b32_e32 v9, 8, v14
	s_mov_b32 s3, 0
	s_delay_alu instid0(VALU_DEP_2)
	v_dual_mov_b32 v4, v2 :: v_dual_mov_b32 v3, v1
	.p2align	6
.LBB107_157:                            ; =>This Inner Loop Header: Depth=1
	scratch_load_b128 v[15:18], v9, off offset:-8
	ds_load_b128 v[19:22], v8
	v_add_nc_u32_e32 v7, 1, v7
	v_add_nc_u32_e32 v8, 16, v8
	;; [unrolled: 1-line block ×3, first 2 shown]
	s_delay_alu instid0(VALU_DEP_3) | instskip(SKIP_4) | instid1(VALU_DEP_2)
	v_cmp_lt_u32_e32 vcc_lo, 34, v7
	s_or_b32 s3, vcc_lo, s3
	s_waitcnt vmcnt(0) lgkmcnt(0)
	v_mul_f64 v[10:11], v[21:22], v[17:18]
	v_mul_f64 v[17:18], v[19:20], v[17:18]
	v_fma_f64 v[10:11], v[19:20], v[15:16], -v[10:11]
	s_delay_alu instid0(VALU_DEP_2) | instskip(NEXT) | instid1(VALU_DEP_2)
	v_fma_f64 v[15:16], v[21:22], v[15:16], v[17:18]
	v_add_f64 v[3:4], v[3:4], v[10:11]
	s_delay_alu instid0(VALU_DEP_2)
	v_add_f64 v[1:2], v[1:2], v[15:16]
	s_and_not1_b32 exec_lo, exec_lo, s3
	s_cbranch_execnz .LBB107_157
; %bb.158:
	s_or_b32 exec_lo, exec_lo, s3
	v_mov_b32_e32 v7, 0
	ds_load_b128 v[7:10], v7 offset:576
	s_waitcnt lgkmcnt(0)
	v_mul_f64 v[11:12], v[1:2], v[9:10]
	v_mul_f64 v[15:16], v[3:4], v[9:10]
	s_delay_alu instid0(VALU_DEP_2) | instskip(NEXT) | instid1(VALU_DEP_2)
	v_fma_f64 v[9:10], v[3:4], v[7:8], -v[11:12]
	v_fma_f64 v[11:12], v[1:2], v[7:8], v[15:16]
	scratch_store_b128 off, v[9:12], off offset:576
.LBB107_159:
	s_or_b32 exec_lo, exec_lo, s2
	s_waitcnt_vscnt null, 0x0
	s_barrier
	buffer_gl0_inv
	scratch_load_b128 v[1:4], v159, off
	s_mov_b32 s2, exec_lo
	s_waitcnt vmcnt(0)
	ds_store_b128 v5, v[1:4]
	s_waitcnt lgkmcnt(0)
	s_barrier
	buffer_gl0_inv
	v_cmpx_gt_u32_e32 37, v134
	s_cbranch_execz .LBB107_163
; %bb.160:
	v_dual_mov_b32 v1, 0 :: v_dual_add_nc_u32 v8, 0x2c0, v13
	v_dual_mov_b32 v2, 0 :: v_dual_add_nc_u32 v7, -1, v134
	v_or_b32_e32 v9, 8, v14
	s_mov_b32 s3, 0
	s_delay_alu instid0(VALU_DEP_2)
	v_dual_mov_b32 v4, v2 :: v_dual_mov_b32 v3, v1
	.p2align	6
.LBB107_161:                            ; =>This Inner Loop Header: Depth=1
	scratch_load_b128 v[15:18], v9, off offset:-8
	ds_load_b128 v[19:22], v8
	v_add_nc_u32_e32 v7, 1, v7
	v_add_nc_u32_e32 v8, 16, v8
	;; [unrolled: 1-line block ×3, first 2 shown]
	s_delay_alu instid0(VALU_DEP_3) | instskip(SKIP_4) | instid1(VALU_DEP_2)
	v_cmp_lt_u32_e32 vcc_lo, 35, v7
	s_or_b32 s3, vcc_lo, s3
	s_waitcnt vmcnt(0) lgkmcnt(0)
	v_mul_f64 v[10:11], v[21:22], v[17:18]
	v_mul_f64 v[17:18], v[19:20], v[17:18]
	v_fma_f64 v[10:11], v[19:20], v[15:16], -v[10:11]
	s_delay_alu instid0(VALU_DEP_2) | instskip(NEXT) | instid1(VALU_DEP_2)
	v_fma_f64 v[15:16], v[21:22], v[15:16], v[17:18]
	v_add_f64 v[3:4], v[3:4], v[10:11]
	s_delay_alu instid0(VALU_DEP_2)
	v_add_f64 v[1:2], v[1:2], v[15:16]
	s_and_not1_b32 exec_lo, exec_lo, s3
	s_cbranch_execnz .LBB107_161
; %bb.162:
	s_or_b32 exec_lo, exec_lo, s3
	v_mov_b32_e32 v7, 0
	ds_load_b128 v[7:10], v7 offset:592
	s_waitcnt lgkmcnt(0)
	v_mul_f64 v[11:12], v[1:2], v[9:10]
	v_mul_f64 v[15:16], v[3:4], v[9:10]
	s_delay_alu instid0(VALU_DEP_2) | instskip(NEXT) | instid1(VALU_DEP_2)
	v_fma_f64 v[9:10], v[3:4], v[7:8], -v[11:12]
	v_fma_f64 v[11:12], v[1:2], v[7:8], v[15:16]
	scratch_store_b128 off, v[9:12], off offset:592
.LBB107_163:
	s_or_b32 exec_lo, exec_lo, s2
	s_waitcnt_vscnt null, 0x0
	s_barrier
	buffer_gl0_inv
	scratch_load_b128 v[1:4], v155, off
	s_mov_b32 s2, exec_lo
	s_waitcnt vmcnt(0)
	ds_store_b128 v5, v[1:4]
	s_waitcnt lgkmcnt(0)
	s_barrier
	buffer_gl0_inv
	v_cmpx_gt_u32_e32 38, v134
	s_cbranch_execz .LBB107_167
; %bb.164:
	v_dual_mov_b32 v1, 0 :: v_dual_add_nc_u32 v8, 0x2c0, v13
	v_dual_mov_b32 v2, 0 :: v_dual_add_nc_u32 v7, -1, v134
	v_or_b32_e32 v9, 8, v14
	s_mov_b32 s3, 0
	s_delay_alu instid0(VALU_DEP_2)
	v_dual_mov_b32 v4, v2 :: v_dual_mov_b32 v3, v1
	.p2align	6
.LBB107_165:                            ; =>This Inner Loop Header: Depth=1
	scratch_load_b128 v[15:18], v9, off offset:-8
	ds_load_b128 v[19:22], v8
	v_add_nc_u32_e32 v7, 1, v7
	v_add_nc_u32_e32 v8, 16, v8
	;; [unrolled: 1-line block ×3, first 2 shown]
	s_delay_alu instid0(VALU_DEP_3) | instskip(SKIP_4) | instid1(VALU_DEP_2)
	v_cmp_lt_u32_e32 vcc_lo, 36, v7
	s_or_b32 s3, vcc_lo, s3
	s_waitcnt vmcnt(0) lgkmcnt(0)
	v_mul_f64 v[10:11], v[21:22], v[17:18]
	v_mul_f64 v[17:18], v[19:20], v[17:18]
	v_fma_f64 v[10:11], v[19:20], v[15:16], -v[10:11]
	s_delay_alu instid0(VALU_DEP_2) | instskip(NEXT) | instid1(VALU_DEP_2)
	v_fma_f64 v[15:16], v[21:22], v[15:16], v[17:18]
	v_add_f64 v[3:4], v[3:4], v[10:11]
	s_delay_alu instid0(VALU_DEP_2)
	v_add_f64 v[1:2], v[1:2], v[15:16]
	s_and_not1_b32 exec_lo, exec_lo, s3
	s_cbranch_execnz .LBB107_165
; %bb.166:
	s_or_b32 exec_lo, exec_lo, s3
	v_mov_b32_e32 v7, 0
	ds_load_b128 v[7:10], v7 offset:608
	s_waitcnt lgkmcnt(0)
	v_mul_f64 v[11:12], v[1:2], v[9:10]
	v_mul_f64 v[15:16], v[3:4], v[9:10]
	s_delay_alu instid0(VALU_DEP_2) | instskip(NEXT) | instid1(VALU_DEP_2)
	v_fma_f64 v[9:10], v[3:4], v[7:8], -v[11:12]
	v_fma_f64 v[11:12], v[1:2], v[7:8], v[15:16]
	scratch_store_b128 off, v[9:12], off offset:608
.LBB107_167:
	s_or_b32 exec_lo, exec_lo, s2
	s_waitcnt_vscnt null, 0x0
	s_barrier
	buffer_gl0_inv
	scratch_load_b128 v[1:4], v153, off
	s_mov_b32 s2, exec_lo
	s_waitcnt vmcnt(0)
	ds_store_b128 v5, v[1:4]
	s_waitcnt lgkmcnt(0)
	s_barrier
	buffer_gl0_inv
	v_cmpx_gt_u32_e32 39, v134
	s_cbranch_execz .LBB107_171
; %bb.168:
	v_dual_mov_b32 v1, 0 :: v_dual_add_nc_u32 v8, 0x2c0, v13
	v_dual_mov_b32 v2, 0 :: v_dual_add_nc_u32 v7, -1, v134
	v_or_b32_e32 v9, 8, v14
	s_mov_b32 s3, 0
	s_delay_alu instid0(VALU_DEP_2)
	v_dual_mov_b32 v4, v2 :: v_dual_mov_b32 v3, v1
	.p2align	6
.LBB107_169:                            ; =>This Inner Loop Header: Depth=1
	scratch_load_b128 v[15:18], v9, off offset:-8
	ds_load_b128 v[19:22], v8
	v_add_nc_u32_e32 v7, 1, v7
	v_add_nc_u32_e32 v8, 16, v8
	;; [unrolled: 1-line block ×3, first 2 shown]
	s_delay_alu instid0(VALU_DEP_3) | instskip(SKIP_4) | instid1(VALU_DEP_2)
	v_cmp_lt_u32_e32 vcc_lo, 37, v7
	s_or_b32 s3, vcc_lo, s3
	s_waitcnt vmcnt(0) lgkmcnt(0)
	v_mul_f64 v[10:11], v[21:22], v[17:18]
	v_mul_f64 v[17:18], v[19:20], v[17:18]
	v_fma_f64 v[10:11], v[19:20], v[15:16], -v[10:11]
	s_delay_alu instid0(VALU_DEP_2) | instskip(NEXT) | instid1(VALU_DEP_2)
	v_fma_f64 v[15:16], v[21:22], v[15:16], v[17:18]
	v_add_f64 v[3:4], v[3:4], v[10:11]
	s_delay_alu instid0(VALU_DEP_2)
	v_add_f64 v[1:2], v[1:2], v[15:16]
	s_and_not1_b32 exec_lo, exec_lo, s3
	s_cbranch_execnz .LBB107_169
; %bb.170:
	s_or_b32 exec_lo, exec_lo, s3
	v_mov_b32_e32 v7, 0
	ds_load_b128 v[7:10], v7 offset:624
	s_waitcnt lgkmcnt(0)
	v_mul_f64 v[11:12], v[1:2], v[9:10]
	v_mul_f64 v[15:16], v[3:4], v[9:10]
	s_delay_alu instid0(VALU_DEP_2) | instskip(NEXT) | instid1(VALU_DEP_2)
	v_fma_f64 v[9:10], v[3:4], v[7:8], -v[11:12]
	v_fma_f64 v[11:12], v[1:2], v[7:8], v[15:16]
	scratch_store_b128 off, v[9:12], off offset:624
.LBB107_171:
	s_or_b32 exec_lo, exec_lo, s2
	s_waitcnt_vscnt null, 0x0
	s_barrier
	buffer_gl0_inv
	scratch_load_b128 v[1:4], v151, off
	s_mov_b32 s2, exec_lo
	s_waitcnt vmcnt(0)
	ds_store_b128 v5, v[1:4]
	s_waitcnt lgkmcnt(0)
	s_barrier
	buffer_gl0_inv
	v_cmpx_gt_u32_e32 40, v134
	s_cbranch_execz .LBB107_175
; %bb.172:
	v_dual_mov_b32 v1, 0 :: v_dual_add_nc_u32 v8, 0x2c0, v13
	v_dual_mov_b32 v2, 0 :: v_dual_add_nc_u32 v7, -1, v134
	v_or_b32_e32 v9, 8, v14
	s_mov_b32 s3, 0
	s_delay_alu instid0(VALU_DEP_2)
	v_dual_mov_b32 v4, v2 :: v_dual_mov_b32 v3, v1
	.p2align	6
.LBB107_173:                            ; =>This Inner Loop Header: Depth=1
	scratch_load_b128 v[15:18], v9, off offset:-8
	ds_load_b128 v[19:22], v8
	v_add_nc_u32_e32 v7, 1, v7
	v_add_nc_u32_e32 v8, 16, v8
	;; [unrolled: 1-line block ×3, first 2 shown]
	s_delay_alu instid0(VALU_DEP_3) | instskip(SKIP_4) | instid1(VALU_DEP_2)
	v_cmp_lt_u32_e32 vcc_lo, 38, v7
	s_or_b32 s3, vcc_lo, s3
	s_waitcnt vmcnt(0) lgkmcnt(0)
	v_mul_f64 v[10:11], v[21:22], v[17:18]
	v_mul_f64 v[17:18], v[19:20], v[17:18]
	v_fma_f64 v[10:11], v[19:20], v[15:16], -v[10:11]
	s_delay_alu instid0(VALU_DEP_2) | instskip(NEXT) | instid1(VALU_DEP_2)
	v_fma_f64 v[15:16], v[21:22], v[15:16], v[17:18]
	v_add_f64 v[3:4], v[3:4], v[10:11]
	s_delay_alu instid0(VALU_DEP_2)
	v_add_f64 v[1:2], v[1:2], v[15:16]
	s_and_not1_b32 exec_lo, exec_lo, s3
	s_cbranch_execnz .LBB107_173
; %bb.174:
	s_or_b32 exec_lo, exec_lo, s3
	v_mov_b32_e32 v7, 0
	ds_load_b128 v[7:10], v7 offset:640
	s_waitcnt lgkmcnt(0)
	v_mul_f64 v[11:12], v[1:2], v[9:10]
	v_mul_f64 v[15:16], v[3:4], v[9:10]
	s_delay_alu instid0(VALU_DEP_2) | instskip(NEXT) | instid1(VALU_DEP_2)
	v_fma_f64 v[9:10], v[3:4], v[7:8], -v[11:12]
	v_fma_f64 v[11:12], v[1:2], v[7:8], v[15:16]
	scratch_store_b128 off, v[9:12], off offset:640
.LBB107_175:
	s_or_b32 exec_lo, exec_lo, s2
	s_waitcnt_vscnt null, 0x0
	s_barrier
	buffer_gl0_inv
	scratch_load_b128 v[1:4], v148, off
	s_mov_b32 s2, exec_lo
	s_waitcnt vmcnt(0)
	ds_store_b128 v5, v[1:4]
	s_waitcnt lgkmcnt(0)
	s_barrier
	buffer_gl0_inv
	v_cmpx_gt_u32_e32 41, v134
	s_cbranch_execz .LBB107_179
; %bb.176:
	v_dual_mov_b32 v1, 0 :: v_dual_add_nc_u32 v8, 0x2c0, v13
	v_dual_mov_b32 v2, 0 :: v_dual_add_nc_u32 v7, -1, v134
	v_or_b32_e32 v9, 8, v14
	s_mov_b32 s3, 0
	s_delay_alu instid0(VALU_DEP_2)
	v_dual_mov_b32 v4, v2 :: v_dual_mov_b32 v3, v1
	.p2align	6
.LBB107_177:                            ; =>This Inner Loop Header: Depth=1
	scratch_load_b128 v[15:18], v9, off offset:-8
	ds_load_b128 v[19:22], v8
	v_add_nc_u32_e32 v7, 1, v7
	v_add_nc_u32_e32 v8, 16, v8
	;; [unrolled: 1-line block ×3, first 2 shown]
	s_delay_alu instid0(VALU_DEP_3) | instskip(SKIP_4) | instid1(VALU_DEP_2)
	v_cmp_lt_u32_e32 vcc_lo, 39, v7
	s_or_b32 s3, vcc_lo, s3
	s_waitcnt vmcnt(0) lgkmcnt(0)
	v_mul_f64 v[10:11], v[21:22], v[17:18]
	v_mul_f64 v[17:18], v[19:20], v[17:18]
	v_fma_f64 v[10:11], v[19:20], v[15:16], -v[10:11]
	s_delay_alu instid0(VALU_DEP_2) | instskip(NEXT) | instid1(VALU_DEP_2)
	v_fma_f64 v[15:16], v[21:22], v[15:16], v[17:18]
	v_add_f64 v[3:4], v[3:4], v[10:11]
	s_delay_alu instid0(VALU_DEP_2)
	v_add_f64 v[1:2], v[1:2], v[15:16]
	s_and_not1_b32 exec_lo, exec_lo, s3
	s_cbranch_execnz .LBB107_177
; %bb.178:
	s_or_b32 exec_lo, exec_lo, s3
	v_mov_b32_e32 v7, 0
	ds_load_b128 v[7:10], v7 offset:656
	s_waitcnt lgkmcnt(0)
	v_mul_f64 v[11:12], v[1:2], v[9:10]
	v_mul_f64 v[15:16], v[3:4], v[9:10]
	s_delay_alu instid0(VALU_DEP_2) | instskip(NEXT) | instid1(VALU_DEP_2)
	v_fma_f64 v[9:10], v[3:4], v[7:8], -v[11:12]
	v_fma_f64 v[11:12], v[1:2], v[7:8], v[15:16]
	scratch_store_b128 off, v[9:12], off offset:656
.LBB107_179:
	s_or_b32 exec_lo, exec_lo, s2
	s_waitcnt_vscnt null, 0x0
	s_barrier
	buffer_gl0_inv
	scratch_load_b128 v[1:4], v146, off
	s_mov_b32 s2, exec_lo
	s_waitcnt vmcnt(0)
	ds_store_b128 v5, v[1:4]
	s_waitcnt lgkmcnt(0)
	s_barrier
	buffer_gl0_inv
	v_cmpx_gt_u32_e32 42, v134
	s_cbranch_execz .LBB107_183
; %bb.180:
	v_dual_mov_b32 v1, 0 :: v_dual_add_nc_u32 v8, 0x2c0, v13
	v_dual_mov_b32 v2, 0 :: v_dual_add_nc_u32 v7, -1, v134
	v_or_b32_e32 v9, 8, v14
	s_mov_b32 s3, 0
	s_delay_alu instid0(VALU_DEP_2)
	v_dual_mov_b32 v4, v2 :: v_dual_mov_b32 v3, v1
	.p2align	6
.LBB107_181:                            ; =>This Inner Loop Header: Depth=1
	scratch_load_b128 v[10:13], v9, off offset:-8
	ds_load_b128 v[15:18], v8
	v_add_nc_u32_e32 v7, 1, v7
	v_add_nc_u32_e32 v8, 16, v8
	;; [unrolled: 1-line block ×3, first 2 shown]
	s_delay_alu instid0(VALU_DEP_3) | instskip(SKIP_4) | instid1(VALU_DEP_2)
	v_cmp_lt_u32_e32 vcc_lo, 40, v7
	s_or_b32 s3, vcc_lo, s3
	s_waitcnt vmcnt(0) lgkmcnt(0)
	v_mul_f64 v[19:20], v[17:18], v[12:13]
	v_mul_f64 v[12:13], v[15:16], v[12:13]
	v_fma_f64 v[15:16], v[15:16], v[10:11], -v[19:20]
	s_delay_alu instid0(VALU_DEP_2) | instskip(NEXT) | instid1(VALU_DEP_2)
	v_fma_f64 v[10:11], v[17:18], v[10:11], v[12:13]
	v_add_f64 v[3:4], v[3:4], v[15:16]
	s_delay_alu instid0(VALU_DEP_2)
	v_add_f64 v[1:2], v[1:2], v[10:11]
	s_and_not1_b32 exec_lo, exec_lo, s3
	s_cbranch_execnz .LBB107_181
; %bb.182:
	s_or_b32 exec_lo, exec_lo, s3
	v_mov_b32_e32 v7, 0
	ds_load_b128 v[7:10], v7 offset:672
	s_waitcnt lgkmcnt(0)
	v_mul_f64 v[11:12], v[1:2], v[9:10]
	v_mul_f64 v[15:16], v[3:4], v[9:10]
	s_delay_alu instid0(VALU_DEP_2) | instskip(NEXT) | instid1(VALU_DEP_2)
	v_fma_f64 v[9:10], v[3:4], v[7:8], -v[11:12]
	v_fma_f64 v[11:12], v[1:2], v[7:8], v[15:16]
	scratch_store_b128 off, v[9:12], off offset:672
.LBB107_183:
	s_or_b32 exec_lo, exec_lo, s2
	s_waitcnt_vscnt null, 0x0
	s_barrier
	buffer_gl0_inv
	scratch_load_b128 v[1:4], v144, off
	s_mov_b32 s2, exec_lo
	s_waitcnt vmcnt(0)
	ds_store_b128 v5, v[1:4]
	s_waitcnt lgkmcnt(0)
	s_barrier
	buffer_gl0_inv
	v_cmpx_ne_u32_e32 43, v134
	s_cbranch_execz .LBB107_187
; %bb.184:
	v_mov_b32_e32 v1, 0
	v_mov_b32_e32 v2, 0
	v_or_b32_e32 v7, 8, v14
	s_mov_b32 s3, 0
	s_delay_alu instid0(VALU_DEP_2)
	v_dual_mov_b32 v4, v2 :: v_dual_mov_b32 v3, v1
	.p2align	6
.LBB107_185:                            ; =>This Inner Loop Header: Depth=1
	scratch_load_b128 v[8:11], v7, off offset:-8
	ds_load_b128 v[12:15], v5
	v_add_nc_u32_e32 v6, 1, v6
	v_add_nc_u32_e32 v5, 16, v5
	;; [unrolled: 1-line block ×3, first 2 shown]
	s_delay_alu instid0(VALU_DEP_3) | instskip(SKIP_4) | instid1(VALU_DEP_2)
	v_cmp_lt_u32_e32 vcc_lo, 41, v6
	s_or_b32 s3, vcc_lo, s3
	s_waitcnt vmcnt(0) lgkmcnt(0)
	v_mul_f64 v[16:17], v[14:15], v[10:11]
	v_mul_f64 v[10:11], v[12:13], v[10:11]
	v_fma_f64 v[12:13], v[12:13], v[8:9], -v[16:17]
	s_delay_alu instid0(VALU_DEP_2) | instskip(NEXT) | instid1(VALU_DEP_2)
	v_fma_f64 v[8:9], v[14:15], v[8:9], v[10:11]
	v_add_f64 v[3:4], v[3:4], v[12:13]
	s_delay_alu instid0(VALU_DEP_2)
	v_add_f64 v[1:2], v[1:2], v[8:9]
	s_and_not1_b32 exec_lo, exec_lo, s3
	s_cbranch_execnz .LBB107_185
; %bb.186:
	s_or_b32 exec_lo, exec_lo, s3
	v_mov_b32_e32 v5, 0
	ds_load_b128 v[5:8], v5 offset:688
	s_waitcnt lgkmcnt(0)
	v_mul_f64 v[9:10], v[1:2], v[7:8]
	v_mul_f64 v[7:8], v[3:4], v[7:8]
	s_delay_alu instid0(VALU_DEP_2) | instskip(NEXT) | instid1(VALU_DEP_2)
	v_fma_f64 v[3:4], v[3:4], v[5:6], -v[9:10]
	v_fma_f64 v[5:6], v[1:2], v[5:6], v[7:8]
	scratch_store_b128 off, v[3:6], off offset:688
.LBB107_187:
	s_or_b32 exec_lo, exec_lo, s2
	s_mov_b32 s3, -1
	s_waitcnt_vscnt null, 0x0
	s_barrier
	buffer_gl0_inv
.LBB107_188:
	s_and_b32 vcc_lo, exec_lo, s3
	s_cbranch_vccz .LBB107_190
; %bb.189:
	s_lshl_b64 s[2:3], s[10:11], 2
	v_mov_b32_e32 v1, 0
	s_add_u32 s2, s6, s2
	s_addc_u32 s3, s7, s3
	global_load_b32 v1, v1, s[2:3]
	s_waitcnt vmcnt(0)
	v_cmp_ne_u32_e32 vcc_lo, 0, v1
	s_cbranch_vccz .LBB107_191
.LBB107_190:
	s_endpgm
.LBB107_191:
	v_lshl_add_u32 v178, v134, 4, 0x2c0
	s_mov_b32 s2, exec_lo
	v_cmpx_eq_u32_e32 43, v134
	s_cbranch_execz .LBB107_193
; %bb.192:
	scratch_load_b128 v[1:4], v146, off
	v_mov_b32_e32 v5, 0
	s_delay_alu instid0(VALU_DEP_1)
	v_mov_b32_e32 v6, v5
	v_mov_b32_e32 v7, v5
	;; [unrolled: 1-line block ×3, first 2 shown]
	scratch_store_b128 off, v[5:8], off offset:672
	s_waitcnt vmcnt(0)
	ds_store_b128 v178, v[1:4]
.LBB107_193:
	s_or_b32 exec_lo, exec_lo, s2
	s_waitcnt lgkmcnt(0)
	s_waitcnt_vscnt null, 0x0
	s_barrier
	buffer_gl0_inv
	s_clause 0x1
	scratch_load_b128 v[2:5], off, off offset:688
	scratch_load_b128 v[6:9], off, off offset:672
	v_mov_b32_e32 v1, 0
	s_mov_b32 s2, exec_lo
	ds_load_b128 v[10:13], v1 offset:1392
	s_waitcnt vmcnt(1) lgkmcnt(0)
	v_mul_f64 v[14:15], v[12:13], v[4:5]
	v_mul_f64 v[4:5], v[10:11], v[4:5]
	s_delay_alu instid0(VALU_DEP_2) | instskip(NEXT) | instid1(VALU_DEP_2)
	v_fma_f64 v[10:11], v[10:11], v[2:3], -v[14:15]
	v_fma_f64 v[2:3], v[12:13], v[2:3], v[4:5]
	s_delay_alu instid0(VALU_DEP_2) | instskip(NEXT) | instid1(VALU_DEP_2)
	v_add_f64 v[4:5], v[10:11], 0
	v_add_f64 v[10:11], v[2:3], 0
	s_waitcnt vmcnt(0)
	s_delay_alu instid0(VALU_DEP_2) | instskip(NEXT) | instid1(VALU_DEP_2)
	v_add_f64 v[2:3], v[6:7], -v[4:5]
	v_add_f64 v[4:5], v[8:9], -v[10:11]
	scratch_store_b128 off, v[2:5], off offset:672
	v_cmpx_lt_u32_e32 41, v134
	s_cbranch_execz .LBB107_195
; %bb.194:
	scratch_load_b128 v[5:8], v148, off
	v_mov_b32_e32 v2, v1
	v_mov_b32_e32 v3, v1
	;; [unrolled: 1-line block ×3, first 2 shown]
	scratch_store_b128 off, v[1:4], off offset:656
	s_waitcnt vmcnt(0)
	ds_store_b128 v178, v[5:8]
.LBB107_195:
	s_or_b32 exec_lo, exec_lo, s2
	s_waitcnt lgkmcnt(0)
	s_waitcnt_vscnt null, 0x0
	s_barrier
	buffer_gl0_inv
	s_clause 0x2
	scratch_load_b128 v[2:5], off, off offset:672
	scratch_load_b128 v[6:9], off, off offset:688
	;; [unrolled: 1-line block ×3, first 2 shown]
	ds_load_b128 v[14:17], v1 offset:1376
	ds_load_b128 v[18:21], v1 offset:1392
	s_mov_b32 s2, exec_lo
	s_waitcnt vmcnt(2) lgkmcnt(1)
	v_mul_f64 v[22:23], v[16:17], v[4:5]
	v_mul_f64 v[4:5], v[14:15], v[4:5]
	s_waitcnt vmcnt(1) lgkmcnt(0)
	v_mul_f64 v[24:25], v[18:19], v[8:9]
	v_mul_f64 v[8:9], v[20:21], v[8:9]
	s_delay_alu instid0(VALU_DEP_4) | instskip(NEXT) | instid1(VALU_DEP_4)
	v_fma_f64 v[14:15], v[14:15], v[2:3], -v[22:23]
	v_fma_f64 v[1:2], v[16:17], v[2:3], v[4:5]
	s_delay_alu instid0(VALU_DEP_4) | instskip(NEXT) | instid1(VALU_DEP_4)
	v_fma_f64 v[3:4], v[20:21], v[6:7], v[24:25]
	v_fma_f64 v[5:6], v[18:19], v[6:7], -v[8:9]
	s_delay_alu instid0(VALU_DEP_4) | instskip(NEXT) | instid1(VALU_DEP_4)
	v_add_f64 v[7:8], v[14:15], 0
	v_add_f64 v[1:2], v[1:2], 0
	s_delay_alu instid0(VALU_DEP_2) | instskip(NEXT) | instid1(VALU_DEP_2)
	v_add_f64 v[5:6], v[7:8], v[5:6]
	v_add_f64 v[3:4], v[1:2], v[3:4]
	s_waitcnt vmcnt(0)
	s_delay_alu instid0(VALU_DEP_2) | instskip(NEXT) | instid1(VALU_DEP_2)
	v_add_f64 v[1:2], v[10:11], -v[5:6]
	v_add_f64 v[3:4], v[12:13], -v[3:4]
	scratch_store_b128 off, v[1:4], off offset:656
	v_cmpx_lt_u32_e32 40, v134
	s_cbranch_execz .LBB107_197
; %bb.196:
	scratch_load_b128 v[1:4], v151, off
	v_mov_b32_e32 v5, 0
	s_delay_alu instid0(VALU_DEP_1)
	v_mov_b32_e32 v6, v5
	v_mov_b32_e32 v7, v5
	;; [unrolled: 1-line block ×3, first 2 shown]
	scratch_store_b128 off, v[5:8], off offset:640
	s_waitcnt vmcnt(0)
	ds_store_b128 v178, v[1:4]
.LBB107_197:
	s_or_b32 exec_lo, exec_lo, s2
	s_waitcnt lgkmcnt(0)
	s_waitcnt_vscnt null, 0x0
	s_barrier
	buffer_gl0_inv
	s_clause 0x3
	scratch_load_b128 v[2:5], off, off offset:656
	scratch_load_b128 v[6:9], off, off offset:672
	;; [unrolled: 1-line block ×4, first 2 shown]
	v_mov_b32_e32 v1, 0
	ds_load_b128 v[18:21], v1 offset:1360
	ds_load_b128 v[22:25], v1 offset:1376
	s_mov_b32 s2, exec_lo
	s_waitcnt vmcnt(3) lgkmcnt(1)
	v_mul_f64 v[26:27], v[20:21], v[4:5]
	v_mul_f64 v[4:5], v[18:19], v[4:5]
	s_waitcnt vmcnt(2) lgkmcnt(0)
	v_mul_f64 v[28:29], v[22:23], v[8:9]
	v_mul_f64 v[8:9], v[24:25], v[8:9]
	s_delay_alu instid0(VALU_DEP_4) | instskip(NEXT) | instid1(VALU_DEP_4)
	v_fma_f64 v[18:19], v[18:19], v[2:3], -v[26:27]
	v_fma_f64 v[20:21], v[20:21], v[2:3], v[4:5]
	ds_load_b128 v[2:5], v1 offset:1392
	v_fma_f64 v[24:25], v[24:25], v[6:7], v[28:29]
	v_fma_f64 v[6:7], v[22:23], v[6:7], -v[8:9]
	s_waitcnt vmcnt(1) lgkmcnt(0)
	v_mul_f64 v[26:27], v[2:3], v[12:13]
	v_mul_f64 v[12:13], v[4:5], v[12:13]
	v_add_f64 v[8:9], v[18:19], 0
	v_add_f64 v[18:19], v[20:21], 0
	s_delay_alu instid0(VALU_DEP_4) | instskip(NEXT) | instid1(VALU_DEP_4)
	v_fma_f64 v[4:5], v[4:5], v[10:11], v[26:27]
	v_fma_f64 v[2:3], v[2:3], v[10:11], -v[12:13]
	s_delay_alu instid0(VALU_DEP_4) | instskip(NEXT) | instid1(VALU_DEP_4)
	v_add_f64 v[6:7], v[8:9], v[6:7]
	v_add_f64 v[8:9], v[18:19], v[24:25]
	s_delay_alu instid0(VALU_DEP_2) | instskip(NEXT) | instid1(VALU_DEP_2)
	v_add_f64 v[2:3], v[6:7], v[2:3]
	v_add_f64 v[4:5], v[8:9], v[4:5]
	s_waitcnt vmcnt(0)
	s_delay_alu instid0(VALU_DEP_2) | instskip(NEXT) | instid1(VALU_DEP_2)
	v_add_f64 v[2:3], v[14:15], -v[2:3]
	v_add_f64 v[4:5], v[16:17], -v[4:5]
	scratch_store_b128 off, v[2:5], off offset:640
	v_cmpx_lt_u32_e32 39, v134
	s_cbranch_execz .LBB107_199
; %bb.198:
	scratch_load_b128 v[5:8], v153, off
	v_mov_b32_e32 v2, v1
	v_mov_b32_e32 v3, v1
	;; [unrolled: 1-line block ×3, first 2 shown]
	scratch_store_b128 off, v[1:4], off offset:624
	s_waitcnt vmcnt(0)
	ds_store_b128 v178, v[5:8]
.LBB107_199:
	s_or_b32 exec_lo, exec_lo, s2
	s_waitcnt lgkmcnt(0)
	s_waitcnt_vscnt null, 0x0
	s_barrier
	buffer_gl0_inv
	s_clause 0x4
	scratch_load_b128 v[2:5], off, off offset:640
	scratch_load_b128 v[6:9], off, off offset:656
	;; [unrolled: 1-line block ×5, first 2 shown]
	ds_load_b128 v[22:25], v1 offset:1344
	ds_load_b128 v[26:29], v1 offset:1360
	s_mov_b32 s2, exec_lo
	s_waitcnt vmcnt(4) lgkmcnt(1)
	v_mul_f64 v[30:31], v[24:25], v[4:5]
	v_mul_f64 v[4:5], v[22:23], v[4:5]
	s_waitcnt vmcnt(3) lgkmcnt(0)
	v_mul_f64 v[32:33], v[26:27], v[8:9]
	v_mul_f64 v[8:9], v[28:29], v[8:9]
	s_delay_alu instid0(VALU_DEP_4) | instskip(NEXT) | instid1(VALU_DEP_4)
	v_fma_f64 v[30:31], v[22:23], v[2:3], -v[30:31]
	v_fma_f64 v[34:35], v[24:25], v[2:3], v[4:5]
	ds_load_b128 v[2:5], v1 offset:1376
	ds_load_b128 v[22:25], v1 offset:1392
	v_fma_f64 v[28:29], v[28:29], v[6:7], v[32:33]
	v_fma_f64 v[6:7], v[26:27], v[6:7], -v[8:9]
	s_waitcnt vmcnt(2) lgkmcnt(1)
	v_mul_f64 v[36:37], v[2:3], v[12:13]
	v_mul_f64 v[12:13], v[4:5], v[12:13]
	v_add_f64 v[8:9], v[30:31], 0
	v_add_f64 v[26:27], v[34:35], 0
	s_waitcnt vmcnt(1) lgkmcnt(0)
	v_mul_f64 v[30:31], v[22:23], v[16:17]
	v_mul_f64 v[16:17], v[24:25], v[16:17]
	v_fma_f64 v[4:5], v[4:5], v[10:11], v[36:37]
	v_fma_f64 v[1:2], v[2:3], v[10:11], -v[12:13]
	v_add_f64 v[6:7], v[8:9], v[6:7]
	v_add_f64 v[8:9], v[26:27], v[28:29]
	v_fma_f64 v[10:11], v[24:25], v[14:15], v[30:31]
	v_fma_f64 v[12:13], v[22:23], v[14:15], -v[16:17]
	s_delay_alu instid0(VALU_DEP_4) | instskip(NEXT) | instid1(VALU_DEP_4)
	v_add_f64 v[1:2], v[6:7], v[1:2]
	v_add_f64 v[3:4], v[8:9], v[4:5]
	s_delay_alu instid0(VALU_DEP_2) | instskip(NEXT) | instid1(VALU_DEP_2)
	v_add_f64 v[1:2], v[1:2], v[12:13]
	v_add_f64 v[3:4], v[3:4], v[10:11]
	s_waitcnt vmcnt(0)
	s_delay_alu instid0(VALU_DEP_2) | instskip(NEXT) | instid1(VALU_DEP_2)
	v_add_f64 v[1:2], v[18:19], -v[1:2]
	v_add_f64 v[3:4], v[20:21], -v[3:4]
	scratch_store_b128 off, v[1:4], off offset:624
	v_cmpx_lt_u32_e32 38, v134
	s_cbranch_execz .LBB107_201
; %bb.200:
	scratch_load_b128 v[1:4], v155, off
	v_mov_b32_e32 v5, 0
	s_delay_alu instid0(VALU_DEP_1)
	v_mov_b32_e32 v6, v5
	v_mov_b32_e32 v7, v5
	;; [unrolled: 1-line block ×3, first 2 shown]
	scratch_store_b128 off, v[5:8], off offset:608
	s_waitcnt vmcnt(0)
	ds_store_b128 v178, v[1:4]
.LBB107_201:
	s_or_b32 exec_lo, exec_lo, s2
	s_waitcnt lgkmcnt(0)
	s_waitcnt_vscnt null, 0x0
	s_barrier
	buffer_gl0_inv
	s_clause 0x5
	scratch_load_b128 v[2:5], off, off offset:624
	scratch_load_b128 v[6:9], off, off offset:640
	;; [unrolled: 1-line block ×6, first 2 shown]
	v_mov_b32_e32 v1, 0
	ds_load_b128 v[26:29], v1 offset:1328
	ds_load_b128 v[30:33], v1 offset:1344
	s_mov_b32 s2, exec_lo
	s_waitcnt vmcnt(5) lgkmcnt(1)
	v_mul_f64 v[34:35], v[28:29], v[4:5]
	v_mul_f64 v[4:5], v[26:27], v[4:5]
	s_waitcnt vmcnt(4) lgkmcnt(0)
	v_mul_f64 v[36:37], v[30:31], v[8:9]
	v_mul_f64 v[8:9], v[32:33], v[8:9]
	s_delay_alu instid0(VALU_DEP_4) | instskip(NEXT) | instid1(VALU_DEP_4)
	v_fma_f64 v[34:35], v[26:27], v[2:3], -v[34:35]
	v_fma_f64 v[38:39], v[28:29], v[2:3], v[4:5]
	ds_load_b128 v[2:5], v1 offset:1360
	ds_load_b128 v[26:29], v1 offset:1376
	v_fma_f64 v[32:33], v[32:33], v[6:7], v[36:37]
	v_fma_f64 v[6:7], v[30:31], v[6:7], -v[8:9]
	s_waitcnt vmcnt(3) lgkmcnt(1)
	v_mul_f64 v[40:41], v[2:3], v[12:13]
	v_mul_f64 v[12:13], v[4:5], v[12:13]
	v_add_f64 v[8:9], v[34:35], 0
	v_add_f64 v[30:31], v[38:39], 0
	s_waitcnt vmcnt(2) lgkmcnt(0)
	v_mul_f64 v[34:35], v[26:27], v[16:17]
	v_mul_f64 v[16:17], v[28:29], v[16:17]
	v_fma_f64 v[36:37], v[4:5], v[10:11], v[40:41]
	v_fma_f64 v[10:11], v[2:3], v[10:11], -v[12:13]
	ds_load_b128 v[2:5], v1 offset:1392
	v_add_f64 v[6:7], v[8:9], v[6:7]
	v_add_f64 v[8:9], v[30:31], v[32:33]
	v_fma_f64 v[28:29], v[28:29], v[14:15], v[34:35]
	v_fma_f64 v[14:15], v[26:27], v[14:15], -v[16:17]
	s_waitcnt vmcnt(1) lgkmcnt(0)
	v_mul_f64 v[12:13], v[2:3], v[20:21]
	v_mul_f64 v[20:21], v[4:5], v[20:21]
	v_add_f64 v[6:7], v[6:7], v[10:11]
	v_add_f64 v[8:9], v[8:9], v[36:37]
	s_delay_alu instid0(VALU_DEP_4) | instskip(NEXT) | instid1(VALU_DEP_4)
	v_fma_f64 v[4:5], v[4:5], v[18:19], v[12:13]
	v_fma_f64 v[2:3], v[2:3], v[18:19], -v[20:21]
	s_delay_alu instid0(VALU_DEP_4) | instskip(NEXT) | instid1(VALU_DEP_4)
	v_add_f64 v[6:7], v[6:7], v[14:15]
	v_add_f64 v[8:9], v[8:9], v[28:29]
	s_delay_alu instid0(VALU_DEP_2) | instskip(NEXT) | instid1(VALU_DEP_2)
	v_add_f64 v[2:3], v[6:7], v[2:3]
	v_add_f64 v[4:5], v[8:9], v[4:5]
	s_waitcnt vmcnt(0)
	s_delay_alu instid0(VALU_DEP_2) | instskip(NEXT) | instid1(VALU_DEP_2)
	v_add_f64 v[2:3], v[22:23], -v[2:3]
	v_add_f64 v[4:5], v[24:25], -v[4:5]
	scratch_store_b128 off, v[2:5], off offset:608
	v_cmpx_lt_u32_e32 37, v134
	s_cbranch_execz .LBB107_203
; %bb.202:
	scratch_load_b128 v[5:8], v159, off
	v_mov_b32_e32 v2, v1
	v_mov_b32_e32 v3, v1
	;; [unrolled: 1-line block ×3, first 2 shown]
	scratch_store_b128 off, v[1:4], off offset:592
	s_waitcnt vmcnt(0)
	ds_store_b128 v178, v[5:8]
.LBB107_203:
	s_or_b32 exec_lo, exec_lo, s2
	s_waitcnt lgkmcnt(0)
	s_waitcnt_vscnt null, 0x0
	s_barrier
	buffer_gl0_inv
	s_clause 0x5
	scratch_load_b128 v[2:5], off, off offset:608
	scratch_load_b128 v[6:9], off, off offset:624
	;; [unrolled: 1-line block ×6, first 2 shown]
	ds_load_b128 v[26:29], v1 offset:1312
	ds_load_b128 v[34:37], v1 offset:1328
	scratch_load_b128 v[30:33], off, off offset:592
	s_mov_b32 s2, exec_lo
	s_waitcnt vmcnt(6) lgkmcnt(1)
	v_mul_f64 v[38:39], v[28:29], v[4:5]
	v_mul_f64 v[4:5], v[26:27], v[4:5]
	s_waitcnt vmcnt(5) lgkmcnt(0)
	v_mul_f64 v[40:41], v[34:35], v[8:9]
	v_mul_f64 v[8:9], v[36:37], v[8:9]
	s_delay_alu instid0(VALU_DEP_4) | instskip(NEXT) | instid1(VALU_DEP_4)
	v_fma_f64 v[38:39], v[26:27], v[2:3], -v[38:39]
	v_fma_f64 v[42:43], v[28:29], v[2:3], v[4:5]
	ds_load_b128 v[2:5], v1 offset:1344
	ds_load_b128 v[26:29], v1 offset:1360
	v_fma_f64 v[36:37], v[36:37], v[6:7], v[40:41]
	v_fma_f64 v[6:7], v[34:35], v[6:7], -v[8:9]
	s_waitcnt vmcnt(4) lgkmcnt(1)
	v_mul_f64 v[44:45], v[2:3], v[12:13]
	v_mul_f64 v[12:13], v[4:5], v[12:13]
	v_add_f64 v[8:9], v[38:39], 0
	v_add_f64 v[34:35], v[42:43], 0
	s_waitcnt vmcnt(3) lgkmcnt(0)
	v_mul_f64 v[38:39], v[26:27], v[16:17]
	v_mul_f64 v[16:17], v[28:29], v[16:17]
	v_fma_f64 v[40:41], v[4:5], v[10:11], v[44:45]
	v_fma_f64 v[10:11], v[2:3], v[10:11], -v[12:13]
	v_add_f64 v[12:13], v[8:9], v[6:7]
	v_add_f64 v[34:35], v[34:35], v[36:37]
	ds_load_b128 v[2:5], v1 offset:1376
	ds_load_b128 v[6:9], v1 offset:1392
	v_fma_f64 v[28:29], v[28:29], v[14:15], v[38:39]
	v_fma_f64 v[14:15], v[26:27], v[14:15], -v[16:17]
	s_waitcnt vmcnt(2) lgkmcnt(1)
	v_mul_f64 v[36:37], v[2:3], v[20:21]
	v_mul_f64 v[20:21], v[4:5], v[20:21]
	s_waitcnt vmcnt(1) lgkmcnt(0)
	v_mul_f64 v[16:17], v[6:7], v[24:25]
	v_mul_f64 v[24:25], v[8:9], v[24:25]
	v_add_f64 v[10:11], v[12:13], v[10:11]
	v_add_f64 v[12:13], v[34:35], v[40:41]
	v_fma_f64 v[4:5], v[4:5], v[18:19], v[36:37]
	v_fma_f64 v[1:2], v[2:3], v[18:19], -v[20:21]
	v_fma_f64 v[8:9], v[8:9], v[22:23], v[16:17]
	v_fma_f64 v[6:7], v[6:7], v[22:23], -v[24:25]
	v_add_f64 v[10:11], v[10:11], v[14:15]
	v_add_f64 v[12:13], v[12:13], v[28:29]
	s_delay_alu instid0(VALU_DEP_2) | instskip(NEXT) | instid1(VALU_DEP_2)
	v_add_f64 v[1:2], v[10:11], v[1:2]
	v_add_f64 v[3:4], v[12:13], v[4:5]
	s_delay_alu instid0(VALU_DEP_2) | instskip(NEXT) | instid1(VALU_DEP_2)
	v_add_f64 v[1:2], v[1:2], v[6:7]
	v_add_f64 v[3:4], v[3:4], v[8:9]
	s_waitcnt vmcnt(0)
	s_delay_alu instid0(VALU_DEP_2) | instskip(NEXT) | instid1(VALU_DEP_2)
	v_add_f64 v[1:2], v[30:31], -v[1:2]
	v_add_f64 v[3:4], v[32:33], -v[3:4]
	scratch_store_b128 off, v[1:4], off offset:592
	v_cmpx_lt_u32_e32 36, v134
	s_cbranch_execz .LBB107_205
; %bb.204:
	scratch_load_b128 v[1:4], v137, off
	v_mov_b32_e32 v5, 0
	s_delay_alu instid0(VALU_DEP_1)
	v_mov_b32_e32 v6, v5
	v_mov_b32_e32 v7, v5
	;; [unrolled: 1-line block ×3, first 2 shown]
	scratch_store_b128 off, v[5:8], off offset:576
	s_waitcnt vmcnt(0)
	ds_store_b128 v178, v[1:4]
.LBB107_205:
	s_or_b32 exec_lo, exec_lo, s2
	s_waitcnt lgkmcnt(0)
	s_waitcnt_vscnt null, 0x0
	s_barrier
	buffer_gl0_inv
	s_clause 0x6
	scratch_load_b128 v[2:5], off, off offset:592
	scratch_load_b128 v[6:9], off, off offset:608
	scratch_load_b128 v[10:13], off, off offset:624
	scratch_load_b128 v[14:17], off, off offset:640
	scratch_load_b128 v[18:21], off, off offset:656
	scratch_load_b128 v[22:25], off, off offset:672
	scratch_load_b128 v[26:29], off, off offset:688
	v_mov_b32_e32 v1, 0
	scratch_load_b128 v[34:37], off, off offset:576
	s_mov_b32 s2, exec_lo
	ds_load_b128 v[30:33], v1 offset:1296
	ds_load_b128 v[38:41], v1 offset:1312
	s_waitcnt vmcnt(7) lgkmcnt(1)
	v_mul_f64 v[42:43], v[32:33], v[4:5]
	v_mul_f64 v[4:5], v[30:31], v[4:5]
	s_waitcnt vmcnt(6) lgkmcnt(0)
	v_mul_f64 v[44:45], v[38:39], v[8:9]
	v_mul_f64 v[8:9], v[40:41], v[8:9]
	s_delay_alu instid0(VALU_DEP_4) | instskip(NEXT) | instid1(VALU_DEP_4)
	v_fma_f64 v[42:43], v[30:31], v[2:3], -v[42:43]
	v_fma_f64 v[179:180], v[32:33], v[2:3], v[4:5]
	ds_load_b128 v[2:5], v1 offset:1328
	ds_load_b128 v[30:33], v1 offset:1344
	v_fma_f64 v[40:41], v[40:41], v[6:7], v[44:45]
	v_fma_f64 v[6:7], v[38:39], v[6:7], -v[8:9]
	s_waitcnt vmcnt(5) lgkmcnt(1)
	v_mul_f64 v[181:182], v[2:3], v[12:13]
	v_mul_f64 v[12:13], v[4:5], v[12:13]
	v_add_f64 v[8:9], v[42:43], 0
	v_add_f64 v[38:39], v[179:180], 0
	s_waitcnt vmcnt(4) lgkmcnt(0)
	v_mul_f64 v[42:43], v[30:31], v[16:17]
	v_mul_f64 v[16:17], v[32:33], v[16:17]
	v_fma_f64 v[44:45], v[4:5], v[10:11], v[181:182]
	v_fma_f64 v[10:11], v[2:3], v[10:11], -v[12:13]
	v_add_f64 v[12:13], v[8:9], v[6:7]
	v_add_f64 v[38:39], v[38:39], v[40:41]
	ds_load_b128 v[2:5], v1 offset:1360
	ds_load_b128 v[6:9], v1 offset:1376
	v_fma_f64 v[32:33], v[32:33], v[14:15], v[42:43]
	v_fma_f64 v[14:15], v[30:31], v[14:15], -v[16:17]
	s_waitcnt vmcnt(3) lgkmcnt(1)
	v_mul_f64 v[40:41], v[2:3], v[20:21]
	v_mul_f64 v[20:21], v[4:5], v[20:21]
	s_waitcnt vmcnt(2) lgkmcnt(0)
	v_mul_f64 v[16:17], v[6:7], v[24:25]
	v_mul_f64 v[24:25], v[8:9], v[24:25]
	v_add_f64 v[10:11], v[12:13], v[10:11]
	v_add_f64 v[12:13], v[38:39], v[44:45]
	v_fma_f64 v[30:31], v[4:5], v[18:19], v[40:41]
	v_fma_f64 v[18:19], v[2:3], v[18:19], -v[20:21]
	ds_load_b128 v[2:5], v1 offset:1392
	v_fma_f64 v[8:9], v[8:9], v[22:23], v[16:17]
	v_fma_f64 v[6:7], v[6:7], v[22:23], -v[24:25]
	v_add_f64 v[10:11], v[10:11], v[14:15]
	v_add_f64 v[12:13], v[12:13], v[32:33]
	s_waitcnt vmcnt(1) lgkmcnt(0)
	v_mul_f64 v[14:15], v[2:3], v[28:29]
	v_mul_f64 v[20:21], v[4:5], v[28:29]
	s_delay_alu instid0(VALU_DEP_4) | instskip(NEXT) | instid1(VALU_DEP_4)
	v_add_f64 v[10:11], v[10:11], v[18:19]
	v_add_f64 v[12:13], v[12:13], v[30:31]
	s_delay_alu instid0(VALU_DEP_4) | instskip(NEXT) | instid1(VALU_DEP_4)
	v_fma_f64 v[4:5], v[4:5], v[26:27], v[14:15]
	v_fma_f64 v[2:3], v[2:3], v[26:27], -v[20:21]
	s_delay_alu instid0(VALU_DEP_4) | instskip(NEXT) | instid1(VALU_DEP_4)
	v_add_f64 v[6:7], v[10:11], v[6:7]
	v_add_f64 v[8:9], v[12:13], v[8:9]
	s_delay_alu instid0(VALU_DEP_2) | instskip(NEXT) | instid1(VALU_DEP_2)
	v_add_f64 v[2:3], v[6:7], v[2:3]
	v_add_f64 v[4:5], v[8:9], v[4:5]
	s_waitcnt vmcnt(0)
	s_delay_alu instid0(VALU_DEP_2) | instskip(NEXT) | instid1(VALU_DEP_2)
	v_add_f64 v[2:3], v[34:35], -v[2:3]
	v_add_f64 v[4:5], v[36:37], -v[4:5]
	scratch_store_b128 off, v[2:5], off offset:576
	v_cmpx_lt_u32_e32 35, v134
	s_cbranch_execz .LBB107_207
; %bb.206:
	scratch_load_b128 v[5:8], v138, off
	v_mov_b32_e32 v2, v1
	v_mov_b32_e32 v3, v1
	;; [unrolled: 1-line block ×3, first 2 shown]
	scratch_store_b128 off, v[1:4], off offset:560
	s_waitcnt vmcnt(0)
	ds_store_b128 v178, v[5:8]
.LBB107_207:
	s_or_b32 exec_lo, exec_lo, s2
	s_waitcnt lgkmcnt(0)
	s_waitcnt_vscnt null, 0x0
	s_barrier
	buffer_gl0_inv
	s_clause 0x7
	scratch_load_b128 v[2:5], off, off offset:576
	scratch_load_b128 v[6:9], off, off offset:592
	scratch_load_b128 v[10:13], off, off offset:608
	scratch_load_b128 v[14:17], off, off offset:624
	scratch_load_b128 v[18:21], off, off offset:640
	scratch_load_b128 v[22:25], off, off offset:656
	scratch_load_b128 v[26:29], off, off offset:672
	scratch_load_b128 v[30:33], off, off offset:688
	ds_load_b128 v[34:37], v1 offset:1280
	ds_load_b128 v[38:41], v1 offset:1296
	scratch_load_b128 v[42:45], off, off offset:560
	s_mov_b32 s2, exec_lo
	s_waitcnt vmcnt(8) lgkmcnt(1)
	v_mul_f64 v[179:180], v[36:37], v[4:5]
	v_mul_f64 v[4:5], v[34:35], v[4:5]
	s_waitcnt vmcnt(7) lgkmcnt(0)
	v_mul_f64 v[181:182], v[38:39], v[8:9]
	v_mul_f64 v[8:9], v[40:41], v[8:9]
	s_delay_alu instid0(VALU_DEP_4) | instskip(NEXT) | instid1(VALU_DEP_4)
	v_fma_f64 v[179:180], v[34:35], v[2:3], -v[179:180]
	v_fma_f64 v[183:184], v[36:37], v[2:3], v[4:5]
	ds_load_b128 v[2:5], v1 offset:1312
	ds_load_b128 v[34:37], v1 offset:1328
	v_fma_f64 v[40:41], v[40:41], v[6:7], v[181:182]
	v_fma_f64 v[6:7], v[38:39], v[6:7], -v[8:9]
	s_waitcnt vmcnt(6) lgkmcnt(1)
	v_mul_f64 v[185:186], v[2:3], v[12:13]
	v_mul_f64 v[12:13], v[4:5], v[12:13]
	v_add_f64 v[8:9], v[179:180], 0
	v_add_f64 v[38:39], v[183:184], 0
	s_waitcnt vmcnt(5) lgkmcnt(0)
	v_mul_f64 v[179:180], v[34:35], v[16:17]
	v_mul_f64 v[16:17], v[36:37], v[16:17]
	v_fma_f64 v[181:182], v[4:5], v[10:11], v[185:186]
	v_fma_f64 v[10:11], v[2:3], v[10:11], -v[12:13]
	v_add_f64 v[12:13], v[8:9], v[6:7]
	v_add_f64 v[38:39], v[38:39], v[40:41]
	ds_load_b128 v[2:5], v1 offset:1344
	ds_load_b128 v[6:9], v1 offset:1360
	v_fma_f64 v[36:37], v[36:37], v[14:15], v[179:180]
	v_fma_f64 v[14:15], v[34:35], v[14:15], -v[16:17]
	s_waitcnt vmcnt(4) lgkmcnt(1)
	v_mul_f64 v[40:41], v[2:3], v[20:21]
	v_mul_f64 v[20:21], v[4:5], v[20:21]
	s_waitcnt vmcnt(3) lgkmcnt(0)
	v_mul_f64 v[16:17], v[6:7], v[24:25]
	v_mul_f64 v[24:25], v[8:9], v[24:25]
	v_add_f64 v[10:11], v[12:13], v[10:11]
	v_add_f64 v[12:13], v[38:39], v[181:182]
	v_fma_f64 v[34:35], v[4:5], v[18:19], v[40:41]
	v_fma_f64 v[18:19], v[2:3], v[18:19], -v[20:21]
	v_fma_f64 v[8:9], v[8:9], v[22:23], v[16:17]
	v_fma_f64 v[6:7], v[6:7], v[22:23], -v[24:25]
	v_add_f64 v[14:15], v[10:11], v[14:15]
	v_add_f64 v[20:21], v[12:13], v[36:37]
	ds_load_b128 v[2:5], v1 offset:1376
	ds_load_b128 v[10:13], v1 offset:1392
	s_waitcnt vmcnt(2) lgkmcnt(1)
	v_mul_f64 v[36:37], v[2:3], v[28:29]
	v_mul_f64 v[28:29], v[4:5], v[28:29]
	v_add_f64 v[14:15], v[14:15], v[18:19]
	v_add_f64 v[16:17], v[20:21], v[34:35]
	s_waitcnt vmcnt(1) lgkmcnt(0)
	v_mul_f64 v[18:19], v[10:11], v[32:33]
	v_mul_f64 v[20:21], v[12:13], v[32:33]
	v_fma_f64 v[4:5], v[4:5], v[26:27], v[36:37]
	v_fma_f64 v[1:2], v[2:3], v[26:27], -v[28:29]
	v_add_f64 v[6:7], v[14:15], v[6:7]
	v_add_f64 v[8:9], v[16:17], v[8:9]
	v_fma_f64 v[12:13], v[12:13], v[30:31], v[18:19]
	v_fma_f64 v[10:11], v[10:11], v[30:31], -v[20:21]
	s_delay_alu instid0(VALU_DEP_4) | instskip(NEXT) | instid1(VALU_DEP_4)
	v_add_f64 v[1:2], v[6:7], v[1:2]
	v_add_f64 v[3:4], v[8:9], v[4:5]
	s_delay_alu instid0(VALU_DEP_2) | instskip(NEXT) | instid1(VALU_DEP_2)
	v_add_f64 v[1:2], v[1:2], v[10:11]
	v_add_f64 v[3:4], v[3:4], v[12:13]
	s_waitcnt vmcnt(0)
	s_delay_alu instid0(VALU_DEP_2) | instskip(NEXT) | instid1(VALU_DEP_2)
	v_add_f64 v[1:2], v[42:43], -v[1:2]
	v_add_f64 v[3:4], v[44:45], -v[3:4]
	scratch_store_b128 off, v[1:4], off offset:560
	v_cmpx_lt_u32_e32 34, v134
	s_cbranch_execz .LBB107_209
; %bb.208:
	scratch_load_b128 v[1:4], v139, off
	v_mov_b32_e32 v5, 0
	s_delay_alu instid0(VALU_DEP_1)
	v_mov_b32_e32 v6, v5
	v_mov_b32_e32 v7, v5
	;; [unrolled: 1-line block ×3, first 2 shown]
	scratch_store_b128 off, v[5:8], off offset:544
	s_waitcnt vmcnt(0)
	ds_store_b128 v178, v[1:4]
.LBB107_209:
	s_or_b32 exec_lo, exec_lo, s2
	s_waitcnt lgkmcnt(0)
	s_waitcnt_vscnt null, 0x0
	s_barrier
	buffer_gl0_inv
	s_clause 0x7
	scratch_load_b128 v[2:5], off, off offset:560
	scratch_load_b128 v[6:9], off, off offset:576
	;; [unrolled: 1-line block ×8, first 2 shown]
	v_mov_b32_e32 v1, 0
	scratch_load_b128 v[38:41], off, off offset:688
	s_mov_b32 s2, exec_lo
	ds_load_b128 v[34:37], v1 offset:1264
	ds_load_b128 v[42:45], v1 offset:1280
	s_waitcnt vmcnt(8) lgkmcnt(1)
	v_mul_f64 v[179:180], v[36:37], v[4:5]
	v_mul_f64 v[4:5], v[34:35], v[4:5]
	s_waitcnt vmcnt(7) lgkmcnt(0)
	v_mul_f64 v[181:182], v[42:43], v[8:9]
	v_mul_f64 v[8:9], v[44:45], v[8:9]
	s_delay_alu instid0(VALU_DEP_4) | instskip(NEXT) | instid1(VALU_DEP_4)
	v_fma_f64 v[34:35], v[34:35], v[2:3], -v[179:180]
	v_fma_f64 v[36:37], v[36:37], v[2:3], v[4:5]
	ds_load_b128 v[2:5], v1 offset:1296
	v_fma_f64 v[44:45], v[44:45], v[6:7], v[181:182]
	v_fma_f64 v[42:43], v[42:43], v[6:7], -v[8:9]
	ds_load_b128 v[6:9], v1 offset:1312
	s_waitcnt vmcnt(6) lgkmcnt(1)
	v_mul_f64 v[179:180], v[2:3], v[12:13]
	v_mul_f64 v[12:13], v[4:5], v[12:13]
	s_waitcnt vmcnt(5) lgkmcnt(0)
	v_mul_f64 v[185:186], v[6:7], v[16:17]
	v_mul_f64 v[16:17], v[8:9], v[16:17]
	v_add_f64 v[181:182], v[34:35], 0
	v_add_f64 v[183:184], v[36:37], 0
	scratch_load_b128 v[34:37], off, off offset:544
	v_fma_f64 v[179:180], v[4:5], v[10:11], v[179:180]
	v_fma_f64 v[10:11], v[2:3], v[10:11], -v[12:13]
	ds_load_b128 v[2:5], v1 offset:1328
	v_add_f64 v[12:13], v[181:182], v[42:43]
	v_add_f64 v[42:43], v[183:184], v[44:45]
	v_fma_f64 v[181:182], v[8:9], v[14:15], v[185:186]
	v_fma_f64 v[14:15], v[6:7], v[14:15], -v[16:17]
	ds_load_b128 v[6:9], v1 offset:1344
	s_waitcnt vmcnt(5) lgkmcnt(1)
	v_mul_f64 v[44:45], v[2:3], v[20:21]
	v_mul_f64 v[20:21], v[4:5], v[20:21]
	s_waitcnt vmcnt(4) lgkmcnt(0)
	v_mul_f64 v[16:17], v[6:7], v[24:25]
	v_mul_f64 v[24:25], v[8:9], v[24:25]
	v_add_f64 v[10:11], v[12:13], v[10:11]
	v_add_f64 v[12:13], v[42:43], v[179:180]
	v_fma_f64 v[42:43], v[4:5], v[18:19], v[44:45]
	v_fma_f64 v[18:19], v[2:3], v[18:19], -v[20:21]
	ds_load_b128 v[2:5], v1 offset:1360
	v_fma_f64 v[16:17], v[8:9], v[22:23], v[16:17]
	v_fma_f64 v[22:23], v[6:7], v[22:23], -v[24:25]
	ds_load_b128 v[6:9], v1 offset:1376
	s_waitcnt vmcnt(3) lgkmcnt(1)
	v_mul_f64 v[20:21], v[4:5], v[28:29]
	v_add_f64 v[10:11], v[10:11], v[14:15]
	v_add_f64 v[12:13], v[12:13], v[181:182]
	v_mul_f64 v[14:15], v[2:3], v[28:29]
	s_waitcnt vmcnt(2) lgkmcnt(0)
	v_mul_f64 v[24:25], v[8:9], v[32:33]
	v_fma_f64 v[20:21], v[2:3], v[26:27], -v[20:21]
	v_add_f64 v[10:11], v[10:11], v[18:19]
	v_add_f64 v[12:13], v[12:13], v[42:43]
	v_mul_f64 v[18:19], v[6:7], v[32:33]
	v_fma_f64 v[14:15], v[4:5], v[26:27], v[14:15]
	ds_load_b128 v[2:5], v1 offset:1392
	v_fma_f64 v[6:7], v[6:7], v[30:31], -v[24:25]
	v_add_f64 v[10:11], v[10:11], v[22:23]
	v_add_f64 v[12:13], v[12:13], v[16:17]
	s_waitcnt vmcnt(1) lgkmcnt(0)
	v_mul_f64 v[16:17], v[2:3], v[40:41]
	v_mul_f64 v[22:23], v[4:5], v[40:41]
	v_fma_f64 v[8:9], v[8:9], v[30:31], v[18:19]
	v_add_f64 v[10:11], v[10:11], v[20:21]
	v_add_f64 v[12:13], v[12:13], v[14:15]
	v_fma_f64 v[4:5], v[4:5], v[38:39], v[16:17]
	v_fma_f64 v[2:3], v[2:3], v[38:39], -v[22:23]
	s_delay_alu instid0(VALU_DEP_4) | instskip(NEXT) | instid1(VALU_DEP_4)
	v_add_f64 v[6:7], v[10:11], v[6:7]
	v_add_f64 v[8:9], v[12:13], v[8:9]
	s_delay_alu instid0(VALU_DEP_2) | instskip(NEXT) | instid1(VALU_DEP_2)
	v_add_f64 v[2:3], v[6:7], v[2:3]
	v_add_f64 v[4:5], v[8:9], v[4:5]
	s_waitcnt vmcnt(0)
	s_delay_alu instid0(VALU_DEP_2) | instskip(NEXT) | instid1(VALU_DEP_2)
	v_add_f64 v[2:3], v[34:35], -v[2:3]
	v_add_f64 v[4:5], v[36:37], -v[4:5]
	scratch_store_b128 off, v[2:5], off offset:544
	v_cmpx_lt_u32_e32 33, v134
	s_cbranch_execz .LBB107_211
; %bb.210:
	scratch_load_b128 v[5:8], v140, off
	v_mov_b32_e32 v2, v1
	v_mov_b32_e32 v3, v1
	;; [unrolled: 1-line block ×3, first 2 shown]
	scratch_store_b128 off, v[1:4], off offset:528
	s_waitcnt vmcnt(0)
	ds_store_b128 v178, v[5:8]
.LBB107_211:
	s_or_b32 exec_lo, exec_lo, s2
	s_waitcnt lgkmcnt(0)
	s_waitcnt_vscnt null, 0x0
	s_barrier
	buffer_gl0_inv
	s_clause 0x7
	scratch_load_b128 v[2:5], off, off offset:544
	scratch_load_b128 v[6:9], off, off offset:560
	;; [unrolled: 1-line block ×8, first 2 shown]
	ds_load_b128 v[34:37], v1 offset:1248
	ds_load_b128 v[42:45], v1 offset:1264
	s_clause 0x1
	scratch_load_b128 v[38:41], off, off offset:672
	scratch_load_b128 v[179:182], off, off offset:688
	s_mov_b32 s2, exec_lo
	s_waitcnt vmcnt(9) lgkmcnt(1)
	v_mul_f64 v[183:184], v[36:37], v[4:5]
	v_mul_f64 v[4:5], v[34:35], v[4:5]
	s_waitcnt vmcnt(8) lgkmcnt(0)
	v_mul_f64 v[185:186], v[42:43], v[8:9]
	v_mul_f64 v[8:9], v[44:45], v[8:9]
	s_delay_alu instid0(VALU_DEP_4) | instskip(NEXT) | instid1(VALU_DEP_4)
	v_fma_f64 v[34:35], v[34:35], v[2:3], -v[183:184]
	v_fma_f64 v[36:37], v[36:37], v[2:3], v[4:5]
	ds_load_b128 v[2:5], v1 offset:1280
	v_fma_f64 v[44:45], v[44:45], v[6:7], v[185:186]
	v_fma_f64 v[42:43], v[42:43], v[6:7], -v[8:9]
	ds_load_b128 v[6:9], v1 offset:1296
	s_waitcnt vmcnt(7) lgkmcnt(1)
	v_mul_f64 v[183:184], v[2:3], v[12:13]
	v_mul_f64 v[12:13], v[4:5], v[12:13]
	s_waitcnt vmcnt(6) lgkmcnt(0)
	v_mul_f64 v[185:186], v[6:7], v[16:17]
	v_mul_f64 v[16:17], v[8:9], v[16:17]
	v_add_f64 v[34:35], v[34:35], 0
	v_add_f64 v[36:37], v[36:37], 0
	v_fma_f64 v[183:184], v[4:5], v[10:11], v[183:184]
	v_fma_f64 v[187:188], v[2:3], v[10:11], -v[12:13]
	ds_load_b128 v[2:5], v1 offset:1312
	scratch_load_b128 v[10:13], off, off offset:528
	v_add_f64 v[34:35], v[34:35], v[42:43]
	v_add_f64 v[36:37], v[36:37], v[44:45]
	v_fma_f64 v[44:45], v[8:9], v[14:15], v[185:186]
	v_fma_f64 v[14:15], v[6:7], v[14:15], -v[16:17]
	ds_load_b128 v[6:9], v1 offset:1328
	s_waitcnt vmcnt(6) lgkmcnt(1)
	v_mul_f64 v[42:43], v[2:3], v[20:21]
	v_mul_f64 v[20:21], v[4:5], v[20:21]
	v_add_f64 v[16:17], v[34:35], v[187:188]
	v_add_f64 v[34:35], v[36:37], v[183:184]
	s_waitcnt vmcnt(5) lgkmcnt(0)
	v_mul_f64 v[36:37], v[6:7], v[24:25]
	v_mul_f64 v[24:25], v[8:9], v[24:25]
	v_fma_f64 v[42:43], v[4:5], v[18:19], v[42:43]
	v_fma_f64 v[18:19], v[2:3], v[18:19], -v[20:21]
	ds_load_b128 v[2:5], v1 offset:1344
	v_add_f64 v[14:15], v[16:17], v[14:15]
	v_add_f64 v[16:17], v[34:35], v[44:45]
	v_fma_f64 v[34:35], v[8:9], v[22:23], v[36:37]
	v_fma_f64 v[22:23], v[6:7], v[22:23], -v[24:25]
	ds_load_b128 v[6:9], v1 offset:1360
	s_waitcnt vmcnt(4) lgkmcnt(1)
	v_mul_f64 v[20:21], v[2:3], v[28:29]
	v_mul_f64 v[28:29], v[4:5], v[28:29]
	s_waitcnt vmcnt(3) lgkmcnt(0)
	v_mul_f64 v[24:25], v[8:9], v[32:33]
	v_add_f64 v[14:15], v[14:15], v[18:19]
	v_add_f64 v[16:17], v[16:17], v[42:43]
	v_mul_f64 v[18:19], v[6:7], v[32:33]
	v_fma_f64 v[20:21], v[4:5], v[26:27], v[20:21]
	v_fma_f64 v[26:27], v[2:3], v[26:27], -v[28:29]
	ds_load_b128 v[2:5], v1 offset:1376
	v_fma_f64 v[24:25], v[6:7], v[30:31], -v[24:25]
	v_add_f64 v[14:15], v[14:15], v[22:23]
	v_add_f64 v[16:17], v[16:17], v[34:35]
	v_fma_f64 v[18:19], v[8:9], v[30:31], v[18:19]
	ds_load_b128 v[6:9], v1 offset:1392
	s_waitcnt vmcnt(2) lgkmcnt(1)
	v_mul_f64 v[22:23], v[2:3], v[40:41]
	v_mul_f64 v[28:29], v[4:5], v[40:41]
	v_add_f64 v[14:15], v[14:15], v[26:27]
	v_add_f64 v[16:17], v[16:17], v[20:21]
	s_waitcnt vmcnt(1) lgkmcnt(0)
	v_mul_f64 v[20:21], v[6:7], v[181:182]
	v_mul_f64 v[26:27], v[8:9], v[181:182]
	v_fma_f64 v[4:5], v[4:5], v[38:39], v[22:23]
	v_fma_f64 v[1:2], v[2:3], v[38:39], -v[28:29]
	v_add_f64 v[14:15], v[14:15], v[24:25]
	v_add_f64 v[16:17], v[16:17], v[18:19]
	v_fma_f64 v[8:9], v[8:9], v[179:180], v[20:21]
	v_fma_f64 v[6:7], v[6:7], v[179:180], -v[26:27]
	s_delay_alu instid0(VALU_DEP_4) | instskip(NEXT) | instid1(VALU_DEP_4)
	v_add_f64 v[1:2], v[14:15], v[1:2]
	v_add_f64 v[3:4], v[16:17], v[4:5]
	s_delay_alu instid0(VALU_DEP_2) | instskip(NEXT) | instid1(VALU_DEP_2)
	v_add_f64 v[1:2], v[1:2], v[6:7]
	v_add_f64 v[3:4], v[3:4], v[8:9]
	s_waitcnt vmcnt(0)
	s_delay_alu instid0(VALU_DEP_2) | instskip(NEXT) | instid1(VALU_DEP_2)
	v_add_f64 v[1:2], v[10:11], -v[1:2]
	v_add_f64 v[3:4], v[12:13], -v[3:4]
	scratch_store_b128 off, v[1:4], off offset:528
	v_cmpx_lt_u32_e32 32, v134
	s_cbranch_execz .LBB107_213
; %bb.212:
	scratch_load_b128 v[1:4], v141, off
	v_mov_b32_e32 v5, 0
	s_delay_alu instid0(VALU_DEP_1)
	v_mov_b32_e32 v6, v5
	v_mov_b32_e32 v7, v5
	;; [unrolled: 1-line block ×3, first 2 shown]
	scratch_store_b128 off, v[5:8], off offset:512
	s_waitcnt vmcnt(0)
	ds_store_b128 v178, v[1:4]
.LBB107_213:
	s_or_b32 exec_lo, exec_lo, s2
	s_waitcnt lgkmcnt(0)
	s_waitcnt_vscnt null, 0x0
	s_barrier
	buffer_gl0_inv
	s_clause 0x7
	scratch_load_b128 v[2:5], off, off offset:528
	scratch_load_b128 v[6:9], off, off offset:544
	;; [unrolled: 1-line block ×8, first 2 shown]
	v_mov_b32_e32 v1, 0
	s_clause 0x1
	scratch_load_b128 v[38:41], off, off offset:656
	scratch_load_b128 v[179:182], off, off offset:672
	s_mov_b32 s2, exec_lo
	ds_load_b128 v[34:37], v1 offset:1232
	ds_load_b128 v[42:45], v1 offset:1248
	s_waitcnt vmcnt(9) lgkmcnt(1)
	v_mul_f64 v[183:184], v[36:37], v[4:5]
	v_mul_f64 v[4:5], v[34:35], v[4:5]
	s_waitcnt vmcnt(8) lgkmcnt(0)
	v_mul_f64 v[185:186], v[42:43], v[8:9]
	v_mul_f64 v[8:9], v[44:45], v[8:9]
	s_delay_alu instid0(VALU_DEP_4) | instskip(NEXT) | instid1(VALU_DEP_4)
	v_fma_f64 v[183:184], v[34:35], v[2:3], -v[183:184]
	v_fma_f64 v[187:188], v[36:37], v[2:3], v[4:5]
	ds_load_b128 v[2:5], v1 offset:1264
	scratch_load_b128 v[34:37], off, off offset:688
	v_fma_f64 v[44:45], v[44:45], v[6:7], v[185:186]
	v_fma_f64 v[42:43], v[42:43], v[6:7], -v[8:9]
	ds_load_b128 v[6:9], v1 offset:1280
	s_waitcnt vmcnt(8) lgkmcnt(1)
	v_mul_f64 v[189:190], v[2:3], v[12:13]
	v_mul_f64 v[12:13], v[4:5], v[12:13]
	v_add_f64 v[183:184], v[183:184], 0
	v_add_f64 v[185:186], v[187:188], 0
	s_waitcnt vmcnt(7) lgkmcnt(0)
	v_mul_f64 v[187:188], v[6:7], v[16:17]
	v_mul_f64 v[16:17], v[8:9], v[16:17]
	v_fma_f64 v[189:190], v[4:5], v[10:11], v[189:190]
	v_fma_f64 v[10:11], v[2:3], v[10:11], -v[12:13]
	ds_load_b128 v[2:5], v1 offset:1296
	v_add_f64 v[12:13], v[183:184], v[42:43]
	v_add_f64 v[42:43], v[185:186], v[44:45]
	v_fma_f64 v[183:184], v[8:9], v[14:15], v[187:188]
	v_fma_f64 v[14:15], v[6:7], v[14:15], -v[16:17]
	ds_load_b128 v[6:9], v1 offset:1312
	s_waitcnt vmcnt(6) lgkmcnt(1)
	v_mul_f64 v[44:45], v[2:3], v[20:21]
	v_mul_f64 v[20:21], v[4:5], v[20:21]
	s_waitcnt vmcnt(5) lgkmcnt(0)
	v_mul_f64 v[185:186], v[6:7], v[24:25]
	v_mul_f64 v[24:25], v[8:9], v[24:25]
	v_add_f64 v[16:17], v[12:13], v[10:11]
	v_add_f64 v[42:43], v[42:43], v[189:190]
	scratch_load_b128 v[10:13], off, off offset:512
	v_fma_f64 v[44:45], v[4:5], v[18:19], v[44:45]
	v_fma_f64 v[18:19], v[2:3], v[18:19], -v[20:21]
	ds_load_b128 v[2:5], v1 offset:1328
	v_add_f64 v[14:15], v[16:17], v[14:15]
	v_add_f64 v[16:17], v[42:43], v[183:184]
	v_fma_f64 v[42:43], v[8:9], v[22:23], v[185:186]
	v_fma_f64 v[22:23], v[6:7], v[22:23], -v[24:25]
	ds_load_b128 v[6:9], v1 offset:1344
	s_waitcnt vmcnt(5) lgkmcnt(1)
	v_mul_f64 v[20:21], v[2:3], v[28:29]
	v_mul_f64 v[28:29], v[4:5], v[28:29]
	s_waitcnt vmcnt(4) lgkmcnt(0)
	v_mul_f64 v[24:25], v[8:9], v[32:33]
	v_add_f64 v[14:15], v[14:15], v[18:19]
	v_add_f64 v[16:17], v[16:17], v[44:45]
	v_mul_f64 v[18:19], v[6:7], v[32:33]
	v_fma_f64 v[20:21], v[4:5], v[26:27], v[20:21]
	v_fma_f64 v[26:27], v[2:3], v[26:27], -v[28:29]
	ds_load_b128 v[2:5], v1 offset:1360
	v_fma_f64 v[24:25], v[6:7], v[30:31], -v[24:25]
	v_add_f64 v[14:15], v[14:15], v[22:23]
	v_add_f64 v[16:17], v[16:17], v[42:43]
	v_fma_f64 v[18:19], v[8:9], v[30:31], v[18:19]
	ds_load_b128 v[6:9], v1 offset:1376
	s_waitcnt vmcnt(3) lgkmcnt(1)
	v_mul_f64 v[22:23], v[2:3], v[40:41]
	v_mul_f64 v[28:29], v[4:5], v[40:41]
	v_add_f64 v[14:15], v[14:15], v[26:27]
	v_add_f64 v[16:17], v[16:17], v[20:21]
	s_waitcnt vmcnt(2) lgkmcnt(0)
	v_mul_f64 v[20:21], v[6:7], v[181:182]
	v_mul_f64 v[26:27], v[8:9], v[181:182]
	v_fma_f64 v[22:23], v[4:5], v[38:39], v[22:23]
	v_fma_f64 v[28:29], v[2:3], v[38:39], -v[28:29]
	ds_load_b128 v[2:5], v1 offset:1392
	v_add_f64 v[14:15], v[14:15], v[24:25]
	v_add_f64 v[16:17], v[16:17], v[18:19]
	v_fma_f64 v[8:9], v[8:9], v[179:180], v[20:21]
	v_fma_f64 v[6:7], v[6:7], v[179:180], -v[26:27]
	s_waitcnt vmcnt(1) lgkmcnt(0)
	v_mul_f64 v[18:19], v[2:3], v[36:37]
	v_mul_f64 v[24:25], v[4:5], v[36:37]
	v_add_f64 v[14:15], v[14:15], v[28:29]
	v_add_f64 v[16:17], v[16:17], v[22:23]
	s_delay_alu instid0(VALU_DEP_4) | instskip(NEXT) | instid1(VALU_DEP_4)
	v_fma_f64 v[4:5], v[4:5], v[34:35], v[18:19]
	v_fma_f64 v[2:3], v[2:3], v[34:35], -v[24:25]
	s_delay_alu instid0(VALU_DEP_4) | instskip(NEXT) | instid1(VALU_DEP_4)
	v_add_f64 v[6:7], v[14:15], v[6:7]
	v_add_f64 v[8:9], v[16:17], v[8:9]
	s_delay_alu instid0(VALU_DEP_2) | instskip(NEXT) | instid1(VALU_DEP_2)
	v_add_f64 v[2:3], v[6:7], v[2:3]
	v_add_f64 v[4:5], v[8:9], v[4:5]
	s_waitcnt vmcnt(0)
	s_delay_alu instid0(VALU_DEP_2) | instskip(NEXT) | instid1(VALU_DEP_2)
	v_add_f64 v[2:3], v[10:11], -v[2:3]
	v_add_f64 v[4:5], v[12:13], -v[4:5]
	scratch_store_b128 off, v[2:5], off offset:512
	v_cmpx_lt_u32_e32 31, v134
	s_cbranch_execz .LBB107_215
; %bb.214:
	scratch_load_b128 v[5:8], v142, off
	v_mov_b32_e32 v2, v1
	v_mov_b32_e32 v3, v1
	;; [unrolled: 1-line block ×3, first 2 shown]
	scratch_store_b128 off, v[1:4], off offset:496
	s_waitcnt vmcnt(0)
	ds_store_b128 v178, v[5:8]
.LBB107_215:
	s_or_b32 exec_lo, exec_lo, s2
	s_waitcnt lgkmcnt(0)
	s_waitcnt_vscnt null, 0x0
	s_barrier
	buffer_gl0_inv
	s_clause 0x8
	scratch_load_b128 v[2:5], off, off offset:512
	scratch_load_b128 v[6:9], off, off offset:528
	;; [unrolled: 1-line block ×9, first 2 shown]
	ds_load_b128 v[38:41], v1 offset:1216
	ds_load_b128 v[42:45], v1 offset:1232
	s_clause 0x1
	scratch_load_b128 v[179:182], off, off offset:496
	scratch_load_b128 v[183:186], off, off offset:656
	s_mov_b32 s2, exec_lo
	s_waitcnt vmcnt(10) lgkmcnt(1)
	v_mul_f64 v[187:188], v[40:41], v[4:5]
	v_mul_f64 v[4:5], v[38:39], v[4:5]
	s_waitcnt vmcnt(9) lgkmcnt(0)
	v_mul_f64 v[191:192], v[42:43], v[8:9]
	v_mul_f64 v[8:9], v[44:45], v[8:9]
	s_delay_alu instid0(VALU_DEP_4) | instskip(NEXT) | instid1(VALU_DEP_4)
	v_fma_f64 v[193:194], v[38:39], v[2:3], -v[187:188]
	v_fma_f64 v[195:196], v[40:41], v[2:3], v[4:5]
	ds_load_b128 v[2:5], v1 offset:1248
	ds_load_b128 v[187:190], v1 offset:1264
	scratch_load_b128 v[38:41], off, off offset:672
	v_fma_f64 v[44:45], v[44:45], v[6:7], v[191:192]
	v_fma_f64 v[42:43], v[42:43], v[6:7], -v[8:9]
	scratch_load_b128 v[6:9], off, off offset:688
	s_waitcnt vmcnt(10) lgkmcnt(1)
	v_mul_f64 v[197:198], v[2:3], v[12:13]
	v_mul_f64 v[12:13], v[4:5], v[12:13]
	v_add_f64 v[191:192], v[193:194], 0
	v_add_f64 v[193:194], v[195:196], 0
	s_waitcnt vmcnt(9) lgkmcnt(0)
	v_mul_f64 v[195:196], v[187:188], v[16:17]
	v_mul_f64 v[16:17], v[189:190], v[16:17]
	v_fma_f64 v[197:198], v[4:5], v[10:11], v[197:198]
	v_fma_f64 v[199:200], v[2:3], v[10:11], -v[12:13]
	ds_load_b128 v[2:5], v1 offset:1280
	ds_load_b128 v[10:13], v1 offset:1296
	v_add_f64 v[42:43], v[191:192], v[42:43]
	v_add_f64 v[44:45], v[193:194], v[44:45]
	v_fma_f64 v[189:190], v[189:190], v[14:15], v[195:196]
	v_fma_f64 v[14:15], v[187:188], v[14:15], -v[16:17]
	s_waitcnt vmcnt(8) lgkmcnt(1)
	v_mul_f64 v[191:192], v[2:3], v[20:21]
	v_mul_f64 v[20:21], v[4:5], v[20:21]
	v_add_f64 v[16:17], v[42:43], v[199:200]
	v_add_f64 v[42:43], v[44:45], v[197:198]
	s_waitcnt vmcnt(7) lgkmcnt(0)
	v_mul_f64 v[44:45], v[10:11], v[24:25]
	v_mul_f64 v[24:25], v[12:13], v[24:25]
	v_fma_f64 v[187:188], v[4:5], v[18:19], v[191:192]
	v_fma_f64 v[18:19], v[2:3], v[18:19], -v[20:21]
	v_add_f64 v[20:21], v[16:17], v[14:15]
	v_add_f64 v[42:43], v[42:43], v[189:190]
	ds_load_b128 v[2:5], v1 offset:1312
	ds_load_b128 v[14:17], v1 offset:1328
	v_fma_f64 v[12:13], v[12:13], v[22:23], v[44:45]
	v_fma_f64 v[10:11], v[10:11], v[22:23], -v[24:25]
	s_waitcnt vmcnt(6) lgkmcnt(1)
	v_mul_f64 v[189:190], v[2:3], v[28:29]
	v_mul_f64 v[28:29], v[4:5], v[28:29]
	s_waitcnt vmcnt(5) lgkmcnt(0)
	v_mul_f64 v[22:23], v[14:15], v[32:33]
	v_mul_f64 v[24:25], v[16:17], v[32:33]
	v_add_f64 v[18:19], v[20:21], v[18:19]
	v_add_f64 v[20:21], v[42:43], v[187:188]
	v_fma_f64 v[32:33], v[4:5], v[26:27], v[189:190]
	v_fma_f64 v[26:27], v[2:3], v[26:27], -v[28:29]
	v_fma_f64 v[16:17], v[16:17], v[30:31], v[22:23]
	v_fma_f64 v[14:15], v[14:15], v[30:31], -v[24:25]
	v_add_f64 v[18:19], v[18:19], v[10:11]
	v_add_f64 v[20:21], v[20:21], v[12:13]
	ds_load_b128 v[2:5], v1 offset:1344
	ds_load_b128 v[10:13], v1 offset:1360
	s_waitcnt vmcnt(4) lgkmcnt(1)
	v_mul_f64 v[28:29], v[2:3], v[36:37]
	v_mul_f64 v[36:37], v[4:5], v[36:37]
	s_waitcnt vmcnt(2) lgkmcnt(0)
	v_mul_f64 v[22:23], v[10:11], v[185:186]
	v_mul_f64 v[24:25], v[12:13], v[185:186]
	v_add_f64 v[18:19], v[18:19], v[26:27]
	v_add_f64 v[20:21], v[20:21], v[32:33]
	v_fma_f64 v[26:27], v[4:5], v[34:35], v[28:29]
	v_fma_f64 v[28:29], v[2:3], v[34:35], -v[36:37]
	v_fma_f64 v[12:13], v[12:13], v[183:184], v[22:23]
	v_fma_f64 v[10:11], v[10:11], v[183:184], -v[24:25]
	v_add_f64 v[18:19], v[18:19], v[14:15]
	v_add_f64 v[20:21], v[20:21], v[16:17]
	ds_load_b128 v[2:5], v1 offset:1376
	ds_load_b128 v[14:17], v1 offset:1392
	s_waitcnt vmcnt(1) lgkmcnt(1)
	v_mul_f64 v[30:31], v[2:3], v[40:41]
	v_mul_f64 v[32:33], v[4:5], v[40:41]
	s_waitcnt vmcnt(0) lgkmcnt(0)
	v_mul_f64 v[22:23], v[14:15], v[8:9]
	v_mul_f64 v[8:9], v[16:17], v[8:9]
	v_add_f64 v[18:19], v[18:19], v[28:29]
	v_add_f64 v[20:21], v[20:21], v[26:27]
	v_fma_f64 v[4:5], v[4:5], v[38:39], v[30:31]
	v_fma_f64 v[1:2], v[2:3], v[38:39], -v[32:33]
	v_fma_f64 v[16:17], v[16:17], v[6:7], v[22:23]
	v_fma_f64 v[6:7], v[14:15], v[6:7], -v[8:9]
	v_add_f64 v[10:11], v[18:19], v[10:11]
	v_add_f64 v[12:13], v[20:21], v[12:13]
	s_delay_alu instid0(VALU_DEP_2) | instskip(NEXT) | instid1(VALU_DEP_2)
	v_add_f64 v[1:2], v[10:11], v[1:2]
	v_add_f64 v[3:4], v[12:13], v[4:5]
	s_delay_alu instid0(VALU_DEP_2) | instskip(NEXT) | instid1(VALU_DEP_2)
	;; [unrolled: 3-line block ×3, first 2 shown]
	v_add_f64 v[1:2], v[179:180], -v[1:2]
	v_add_f64 v[3:4], v[181:182], -v[3:4]
	scratch_store_b128 off, v[1:4], off offset:496
	v_cmpx_lt_u32_e32 30, v134
	s_cbranch_execz .LBB107_217
; %bb.216:
	scratch_load_b128 v[1:4], v143, off
	v_mov_b32_e32 v5, 0
	s_delay_alu instid0(VALU_DEP_1)
	v_mov_b32_e32 v6, v5
	v_mov_b32_e32 v7, v5
	;; [unrolled: 1-line block ×3, first 2 shown]
	scratch_store_b128 off, v[5:8], off offset:480
	s_waitcnt vmcnt(0)
	ds_store_b128 v178, v[1:4]
.LBB107_217:
	s_or_b32 exec_lo, exec_lo, s2
	s_waitcnt lgkmcnt(0)
	s_waitcnt_vscnt null, 0x0
	s_barrier
	buffer_gl0_inv
	s_clause 0x7
	scratch_load_b128 v[2:5], off, off offset:496
	scratch_load_b128 v[6:9], off, off offset:512
	;; [unrolled: 1-line block ×8, first 2 shown]
	v_mov_b32_e32 v1, 0
	s_mov_b32 s2, exec_lo
	ds_load_b128 v[34:37], v1 offset:1200
	s_clause 0x1
	scratch_load_b128 v[38:41], off, off offset:624
	scratch_load_b128 v[42:45], off, off offset:480
	ds_load_b128 v[179:182], v1 offset:1216
	scratch_load_b128 v[183:186], off, off offset:640
	s_waitcnt vmcnt(10) lgkmcnt(1)
	v_mul_f64 v[187:188], v[36:37], v[4:5]
	v_mul_f64 v[4:5], v[34:35], v[4:5]
	s_delay_alu instid0(VALU_DEP_2) | instskip(NEXT) | instid1(VALU_DEP_2)
	v_fma_f64 v[193:194], v[34:35], v[2:3], -v[187:188]
	v_fma_f64 v[195:196], v[36:37], v[2:3], v[4:5]
	scratch_load_b128 v[34:37], off, off offset:656
	ds_load_b128 v[2:5], v1 offset:1232
	s_waitcnt vmcnt(10) lgkmcnt(1)
	v_mul_f64 v[191:192], v[179:180], v[8:9]
	v_mul_f64 v[8:9], v[181:182], v[8:9]
	ds_load_b128 v[187:190], v1 offset:1248
	s_waitcnt vmcnt(9) lgkmcnt(1)
	v_mul_f64 v[197:198], v[2:3], v[12:13]
	v_mul_f64 v[12:13], v[4:5], v[12:13]
	v_fma_f64 v[181:182], v[181:182], v[6:7], v[191:192]
	v_fma_f64 v[179:180], v[179:180], v[6:7], -v[8:9]
	v_add_f64 v[191:192], v[193:194], 0
	v_add_f64 v[193:194], v[195:196], 0
	scratch_load_b128 v[6:9], off, off offset:672
	v_fma_f64 v[197:198], v[4:5], v[10:11], v[197:198]
	v_fma_f64 v[199:200], v[2:3], v[10:11], -v[12:13]
	scratch_load_b128 v[10:13], off, off offset:688
	ds_load_b128 v[2:5], v1 offset:1264
	s_waitcnt vmcnt(10) lgkmcnt(1)
	v_mul_f64 v[195:196], v[187:188], v[16:17]
	v_mul_f64 v[16:17], v[189:190], v[16:17]
	v_add_f64 v[191:192], v[191:192], v[179:180]
	v_add_f64 v[193:194], v[193:194], v[181:182]
	s_waitcnt vmcnt(9) lgkmcnt(0)
	v_mul_f64 v[201:202], v[2:3], v[20:21]
	v_mul_f64 v[20:21], v[4:5], v[20:21]
	ds_load_b128 v[179:182], v1 offset:1280
	v_fma_f64 v[189:190], v[189:190], v[14:15], v[195:196]
	v_fma_f64 v[14:15], v[187:188], v[14:15], -v[16:17]
	v_add_f64 v[16:17], v[191:192], v[199:200]
	v_add_f64 v[187:188], v[193:194], v[197:198]
	s_waitcnt vmcnt(8) lgkmcnt(0)
	v_mul_f64 v[191:192], v[179:180], v[24:25]
	v_mul_f64 v[24:25], v[181:182], v[24:25]
	v_fma_f64 v[193:194], v[4:5], v[18:19], v[201:202]
	v_fma_f64 v[18:19], v[2:3], v[18:19], -v[20:21]
	v_add_f64 v[20:21], v[16:17], v[14:15]
	v_add_f64 v[187:188], v[187:188], v[189:190]
	ds_load_b128 v[2:5], v1 offset:1296
	ds_load_b128 v[14:17], v1 offset:1312
	v_fma_f64 v[181:182], v[181:182], v[22:23], v[191:192]
	v_fma_f64 v[22:23], v[179:180], v[22:23], -v[24:25]
	s_waitcnt vmcnt(7) lgkmcnt(1)
	v_mul_f64 v[189:190], v[2:3], v[28:29]
	v_mul_f64 v[28:29], v[4:5], v[28:29]
	s_waitcnt vmcnt(6) lgkmcnt(0)
	v_mul_f64 v[24:25], v[14:15], v[32:33]
	v_mul_f64 v[32:33], v[16:17], v[32:33]
	v_add_f64 v[18:19], v[20:21], v[18:19]
	v_add_f64 v[20:21], v[187:188], v[193:194]
	v_fma_f64 v[179:180], v[4:5], v[26:27], v[189:190]
	v_fma_f64 v[26:27], v[2:3], v[26:27], -v[28:29]
	v_fma_f64 v[16:17], v[16:17], v[30:31], v[24:25]
	v_fma_f64 v[14:15], v[14:15], v[30:31], -v[32:33]
	v_add_f64 v[22:23], v[18:19], v[22:23]
	v_add_f64 v[28:29], v[20:21], v[181:182]
	ds_load_b128 v[2:5], v1 offset:1328
	ds_load_b128 v[18:21], v1 offset:1344
	s_waitcnt vmcnt(5) lgkmcnt(1)
	v_mul_f64 v[181:182], v[2:3], v[40:41]
	v_mul_f64 v[40:41], v[4:5], v[40:41]
	v_add_f64 v[22:23], v[22:23], v[26:27]
	v_add_f64 v[24:25], v[28:29], v[179:180]
	s_waitcnt vmcnt(3) lgkmcnt(0)
	v_mul_f64 v[26:27], v[18:19], v[185:186]
	v_mul_f64 v[28:29], v[20:21], v[185:186]
	v_fma_f64 v[30:31], v[4:5], v[38:39], v[181:182]
	v_fma_f64 v[32:33], v[2:3], v[38:39], -v[40:41]
	v_add_f64 v[22:23], v[22:23], v[14:15]
	v_add_f64 v[24:25], v[24:25], v[16:17]
	ds_load_b128 v[2:5], v1 offset:1360
	ds_load_b128 v[14:17], v1 offset:1376
	v_fma_f64 v[20:21], v[20:21], v[183:184], v[26:27]
	v_fma_f64 v[18:19], v[18:19], v[183:184], -v[28:29]
	s_waitcnt vmcnt(2) lgkmcnt(1)
	v_mul_f64 v[38:39], v[2:3], v[36:37]
	v_mul_f64 v[36:37], v[4:5], v[36:37]
	v_add_f64 v[22:23], v[22:23], v[32:33]
	v_add_f64 v[24:25], v[24:25], v[30:31]
	s_waitcnt vmcnt(1) lgkmcnt(0)
	v_mul_f64 v[26:27], v[14:15], v[8:9]
	v_mul_f64 v[8:9], v[16:17], v[8:9]
	v_fma_f64 v[28:29], v[4:5], v[34:35], v[38:39]
	v_fma_f64 v[30:31], v[2:3], v[34:35], -v[36:37]
	ds_load_b128 v[2:5], v1 offset:1392
	v_add_f64 v[18:19], v[22:23], v[18:19]
	v_add_f64 v[20:21], v[24:25], v[20:21]
	s_waitcnt vmcnt(0) lgkmcnt(0)
	v_mul_f64 v[22:23], v[2:3], v[12:13]
	v_mul_f64 v[12:13], v[4:5], v[12:13]
	v_fma_f64 v[16:17], v[16:17], v[6:7], v[26:27]
	v_fma_f64 v[6:7], v[14:15], v[6:7], -v[8:9]
	v_add_f64 v[8:9], v[18:19], v[30:31]
	v_add_f64 v[14:15], v[20:21], v[28:29]
	v_fma_f64 v[4:5], v[4:5], v[10:11], v[22:23]
	v_fma_f64 v[2:3], v[2:3], v[10:11], -v[12:13]
	s_delay_alu instid0(VALU_DEP_4) | instskip(NEXT) | instid1(VALU_DEP_4)
	v_add_f64 v[6:7], v[8:9], v[6:7]
	v_add_f64 v[8:9], v[14:15], v[16:17]
	s_delay_alu instid0(VALU_DEP_2) | instskip(NEXT) | instid1(VALU_DEP_2)
	v_add_f64 v[2:3], v[6:7], v[2:3]
	v_add_f64 v[4:5], v[8:9], v[4:5]
	s_delay_alu instid0(VALU_DEP_2) | instskip(NEXT) | instid1(VALU_DEP_2)
	v_add_f64 v[2:3], v[42:43], -v[2:3]
	v_add_f64 v[4:5], v[44:45], -v[4:5]
	scratch_store_b128 off, v[2:5], off offset:480
	v_cmpx_lt_u32_e32 29, v134
	s_cbranch_execz .LBB107_219
; %bb.218:
	scratch_load_b128 v[5:8], v145, off
	v_mov_b32_e32 v2, v1
	v_mov_b32_e32 v3, v1
	;; [unrolled: 1-line block ×3, first 2 shown]
	scratch_store_b128 off, v[1:4], off offset:464
	s_waitcnt vmcnt(0)
	ds_store_b128 v178, v[5:8]
.LBB107_219:
	s_or_b32 exec_lo, exec_lo, s2
	s_waitcnt lgkmcnt(0)
	s_waitcnt_vscnt null, 0x0
	s_barrier
	buffer_gl0_inv
	s_clause 0x8
	scratch_load_b128 v[2:5], off, off offset:480
	scratch_load_b128 v[6:9], off, off offset:496
	;; [unrolled: 1-line block ×9, first 2 shown]
	ds_load_b128 v[38:41], v1 offset:1184
	ds_load_b128 v[42:45], v1 offset:1200
	s_clause 0x1
	scratch_load_b128 v[179:182], off, off offset:464
	scratch_load_b128 v[183:186], off, off offset:624
	s_mov_b32 s2, exec_lo
	s_waitcnt vmcnt(10) lgkmcnt(1)
	v_mul_f64 v[187:188], v[40:41], v[4:5]
	v_mul_f64 v[4:5], v[38:39], v[4:5]
	s_waitcnt vmcnt(9) lgkmcnt(0)
	v_mul_f64 v[191:192], v[42:43], v[8:9]
	v_mul_f64 v[8:9], v[44:45], v[8:9]
	s_delay_alu instid0(VALU_DEP_4) | instskip(NEXT) | instid1(VALU_DEP_4)
	v_fma_f64 v[193:194], v[38:39], v[2:3], -v[187:188]
	v_fma_f64 v[195:196], v[40:41], v[2:3], v[4:5]
	ds_load_b128 v[2:5], v1 offset:1216
	ds_load_b128 v[187:190], v1 offset:1232
	scratch_load_b128 v[38:41], off, off offset:640
	v_fma_f64 v[44:45], v[44:45], v[6:7], v[191:192]
	v_fma_f64 v[42:43], v[42:43], v[6:7], -v[8:9]
	scratch_load_b128 v[6:9], off, off offset:656
	s_waitcnt vmcnt(10) lgkmcnt(1)
	v_mul_f64 v[197:198], v[2:3], v[12:13]
	v_mul_f64 v[12:13], v[4:5], v[12:13]
	v_add_f64 v[191:192], v[193:194], 0
	v_add_f64 v[193:194], v[195:196], 0
	s_waitcnt vmcnt(9) lgkmcnt(0)
	v_mul_f64 v[195:196], v[187:188], v[16:17]
	v_mul_f64 v[16:17], v[189:190], v[16:17]
	v_fma_f64 v[197:198], v[4:5], v[10:11], v[197:198]
	v_fma_f64 v[199:200], v[2:3], v[10:11], -v[12:13]
	ds_load_b128 v[2:5], v1 offset:1248
	scratch_load_b128 v[10:13], off, off offset:672
	v_add_f64 v[191:192], v[191:192], v[42:43]
	v_add_f64 v[193:194], v[193:194], v[44:45]
	ds_load_b128 v[42:45], v1 offset:1264
	v_fma_f64 v[189:190], v[189:190], v[14:15], v[195:196]
	v_fma_f64 v[187:188], v[187:188], v[14:15], -v[16:17]
	scratch_load_b128 v[14:17], off, off offset:688
	s_waitcnt vmcnt(10) lgkmcnt(1)
	v_mul_f64 v[201:202], v[2:3], v[20:21]
	v_mul_f64 v[20:21], v[4:5], v[20:21]
	s_waitcnt vmcnt(9) lgkmcnt(0)
	v_mul_f64 v[195:196], v[42:43], v[24:25]
	v_mul_f64 v[24:25], v[44:45], v[24:25]
	v_add_f64 v[191:192], v[191:192], v[199:200]
	v_add_f64 v[193:194], v[193:194], v[197:198]
	v_fma_f64 v[197:198], v[4:5], v[18:19], v[201:202]
	v_fma_f64 v[199:200], v[2:3], v[18:19], -v[20:21]
	ds_load_b128 v[2:5], v1 offset:1280
	ds_load_b128 v[18:21], v1 offset:1296
	v_fma_f64 v[44:45], v[44:45], v[22:23], v[195:196]
	v_fma_f64 v[22:23], v[42:43], v[22:23], -v[24:25]
	v_add_f64 v[187:188], v[191:192], v[187:188]
	v_add_f64 v[189:190], v[193:194], v[189:190]
	s_waitcnt vmcnt(8) lgkmcnt(1)
	v_mul_f64 v[191:192], v[2:3], v[28:29]
	v_mul_f64 v[28:29], v[4:5], v[28:29]
	s_delay_alu instid0(VALU_DEP_4) | instskip(NEXT) | instid1(VALU_DEP_4)
	v_add_f64 v[24:25], v[187:188], v[199:200]
	v_add_f64 v[42:43], v[189:190], v[197:198]
	s_waitcnt vmcnt(7) lgkmcnt(0)
	v_mul_f64 v[187:188], v[18:19], v[32:33]
	v_mul_f64 v[32:33], v[20:21], v[32:33]
	v_fma_f64 v[189:190], v[4:5], v[26:27], v[191:192]
	v_fma_f64 v[26:27], v[2:3], v[26:27], -v[28:29]
	v_add_f64 v[28:29], v[24:25], v[22:23]
	v_add_f64 v[42:43], v[42:43], v[44:45]
	ds_load_b128 v[2:5], v1 offset:1312
	ds_load_b128 v[22:25], v1 offset:1328
	v_fma_f64 v[20:21], v[20:21], v[30:31], v[187:188]
	v_fma_f64 v[18:19], v[18:19], v[30:31], -v[32:33]
	s_waitcnt vmcnt(6) lgkmcnt(1)
	v_mul_f64 v[44:45], v[2:3], v[36:37]
	v_mul_f64 v[36:37], v[4:5], v[36:37]
	s_waitcnt vmcnt(4) lgkmcnt(0)
	v_mul_f64 v[30:31], v[22:23], v[185:186]
	v_mul_f64 v[32:33], v[24:25], v[185:186]
	v_add_f64 v[26:27], v[28:29], v[26:27]
	v_add_f64 v[28:29], v[42:43], v[189:190]
	v_fma_f64 v[42:43], v[4:5], v[34:35], v[44:45]
	v_fma_f64 v[34:35], v[2:3], v[34:35], -v[36:37]
	v_fma_f64 v[24:25], v[24:25], v[183:184], v[30:31]
	v_fma_f64 v[22:23], v[22:23], v[183:184], -v[32:33]
	v_add_f64 v[26:27], v[26:27], v[18:19]
	v_add_f64 v[28:29], v[28:29], v[20:21]
	ds_load_b128 v[2:5], v1 offset:1344
	ds_load_b128 v[18:21], v1 offset:1360
	s_waitcnt vmcnt(3) lgkmcnt(1)
	v_mul_f64 v[36:37], v[2:3], v[40:41]
	v_mul_f64 v[40:41], v[4:5], v[40:41]
	s_waitcnt vmcnt(2) lgkmcnt(0)
	v_mul_f64 v[30:31], v[18:19], v[8:9]
	v_mul_f64 v[8:9], v[20:21], v[8:9]
	v_add_f64 v[26:27], v[26:27], v[34:35]
	v_add_f64 v[28:29], v[28:29], v[42:43]
	v_fma_f64 v[32:33], v[4:5], v[38:39], v[36:37]
	v_fma_f64 v[34:35], v[2:3], v[38:39], -v[40:41]
	v_fma_f64 v[20:21], v[20:21], v[6:7], v[30:31]
	v_fma_f64 v[6:7], v[18:19], v[6:7], -v[8:9]
	v_add_f64 v[26:27], v[26:27], v[22:23]
	v_add_f64 v[28:29], v[28:29], v[24:25]
	ds_load_b128 v[2:5], v1 offset:1376
	ds_load_b128 v[22:25], v1 offset:1392
	s_waitcnt vmcnt(1) lgkmcnt(1)
	v_mul_f64 v[36:37], v[2:3], v[12:13]
	v_mul_f64 v[12:13], v[4:5], v[12:13]
	v_add_f64 v[8:9], v[26:27], v[34:35]
	v_add_f64 v[18:19], v[28:29], v[32:33]
	s_waitcnt vmcnt(0) lgkmcnt(0)
	v_mul_f64 v[26:27], v[22:23], v[16:17]
	v_mul_f64 v[16:17], v[24:25], v[16:17]
	v_fma_f64 v[4:5], v[4:5], v[10:11], v[36:37]
	v_fma_f64 v[1:2], v[2:3], v[10:11], -v[12:13]
	v_add_f64 v[6:7], v[8:9], v[6:7]
	v_add_f64 v[8:9], v[18:19], v[20:21]
	v_fma_f64 v[10:11], v[24:25], v[14:15], v[26:27]
	v_fma_f64 v[12:13], v[22:23], v[14:15], -v[16:17]
	s_delay_alu instid0(VALU_DEP_4) | instskip(NEXT) | instid1(VALU_DEP_4)
	v_add_f64 v[1:2], v[6:7], v[1:2]
	v_add_f64 v[3:4], v[8:9], v[4:5]
	s_delay_alu instid0(VALU_DEP_2) | instskip(NEXT) | instid1(VALU_DEP_2)
	v_add_f64 v[1:2], v[1:2], v[12:13]
	v_add_f64 v[3:4], v[3:4], v[10:11]
	s_delay_alu instid0(VALU_DEP_2) | instskip(NEXT) | instid1(VALU_DEP_2)
	v_add_f64 v[1:2], v[179:180], -v[1:2]
	v_add_f64 v[3:4], v[181:182], -v[3:4]
	scratch_store_b128 off, v[1:4], off offset:464
	v_cmpx_lt_u32_e32 28, v134
	s_cbranch_execz .LBB107_221
; %bb.220:
	scratch_load_b128 v[1:4], v147, off
	v_mov_b32_e32 v5, 0
	s_delay_alu instid0(VALU_DEP_1)
	v_mov_b32_e32 v6, v5
	v_mov_b32_e32 v7, v5
	v_mov_b32_e32 v8, v5
	scratch_store_b128 off, v[5:8], off offset:448
	s_waitcnt vmcnt(0)
	ds_store_b128 v178, v[1:4]
.LBB107_221:
	s_or_b32 exec_lo, exec_lo, s2
	s_waitcnt lgkmcnt(0)
	s_waitcnt_vscnt null, 0x0
	s_barrier
	buffer_gl0_inv
	s_clause 0x7
	scratch_load_b128 v[2:5], off, off offset:464
	scratch_load_b128 v[6:9], off, off offset:480
	scratch_load_b128 v[10:13], off, off offset:496
	scratch_load_b128 v[14:17], off, off offset:512
	scratch_load_b128 v[18:21], off, off offset:528
	scratch_load_b128 v[22:25], off, off offset:544
	scratch_load_b128 v[26:29], off, off offset:560
	scratch_load_b128 v[30:33], off, off offset:576
	v_mov_b32_e32 v1, 0
	s_mov_b32 s2, exec_lo
	ds_load_b128 v[34:37], v1 offset:1168
	s_clause 0x1
	scratch_load_b128 v[38:41], off, off offset:592
	scratch_load_b128 v[42:45], off, off offset:448
	ds_load_b128 v[179:182], v1 offset:1184
	scratch_load_b128 v[183:186], off, off offset:608
	s_waitcnt vmcnt(10) lgkmcnt(1)
	v_mul_f64 v[187:188], v[36:37], v[4:5]
	v_mul_f64 v[4:5], v[34:35], v[4:5]
	s_delay_alu instid0(VALU_DEP_2) | instskip(NEXT) | instid1(VALU_DEP_2)
	v_fma_f64 v[193:194], v[34:35], v[2:3], -v[187:188]
	v_fma_f64 v[195:196], v[36:37], v[2:3], v[4:5]
	scratch_load_b128 v[34:37], off, off offset:624
	ds_load_b128 v[2:5], v1 offset:1200
	s_waitcnt vmcnt(10) lgkmcnt(1)
	v_mul_f64 v[191:192], v[179:180], v[8:9]
	v_mul_f64 v[8:9], v[181:182], v[8:9]
	ds_load_b128 v[187:190], v1 offset:1216
	s_waitcnt vmcnt(9) lgkmcnt(1)
	v_mul_f64 v[197:198], v[2:3], v[12:13]
	v_mul_f64 v[12:13], v[4:5], v[12:13]
	v_fma_f64 v[181:182], v[181:182], v[6:7], v[191:192]
	v_fma_f64 v[179:180], v[179:180], v[6:7], -v[8:9]
	v_add_f64 v[191:192], v[193:194], 0
	v_add_f64 v[193:194], v[195:196], 0
	scratch_load_b128 v[6:9], off, off offset:640
	v_fma_f64 v[197:198], v[4:5], v[10:11], v[197:198]
	v_fma_f64 v[199:200], v[2:3], v[10:11], -v[12:13]
	scratch_load_b128 v[10:13], off, off offset:656
	ds_load_b128 v[2:5], v1 offset:1232
	s_waitcnt vmcnt(10) lgkmcnt(1)
	v_mul_f64 v[195:196], v[187:188], v[16:17]
	v_mul_f64 v[16:17], v[189:190], v[16:17]
	v_add_f64 v[191:192], v[191:192], v[179:180]
	v_add_f64 v[193:194], v[193:194], v[181:182]
	s_waitcnt vmcnt(9) lgkmcnt(0)
	v_mul_f64 v[201:202], v[2:3], v[20:21]
	v_mul_f64 v[20:21], v[4:5], v[20:21]
	ds_load_b128 v[179:182], v1 offset:1248
	v_fma_f64 v[189:190], v[189:190], v[14:15], v[195:196]
	v_fma_f64 v[187:188], v[187:188], v[14:15], -v[16:17]
	scratch_load_b128 v[14:17], off, off offset:672
	v_add_f64 v[191:192], v[191:192], v[199:200]
	v_add_f64 v[193:194], v[193:194], v[197:198]
	v_fma_f64 v[197:198], v[4:5], v[18:19], v[201:202]
	v_fma_f64 v[199:200], v[2:3], v[18:19], -v[20:21]
	scratch_load_b128 v[18:21], off, off offset:688
	ds_load_b128 v[2:5], v1 offset:1264
	s_waitcnt vmcnt(10) lgkmcnt(1)
	v_mul_f64 v[195:196], v[179:180], v[24:25]
	v_mul_f64 v[24:25], v[181:182], v[24:25]
	s_waitcnt vmcnt(9) lgkmcnt(0)
	v_mul_f64 v[201:202], v[2:3], v[28:29]
	v_mul_f64 v[28:29], v[4:5], v[28:29]
	v_add_f64 v[191:192], v[191:192], v[187:188]
	v_add_f64 v[193:194], v[193:194], v[189:190]
	ds_load_b128 v[187:190], v1 offset:1280
	v_fma_f64 v[181:182], v[181:182], v[22:23], v[195:196]
	v_fma_f64 v[22:23], v[179:180], v[22:23], -v[24:25]
	v_add_f64 v[24:25], v[191:192], v[199:200]
	v_add_f64 v[179:180], v[193:194], v[197:198]
	s_waitcnt vmcnt(8) lgkmcnt(0)
	v_mul_f64 v[191:192], v[187:188], v[32:33]
	v_mul_f64 v[32:33], v[189:190], v[32:33]
	v_fma_f64 v[193:194], v[4:5], v[26:27], v[201:202]
	v_fma_f64 v[26:27], v[2:3], v[26:27], -v[28:29]
	v_add_f64 v[28:29], v[24:25], v[22:23]
	v_add_f64 v[179:180], v[179:180], v[181:182]
	ds_load_b128 v[2:5], v1 offset:1296
	ds_load_b128 v[22:25], v1 offset:1312
	v_fma_f64 v[189:190], v[189:190], v[30:31], v[191:192]
	v_fma_f64 v[30:31], v[187:188], v[30:31], -v[32:33]
	s_waitcnt vmcnt(7) lgkmcnt(1)
	v_mul_f64 v[181:182], v[2:3], v[40:41]
	v_mul_f64 v[40:41], v[4:5], v[40:41]
	s_waitcnt vmcnt(5) lgkmcnt(0)
	v_mul_f64 v[32:33], v[22:23], v[185:186]
	v_add_f64 v[26:27], v[28:29], v[26:27]
	v_add_f64 v[28:29], v[179:180], v[193:194]
	v_mul_f64 v[179:180], v[24:25], v[185:186]
	v_fma_f64 v[181:182], v[4:5], v[38:39], v[181:182]
	v_fma_f64 v[38:39], v[2:3], v[38:39], -v[40:41]
	v_fma_f64 v[24:25], v[24:25], v[183:184], v[32:33]
	v_add_f64 v[30:31], v[26:27], v[30:31]
	v_add_f64 v[40:41], v[28:29], v[189:190]
	ds_load_b128 v[2:5], v1 offset:1328
	ds_load_b128 v[26:29], v1 offset:1344
	v_fma_f64 v[22:23], v[22:23], v[183:184], -v[179:180]
	s_waitcnt vmcnt(4) lgkmcnt(1)
	v_mul_f64 v[185:186], v[2:3], v[36:37]
	v_mul_f64 v[36:37], v[4:5], v[36:37]
	v_add_f64 v[30:31], v[30:31], v[38:39]
	v_add_f64 v[32:33], v[40:41], v[181:182]
	s_waitcnt vmcnt(3) lgkmcnt(0)
	v_mul_f64 v[38:39], v[26:27], v[8:9]
	v_mul_f64 v[8:9], v[28:29], v[8:9]
	v_fma_f64 v[40:41], v[4:5], v[34:35], v[185:186]
	v_fma_f64 v[34:35], v[2:3], v[34:35], -v[36:37]
	v_add_f64 v[30:31], v[30:31], v[22:23]
	v_add_f64 v[32:33], v[32:33], v[24:25]
	ds_load_b128 v[2:5], v1 offset:1360
	ds_load_b128 v[22:25], v1 offset:1376
	v_fma_f64 v[28:29], v[28:29], v[6:7], v[38:39]
	v_fma_f64 v[6:7], v[26:27], v[6:7], -v[8:9]
	s_waitcnt vmcnt(2) lgkmcnt(1)
	v_mul_f64 v[36:37], v[2:3], v[12:13]
	v_mul_f64 v[12:13], v[4:5], v[12:13]
	v_add_f64 v[8:9], v[30:31], v[34:35]
	v_add_f64 v[26:27], v[32:33], v[40:41]
	s_waitcnt vmcnt(1) lgkmcnt(0)
	v_mul_f64 v[30:31], v[22:23], v[16:17]
	v_mul_f64 v[16:17], v[24:25], v[16:17]
	v_fma_f64 v[32:33], v[4:5], v[10:11], v[36:37]
	v_fma_f64 v[10:11], v[2:3], v[10:11], -v[12:13]
	ds_load_b128 v[2:5], v1 offset:1392
	v_add_f64 v[6:7], v[8:9], v[6:7]
	v_add_f64 v[8:9], v[26:27], v[28:29]
	v_fma_f64 v[24:25], v[24:25], v[14:15], v[30:31]
	v_fma_f64 v[14:15], v[22:23], v[14:15], -v[16:17]
	s_waitcnt vmcnt(0) lgkmcnt(0)
	v_mul_f64 v[12:13], v[2:3], v[20:21]
	v_mul_f64 v[20:21], v[4:5], v[20:21]
	v_add_f64 v[6:7], v[6:7], v[10:11]
	v_add_f64 v[8:9], v[8:9], v[32:33]
	s_delay_alu instid0(VALU_DEP_4) | instskip(NEXT) | instid1(VALU_DEP_4)
	v_fma_f64 v[4:5], v[4:5], v[18:19], v[12:13]
	v_fma_f64 v[2:3], v[2:3], v[18:19], -v[20:21]
	s_delay_alu instid0(VALU_DEP_4) | instskip(NEXT) | instid1(VALU_DEP_4)
	v_add_f64 v[6:7], v[6:7], v[14:15]
	v_add_f64 v[8:9], v[8:9], v[24:25]
	s_delay_alu instid0(VALU_DEP_2) | instskip(NEXT) | instid1(VALU_DEP_2)
	v_add_f64 v[2:3], v[6:7], v[2:3]
	v_add_f64 v[4:5], v[8:9], v[4:5]
	s_delay_alu instid0(VALU_DEP_2) | instskip(NEXT) | instid1(VALU_DEP_2)
	v_add_f64 v[2:3], v[42:43], -v[2:3]
	v_add_f64 v[4:5], v[44:45], -v[4:5]
	scratch_store_b128 off, v[2:5], off offset:448
	v_cmpx_lt_u32_e32 27, v134
	s_cbranch_execz .LBB107_223
; %bb.222:
	scratch_load_b128 v[5:8], v149, off
	v_mov_b32_e32 v2, v1
	v_mov_b32_e32 v3, v1
	;; [unrolled: 1-line block ×3, first 2 shown]
	scratch_store_b128 off, v[1:4], off offset:432
	s_waitcnt vmcnt(0)
	ds_store_b128 v178, v[5:8]
.LBB107_223:
	s_or_b32 exec_lo, exec_lo, s2
	s_waitcnt lgkmcnt(0)
	s_waitcnt_vscnt null, 0x0
	s_barrier
	buffer_gl0_inv
	s_clause 0x8
	scratch_load_b128 v[2:5], off, off offset:448
	scratch_load_b128 v[6:9], off, off offset:464
	;; [unrolled: 1-line block ×9, first 2 shown]
	ds_load_b128 v[38:41], v1 offset:1152
	ds_load_b128 v[42:45], v1 offset:1168
	s_clause 0x1
	scratch_load_b128 v[179:182], off, off offset:432
	scratch_load_b128 v[183:186], off, off offset:592
	s_mov_b32 s2, exec_lo
	s_waitcnt vmcnt(10) lgkmcnt(1)
	v_mul_f64 v[187:188], v[40:41], v[4:5]
	v_mul_f64 v[4:5], v[38:39], v[4:5]
	s_waitcnt vmcnt(9) lgkmcnt(0)
	v_mul_f64 v[191:192], v[42:43], v[8:9]
	v_mul_f64 v[8:9], v[44:45], v[8:9]
	s_delay_alu instid0(VALU_DEP_4) | instskip(NEXT) | instid1(VALU_DEP_4)
	v_fma_f64 v[193:194], v[38:39], v[2:3], -v[187:188]
	v_fma_f64 v[195:196], v[40:41], v[2:3], v[4:5]
	ds_load_b128 v[2:5], v1 offset:1184
	ds_load_b128 v[187:190], v1 offset:1200
	scratch_load_b128 v[38:41], off, off offset:608
	v_fma_f64 v[44:45], v[44:45], v[6:7], v[191:192]
	v_fma_f64 v[42:43], v[42:43], v[6:7], -v[8:9]
	scratch_load_b128 v[6:9], off, off offset:624
	s_waitcnt vmcnt(10) lgkmcnt(1)
	v_mul_f64 v[197:198], v[2:3], v[12:13]
	v_mul_f64 v[12:13], v[4:5], v[12:13]
	v_add_f64 v[191:192], v[193:194], 0
	v_add_f64 v[193:194], v[195:196], 0
	s_waitcnt vmcnt(9) lgkmcnt(0)
	v_mul_f64 v[195:196], v[187:188], v[16:17]
	v_mul_f64 v[16:17], v[189:190], v[16:17]
	v_fma_f64 v[197:198], v[4:5], v[10:11], v[197:198]
	v_fma_f64 v[199:200], v[2:3], v[10:11], -v[12:13]
	ds_load_b128 v[2:5], v1 offset:1216
	scratch_load_b128 v[10:13], off, off offset:640
	v_add_f64 v[191:192], v[191:192], v[42:43]
	v_add_f64 v[193:194], v[193:194], v[44:45]
	ds_load_b128 v[42:45], v1 offset:1232
	v_fma_f64 v[189:190], v[189:190], v[14:15], v[195:196]
	v_fma_f64 v[187:188], v[187:188], v[14:15], -v[16:17]
	scratch_load_b128 v[14:17], off, off offset:656
	s_waitcnt vmcnt(10) lgkmcnt(1)
	v_mul_f64 v[201:202], v[2:3], v[20:21]
	v_mul_f64 v[20:21], v[4:5], v[20:21]
	s_waitcnt vmcnt(9) lgkmcnt(0)
	v_mul_f64 v[195:196], v[42:43], v[24:25]
	v_mul_f64 v[24:25], v[44:45], v[24:25]
	v_add_f64 v[191:192], v[191:192], v[199:200]
	v_add_f64 v[193:194], v[193:194], v[197:198]
	v_fma_f64 v[197:198], v[4:5], v[18:19], v[201:202]
	v_fma_f64 v[199:200], v[2:3], v[18:19], -v[20:21]
	ds_load_b128 v[2:5], v1 offset:1248
	scratch_load_b128 v[18:21], off, off offset:672
	v_fma_f64 v[44:45], v[44:45], v[22:23], v[195:196]
	v_fma_f64 v[42:43], v[42:43], v[22:23], -v[24:25]
	scratch_load_b128 v[22:25], off, off offset:688
	v_add_f64 v[191:192], v[191:192], v[187:188]
	v_add_f64 v[193:194], v[193:194], v[189:190]
	ds_load_b128 v[187:190], v1 offset:1264
	s_waitcnt vmcnt(10) lgkmcnt(1)
	v_mul_f64 v[201:202], v[2:3], v[28:29]
	v_mul_f64 v[28:29], v[4:5], v[28:29]
	s_waitcnt vmcnt(9) lgkmcnt(0)
	v_mul_f64 v[195:196], v[187:188], v[32:33]
	v_mul_f64 v[32:33], v[189:190], v[32:33]
	v_add_f64 v[191:192], v[191:192], v[199:200]
	v_add_f64 v[193:194], v[193:194], v[197:198]
	v_fma_f64 v[197:198], v[4:5], v[26:27], v[201:202]
	v_fma_f64 v[199:200], v[2:3], v[26:27], -v[28:29]
	ds_load_b128 v[2:5], v1 offset:1280
	ds_load_b128 v[26:29], v1 offset:1296
	v_fma_f64 v[189:190], v[189:190], v[30:31], v[195:196]
	v_fma_f64 v[30:31], v[187:188], v[30:31], -v[32:33]
	v_add_f64 v[42:43], v[191:192], v[42:43]
	v_add_f64 v[44:45], v[193:194], v[44:45]
	s_waitcnt vmcnt(8) lgkmcnt(1)
	v_mul_f64 v[191:192], v[2:3], v[36:37]
	v_mul_f64 v[36:37], v[4:5], v[36:37]
	s_delay_alu instid0(VALU_DEP_4) | instskip(NEXT) | instid1(VALU_DEP_4)
	v_add_f64 v[32:33], v[42:43], v[199:200]
	v_add_f64 v[42:43], v[44:45], v[197:198]
	s_waitcnt vmcnt(6) lgkmcnt(0)
	v_mul_f64 v[44:45], v[26:27], v[185:186]
	v_mul_f64 v[185:186], v[28:29], v[185:186]
	v_fma_f64 v[187:188], v[4:5], v[34:35], v[191:192]
	v_fma_f64 v[34:35], v[2:3], v[34:35], -v[36:37]
	v_add_f64 v[36:37], v[32:33], v[30:31]
	v_add_f64 v[42:43], v[42:43], v[189:190]
	ds_load_b128 v[2:5], v1 offset:1312
	ds_load_b128 v[30:33], v1 offset:1328
	v_fma_f64 v[28:29], v[28:29], v[183:184], v[44:45]
	v_fma_f64 v[26:27], v[26:27], v[183:184], -v[185:186]
	s_waitcnt vmcnt(5) lgkmcnt(1)
	v_mul_f64 v[189:190], v[2:3], v[40:41]
	v_mul_f64 v[40:41], v[4:5], v[40:41]
	v_add_f64 v[34:35], v[36:37], v[34:35]
	v_add_f64 v[36:37], v[42:43], v[187:188]
	s_waitcnt vmcnt(4) lgkmcnt(0)
	v_mul_f64 v[42:43], v[30:31], v[8:9]
	v_mul_f64 v[8:9], v[32:33], v[8:9]
	v_fma_f64 v[44:45], v[4:5], v[38:39], v[189:190]
	v_fma_f64 v[38:39], v[2:3], v[38:39], -v[40:41]
	v_add_f64 v[34:35], v[34:35], v[26:27]
	v_add_f64 v[36:37], v[36:37], v[28:29]
	ds_load_b128 v[2:5], v1 offset:1344
	ds_load_b128 v[26:29], v1 offset:1360
	v_fma_f64 v[32:33], v[32:33], v[6:7], v[42:43]
	v_fma_f64 v[6:7], v[30:31], v[6:7], -v[8:9]
	s_waitcnt vmcnt(3) lgkmcnt(1)
	v_mul_f64 v[40:41], v[2:3], v[12:13]
	v_mul_f64 v[12:13], v[4:5], v[12:13]
	;; [unrolled: 16-line block ×3, first 2 shown]
	s_waitcnt vmcnt(0) lgkmcnt(0)
	v_mul_f64 v[16:17], v[6:7], v[24:25]
	v_mul_f64 v[24:25], v[8:9], v[24:25]
	v_add_f64 v[10:11], v[12:13], v[10:11]
	v_add_f64 v[12:13], v[30:31], v[36:37]
	v_fma_f64 v[4:5], v[4:5], v[18:19], v[32:33]
	v_fma_f64 v[1:2], v[2:3], v[18:19], -v[20:21]
	v_fma_f64 v[8:9], v[8:9], v[22:23], v[16:17]
	v_fma_f64 v[6:7], v[6:7], v[22:23], -v[24:25]
	v_add_f64 v[10:11], v[10:11], v[14:15]
	v_add_f64 v[12:13], v[12:13], v[28:29]
	s_delay_alu instid0(VALU_DEP_2) | instskip(NEXT) | instid1(VALU_DEP_2)
	v_add_f64 v[1:2], v[10:11], v[1:2]
	v_add_f64 v[3:4], v[12:13], v[4:5]
	s_delay_alu instid0(VALU_DEP_2) | instskip(NEXT) | instid1(VALU_DEP_2)
	;; [unrolled: 3-line block ×3, first 2 shown]
	v_add_f64 v[1:2], v[179:180], -v[1:2]
	v_add_f64 v[3:4], v[181:182], -v[3:4]
	scratch_store_b128 off, v[1:4], off offset:432
	v_cmpx_lt_u32_e32 26, v134
	s_cbranch_execz .LBB107_225
; %bb.224:
	scratch_load_b128 v[1:4], v150, off
	v_mov_b32_e32 v5, 0
	s_delay_alu instid0(VALU_DEP_1)
	v_mov_b32_e32 v6, v5
	v_mov_b32_e32 v7, v5
	;; [unrolled: 1-line block ×3, first 2 shown]
	scratch_store_b128 off, v[5:8], off offset:416
	s_waitcnt vmcnt(0)
	ds_store_b128 v178, v[1:4]
.LBB107_225:
	s_or_b32 exec_lo, exec_lo, s2
	s_waitcnt lgkmcnt(0)
	s_waitcnt_vscnt null, 0x0
	s_barrier
	buffer_gl0_inv
	s_clause 0x7
	scratch_load_b128 v[2:5], off, off offset:432
	scratch_load_b128 v[6:9], off, off offset:448
	;; [unrolled: 1-line block ×8, first 2 shown]
	v_mov_b32_e32 v1, 0
	s_mov_b32 s2, exec_lo
	ds_load_b128 v[34:37], v1 offset:1136
	s_clause 0x1
	scratch_load_b128 v[38:41], off, off offset:560
	scratch_load_b128 v[42:45], off, off offset:416
	ds_load_b128 v[179:182], v1 offset:1152
	scratch_load_b128 v[183:186], off, off offset:576
	s_waitcnt vmcnt(10) lgkmcnt(1)
	v_mul_f64 v[187:188], v[36:37], v[4:5]
	v_mul_f64 v[4:5], v[34:35], v[4:5]
	s_delay_alu instid0(VALU_DEP_2) | instskip(NEXT) | instid1(VALU_DEP_2)
	v_fma_f64 v[193:194], v[34:35], v[2:3], -v[187:188]
	v_fma_f64 v[195:196], v[36:37], v[2:3], v[4:5]
	scratch_load_b128 v[34:37], off, off offset:592
	ds_load_b128 v[2:5], v1 offset:1168
	s_waitcnt vmcnt(10) lgkmcnt(1)
	v_mul_f64 v[191:192], v[179:180], v[8:9]
	v_mul_f64 v[8:9], v[181:182], v[8:9]
	ds_load_b128 v[187:190], v1 offset:1184
	s_waitcnt vmcnt(9) lgkmcnt(1)
	v_mul_f64 v[197:198], v[2:3], v[12:13]
	v_mul_f64 v[12:13], v[4:5], v[12:13]
	v_fma_f64 v[181:182], v[181:182], v[6:7], v[191:192]
	v_fma_f64 v[179:180], v[179:180], v[6:7], -v[8:9]
	v_add_f64 v[191:192], v[193:194], 0
	v_add_f64 v[193:194], v[195:196], 0
	scratch_load_b128 v[6:9], off, off offset:608
	v_fma_f64 v[197:198], v[4:5], v[10:11], v[197:198]
	v_fma_f64 v[199:200], v[2:3], v[10:11], -v[12:13]
	scratch_load_b128 v[10:13], off, off offset:624
	ds_load_b128 v[2:5], v1 offset:1200
	s_waitcnt vmcnt(10) lgkmcnt(1)
	v_mul_f64 v[195:196], v[187:188], v[16:17]
	v_mul_f64 v[16:17], v[189:190], v[16:17]
	v_add_f64 v[191:192], v[191:192], v[179:180]
	v_add_f64 v[193:194], v[193:194], v[181:182]
	s_waitcnt vmcnt(9) lgkmcnt(0)
	v_mul_f64 v[201:202], v[2:3], v[20:21]
	v_mul_f64 v[20:21], v[4:5], v[20:21]
	ds_load_b128 v[179:182], v1 offset:1216
	v_fma_f64 v[189:190], v[189:190], v[14:15], v[195:196]
	v_fma_f64 v[187:188], v[187:188], v[14:15], -v[16:17]
	scratch_load_b128 v[14:17], off, off offset:640
	v_add_f64 v[191:192], v[191:192], v[199:200]
	v_add_f64 v[193:194], v[193:194], v[197:198]
	v_fma_f64 v[197:198], v[4:5], v[18:19], v[201:202]
	v_fma_f64 v[199:200], v[2:3], v[18:19], -v[20:21]
	scratch_load_b128 v[18:21], off, off offset:656
	ds_load_b128 v[2:5], v1 offset:1232
	s_waitcnt vmcnt(10) lgkmcnt(1)
	v_mul_f64 v[195:196], v[179:180], v[24:25]
	v_mul_f64 v[24:25], v[181:182], v[24:25]
	s_waitcnt vmcnt(9) lgkmcnt(0)
	v_mul_f64 v[201:202], v[2:3], v[28:29]
	v_mul_f64 v[28:29], v[4:5], v[28:29]
	v_add_f64 v[191:192], v[191:192], v[187:188]
	v_add_f64 v[193:194], v[193:194], v[189:190]
	ds_load_b128 v[187:190], v1 offset:1248
	v_fma_f64 v[181:182], v[181:182], v[22:23], v[195:196]
	v_fma_f64 v[179:180], v[179:180], v[22:23], -v[24:25]
	scratch_load_b128 v[22:25], off, off offset:672
	v_add_f64 v[191:192], v[191:192], v[199:200]
	v_add_f64 v[193:194], v[193:194], v[197:198]
	v_fma_f64 v[197:198], v[4:5], v[26:27], v[201:202]
	v_fma_f64 v[199:200], v[2:3], v[26:27], -v[28:29]
	scratch_load_b128 v[26:29], off, off offset:688
	ds_load_b128 v[2:5], v1 offset:1264
	s_waitcnt vmcnt(10) lgkmcnt(1)
	v_mul_f64 v[195:196], v[187:188], v[32:33]
	v_mul_f64 v[32:33], v[189:190], v[32:33]
	s_waitcnt vmcnt(9) lgkmcnt(0)
	v_mul_f64 v[201:202], v[2:3], v[40:41]
	v_mul_f64 v[40:41], v[4:5], v[40:41]
	v_add_f64 v[191:192], v[191:192], v[179:180]
	v_add_f64 v[193:194], v[193:194], v[181:182]
	ds_load_b128 v[179:182], v1 offset:1280
	v_fma_f64 v[189:190], v[189:190], v[30:31], v[195:196]
	v_fma_f64 v[30:31], v[187:188], v[30:31], -v[32:33]
	v_add_f64 v[32:33], v[191:192], v[199:200]
	v_add_f64 v[187:188], v[193:194], v[197:198]
	s_waitcnt vmcnt(7) lgkmcnt(0)
	v_mul_f64 v[191:192], v[179:180], v[185:186]
	v_mul_f64 v[185:186], v[181:182], v[185:186]
	v_fma_f64 v[193:194], v[4:5], v[38:39], v[201:202]
	v_fma_f64 v[38:39], v[2:3], v[38:39], -v[40:41]
	v_add_f64 v[40:41], v[32:33], v[30:31]
	v_add_f64 v[187:188], v[187:188], v[189:190]
	ds_load_b128 v[2:5], v1 offset:1296
	ds_load_b128 v[30:33], v1 offset:1312
	v_fma_f64 v[181:182], v[181:182], v[183:184], v[191:192]
	v_fma_f64 v[179:180], v[179:180], v[183:184], -v[185:186]
	s_waitcnt vmcnt(6) lgkmcnt(1)
	v_mul_f64 v[189:190], v[2:3], v[36:37]
	v_mul_f64 v[36:37], v[4:5], v[36:37]
	v_add_f64 v[38:39], v[40:41], v[38:39]
	v_add_f64 v[40:41], v[187:188], v[193:194]
	s_waitcnt vmcnt(5) lgkmcnt(0)
	v_mul_f64 v[183:184], v[30:31], v[8:9]
	v_mul_f64 v[8:9], v[32:33], v[8:9]
	v_fma_f64 v[185:186], v[4:5], v[34:35], v[189:190]
	v_fma_f64 v[187:188], v[2:3], v[34:35], -v[36:37]
	ds_load_b128 v[2:5], v1 offset:1328
	ds_load_b128 v[34:37], v1 offset:1344
	v_add_f64 v[38:39], v[38:39], v[179:180]
	v_add_f64 v[40:41], v[40:41], v[181:182]
	s_waitcnt vmcnt(4) lgkmcnt(1)
	v_mul_f64 v[179:180], v[2:3], v[12:13]
	v_mul_f64 v[12:13], v[4:5], v[12:13]
	v_fma_f64 v[32:33], v[32:33], v[6:7], v[183:184]
	v_fma_f64 v[6:7], v[30:31], v[6:7], -v[8:9]
	v_add_f64 v[8:9], v[38:39], v[187:188]
	v_add_f64 v[30:31], v[40:41], v[185:186]
	s_waitcnt vmcnt(3) lgkmcnt(0)
	v_mul_f64 v[38:39], v[34:35], v[16:17]
	v_mul_f64 v[16:17], v[36:37], v[16:17]
	v_fma_f64 v[40:41], v[4:5], v[10:11], v[179:180]
	v_fma_f64 v[10:11], v[2:3], v[10:11], -v[12:13]
	v_add_f64 v[12:13], v[8:9], v[6:7]
	v_add_f64 v[30:31], v[30:31], v[32:33]
	ds_load_b128 v[2:5], v1 offset:1360
	ds_load_b128 v[6:9], v1 offset:1376
	v_fma_f64 v[36:37], v[36:37], v[14:15], v[38:39]
	v_fma_f64 v[14:15], v[34:35], v[14:15], -v[16:17]
	s_waitcnt vmcnt(2) lgkmcnt(1)
	v_mul_f64 v[32:33], v[2:3], v[20:21]
	v_mul_f64 v[20:21], v[4:5], v[20:21]
	s_waitcnt vmcnt(1) lgkmcnt(0)
	v_mul_f64 v[16:17], v[6:7], v[24:25]
	v_mul_f64 v[24:25], v[8:9], v[24:25]
	v_add_f64 v[10:11], v[12:13], v[10:11]
	v_add_f64 v[12:13], v[30:31], v[40:41]
	v_fma_f64 v[30:31], v[4:5], v[18:19], v[32:33]
	v_fma_f64 v[18:19], v[2:3], v[18:19], -v[20:21]
	ds_load_b128 v[2:5], v1 offset:1392
	v_fma_f64 v[8:9], v[8:9], v[22:23], v[16:17]
	v_fma_f64 v[6:7], v[6:7], v[22:23], -v[24:25]
	v_add_f64 v[10:11], v[10:11], v[14:15]
	v_add_f64 v[12:13], v[12:13], v[36:37]
	s_waitcnt vmcnt(0) lgkmcnt(0)
	v_mul_f64 v[14:15], v[2:3], v[28:29]
	v_mul_f64 v[20:21], v[4:5], v[28:29]
	s_delay_alu instid0(VALU_DEP_4) | instskip(NEXT) | instid1(VALU_DEP_4)
	v_add_f64 v[10:11], v[10:11], v[18:19]
	v_add_f64 v[12:13], v[12:13], v[30:31]
	s_delay_alu instid0(VALU_DEP_4) | instskip(NEXT) | instid1(VALU_DEP_4)
	v_fma_f64 v[4:5], v[4:5], v[26:27], v[14:15]
	v_fma_f64 v[2:3], v[2:3], v[26:27], -v[20:21]
	s_delay_alu instid0(VALU_DEP_4) | instskip(NEXT) | instid1(VALU_DEP_4)
	v_add_f64 v[6:7], v[10:11], v[6:7]
	v_add_f64 v[8:9], v[12:13], v[8:9]
	s_delay_alu instid0(VALU_DEP_2) | instskip(NEXT) | instid1(VALU_DEP_2)
	v_add_f64 v[2:3], v[6:7], v[2:3]
	v_add_f64 v[4:5], v[8:9], v[4:5]
	s_delay_alu instid0(VALU_DEP_2) | instskip(NEXT) | instid1(VALU_DEP_2)
	v_add_f64 v[2:3], v[42:43], -v[2:3]
	v_add_f64 v[4:5], v[44:45], -v[4:5]
	scratch_store_b128 off, v[2:5], off offset:416
	v_cmpx_lt_u32_e32 25, v134
	s_cbranch_execz .LBB107_227
; %bb.226:
	scratch_load_b128 v[5:8], v152, off
	v_mov_b32_e32 v2, v1
	v_mov_b32_e32 v3, v1
	;; [unrolled: 1-line block ×3, first 2 shown]
	scratch_store_b128 off, v[1:4], off offset:400
	s_waitcnt vmcnt(0)
	ds_store_b128 v178, v[5:8]
.LBB107_227:
	s_or_b32 exec_lo, exec_lo, s2
	s_waitcnt lgkmcnt(0)
	s_waitcnt_vscnt null, 0x0
	s_barrier
	buffer_gl0_inv
	s_clause 0x8
	scratch_load_b128 v[2:5], off, off offset:416
	scratch_load_b128 v[6:9], off, off offset:432
	;; [unrolled: 1-line block ×9, first 2 shown]
	ds_load_b128 v[38:41], v1 offset:1120
	ds_load_b128 v[42:45], v1 offset:1136
	s_clause 0x1
	scratch_load_b128 v[179:182], off, off offset:400
	scratch_load_b128 v[183:186], off, off offset:560
	s_mov_b32 s2, exec_lo
	s_waitcnt vmcnt(10) lgkmcnt(1)
	v_mul_f64 v[187:188], v[40:41], v[4:5]
	v_mul_f64 v[4:5], v[38:39], v[4:5]
	s_waitcnt vmcnt(9) lgkmcnt(0)
	v_mul_f64 v[191:192], v[42:43], v[8:9]
	v_mul_f64 v[8:9], v[44:45], v[8:9]
	s_delay_alu instid0(VALU_DEP_4) | instskip(NEXT) | instid1(VALU_DEP_4)
	v_fma_f64 v[193:194], v[38:39], v[2:3], -v[187:188]
	v_fma_f64 v[195:196], v[40:41], v[2:3], v[4:5]
	ds_load_b128 v[2:5], v1 offset:1152
	ds_load_b128 v[187:190], v1 offset:1168
	scratch_load_b128 v[38:41], off, off offset:576
	v_fma_f64 v[44:45], v[44:45], v[6:7], v[191:192]
	v_fma_f64 v[42:43], v[42:43], v[6:7], -v[8:9]
	scratch_load_b128 v[6:9], off, off offset:592
	s_waitcnt vmcnt(10) lgkmcnt(1)
	v_mul_f64 v[197:198], v[2:3], v[12:13]
	v_mul_f64 v[12:13], v[4:5], v[12:13]
	v_add_f64 v[191:192], v[193:194], 0
	v_add_f64 v[193:194], v[195:196], 0
	s_waitcnt vmcnt(9) lgkmcnt(0)
	v_mul_f64 v[195:196], v[187:188], v[16:17]
	v_mul_f64 v[16:17], v[189:190], v[16:17]
	v_fma_f64 v[197:198], v[4:5], v[10:11], v[197:198]
	v_fma_f64 v[199:200], v[2:3], v[10:11], -v[12:13]
	ds_load_b128 v[2:5], v1 offset:1184
	scratch_load_b128 v[10:13], off, off offset:608
	v_add_f64 v[191:192], v[191:192], v[42:43]
	v_add_f64 v[193:194], v[193:194], v[44:45]
	ds_load_b128 v[42:45], v1 offset:1200
	v_fma_f64 v[189:190], v[189:190], v[14:15], v[195:196]
	v_fma_f64 v[187:188], v[187:188], v[14:15], -v[16:17]
	scratch_load_b128 v[14:17], off, off offset:624
	s_waitcnt vmcnt(10) lgkmcnt(1)
	v_mul_f64 v[201:202], v[2:3], v[20:21]
	v_mul_f64 v[20:21], v[4:5], v[20:21]
	s_waitcnt vmcnt(9) lgkmcnt(0)
	v_mul_f64 v[195:196], v[42:43], v[24:25]
	v_mul_f64 v[24:25], v[44:45], v[24:25]
	v_add_f64 v[191:192], v[191:192], v[199:200]
	v_add_f64 v[193:194], v[193:194], v[197:198]
	v_fma_f64 v[197:198], v[4:5], v[18:19], v[201:202]
	v_fma_f64 v[199:200], v[2:3], v[18:19], -v[20:21]
	ds_load_b128 v[2:5], v1 offset:1216
	scratch_load_b128 v[18:21], off, off offset:640
	v_fma_f64 v[44:45], v[44:45], v[22:23], v[195:196]
	v_fma_f64 v[42:43], v[42:43], v[22:23], -v[24:25]
	scratch_load_b128 v[22:25], off, off offset:656
	v_add_f64 v[191:192], v[191:192], v[187:188]
	v_add_f64 v[193:194], v[193:194], v[189:190]
	ds_load_b128 v[187:190], v1 offset:1232
	s_waitcnt vmcnt(10) lgkmcnt(1)
	v_mul_f64 v[201:202], v[2:3], v[28:29]
	v_mul_f64 v[28:29], v[4:5], v[28:29]
	s_waitcnt vmcnt(9) lgkmcnt(0)
	v_mul_f64 v[195:196], v[187:188], v[32:33]
	v_mul_f64 v[32:33], v[189:190], v[32:33]
	v_add_f64 v[191:192], v[191:192], v[199:200]
	v_add_f64 v[193:194], v[193:194], v[197:198]
	v_fma_f64 v[197:198], v[4:5], v[26:27], v[201:202]
	v_fma_f64 v[199:200], v[2:3], v[26:27], -v[28:29]
	ds_load_b128 v[2:5], v1 offset:1248
	scratch_load_b128 v[26:29], off, off offset:672
	v_fma_f64 v[189:190], v[189:190], v[30:31], v[195:196]
	v_fma_f64 v[187:188], v[187:188], v[30:31], -v[32:33]
	scratch_load_b128 v[30:33], off, off offset:688
	v_add_f64 v[191:192], v[191:192], v[42:43]
	v_add_f64 v[193:194], v[193:194], v[44:45]
	ds_load_b128 v[42:45], v1 offset:1264
	s_waitcnt vmcnt(10) lgkmcnt(1)
	v_mul_f64 v[201:202], v[2:3], v[36:37]
	v_mul_f64 v[36:37], v[4:5], v[36:37]
	s_waitcnt vmcnt(8) lgkmcnt(0)
	v_mul_f64 v[195:196], v[42:43], v[185:186]
	v_mul_f64 v[185:186], v[44:45], v[185:186]
	v_add_f64 v[191:192], v[191:192], v[199:200]
	v_add_f64 v[193:194], v[193:194], v[197:198]
	v_fma_f64 v[197:198], v[4:5], v[34:35], v[201:202]
	v_fma_f64 v[199:200], v[2:3], v[34:35], -v[36:37]
	ds_load_b128 v[2:5], v1 offset:1280
	ds_load_b128 v[34:37], v1 offset:1296
	v_fma_f64 v[44:45], v[44:45], v[183:184], v[195:196]
	v_fma_f64 v[42:43], v[42:43], v[183:184], -v[185:186]
	v_add_f64 v[187:188], v[191:192], v[187:188]
	v_add_f64 v[189:190], v[193:194], v[189:190]
	s_waitcnt vmcnt(7) lgkmcnt(1)
	v_mul_f64 v[191:192], v[2:3], v[40:41]
	v_mul_f64 v[40:41], v[4:5], v[40:41]
	s_delay_alu instid0(VALU_DEP_4) | instskip(NEXT) | instid1(VALU_DEP_4)
	v_add_f64 v[183:184], v[187:188], v[199:200]
	v_add_f64 v[185:186], v[189:190], v[197:198]
	s_waitcnt vmcnt(6) lgkmcnt(0)
	v_mul_f64 v[187:188], v[34:35], v[8:9]
	v_mul_f64 v[8:9], v[36:37], v[8:9]
	v_fma_f64 v[189:190], v[4:5], v[38:39], v[191:192]
	v_fma_f64 v[191:192], v[2:3], v[38:39], -v[40:41]
	ds_load_b128 v[2:5], v1 offset:1312
	ds_load_b128 v[38:41], v1 offset:1328
	v_add_f64 v[42:43], v[183:184], v[42:43]
	v_add_f64 v[44:45], v[185:186], v[44:45]
	v_fma_f64 v[36:37], v[36:37], v[6:7], v[187:188]
	s_waitcnt vmcnt(5) lgkmcnt(1)
	v_mul_f64 v[183:184], v[2:3], v[12:13]
	v_mul_f64 v[12:13], v[4:5], v[12:13]
	v_fma_f64 v[6:7], v[34:35], v[6:7], -v[8:9]
	v_add_f64 v[8:9], v[42:43], v[191:192]
	v_add_f64 v[34:35], v[44:45], v[189:190]
	s_waitcnt vmcnt(4) lgkmcnt(0)
	v_mul_f64 v[42:43], v[38:39], v[16:17]
	v_mul_f64 v[16:17], v[40:41], v[16:17]
	v_fma_f64 v[44:45], v[4:5], v[10:11], v[183:184]
	v_fma_f64 v[10:11], v[2:3], v[10:11], -v[12:13]
	v_add_f64 v[12:13], v[8:9], v[6:7]
	v_add_f64 v[34:35], v[34:35], v[36:37]
	ds_load_b128 v[2:5], v1 offset:1344
	ds_load_b128 v[6:9], v1 offset:1360
	v_fma_f64 v[40:41], v[40:41], v[14:15], v[42:43]
	v_fma_f64 v[14:15], v[38:39], v[14:15], -v[16:17]
	s_waitcnt vmcnt(3) lgkmcnt(1)
	v_mul_f64 v[36:37], v[2:3], v[20:21]
	v_mul_f64 v[20:21], v[4:5], v[20:21]
	s_waitcnt vmcnt(2) lgkmcnt(0)
	v_mul_f64 v[16:17], v[6:7], v[24:25]
	v_mul_f64 v[24:25], v[8:9], v[24:25]
	v_add_f64 v[10:11], v[12:13], v[10:11]
	v_add_f64 v[12:13], v[34:35], v[44:45]
	v_fma_f64 v[34:35], v[4:5], v[18:19], v[36:37]
	v_fma_f64 v[18:19], v[2:3], v[18:19], -v[20:21]
	v_fma_f64 v[8:9], v[8:9], v[22:23], v[16:17]
	v_fma_f64 v[6:7], v[6:7], v[22:23], -v[24:25]
	v_add_f64 v[14:15], v[10:11], v[14:15]
	v_add_f64 v[20:21], v[12:13], v[40:41]
	ds_load_b128 v[2:5], v1 offset:1376
	ds_load_b128 v[10:13], v1 offset:1392
	s_waitcnt vmcnt(1) lgkmcnt(1)
	v_mul_f64 v[36:37], v[2:3], v[28:29]
	v_mul_f64 v[28:29], v[4:5], v[28:29]
	v_add_f64 v[14:15], v[14:15], v[18:19]
	v_add_f64 v[16:17], v[20:21], v[34:35]
	s_waitcnt vmcnt(0) lgkmcnt(0)
	v_mul_f64 v[18:19], v[10:11], v[32:33]
	v_mul_f64 v[20:21], v[12:13], v[32:33]
	v_fma_f64 v[4:5], v[4:5], v[26:27], v[36:37]
	v_fma_f64 v[1:2], v[2:3], v[26:27], -v[28:29]
	v_add_f64 v[6:7], v[14:15], v[6:7]
	v_add_f64 v[8:9], v[16:17], v[8:9]
	v_fma_f64 v[12:13], v[12:13], v[30:31], v[18:19]
	v_fma_f64 v[10:11], v[10:11], v[30:31], -v[20:21]
	s_delay_alu instid0(VALU_DEP_4) | instskip(NEXT) | instid1(VALU_DEP_4)
	v_add_f64 v[1:2], v[6:7], v[1:2]
	v_add_f64 v[3:4], v[8:9], v[4:5]
	s_delay_alu instid0(VALU_DEP_2) | instskip(NEXT) | instid1(VALU_DEP_2)
	v_add_f64 v[1:2], v[1:2], v[10:11]
	v_add_f64 v[3:4], v[3:4], v[12:13]
	s_delay_alu instid0(VALU_DEP_2) | instskip(NEXT) | instid1(VALU_DEP_2)
	v_add_f64 v[1:2], v[179:180], -v[1:2]
	v_add_f64 v[3:4], v[181:182], -v[3:4]
	scratch_store_b128 off, v[1:4], off offset:400
	v_cmpx_lt_u32_e32 24, v134
	s_cbranch_execz .LBB107_229
; %bb.228:
	scratch_load_b128 v[1:4], v154, off
	v_mov_b32_e32 v5, 0
	s_delay_alu instid0(VALU_DEP_1)
	v_mov_b32_e32 v6, v5
	v_mov_b32_e32 v7, v5
	;; [unrolled: 1-line block ×3, first 2 shown]
	scratch_store_b128 off, v[5:8], off offset:384
	s_waitcnt vmcnt(0)
	ds_store_b128 v178, v[1:4]
.LBB107_229:
	s_or_b32 exec_lo, exec_lo, s2
	s_waitcnt lgkmcnt(0)
	s_waitcnt_vscnt null, 0x0
	s_barrier
	buffer_gl0_inv
	s_clause 0x7
	scratch_load_b128 v[2:5], off, off offset:400
	scratch_load_b128 v[6:9], off, off offset:416
	;; [unrolled: 1-line block ×8, first 2 shown]
	v_mov_b32_e32 v1, 0
	s_mov_b32 s2, exec_lo
	ds_load_b128 v[34:37], v1 offset:1104
	s_clause 0x1
	scratch_load_b128 v[38:41], off, off offset:528
	scratch_load_b128 v[42:45], off, off offset:384
	ds_load_b128 v[179:182], v1 offset:1120
	scratch_load_b128 v[183:186], off, off offset:544
	s_waitcnt vmcnt(10) lgkmcnt(1)
	v_mul_f64 v[187:188], v[36:37], v[4:5]
	v_mul_f64 v[4:5], v[34:35], v[4:5]
	s_delay_alu instid0(VALU_DEP_2) | instskip(NEXT) | instid1(VALU_DEP_2)
	v_fma_f64 v[193:194], v[34:35], v[2:3], -v[187:188]
	v_fma_f64 v[195:196], v[36:37], v[2:3], v[4:5]
	scratch_load_b128 v[34:37], off, off offset:560
	ds_load_b128 v[2:5], v1 offset:1136
	s_waitcnt vmcnt(10) lgkmcnt(1)
	v_mul_f64 v[191:192], v[179:180], v[8:9]
	v_mul_f64 v[8:9], v[181:182], v[8:9]
	ds_load_b128 v[187:190], v1 offset:1152
	s_waitcnt vmcnt(9) lgkmcnt(1)
	v_mul_f64 v[197:198], v[2:3], v[12:13]
	v_mul_f64 v[12:13], v[4:5], v[12:13]
	v_fma_f64 v[181:182], v[181:182], v[6:7], v[191:192]
	v_fma_f64 v[179:180], v[179:180], v[6:7], -v[8:9]
	v_add_f64 v[191:192], v[193:194], 0
	v_add_f64 v[193:194], v[195:196], 0
	scratch_load_b128 v[6:9], off, off offset:576
	v_fma_f64 v[197:198], v[4:5], v[10:11], v[197:198]
	v_fma_f64 v[199:200], v[2:3], v[10:11], -v[12:13]
	scratch_load_b128 v[10:13], off, off offset:592
	ds_load_b128 v[2:5], v1 offset:1168
	s_waitcnt vmcnt(10) lgkmcnt(1)
	v_mul_f64 v[195:196], v[187:188], v[16:17]
	v_mul_f64 v[16:17], v[189:190], v[16:17]
	v_add_f64 v[191:192], v[191:192], v[179:180]
	v_add_f64 v[193:194], v[193:194], v[181:182]
	s_waitcnt vmcnt(9) lgkmcnt(0)
	v_mul_f64 v[201:202], v[2:3], v[20:21]
	v_mul_f64 v[20:21], v[4:5], v[20:21]
	ds_load_b128 v[179:182], v1 offset:1184
	v_fma_f64 v[189:190], v[189:190], v[14:15], v[195:196]
	v_fma_f64 v[187:188], v[187:188], v[14:15], -v[16:17]
	scratch_load_b128 v[14:17], off, off offset:608
	v_add_f64 v[191:192], v[191:192], v[199:200]
	v_add_f64 v[193:194], v[193:194], v[197:198]
	v_fma_f64 v[197:198], v[4:5], v[18:19], v[201:202]
	v_fma_f64 v[199:200], v[2:3], v[18:19], -v[20:21]
	scratch_load_b128 v[18:21], off, off offset:624
	ds_load_b128 v[2:5], v1 offset:1200
	s_waitcnt vmcnt(10) lgkmcnt(1)
	v_mul_f64 v[195:196], v[179:180], v[24:25]
	v_mul_f64 v[24:25], v[181:182], v[24:25]
	s_waitcnt vmcnt(9) lgkmcnt(0)
	v_mul_f64 v[201:202], v[2:3], v[28:29]
	v_mul_f64 v[28:29], v[4:5], v[28:29]
	v_add_f64 v[191:192], v[191:192], v[187:188]
	v_add_f64 v[193:194], v[193:194], v[189:190]
	ds_load_b128 v[187:190], v1 offset:1216
	v_fma_f64 v[181:182], v[181:182], v[22:23], v[195:196]
	v_fma_f64 v[179:180], v[179:180], v[22:23], -v[24:25]
	scratch_load_b128 v[22:25], off, off offset:640
	v_add_f64 v[191:192], v[191:192], v[199:200]
	v_add_f64 v[193:194], v[193:194], v[197:198]
	v_fma_f64 v[197:198], v[4:5], v[26:27], v[201:202]
	v_fma_f64 v[199:200], v[2:3], v[26:27], -v[28:29]
	scratch_load_b128 v[26:29], off, off offset:656
	ds_load_b128 v[2:5], v1 offset:1232
	s_waitcnt vmcnt(10) lgkmcnt(1)
	v_mul_f64 v[195:196], v[187:188], v[32:33]
	v_mul_f64 v[32:33], v[189:190], v[32:33]
	s_waitcnt vmcnt(9) lgkmcnt(0)
	v_mul_f64 v[201:202], v[2:3], v[40:41]
	v_mul_f64 v[40:41], v[4:5], v[40:41]
	v_add_f64 v[191:192], v[191:192], v[179:180]
	v_add_f64 v[193:194], v[193:194], v[181:182]
	ds_load_b128 v[179:182], v1 offset:1248
	v_fma_f64 v[189:190], v[189:190], v[30:31], v[195:196]
	v_fma_f64 v[187:188], v[187:188], v[30:31], -v[32:33]
	scratch_load_b128 v[30:33], off, off offset:672
	v_add_f64 v[191:192], v[191:192], v[199:200]
	v_add_f64 v[193:194], v[193:194], v[197:198]
	v_fma_f64 v[199:200], v[4:5], v[38:39], v[201:202]
	v_fma_f64 v[201:202], v[2:3], v[38:39], -v[40:41]
	scratch_load_b128 v[38:41], off, off offset:688
	ds_load_b128 v[2:5], v1 offset:1264
	s_waitcnt vmcnt(9) lgkmcnt(1)
	v_mul_f64 v[195:196], v[179:180], v[185:186]
	v_mul_f64 v[197:198], v[181:182], v[185:186]
	v_add_f64 v[191:192], v[191:192], v[187:188]
	v_add_f64 v[189:190], v[193:194], v[189:190]
	ds_load_b128 v[185:188], v1 offset:1280
	v_fma_f64 v[181:182], v[181:182], v[183:184], v[195:196]
	v_fma_f64 v[179:180], v[179:180], v[183:184], -v[197:198]
	s_waitcnt vmcnt(8) lgkmcnt(1)
	v_mul_f64 v[193:194], v[2:3], v[36:37]
	v_mul_f64 v[36:37], v[4:5], v[36:37]
	v_add_f64 v[183:184], v[191:192], v[201:202]
	v_add_f64 v[189:190], v[189:190], v[199:200]
	s_delay_alu instid0(VALU_DEP_4) | instskip(NEXT) | instid1(VALU_DEP_4)
	v_fma_f64 v[193:194], v[4:5], v[34:35], v[193:194]
	v_fma_f64 v[195:196], v[2:3], v[34:35], -v[36:37]
	ds_load_b128 v[2:5], v1 offset:1296
	ds_load_b128 v[34:37], v1 offset:1312
	s_waitcnt vmcnt(7) lgkmcnt(2)
	v_mul_f64 v[191:192], v[185:186], v[8:9]
	v_mul_f64 v[8:9], v[187:188], v[8:9]
	v_add_f64 v[179:180], v[183:184], v[179:180]
	v_add_f64 v[181:182], v[189:190], v[181:182]
	s_waitcnt vmcnt(6) lgkmcnt(1)
	v_mul_f64 v[183:184], v[2:3], v[12:13]
	v_mul_f64 v[12:13], v[4:5], v[12:13]
	v_fma_f64 v[187:188], v[187:188], v[6:7], v[191:192]
	v_fma_f64 v[6:7], v[185:186], v[6:7], -v[8:9]
	v_add_f64 v[8:9], v[179:180], v[195:196]
	v_add_f64 v[179:180], v[181:182], v[193:194]
	s_waitcnt vmcnt(5) lgkmcnt(0)
	v_mul_f64 v[181:182], v[34:35], v[16:17]
	v_mul_f64 v[16:17], v[36:37], v[16:17]
	v_fma_f64 v[183:184], v[4:5], v[10:11], v[183:184]
	v_fma_f64 v[10:11], v[2:3], v[10:11], -v[12:13]
	v_add_f64 v[12:13], v[8:9], v[6:7]
	v_add_f64 v[179:180], v[179:180], v[187:188]
	ds_load_b128 v[2:5], v1 offset:1328
	ds_load_b128 v[6:9], v1 offset:1344
	v_fma_f64 v[36:37], v[36:37], v[14:15], v[181:182]
	v_fma_f64 v[14:15], v[34:35], v[14:15], -v[16:17]
	s_waitcnt vmcnt(4) lgkmcnt(1)
	v_mul_f64 v[185:186], v[2:3], v[20:21]
	v_mul_f64 v[20:21], v[4:5], v[20:21]
	s_waitcnt vmcnt(3) lgkmcnt(0)
	v_mul_f64 v[16:17], v[6:7], v[24:25]
	v_mul_f64 v[24:25], v[8:9], v[24:25]
	v_add_f64 v[10:11], v[12:13], v[10:11]
	v_add_f64 v[12:13], v[179:180], v[183:184]
	v_fma_f64 v[34:35], v[4:5], v[18:19], v[185:186]
	v_fma_f64 v[18:19], v[2:3], v[18:19], -v[20:21]
	v_fma_f64 v[8:9], v[8:9], v[22:23], v[16:17]
	v_fma_f64 v[6:7], v[6:7], v[22:23], -v[24:25]
	v_add_f64 v[14:15], v[10:11], v[14:15]
	v_add_f64 v[20:21], v[12:13], v[36:37]
	ds_load_b128 v[2:5], v1 offset:1360
	ds_load_b128 v[10:13], v1 offset:1376
	s_waitcnt vmcnt(2) lgkmcnt(1)
	v_mul_f64 v[36:37], v[2:3], v[28:29]
	v_mul_f64 v[28:29], v[4:5], v[28:29]
	v_add_f64 v[14:15], v[14:15], v[18:19]
	v_add_f64 v[16:17], v[20:21], v[34:35]
	s_waitcnt vmcnt(1) lgkmcnt(0)
	v_mul_f64 v[18:19], v[10:11], v[32:33]
	v_mul_f64 v[20:21], v[12:13], v[32:33]
	v_fma_f64 v[22:23], v[4:5], v[26:27], v[36:37]
	v_fma_f64 v[24:25], v[2:3], v[26:27], -v[28:29]
	ds_load_b128 v[2:5], v1 offset:1392
	v_add_f64 v[6:7], v[14:15], v[6:7]
	v_add_f64 v[8:9], v[16:17], v[8:9]
	v_fma_f64 v[12:13], v[12:13], v[30:31], v[18:19]
	v_fma_f64 v[10:11], v[10:11], v[30:31], -v[20:21]
	s_waitcnt vmcnt(0) lgkmcnt(0)
	v_mul_f64 v[14:15], v[2:3], v[40:41]
	v_mul_f64 v[16:17], v[4:5], v[40:41]
	v_add_f64 v[6:7], v[6:7], v[24:25]
	v_add_f64 v[8:9], v[8:9], v[22:23]
	s_delay_alu instid0(VALU_DEP_4) | instskip(NEXT) | instid1(VALU_DEP_4)
	v_fma_f64 v[4:5], v[4:5], v[38:39], v[14:15]
	v_fma_f64 v[2:3], v[2:3], v[38:39], -v[16:17]
	s_delay_alu instid0(VALU_DEP_4) | instskip(NEXT) | instid1(VALU_DEP_4)
	v_add_f64 v[6:7], v[6:7], v[10:11]
	v_add_f64 v[8:9], v[8:9], v[12:13]
	s_delay_alu instid0(VALU_DEP_2) | instskip(NEXT) | instid1(VALU_DEP_2)
	v_add_f64 v[2:3], v[6:7], v[2:3]
	v_add_f64 v[4:5], v[8:9], v[4:5]
	s_delay_alu instid0(VALU_DEP_2) | instskip(NEXT) | instid1(VALU_DEP_2)
	v_add_f64 v[2:3], v[42:43], -v[2:3]
	v_add_f64 v[4:5], v[44:45], -v[4:5]
	scratch_store_b128 off, v[2:5], off offset:384
	v_cmpx_lt_u32_e32 23, v134
	s_cbranch_execz .LBB107_231
; %bb.230:
	scratch_load_b128 v[5:8], v156, off
	v_mov_b32_e32 v2, v1
	v_mov_b32_e32 v3, v1
	v_mov_b32_e32 v4, v1
	scratch_store_b128 off, v[1:4], off offset:368
	s_waitcnt vmcnt(0)
	ds_store_b128 v178, v[5:8]
.LBB107_231:
	s_or_b32 exec_lo, exec_lo, s2
	s_waitcnt lgkmcnt(0)
	s_waitcnt_vscnt null, 0x0
	s_barrier
	buffer_gl0_inv
	s_clause 0x8
	scratch_load_b128 v[2:5], off, off offset:384
	scratch_load_b128 v[6:9], off, off offset:400
	;; [unrolled: 1-line block ×9, first 2 shown]
	ds_load_b128 v[38:41], v1 offset:1088
	ds_load_b128 v[42:45], v1 offset:1104
	s_clause 0x1
	scratch_load_b128 v[179:182], off, off offset:368
	scratch_load_b128 v[183:186], off, off offset:528
	s_mov_b32 s2, exec_lo
	s_waitcnt vmcnt(10) lgkmcnt(1)
	v_mul_f64 v[187:188], v[40:41], v[4:5]
	v_mul_f64 v[4:5], v[38:39], v[4:5]
	s_waitcnt vmcnt(9) lgkmcnt(0)
	v_mul_f64 v[191:192], v[42:43], v[8:9]
	v_mul_f64 v[8:9], v[44:45], v[8:9]
	s_delay_alu instid0(VALU_DEP_4) | instskip(NEXT) | instid1(VALU_DEP_4)
	v_fma_f64 v[193:194], v[38:39], v[2:3], -v[187:188]
	v_fma_f64 v[195:196], v[40:41], v[2:3], v[4:5]
	ds_load_b128 v[2:5], v1 offset:1120
	ds_load_b128 v[187:190], v1 offset:1136
	scratch_load_b128 v[38:41], off, off offset:544
	v_fma_f64 v[44:45], v[44:45], v[6:7], v[191:192]
	v_fma_f64 v[42:43], v[42:43], v[6:7], -v[8:9]
	scratch_load_b128 v[6:9], off, off offset:560
	s_waitcnt vmcnt(10) lgkmcnt(1)
	v_mul_f64 v[197:198], v[2:3], v[12:13]
	v_mul_f64 v[12:13], v[4:5], v[12:13]
	v_add_f64 v[191:192], v[193:194], 0
	v_add_f64 v[193:194], v[195:196], 0
	s_waitcnt vmcnt(9) lgkmcnt(0)
	v_mul_f64 v[195:196], v[187:188], v[16:17]
	v_mul_f64 v[16:17], v[189:190], v[16:17]
	v_fma_f64 v[197:198], v[4:5], v[10:11], v[197:198]
	v_fma_f64 v[199:200], v[2:3], v[10:11], -v[12:13]
	ds_load_b128 v[2:5], v1 offset:1152
	scratch_load_b128 v[10:13], off, off offset:576
	v_add_f64 v[191:192], v[191:192], v[42:43]
	v_add_f64 v[193:194], v[193:194], v[44:45]
	ds_load_b128 v[42:45], v1 offset:1168
	v_fma_f64 v[189:190], v[189:190], v[14:15], v[195:196]
	v_fma_f64 v[187:188], v[187:188], v[14:15], -v[16:17]
	scratch_load_b128 v[14:17], off, off offset:592
	s_waitcnt vmcnt(10) lgkmcnt(1)
	v_mul_f64 v[201:202], v[2:3], v[20:21]
	v_mul_f64 v[20:21], v[4:5], v[20:21]
	s_waitcnt vmcnt(9) lgkmcnt(0)
	v_mul_f64 v[195:196], v[42:43], v[24:25]
	v_mul_f64 v[24:25], v[44:45], v[24:25]
	v_add_f64 v[191:192], v[191:192], v[199:200]
	v_add_f64 v[193:194], v[193:194], v[197:198]
	v_fma_f64 v[197:198], v[4:5], v[18:19], v[201:202]
	v_fma_f64 v[199:200], v[2:3], v[18:19], -v[20:21]
	ds_load_b128 v[2:5], v1 offset:1184
	scratch_load_b128 v[18:21], off, off offset:608
	v_fma_f64 v[44:45], v[44:45], v[22:23], v[195:196]
	v_fma_f64 v[42:43], v[42:43], v[22:23], -v[24:25]
	scratch_load_b128 v[22:25], off, off offset:624
	v_add_f64 v[191:192], v[191:192], v[187:188]
	v_add_f64 v[193:194], v[193:194], v[189:190]
	ds_load_b128 v[187:190], v1 offset:1200
	s_waitcnt vmcnt(10) lgkmcnt(1)
	v_mul_f64 v[201:202], v[2:3], v[28:29]
	v_mul_f64 v[28:29], v[4:5], v[28:29]
	s_waitcnt vmcnt(9) lgkmcnt(0)
	v_mul_f64 v[195:196], v[187:188], v[32:33]
	v_mul_f64 v[32:33], v[189:190], v[32:33]
	v_add_f64 v[191:192], v[191:192], v[199:200]
	v_add_f64 v[193:194], v[193:194], v[197:198]
	v_fma_f64 v[197:198], v[4:5], v[26:27], v[201:202]
	v_fma_f64 v[199:200], v[2:3], v[26:27], -v[28:29]
	ds_load_b128 v[2:5], v1 offset:1216
	scratch_load_b128 v[26:29], off, off offset:640
	v_fma_f64 v[189:190], v[189:190], v[30:31], v[195:196]
	v_fma_f64 v[187:188], v[187:188], v[30:31], -v[32:33]
	scratch_load_b128 v[30:33], off, off offset:656
	v_add_f64 v[191:192], v[191:192], v[42:43]
	v_add_f64 v[193:194], v[193:194], v[44:45]
	ds_load_b128 v[42:45], v1 offset:1232
	s_waitcnt vmcnt(10) lgkmcnt(1)
	v_mul_f64 v[201:202], v[2:3], v[36:37]
	v_mul_f64 v[36:37], v[4:5], v[36:37]
	s_waitcnt vmcnt(8) lgkmcnt(0)
	v_mul_f64 v[195:196], v[42:43], v[185:186]
	v_add_f64 v[191:192], v[191:192], v[199:200]
	v_add_f64 v[193:194], v[193:194], v[197:198]
	v_mul_f64 v[197:198], v[44:45], v[185:186]
	v_fma_f64 v[199:200], v[4:5], v[34:35], v[201:202]
	v_fma_f64 v[201:202], v[2:3], v[34:35], -v[36:37]
	ds_load_b128 v[2:5], v1 offset:1248
	scratch_load_b128 v[34:37], off, off offset:672
	v_fma_f64 v[44:45], v[44:45], v[183:184], v[195:196]
	v_add_f64 v[191:192], v[191:192], v[187:188]
	v_add_f64 v[189:190], v[193:194], v[189:190]
	ds_load_b128 v[185:188], v1 offset:1264
	v_fma_f64 v[183:184], v[42:43], v[183:184], -v[197:198]
	s_waitcnt vmcnt(8) lgkmcnt(1)
	v_mul_f64 v[193:194], v[2:3], v[40:41]
	v_mul_f64 v[203:204], v[4:5], v[40:41]
	scratch_load_b128 v[40:43], off, off offset:688
	s_waitcnt vmcnt(8) lgkmcnt(0)
	v_mul_f64 v[195:196], v[185:186], v[8:9]
	v_mul_f64 v[8:9], v[187:188], v[8:9]
	v_add_f64 v[191:192], v[191:192], v[201:202]
	v_add_f64 v[189:190], v[189:190], v[199:200]
	v_fma_f64 v[193:194], v[4:5], v[38:39], v[193:194]
	v_fma_f64 v[38:39], v[2:3], v[38:39], -v[203:204]
	v_fma_f64 v[187:188], v[187:188], v[6:7], v[195:196]
	v_fma_f64 v[6:7], v[185:186], v[6:7], -v[8:9]
	v_add_f64 v[183:184], v[191:192], v[183:184]
	v_add_f64 v[44:45], v[189:190], v[44:45]
	ds_load_b128 v[2:5], v1 offset:1280
	ds_load_b128 v[189:192], v1 offset:1296
	s_waitcnt vmcnt(7) lgkmcnt(1)
	v_mul_f64 v[197:198], v[2:3], v[12:13]
	v_mul_f64 v[12:13], v[4:5], v[12:13]
	v_add_f64 v[8:9], v[183:184], v[38:39]
	v_add_f64 v[38:39], v[44:45], v[193:194]
	s_waitcnt vmcnt(6) lgkmcnt(0)
	v_mul_f64 v[44:45], v[189:190], v[16:17]
	v_mul_f64 v[16:17], v[191:192], v[16:17]
	v_fma_f64 v[183:184], v[4:5], v[10:11], v[197:198]
	v_fma_f64 v[10:11], v[2:3], v[10:11], -v[12:13]
	v_add_f64 v[12:13], v[8:9], v[6:7]
	v_add_f64 v[38:39], v[38:39], v[187:188]
	ds_load_b128 v[2:5], v1 offset:1312
	ds_load_b128 v[6:9], v1 offset:1328
	v_fma_f64 v[44:45], v[191:192], v[14:15], v[44:45]
	v_fma_f64 v[14:15], v[189:190], v[14:15], -v[16:17]
	s_waitcnt vmcnt(5) lgkmcnt(1)
	v_mul_f64 v[185:186], v[2:3], v[20:21]
	v_mul_f64 v[20:21], v[4:5], v[20:21]
	s_waitcnt vmcnt(4) lgkmcnt(0)
	v_mul_f64 v[16:17], v[6:7], v[24:25]
	v_mul_f64 v[24:25], v[8:9], v[24:25]
	v_add_f64 v[10:11], v[12:13], v[10:11]
	v_add_f64 v[12:13], v[38:39], v[183:184]
	v_fma_f64 v[38:39], v[4:5], v[18:19], v[185:186]
	v_fma_f64 v[18:19], v[2:3], v[18:19], -v[20:21]
	v_fma_f64 v[8:9], v[8:9], v[22:23], v[16:17]
	v_fma_f64 v[6:7], v[6:7], v[22:23], -v[24:25]
	v_add_f64 v[14:15], v[10:11], v[14:15]
	v_add_f64 v[20:21], v[12:13], v[44:45]
	ds_load_b128 v[2:5], v1 offset:1344
	ds_load_b128 v[10:13], v1 offset:1360
	s_waitcnt vmcnt(3) lgkmcnt(1)
	v_mul_f64 v[44:45], v[2:3], v[28:29]
	v_mul_f64 v[28:29], v[4:5], v[28:29]
	v_add_f64 v[14:15], v[14:15], v[18:19]
	v_add_f64 v[16:17], v[20:21], v[38:39]
	s_waitcnt vmcnt(2) lgkmcnt(0)
	v_mul_f64 v[18:19], v[10:11], v[32:33]
	v_mul_f64 v[20:21], v[12:13], v[32:33]
	v_fma_f64 v[22:23], v[4:5], v[26:27], v[44:45]
	v_fma_f64 v[24:25], v[2:3], v[26:27], -v[28:29]
	v_add_f64 v[14:15], v[14:15], v[6:7]
	v_add_f64 v[16:17], v[16:17], v[8:9]
	ds_load_b128 v[2:5], v1 offset:1376
	ds_load_b128 v[6:9], v1 offset:1392
	v_fma_f64 v[12:13], v[12:13], v[30:31], v[18:19]
	v_fma_f64 v[10:11], v[10:11], v[30:31], -v[20:21]
	s_waitcnt vmcnt(1) lgkmcnt(1)
	v_mul_f64 v[26:27], v[2:3], v[36:37]
	v_mul_f64 v[28:29], v[4:5], v[36:37]
	s_waitcnt vmcnt(0) lgkmcnt(0)
	v_mul_f64 v[18:19], v[6:7], v[42:43]
	v_add_f64 v[14:15], v[14:15], v[24:25]
	v_add_f64 v[16:17], v[16:17], v[22:23]
	v_mul_f64 v[20:21], v[8:9], v[42:43]
	v_fma_f64 v[4:5], v[4:5], v[34:35], v[26:27]
	v_fma_f64 v[1:2], v[2:3], v[34:35], -v[28:29]
	v_fma_f64 v[8:9], v[8:9], v[40:41], v[18:19]
	v_add_f64 v[10:11], v[14:15], v[10:11]
	v_add_f64 v[12:13], v[16:17], v[12:13]
	v_fma_f64 v[6:7], v[6:7], v[40:41], -v[20:21]
	s_delay_alu instid0(VALU_DEP_3) | instskip(NEXT) | instid1(VALU_DEP_3)
	v_add_f64 v[1:2], v[10:11], v[1:2]
	v_add_f64 v[3:4], v[12:13], v[4:5]
	s_delay_alu instid0(VALU_DEP_2) | instskip(NEXT) | instid1(VALU_DEP_2)
	v_add_f64 v[1:2], v[1:2], v[6:7]
	v_add_f64 v[3:4], v[3:4], v[8:9]
	s_delay_alu instid0(VALU_DEP_2) | instskip(NEXT) | instid1(VALU_DEP_2)
	v_add_f64 v[1:2], v[179:180], -v[1:2]
	v_add_f64 v[3:4], v[181:182], -v[3:4]
	scratch_store_b128 off, v[1:4], off offset:368
	v_cmpx_lt_u32_e32 22, v134
	s_cbranch_execz .LBB107_233
; %bb.232:
	scratch_load_b128 v[1:4], v157, off
	v_mov_b32_e32 v5, 0
	s_delay_alu instid0(VALU_DEP_1)
	v_mov_b32_e32 v6, v5
	v_mov_b32_e32 v7, v5
	;; [unrolled: 1-line block ×3, first 2 shown]
	scratch_store_b128 off, v[5:8], off offset:352
	s_waitcnt vmcnt(0)
	ds_store_b128 v178, v[1:4]
.LBB107_233:
	s_or_b32 exec_lo, exec_lo, s2
	s_waitcnt lgkmcnt(0)
	s_waitcnt_vscnt null, 0x0
	s_barrier
	buffer_gl0_inv
	s_clause 0x7
	scratch_load_b128 v[2:5], off, off offset:368
	scratch_load_b128 v[6:9], off, off offset:384
	;; [unrolled: 1-line block ×8, first 2 shown]
	v_mov_b32_e32 v1, 0
	s_mov_b32 s2, exec_lo
	ds_load_b128 v[34:37], v1 offset:1072
	s_clause 0x1
	scratch_load_b128 v[38:41], off, off offset:496
	scratch_load_b128 v[42:45], off, off offset:352
	ds_load_b128 v[179:182], v1 offset:1088
	scratch_load_b128 v[183:186], off, off offset:512
	s_waitcnt vmcnt(10) lgkmcnt(1)
	v_mul_f64 v[187:188], v[36:37], v[4:5]
	v_mul_f64 v[4:5], v[34:35], v[4:5]
	s_delay_alu instid0(VALU_DEP_2) | instskip(NEXT) | instid1(VALU_DEP_2)
	v_fma_f64 v[193:194], v[34:35], v[2:3], -v[187:188]
	v_fma_f64 v[195:196], v[36:37], v[2:3], v[4:5]
	scratch_load_b128 v[34:37], off, off offset:528
	ds_load_b128 v[2:5], v1 offset:1104
	s_waitcnt vmcnt(10) lgkmcnt(1)
	v_mul_f64 v[191:192], v[179:180], v[8:9]
	v_mul_f64 v[8:9], v[181:182], v[8:9]
	ds_load_b128 v[187:190], v1 offset:1120
	s_waitcnt vmcnt(9) lgkmcnt(1)
	v_mul_f64 v[197:198], v[2:3], v[12:13]
	v_mul_f64 v[12:13], v[4:5], v[12:13]
	v_fma_f64 v[181:182], v[181:182], v[6:7], v[191:192]
	v_fma_f64 v[179:180], v[179:180], v[6:7], -v[8:9]
	v_add_f64 v[191:192], v[193:194], 0
	v_add_f64 v[193:194], v[195:196], 0
	scratch_load_b128 v[6:9], off, off offset:544
	v_fma_f64 v[197:198], v[4:5], v[10:11], v[197:198]
	v_fma_f64 v[199:200], v[2:3], v[10:11], -v[12:13]
	scratch_load_b128 v[10:13], off, off offset:560
	ds_load_b128 v[2:5], v1 offset:1136
	s_waitcnt vmcnt(10) lgkmcnt(1)
	v_mul_f64 v[195:196], v[187:188], v[16:17]
	v_mul_f64 v[16:17], v[189:190], v[16:17]
	v_add_f64 v[191:192], v[191:192], v[179:180]
	v_add_f64 v[193:194], v[193:194], v[181:182]
	s_waitcnt vmcnt(9) lgkmcnt(0)
	v_mul_f64 v[201:202], v[2:3], v[20:21]
	v_mul_f64 v[20:21], v[4:5], v[20:21]
	ds_load_b128 v[179:182], v1 offset:1152
	v_fma_f64 v[189:190], v[189:190], v[14:15], v[195:196]
	v_fma_f64 v[187:188], v[187:188], v[14:15], -v[16:17]
	scratch_load_b128 v[14:17], off, off offset:576
	v_add_f64 v[191:192], v[191:192], v[199:200]
	v_add_f64 v[193:194], v[193:194], v[197:198]
	v_fma_f64 v[197:198], v[4:5], v[18:19], v[201:202]
	v_fma_f64 v[199:200], v[2:3], v[18:19], -v[20:21]
	scratch_load_b128 v[18:21], off, off offset:592
	ds_load_b128 v[2:5], v1 offset:1168
	s_waitcnt vmcnt(10) lgkmcnt(1)
	v_mul_f64 v[195:196], v[179:180], v[24:25]
	v_mul_f64 v[24:25], v[181:182], v[24:25]
	s_waitcnt vmcnt(9) lgkmcnt(0)
	v_mul_f64 v[201:202], v[2:3], v[28:29]
	v_mul_f64 v[28:29], v[4:5], v[28:29]
	v_add_f64 v[191:192], v[191:192], v[187:188]
	v_add_f64 v[193:194], v[193:194], v[189:190]
	ds_load_b128 v[187:190], v1 offset:1184
	v_fma_f64 v[181:182], v[181:182], v[22:23], v[195:196]
	v_fma_f64 v[179:180], v[179:180], v[22:23], -v[24:25]
	scratch_load_b128 v[22:25], off, off offset:608
	v_add_f64 v[191:192], v[191:192], v[199:200]
	v_add_f64 v[193:194], v[193:194], v[197:198]
	v_fma_f64 v[197:198], v[4:5], v[26:27], v[201:202]
	v_fma_f64 v[199:200], v[2:3], v[26:27], -v[28:29]
	scratch_load_b128 v[26:29], off, off offset:624
	ds_load_b128 v[2:5], v1 offset:1200
	s_waitcnt vmcnt(10) lgkmcnt(1)
	v_mul_f64 v[195:196], v[187:188], v[32:33]
	v_mul_f64 v[32:33], v[189:190], v[32:33]
	s_waitcnt vmcnt(9) lgkmcnt(0)
	v_mul_f64 v[201:202], v[2:3], v[40:41]
	v_mul_f64 v[40:41], v[4:5], v[40:41]
	v_add_f64 v[191:192], v[191:192], v[179:180]
	v_add_f64 v[193:194], v[193:194], v[181:182]
	ds_load_b128 v[179:182], v1 offset:1216
	v_fma_f64 v[189:190], v[189:190], v[30:31], v[195:196]
	v_fma_f64 v[187:188], v[187:188], v[30:31], -v[32:33]
	scratch_load_b128 v[30:33], off, off offset:640
	v_add_f64 v[191:192], v[191:192], v[199:200]
	v_add_f64 v[193:194], v[193:194], v[197:198]
	v_fma_f64 v[199:200], v[4:5], v[38:39], v[201:202]
	v_fma_f64 v[201:202], v[2:3], v[38:39], -v[40:41]
	scratch_load_b128 v[38:41], off, off offset:656
	ds_load_b128 v[2:5], v1 offset:1232
	s_waitcnt vmcnt(9) lgkmcnt(1)
	v_mul_f64 v[195:196], v[179:180], v[185:186]
	v_mul_f64 v[197:198], v[181:182], v[185:186]
	v_add_f64 v[191:192], v[191:192], v[187:188]
	v_add_f64 v[189:190], v[193:194], v[189:190]
	ds_load_b128 v[185:188], v1 offset:1248
	v_fma_f64 v[195:196], v[181:182], v[183:184], v[195:196]
	v_fma_f64 v[183:184], v[179:180], v[183:184], -v[197:198]
	scratch_load_b128 v[179:182], off, off offset:672
	s_waitcnt vmcnt(9) lgkmcnt(1)
	v_mul_f64 v[193:194], v[2:3], v[36:37]
	v_mul_f64 v[36:37], v[4:5], v[36:37]
	v_add_f64 v[191:192], v[191:192], v[201:202]
	v_add_f64 v[189:190], v[189:190], v[199:200]
	s_delay_alu instid0(VALU_DEP_4) | instskip(NEXT) | instid1(VALU_DEP_4)
	v_fma_f64 v[193:194], v[4:5], v[34:35], v[193:194]
	v_fma_f64 v[199:200], v[2:3], v[34:35], -v[36:37]
	scratch_load_b128 v[34:37], off, off offset:688
	ds_load_b128 v[2:5], v1 offset:1264
	s_waitcnt vmcnt(9) lgkmcnt(1)
	v_mul_f64 v[197:198], v[185:186], v[8:9]
	v_mul_f64 v[8:9], v[187:188], v[8:9]
	s_waitcnt vmcnt(8) lgkmcnt(0)
	v_mul_f64 v[201:202], v[2:3], v[12:13]
	v_mul_f64 v[12:13], v[4:5], v[12:13]
	v_add_f64 v[183:184], v[191:192], v[183:184]
	v_add_f64 v[195:196], v[189:190], v[195:196]
	ds_load_b128 v[189:192], v1 offset:1280
	v_fma_f64 v[187:188], v[187:188], v[6:7], v[197:198]
	v_fma_f64 v[6:7], v[185:186], v[6:7], -v[8:9]
	v_add_f64 v[8:9], v[183:184], v[199:200]
	v_add_f64 v[183:184], v[195:196], v[193:194]
	s_waitcnt vmcnt(7) lgkmcnt(0)
	v_mul_f64 v[185:186], v[189:190], v[16:17]
	v_mul_f64 v[16:17], v[191:192], v[16:17]
	v_fma_f64 v[193:194], v[4:5], v[10:11], v[201:202]
	v_fma_f64 v[10:11], v[2:3], v[10:11], -v[12:13]
	v_add_f64 v[12:13], v[8:9], v[6:7]
	v_add_f64 v[183:184], v[183:184], v[187:188]
	ds_load_b128 v[2:5], v1 offset:1296
	ds_load_b128 v[6:9], v1 offset:1312
	v_fma_f64 v[185:186], v[191:192], v[14:15], v[185:186]
	v_fma_f64 v[14:15], v[189:190], v[14:15], -v[16:17]
	s_waitcnt vmcnt(6) lgkmcnt(1)
	v_mul_f64 v[187:188], v[2:3], v[20:21]
	v_mul_f64 v[20:21], v[4:5], v[20:21]
	s_waitcnt vmcnt(5) lgkmcnt(0)
	v_mul_f64 v[16:17], v[6:7], v[24:25]
	v_mul_f64 v[24:25], v[8:9], v[24:25]
	v_add_f64 v[10:11], v[12:13], v[10:11]
	v_add_f64 v[12:13], v[183:184], v[193:194]
	v_fma_f64 v[183:184], v[4:5], v[18:19], v[187:188]
	v_fma_f64 v[18:19], v[2:3], v[18:19], -v[20:21]
	v_fma_f64 v[8:9], v[8:9], v[22:23], v[16:17]
	v_fma_f64 v[6:7], v[6:7], v[22:23], -v[24:25]
	v_add_f64 v[14:15], v[10:11], v[14:15]
	v_add_f64 v[20:21], v[12:13], v[185:186]
	ds_load_b128 v[2:5], v1 offset:1328
	ds_load_b128 v[10:13], v1 offset:1344
	s_waitcnt vmcnt(4) lgkmcnt(1)
	v_mul_f64 v[185:186], v[2:3], v[28:29]
	v_mul_f64 v[28:29], v[4:5], v[28:29]
	v_add_f64 v[14:15], v[14:15], v[18:19]
	v_add_f64 v[16:17], v[20:21], v[183:184]
	s_waitcnt vmcnt(3) lgkmcnt(0)
	v_mul_f64 v[18:19], v[10:11], v[32:33]
	v_mul_f64 v[20:21], v[12:13], v[32:33]
	v_fma_f64 v[22:23], v[4:5], v[26:27], v[185:186]
	v_fma_f64 v[24:25], v[2:3], v[26:27], -v[28:29]
	v_add_f64 v[14:15], v[14:15], v[6:7]
	v_add_f64 v[16:17], v[16:17], v[8:9]
	ds_load_b128 v[2:5], v1 offset:1360
	ds_load_b128 v[6:9], v1 offset:1376
	v_fma_f64 v[12:13], v[12:13], v[30:31], v[18:19]
	v_fma_f64 v[10:11], v[10:11], v[30:31], -v[20:21]
	s_waitcnt vmcnt(2) lgkmcnt(1)
	v_mul_f64 v[26:27], v[2:3], v[40:41]
	v_mul_f64 v[28:29], v[4:5], v[40:41]
	s_waitcnt vmcnt(1) lgkmcnt(0)
	v_mul_f64 v[18:19], v[6:7], v[181:182]
	v_mul_f64 v[20:21], v[8:9], v[181:182]
	v_add_f64 v[14:15], v[14:15], v[24:25]
	v_add_f64 v[16:17], v[16:17], v[22:23]
	v_fma_f64 v[22:23], v[4:5], v[38:39], v[26:27]
	v_fma_f64 v[24:25], v[2:3], v[38:39], -v[28:29]
	ds_load_b128 v[2:5], v1 offset:1392
	v_fma_f64 v[8:9], v[8:9], v[179:180], v[18:19]
	v_fma_f64 v[6:7], v[6:7], v[179:180], -v[20:21]
	v_add_f64 v[10:11], v[14:15], v[10:11]
	v_add_f64 v[12:13], v[16:17], v[12:13]
	s_waitcnt vmcnt(0) lgkmcnt(0)
	v_mul_f64 v[14:15], v[2:3], v[36:37]
	v_mul_f64 v[16:17], v[4:5], v[36:37]
	s_delay_alu instid0(VALU_DEP_4) | instskip(NEXT) | instid1(VALU_DEP_4)
	v_add_f64 v[10:11], v[10:11], v[24:25]
	v_add_f64 v[12:13], v[12:13], v[22:23]
	s_delay_alu instid0(VALU_DEP_4) | instskip(NEXT) | instid1(VALU_DEP_4)
	v_fma_f64 v[4:5], v[4:5], v[34:35], v[14:15]
	v_fma_f64 v[2:3], v[2:3], v[34:35], -v[16:17]
	s_delay_alu instid0(VALU_DEP_4) | instskip(NEXT) | instid1(VALU_DEP_4)
	v_add_f64 v[6:7], v[10:11], v[6:7]
	v_add_f64 v[8:9], v[12:13], v[8:9]
	s_delay_alu instid0(VALU_DEP_2) | instskip(NEXT) | instid1(VALU_DEP_2)
	v_add_f64 v[2:3], v[6:7], v[2:3]
	v_add_f64 v[4:5], v[8:9], v[4:5]
	s_delay_alu instid0(VALU_DEP_2) | instskip(NEXT) | instid1(VALU_DEP_2)
	v_add_f64 v[2:3], v[42:43], -v[2:3]
	v_add_f64 v[4:5], v[44:45], -v[4:5]
	scratch_store_b128 off, v[2:5], off offset:352
	v_cmpx_lt_u32_e32 21, v134
	s_cbranch_execz .LBB107_235
; %bb.234:
	scratch_load_b128 v[5:8], v158, off
	v_mov_b32_e32 v2, v1
	v_mov_b32_e32 v3, v1
	;; [unrolled: 1-line block ×3, first 2 shown]
	scratch_store_b128 off, v[1:4], off offset:336
	s_waitcnt vmcnt(0)
	ds_store_b128 v178, v[5:8]
.LBB107_235:
	s_or_b32 exec_lo, exec_lo, s2
	s_waitcnt lgkmcnt(0)
	s_waitcnt_vscnt null, 0x0
	s_barrier
	buffer_gl0_inv
	s_clause 0x8
	scratch_load_b128 v[2:5], off, off offset:352
	scratch_load_b128 v[6:9], off, off offset:368
	;; [unrolled: 1-line block ×9, first 2 shown]
	ds_load_b128 v[38:41], v1 offset:1056
	ds_load_b128 v[42:45], v1 offset:1072
	s_clause 0x1
	scratch_load_b128 v[179:182], off, off offset:336
	scratch_load_b128 v[183:186], off, off offset:496
	s_mov_b32 s2, exec_lo
	s_waitcnt vmcnt(10) lgkmcnt(1)
	v_mul_f64 v[187:188], v[40:41], v[4:5]
	v_mul_f64 v[4:5], v[38:39], v[4:5]
	s_waitcnt vmcnt(9) lgkmcnt(0)
	v_mul_f64 v[191:192], v[42:43], v[8:9]
	v_mul_f64 v[8:9], v[44:45], v[8:9]
	s_delay_alu instid0(VALU_DEP_4) | instskip(NEXT) | instid1(VALU_DEP_4)
	v_fma_f64 v[193:194], v[38:39], v[2:3], -v[187:188]
	v_fma_f64 v[195:196], v[40:41], v[2:3], v[4:5]
	ds_load_b128 v[2:5], v1 offset:1088
	ds_load_b128 v[187:190], v1 offset:1104
	scratch_load_b128 v[38:41], off, off offset:512
	v_fma_f64 v[44:45], v[44:45], v[6:7], v[191:192]
	v_fma_f64 v[42:43], v[42:43], v[6:7], -v[8:9]
	scratch_load_b128 v[6:9], off, off offset:528
	s_waitcnt vmcnt(10) lgkmcnt(1)
	v_mul_f64 v[197:198], v[2:3], v[12:13]
	v_mul_f64 v[12:13], v[4:5], v[12:13]
	v_add_f64 v[191:192], v[193:194], 0
	v_add_f64 v[193:194], v[195:196], 0
	s_waitcnt vmcnt(9) lgkmcnt(0)
	v_mul_f64 v[195:196], v[187:188], v[16:17]
	v_mul_f64 v[16:17], v[189:190], v[16:17]
	v_fma_f64 v[197:198], v[4:5], v[10:11], v[197:198]
	v_fma_f64 v[199:200], v[2:3], v[10:11], -v[12:13]
	ds_load_b128 v[2:5], v1 offset:1120
	scratch_load_b128 v[10:13], off, off offset:544
	v_add_f64 v[191:192], v[191:192], v[42:43]
	v_add_f64 v[193:194], v[193:194], v[44:45]
	ds_load_b128 v[42:45], v1 offset:1136
	v_fma_f64 v[189:190], v[189:190], v[14:15], v[195:196]
	v_fma_f64 v[187:188], v[187:188], v[14:15], -v[16:17]
	scratch_load_b128 v[14:17], off, off offset:560
	s_waitcnt vmcnt(10) lgkmcnt(1)
	v_mul_f64 v[201:202], v[2:3], v[20:21]
	v_mul_f64 v[20:21], v[4:5], v[20:21]
	s_waitcnt vmcnt(9) lgkmcnt(0)
	v_mul_f64 v[195:196], v[42:43], v[24:25]
	v_mul_f64 v[24:25], v[44:45], v[24:25]
	v_add_f64 v[191:192], v[191:192], v[199:200]
	v_add_f64 v[193:194], v[193:194], v[197:198]
	v_fma_f64 v[197:198], v[4:5], v[18:19], v[201:202]
	v_fma_f64 v[199:200], v[2:3], v[18:19], -v[20:21]
	ds_load_b128 v[2:5], v1 offset:1152
	scratch_load_b128 v[18:21], off, off offset:576
	v_fma_f64 v[44:45], v[44:45], v[22:23], v[195:196]
	v_fma_f64 v[42:43], v[42:43], v[22:23], -v[24:25]
	scratch_load_b128 v[22:25], off, off offset:592
	v_add_f64 v[191:192], v[191:192], v[187:188]
	v_add_f64 v[193:194], v[193:194], v[189:190]
	ds_load_b128 v[187:190], v1 offset:1168
	s_waitcnt vmcnt(10) lgkmcnt(1)
	v_mul_f64 v[201:202], v[2:3], v[28:29]
	v_mul_f64 v[28:29], v[4:5], v[28:29]
	s_waitcnt vmcnt(9) lgkmcnt(0)
	v_mul_f64 v[195:196], v[187:188], v[32:33]
	v_mul_f64 v[32:33], v[189:190], v[32:33]
	v_add_f64 v[191:192], v[191:192], v[199:200]
	v_add_f64 v[193:194], v[193:194], v[197:198]
	v_fma_f64 v[197:198], v[4:5], v[26:27], v[201:202]
	v_fma_f64 v[199:200], v[2:3], v[26:27], -v[28:29]
	ds_load_b128 v[2:5], v1 offset:1184
	scratch_load_b128 v[26:29], off, off offset:608
	v_fma_f64 v[189:190], v[189:190], v[30:31], v[195:196]
	v_fma_f64 v[187:188], v[187:188], v[30:31], -v[32:33]
	scratch_load_b128 v[30:33], off, off offset:624
	v_add_f64 v[191:192], v[191:192], v[42:43]
	v_add_f64 v[193:194], v[193:194], v[44:45]
	ds_load_b128 v[42:45], v1 offset:1200
	s_waitcnt vmcnt(10) lgkmcnt(1)
	v_mul_f64 v[201:202], v[2:3], v[36:37]
	v_mul_f64 v[36:37], v[4:5], v[36:37]
	s_waitcnt vmcnt(8) lgkmcnt(0)
	v_mul_f64 v[195:196], v[42:43], v[185:186]
	v_add_f64 v[191:192], v[191:192], v[199:200]
	v_add_f64 v[193:194], v[193:194], v[197:198]
	v_mul_f64 v[197:198], v[44:45], v[185:186]
	v_fma_f64 v[199:200], v[4:5], v[34:35], v[201:202]
	v_fma_f64 v[201:202], v[2:3], v[34:35], -v[36:37]
	ds_load_b128 v[2:5], v1 offset:1216
	scratch_load_b128 v[34:37], off, off offset:640
	v_fma_f64 v[44:45], v[44:45], v[183:184], v[195:196]
	v_add_f64 v[191:192], v[191:192], v[187:188]
	v_add_f64 v[189:190], v[193:194], v[189:190]
	ds_load_b128 v[185:188], v1 offset:1232
	v_fma_f64 v[183:184], v[42:43], v[183:184], -v[197:198]
	s_waitcnt vmcnt(8) lgkmcnt(1)
	v_mul_f64 v[193:194], v[2:3], v[40:41]
	v_mul_f64 v[203:204], v[4:5], v[40:41]
	scratch_load_b128 v[40:43], off, off offset:656
	s_waitcnt vmcnt(8) lgkmcnt(0)
	v_mul_f64 v[197:198], v[185:186], v[8:9]
	v_mul_f64 v[8:9], v[187:188], v[8:9]
	v_add_f64 v[191:192], v[191:192], v[201:202]
	v_add_f64 v[189:190], v[189:190], v[199:200]
	v_fma_f64 v[199:200], v[4:5], v[38:39], v[193:194]
	v_fma_f64 v[38:39], v[2:3], v[38:39], -v[203:204]
	ds_load_b128 v[2:5], v1 offset:1248
	ds_load_b128 v[193:196], v1 offset:1264
	v_fma_f64 v[187:188], v[187:188], v[6:7], v[197:198]
	v_fma_f64 v[185:186], v[185:186], v[6:7], -v[8:9]
	scratch_load_b128 v[6:9], off, off offset:688
	v_add_f64 v[183:184], v[191:192], v[183:184]
	v_add_f64 v[44:45], v[189:190], v[44:45]
	scratch_load_b128 v[189:192], off, off offset:672
	s_waitcnt vmcnt(9) lgkmcnt(1)
	v_mul_f64 v[201:202], v[2:3], v[12:13]
	v_mul_f64 v[12:13], v[4:5], v[12:13]
	v_add_f64 v[38:39], v[183:184], v[38:39]
	v_add_f64 v[44:45], v[44:45], v[199:200]
	s_waitcnt vmcnt(8) lgkmcnt(0)
	v_mul_f64 v[183:184], v[193:194], v[16:17]
	v_mul_f64 v[16:17], v[195:196], v[16:17]
	v_fma_f64 v[197:198], v[4:5], v[10:11], v[201:202]
	v_fma_f64 v[199:200], v[2:3], v[10:11], -v[12:13]
	ds_load_b128 v[2:5], v1 offset:1280
	ds_load_b128 v[10:13], v1 offset:1296
	v_add_f64 v[38:39], v[38:39], v[185:186]
	v_add_f64 v[44:45], v[44:45], v[187:188]
	s_waitcnt vmcnt(7) lgkmcnt(1)
	v_mul_f64 v[185:186], v[2:3], v[20:21]
	v_mul_f64 v[20:21], v[4:5], v[20:21]
	v_fma_f64 v[183:184], v[195:196], v[14:15], v[183:184]
	v_fma_f64 v[14:15], v[193:194], v[14:15], -v[16:17]
	v_add_f64 v[16:17], v[38:39], v[199:200]
	v_add_f64 v[38:39], v[44:45], v[197:198]
	s_waitcnt vmcnt(6) lgkmcnt(0)
	v_mul_f64 v[44:45], v[10:11], v[24:25]
	v_mul_f64 v[24:25], v[12:13], v[24:25]
	v_fma_f64 v[185:186], v[4:5], v[18:19], v[185:186]
	v_fma_f64 v[18:19], v[2:3], v[18:19], -v[20:21]
	v_add_f64 v[20:21], v[16:17], v[14:15]
	v_add_f64 v[38:39], v[38:39], v[183:184]
	ds_load_b128 v[2:5], v1 offset:1312
	ds_load_b128 v[14:17], v1 offset:1328
	v_fma_f64 v[12:13], v[12:13], v[22:23], v[44:45]
	v_fma_f64 v[10:11], v[10:11], v[22:23], -v[24:25]
	s_waitcnt vmcnt(5) lgkmcnt(1)
	v_mul_f64 v[183:184], v[2:3], v[28:29]
	v_mul_f64 v[28:29], v[4:5], v[28:29]
	s_waitcnt vmcnt(4) lgkmcnt(0)
	v_mul_f64 v[22:23], v[14:15], v[32:33]
	v_mul_f64 v[24:25], v[16:17], v[32:33]
	v_add_f64 v[18:19], v[20:21], v[18:19]
	v_add_f64 v[20:21], v[38:39], v[185:186]
	v_fma_f64 v[32:33], v[4:5], v[26:27], v[183:184]
	v_fma_f64 v[26:27], v[2:3], v[26:27], -v[28:29]
	v_fma_f64 v[16:17], v[16:17], v[30:31], v[22:23]
	v_fma_f64 v[14:15], v[14:15], v[30:31], -v[24:25]
	v_add_f64 v[18:19], v[18:19], v[10:11]
	v_add_f64 v[20:21], v[20:21], v[12:13]
	ds_load_b128 v[2:5], v1 offset:1344
	ds_load_b128 v[10:13], v1 offset:1360
	s_waitcnt vmcnt(3) lgkmcnt(1)
	v_mul_f64 v[28:29], v[2:3], v[36:37]
	v_mul_f64 v[36:37], v[4:5], v[36:37]
	s_waitcnt vmcnt(2) lgkmcnt(0)
	v_mul_f64 v[22:23], v[10:11], v[42:43]
	v_add_f64 v[18:19], v[18:19], v[26:27]
	v_add_f64 v[20:21], v[20:21], v[32:33]
	v_mul_f64 v[24:25], v[12:13], v[42:43]
	v_fma_f64 v[26:27], v[4:5], v[34:35], v[28:29]
	v_fma_f64 v[28:29], v[2:3], v[34:35], -v[36:37]
	v_fma_f64 v[12:13], v[12:13], v[40:41], v[22:23]
	v_add_f64 v[18:19], v[18:19], v[14:15]
	v_add_f64 v[20:21], v[20:21], v[16:17]
	ds_load_b128 v[2:5], v1 offset:1376
	ds_load_b128 v[14:17], v1 offset:1392
	v_fma_f64 v[10:11], v[10:11], v[40:41], -v[24:25]
	s_waitcnt vmcnt(0) lgkmcnt(1)
	v_mul_f64 v[30:31], v[2:3], v[191:192]
	v_mul_f64 v[32:33], v[4:5], v[191:192]
	s_waitcnt lgkmcnt(0)
	v_mul_f64 v[22:23], v[14:15], v[8:9]
	v_mul_f64 v[8:9], v[16:17], v[8:9]
	v_add_f64 v[18:19], v[18:19], v[28:29]
	v_add_f64 v[20:21], v[20:21], v[26:27]
	v_fma_f64 v[4:5], v[4:5], v[189:190], v[30:31]
	v_fma_f64 v[1:2], v[2:3], v[189:190], -v[32:33]
	v_fma_f64 v[16:17], v[16:17], v[6:7], v[22:23]
	v_fma_f64 v[6:7], v[14:15], v[6:7], -v[8:9]
	v_add_f64 v[10:11], v[18:19], v[10:11]
	v_add_f64 v[12:13], v[20:21], v[12:13]
	s_delay_alu instid0(VALU_DEP_2) | instskip(NEXT) | instid1(VALU_DEP_2)
	v_add_f64 v[1:2], v[10:11], v[1:2]
	v_add_f64 v[3:4], v[12:13], v[4:5]
	s_delay_alu instid0(VALU_DEP_2) | instskip(NEXT) | instid1(VALU_DEP_2)
	;; [unrolled: 3-line block ×3, first 2 shown]
	v_add_f64 v[1:2], v[179:180], -v[1:2]
	v_add_f64 v[3:4], v[181:182], -v[3:4]
	scratch_store_b128 off, v[1:4], off offset:336
	v_cmpx_lt_u32_e32 20, v134
	s_cbranch_execz .LBB107_237
; %bb.236:
	scratch_load_b128 v[1:4], v160, off
	v_mov_b32_e32 v5, 0
	s_delay_alu instid0(VALU_DEP_1)
	v_mov_b32_e32 v6, v5
	v_mov_b32_e32 v7, v5
	;; [unrolled: 1-line block ×3, first 2 shown]
	scratch_store_b128 off, v[5:8], off offset:320
	s_waitcnt vmcnt(0)
	ds_store_b128 v178, v[1:4]
.LBB107_237:
	s_or_b32 exec_lo, exec_lo, s2
	s_waitcnt lgkmcnt(0)
	s_waitcnt_vscnt null, 0x0
	s_barrier
	buffer_gl0_inv
	s_clause 0x7
	scratch_load_b128 v[2:5], off, off offset:336
	scratch_load_b128 v[6:9], off, off offset:352
	;; [unrolled: 1-line block ×8, first 2 shown]
	v_mov_b32_e32 v1, 0
	s_mov_b32 s2, exec_lo
	ds_load_b128 v[34:37], v1 offset:1040
	s_clause 0x1
	scratch_load_b128 v[38:41], off, off offset:464
	scratch_load_b128 v[42:45], off, off offset:320
	ds_load_b128 v[179:182], v1 offset:1056
	scratch_load_b128 v[183:186], off, off offset:480
	s_waitcnt vmcnt(10) lgkmcnt(1)
	v_mul_f64 v[187:188], v[36:37], v[4:5]
	v_mul_f64 v[4:5], v[34:35], v[4:5]
	s_delay_alu instid0(VALU_DEP_2) | instskip(NEXT) | instid1(VALU_DEP_2)
	v_fma_f64 v[193:194], v[34:35], v[2:3], -v[187:188]
	v_fma_f64 v[195:196], v[36:37], v[2:3], v[4:5]
	scratch_load_b128 v[34:37], off, off offset:496
	ds_load_b128 v[2:5], v1 offset:1072
	s_waitcnt vmcnt(10) lgkmcnt(1)
	v_mul_f64 v[191:192], v[179:180], v[8:9]
	v_mul_f64 v[8:9], v[181:182], v[8:9]
	ds_load_b128 v[187:190], v1 offset:1088
	s_waitcnt vmcnt(9) lgkmcnt(1)
	v_mul_f64 v[197:198], v[2:3], v[12:13]
	v_mul_f64 v[12:13], v[4:5], v[12:13]
	v_fma_f64 v[181:182], v[181:182], v[6:7], v[191:192]
	v_fma_f64 v[179:180], v[179:180], v[6:7], -v[8:9]
	v_add_f64 v[191:192], v[193:194], 0
	v_add_f64 v[193:194], v[195:196], 0
	scratch_load_b128 v[6:9], off, off offset:512
	v_fma_f64 v[197:198], v[4:5], v[10:11], v[197:198]
	v_fma_f64 v[199:200], v[2:3], v[10:11], -v[12:13]
	scratch_load_b128 v[10:13], off, off offset:528
	ds_load_b128 v[2:5], v1 offset:1104
	s_waitcnt vmcnt(10) lgkmcnt(1)
	v_mul_f64 v[195:196], v[187:188], v[16:17]
	v_mul_f64 v[16:17], v[189:190], v[16:17]
	v_add_f64 v[191:192], v[191:192], v[179:180]
	v_add_f64 v[193:194], v[193:194], v[181:182]
	s_waitcnt vmcnt(9) lgkmcnt(0)
	v_mul_f64 v[201:202], v[2:3], v[20:21]
	v_mul_f64 v[20:21], v[4:5], v[20:21]
	ds_load_b128 v[179:182], v1 offset:1120
	v_fma_f64 v[189:190], v[189:190], v[14:15], v[195:196]
	v_fma_f64 v[187:188], v[187:188], v[14:15], -v[16:17]
	scratch_load_b128 v[14:17], off, off offset:544
	v_add_f64 v[191:192], v[191:192], v[199:200]
	v_add_f64 v[193:194], v[193:194], v[197:198]
	v_fma_f64 v[197:198], v[4:5], v[18:19], v[201:202]
	v_fma_f64 v[199:200], v[2:3], v[18:19], -v[20:21]
	scratch_load_b128 v[18:21], off, off offset:560
	ds_load_b128 v[2:5], v1 offset:1136
	s_waitcnt vmcnt(10) lgkmcnt(1)
	v_mul_f64 v[195:196], v[179:180], v[24:25]
	v_mul_f64 v[24:25], v[181:182], v[24:25]
	s_waitcnt vmcnt(9) lgkmcnt(0)
	v_mul_f64 v[201:202], v[2:3], v[28:29]
	v_mul_f64 v[28:29], v[4:5], v[28:29]
	v_add_f64 v[191:192], v[191:192], v[187:188]
	v_add_f64 v[193:194], v[193:194], v[189:190]
	ds_load_b128 v[187:190], v1 offset:1152
	v_fma_f64 v[181:182], v[181:182], v[22:23], v[195:196]
	v_fma_f64 v[179:180], v[179:180], v[22:23], -v[24:25]
	scratch_load_b128 v[22:25], off, off offset:576
	v_add_f64 v[191:192], v[191:192], v[199:200]
	v_add_f64 v[193:194], v[193:194], v[197:198]
	v_fma_f64 v[197:198], v[4:5], v[26:27], v[201:202]
	v_fma_f64 v[199:200], v[2:3], v[26:27], -v[28:29]
	scratch_load_b128 v[26:29], off, off offset:592
	ds_load_b128 v[2:5], v1 offset:1168
	s_waitcnt vmcnt(10) lgkmcnt(1)
	v_mul_f64 v[195:196], v[187:188], v[32:33]
	v_mul_f64 v[32:33], v[189:190], v[32:33]
	s_waitcnt vmcnt(9) lgkmcnt(0)
	v_mul_f64 v[201:202], v[2:3], v[40:41]
	v_mul_f64 v[40:41], v[4:5], v[40:41]
	v_add_f64 v[191:192], v[191:192], v[179:180]
	v_add_f64 v[193:194], v[193:194], v[181:182]
	ds_load_b128 v[179:182], v1 offset:1184
	v_fma_f64 v[189:190], v[189:190], v[30:31], v[195:196]
	v_fma_f64 v[187:188], v[187:188], v[30:31], -v[32:33]
	scratch_load_b128 v[30:33], off, off offset:608
	v_add_f64 v[191:192], v[191:192], v[199:200]
	v_add_f64 v[193:194], v[193:194], v[197:198]
	v_fma_f64 v[199:200], v[4:5], v[38:39], v[201:202]
	v_fma_f64 v[201:202], v[2:3], v[38:39], -v[40:41]
	scratch_load_b128 v[38:41], off, off offset:624
	ds_load_b128 v[2:5], v1 offset:1200
	s_waitcnt vmcnt(9) lgkmcnt(1)
	v_mul_f64 v[195:196], v[179:180], v[185:186]
	v_mul_f64 v[197:198], v[181:182], v[185:186]
	v_add_f64 v[191:192], v[191:192], v[187:188]
	v_add_f64 v[189:190], v[193:194], v[189:190]
	ds_load_b128 v[185:188], v1 offset:1216
	v_fma_f64 v[195:196], v[181:182], v[183:184], v[195:196]
	v_fma_f64 v[183:184], v[179:180], v[183:184], -v[197:198]
	scratch_load_b128 v[179:182], off, off offset:640
	s_waitcnt vmcnt(9) lgkmcnt(1)
	v_mul_f64 v[193:194], v[2:3], v[36:37]
	v_mul_f64 v[36:37], v[4:5], v[36:37]
	v_add_f64 v[191:192], v[191:192], v[201:202]
	v_add_f64 v[189:190], v[189:190], v[199:200]
	s_delay_alu instid0(VALU_DEP_4) | instskip(NEXT) | instid1(VALU_DEP_4)
	v_fma_f64 v[193:194], v[4:5], v[34:35], v[193:194]
	v_fma_f64 v[199:200], v[2:3], v[34:35], -v[36:37]
	scratch_load_b128 v[34:37], off, off offset:656
	ds_load_b128 v[2:5], v1 offset:1232
	s_waitcnt vmcnt(9) lgkmcnt(1)
	v_mul_f64 v[197:198], v[185:186], v[8:9]
	v_mul_f64 v[8:9], v[187:188], v[8:9]
	s_waitcnt vmcnt(8) lgkmcnt(0)
	v_mul_f64 v[201:202], v[2:3], v[12:13]
	v_mul_f64 v[12:13], v[4:5], v[12:13]
	v_add_f64 v[183:184], v[191:192], v[183:184]
	v_add_f64 v[195:196], v[189:190], v[195:196]
	ds_load_b128 v[189:192], v1 offset:1248
	v_fma_f64 v[187:188], v[187:188], v[6:7], v[197:198]
	v_fma_f64 v[185:186], v[185:186], v[6:7], -v[8:9]
	scratch_load_b128 v[6:9], off, off offset:672
	v_fma_f64 v[197:198], v[4:5], v[10:11], v[201:202]
	v_add_f64 v[183:184], v[183:184], v[199:200]
	v_add_f64 v[193:194], v[195:196], v[193:194]
	v_fma_f64 v[199:200], v[2:3], v[10:11], -v[12:13]
	scratch_load_b128 v[10:13], off, off offset:688
	ds_load_b128 v[2:5], v1 offset:1264
	s_waitcnt vmcnt(9) lgkmcnt(1)
	v_mul_f64 v[195:196], v[189:190], v[16:17]
	v_mul_f64 v[16:17], v[191:192], v[16:17]
	v_add_f64 v[201:202], v[183:184], v[185:186]
	v_add_f64 v[187:188], v[193:194], v[187:188]
	s_waitcnt vmcnt(8) lgkmcnt(0)
	v_mul_f64 v[193:194], v[2:3], v[20:21]
	v_mul_f64 v[20:21], v[4:5], v[20:21]
	ds_load_b128 v[183:186], v1 offset:1280
	v_fma_f64 v[191:192], v[191:192], v[14:15], v[195:196]
	v_fma_f64 v[14:15], v[189:190], v[14:15], -v[16:17]
	s_waitcnt vmcnt(7) lgkmcnt(0)
	v_mul_f64 v[189:190], v[183:184], v[24:25]
	v_mul_f64 v[24:25], v[185:186], v[24:25]
	v_add_f64 v[16:17], v[201:202], v[199:200]
	v_add_f64 v[187:188], v[187:188], v[197:198]
	v_fma_f64 v[193:194], v[4:5], v[18:19], v[193:194]
	v_fma_f64 v[18:19], v[2:3], v[18:19], -v[20:21]
	v_fma_f64 v[185:186], v[185:186], v[22:23], v[189:190]
	v_fma_f64 v[22:23], v[183:184], v[22:23], -v[24:25]
	v_add_f64 v[20:21], v[16:17], v[14:15]
	v_add_f64 v[187:188], v[187:188], v[191:192]
	ds_load_b128 v[2:5], v1 offset:1296
	ds_load_b128 v[14:17], v1 offset:1312
	s_waitcnt vmcnt(6) lgkmcnt(1)
	v_mul_f64 v[191:192], v[2:3], v[28:29]
	v_mul_f64 v[28:29], v[4:5], v[28:29]
	s_waitcnt vmcnt(5) lgkmcnt(0)
	v_mul_f64 v[24:25], v[14:15], v[32:33]
	v_mul_f64 v[32:33], v[16:17], v[32:33]
	v_add_f64 v[18:19], v[20:21], v[18:19]
	v_add_f64 v[20:21], v[187:188], v[193:194]
	v_fma_f64 v[183:184], v[4:5], v[26:27], v[191:192]
	v_fma_f64 v[26:27], v[2:3], v[26:27], -v[28:29]
	v_fma_f64 v[16:17], v[16:17], v[30:31], v[24:25]
	v_fma_f64 v[14:15], v[14:15], v[30:31], -v[32:33]
	v_add_f64 v[22:23], v[18:19], v[22:23]
	v_add_f64 v[28:29], v[20:21], v[185:186]
	ds_load_b128 v[2:5], v1 offset:1328
	ds_load_b128 v[18:21], v1 offset:1344
	s_waitcnt vmcnt(4) lgkmcnt(1)
	v_mul_f64 v[185:186], v[2:3], v[40:41]
	v_mul_f64 v[40:41], v[4:5], v[40:41]
	v_add_f64 v[22:23], v[22:23], v[26:27]
	v_add_f64 v[24:25], v[28:29], v[183:184]
	s_waitcnt vmcnt(3) lgkmcnt(0)
	v_mul_f64 v[26:27], v[18:19], v[181:182]
	v_mul_f64 v[28:29], v[20:21], v[181:182]
	v_fma_f64 v[30:31], v[4:5], v[38:39], v[185:186]
	v_fma_f64 v[32:33], v[2:3], v[38:39], -v[40:41]
	v_add_f64 v[22:23], v[22:23], v[14:15]
	v_add_f64 v[24:25], v[24:25], v[16:17]
	ds_load_b128 v[2:5], v1 offset:1360
	ds_load_b128 v[14:17], v1 offset:1376
	v_fma_f64 v[20:21], v[20:21], v[179:180], v[26:27]
	v_fma_f64 v[18:19], v[18:19], v[179:180], -v[28:29]
	s_waitcnt vmcnt(2) lgkmcnt(1)
	v_mul_f64 v[38:39], v[2:3], v[36:37]
	v_mul_f64 v[36:37], v[4:5], v[36:37]
	s_waitcnt vmcnt(1) lgkmcnt(0)
	v_mul_f64 v[26:27], v[14:15], v[8:9]
	v_mul_f64 v[8:9], v[16:17], v[8:9]
	v_add_f64 v[22:23], v[22:23], v[32:33]
	v_add_f64 v[24:25], v[24:25], v[30:31]
	v_fma_f64 v[28:29], v[4:5], v[34:35], v[38:39]
	v_fma_f64 v[30:31], v[2:3], v[34:35], -v[36:37]
	ds_load_b128 v[2:5], v1 offset:1392
	v_fma_f64 v[16:17], v[16:17], v[6:7], v[26:27]
	v_fma_f64 v[6:7], v[14:15], v[6:7], -v[8:9]
	v_add_f64 v[18:19], v[22:23], v[18:19]
	v_add_f64 v[20:21], v[24:25], v[20:21]
	s_waitcnt vmcnt(0) lgkmcnt(0)
	v_mul_f64 v[22:23], v[2:3], v[12:13]
	v_mul_f64 v[12:13], v[4:5], v[12:13]
	s_delay_alu instid0(VALU_DEP_4) | instskip(NEXT) | instid1(VALU_DEP_4)
	v_add_f64 v[8:9], v[18:19], v[30:31]
	v_add_f64 v[14:15], v[20:21], v[28:29]
	s_delay_alu instid0(VALU_DEP_4) | instskip(NEXT) | instid1(VALU_DEP_4)
	v_fma_f64 v[4:5], v[4:5], v[10:11], v[22:23]
	v_fma_f64 v[2:3], v[2:3], v[10:11], -v[12:13]
	s_delay_alu instid0(VALU_DEP_4) | instskip(NEXT) | instid1(VALU_DEP_4)
	v_add_f64 v[6:7], v[8:9], v[6:7]
	v_add_f64 v[8:9], v[14:15], v[16:17]
	s_delay_alu instid0(VALU_DEP_2) | instskip(NEXT) | instid1(VALU_DEP_2)
	v_add_f64 v[2:3], v[6:7], v[2:3]
	v_add_f64 v[4:5], v[8:9], v[4:5]
	s_delay_alu instid0(VALU_DEP_2) | instskip(NEXT) | instid1(VALU_DEP_2)
	v_add_f64 v[2:3], v[42:43], -v[2:3]
	v_add_f64 v[4:5], v[44:45], -v[4:5]
	scratch_store_b128 off, v[2:5], off offset:320
	v_cmpx_lt_u32_e32 19, v134
	s_cbranch_execz .LBB107_239
; %bb.238:
	scratch_load_b128 v[5:8], v161, off
	v_mov_b32_e32 v2, v1
	v_mov_b32_e32 v3, v1
	;; [unrolled: 1-line block ×3, first 2 shown]
	scratch_store_b128 off, v[1:4], off offset:304
	s_waitcnt vmcnt(0)
	ds_store_b128 v178, v[5:8]
.LBB107_239:
	s_or_b32 exec_lo, exec_lo, s2
	s_waitcnt lgkmcnt(0)
	s_waitcnt_vscnt null, 0x0
	s_barrier
	buffer_gl0_inv
	s_clause 0x8
	scratch_load_b128 v[2:5], off, off offset:320
	scratch_load_b128 v[6:9], off, off offset:336
	;; [unrolled: 1-line block ×9, first 2 shown]
	ds_load_b128 v[38:41], v1 offset:1024
	ds_load_b128 v[42:45], v1 offset:1040
	s_clause 0x1
	scratch_load_b128 v[179:182], off, off offset:304
	scratch_load_b128 v[183:186], off, off offset:464
	s_mov_b32 s2, exec_lo
	s_waitcnt vmcnt(10) lgkmcnt(1)
	v_mul_f64 v[187:188], v[40:41], v[4:5]
	v_mul_f64 v[4:5], v[38:39], v[4:5]
	s_waitcnt vmcnt(9) lgkmcnt(0)
	v_mul_f64 v[191:192], v[42:43], v[8:9]
	v_mul_f64 v[8:9], v[44:45], v[8:9]
	s_delay_alu instid0(VALU_DEP_4) | instskip(NEXT) | instid1(VALU_DEP_4)
	v_fma_f64 v[193:194], v[38:39], v[2:3], -v[187:188]
	v_fma_f64 v[195:196], v[40:41], v[2:3], v[4:5]
	ds_load_b128 v[2:5], v1 offset:1056
	ds_load_b128 v[187:190], v1 offset:1072
	scratch_load_b128 v[38:41], off, off offset:480
	v_fma_f64 v[44:45], v[44:45], v[6:7], v[191:192]
	v_fma_f64 v[42:43], v[42:43], v[6:7], -v[8:9]
	scratch_load_b128 v[6:9], off, off offset:496
	s_waitcnt vmcnt(10) lgkmcnt(1)
	v_mul_f64 v[197:198], v[2:3], v[12:13]
	v_mul_f64 v[12:13], v[4:5], v[12:13]
	v_add_f64 v[191:192], v[193:194], 0
	v_add_f64 v[193:194], v[195:196], 0
	s_waitcnt vmcnt(9) lgkmcnt(0)
	v_mul_f64 v[195:196], v[187:188], v[16:17]
	v_mul_f64 v[16:17], v[189:190], v[16:17]
	v_fma_f64 v[197:198], v[4:5], v[10:11], v[197:198]
	v_fma_f64 v[199:200], v[2:3], v[10:11], -v[12:13]
	ds_load_b128 v[2:5], v1 offset:1088
	scratch_load_b128 v[10:13], off, off offset:512
	v_add_f64 v[191:192], v[191:192], v[42:43]
	v_add_f64 v[193:194], v[193:194], v[44:45]
	ds_load_b128 v[42:45], v1 offset:1104
	v_fma_f64 v[189:190], v[189:190], v[14:15], v[195:196]
	v_fma_f64 v[187:188], v[187:188], v[14:15], -v[16:17]
	scratch_load_b128 v[14:17], off, off offset:528
	s_waitcnt vmcnt(10) lgkmcnt(1)
	v_mul_f64 v[201:202], v[2:3], v[20:21]
	v_mul_f64 v[20:21], v[4:5], v[20:21]
	s_waitcnt vmcnt(9) lgkmcnt(0)
	v_mul_f64 v[195:196], v[42:43], v[24:25]
	v_mul_f64 v[24:25], v[44:45], v[24:25]
	v_add_f64 v[191:192], v[191:192], v[199:200]
	v_add_f64 v[193:194], v[193:194], v[197:198]
	v_fma_f64 v[197:198], v[4:5], v[18:19], v[201:202]
	v_fma_f64 v[199:200], v[2:3], v[18:19], -v[20:21]
	ds_load_b128 v[2:5], v1 offset:1120
	scratch_load_b128 v[18:21], off, off offset:544
	v_fma_f64 v[44:45], v[44:45], v[22:23], v[195:196]
	v_fma_f64 v[42:43], v[42:43], v[22:23], -v[24:25]
	scratch_load_b128 v[22:25], off, off offset:560
	v_add_f64 v[191:192], v[191:192], v[187:188]
	v_add_f64 v[193:194], v[193:194], v[189:190]
	ds_load_b128 v[187:190], v1 offset:1136
	s_waitcnt vmcnt(10) lgkmcnt(1)
	v_mul_f64 v[201:202], v[2:3], v[28:29]
	v_mul_f64 v[28:29], v[4:5], v[28:29]
	s_waitcnt vmcnt(9) lgkmcnt(0)
	v_mul_f64 v[195:196], v[187:188], v[32:33]
	v_mul_f64 v[32:33], v[189:190], v[32:33]
	v_add_f64 v[191:192], v[191:192], v[199:200]
	v_add_f64 v[193:194], v[193:194], v[197:198]
	v_fma_f64 v[197:198], v[4:5], v[26:27], v[201:202]
	v_fma_f64 v[199:200], v[2:3], v[26:27], -v[28:29]
	ds_load_b128 v[2:5], v1 offset:1152
	scratch_load_b128 v[26:29], off, off offset:576
	v_fma_f64 v[189:190], v[189:190], v[30:31], v[195:196]
	v_fma_f64 v[187:188], v[187:188], v[30:31], -v[32:33]
	scratch_load_b128 v[30:33], off, off offset:592
	v_add_f64 v[191:192], v[191:192], v[42:43]
	v_add_f64 v[193:194], v[193:194], v[44:45]
	ds_load_b128 v[42:45], v1 offset:1168
	s_waitcnt vmcnt(10) lgkmcnt(1)
	v_mul_f64 v[201:202], v[2:3], v[36:37]
	v_mul_f64 v[36:37], v[4:5], v[36:37]
	s_waitcnt vmcnt(8) lgkmcnt(0)
	v_mul_f64 v[195:196], v[42:43], v[185:186]
	v_add_f64 v[191:192], v[191:192], v[199:200]
	v_add_f64 v[193:194], v[193:194], v[197:198]
	v_mul_f64 v[197:198], v[44:45], v[185:186]
	v_fma_f64 v[199:200], v[4:5], v[34:35], v[201:202]
	v_fma_f64 v[201:202], v[2:3], v[34:35], -v[36:37]
	ds_load_b128 v[2:5], v1 offset:1184
	scratch_load_b128 v[34:37], off, off offset:608
	v_fma_f64 v[44:45], v[44:45], v[183:184], v[195:196]
	v_add_f64 v[191:192], v[191:192], v[187:188]
	v_add_f64 v[189:190], v[193:194], v[189:190]
	ds_load_b128 v[185:188], v1 offset:1200
	v_fma_f64 v[183:184], v[42:43], v[183:184], -v[197:198]
	s_waitcnt vmcnt(8) lgkmcnt(1)
	v_mul_f64 v[193:194], v[2:3], v[40:41]
	v_mul_f64 v[203:204], v[4:5], v[40:41]
	scratch_load_b128 v[40:43], off, off offset:624
	s_waitcnt vmcnt(8) lgkmcnt(0)
	v_mul_f64 v[197:198], v[185:186], v[8:9]
	v_mul_f64 v[8:9], v[187:188], v[8:9]
	v_add_f64 v[191:192], v[191:192], v[201:202]
	v_add_f64 v[189:190], v[189:190], v[199:200]
	v_fma_f64 v[199:200], v[4:5], v[38:39], v[193:194]
	v_fma_f64 v[38:39], v[2:3], v[38:39], -v[203:204]
	ds_load_b128 v[2:5], v1 offset:1216
	ds_load_b128 v[193:196], v1 offset:1232
	v_fma_f64 v[187:188], v[187:188], v[6:7], v[197:198]
	v_fma_f64 v[185:186], v[185:186], v[6:7], -v[8:9]
	scratch_load_b128 v[6:9], off, off offset:656
	v_add_f64 v[183:184], v[191:192], v[183:184]
	v_add_f64 v[44:45], v[189:190], v[44:45]
	scratch_load_b128 v[189:192], off, off offset:640
	s_waitcnt vmcnt(9) lgkmcnt(1)
	v_mul_f64 v[201:202], v[2:3], v[12:13]
	v_mul_f64 v[12:13], v[4:5], v[12:13]
	s_waitcnt vmcnt(8) lgkmcnt(0)
	v_mul_f64 v[197:198], v[193:194], v[16:17]
	v_mul_f64 v[16:17], v[195:196], v[16:17]
	v_add_f64 v[38:39], v[183:184], v[38:39]
	v_add_f64 v[44:45], v[44:45], v[199:200]
	v_fma_f64 v[199:200], v[4:5], v[10:11], v[201:202]
	v_fma_f64 v[201:202], v[2:3], v[10:11], -v[12:13]
	ds_load_b128 v[2:5], v1 offset:1248
	scratch_load_b128 v[10:13], off, off offset:672
	v_fma_f64 v[195:196], v[195:196], v[14:15], v[197:198]
	v_fma_f64 v[193:194], v[193:194], v[14:15], -v[16:17]
	scratch_load_b128 v[14:17], off, off offset:688
	v_add_f64 v[38:39], v[38:39], v[185:186]
	v_add_f64 v[44:45], v[44:45], v[187:188]
	ds_load_b128 v[183:186], v1 offset:1264
	s_waitcnt vmcnt(9) lgkmcnt(1)
	v_mul_f64 v[187:188], v[2:3], v[20:21]
	v_mul_f64 v[20:21], v[4:5], v[20:21]
	s_waitcnt vmcnt(8) lgkmcnt(0)
	v_mul_f64 v[197:198], v[183:184], v[24:25]
	v_mul_f64 v[24:25], v[185:186], v[24:25]
	v_add_f64 v[38:39], v[38:39], v[201:202]
	v_add_f64 v[44:45], v[44:45], v[199:200]
	v_fma_f64 v[187:188], v[4:5], v[18:19], v[187:188]
	v_fma_f64 v[199:200], v[2:3], v[18:19], -v[20:21]
	ds_load_b128 v[2:5], v1 offset:1280
	ds_load_b128 v[18:21], v1 offset:1296
	v_fma_f64 v[185:186], v[185:186], v[22:23], v[197:198]
	v_fma_f64 v[22:23], v[183:184], v[22:23], -v[24:25]
	v_add_f64 v[38:39], v[38:39], v[193:194]
	v_add_f64 v[44:45], v[44:45], v[195:196]
	s_waitcnt vmcnt(7) lgkmcnt(1)
	v_mul_f64 v[193:194], v[2:3], v[28:29]
	v_mul_f64 v[28:29], v[4:5], v[28:29]
	s_delay_alu instid0(VALU_DEP_4) | instskip(NEXT) | instid1(VALU_DEP_4)
	v_add_f64 v[24:25], v[38:39], v[199:200]
	v_add_f64 v[38:39], v[44:45], v[187:188]
	s_waitcnt vmcnt(6) lgkmcnt(0)
	v_mul_f64 v[44:45], v[18:19], v[32:33]
	v_mul_f64 v[32:33], v[20:21], v[32:33]
	v_fma_f64 v[183:184], v[4:5], v[26:27], v[193:194]
	v_fma_f64 v[26:27], v[2:3], v[26:27], -v[28:29]
	v_add_f64 v[28:29], v[24:25], v[22:23]
	v_add_f64 v[38:39], v[38:39], v[185:186]
	ds_load_b128 v[2:5], v1 offset:1312
	ds_load_b128 v[22:25], v1 offset:1328
	v_fma_f64 v[20:21], v[20:21], v[30:31], v[44:45]
	v_fma_f64 v[18:19], v[18:19], v[30:31], -v[32:33]
	s_waitcnt vmcnt(5) lgkmcnt(1)
	v_mul_f64 v[185:186], v[2:3], v[36:37]
	v_mul_f64 v[36:37], v[4:5], v[36:37]
	s_waitcnt vmcnt(4) lgkmcnt(0)
	v_mul_f64 v[30:31], v[22:23], v[42:43]
	v_add_f64 v[26:27], v[28:29], v[26:27]
	v_add_f64 v[28:29], v[38:39], v[183:184]
	v_mul_f64 v[32:33], v[24:25], v[42:43]
	v_fma_f64 v[38:39], v[4:5], v[34:35], v[185:186]
	v_fma_f64 v[34:35], v[2:3], v[34:35], -v[36:37]
	v_fma_f64 v[24:25], v[24:25], v[40:41], v[30:31]
	v_add_f64 v[26:27], v[26:27], v[18:19]
	v_add_f64 v[28:29], v[28:29], v[20:21]
	ds_load_b128 v[2:5], v1 offset:1344
	ds_load_b128 v[18:21], v1 offset:1360
	v_fma_f64 v[22:23], v[22:23], v[40:41], -v[32:33]
	s_waitcnt vmcnt(2) lgkmcnt(1)
	v_mul_f64 v[36:37], v[2:3], v[191:192]
	v_mul_f64 v[42:43], v[4:5], v[191:192]
	s_waitcnt lgkmcnt(0)
	v_mul_f64 v[30:31], v[18:19], v[8:9]
	v_mul_f64 v[8:9], v[20:21], v[8:9]
	v_add_f64 v[26:27], v[26:27], v[34:35]
	v_add_f64 v[28:29], v[28:29], v[38:39]
	v_fma_f64 v[32:33], v[4:5], v[189:190], v[36:37]
	v_fma_f64 v[34:35], v[2:3], v[189:190], -v[42:43]
	v_fma_f64 v[20:21], v[20:21], v[6:7], v[30:31]
	v_fma_f64 v[6:7], v[18:19], v[6:7], -v[8:9]
	v_add_f64 v[26:27], v[26:27], v[22:23]
	v_add_f64 v[28:29], v[28:29], v[24:25]
	ds_load_b128 v[2:5], v1 offset:1376
	ds_load_b128 v[22:25], v1 offset:1392
	s_waitcnt vmcnt(1) lgkmcnt(1)
	v_mul_f64 v[36:37], v[2:3], v[12:13]
	v_mul_f64 v[12:13], v[4:5], v[12:13]
	v_add_f64 v[8:9], v[26:27], v[34:35]
	v_add_f64 v[18:19], v[28:29], v[32:33]
	s_waitcnt vmcnt(0) lgkmcnt(0)
	v_mul_f64 v[26:27], v[22:23], v[16:17]
	v_mul_f64 v[16:17], v[24:25], v[16:17]
	v_fma_f64 v[4:5], v[4:5], v[10:11], v[36:37]
	v_fma_f64 v[1:2], v[2:3], v[10:11], -v[12:13]
	v_add_f64 v[6:7], v[8:9], v[6:7]
	v_add_f64 v[8:9], v[18:19], v[20:21]
	v_fma_f64 v[10:11], v[24:25], v[14:15], v[26:27]
	v_fma_f64 v[12:13], v[22:23], v[14:15], -v[16:17]
	s_delay_alu instid0(VALU_DEP_4) | instskip(NEXT) | instid1(VALU_DEP_4)
	v_add_f64 v[1:2], v[6:7], v[1:2]
	v_add_f64 v[3:4], v[8:9], v[4:5]
	s_delay_alu instid0(VALU_DEP_2) | instskip(NEXT) | instid1(VALU_DEP_2)
	v_add_f64 v[1:2], v[1:2], v[12:13]
	v_add_f64 v[3:4], v[3:4], v[10:11]
	s_delay_alu instid0(VALU_DEP_2) | instskip(NEXT) | instid1(VALU_DEP_2)
	v_add_f64 v[1:2], v[179:180], -v[1:2]
	v_add_f64 v[3:4], v[181:182], -v[3:4]
	scratch_store_b128 off, v[1:4], off offset:304
	v_cmpx_lt_u32_e32 18, v134
	s_cbranch_execz .LBB107_241
; %bb.240:
	scratch_load_b128 v[1:4], v162, off
	v_mov_b32_e32 v5, 0
	s_delay_alu instid0(VALU_DEP_1)
	v_mov_b32_e32 v6, v5
	v_mov_b32_e32 v7, v5
	;; [unrolled: 1-line block ×3, first 2 shown]
	scratch_store_b128 off, v[5:8], off offset:288
	s_waitcnt vmcnt(0)
	ds_store_b128 v178, v[1:4]
.LBB107_241:
	s_or_b32 exec_lo, exec_lo, s2
	s_waitcnt lgkmcnt(0)
	s_waitcnt_vscnt null, 0x0
	s_barrier
	buffer_gl0_inv
	s_clause 0x7
	scratch_load_b128 v[2:5], off, off offset:304
	scratch_load_b128 v[6:9], off, off offset:320
	;; [unrolled: 1-line block ×8, first 2 shown]
	v_mov_b32_e32 v1, 0
	s_mov_b32 s2, exec_lo
	ds_load_b128 v[34:37], v1 offset:1008
	s_clause 0x1
	scratch_load_b128 v[38:41], off, off offset:432
	scratch_load_b128 v[42:45], off, off offset:288
	ds_load_b128 v[179:182], v1 offset:1024
	scratch_load_b128 v[183:186], off, off offset:448
	s_waitcnt vmcnt(10) lgkmcnt(1)
	v_mul_f64 v[187:188], v[36:37], v[4:5]
	v_mul_f64 v[4:5], v[34:35], v[4:5]
	s_delay_alu instid0(VALU_DEP_2) | instskip(NEXT) | instid1(VALU_DEP_2)
	v_fma_f64 v[193:194], v[34:35], v[2:3], -v[187:188]
	v_fma_f64 v[195:196], v[36:37], v[2:3], v[4:5]
	scratch_load_b128 v[34:37], off, off offset:464
	ds_load_b128 v[2:5], v1 offset:1040
	s_waitcnt vmcnt(10) lgkmcnt(1)
	v_mul_f64 v[191:192], v[179:180], v[8:9]
	v_mul_f64 v[8:9], v[181:182], v[8:9]
	ds_load_b128 v[187:190], v1 offset:1056
	s_waitcnt vmcnt(9) lgkmcnt(1)
	v_mul_f64 v[197:198], v[2:3], v[12:13]
	v_mul_f64 v[12:13], v[4:5], v[12:13]
	v_fma_f64 v[181:182], v[181:182], v[6:7], v[191:192]
	v_fma_f64 v[179:180], v[179:180], v[6:7], -v[8:9]
	v_add_f64 v[191:192], v[193:194], 0
	v_add_f64 v[193:194], v[195:196], 0
	scratch_load_b128 v[6:9], off, off offset:480
	v_fma_f64 v[197:198], v[4:5], v[10:11], v[197:198]
	v_fma_f64 v[199:200], v[2:3], v[10:11], -v[12:13]
	scratch_load_b128 v[10:13], off, off offset:496
	ds_load_b128 v[2:5], v1 offset:1072
	s_waitcnt vmcnt(10) lgkmcnt(1)
	v_mul_f64 v[195:196], v[187:188], v[16:17]
	v_mul_f64 v[16:17], v[189:190], v[16:17]
	v_add_f64 v[191:192], v[191:192], v[179:180]
	v_add_f64 v[193:194], v[193:194], v[181:182]
	s_waitcnt vmcnt(9) lgkmcnt(0)
	v_mul_f64 v[201:202], v[2:3], v[20:21]
	v_mul_f64 v[20:21], v[4:5], v[20:21]
	ds_load_b128 v[179:182], v1 offset:1088
	v_fma_f64 v[189:190], v[189:190], v[14:15], v[195:196]
	v_fma_f64 v[187:188], v[187:188], v[14:15], -v[16:17]
	scratch_load_b128 v[14:17], off, off offset:512
	v_add_f64 v[191:192], v[191:192], v[199:200]
	v_add_f64 v[193:194], v[193:194], v[197:198]
	v_fma_f64 v[197:198], v[4:5], v[18:19], v[201:202]
	v_fma_f64 v[199:200], v[2:3], v[18:19], -v[20:21]
	scratch_load_b128 v[18:21], off, off offset:528
	ds_load_b128 v[2:5], v1 offset:1104
	s_waitcnt vmcnt(10) lgkmcnt(1)
	v_mul_f64 v[195:196], v[179:180], v[24:25]
	v_mul_f64 v[24:25], v[181:182], v[24:25]
	s_waitcnt vmcnt(9) lgkmcnt(0)
	v_mul_f64 v[201:202], v[2:3], v[28:29]
	v_mul_f64 v[28:29], v[4:5], v[28:29]
	v_add_f64 v[191:192], v[191:192], v[187:188]
	v_add_f64 v[193:194], v[193:194], v[189:190]
	ds_load_b128 v[187:190], v1 offset:1120
	v_fma_f64 v[181:182], v[181:182], v[22:23], v[195:196]
	v_fma_f64 v[179:180], v[179:180], v[22:23], -v[24:25]
	scratch_load_b128 v[22:25], off, off offset:544
	v_add_f64 v[191:192], v[191:192], v[199:200]
	v_add_f64 v[193:194], v[193:194], v[197:198]
	v_fma_f64 v[197:198], v[4:5], v[26:27], v[201:202]
	v_fma_f64 v[199:200], v[2:3], v[26:27], -v[28:29]
	scratch_load_b128 v[26:29], off, off offset:560
	ds_load_b128 v[2:5], v1 offset:1136
	s_waitcnt vmcnt(10) lgkmcnt(1)
	v_mul_f64 v[195:196], v[187:188], v[32:33]
	v_mul_f64 v[32:33], v[189:190], v[32:33]
	s_waitcnt vmcnt(9) lgkmcnt(0)
	v_mul_f64 v[201:202], v[2:3], v[40:41]
	v_mul_f64 v[40:41], v[4:5], v[40:41]
	v_add_f64 v[191:192], v[191:192], v[179:180]
	v_add_f64 v[193:194], v[193:194], v[181:182]
	ds_load_b128 v[179:182], v1 offset:1152
	v_fma_f64 v[189:190], v[189:190], v[30:31], v[195:196]
	v_fma_f64 v[187:188], v[187:188], v[30:31], -v[32:33]
	scratch_load_b128 v[30:33], off, off offset:576
	v_add_f64 v[191:192], v[191:192], v[199:200]
	v_add_f64 v[193:194], v[193:194], v[197:198]
	v_fma_f64 v[199:200], v[4:5], v[38:39], v[201:202]
	v_fma_f64 v[201:202], v[2:3], v[38:39], -v[40:41]
	scratch_load_b128 v[38:41], off, off offset:592
	ds_load_b128 v[2:5], v1 offset:1168
	s_waitcnt vmcnt(9) lgkmcnt(1)
	v_mul_f64 v[195:196], v[179:180], v[185:186]
	v_mul_f64 v[197:198], v[181:182], v[185:186]
	v_add_f64 v[191:192], v[191:192], v[187:188]
	v_add_f64 v[189:190], v[193:194], v[189:190]
	ds_load_b128 v[185:188], v1 offset:1184
	v_fma_f64 v[195:196], v[181:182], v[183:184], v[195:196]
	v_fma_f64 v[183:184], v[179:180], v[183:184], -v[197:198]
	scratch_load_b128 v[179:182], off, off offset:608
	s_waitcnt vmcnt(9) lgkmcnt(1)
	v_mul_f64 v[193:194], v[2:3], v[36:37]
	v_mul_f64 v[36:37], v[4:5], v[36:37]
	v_add_f64 v[191:192], v[191:192], v[201:202]
	v_add_f64 v[189:190], v[189:190], v[199:200]
	s_delay_alu instid0(VALU_DEP_4) | instskip(NEXT) | instid1(VALU_DEP_4)
	v_fma_f64 v[193:194], v[4:5], v[34:35], v[193:194]
	v_fma_f64 v[199:200], v[2:3], v[34:35], -v[36:37]
	scratch_load_b128 v[34:37], off, off offset:624
	ds_load_b128 v[2:5], v1 offset:1200
	s_waitcnt vmcnt(9) lgkmcnt(1)
	v_mul_f64 v[197:198], v[185:186], v[8:9]
	v_mul_f64 v[8:9], v[187:188], v[8:9]
	s_waitcnt vmcnt(8) lgkmcnt(0)
	v_mul_f64 v[201:202], v[2:3], v[12:13]
	v_mul_f64 v[12:13], v[4:5], v[12:13]
	v_add_f64 v[183:184], v[191:192], v[183:184]
	v_add_f64 v[195:196], v[189:190], v[195:196]
	ds_load_b128 v[189:192], v1 offset:1216
	v_fma_f64 v[187:188], v[187:188], v[6:7], v[197:198]
	v_fma_f64 v[185:186], v[185:186], v[6:7], -v[8:9]
	scratch_load_b128 v[6:9], off, off offset:640
	v_fma_f64 v[197:198], v[4:5], v[10:11], v[201:202]
	v_add_f64 v[183:184], v[183:184], v[199:200]
	v_add_f64 v[193:194], v[195:196], v[193:194]
	v_fma_f64 v[199:200], v[2:3], v[10:11], -v[12:13]
	scratch_load_b128 v[10:13], off, off offset:656
	ds_load_b128 v[2:5], v1 offset:1232
	s_waitcnt vmcnt(9) lgkmcnt(1)
	v_mul_f64 v[195:196], v[189:190], v[16:17]
	v_mul_f64 v[16:17], v[191:192], v[16:17]
	v_add_f64 v[201:202], v[183:184], v[185:186]
	v_add_f64 v[187:188], v[193:194], v[187:188]
	s_waitcnt vmcnt(8) lgkmcnt(0)
	v_mul_f64 v[193:194], v[2:3], v[20:21]
	v_mul_f64 v[20:21], v[4:5], v[20:21]
	ds_load_b128 v[183:186], v1 offset:1248
	v_fma_f64 v[191:192], v[191:192], v[14:15], v[195:196]
	v_fma_f64 v[189:190], v[189:190], v[14:15], -v[16:17]
	scratch_load_b128 v[14:17], off, off offset:672
	v_add_f64 v[195:196], v[201:202], v[199:200]
	v_add_f64 v[187:188], v[187:188], v[197:198]
	v_fma_f64 v[193:194], v[4:5], v[18:19], v[193:194]
	v_fma_f64 v[199:200], v[2:3], v[18:19], -v[20:21]
	scratch_load_b128 v[18:21], off, off offset:688
	ds_load_b128 v[2:5], v1 offset:1264
	s_waitcnt vmcnt(9) lgkmcnt(1)
	v_mul_f64 v[197:198], v[183:184], v[24:25]
	v_mul_f64 v[24:25], v[185:186], v[24:25]
	s_waitcnt vmcnt(8) lgkmcnt(0)
	v_mul_f64 v[201:202], v[2:3], v[28:29]
	v_mul_f64 v[28:29], v[4:5], v[28:29]
	v_add_f64 v[195:196], v[195:196], v[189:190]
	v_add_f64 v[191:192], v[187:188], v[191:192]
	ds_load_b128 v[187:190], v1 offset:1280
	v_fma_f64 v[185:186], v[185:186], v[22:23], v[197:198]
	v_fma_f64 v[22:23], v[183:184], v[22:23], -v[24:25]
	v_add_f64 v[24:25], v[195:196], v[199:200]
	v_add_f64 v[183:184], v[191:192], v[193:194]
	s_waitcnt vmcnt(7) lgkmcnt(0)
	v_mul_f64 v[191:192], v[187:188], v[32:33]
	v_mul_f64 v[32:33], v[189:190], v[32:33]
	v_fma_f64 v[193:194], v[4:5], v[26:27], v[201:202]
	v_fma_f64 v[26:27], v[2:3], v[26:27], -v[28:29]
	v_add_f64 v[28:29], v[24:25], v[22:23]
	v_add_f64 v[183:184], v[183:184], v[185:186]
	ds_load_b128 v[2:5], v1 offset:1296
	ds_load_b128 v[22:25], v1 offset:1312
	v_fma_f64 v[189:190], v[189:190], v[30:31], v[191:192]
	v_fma_f64 v[30:31], v[187:188], v[30:31], -v[32:33]
	s_waitcnt vmcnt(6) lgkmcnt(1)
	v_mul_f64 v[185:186], v[2:3], v[40:41]
	v_mul_f64 v[40:41], v[4:5], v[40:41]
	s_waitcnt vmcnt(5) lgkmcnt(0)
	v_mul_f64 v[32:33], v[22:23], v[181:182]
	v_mul_f64 v[181:182], v[24:25], v[181:182]
	v_add_f64 v[26:27], v[28:29], v[26:27]
	v_add_f64 v[28:29], v[183:184], v[193:194]
	v_fma_f64 v[183:184], v[4:5], v[38:39], v[185:186]
	v_fma_f64 v[38:39], v[2:3], v[38:39], -v[40:41]
	v_fma_f64 v[24:25], v[24:25], v[179:180], v[32:33]
	v_fma_f64 v[22:23], v[22:23], v[179:180], -v[181:182]
	v_add_f64 v[30:31], v[26:27], v[30:31]
	v_add_f64 v[40:41], v[28:29], v[189:190]
	ds_load_b128 v[2:5], v1 offset:1328
	ds_load_b128 v[26:29], v1 offset:1344
	s_waitcnt vmcnt(4) lgkmcnt(1)
	v_mul_f64 v[185:186], v[2:3], v[36:37]
	v_mul_f64 v[36:37], v[4:5], v[36:37]
	v_add_f64 v[30:31], v[30:31], v[38:39]
	v_add_f64 v[32:33], v[40:41], v[183:184]
	s_waitcnt vmcnt(3) lgkmcnt(0)
	v_mul_f64 v[38:39], v[26:27], v[8:9]
	v_mul_f64 v[8:9], v[28:29], v[8:9]
	v_fma_f64 v[40:41], v[4:5], v[34:35], v[185:186]
	v_fma_f64 v[34:35], v[2:3], v[34:35], -v[36:37]
	v_add_f64 v[30:31], v[30:31], v[22:23]
	v_add_f64 v[32:33], v[32:33], v[24:25]
	ds_load_b128 v[2:5], v1 offset:1360
	ds_load_b128 v[22:25], v1 offset:1376
	v_fma_f64 v[28:29], v[28:29], v[6:7], v[38:39]
	v_fma_f64 v[6:7], v[26:27], v[6:7], -v[8:9]
	s_waitcnt vmcnt(2) lgkmcnt(1)
	v_mul_f64 v[36:37], v[2:3], v[12:13]
	v_mul_f64 v[12:13], v[4:5], v[12:13]
	v_add_f64 v[8:9], v[30:31], v[34:35]
	v_add_f64 v[26:27], v[32:33], v[40:41]
	s_waitcnt vmcnt(1) lgkmcnt(0)
	v_mul_f64 v[30:31], v[22:23], v[16:17]
	v_mul_f64 v[16:17], v[24:25], v[16:17]
	v_fma_f64 v[32:33], v[4:5], v[10:11], v[36:37]
	v_fma_f64 v[10:11], v[2:3], v[10:11], -v[12:13]
	ds_load_b128 v[2:5], v1 offset:1392
	v_add_f64 v[6:7], v[8:9], v[6:7]
	v_add_f64 v[8:9], v[26:27], v[28:29]
	v_fma_f64 v[24:25], v[24:25], v[14:15], v[30:31]
	v_fma_f64 v[14:15], v[22:23], v[14:15], -v[16:17]
	s_waitcnt vmcnt(0) lgkmcnt(0)
	v_mul_f64 v[12:13], v[2:3], v[20:21]
	v_mul_f64 v[20:21], v[4:5], v[20:21]
	v_add_f64 v[6:7], v[6:7], v[10:11]
	v_add_f64 v[8:9], v[8:9], v[32:33]
	s_delay_alu instid0(VALU_DEP_4) | instskip(NEXT) | instid1(VALU_DEP_4)
	v_fma_f64 v[4:5], v[4:5], v[18:19], v[12:13]
	v_fma_f64 v[2:3], v[2:3], v[18:19], -v[20:21]
	s_delay_alu instid0(VALU_DEP_4) | instskip(NEXT) | instid1(VALU_DEP_4)
	v_add_f64 v[6:7], v[6:7], v[14:15]
	v_add_f64 v[8:9], v[8:9], v[24:25]
	s_delay_alu instid0(VALU_DEP_2) | instskip(NEXT) | instid1(VALU_DEP_2)
	v_add_f64 v[2:3], v[6:7], v[2:3]
	v_add_f64 v[4:5], v[8:9], v[4:5]
	s_delay_alu instid0(VALU_DEP_2) | instskip(NEXT) | instid1(VALU_DEP_2)
	v_add_f64 v[2:3], v[42:43], -v[2:3]
	v_add_f64 v[4:5], v[44:45], -v[4:5]
	scratch_store_b128 off, v[2:5], off offset:288
	v_cmpx_lt_u32_e32 17, v134
	s_cbranch_execz .LBB107_243
; %bb.242:
	scratch_load_b128 v[5:8], v163, off
	v_mov_b32_e32 v2, v1
	v_mov_b32_e32 v3, v1
	;; [unrolled: 1-line block ×3, first 2 shown]
	scratch_store_b128 off, v[1:4], off offset:272
	s_waitcnt vmcnt(0)
	ds_store_b128 v178, v[5:8]
.LBB107_243:
	s_or_b32 exec_lo, exec_lo, s2
	s_waitcnt lgkmcnt(0)
	s_waitcnt_vscnt null, 0x0
	s_barrier
	buffer_gl0_inv
	s_clause 0x8
	scratch_load_b128 v[2:5], off, off offset:288
	scratch_load_b128 v[6:9], off, off offset:304
	;; [unrolled: 1-line block ×9, first 2 shown]
	ds_load_b128 v[38:41], v1 offset:992
	ds_load_b128 v[42:45], v1 offset:1008
	s_clause 0x1
	scratch_load_b128 v[179:182], off, off offset:272
	scratch_load_b128 v[183:186], off, off offset:432
	s_mov_b32 s2, exec_lo
	s_waitcnt vmcnt(10) lgkmcnt(1)
	v_mul_f64 v[187:188], v[40:41], v[4:5]
	v_mul_f64 v[4:5], v[38:39], v[4:5]
	s_waitcnt vmcnt(9) lgkmcnt(0)
	v_mul_f64 v[191:192], v[42:43], v[8:9]
	v_mul_f64 v[8:9], v[44:45], v[8:9]
	s_delay_alu instid0(VALU_DEP_4) | instskip(NEXT) | instid1(VALU_DEP_4)
	v_fma_f64 v[193:194], v[38:39], v[2:3], -v[187:188]
	v_fma_f64 v[195:196], v[40:41], v[2:3], v[4:5]
	ds_load_b128 v[2:5], v1 offset:1024
	ds_load_b128 v[187:190], v1 offset:1040
	scratch_load_b128 v[38:41], off, off offset:448
	v_fma_f64 v[44:45], v[44:45], v[6:7], v[191:192]
	v_fma_f64 v[42:43], v[42:43], v[6:7], -v[8:9]
	scratch_load_b128 v[6:9], off, off offset:464
	s_waitcnt vmcnt(10) lgkmcnt(1)
	v_mul_f64 v[197:198], v[2:3], v[12:13]
	v_mul_f64 v[12:13], v[4:5], v[12:13]
	v_add_f64 v[191:192], v[193:194], 0
	v_add_f64 v[193:194], v[195:196], 0
	s_waitcnt vmcnt(9) lgkmcnt(0)
	v_mul_f64 v[195:196], v[187:188], v[16:17]
	v_mul_f64 v[16:17], v[189:190], v[16:17]
	v_fma_f64 v[197:198], v[4:5], v[10:11], v[197:198]
	v_fma_f64 v[199:200], v[2:3], v[10:11], -v[12:13]
	ds_load_b128 v[2:5], v1 offset:1056
	scratch_load_b128 v[10:13], off, off offset:480
	v_add_f64 v[191:192], v[191:192], v[42:43]
	v_add_f64 v[193:194], v[193:194], v[44:45]
	ds_load_b128 v[42:45], v1 offset:1072
	v_fma_f64 v[189:190], v[189:190], v[14:15], v[195:196]
	v_fma_f64 v[187:188], v[187:188], v[14:15], -v[16:17]
	scratch_load_b128 v[14:17], off, off offset:496
	s_waitcnt vmcnt(10) lgkmcnt(1)
	v_mul_f64 v[201:202], v[2:3], v[20:21]
	v_mul_f64 v[20:21], v[4:5], v[20:21]
	s_waitcnt vmcnt(9) lgkmcnt(0)
	v_mul_f64 v[195:196], v[42:43], v[24:25]
	v_mul_f64 v[24:25], v[44:45], v[24:25]
	v_add_f64 v[191:192], v[191:192], v[199:200]
	v_add_f64 v[193:194], v[193:194], v[197:198]
	v_fma_f64 v[197:198], v[4:5], v[18:19], v[201:202]
	v_fma_f64 v[199:200], v[2:3], v[18:19], -v[20:21]
	ds_load_b128 v[2:5], v1 offset:1088
	scratch_load_b128 v[18:21], off, off offset:512
	v_fma_f64 v[44:45], v[44:45], v[22:23], v[195:196]
	v_fma_f64 v[42:43], v[42:43], v[22:23], -v[24:25]
	scratch_load_b128 v[22:25], off, off offset:528
	v_add_f64 v[191:192], v[191:192], v[187:188]
	v_add_f64 v[193:194], v[193:194], v[189:190]
	ds_load_b128 v[187:190], v1 offset:1104
	s_waitcnt vmcnt(10) lgkmcnt(1)
	v_mul_f64 v[201:202], v[2:3], v[28:29]
	v_mul_f64 v[28:29], v[4:5], v[28:29]
	s_waitcnt vmcnt(9) lgkmcnt(0)
	v_mul_f64 v[195:196], v[187:188], v[32:33]
	v_mul_f64 v[32:33], v[189:190], v[32:33]
	v_add_f64 v[191:192], v[191:192], v[199:200]
	v_add_f64 v[193:194], v[193:194], v[197:198]
	v_fma_f64 v[197:198], v[4:5], v[26:27], v[201:202]
	v_fma_f64 v[199:200], v[2:3], v[26:27], -v[28:29]
	ds_load_b128 v[2:5], v1 offset:1120
	scratch_load_b128 v[26:29], off, off offset:544
	v_fma_f64 v[189:190], v[189:190], v[30:31], v[195:196]
	v_fma_f64 v[187:188], v[187:188], v[30:31], -v[32:33]
	scratch_load_b128 v[30:33], off, off offset:560
	v_add_f64 v[191:192], v[191:192], v[42:43]
	v_add_f64 v[193:194], v[193:194], v[44:45]
	ds_load_b128 v[42:45], v1 offset:1136
	s_waitcnt vmcnt(10) lgkmcnt(1)
	v_mul_f64 v[201:202], v[2:3], v[36:37]
	v_mul_f64 v[36:37], v[4:5], v[36:37]
	s_waitcnt vmcnt(8) lgkmcnt(0)
	v_mul_f64 v[195:196], v[42:43], v[185:186]
	v_add_f64 v[191:192], v[191:192], v[199:200]
	v_add_f64 v[193:194], v[193:194], v[197:198]
	v_mul_f64 v[197:198], v[44:45], v[185:186]
	v_fma_f64 v[199:200], v[4:5], v[34:35], v[201:202]
	v_fma_f64 v[201:202], v[2:3], v[34:35], -v[36:37]
	ds_load_b128 v[2:5], v1 offset:1152
	scratch_load_b128 v[34:37], off, off offset:576
	v_fma_f64 v[44:45], v[44:45], v[183:184], v[195:196]
	v_add_f64 v[191:192], v[191:192], v[187:188]
	v_add_f64 v[189:190], v[193:194], v[189:190]
	ds_load_b128 v[185:188], v1 offset:1168
	v_fma_f64 v[183:184], v[42:43], v[183:184], -v[197:198]
	s_waitcnt vmcnt(8) lgkmcnt(1)
	v_mul_f64 v[193:194], v[2:3], v[40:41]
	v_mul_f64 v[203:204], v[4:5], v[40:41]
	scratch_load_b128 v[40:43], off, off offset:592
	s_waitcnt vmcnt(8) lgkmcnt(0)
	v_mul_f64 v[197:198], v[185:186], v[8:9]
	v_mul_f64 v[8:9], v[187:188], v[8:9]
	v_add_f64 v[191:192], v[191:192], v[201:202]
	v_add_f64 v[189:190], v[189:190], v[199:200]
	v_fma_f64 v[199:200], v[4:5], v[38:39], v[193:194]
	v_fma_f64 v[38:39], v[2:3], v[38:39], -v[203:204]
	ds_load_b128 v[2:5], v1 offset:1184
	ds_load_b128 v[193:196], v1 offset:1200
	v_fma_f64 v[187:188], v[187:188], v[6:7], v[197:198]
	v_fma_f64 v[185:186], v[185:186], v[6:7], -v[8:9]
	scratch_load_b128 v[6:9], off, off offset:624
	v_add_f64 v[183:184], v[191:192], v[183:184]
	v_add_f64 v[44:45], v[189:190], v[44:45]
	scratch_load_b128 v[189:192], off, off offset:608
	s_waitcnt vmcnt(9) lgkmcnt(1)
	v_mul_f64 v[201:202], v[2:3], v[12:13]
	v_mul_f64 v[12:13], v[4:5], v[12:13]
	s_waitcnt vmcnt(8) lgkmcnt(0)
	v_mul_f64 v[197:198], v[193:194], v[16:17]
	v_mul_f64 v[16:17], v[195:196], v[16:17]
	v_add_f64 v[38:39], v[183:184], v[38:39]
	v_add_f64 v[44:45], v[44:45], v[199:200]
	v_fma_f64 v[199:200], v[4:5], v[10:11], v[201:202]
	v_fma_f64 v[201:202], v[2:3], v[10:11], -v[12:13]
	ds_load_b128 v[2:5], v1 offset:1216
	scratch_load_b128 v[10:13], off, off offset:640
	v_fma_f64 v[195:196], v[195:196], v[14:15], v[197:198]
	v_fma_f64 v[193:194], v[193:194], v[14:15], -v[16:17]
	scratch_load_b128 v[14:17], off, off offset:656
	v_add_f64 v[38:39], v[38:39], v[185:186]
	v_add_f64 v[44:45], v[44:45], v[187:188]
	ds_load_b128 v[183:186], v1 offset:1232
	s_waitcnt vmcnt(9) lgkmcnt(1)
	v_mul_f64 v[187:188], v[2:3], v[20:21]
	v_mul_f64 v[20:21], v[4:5], v[20:21]
	s_waitcnt vmcnt(8) lgkmcnt(0)
	v_mul_f64 v[197:198], v[183:184], v[24:25]
	v_mul_f64 v[24:25], v[185:186], v[24:25]
	v_add_f64 v[38:39], v[38:39], v[201:202]
	v_add_f64 v[44:45], v[44:45], v[199:200]
	v_fma_f64 v[187:188], v[4:5], v[18:19], v[187:188]
	v_fma_f64 v[199:200], v[2:3], v[18:19], -v[20:21]
	ds_load_b128 v[2:5], v1 offset:1248
	scratch_load_b128 v[18:21], off, off offset:672
	v_fma_f64 v[185:186], v[185:186], v[22:23], v[197:198]
	v_fma_f64 v[183:184], v[183:184], v[22:23], -v[24:25]
	scratch_load_b128 v[22:25], off, off offset:688
	v_add_f64 v[38:39], v[38:39], v[193:194]
	v_add_f64 v[44:45], v[44:45], v[195:196]
	ds_load_b128 v[193:196], v1 offset:1264
	s_waitcnt vmcnt(9) lgkmcnt(1)
	v_mul_f64 v[201:202], v[2:3], v[28:29]
	v_mul_f64 v[28:29], v[4:5], v[28:29]
	v_add_f64 v[38:39], v[38:39], v[199:200]
	v_add_f64 v[44:45], v[44:45], v[187:188]
	s_waitcnt vmcnt(8) lgkmcnt(0)
	v_mul_f64 v[187:188], v[193:194], v[32:33]
	v_mul_f64 v[32:33], v[195:196], v[32:33]
	v_fma_f64 v[197:198], v[4:5], v[26:27], v[201:202]
	v_fma_f64 v[199:200], v[2:3], v[26:27], -v[28:29]
	ds_load_b128 v[2:5], v1 offset:1280
	ds_load_b128 v[26:29], v1 offset:1296
	v_add_f64 v[38:39], v[38:39], v[183:184]
	v_add_f64 v[44:45], v[44:45], v[185:186]
	s_waitcnt vmcnt(7) lgkmcnt(1)
	v_mul_f64 v[183:184], v[2:3], v[36:37]
	v_mul_f64 v[36:37], v[4:5], v[36:37]
	v_fma_f64 v[185:186], v[195:196], v[30:31], v[187:188]
	v_fma_f64 v[30:31], v[193:194], v[30:31], -v[32:33]
	v_add_f64 v[32:33], v[38:39], v[199:200]
	v_add_f64 v[38:39], v[44:45], v[197:198]
	s_waitcnt vmcnt(6) lgkmcnt(0)
	v_mul_f64 v[44:45], v[26:27], v[42:43]
	v_mul_f64 v[42:43], v[28:29], v[42:43]
	v_fma_f64 v[183:184], v[4:5], v[34:35], v[183:184]
	v_fma_f64 v[34:35], v[2:3], v[34:35], -v[36:37]
	v_add_f64 v[36:37], v[32:33], v[30:31]
	v_add_f64 v[38:39], v[38:39], v[185:186]
	ds_load_b128 v[2:5], v1 offset:1312
	ds_load_b128 v[30:33], v1 offset:1328
	v_fma_f64 v[28:29], v[28:29], v[40:41], v[44:45]
	v_fma_f64 v[26:27], v[26:27], v[40:41], -v[42:43]
	s_waitcnt vmcnt(4) lgkmcnt(1)
	v_mul_f64 v[185:186], v[2:3], v[191:192]
	v_mul_f64 v[187:188], v[4:5], v[191:192]
	v_add_f64 v[34:35], v[36:37], v[34:35]
	v_add_f64 v[36:37], v[38:39], v[183:184]
	s_waitcnt lgkmcnt(0)
	v_mul_f64 v[38:39], v[30:31], v[8:9]
	v_mul_f64 v[8:9], v[32:33], v[8:9]
	v_fma_f64 v[40:41], v[4:5], v[189:190], v[185:186]
	v_fma_f64 v[42:43], v[2:3], v[189:190], -v[187:188]
	v_add_f64 v[34:35], v[34:35], v[26:27]
	v_add_f64 v[36:37], v[36:37], v[28:29]
	ds_load_b128 v[2:5], v1 offset:1344
	ds_load_b128 v[26:29], v1 offset:1360
	v_fma_f64 v[32:33], v[32:33], v[6:7], v[38:39]
	v_fma_f64 v[6:7], v[30:31], v[6:7], -v[8:9]
	s_waitcnt vmcnt(3) lgkmcnt(1)
	v_mul_f64 v[44:45], v[2:3], v[12:13]
	v_mul_f64 v[12:13], v[4:5], v[12:13]
	v_add_f64 v[8:9], v[34:35], v[42:43]
	v_add_f64 v[30:31], v[36:37], v[40:41]
	s_waitcnt vmcnt(2) lgkmcnt(0)
	v_mul_f64 v[34:35], v[26:27], v[16:17]
	v_mul_f64 v[16:17], v[28:29], v[16:17]
	v_fma_f64 v[36:37], v[4:5], v[10:11], v[44:45]
	v_fma_f64 v[10:11], v[2:3], v[10:11], -v[12:13]
	v_add_f64 v[12:13], v[8:9], v[6:7]
	v_add_f64 v[30:31], v[30:31], v[32:33]
	ds_load_b128 v[2:5], v1 offset:1376
	ds_load_b128 v[6:9], v1 offset:1392
	v_fma_f64 v[28:29], v[28:29], v[14:15], v[34:35]
	v_fma_f64 v[14:15], v[26:27], v[14:15], -v[16:17]
	s_waitcnt vmcnt(1) lgkmcnt(1)
	v_mul_f64 v[32:33], v[2:3], v[20:21]
	v_mul_f64 v[20:21], v[4:5], v[20:21]
	s_waitcnt vmcnt(0) lgkmcnt(0)
	v_mul_f64 v[16:17], v[6:7], v[24:25]
	v_mul_f64 v[24:25], v[8:9], v[24:25]
	v_add_f64 v[10:11], v[12:13], v[10:11]
	v_add_f64 v[12:13], v[30:31], v[36:37]
	v_fma_f64 v[4:5], v[4:5], v[18:19], v[32:33]
	v_fma_f64 v[1:2], v[2:3], v[18:19], -v[20:21]
	v_fma_f64 v[8:9], v[8:9], v[22:23], v[16:17]
	v_fma_f64 v[6:7], v[6:7], v[22:23], -v[24:25]
	v_add_f64 v[10:11], v[10:11], v[14:15]
	v_add_f64 v[12:13], v[12:13], v[28:29]
	s_delay_alu instid0(VALU_DEP_2) | instskip(NEXT) | instid1(VALU_DEP_2)
	v_add_f64 v[1:2], v[10:11], v[1:2]
	v_add_f64 v[3:4], v[12:13], v[4:5]
	s_delay_alu instid0(VALU_DEP_2) | instskip(NEXT) | instid1(VALU_DEP_2)
	;; [unrolled: 3-line block ×3, first 2 shown]
	v_add_f64 v[1:2], v[179:180], -v[1:2]
	v_add_f64 v[3:4], v[181:182], -v[3:4]
	scratch_store_b128 off, v[1:4], off offset:272
	v_cmpx_lt_u32_e32 16, v134
	s_cbranch_execz .LBB107_245
; %bb.244:
	scratch_load_b128 v[1:4], v164, off
	v_mov_b32_e32 v5, 0
	s_delay_alu instid0(VALU_DEP_1)
	v_mov_b32_e32 v6, v5
	v_mov_b32_e32 v7, v5
	;; [unrolled: 1-line block ×3, first 2 shown]
	scratch_store_b128 off, v[5:8], off offset:256
	s_waitcnt vmcnt(0)
	ds_store_b128 v178, v[1:4]
.LBB107_245:
	s_or_b32 exec_lo, exec_lo, s2
	s_waitcnt lgkmcnt(0)
	s_waitcnt_vscnt null, 0x0
	s_barrier
	buffer_gl0_inv
	s_clause 0x7
	scratch_load_b128 v[2:5], off, off offset:272
	scratch_load_b128 v[6:9], off, off offset:288
	;; [unrolled: 1-line block ×8, first 2 shown]
	v_mov_b32_e32 v1, 0
	s_mov_b32 s2, exec_lo
	ds_load_b128 v[38:41], v1 offset:976
	s_clause 0x1
	scratch_load_b128 v[34:37], off, off offset:400
	scratch_load_b128 v[42:45], off, off offset:256
	ds_load_b128 v[179:182], v1 offset:992
	scratch_load_b128 v[183:186], off, off offset:416
	s_waitcnt vmcnt(10) lgkmcnt(1)
	v_mul_f64 v[187:188], v[40:41], v[4:5]
	v_mul_f64 v[4:5], v[38:39], v[4:5]
	s_delay_alu instid0(VALU_DEP_2) | instskip(NEXT) | instid1(VALU_DEP_2)
	v_fma_f64 v[193:194], v[38:39], v[2:3], -v[187:188]
	v_fma_f64 v[195:196], v[40:41], v[2:3], v[4:5]
	scratch_load_b128 v[38:41], off, off offset:432
	ds_load_b128 v[2:5], v1 offset:1008
	s_waitcnt vmcnt(10) lgkmcnt(1)
	v_mul_f64 v[191:192], v[179:180], v[8:9]
	v_mul_f64 v[8:9], v[181:182], v[8:9]
	ds_load_b128 v[187:190], v1 offset:1024
	s_waitcnt vmcnt(9) lgkmcnt(1)
	v_mul_f64 v[197:198], v[2:3], v[12:13]
	v_mul_f64 v[12:13], v[4:5], v[12:13]
	v_fma_f64 v[181:182], v[181:182], v[6:7], v[191:192]
	v_fma_f64 v[179:180], v[179:180], v[6:7], -v[8:9]
	v_add_f64 v[191:192], v[193:194], 0
	v_add_f64 v[193:194], v[195:196], 0
	scratch_load_b128 v[6:9], off, off offset:448
	v_fma_f64 v[197:198], v[4:5], v[10:11], v[197:198]
	v_fma_f64 v[199:200], v[2:3], v[10:11], -v[12:13]
	scratch_load_b128 v[10:13], off, off offset:464
	ds_load_b128 v[2:5], v1 offset:1040
	s_waitcnt vmcnt(10) lgkmcnt(1)
	v_mul_f64 v[195:196], v[187:188], v[16:17]
	v_mul_f64 v[16:17], v[189:190], v[16:17]
	v_add_f64 v[191:192], v[191:192], v[179:180]
	v_add_f64 v[193:194], v[193:194], v[181:182]
	s_waitcnt vmcnt(9) lgkmcnt(0)
	v_mul_f64 v[201:202], v[2:3], v[20:21]
	v_mul_f64 v[20:21], v[4:5], v[20:21]
	ds_load_b128 v[179:182], v1 offset:1056
	v_fma_f64 v[189:190], v[189:190], v[14:15], v[195:196]
	v_fma_f64 v[187:188], v[187:188], v[14:15], -v[16:17]
	scratch_load_b128 v[14:17], off, off offset:480
	v_add_f64 v[191:192], v[191:192], v[199:200]
	v_add_f64 v[193:194], v[193:194], v[197:198]
	v_fma_f64 v[197:198], v[4:5], v[18:19], v[201:202]
	v_fma_f64 v[199:200], v[2:3], v[18:19], -v[20:21]
	scratch_load_b128 v[18:21], off, off offset:496
	ds_load_b128 v[2:5], v1 offset:1072
	s_waitcnt vmcnt(10) lgkmcnt(1)
	v_mul_f64 v[195:196], v[179:180], v[24:25]
	v_mul_f64 v[24:25], v[181:182], v[24:25]
	s_waitcnt vmcnt(9) lgkmcnt(0)
	v_mul_f64 v[201:202], v[2:3], v[28:29]
	v_mul_f64 v[28:29], v[4:5], v[28:29]
	v_add_f64 v[191:192], v[191:192], v[187:188]
	v_add_f64 v[193:194], v[193:194], v[189:190]
	ds_load_b128 v[187:190], v1 offset:1088
	v_fma_f64 v[181:182], v[181:182], v[22:23], v[195:196]
	v_fma_f64 v[179:180], v[179:180], v[22:23], -v[24:25]
	scratch_load_b128 v[22:25], off, off offset:512
	v_add_f64 v[191:192], v[191:192], v[199:200]
	v_add_f64 v[193:194], v[193:194], v[197:198]
	v_fma_f64 v[197:198], v[4:5], v[26:27], v[201:202]
	v_fma_f64 v[199:200], v[2:3], v[26:27], -v[28:29]
	scratch_load_b128 v[26:29], off, off offset:528
	ds_load_b128 v[2:5], v1 offset:1104
	s_waitcnt vmcnt(10) lgkmcnt(1)
	v_mul_f64 v[195:196], v[187:188], v[32:33]
	v_mul_f64 v[32:33], v[189:190], v[32:33]
	s_waitcnt vmcnt(9) lgkmcnt(0)
	v_mul_f64 v[201:202], v[2:3], v[36:37]
	v_mul_f64 v[36:37], v[4:5], v[36:37]
	v_add_f64 v[191:192], v[191:192], v[179:180]
	v_add_f64 v[193:194], v[193:194], v[181:182]
	ds_load_b128 v[179:182], v1 offset:1120
	v_fma_f64 v[189:190], v[189:190], v[30:31], v[195:196]
	v_fma_f64 v[187:188], v[187:188], v[30:31], -v[32:33]
	scratch_load_b128 v[30:33], off, off offset:544
	v_add_f64 v[191:192], v[191:192], v[199:200]
	v_add_f64 v[193:194], v[193:194], v[197:198]
	v_fma_f64 v[199:200], v[4:5], v[34:35], v[201:202]
	v_fma_f64 v[201:202], v[2:3], v[34:35], -v[36:37]
	scratch_load_b128 v[34:37], off, off offset:560
	ds_load_b128 v[2:5], v1 offset:1136
	s_waitcnt vmcnt(9) lgkmcnt(1)
	v_mul_f64 v[195:196], v[179:180], v[185:186]
	v_mul_f64 v[197:198], v[181:182], v[185:186]
	v_add_f64 v[191:192], v[191:192], v[187:188]
	v_add_f64 v[189:190], v[193:194], v[189:190]
	ds_load_b128 v[185:188], v1 offset:1152
	v_fma_f64 v[195:196], v[181:182], v[183:184], v[195:196]
	v_fma_f64 v[183:184], v[179:180], v[183:184], -v[197:198]
	scratch_load_b128 v[179:182], off, off offset:576
	s_waitcnt vmcnt(9) lgkmcnt(1)
	v_mul_f64 v[193:194], v[2:3], v[40:41]
	v_mul_f64 v[40:41], v[4:5], v[40:41]
	v_add_f64 v[191:192], v[191:192], v[201:202]
	v_add_f64 v[189:190], v[189:190], v[199:200]
	s_delay_alu instid0(VALU_DEP_4) | instskip(NEXT) | instid1(VALU_DEP_4)
	v_fma_f64 v[193:194], v[4:5], v[38:39], v[193:194]
	v_fma_f64 v[199:200], v[2:3], v[38:39], -v[40:41]
	scratch_load_b128 v[38:41], off, off offset:592
	ds_load_b128 v[2:5], v1 offset:1168
	s_waitcnt vmcnt(9) lgkmcnt(1)
	v_mul_f64 v[197:198], v[185:186], v[8:9]
	v_mul_f64 v[8:9], v[187:188], v[8:9]
	s_waitcnt vmcnt(8) lgkmcnt(0)
	v_mul_f64 v[201:202], v[2:3], v[12:13]
	v_mul_f64 v[12:13], v[4:5], v[12:13]
	v_add_f64 v[183:184], v[191:192], v[183:184]
	v_add_f64 v[195:196], v[189:190], v[195:196]
	ds_load_b128 v[189:192], v1 offset:1184
	v_fma_f64 v[187:188], v[187:188], v[6:7], v[197:198]
	v_fma_f64 v[185:186], v[185:186], v[6:7], -v[8:9]
	scratch_load_b128 v[6:9], off, off offset:608
	v_fma_f64 v[197:198], v[4:5], v[10:11], v[201:202]
	v_add_f64 v[183:184], v[183:184], v[199:200]
	v_add_f64 v[193:194], v[195:196], v[193:194]
	v_fma_f64 v[199:200], v[2:3], v[10:11], -v[12:13]
	scratch_load_b128 v[10:13], off, off offset:624
	ds_load_b128 v[2:5], v1 offset:1200
	s_waitcnt vmcnt(9) lgkmcnt(1)
	v_mul_f64 v[195:196], v[189:190], v[16:17]
	v_mul_f64 v[16:17], v[191:192], v[16:17]
	v_add_f64 v[201:202], v[183:184], v[185:186]
	v_add_f64 v[187:188], v[193:194], v[187:188]
	s_waitcnt vmcnt(8) lgkmcnt(0)
	v_mul_f64 v[193:194], v[2:3], v[20:21]
	v_mul_f64 v[20:21], v[4:5], v[20:21]
	ds_load_b128 v[183:186], v1 offset:1216
	v_fma_f64 v[191:192], v[191:192], v[14:15], v[195:196]
	v_fma_f64 v[189:190], v[189:190], v[14:15], -v[16:17]
	scratch_load_b128 v[14:17], off, off offset:640
	v_add_f64 v[195:196], v[201:202], v[199:200]
	v_add_f64 v[187:188], v[187:188], v[197:198]
	v_fma_f64 v[193:194], v[4:5], v[18:19], v[193:194]
	v_fma_f64 v[199:200], v[2:3], v[18:19], -v[20:21]
	scratch_load_b128 v[18:21], off, off offset:656
	ds_load_b128 v[2:5], v1 offset:1232
	s_waitcnt vmcnt(9) lgkmcnt(1)
	v_mul_f64 v[197:198], v[183:184], v[24:25]
	v_mul_f64 v[24:25], v[185:186], v[24:25]
	s_waitcnt vmcnt(8) lgkmcnt(0)
	v_mul_f64 v[201:202], v[2:3], v[28:29]
	v_mul_f64 v[28:29], v[4:5], v[28:29]
	v_add_f64 v[195:196], v[195:196], v[189:190]
	v_add_f64 v[191:192], v[187:188], v[191:192]
	ds_load_b128 v[187:190], v1 offset:1248
	v_fma_f64 v[185:186], v[185:186], v[22:23], v[197:198]
	v_fma_f64 v[183:184], v[183:184], v[22:23], -v[24:25]
	scratch_load_b128 v[22:25], off, off offset:672
	v_fma_f64 v[197:198], v[4:5], v[26:27], v[201:202]
	v_add_f64 v[195:196], v[195:196], v[199:200]
	v_add_f64 v[191:192], v[191:192], v[193:194]
	v_fma_f64 v[199:200], v[2:3], v[26:27], -v[28:29]
	scratch_load_b128 v[26:29], off, off offset:688
	ds_load_b128 v[2:5], v1 offset:1264
	s_waitcnt vmcnt(9) lgkmcnt(1)
	v_mul_f64 v[193:194], v[187:188], v[32:33]
	v_mul_f64 v[32:33], v[189:190], v[32:33]
	s_waitcnt vmcnt(8) lgkmcnt(0)
	v_mul_f64 v[201:202], v[2:3], v[36:37]
	v_mul_f64 v[36:37], v[4:5], v[36:37]
	v_add_f64 v[195:196], v[195:196], v[183:184]
	v_add_f64 v[191:192], v[191:192], v[185:186]
	ds_load_b128 v[183:186], v1 offset:1280
	v_fma_f64 v[189:190], v[189:190], v[30:31], v[193:194]
	v_fma_f64 v[30:31], v[187:188], v[30:31], -v[32:33]
	v_fma_f64 v[193:194], v[4:5], v[34:35], v[201:202]
	v_fma_f64 v[34:35], v[2:3], v[34:35], -v[36:37]
	v_add_f64 v[32:33], v[195:196], v[199:200]
	v_add_f64 v[187:188], v[191:192], v[197:198]
	s_waitcnt vmcnt(7) lgkmcnt(0)
	v_mul_f64 v[191:192], v[183:184], v[181:182]
	v_mul_f64 v[181:182], v[185:186], v[181:182]
	s_delay_alu instid0(VALU_DEP_4) | instskip(NEXT) | instid1(VALU_DEP_4)
	v_add_f64 v[36:37], v[32:33], v[30:31]
	v_add_f64 v[187:188], v[187:188], v[189:190]
	ds_load_b128 v[2:5], v1 offset:1296
	ds_load_b128 v[30:33], v1 offset:1312
	v_fma_f64 v[185:186], v[185:186], v[179:180], v[191:192]
	v_fma_f64 v[179:180], v[183:184], v[179:180], -v[181:182]
	s_waitcnt vmcnt(6) lgkmcnt(1)
	v_mul_f64 v[189:190], v[2:3], v[40:41]
	v_mul_f64 v[40:41], v[4:5], v[40:41]
	s_waitcnt vmcnt(5) lgkmcnt(0)
	v_mul_f64 v[181:182], v[30:31], v[8:9]
	v_mul_f64 v[8:9], v[32:33], v[8:9]
	v_add_f64 v[34:35], v[36:37], v[34:35]
	v_add_f64 v[36:37], v[187:188], v[193:194]
	v_fma_f64 v[183:184], v[4:5], v[38:39], v[189:190]
	v_fma_f64 v[38:39], v[2:3], v[38:39], -v[40:41]
	v_fma_f64 v[32:33], v[32:33], v[6:7], v[181:182]
	v_fma_f64 v[6:7], v[30:31], v[6:7], -v[8:9]
	v_add_f64 v[40:41], v[34:35], v[179:180]
	v_add_f64 v[179:180], v[36:37], v[185:186]
	ds_load_b128 v[2:5], v1 offset:1328
	ds_load_b128 v[34:37], v1 offset:1344
	s_waitcnt vmcnt(4) lgkmcnt(1)
	v_mul_f64 v[185:186], v[2:3], v[12:13]
	v_mul_f64 v[12:13], v[4:5], v[12:13]
	v_add_f64 v[8:9], v[40:41], v[38:39]
	v_add_f64 v[30:31], v[179:180], v[183:184]
	s_waitcnt vmcnt(3) lgkmcnt(0)
	v_mul_f64 v[38:39], v[34:35], v[16:17]
	v_mul_f64 v[16:17], v[36:37], v[16:17]
	v_fma_f64 v[40:41], v[4:5], v[10:11], v[185:186]
	v_fma_f64 v[10:11], v[2:3], v[10:11], -v[12:13]
	v_add_f64 v[12:13], v[8:9], v[6:7]
	v_add_f64 v[30:31], v[30:31], v[32:33]
	ds_load_b128 v[2:5], v1 offset:1360
	ds_load_b128 v[6:9], v1 offset:1376
	v_fma_f64 v[36:37], v[36:37], v[14:15], v[38:39]
	v_fma_f64 v[14:15], v[34:35], v[14:15], -v[16:17]
	s_waitcnt vmcnt(2) lgkmcnt(1)
	v_mul_f64 v[32:33], v[2:3], v[20:21]
	v_mul_f64 v[20:21], v[4:5], v[20:21]
	s_waitcnt vmcnt(1) lgkmcnt(0)
	v_mul_f64 v[16:17], v[6:7], v[24:25]
	v_mul_f64 v[24:25], v[8:9], v[24:25]
	v_add_f64 v[10:11], v[12:13], v[10:11]
	v_add_f64 v[12:13], v[30:31], v[40:41]
	v_fma_f64 v[30:31], v[4:5], v[18:19], v[32:33]
	v_fma_f64 v[18:19], v[2:3], v[18:19], -v[20:21]
	ds_load_b128 v[2:5], v1 offset:1392
	v_fma_f64 v[8:9], v[8:9], v[22:23], v[16:17]
	v_fma_f64 v[6:7], v[6:7], v[22:23], -v[24:25]
	v_add_f64 v[10:11], v[10:11], v[14:15]
	v_add_f64 v[12:13], v[12:13], v[36:37]
	s_waitcnt vmcnt(0) lgkmcnt(0)
	v_mul_f64 v[14:15], v[2:3], v[28:29]
	v_mul_f64 v[20:21], v[4:5], v[28:29]
	s_delay_alu instid0(VALU_DEP_4) | instskip(NEXT) | instid1(VALU_DEP_4)
	v_add_f64 v[10:11], v[10:11], v[18:19]
	v_add_f64 v[12:13], v[12:13], v[30:31]
	s_delay_alu instid0(VALU_DEP_4) | instskip(NEXT) | instid1(VALU_DEP_4)
	v_fma_f64 v[4:5], v[4:5], v[26:27], v[14:15]
	v_fma_f64 v[2:3], v[2:3], v[26:27], -v[20:21]
	s_delay_alu instid0(VALU_DEP_4) | instskip(NEXT) | instid1(VALU_DEP_4)
	v_add_f64 v[6:7], v[10:11], v[6:7]
	v_add_f64 v[8:9], v[12:13], v[8:9]
	s_delay_alu instid0(VALU_DEP_2) | instskip(NEXT) | instid1(VALU_DEP_2)
	v_add_f64 v[2:3], v[6:7], v[2:3]
	v_add_f64 v[4:5], v[8:9], v[4:5]
	s_delay_alu instid0(VALU_DEP_2) | instskip(NEXT) | instid1(VALU_DEP_2)
	v_add_f64 v[2:3], v[42:43], -v[2:3]
	v_add_f64 v[4:5], v[44:45], -v[4:5]
	scratch_store_b128 off, v[2:5], off offset:256
	v_cmpx_lt_u32_e32 15, v134
	s_cbranch_execz .LBB107_247
; %bb.246:
	scratch_load_b128 v[5:8], v165, off
	v_mov_b32_e32 v2, v1
	v_mov_b32_e32 v3, v1
	;; [unrolled: 1-line block ×3, first 2 shown]
	scratch_store_b128 off, v[1:4], off offset:240
	s_waitcnt vmcnt(0)
	ds_store_b128 v178, v[5:8]
.LBB107_247:
	s_or_b32 exec_lo, exec_lo, s2
	s_waitcnt lgkmcnt(0)
	s_waitcnt_vscnt null, 0x0
	s_barrier
	buffer_gl0_inv
	s_clause 0x8
	scratch_load_b128 v[2:5], off, off offset:256
	scratch_load_b128 v[6:9], off, off offset:272
	;; [unrolled: 1-line block ×9, first 2 shown]
	ds_load_b128 v[42:45], v1 offset:960
	ds_load_b128 v[38:41], v1 offset:976
	s_clause 0x1
	scratch_load_b128 v[179:182], off, off offset:240
	scratch_load_b128 v[183:186], off, off offset:400
	s_mov_b32 s2, exec_lo
	s_waitcnt vmcnt(10) lgkmcnt(1)
	v_mul_f64 v[187:188], v[44:45], v[4:5]
	v_mul_f64 v[4:5], v[42:43], v[4:5]
	s_waitcnt vmcnt(9) lgkmcnt(0)
	v_mul_f64 v[191:192], v[38:39], v[8:9]
	v_mul_f64 v[8:9], v[40:41], v[8:9]
	s_delay_alu instid0(VALU_DEP_4) | instskip(NEXT) | instid1(VALU_DEP_4)
	v_fma_f64 v[193:194], v[42:43], v[2:3], -v[187:188]
	v_fma_f64 v[195:196], v[44:45], v[2:3], v[4:5]
	ds_load_b128 v[2:5], v1 offset:992
	ds_load_b128 v[187:190], v1 offset:1008
	scratch_load_b128 v[42:45], off, off offset:416
	v_fma_f64 v[40:41], v[40:41], v[6:7], v[191:192]
	v_fma_f64 v[38:39], v[38:39], v[6:7], -v[8:9]
	scratch_load_b128 v[6:9], off, off offset:432
	s_waitcnt vmcnt(10) lgkmcnt(1)
	v_mul_f64 v[197:198], v[2:3], v[12:13]
	v_mul_f64 v[12:13], v[4:5], v[12:13]
	v_add_f64 v[191:192], v[193:194], 0
	v_add_f64 v[193:194], v[195:196], 0
	s_waitcnt vmcnt(9) lgkmcnt(0)
	v_mul_f64 v[195:196], v[187:188], v[16:17]
	v_mul_f64 v[16:17], v[189:190], v[16:17]
	v_fma_f64 v[197:198], v[4:5], v[10:11], v[197:198]
	v_fma_f64 v[199:200], v[2:3], v[10:11], -v[12:13]
	ds_load_b128 v[2:5], v1 offset:1024
	scratch_load_b128 v[10:13], off, off offset:448
	v_add_f64 v[191:192], v[191:192], v[38:39]
	v_add_f64 v[193:194], v[193:194], v[40:41]
	ds_load_b128 v[38:41], v1 offset:1040
	v_fma_f64 v[189:190], v[189:190], v[14:15], v[195:196]
	v_fma_f64 v[187:188], v[187:188], v[14:15], -v[16:17]
	scratch_load_b128 v[14:17], off, off offset:464
	s_waitcnt vmcnt(10) lgkmcnt(1)
	v_mul_f64 v[201:202], v[2:3], v[20:21]
	v_mul_f64 v[20:21], v[4:5], v[20:21]
	s_waitcnt vmcnt(9) lgkmcnt(0)
	v_mul_f64 v[195:196], v[38:39], v[24:25]
	v_mul_f64 v[24:25], v[40:41], v[24:25]
	v_add_f64 v[191:192], v[191:192], v[199:200]
	v_add_f64 v[193:194], v[193:194], v[197:198]
	v_fma_f64 v[197:198], v[4:5], v[18:19], v[201:202]
	v_fma_f64 v[199:200], v[2:3], v[18:19], -v[20:21]
	ds_load_b128 v[2:5], v1 offset:1056
	scratch_load_b128 v[18:21], off, off offset:480
	v_fma_f64 v[40:41], v[40:41], v[22:23], v[195:196]
	v_fma_f64 v[38:39], v[38:39], v[22:23], -v[24:25]
	scratch_load_b128 v[22:25], off, off offset:496
	v_add_f64 v[191:192], v[191:192], v[187:188]
	v_add_f64 v[193:194], v[193:194], v[189:190]
	ds_load_b128 v[187:190], v1 offset:1072
	s_waitcnt vmcnt(10) lgkmcnt(1)
	v_mul_f64 v[201:202], v[2:3], v[28:29]
	v_mul_f64 v[28:29], v[4:5], v[28:29]
	s_waitcnt vmcnt(9) lgkmcnt(0)
	v_mul_f64 v[195:196], v[187:188], v[32:33]
	v_mul_f64 v[32:33], v[189:190], v[32:33]
	v_add_f64 v[191:192], v[191:192], v[199:200]
	v_add_f64 v[193:194], v[193:194], v[197:198]
	v_fma_f64 v[197:198], v[4:5], v[26:27], v[201:202]
	v_fma_f64 v[199:200], v[2:3], v[26:27], -v[28:29]
	ds_load_b128 v[2:5], v1 offset:1088
	scratch_load_b128 v[26:29], off, off offset:512
	v_fma_f64 v[189:190], v[189:190], v[30:31], v[195:196]
	v_fma_f64 v[187:188], v[187:188], v[30:31], -v[32:33]
	scratch_load_b128 v[30:33], off, off offset:528
	v_add_f64 v[191:192], v[191:192], v[38:39]
	v_add_f64 v[193:194], v[193:194], v[40:41]
	ds_load_b128 v[38:41], v1 offset:1104
	s_waitcnt vmcnt(10) lgkmcnt(1)
	v_mul_f64 v[201:202], v[2:3], v[36:37]
	v_mul_f64 v[36:37], v[4:5], v[36:37]
	s_waitcnt vmcnt(8) lgkmcnt(0)
	v_mul_f64 v[195:196], v[38:39], v[185:186]
	v_add_f64 v[191:192], v[191:192], v[199:200]
	v_add_f64 v[193:194], v[193:194], v[197:198]
	v_mul_f64 v[197:198], v[40:41], v[185:186]
	v_fma_f64 v[199:200], v[4:5], v[34:35], v[201:202]
	v_fma_f64 v[201:202], v[2:3], v[34:35], -v[36:37]
	ds_load_b128 v[2:5], v1 offset:1120
	scratch_load_b128 v[34:37], off, off offset:544
	v_fma_f64 v[195:196], v[40:41], v[183:184], v[195:196]
	v_add_f64 v[191:192], v[191:192], v[187:188]
	v_add_f64 v[189:190], v[193:194], v[189:190]
	ds_load_b128 v[185:188], v1 offset:1136
	v_fma_f64 v[183:184], v[38:39], v[183:184], -v[197:198]
	scratch_load_b128 v[38:41], off, off offset:560
	s_waitcnt vmcnt(9) lgkmcnt(1)
	v_mul_f64 v[193:194], v[2:3], v[44:45]
	v_mul_f64 v[44:45], v[4:5], v[44:45]
	s_waitcnt vmcnt(8) lgkmcnt(0)
	v_mul_f64 v[197:198], v[185:186], v[8:9]
	v_mul_f64 v[8:9], v[187:188], v[8:9]
	v_add_f64 v[191:192], v[191:192], v[201:202]
	v_add_f64 v[189:190], v[189:190], v[199:200]
	v_fma_f64 v[193:194], v[4:5], v[42:43], v[193:194]
	v_fma_f64 v[199:200], v[2:3], v[42:43], -v[44:45]
	ds_load_b128 v[2:5], v1 offset:1152
	scratch_load_b128 v[42:45], off, off offset:576
	v_fma_f64 v[187:188], v[187:188], v[6:7], v[197:198]
	v_fma_f64 v[185:186], v[185:186], v[6:7], -v[8:9]
	scratch_load_b128 v[6:9], off, off offset:592
	v_add_f64 v[183:184], v[191:192], v[183:184]
	v_add_f64 v[195:196], v[189:190], v[195:196]
	ds_load_b128 v[189:192], v1 offset:1168
	s_waitcnt vmcnt(9) lgkmcnt(1)
	v_mul_f64 v[201:202], v[2:3], v[12:13]
	v_mul_f64 v[12:13], v[4:5], v[12:13]
	v_add_f64 v[183:184], v[183:184], v[199:200]
	v_add_f64 v[193:194], v[195:196], v[193:194]
	s_waitcnt vmcnt(8) lgkmcnt(0)
	v_mul_f64 v[195:196], v[189:190], v[16:17]
	v_mul_f64 v[16:17], v[191:192], v[16:17]
	v_fma_f64 v[197:198], v[4:5], v[10:11], v[201:202]
	v_fma_f64 v[199:200], v[2:3], v[10:11], -v[12:13]
	ds_load_b128 v[2:5], v1 offset:1184
	scratch_load_b128 v[10:13], off, off offset:608
	v_add_f64 v[201:202], v[183:184], v[185:186]
	v_add_f64 v[187:188], v[193:194], v[187:188]
	ds_load_b128 v[183:186], v1 offset:1200
	s_waitcnt vmcnt(8) lgkmcnt(1)
	v_mul_f64 v[193:194], v[2:3], v[20:21]
	v_mul_f64 v[20:21], v[4:5], v[20:21]
	v_fma_f64 v[191:192], v[191:192], v[14:15], v[195:196]
	v_fma_f64 v[189:190], v[189:190], v[14:15], -v[16:17]
	scratch_load_b128 v[14:17], off, off offset:624
	v_add_f64 v[195:196], v[201:202], v[199:200]
	v_add_f64 v[187:188], v[187:188], v[197:198]
	s_waitcnt vmcnt(8) lgkmcnt(0)
	v_mul_f64 v[197:198], v[183:184], v[24:25]
	v_mul_f64 v[24:25], v[185:186], v[24:25]
	v_fma_f64 v[193:194], v[4:5], v[18:19], v[193:194]
	v_fma_f64 v[199:200], v[2:3], v[18:19], -v[20:21]
	ds_load_b128 v[2:5], v1 offset:1216
	scratch_load_b128 v[18:21], off, off offset:640
	v_add_f64 v[195:196], v[195:196], v[189:190]
	v_add_f64 v[191:192], v[187:188], v[191:192]
	ds_load_b128 v[187:190], v1 offset:1232
	s_waitcnt vmcnt(8) lgkmcnt(1)
	v_mul_f64 v[201:202], v[2:3], v[28:29]
	v_mul_f64 v[28:29], v[4:5], v[28:29]
	v_fma_f64 v[185:186], v[185:186], v[22:23], v[197:198]
	v_fma_f64 v[183:184], v[183:184], v[22:23], -v[24:25]
	scratch_load_b128 v[22:25], off, off offset:656
	;; [unrolled: 18-line block ×3, first 2 shown]
	v_add_f64 v[193:194], v[195:196], v[199:200]
	v_add_f64 v[191:192], v[191:192], v[197:198]
	s_waitcnt vmcnt(8) lgkmcnt(0)
	v_mul_f64 v[195:196], v[183:184], v[40:41]
	v_mul_f64 v[40:41], v[185:186], v[40:41]
	v_fma_f64 v[197:198], v[4:5], v[34:35], v[201:202]
	v_fma_f64 v[199:200], v[2:3], v[34:35], -v[36:37]
	ds_load_b128 v[2:5], v1 offset:1280
	ds_load_b128 v[34:37], v1 offset:1296
	v_add_f64 v[187:188], v[193:194], v[187:188]
	v_add_f64 v[189:190], v[191:192], v[189:190]
	s_waitcnt vmcnt(7) lgkmcnt(1)
	v_mul_f64 v[191:192], v[2:3], v[44:45]
	v_mul_f64 v[44:45], v[4:5], v[44:45]
	v_fma_f64 v[185:186], v[185:186], v[38:39], v[195:196]
	v_fma_f64 v[38:39], v[183:184], v[38:39], -v[40:41]
	v_add_f64 v[40:41], v[187:188], v[199:200]
	v_add_f64 v[183:184], v[189:190], v[197:198]
	s_waitcnt vmcnt(6) lgkmcnt(0)
	v_mul_f64 v[187:188], v[34:35], v[8:9]
	v_mul_f64 v[8:9], v[36:37], v[8:9]
	v_fma_f64 v[189:190], v[4:5], v[42:43], v[191:192]
	v_fma_f64 v[42:43], v[2:3], v[42:43], -v[44:45]
	v_add_f64 v[44:45], v[40:41], v[38:39]
	v_add_f64 v[183:184], v[183:184], v[185:186]
	ds_load_b128 v[2:5], v1 offset:1312
	ds_load_b128 v[38:41], v1 offset:1328
	v_fma_f64 v[36:37], v[36:37], v[6:7], v[187:188]
	v_fma_f64 v[6:7], v[34:35], v[6:7], -v[8:9]
	s_waitcnt vmcnt(5) lgkmcnt(1)
	v_mul_f64 v[185:186], v[2:3], v[12:13]
	v_mul_f64 v[12:13], v[4:5], v[12:13]
	v_add_f64 v[8:9], v[44:45], v[42:43]
	v_add_f64 v[34:35], v[183:184], v[189:190]
	s_waitcnt vmcnt(4) lgkmcnt(0)
	v_mul_f64 v[42:43], v[38:39], v[16:17]
	v_mul_f64 v[16:17], v[40:41], v[16:17]
	v_fma_f64 v[44:45], v[4:5], v[10:11], v[185:186]
	v_fma_f64 v[10:11], v[2:3], v[10:11], -v[12:13]
	v_add_f64 v[12:13], v[8:9], v[6:7]
	v_add_f64 v[34:35], v[34:35], v[36:37]
	ds_load_b128 v[2:5], v1 offset:1344
	ds_load_b128 v[6:9], v1 offset:1360
	v_fma_f64 v[40:41], v[40:41], v[14:15], v[42:43]
	v_fma_f64 v[14:15], v[38:39], v[14:15], -v[16:17]
	s_waitcnt vmcnt(3) lgkmcnt(1)
	v_mul_f64 v[36:37], v[2:3], v[20:21]
	v_mul_f64 v[20:21], v[4:5], v[20:21]
	s_waitcnt vmcnt(2) lgkmcnt(0)
	v_mul_f64 v[16:17], v[6:7], v[24:25]
	v_mul_f64 v[24:25], v[8:9], v[24:25]
	v_add_f64 v[10:11], v[12:13], v[10:11]
	v_add_f64 v[12:13], v[34:35], v[44:45]
	v_fma_f64 v[34:35], v[4:5], v[18:19], v[36:37]
	v_fma_f64 v[18:19], v[2:3], v[18:19], -v[20:21]
	v_fma_f64 v[8:9], v[8:9], v[22:23], v[16:17]
	v_fma_f64 v[6:7], v[6:7], v[22:23], -v[24:25]
	v_add_f64 v[14:15], v[10:11], v[14:15]
	v_add_f64 v[20:21], v[12:13], v[40:41]
	ds_load_b128 v[2:5], v1 offset:1376
	ds_load_b128 v[10:13], v1 offset:1392
	s_waitcnt vmcnt(1) lgkmcnt(1)
	v_mul_f64 v[36:37], v[2:3], v[28:29]
	v_mul_f64 v[28:29], v[4:5], v[28:29]
	v_add_f64 v[14:15], v[14:15], v[18:19]
	v_add_f64 v[16:17], v[20:21], v[34:35]
	s_waitcnt vmcnt(0) lgkmcnt(0)
	v_mul_f64 v[18:19], v[10:11], v[32:33]
	v_mul_f64 v[20:21], v[12:13], v[32:33]
	v_fma_f64 v[4:5], v[4:5], v[26:27], v[36:37]
	v_fma_f64 v[1:2], v[2:3], v[26:27], -v[28:29]
	v_add_f64 v[6:7], v[14:15], v[6:7]
	v_add_f64 v[8:9], v[16:17], v[8:9]
	v_fma_f64 v[12:13], v[12:13], v[30:31], v[18:19]
	v_fma_f64 v[10:11], v[10:11], v[30:31], -v[20:21]
	s_delay_alu instid0(VALU_DEP_4) | instskip(NEXT) | instid1(VALU_DEP_4)
	v_add_f64 v[1:2], v[6:7], v[1:2]
	v_add_f64 v[3:4], v[8:9], v[4:5]
	s_delay_alu instid0(VALU_DEP_2) | instskip(NEXT) | instid1(VALU_DEP_2)
	v_add_f64 v[1:2], v[1:2], v[10:11]
	v_add_f64 v[3:4], v[3:4], v[12:13]
	s_delay_alu instid0(VALU_DEP_2) | instskip(NEXT) | instid1(VALU_DEP_2)
	v_add_f64 v[1:2], v[179:180], -v[1:2]
	v_add_f64 v[3:4], v[181:182], -v[3:4]
	scratch_store_b128 off, v[1:4], off offset:240
	v_cmpx_lt_u32_e32 14, v134
	s_cbranch_execz .LBB107_249
; %bb.248:
	scratch_load_b128 v[1:4], v166, off
	v_mov_b32_e32 v5, 0
	s_delay_alu instid0(VALU_DEP_1)
	v_mov_b32_e32 v6, v5
	v_mov_b32_e32 v7, v5
	;; [unrolled: 1-line block ×3, first 2 shown]
	scratch_store_b128 off, v[5:8], off offset:224
	s_waitcnt vmcnt(0)
	ds_store_b128 v178, v[1:4]
.LBB107_249:
	s_or_b32 exec_lo, exec_lo, s2
	s_waitcnt lgkmcnt(0)
	s_waitcnt_vscnt null, 0x0
	s_barrier
	buffer_gl0_inv
	s_clause 0x7
	scratch_load_b128 v[2:5], off, off offset:240
	scratch_load_b128 v[6:9], off, off offset:256
	;; [unrolled: 1-line block ×8, first 2 shown]
	v_mov_b32_e32 v1, 0
	s_mov_b32 s2, exec_lo
	ds_load_b128 v[38:41], v1 offset:944
	s_clause 0x1
	scratch_load_b128 v[34:37], off, off offset:368
	scratch_load_b128 v[42:45], off, off offset:224
	ds_load_b128 v[179:182], v1 offset:960
	scratch_load_b128 v[183:186], off, off offset:384
	s_waitcnt vmcnt(10) lgkmcnt(1)
	v_mul_f64 v[187:188], v[40:41], v[4:5]
	v_mul_f64 v[4:5], v[38:39], v[4:5]
	s_delay_alu instid0(VALU_DEP_2) | instskip(NEXT) | instid1(VALU_DEP_2)
	v_fma_f64 v[193:194], v[38:39], v[2:3], -v[187:188]
	v_fma_f64 v[195:196], v[40:41], v[2:3], v[4:5]
	scratch_load_b128 v[38:41], off, off offset:400
	ds_load_b128 v[2:5], v1 offset:976
	s_waitcnt vmcnt(10) lgkmcnt(1)
	v_mul_f64 v[191:192], v[179:180], v[8:9]
	v_mul_f64 v[8:9], v[181:182], v[8:9]
	ds_load_b128 v[187:190], v1 offset:992
	s_waitcnt vmcnt(9) lgkmcnt(1)
	v_mul_f64 v[197:198], v[2:3], v[12:13]
	v_mul_f64 v[12:13], v[4:5], v[12:13]
	v_fma_f64 v[181:182], v[181:182], v[6:7], v[191:192]
	v_fma_f64 v[179:180], v[179:180], v[6:7], -v[8:9]
	v_add_f64 v[191:192], v[193:194], 0
	v_add_f64 v[193:194], v[195:196], 0
	scratch_load_b128 v[6:9], off, off offset:416
	v_fma_f64 v[197:198], v[4:5], v[10:11], v[197:198]
	v_fma_f64 v[199:200], v[2:3], v[10:11], -v[12:13]
	scratch_load_b128 v[10:13], off, off offset:432
	ds_load_b128 v[2:5], v1 offset:1008
	s_waitcnt vmcnt(10) lgkmcnt(1)
	v_mul_f64 v[195:196], v[187:188], v[16:17]
	v_mul_f64 v[16:17], v[189:190], v[16:17]
	v_add_f64 v[191:192], v[191:192], v[179:180]
	v_add_f64 v[193:194], v[193:194], v[181:182]
	s_waitcnt vmcnt(9) lgkmcnt(0)
	v_mul_f64 v[201:202], v[2:3], v[20:21]
	v_mul_f64 v[20:21], v[4:5], v[20:21]
	ds_load_b128 v[179:182], v1 offset:1024
	v_fma_f64 v[189:190], v[189:190], v[14:15], v[195:196]
	v_fma_f64 v[187:188], v[187:188], v[14:15], -v[16:17]
	scratch_load_b128 v[14:17], off, off offset:448
	v_add_f64 v[191:192], v[191:192], v[199:200]
	v_add_f64 v[193:194], v[193:194], v[197:198]
	v_fma_f64 v[197:198], v[4:5], v[18:19], v[201:202]
	v_fma_f64 v[199:200], v[2:3], v[18:19], -v[20:21]
	scratch_load_b128 v[18:21], off, off offset:464
	ds_load_b128 v[2:5], v1 offset:1040
	s_waitcnt vmcnt(10) lgkmcnt(1)
	v_mul_f64 v[195:196], v[179:180], v[24:25]
	v_mul_f64 v[24:25], v[181:182], v[24:25]
	s_waitcnt vmcnt(9) lgkmcnt(0)
	v_mul_f64 v[201:202], v[2:3], v[28:29]
	v_mul_f64 v[28:29], v[4:5], v[28:29]
	v_add_f64 v[191:192], v[191:192], v[187:188]
	v_add_f64 v[193:194], v[193:194], v[189:190]
	ds_load_b128 v[187:190], v1 offset:1056
	v_fma_f64 v[181:182], v[181:182], v[22:23], v[195:196]
	v_fma_f64 v[179:180], v[179:180], v[22:23], -v[24:25]
	scratch_load_b128 v[22:25], off, off offset:480
	v_add_f64 v[191:192], v[191:192], v[199:200]
	v_add_f64 v[193:194], v[193:194], v[197:198]
	v_fma_f64 v[197:198], v[4:5], v[26:27], v[201:202]
	v_fma_f64 v[199:200], v[2:3], v[26:27], -v[28:29]
	scratch_load_b128 v[26:29], off, off offset:496
	ds_load_b128 v[2:5], v1 offset:1072
	s_waitcnt vmcnt(10) lgkmcnt(1)
	v_mul_f64 v[195:196], v[187:188], v[32:33]
	v_mul_f64 v[32:33], v[189:190], v[32:33]
	s_waitcnt vmcnt(9) lgkmcnt(0)
	v_mul_f64 v[201:202], v[2:3], v[36:37]
	v_mul_f64 v[36:37], v[4:5], v[36:37]
	v_add_f64 v[191:192], v[191:192], v[179:180]
	v_add_f64 v[193:194], v[193:194], v[181:182]
	ds_load_b128 v[179:182], v1 offset:1088
	v_fma_f64 v[189:190], v[189:190], v[30:31], v[195:196]
	v_fma_f64 v[187:188], v[187:188], v[30:31], -v[32:33]
	scratch_load_b128 v[30:33], off, off offset:512
	v_add_f64 v[191:192], v[191:192], v[199:200]
	v_add_f64 v[193:194], v[193:194], v[197:198]
	v_fma_f64 v[199:200], v[4:5], v[34:35], v[201:202]
	v_fma_f64 v[201:202], v[2:3], v[34:35], -v[36:37]
	scratch_load_b128 v[34:37], off, off offset:528
	ds_load_b128 v[2:5], v1 offset:1104
	s_waitcnt vmcnt(9) lgkmcnt(1)
	v_mul_f64 v[195:196], v[179:180], v[185:186]
	v_mul_f64 v[197:198], v[181:182], v[185:186]
	v_add_f64 v[191:192], v[191:192], v[187:188]
	v_add_f64 v[189:190], v[193:194], v[189:190]
	ds_load_b128 v[185:188], v1 offset:1120
	v_fma_f64 v[195:196], v[181:182], v[183:184], v[195:196]
	v_fma_f64 v[183:184], v[179:180], v[183:184], -v[197:198]
	scratch_load_b128 v[179:182], off, off offset:544
	s_waitcnt vmcnt(9) lgkmcnt(1)
	v_mul_f64 v[193:194], v[2:3], v[40:41]
	v_mul_f64 v[40:41], v[4:5], v[40:41]
	v_add_f64 v[191:192], v[191:192], v[201:202]
	v_add_f64 v[189:190], v[189:190], v[199:200]
	s_delay_alu instid0(VALU_DEP_4) | instskip(NEXT) | instid1(VALU_DEP_4)
	v_fma_f64 v[193:194], v[4:5], v[38:39], v[193:194]
	v_fma_f64 v[199:200], v[2:3], v[38:39], -v[40:41]
	scratch_load_b128 v[38:41], off, off offset:560
	ds_load_b128 v[2:5], v1 offset:1136
	s_waitcnt vmcnt(9) lgkmcnt(1)
	v_mul_f64 v[197:198], v[185:186], v[8:9]
	v_mul_f64 v[8:9], v[187:188], v[8:9]
	s_waitcnt vmcnt(8) lgkmcnt(0)
	v_mul_f64 v[201:202], v[2:3], v[12:13]
	v_mul_f64 v[12:13], v[4:5], v[12:13]
	v_add_f64 v[183:184], v[191:192], v[183:184]
	v_add_f64 v[195:196], v[189:190], v[195:196]
	ds_load_b128 v[189:192], v1 offset:1152
	v_fma_f64 v[187:188], v[187:188], v[6:7], v[197:198]
	v_fma_f64 v[185:186], v[185:186], v[6:7], -v[8:9]
	scratch_load_b128 v[6:9], off, off offset:576
	v_fma_f64 v[197:198], v[4:5], v[10:11], v[201:202]
	v_add_f64 v[183:184], v[183:184], v[199:200]
	v_add_f64 v[193:194], v[195:196], v[193:194]
	v_fma_f64 v[199:200], v[2:3], v[10:11], -v[12:13]
	scratch_load_b128 v[10:13], off, off offset:592
	ds_load_b128 v[2:5], v1 offset:1168
	s_waitcnt vmcnt(9) lgkmcnt(1)
	v_mul_f64 v[195:196], v[189:190], v[16:17]
	v_mul_f64 v[16:17], v[191:192], v[16:17]
	v_add_f64 v[201:202], v[183:184], v[185:186]
	v_add_f64 v[187:188], v[193:194], v[187:188]
	s_waitcnt vmcnt(8) lgkmcnt(0)
	v_mul_f64 v[193:194], v[2:3], v[20:21]
	v_mul_f64 v[20:21], v[4:5], v[20:21]
	ds_load_b128 v[183:186], v1 offset:1184
	v_fma_f64 v[191:192], v[191:192], v[14:15], v[195:196]
	v_fma_f64 v[189:190], v[189:190], v[14:15], -v[16:17]
	scratch_load_b128 v[14:17], off, off offset:608
	v_add_f64 v[195:196], v[201:202], v[199:200]
	v_add_f64 v[187:188], v[187:188], v[197:198]
	v_fma_f64 v[193:194], v[4:5], v[18:19], v[193:194]
	v_fma_f64 v[199:200], v[2:3], v[18:19], -v[20:21]
	scratch_load_b128 v[18:21], off, off offset:624
	ds_load_b128 v[2:5], v1 offset:1200
	s_waitcnt vmcnt(9) lgkmcnt(1)
	v_mul_f64 v[197:198], v[183:184], v[24:25]
	v_mul_f64 v[24:25], v[185:186], v[24:25]
	s_waitcnt vmcnt(8) lgkmcnt(0)
	v_mul_f64 v[201:202], v[2:3], v[28:29]
	v_mul_f64 v[28:29], v[4:5], v[28:29]
	v_add_f64 v[195:196], v[195:196], v[189:190]
	v_add_f64 v[191:192], v[187:188], v[191:192]
	ds_load_b128 v[187:190], v1 offset:1216
	v_fma_f64 v[185:186], v[185:186], v[22:23], v[197:198]
	v_fma_f64 v[183:184], v[183:184], v[22:23], -v[24:25]
	scratch_load_b128 v[22:25], off, off offset:640
	v_fma_f64 v[197:198], v[4:5], v[26:27], v[201:202]
	v_add_f64 v[195:196], v[195:196], v[199:200]
	v_add_f64 v[191:192], v[191:192], v[193:194]
	v_fma_f64 v[199:200], v[2:3], v[26:27], -v[28:29]
	scratch_load_b128 v[26:29], off, off offset:656
	ds_load_b128 v[2:5], v1 offset:1232
	s_waitcnt vmcnt(9) lgkmcnt(1)
	v_mul_f64 v[193:194], v[187:188], v[32:33]
	v_mul_f64 v[32:33], v[189:190], v[32:33]
	s_waitcnt vmcnt(8) lgkmcnt(0)
	v_mul_f64 v[201:202], v[2:3], v[36:37]
	v_mul_f64 v[36:37], v[4:5], v[36:37]
	v_add_f64 v[195:196], v[195:196], v[183:184]
	v_add_f64 v[191:192], v[191:192], v[185:186]
	ds_load_b128 v[183:186], v1 offset:1248
	v_fma_f64 v[189:190], v[189:190], v[30:31], v[193:194]
	v_fma_f64 v[187:188], v[187:188], v[30:31], -v[32:33]
	scratch_load_b128 v[30:33], off, off offset:672
	v_add_f64 v[193:194], v[195:196], v[199:200]
	v_add_f64 v[191:192], v[191:192], v[197:198]
	v_fma_f64 v[197:198], v[4:5], v[34:35], v[201:202]
	v_fma_f64 v[199:200], v[2:3], v[34:35], -v[36:37]
	scratch_load_b128 v[34:37], off, off offset:688
	ds_load_b128 v[2:5], v1 offset:1264
	s_waitcnt vmcnt(9) lgkmcnt(1)
	v_mul_f64 v[195:196], v[183:184], v[181:182]
	v_mul_f64 v[181:182], v[185:186], v[181:182]
	s_waitcnt vmcnt(8) lgkmcnt(0)
	v_mul_f64 v[201:202], v[2:3], v[40:41]
	v_mul_f64 v[40:41], v[4:5], v[40:41]
	v_add_f64 v[193:194], v[193:194], v[187:188]
	v_add_f64 v[191:192], v[191:192], v[189:190]
	ds_load_b128 v[187:190], v1 offset:1280
	v_fma_f64 v[185:186], v[185:186], v[179:180], v[195:196]
	v_fma_f64 v[179:180], v[183:184], v[179:180], -v[181:182]
	v_fma_f64 v[195:196], v[2:3], v[38:39], -v[40:41]
	v_add_f64 v[181:182], v[193:194], v[199:200]
	v_add_f64 v[183:184], v[191:192], v[197:198]
	s_waitcnt vmcnt(7) lgkmcnt(0)
	v_mul_f64 v[191:192], v[187:188], v[8:9]
	v_mul_f64 v[8:9], v[189:190], v[8:9]
	v_fma_f64 v[193:194], v[4:5], v[38:39], v[201:202]
	ds_load_b128 v[2:5], v1 offset:1296
	ds_load_b128 v[38:41], v1 offset:1312
	v_add_f64 v[179:180], v[181:182], v[179:180]
	v_add_f64 v[181:182], v[183:184], v[185:186]
	s_waitcnt vmcnt(6) lgkmcnt(1)
	v_mul_f64 v[183:184], v[2:3], v[12:13]
	v_mul_f64 v[12:13], v[4:5], v[12:13]
	v_fma_f64 v[185:186], v[189:190], v[6:7], v[191:192]
	v_fma_f64 v[6:7], v[187:188], v[6:7], -v[8:9]
	v_add_f64 v[8:9], v[179:180], v[195:196]
	v_add_f64 v[179:180], v[181:182], v[193:194]
	s_waitcnt vmcnt(5) lgkmcnt(0)
	v_mul_f64 v[181:182], v[38:39], v[16:17]
	v_mul_f64 v[16:17], v[40:41], v[16:17]
	v_fma_f64 v[183:184], v[4:5], v[10:11], v[183:184]
	v_fma_f64 v[10:11], v[2:3], v[10:11], -v[12:13]
	v_add_f64 v[12:13], v[8:9], v[6:7]
	v_add_f64 v[179:180], v[179:180], v[185:186]
	ds_load_b128 v[2:5], v1 offset:1328
	ds_load_b128 v[6:9], v1 offset:1344
	v_fma_f64 v[40:41], v[40:41], v[14:15], v[181:182]
	v_fma_f64 v[14:15], v[38:39], v[14:15], -v[16:17]
	s_waitcnt vmcnt(4) lgkmcnt(1)
	v_mul_f64 v[185:186], v[2:3], v[20:21]
	v_mul_f64 v[20:21], v[4:5], v[20:21]
	s_waitcnt vmcnt(3) lgkmcnt(0)
	v_mul_f64 v[16:17], v[6:7], v[24:25]
	v_mul_f64 v[24:25], v[8:9], v[24:25]
	v_add_f64 v[10:11], v[12:13], v[10:11]
	v_add_f64 v[12:13], v[179:180], v[183:184]
	v_fma_f64 v[38:39], v[4:5], v[18:19], v[185:186]
	v_fma_f64 v[18:19], v[2:3], v[18:19], -v[20:21]
	v_fma_f64 v[8:9], v[8:9], v[22:23], v[16:17]
	v_fma_f64 v[6:7], v[6:7], v[22:23], -v[24:25]
	v_add_f64 v[14:15], v[10:11], v[14:15]
	v_add_f64 v[20:21], v[12:13], v[40:41]
	ds_load_b128 v[2:5], v1 offset:1360
	ds_load_b128 v[10:13], v1 offset:1376
	s_waitcnt vmcnt(2) lgkmcnt(1)
	v_mul_f64 v[40:41], v[2:3], v[28:29]
	v_mul_f64 v[28:29], v[4:5], v[28:29]
	v_add_f64 v[14:15], v[14:15], v[18:19]
	v_add_f64 v[16:17], v[20:21], v[38:39]
	s_waitcnt vmcnt(1) lgkmcnt(0)
	v_mul_f64 v[18:19], v[10:11], v[32:33]
	v_mul_f64 v[20:21], v[12:13], v[32:33]
	v_fma_f64 v[22:23], v[4:5], v[26:27], v[40:41]
	v_fma_f64 v[24:25], v[2:3], v[26:27], -v[28:29]
	ds_load_b128 v[2:5], v1 offset:1392
	v_add_f64 v[6:7], v[14:15], v[6:7]
	v_add_f64 v[8:9], v[16:17], v[8:9]
	v_fma_f64 v[12:13], v[12:13], v[30:31], v[18:19]
	v_fma_f64 v[10:11], v[10:11], v[30:31], -v[20:21]
	s_waitcnt vmcnt(0) lgkmcnt(0)
	v_mul_f64 v[14:15], v[2:3], v[36:37]
	v_mul_f64 v[16:17], v[4:5], v[36:37]
	v_add_f64 v[6:7], v[6:7], v[24:25]
	v_add_f64 v[8:9], v[8:9], v[22:23]
	s_delay_alu instid0(VALU_DEP_4) | instskip(NEXT) | instid1(VALU_DEP_4)
	v_fma_f64 v[4:5], v[4:5], v[34:35], v[14:15]
	v_fma_f64 v[2:3], v[2:3], v[34:35], -v[16:17]
	s_delay_alu instid0(VALU_DEP_4) | instskip(NEXT) | instid1(VALU_DEP_4)
	v_add_f64 v[6:7], v[6:7], v[10:11]
	v_add_f64 v[8:9], v[8:9], v[12:13]
	s_delay_alu instid0(VALU_DEP_2) | instskip(NEXT) | instid1(VALU_DEP_2)
	v_add_f64 v[2:3], v[6:7], v[2:3]
	v_add_f64 v[4:5], v[8:9], v[4:5]
	s_delay_alu instid0(VALU_DEP_2) | instskip(NEXT) | instid1(VALU_DEP_2)
	v_add_f64 v[2:3], v[42:43], -v[2:3]
	v_add_f64 v[4:5], v[44:45], -v[4:5]
	scratch_store_b128 off, v[2:5], off offset:224
	v_cmpx_lt_u32_e32 13, v134
	s_cbranch_execz .LBB107_251
; %bb.250:
	scratch_load_b128 v[5:8], v167, off
	v_mov_b32_e32 v2, v1
	v_mov_b32_e32 v3, v1
	;; [unrolled: 1-line block ×3, first 2 shown]
	scratch_store_b128 off, v[1:4], off offset:208
	s_waitcnt vmcnt(0)
	ds_store_b128 v178, v[5:8]
.LBB107_251:
	s_or_b32 exec_lo, exec_lo, s2
	s_waitcnt lgkmcnt(0)
	s_waitcnt_vscnt null, 0x0
	s_barrier
	buffer_gl0_inv
	s_clause 0x8
	scratch_load_b128 v[2:5], off, off offset:224
	scratch_load_b128 v[6:9], off, off offset:240
	;; [unrolled: 1-line block ×9, first 2 shown]
	ds_load_b128 v[42:45], v1 offset:928
	ds_load_b128 v[38:41], v1 offset:944
	s_clause 0x1
	scratch_load_b128 v[179:182], off, off offset:208
	scratch_load_b128 v[183:186], off, off offset:368
	s_mov_b32 s2, exec_lo
	s_waitcnt vmcnt(10) lgkmcnt(1)
	v_mul_f64 v[187:188], v[44:45], v[4:5]
	v_mul_f64 v[4:5], v[42:43], v[4:5]
	s_waitcnt vmcnt(9) lgkmcnt(0)
	v_mul_f64 v[191:192], v[38:39], v[8:9]
	v_mul_f64 v[8:9], v[40:41], v[8:9]
	s_delay_alu instid0(VALU_DEP_4) | instskip(NEXT) | instid1(VALU_DEP_4)
	v_fma_f64 v[193:194], v[42:43], v[2:3], -v[187:188]
	v_fma_f64 v[195:196], v[44:45], v[2:3], v[4:5]
	ds_load_b128 v[2:5], v1 offset:960
	ds_load_b128 v[187:190], v1 offset:976
	scratch_load_b128 v[42:45], off, off offset:384
	v_fma_f64 v[40:41], v[40:41], v[6:7], v[191:192]
	v_fma_f64 v[38:39], v[38:39], v[6:7], -v[8:9]
	scratch_load_b128 v[6:9], off, off offset:400
	s_waitcnt vmcnt(10) lgkmcnt(1)
	v_mul_f64 v[197:198], v[2:3], v[12:13]
	v_mul_f64 v[12:13], v[4:5], v[12:13]
	v_add_f64 v[191:192], v[193:194], 0
	v_add_f64 v[193:194], v[195:196], 0
	s_waitcnt vmcnt(9) lgkmcnt(0)
	v_mul_f64 v[195:196], v[187:188], v[16:17]
	v_mul_f64 v[16:17], v[189:190], v[16:17]
	v_fma_f64 v[197:198], v[4:5], v[10:11], v[197:198]
	v_fma_f64 v[199:200], v[2:3], v[10:11], -v[12:13]
	ds_load_b128 v[2:5], v1 offset:992
	scratch_load_b128 v[10:13], off, off offset:416
	v_add_f64 v[191:192], v[191:192], v[38:39]
	v_add_f64 v[193:194], v[193:194], v[40:41]
	ds_load_b128 v[38:41], v1 offset:1008
	v_fma_f64 v[189:190], v[189:190], v[14:15], v[195:196]
	v_fma_f64 v[187:188], v[187:188], v[14:15], -v[16:17]
	scratch_load_b128 v[14:17], off, off offset:432
	s_waitcnt vmcnt(10) lgkmcnt(1)
	v_mul_f64 v[201:202], v[2:3], v[20:21]
	v_mul_f64 v[20:21], v[4:5], v[20:21]
	s_waitcnt vmcnt(9) lgkmcnt(0)
	v_mul_f64 v[195:196], v[38:39], v[24:25]
	v_mul_f64 v[24:25], v[40:41], v[24:25]
	v_add_f64 v[191:192], v[191:192], v[199:200]
	v_add_f64 v[193:194], v[193:194], v[197:198]
	v_fma_f64 v[197:198], v[4:5], v[18:19], v[201:202]
	v_fma_f64 v[199:200], v[2:3], v[18:19], -v[20:21]
	ds_load_b128 v[2:5], v1 offset:1024
	scratch_load_b128 v[18:21], off, off offset:448
	v_fma_f64 v[40:41], v[40:41], v[22:23], v[195:196]
	v_fma_f64 v[38:39], v[38:39], v[22:23], -v[24:25]
	scratch_load_b128 v[22:25], off, off offset:464
	v_add_f64 v[191:192], v[191:192], v[187:188]
	v_add_f64 v[193:194], v[193:194], v[189:190]
	ds_load_b128 v[187:190], v1 offset:1040
	s_waitcnt vmcnt(10) lgkmcnt(1)
	v_mul_f64 v[201:202], v[2:3], v[28:29]
	v_mul_f64 v[28:29], v[4:5], v[28:29]
	s_waitcnt vmcnt(9) lgkmcnt(0)
	v_mul_f64 v[195:196], v[187:188], v[32:33]
	v_mul_f64 v[32:33], v[189:190], v[32:33]
	v_add_f64 v[191:192], v[191:192], v[199:200]
	v_add_f64 v[193:194], v[193:194], v[197:198]
	v_fma_f64 v[197:198], v[4:5], v[26:27], v[201:202]
	v_fma_f64 v[199:200], v[2:3], v[26:27], -v[28:29]
	ds_load_b128 v[2:5], v1 offset:1056
	scratch_load_b128 v[26:29], off, off offset:480
	v_fma_f64 v[189:190], v[189:190], v[30:31], v[195:196]
	v_fma_f64 v[187:188], v[187:188], v[30:31], -v[32:33]
	scratch_load_b128 v[30:33], off, off offset:496
	v_add_f64 v[191:192], v[191:192], v[38:39]
	v_add_f64 v[193:194], v[193:194], v[40:41]
	ds_load_b128 v[38:41], v1 offset:1072
	s_waitcnt vmcnt(10) lgkmcnt(1)
	v_mul_f64 v[201:202], v[2:3], v[36:37]
	v_mul_f64 v[36:37], v[4:5], v[36:37]
	s_waitcnt vmcnt(8) lgkmcnt(0)
	v_mul_f64 v[195:196], v[38:39], v[185:186]
	v_add_f64 v[191:192], v[191:192], v[199:200]
	v_add_f64 v[193:194], v[193:194], v[197:198]
	v_mul_f64 v[197:198], v[40:41], v[185:186]
	v_fma_f64 v[199:200], v[4:5], v[34:35], v[201:202]
	v_fma_f64 v[201:202], v[2:3], v[34:35], -v[36:37]
	ds_load_b128 v[2:5], v1 offset:1088
	scratch_load_b128 v[34:37], off, off offset:512
	v_fma_f64 v[195:196], v[40:41], v[183:184], v[195:196]
	v_add_f64 v[191:192], v[191:192], v[187:188]
	v_add_f64 v[189:190], v[193:194], v[189:190]
	ds_load_b128 v[185:188], v1 offset:1104
	v_fma_f64 v[183:184], v[38:39], v[183:184], -v[197:198]
	scratch_load_b128 v[38:41], off, off offset:528
	s_waitcnt vmcnt(9) lgkmcnt(1)
	v_mul_f64 v[193:194], v[2:3], v[44:45]
	v_mul_f64 v[44:45], v[4:5], v[44:45]
	s_waitcnt vmcnt(8) lgkmcnt(0)
	v_mul_f64 v[197:198], v[185:186], v[8:9]
	v_mul_f64 v[8:9], v[187:188], v[8:9]
	v_add_f64 v[191:192], v[191:192], v[201:202]
	v_add_f64 v[189:190], v[189:190], v[199:200]
	v_fma_f64 v[193:194], v[4:5], v[42:43], v[193:194]
	v_fma_f64 v[199:200], v[2:3], v[42:43], -v[44:45]
	ds_load_b128 v[2:5], v1 offset:1120
	scratch_load_b128 v[42:45], off, off offset:544
	v_fma_f64 v[187:188], v[187:188], v[6:7], v[197:198]
	v_fma_f64 v[185:186], v[185:186], v[6:7], -v[8:9]
	scratch_load_b128 v[6:9], off, off offset:560
	v_add_f64 v[183:184], v[191:192], v[183:184]
	v_add_f64 v[195:196], v[189:190], v[195:196]
	ds_load_b128 v[189:192], v1 offset:1136
	s_waitcnt vmcnt(9) lgkmcnt(1)
	v_mul_f64 v[201:202], v[2:3], v[12:13]
	v_mul_f64 v[12:13], v[4:5], v[12:13]
	v_add_f64 v[183:184], v[183:184], v[199:200]
	v_add_f64 v[193:194], v[195:196], v[193:194]
	s_waitcnt vmcnt(8) lgkmcnt(0)
	v_mul_f64 v[195:196], v[189:190], v[16:17]
	v_mul_f64 v[16:17], v[191:192], v[16:17]
	v_fma_f64 v[197:198], v[4:5], v[10:11], v[201:202]
	v_fma_f64 v[199:200], v[2:3], v[10:11], -v[12:13]
	ds_load_b128 v[2:5], v1 offset:1152
	scratch_load_b128 v[10:13], off, off offset:576
	v_add_f64 v[201:202], v[183:184], v[185:186]
	v_add_f64 v[187:188], v[193:194], v[187:188]
	ds_load_b128 v[183:186], v1 offset:1168
	s_waitcnt vmcnt(8) lgkmcnt(1)
	v_mul_f64 v[193:194], v[2:3], v[20:21]
	v_mul_f64 v[20:21], v[4:5], v[20:21]
	v_fma_f64 v[191:192], v[191:192], v[14:15], v[195:196]
	v_fma_f64 v[189:190], v[189:190], v[14:15], -v[16:17]
	scratch_load_b128 v[14:17], off, off offset:592
	v_add_f64 v[195:196], v[201:202], v[199:200]
	v_add_f64 v[187:188], v[187:188], v[197:198]
	s_waitcnt vmcnt(8) lgkmcnt(0)
	v_mul_f64 v[197:198], v[183:184], v[24:25]
	v_mul_f64 v[24:25], v[185:186], v[24:25]
	v_fma_f64 v[193:194], v[4:5], v[18:19], v[193:194]
	v_fma_f64 v[199:200], v[2:3], v[18:19], -v[20:21]
	ds_load_b128 v[2:5], v1 offset:1184
	scratch_load_b128 v[18:21], off, off offset:608
	v_add_f64 v[195:196], v[195:196], v[189:190]
	v_add_f64 v[191:192], v[187:188], v[191:192]
	ds_load_b128 v[187:190], v1 offset:1200
	s_waitcnt vmcnt(8) lgkmcnt(1)
	v_mul_f64 v[201:202], v[2:3], v[28:29]
	v_mul_f64 v[28:29], v[4:5], v[28:29]
	v_fma_f64 v[185:186], v[185:186], v[22:23], v[197:198]
	v_fma_f64 v[183:184], v[183:184], v[22:23], -v[24:25]
	scratch_load_b128 v[22:25], off, off offset:624
	;; [unrolled: 18-line block ×4, first 2 shown]
	s_waitcnt vmcnt(8) lgkmcnt(0)
	v_mul_f64 v[195:196], v[187:188], v[8:9]
	v_mul_f64 v[8:9], v[189:190], v[8:9]
	v_add_f64 v[193:194], v[193:194], v[199:200]
	v_add_f64 v[191:192], v[191:192], v[197:198]
	v_fma_f64 v[197:198], v[4:5], v[42:43], v[201:202]
	v_fma_f64 v[199:200], v[2:3], v[42:43], -v[44:45]
	ds_load_b128 v[2:5], v1 offset:1280
	ds_load_b128 v[42:45], v1 offset:1296
	v_fma_f64 v[189:190], v[189:190], v[6:7], v[195:196]
	v_fma_f64 v[6:7], v[187:188], v[6:7], -v[8:9]
	v_add_f64 v[183:184], v[193:194], v[183:184]
	v_add_f64 v[185:186], v[191:192], v[185:186]
	s_waitcnt vmcnt(7) lgkmcnt(1)
	v_mul_f64 v[191:192], v[2:3], v[12:13]
	v_mul_f64 v[12:13], v[4:5], v[12:13]
	s_delay_alu instid0(VALU_DEP_4) | instskip(NEXT) | instid1(VALU_DEP_4)
	v_add_f64 v[8:9], v[183:184], v[199:200]
	v_add_f64 v[183:184], v[185:186], v[197:198]
	s_waitcnt vmcnt(6) lgkmcnt(0)
	v_mul_f64 v[185:186], v[42:43], v[16:17]
	v_mul_f64 v[16:17], v[44:45], v[16:17]
	v_fma_f64 v[187:188], v[4:5], v[10:11], v[191:192]
	v_fma_f64 v[10:11], v[2:3], v[10:11], -v[12:13]
	v_add_f64 v[12:13], v[8:9], v[6:7]
	v_add_f64 v[183:184], v[183:184], v[189:190]
	ds_load_b128 v[2:5], v1 offset:1312
	ds_load_b128 v[6:9], v1 offset:1328
	v_fma_f64 v[44:45], v[44:45], v[14:15], v[185:186]
	v_fma_f64 v[14:15], v[42:43], v[14:15], -v[16:17]
	s_waitcnt vmcnt(5) lgkmcnt(1)
	v_mul_f64 v[189:190], v[2:3], v[20:21]
	v_mul_f64 v[20:21], v[4:5], v[20:21]
	s_waitcnt vmcnt(4) lgkmcnt(0)
	v_mul_f64 v[16:17], v[6:7], v[24:25]
	v_mul_f64 v[24:25], v[8:9], v[24:25]
	v_add_f64 v[10:11], v[12:13], v[10:11]
	v_add_f64 v[12:13], v[183:184], v[187:188]
	v_fma_f64 v[42:43], v[4:5], v[18:19], v[189:190]
	v_fma_f64 v[18:19], v[2:3], v[18:19], -v[20:21]
	v_fma_f64 v[8:9], v[8:9], v[22:23], v[16:17]
	v_fma_f64 v[6:7], v[6:7], v[22:23], -v[24:25]
	v_add_f64 v[14:15], v[10:11], v[14:15]
	v_add_f64 v[20:21], v[12:13], v[44:45]
	ds_load_b128 v[2:5], v1 offset:1344
	ds_load_b128 v[10:13], v1 offset:1360
	s_waitcnt vmcnt(3) lgkmcnt(1)
	v_mul_f64 v[44:45], v[2:3], v[28:29]
	v_mul_f64 v[28:29], v[4:5], v[28:29]
	v_add_f64 v[14:15], v[14:15], v[18:19]
	v_add_f64 v[16:17], v[20:21], v[42:43]
	s_waitcnt vmcnt(2) lgkmcnt(0)
	v_mul_f64 v[18:19], v[10:11], v[32:33]
	v_mul_f64 v[20:21], v[12:13], v[32:33]
	v_fma_f64 v[22:23], v[4:5], v[26:27], v[44:45]
	v_fma_f64 v[24:25], v[2:3], v[26:27], -v[28:29]
	v_add_f64 v[14:15], v[14:15], v[6:7]
	v_add_f64 v[16:17], v[16:17], v[8:9]
	ds_load_b128 v[2:5], v1 offset:1376
	ds_load_b128 v[6:9], v1 offset:1392
	v_fma_f64 v[12:13], v[12:13], v[30:31], v[18:19]
	v_fma_f64 v[10:11], v[10:11], v[30:31], -v[20:21]
	s_waitcnt vmcnt(1) lgkmcnt(1)
	v_mul_f64 v[26:27], v[2:3], v[36:37]
	v_mul_f64 v[28:29], v[4:5], v[36:37]
	s_waitcnt vmcnt(0) lgkmcnt(0)
	v_mul_f64 v[18:19], v[6:7], v[40:41]
	v_mul_f64 v[20:21], v[8:9], v[40:41]
	v_add_f64 v[14:15], v[14:15], v[24:25]
	v_add_f64 v[16:17], v[16:17], v[22:23]
	v_fma_f64 v[4:5], v[4:5], v[34:35], v[26:27]
	v_fma_f64 v[1:2], v[2:3], v[34:35], -v[28:29]
	v_fma_f64 v[8:9], v[8:9], v[38:39], v[18:19]
	v_fma_f64 v[6:7], v[6:7], v[38:39], -v[20:21]
	v_add_f64 v[10:11], v[14:15], v[10:11]
	v_add_f64 v[12:13], v[16:17], v[12:13]
	s_delay_alu instid0(VALU_DEP_2) | instskip(NEXT) | instid1(VALU_DEP_2)
	v_add_f64 v[1:2], v[10:11], v[1:2]
	v_add_f64 v[3:4], v[12:13], v[4:5]
	s_delay_alu instid0(VALU_DEP_2) | instskip(NEXT) | instid1(VALU_DEP_2)
	;; [unrolled: 3-line block ×3, first 2 shown]
	v_add_f64 v[1:2], v[179:180], -v[1:2]
	v_add_f64 v[3:4], v[181:182], -v[3:4]
	scratch_store_b128 off, v[1:4], off offset:208
	v_cmpx_lt_u32_e32 12, v134
	s_cbranch_execz .LBB107_253
; %bb.252:
	scratch_load_b128 v[1:4], v168, off
	v_mov_b32_e32 v5, 0
	s_delay_alu instid0(VALU_DEP_1)
	v_mov_b32_e32 v6, v5
	v_mov_b32_e32 v7, v5
	;; [unrolled: 1-line block ×3, first 2 shown]
	scratch_store_b128 off, v[5:8], off offset:192
	s_waitcnt vmcnt(0)
	ds_store_b128 v178, v[1:4]
.LBB107_253:
	s_or_b32 exec_lo, exec_lo, s2
	s_waitcnt lgkmcnt(0)
	s_waitcnt_vscnt null, 0x0
	s_barrier
	buffer_gl0_inv
	s_clause 0x7
	scratch_load_b128 v[2:5], off, off offset:208
	scratch_load_b128 v[6:9], off, off offset:224
	;; [unrolled: 1-line block ×8, first 2 shown]
	v_mov_b32_e32 v1, 0
	s_mov_b32 s2, exec_lo
	ds_load_b128 v[38:41], v1 offset:912
	s_clause 0x1
	scratch_load_b128 v[34:37], off, off offset:336
	scratch_load_b128 v[42:45], off, off offset:192
	ds_load_b128 v[179:182], v1 offset:928
	scratch_load_b128 v[183:186], off, off offset:352
	s_waitcnt vmcnt(10) lgkmcnt(1)
	v_mul_f64 v[187:188], v[40:41], v[4:5]
	v_mul_f64 v[4:5], v[38:39], v[4:5]
	s_delay_alu instid0(VALU_DEP_2) | instskip(NEXT) | instid1(VALU_DEP_2)
	v_fma_f64 v[193:194], v[38:39], v[2:3], -v[187:188]
	v_fma_f64 v[195:196], v[40:41], v[2:3], v[4:5]
	scratch_load_b128 v[38:41], off, off offset:368
	ds_load_b128 v[2:5], v1 offset:944
	s_waitcnt vmcnt(10) lgkmcnt(1)
	v_mul_f64 v[191:192], v[179:180], v[8:9]
	v_mul_f64 v[8:9], v[181:182], v[8:9]
	ds_load_b128 v[187:190], v1 offset:960
	s_waitcnt vmcnt(9) lgkmcnt(1)
	v_mul_f64 v[197:198], v[2:3], v[12:13]
	v_mul_f64 v[12:13], v[4:5], v[12:13]
	v_fma_f64 v[181:182], v[181:182], v[6:7], v[191:192]
	v_fma_f64 v[179:180], v[179:180], v[6:7], -v[8:9]
	v_add_f64 v[191:192], v[193:194], 0
	v_add_f64 v[193:194], v[195:196], 0
	scratch_load_b128 v[6:9], off, off offset:384
	v_fma_f64 v[197:198], v[4:5], v[10:11], v[197:198]
	v_fma_f64 v[199:200], v[2:3], v[10:11], -v[12:13]
	scratch_load_b128 v[10:13], off, off offset:400
	ds_load_b128 v[2:5], v1 offset:976
	s_waitcnt vmcnt(10) lgkmcnt(1)
	v_mul_f64 v[195:196], v[187:188], v[16:17]
	v_mul_f64 v[16:17], v[189:190], v[16:17]
	v_add_f64 v[191:192], v[191:192], v[179:180]
	v_add_f64 v[193:194], v[193:194], v[181:182]
	s_waitcnt vmcnt(9) lgkmcnt(0)
	v_mul_f64 v[201:202], v[2:3], v[20:21]
	v_mul_f64 v[20:21], v[4:5], v[20:21]
	ds_load_b128 v[179:182], v1 offset:992
	v_fma_f64 v[189:190], v[189:190], v[14:15], v[195:196]
	v_fma_f64 v[187:188], v[187:188], v[14:15], -v[16:17]
	scratch_load_b128 v[14:17], off, off offset:416
	v_add_f64 v[191:192], v[191:192], v[199:200]
	v_add_f64 v[193:194], v[193:194], v[197:198]
	v_fma_f64 v[197:198], v[4:5], v[18:19], v[201:202]
	v_fma_f64 v[199:200], v[2:3], v[18:19], -v[20:21]
	scratch_load_b128 v[18:21], off, off offset:432
	ds_load_b128 v[2:5], v1 offset:1008
	s_waitcnt vmcnt(10) lgkmcnt(1)
	v_mul_f64 v[195:196], v[179:180], v[24:25]
	v_mul_f64 v[24:25], v[181:182], v[24:25]
	s_waitcnt vmcnt(9) lgkmcnt(0)
	v_mul_f64 v[201:202], v[2:3], v[28:29]
	v_mul_f64 v[28:29], v[4:5], v[28:29]
	v_add_f64 v[191:192], v[191:192], v[187:188]
	v_add_f64 v[193:194], v[193:194], v[189:190]
	ds_load_b128 v[187:190], v1 offset:1024
	v_fma_f64 v[181:182], v[181:182], v[22:23], v[195:196]
	v_fma_f64 v[179:180], v[179:180], v[22:23], -v[24:25]
	scratch_load_b128 v[22:25], off, off offset:448
	v_add_f64 v[191:192], v[191:192], v[199:200]
	v_add_f64 v[193:194], v[193:194], v[197:198]
	v_fma_f64 v[197:198], v[4:5], v[26:27], v[201:202]
	v_fma_f64 v[199:200], v[2:3], v[26:27], -v[28:29]
	scratch_load_b128 v[26:29], off, off offset:464
	ds_load_b128 v[2:5], v1 offset:1040
	s_waitcnt vmcnt(10) lgkmcnt(1)
	v_mul_f64 v[195:196], v[187:188], v[32:33]
	v_mul_f64 v[32:33], v[189:190], v[32:33]
	s_waitcnt vmcnt(9) lgkmcnt(0)
	v_mul_f64 v[201:202], v[2:3], v[36:37]
	v_mul_f64 v[36:37], v[4:5], v[36:37]
	v_add_f64 v[191:192], v[191:192], v[179:180]
	v_add_f64 v[193:194], v[193:194], v[181:182]
	ds_load_b128 v[179:182], v1 offset:1056
	v_fma_f64 v[189:190], v[189:190], v[30:31], v[195:196]
	v_fma_f64 v[187:188], v[187:188], v[30:31], -v[32:33]
	scratch_load_b128 v[30:33], off, off offset:480
	v_add_f64 v[191:192], v[191:192], v[199:200]
	v_add_f64 v[193:194], v[193:194], v[197:198]
	v_fma_f64 v[199:200], v[4:5], v[34:35], v[201:202]
	v_fma_f64 v[201:202], v[2:3], v[34:35], -v[36:37]
	scratch_load_b128 v[34:37], off, off offset:496
	ds_load_b128 v[2:5], v1 offset:1072
	s_waitcnt vmcnt(9) lgkmcnt(1)
	v_mul_f64 v[195:196], v[179:180], v[185:186]
	v_mul_f64 v[197:198], v[181:182], v[185:186]
	v_add_f64 v[191:192], v[191:192], v[187:188]
	v_add_f64 v[189:190], v[193:194], v[189:190]
	ds_load_b128 v[185:188], v1 offset:1088
	v_fma_f64 v[195:196], v[181:182], v[183:184], v[195:196]
	v_fma_f64 v[183:184], v[179:180], v[183:184], -v[197:198]
	scratch_load_b128 v[179:182], off, off offset:512
	s_waitcnt vmcnt(9) lgkmcnt(1)
	v_mul_f64 v[193:194], v[2:3], v[40:41]
	v_mul_f64 v[40:41], v[4:5], v[40:41]
	v_add_f64 v[191:192], v[191:192], v[201:202]
	v_add_f64 v[189:190], v[189:190], v[199:200]
	s_delay_alu instid0(VALU_DEP_4) | instskip(NEXT) | instid1(VALU_DEP_4)
	v_fma_f64 v[193:194], v[4:5], v[38:39], v[193:194]
	v_fma_f64 v[199:200], v[2:3], v[38:39], -v[40:41]
	scratch_load_b128 v[38:41], off, off offset:528
	ds_load_b128 v[2:5], v1 offset:1104
	s_waitcnt vmcnt(9) lgkmcnt(1)
	v_mul_f64 v[197:198], v[185:186], v[8:9]
	v_mul_f64 v[8:9], v[187:188], v[8:9]
	s_waitcnt vmcnt(8) lgkmcnt(0)
	v_mul_f64 v[201:202], v[2:3], v[12:13]
	v_mul_f64 v[12:13], v[4:5], v[12:13]
	v_add_f64 v[183:184], v[191:192], v[183:184]
	v_add_f64 v[195:196], v[189:190], v[195:196]
	ds_load_b128 v[189:192], v1 offset:1120
	v_fma_f64 v[187:188], v[187:188], v[6:7], v[197:198]
	v_fma_f64 v[185:186], v[185:186], v[6:7], -v[8:9]
	scratch_load_b128 v[6:9], off, off offset:544
	v_fma_f64 v[197:198], v[4:5], v[10:11], v[201:202]
	v_add_f64 v[183:184], v[183:184], v[199:200]
	v_add_f64 v[193:194], v[195:196], v[193:194]
	v_fma_f64 v[199:200], v[2:3], v[10:11], -v[12:13]
	scratch_load_b128 v[10:13], off, off offset:560
	ds_load_b128 v[2:5], v1 offset:1136
	s_waitcnt vmcnt(9) lgkmcnt(1)
	v_mul_f64 v[195:196], v[189:190], v[16:17]
	v_mul_f64 v[16:17], v[191:192], v[16:17]
	v_add_f64 v[201:202], v[183:184], v[185:186]
	v_add_f64 v[187:188], v[193:194], v[187:188]
	s_waitcnt vmcnt(8) lgkmcnt(0)
	v_mul_f64 v[193:194], v[2:3], v[20:21]
	v_mul_f64 v[20:21], v[4:5], v[20:21]
	ds_load_b128 v[183:186], v1 offset:1152
	v_fma_f64 v[191:192], v[191:192], v[14:15], v[195:196]
	v_fma_f64 v[189:190], v[189:190], v[14:15], -v[16:17]
	scratch_load_b128 v[14:17], off, off offset:576
	v_add_f64 v[195:196], v[201:202], v[199:200]
	v_add_f64 v[187:188], v[187:188], v[197:198]
	v_fma_f64 v[193:194], v[4:5], v[18:19], v[193:194]
	v_fma_f64 v[199:200], v[2:3], v[18:19], -v[20:21]
	scratch_load_b128 v[18:21], off, off offset:592
	ds_load_b128 v[2:5], v1 offset:1168
	s_waitcnt vmcnt(9) lgkmcnt(1)
	v_mul_f64 v[197:198], v[183:184], v[24:25]
	v_mul_f64 v[24:25], v[185:186], v[24:25]
	s_waitcnt vmcnt(8) lgkmcnt(0)
	v_mul_f64 v[201:202], v[2:3], v[28:29]
	v_mul_f64 v[28:29], v[4:5], v[28:29]
	v_add_f64 v[195:196], v[195:196], v[189:190]
	v_add_f64 v[191:192], v[187:188], v[191:192]
	ds_load_b128 v[187:190], v1 offset:1184
	v_fma_f64 v[185:186], v[185:186], v[22:23], v[197:198]
	v_fma_f64 v[183:184], v[183:184], v[22:23], -v[24:25]
	scratch_load_b128 v[22:25], off, off offset:608
	v_fma_f64 v[197:198], v[4:5], v[26:27], v[201:202]
	v_add_f64 v[195:196], v[195:196], v[199:200]
	v_add_f64 v[191:192], v[191:192], v[193:194]
	v_fma_f64 v[199:200], v[2:3], v[26:27], -v[28:29]
	scratch_load_b128 v[26:29], off, off offset:624
	ds_load_b128 v[2:5], v1 offset:1200
	s_waitcnt vmcnt(9) lgkmcnt(1)
	v_mul_f64 v[193:194], v[187:188], v[32:33]
	v_mul_f64 v[32:33], v[189:190], v[32:33]
	s_waitcnt vmcnt(8) lgkmcnt(0)
	v_mul_f64 v[201:202], v[2:3], v[36:37]
	v_mul_f64 v[36:37], v[4:5], v[36:37]
	v_add_f64 v[195:196], v[195:196], v[183:184]
	v_add_f64 v[191:192], v[191:192], v[185:186]
	ds_load_b128 v[183:186], v1 offset:1216
	v_fma_f64 v[189:190], v[189:190], v[30:31], v[193:194]
	v_fma_f64 v[187:188], v[187:188], v[30:31], -v[32:33]
	scratch_load_b128 v[30:33], off, off offset:640
	v_add_f64 v[193:194], v[195:196], v[199:200]
	v_add_f64 v[191:192], v[191:192], v[197:198]
	v_fma_f64 v[197:198], v[4:5], v[34:35], v[201:202]
	v_fma_f64 v[199:200], v[2:3], v[34:35], -v[36:37]
	scratch_load_b128 v[34:37], off, off offset:656
	ds_load_b128 v[2:5], v1 offset:1232
	s_waitcnt vmcnt(9) lgkmcnt(1)
	v_mul_f64 v[195:196], v[183:184], v[181:182]
	v_mul_f64 v[181:182], v[185:186], v[181:182]
	s_waitcnt vmcnt(8) lgkmcnt(0)
	v_mul_f64 v[201:202], v[2:3], v[40:41]
	v_mul_f64 v[40:41], v[4:5], v[40:41]
	v_add_f64 v[193:194], v[193:194], v[187:188]
	v_add_f64 v[191:192], v[191:192], v[189:190]
	ds_load_b128 v[187:190], v1 offset:1248
	v_fma_f64 v[185:186], v[185:186], v[179:180], v[195:196]
	v_fma_f64 v[183:184], v[183:184], v[179:180], -v[181:182]
	scratch_load_b128 v[179:182], off, off offset:672
	v_add_f64 v[193:194], v[193:194], v[199:200]
	v_add_f64 v[191:192], v[191:192], v[197:198]
	v_fma_f64 v[197:198], v[4:5], v[38:39], v[201:202]
	v_fma_f64 v[199:200], v[2:3], v[38:39], -v[40:41]
	scratch_load_b128 v[38:41], off, off offset:688
	ds_load_b128 v[2:5], v1 offset:1264
	s_waitcnt vmcnt(9) lgkmcnt(1)
	v_mul_f64 v[195:196], v[187:188], v[8:9]
	v_mul_f64 v[8:9], v[189:190], v[8:9]
	s_waitcnt vmcnt(8) lgkmcnt(0)
	v_mul_f64 v[201:202], v[2:3], v[12:13]
	v_mul_f64 v[12:13], v[4:5], v[12:13]
	v_add_f64 v[193:194], v[193:194], v[183:184]
	v_add_f64 v[191:192], v[191:192], v[185:186]
	ds_load_b128 v[183:186], v1 offset:1280
	v_fma_f64 v[189:190], v[189:190], v[6:7], v[195:196]
	v_fma_f64 v[6:7], v[187:188], v[6:7], -v[8:9]
	v_add_f64 v[8:9], v[193:194], v[199:200]
	v_add_f64 v[187:188], v[191:192], v[197:198]
	s_waitcnt vmcnt(7) lgkmcnt(0)
	v_mul_f64 v[191:192], v[183:184], v[16:17]
	v_mul_f64 v[16:17], v[185:186], v[16:17]
	v_fma_f64 v[193:194], v[4:5], v[10:11], v[201:202]
	v_fma_f64 v[10:11], v[2:3], v[10:11], -v[12:13]
	v_add_f64 v[12:13], v[8:9], v[6:7]
	v_add_f64 v[187:188], v[187:188], v[189:190]
	ds_load_b128 v[2:5], v1 offset:1296
	ds_load_b128 v[6:9], v1 offset:1312
	v_fma_f64 v[185:186], v[185:186], v[14:15], v[191:192]
	v_fma_f64 v[14:15], v[183:184], v[14:15], -v[16:17]
	s_waitcnt vmcnt(6) lgkmcnt(1)
	v_mul_f64 v[189:190], v[2:3], v[20:21]
	v_mul_f64 v[20:21], v[4:5], v[20:21]
	s_waitcnt vmcnt(5) lgkmcnt(0)
	v_mul_f64 v[16:17], v[6:7], v[24:25]
	v_mul_f64 v[24:25], v[8:9], v[24:25]
	v_add_f64 v[10:11], v[12:13], v[10:11]
	v_add_f64 v[12:13], v[187:188], v[193:194]
	v_fma_f64 v[183:184], v[4:5], v[18:19], v[189:190]
	v_fma_f64 v[18:19], v[2:3], v[18:19], -v[20:21]
	v_fma_f64 v[8:9], v[8:9], v[22:23], v[16:17]
	v_fma_f64 v[6:7], v[6:7], v[22:23], -v[24:25]
	v_add_f64 v[14:15], v[10:11], v[14:15]
	v_add_f64 v[20:21], v[12:13], v[185:186]
	ds_load_b128 v[2:5], v1 offset:1328
	ds_load_b128 v[10:13], v1 offset:1344
	s_waitcnt vmcnt(4) lgkmcnt(1)
	v_mul_f64 v[185:186], v[2:3], v[28:29]
	v_mul_f64 v[28:29], v[4:5], v[28:29]
	v_add_f64 v[14:15], v[14:15], v[18:19]
	v_add_f64 v[16:17], v[20:21], v[183:184]
	s_waitcnt vmcnt(3) lgkmcnt(0)
	v_mul_f64 v[18:19], v[10:11], v[32:33]
	v_mul_f64 v[20:21], v[12:13], v[32:33]
	v_fma_f64 v[22:23], v[4:5], v[26:27], v[185:186]
	v_fma_f64 v[24:25], v[2:3], v[26:27], -v[28:29]
	v_add_f64 v[14:15], v[14:15], v[6:7]
	v_add_f64 v[16:17], v[16:17], v[8:9]
	ds_load_b128 v[2:5], v1 offset:1360
	ds_load_b128 v[6:9], v1 offset:1376
	v_fma_f64 v[12:13], v[12:13], v[30:31], v[18:19]
	v_fma_f64 v[10:11], v[10:11], v[30:31], -v[20:21]
	s_waitcnt vmcnt(2) lgkmcnt(1)
	v_mul_f64 v[26:27], v[2:3], v[36:37]
	v_mul_f64 v[28:29], v[4:5], v[36:37]
	s_waitcnt vmcnt(1) lgkmcnt(0)
	v_mul_f64 v[18:19], v[6:7], v[181:182]
	v_mul_f64 v[20:21], v[8:9], v[181:182]
	v_add_f64 v[14:15], v[14:15], v[24:25]
	v_add_f64 v[16:17], v[16:17], v[22:23]
	v_fma_f64 v[22:23], v[4:5], v[34:35], v[26:27]
	v_fma_f64 v[24:25], v[2:3], v[34:35], -v[28:29]
	ds_load_b128 v[2:5], v1 offset:1392
	v_fma_f64 v[8:9], v[8:9], v[179:180], v[18:19]
	v_fma_f64 v[6:7], v[6:7], v[179:180], -v[20:21]
	v_add_f64 v[10:11], v[14:15], v[10:11]
	v_add_f64 v[12:13], v[16:17], v[12:13]
	s_waitcnt vmcnt(0) lgkmcnt(0)
	v_mul_f64 v[14:15], v[2:3], v[40:41]
	v_mul_f64 v[16:17], v[4:5], v[40:41]
	s_delay_alu instid0(VALU_DEP_4) | instskip(NEXT) | instid1(VALU_DEP_4)
	v_add_f64 v[10:11], v[10:11], v[24:25]
	v_add_f64 v[12:13], v[12:13], v[22:23]
	s_delay_alu instid0(VALU_DEP_4) | instskip(NEXT) | instid1(VALU_DEP_4)
	v_fma_f64 v[4:5], v[4:5], v[38:39], v[14:15]
	v_fma_f64 v[2:3], v[2:3], v[38:39], -v[16:17]
	s_delay_alu instid0(VALU_DEP_4) | instskip(NEXT) | instid1(VALU_DEP_4)
	v_add_f64 v[6:7], v[10:11], v[6:7]
	v_add_f64 v[8:9], v[12:13], v[8:9]
	s_delay_alu instid0(VALU_DEP_2) | instskip(NEXT) | instid1(VALU_DEP_2)
	v_add_f64 v[2:3], v[6:7], v[2:3]
	v_add_f64 v[4:5], v[8:9], v[4:5]
	s_delay_alu instid0(VALU_DEP_2) | instskip(NEXT) | instid1(VALU_DEP_2)
	v_add_f64 v[2:3], v[42:43], -v[2:3]
	v_add_f64 v[4:5], v[44:45], -v[4:5]
	scratch_store_b128 off, v[2:5], off offset:192
	v_cmpx_lt_u32_e32 11, v134
	s_cbranch_execz .LBB107_255
; %bb.254:
	scratch_load_b128 v[5:8], v169, off
	v_mov_b32_e32 v2, v1
	v_mov_b32_e32 v3, v1
	;; [unrolled: 1-line block ×3, first 2 shown]
	scratch_store_b128 off, v[1:4], off offset:176
	s_waitcnt vmcnt(0)
	ds_store_b128 v178, v[5:8]
.LBB107_255:
	s_or_b32 exec_lo, exec_lo, s2
	s_waitcnt lgkmcnt(0)
	s_waitcnt_vscnt null, 0x0
	s_barrier
	buffer_gl0_inv
	s_clause 0x8
	scratch_load_b128 v[2:5], off, off offset:192
	scratch_load_b128 v[6:9], off, off offset:208
	;; [unrolled: 1-line block ×9, first 2 shown]
	ds_load_b128 v[42:45], v1 offset:896
	ds_load_b128 v[38:41], v1 offset:912
	s_clause 0x1
	scratch_load_b128 v[179:182], off, off offset:176
	scratch_load_b128 v[183:186], off, off offset:336
	s_mov_b32 s2, exec_lo
	s_waitcnt vmcnt(10) lgkmcnt(1)
	v_mul_f64 v[187:188], v[44:45], v[4:5]
	v_mul_f64 v[4:5], v[42:43], v[4:5]
	s_waitcnt vmcnt(9) lgkmcnt(0)
	v_mul_f64 v[191:192], v[38:39], v[8:9]
	v_mul_f64 v[8:9], v[40:41], v[8:9]
	s_delay_alu instid0(VALU_DEP_4) | instskip(NEXT) | instid1(VALU_DEP_4)
	v_fma_f64 v[193:194], v[42:43], v[2:3], -v[187:188]
	v_fma_f64 v[195:196], v[44:45], v[2:3], v[4:5]
	ds_load_b128 v[2:5], v1 offset:928
	ds_load_b128 v[187:190], v1 offset:944
	scratch_load_b128 v[42:45], off, off offset:352
	v_fma_f64 v[40:41], v[40:41], v[6:7], v[191:192]
	v_fma_f64 v[38:39], v[38:39], v[6:7], -v[8:9]
	scratch_load_b128 v[6:9], off, off offset:368
	s_waitcnt vmcnt(10) lgkmcnt(1)
	v_mul_f64 v[197:198], v[2:3], v[12:13]
	v_mul_f64 v[12:13], v[4:5], v[12:13]
	v_add_f64 v[191:192], v[193:194], 0
	v_add_f64 v[193:194], v[195:196], 0
	s_waitcnt vmcnt(9) lgkmcnt(0)
	v_mul_f64 v[195:196], v[187:188], v[16:17]
	v_mul_f64 v[16:17], v[189:190], v[16:17]
	v_fma_f64 v[197:198], v[4:5], v[10:11], v[197:198]
	v_fma_f64 v[199:200], v[2:3], v[10:11], -v[12:13]
	ds_load_b128 v[2:5], v1 offset:960
	scratch_load_b128 v[10:13], off, off offset:384
	v_add_f64 v[191:192], v[191:192], v[38:39]
	v_add_f64 v[193:194], v[193:194], v[40:41]
	ds_load_b128 v[38:41], v1 offset:976
	v_fma_f64 v[189:190], v[189:190], v[14:15], v[195:196]
	v_fma_f64 v[187:188], v[187:188], v[14:15], -v[16:17]
	scratch_load_b128 v[14:17], off, off offset:400
	s_waitcnt vmcnt(10) lgkmcnt(1)
	v_mul_f64 v[201:202], v[2:3], v[20:21]
	v_mul_f64 v[20:21], v[4:5], v[20:21]
	s_waitcnt vmcnt(9) lgkmcnt(0)
	v_mul_f64 v[195:196], v[38:39], v[24:25]
	v_mul_f64 v[24:25], v[40:41], v[24:25]
	v_add_f64 v[191:192], v[191:192], v[199:200]
	v_add_f64 v[193:194], v[193:194], v[197:198]
	v_fma_f64 v[197:198], v[4:5], v[18:19], v[201:202]
	v_fma_f64 v[199:200], v[2:3], v[18:19], -v[20:21]
	ds_load_b128 v[2:5], v1 offset:992
	scratch_load_b128 v[18:21], off, off offset:416
	v_fma_f64 v[40:41], v[40:41], v[22:23], v[195:196]
	v_fma_f64 v[38:39], v[38:39], v[22:23], -v[24:25]
	scratch_load_b128 v[22:25], off, off offset:432
	v_add_f64 v[191:192], v[191:192], v[187:188]
	v_add_f64 v[193:194], v[193:194], v[189:190]
	ds_load_b128 v[187:190], v1 offset:1008
	s_waitcnt vmcnt(10) lgkmcnt(1)
	v_mul_f64 v[201:202], v[2:3], v[28:29]
	v_mul_f64 v[28:29], v[4:5], v[28:29]
	s_waitcnt vmcnt(9) lgkmcnt(0)
	v_mul_f64 v[195:196], v[187:188], v[32:33]
	v_mul_f64 v[32:33], v[189:190], v[32:33]
	v_add_f64 v[191:192], v[191:192], v[199:200]
	v_add_f64 v[193:194], v[193:194], v[197:198]
	v_fma_f64 v[197:198], v[4:5], v[26:27], v[201:202]
	v_fma_f64 v[199:200], v[2:3], v[26:27], -v[28:29]
	ds_load_b128 v[2:5], v1 offset:1024
	scratch_load_b128 v[26:29], off, off offset:448
	v_fma_f64 v[189:190], v[189:190], v[30:31], v[195:196]
	v_fma_f64 v[187:188], v[187:188], v[30:31], -v[32:33]
	scratch_load_b128 v[30:33], off, off offset:464
	v_add_f64 v[191:192], v[191:192], v[38:39]
	v_add_f64 v[193:194], v[193:194], v[40:41]
	ds_load_b128 v[38:41], v1 offset:1040
	s_waitcnt vmcnt(10) lgkmcnt(1)
	v_mul_f64 v[201:202], v[2:3], v[36:37]
	v_mul_f64 v[36:37], v[4:5], v[36:37]
	s_waitcnt vmcnt(8) lgkmcnt(0)
	v_mul_f64 v[195:196], v[38:39], v[185:186]
	v_add_f64 v[191:192], v[191:192], v[199:200]
	v_add_f64 v[193:194], v[193:194], v[197:198]
	v_mul_f64 v[197:198], v[40:41], v[185:186]
	v_fma_f64 v[199:200], v[4:5], v[34:35], v[201:202]
	v_fma_f64 v[201:202], v[2:3], v[34:35], -v[36:37]
	ds_load_b128 v[2:5], v1 offset:1056
	scratch_load_b128 v[34:37], off, off offset:480
	v_fma_f64 v[195:196], v[40:41], v[183:184], v[195:196]
	v_add_f64 v[191:192], v[191:192], v[187:188]
	v_add_f64 v[189:190], v[193:194], v[189:190]
	ds_load_b128 v[185:188], v1 offset:1072
	v_fma_f64 v[183:184], v[38:39], v[183:184], -v[197:198]
	scratch_load_b128 v[38:41], off, off offset:496
	s_waitcnt vmcnt(9) lgkmcnt(1)
	v_mul_f64 v[193:194], v[2:3], v[44:45]
	v_mul_f64 v[44:45], v[4:5], v[44:45]
	s_waitcnt vmcnt(8) lgkmcnt(0)
	v_mul_f64 v[197:198], v[185:186], v[8:9]
	v_mul_f64 v[8:9], v[187:188], v[8:9]
	v_add_f64 v[191:192], v[191:192], v[201:202]
	v_add_f64 v[189:190], v[189:190], v[199:200]
	v_fma_f64 v[193:194], v[4:5], v[42:43], v[193:194]
	v_fma_f64 v[199:200], v[2:3], v[42:43], -v[44:45]
	ds_load_b128 v[2:5], v1 offset:1088
	scratch_load_b128 v[42:45], off, off offset:512
	v_fma_f64 v[187:188], v[187:188], v[6:7], v[197:198]
	v_fma_f64 v[185:186], v[185:186], v[6:7], -v[8:9]
	scratch_load_b128 v[6:9], off, off offset:528
	v_add_f64 v[183:184], v[191:192], v[183:184]
	v_add_f64 v[195:196], v[189:190], v[195:196]
	ds_load_b128 v[189:192], v1 offset:1104
	s_waitcnt vmcnt(9) lgkmcnt(1)
	v_mul_f64 v[201:202], v[2:3], v[12:13]
	v_mul_f64 v[12:13], v[4:5], v[12:13]
	v_add_f64 v[183:184], v[183:184], v[199:200]
	v_add_f64 v[193:194], v[195:196], v[193:194]
	s_waitcnt vmcnt(8) lgkmcnt(0)
	v_mul_f64 v[195:196], v[189:190], v[16:17]
	v_mul_f64 v[16:17], v[191:192], v[16:17]
	v_fma_f64 v[197:198], v[4:5], v[10:11], v[201:202]
	v_fma_f64 v[199:200], v[2:3], v[10:11], -v[12:13]
	ds_load_b128 v[2:5], v1 offset:1120
	scratch_load_b128 v[10:13], off, off offset:544
	v_add_f64 v[201:202], v[183:184], v[185:186]
	v_add_f64 v[187:188], v[193:194], v[187:188]
	ds_load_b128 v[183:186], v1 offset:1136
	s_waitcnt vmcnt(8) lgkmcnt(1)
	v_mul_f64 v[193:194], v[2:3], v[20:21]
	v_mul_f64 v[20:21], v[4:5], v[20:21]
	v_fma_f64 v[191:192], v[191:192], v[14:15], v[195:196]
	v_fma_f64 v[189:190], v[189:190], v[14:15], -v[16:17]
	scratch_load_b128 v[14:17], off, off offset:560
	v_add_f64 v[195:196], v[201:202], v[199:200]
	v_add_f64 v[187:188], v[187:188], v[197:198]
	s_waitcnt vmcnt(8) lgkmcnt(0)
	v_mul_f64 v[197:198], v[183:184], v[24:25]
	v_mul_f64 v[24:25], v[185:186], v[24:25]
	v_fma_f64 v[193:194], v[4:5], v[18:19], v[193:194]
	v_fma_f64 v[199:200], v[2:3], v[18:19], -v[20:21]
	ds_load_b128 v[2:5], v1 offset:1152
	scratch_load_b128 v[18:21], off, off offset:576
	v_add_f64 v[195:196], v[195:196], v[189:190]
	v_add_f64 v[191:192], v[187:188], v[191:192]
	ds_load_b128 v[187:190], v1 offset:1168
	s_waitcnt vmcnt(8) lgkmcnt(1)
	v_mul_f64 v[201:202], v[2:3], v[28:29]
	v_mul_f64 v[28:29], v[4:5], v[28:29]
	v_fma_f64 v[185:186], v[185:186], v[22:23], v[197:198]
	v_fma_f64 v[183:184], v[183:184], v[22:23], -v[24:25]
	scratch_load_b128 v[22:25], off, off offset:592
	;; [unrolled: 18-line block ×4, first 2 shown]
	s_waitcnt vmcnt(8) lgkmcnt(0)
	v_mul_f64 v[195:196], v[187:188], v[8:9]
	v_mul_f64 v[8:9], v[189:190], v[8:9]
	v_add_f64 v[193:194], v[193:194], v[199:200]
	v_add_f64 v[191:192], v[191:192], v[197:198]
	v_fma_f64 v[197:198], v[4:5], v[42:43], v[201:202]
	v_fma_f64 v[199:200], v[2:3], v[42:43], -v[44:45]
	ds_load_b128 v[2:5], v1 offset:1248
	scratch_load_b128 v[42:45], off, off offset:672
	v_fma_f64 v[189:190], v[189:190], v[6:7], v[195:196]
	v_fma_f64 v[187:188], v[187:188], v[6:7], -v[8:9]
	scratch_load_b128 v[6:9], off, off offset:688
	v_add_f64 v[193:194], v[193:194], v[183:184]
	v_add_f64 v[191:192], v[191:192], v[185:186]
	ds_load_b128 v[183:186], v1 offset:1264
	s_waitcnt vmcnt(9) lgkmcnt(1)
	v_mul_f64 v[201:202], v[2:3], v[12:13]
	v_mul_f64 v[12:13], v[4:5], v[12:13]
	s_waitcnt vmcnt(8) lgkmcnt(0)
	v_mul_f64 v[195:196], v[183:184], v[16:17]
	v_mul_f64 v[16:17], v[185:186], v[16:17]
	v_add_f64 v[193:194], v[193:194], v[199:200]
	v_add_f64 v[191:192], v[191:192], v[197:198]
	v_fma_f64 v[197:198], v[4:5], v[10:11], v[201:202]
	v_fma_f64 v[199:200], v[2:3], v[10:11], -v[12:13]
	ds_load_b128 v[2:5], v1 offset:1280
	ds_load_b128 v[10:13], v1 offset:1296
	v_fma_f64 v[185:186], v[185:186], v[14:15], v[195:196]
	v_fma_f64 v[14:15], v[183:184], v[14:15], -v[16:17]
	v_add_f64 v[187:188], v[193:194], v[187:188]
	v_add_f64 v[189:190], v[191:192], v[189:190]
	s_waitcnt vmcnt(7) lgkmcnt(1)
	v_mul_f64 v[191:192], v[2:3], v[20:21]
	v_mul_f64 v[20:21], v[4:5], v[20:21]
	s_delay_alu instid0(VALU_DEP_4) | instskip(NEXT) | instid1(VALU_DEP_4)
	v_add_f64 v[16:17], v[187:188], v[199:200]
	v_add_f64 v[183:184], v[189:190], v[197:198]
	s_waitcnt vmcnt(6) lgkmcnt(0)
	v_mul_f64 v[187:188], v[10:11], v[24:25]
	v_mul_f64 v[24:25], v[12:13], v[24:25]
	v_fma_f64 v[189:190], v[4:5], v[18:19], v[191:192]
	v_fma_f64 v[18:19], v[2:3], v[18:19], -v[20:21]
	v_add_f64 v[20:21], v[16:17], v[14:15]
	v_add_f64 v[183:184], v[183:184], v[185:186]
	ds_load_b128 v[2:5], v1 offset:1312
	ds_load_b128 v[14:17], v1 offset:1328
	v_fma_f64 v[12:13], v[12:13], v[22:23], v[187:188]
	v_fma_f64 v[10:11], v[10:11], v[22:23], -v[24:25]
	s_waitcnt vmcnt(5) lgkmcnt(1)
	v_mul_f64 v[185:186], v[2:3], v[28:29]
	v_mul_f64 v[28:29], v[4:5], v[28:29]
	s_waitcnt vmcnt(4) lgkmcnt(0)
	v_mul_f64 v[22:23], v[14:15], v[32:33]
	v_mul_f64 v[24:25], v[16:17], v[32:33]
	v_add_f64 v[18:19], v[20:21], v[18:19]
	v_add_f64 v[20:21], v[183:184], v[189:190]
	v_fma_f64 v[32:33], v[4:5], v[26:27], v[185:186]
	v_fma_f64 v[26:27], v[2:3], v[26:27], -v[28:29]
	v_fma_f64 v[16:17], v[16:17], v[30:31], v[22:23]
	v_fma_f64 v[14:15], v[14:15], v[30:31], -v[24:25]
	v_add_f64 v[18:19], v[18:19], v[10:11]
	v_add_f64 v[20:21], v[20:21], v[12:13]
	ds_load_b128 v[2:5], v1 offset:1344
	ds_load_b128 v[10:13], v1 offset:1360
	s_waitcnt vmcnt(3) lgkmcnt(1)
	v_mul_f64 v[28:29], v[2:3], v[36:37]
	v_mul_f64 v[36:37], v[4:5], v[36:37]
	s_waitcnt vmcnt(2) lgkmcnt(0)
	v_mul_f64 v[22:23], v[10:11], v[40:41]
	v_mul_f64 v[24:25], v[12:13], v[40:41]
	v_add_f64 v[18:19], v[18:19], v[26:27]
	v_add_f64 v[20:21], v[20:21], v[32:33]
	v_fma_f64 v[26:27], v[4:5], v[34:35], v[28:29]
	v_fma_f64 v[28:29], v[2:3], v[34:35], -v[36:37]
	v_fma_f64 v[12:13], v[12:13], v[38:39], v[22:23]
	v_fma_f64 v[10:11], v[10:11], v[38:39], -v[24:25]
	v_add_f64 v[18:19], v[18:19], v[14:15]
	v_add_f64 v[20:21], v[20:21], v[16:17]
	ds_load_b128 v[2:5], v1 offset:1376
	ds_load_b128 v[14:17], v1 offset:1392
	s_waitcnt vmcnt(1) lgkmcnt(1)
	v_mul_f64 v[30:31], v[2:3], v[44:45]
	v_mul_f64 v[32:33], v[4:5], v[44:45]
	s_waitcnt vmcnt(0) lgkmcnt(0)
	v_mul_f64 v[22:23], v[14:15], v[8:9]
	v_mul_f64 v[8:9], v[16:17], v[8:9]
	v_add_f64 v[18:19], v[18:19], v[28:29]
	v_add_f64 v[20:21], v[20:21], v[26:27]
	v_fma_f64 v[4:5], v[4:5], v[42:43], v[30:31]
	v_fma_f64 v[1:2], v[2:3], v[42:43], -v[32:33]
	v_fma_f64 v[16:17], v[16:17], v[6:7], v[22:23]
	v_fma_f64 v[6:7], v[14:15], v[6:7], -v[8:9]
	v_add_f64 v[10:11], v[18:19], v[10:11]
	v_add_f64 v[12:13], v[20:21], v[12:13]
	s_delay_alu instid0(VALU_DEP_2) | instskip(NEXT) | instid1(VALU_DEP_2)
	v_add_f64 v[1:2], v[10:11], v[1:2]
	v_add_f64 v[3:4], v[12:13], v[4:5]
	s_delay_alu instid0(VALU_DEP_2) | instskip(NEXT) | instid1(VALU_DEP_2)
	;; [unrolled: 3-line block ×3, first 2 shown]
	v_add_f64 v[1:2], v[179:180], -v[1:2]
	v_add_f64 v[3:4], v[181:182], -v[3:4]
	scratch_store_b128 off, v[1:4], off offset:176
	v_cmpx_lt_u32_e32 10, v134
	s_cbranch_execz .LBB107_257
; %bb.256:
	scratch_load_b128 v[1:4], v170, off
	v_mov_b32_e32 v5, 0
	s_delay_alu instid0(VALU_DEP_1)
	v_mov_b32_e32 v6, v5
	v_mov_b32_e32 v7, v5
	;; [unrolled: 1-line block ×3, first 2 shown]
	scratch_store_b128 off, v[5:8], off offset:160
	s_waitcnt vmcnt(0)
	ds_store_b128 v178, v[1:4]
.LBB107_257:
	s_or_b32 exec_lo, exec_lo, s2
	s_waitcnt lgkmcnt(0)
	s_waitcnt_vscnt null, 0x0
	s_barrier
	buffer_gl0_inv
	s_clause 0x7
	scratch_load_b128 v[2:5], off, off offset:176
	scratch_load_b128 v[6:9], off, off offset:192
	;; [unrolled: 1-line block ×8, first 2 shown]
	v_mov_b32_e32 v1, 0
	s_mov_b32 s2, exec_lo
	ds_load_b128 v[38:41], v1 offset:880
	s_clause 0x1
	scratch_load_b128 v[34:37], off, off offset:304
	scratch_load_b128 v[42:45], off, off offset:160
	ds_load_b128 v[179:182], v1 offset:896
	scratch_load_b128 v[183:186], off, off offset:320
	s_waitcnt vmcnt(10) lgkmcnt(1)
	v_mul_f64 v[187:188], v[40:41], v[4:5]
	v_mul_f64 v[4:5], v[38:39], v[4:5]
	s_delay_alu instid0(VALU_DEP_2) | instskip(NEXT) | instid1(VALU_DEP_2)
	v_fma_f64 v[193:194], v[38:39], v[2:3], -v[187:188]
	v_fma_f64 v[195:196], v[40:41], v[2:3], v[4:5]
	scratch_load_b128 v[38:41], off, off offset:336
	ds_load_b128 v[2:5], v1 offset:912
	s_waitcnt vmcnt(10) lgkmcnt(1)
	v_mul_f64 v[191:192], v[179:180], v[8:9]
	v_mul_f64 v[8:9], v[181:182], v[8:9]
	ds_load_b128 v[187:190], v1 offset:928
	s_waitcnt vmcnt(9) lgkmcnt(1)
	v_mul_f64 v[197:198], v[2:3], v[12:13]
	v_mul_f64 v[12:13], v[4:5], v[12:13]
	v_fma_f64 v[181:182], v[181:182], v[6:7], v[191:192]
	v_fma_f64 v[179:180], v[179:180], v[6:7], -v[8:9]
	v_add_f64 v[191:192], v[193:194], 0
	v_add_f64 v[193:194], v[195:196], 0
	scratch_load_b128 v[6:9], off, off offset:352
	v_fma_f64 v[197:198], v[4:5], v[10:11], v[197:198]
	v_fma_f64 v[199:200], v[2:3], v[10:11], -v[12:13]
	scratch_load_b128 v[10:13], off, off offset:368
	ds_load_b128 v[2:5], v1 offset:944
	s_waitcnt vmcnt(10) lgkmcnt(1)
	v_mul_f64 v[195:196], v[187:188], v[16:17]
	v_mul_f64 v[16:17], v[189:190], v[16:17]
	v_add_f64 v[191:192], v[191:192], v[179:180]
	v_add_f64 v[193:194], v[193:194], v[181:182]
	s_waitcnt vmcnt(9) lgkmcnt(0)
	v_mul_f64 v[201:202], v[2:3], v[20:21]
	v_mul_f64 v[20:21], v[4:5], v[20:21]
	ds_load_b128 v[179:182], v1 offset:960
	v_fma_f64 v[189:190], v[189:190], v[14:15], v[195:196]
	v_fma_f64 v[187:188], v[187:188], v[14:15], -v[16:17]
	scratch_load_b128 v[14:17], off, off offset:384
	v_add_f64 v[191:192], v[191:192], v[199:200]
	v_add_f64 v[193:194], v[193:194], v[197:198]
	v_fma_f64 v[197:198], v[4:5], v[18:19], v[201:202]
	v_fma_f64 v[199:200], v[2:3], v[18:19], -v[20:21]
	scratch_load_b128 v[18:21], off, off offset:400
	ds_load_b128 v[2:5], v1 offset:976
	s_waitcnt vmcnt(10) lgkmcnt(1)
	v_mul_f64 v[195:196], v[179:180], v[24:25]
	v_mul_f64 v[24:25], v[181:182], v[24:25]
	s_waitcnt vmcnt(9) lgkmcnt(0)
	v_mul_f64 v[201:202], v[2:3], v[28:29]
	v_mul_f64 v[28:29], v[4:5], v[28:29]
	v_add_f64 v[191:192], v[191:192], v[187:188]
	v_add_f64 v[193:194], v[193:194], v[189:190]
	ds_load_b128 v[187:190], v1 offset:992
	v_fma_f64 v[181:182], v[181:182], v[22:23], v[195:196]
	v_fma_f64 v[179:180], v[179:180], v[22:23], -v[24:25]
	scratch_load_b128 v[22:25], off, off offset:416
	v_add_f64 v[191:192], v[191:192], v[199:200]
	v_add_f64 v[193:194], v[193:194], v[197:198]
	v_fma_f64 v[197:198], v[4:5], v[26:27], v[201:202]
	v_fma_f64 v[199:200], v[2:3], v[26:27], -v[28:29]
	scratch_load_b128 v[26:29], off, off offset:432
	ds_load_b128 v[2:5], v1 offset:1008
	s_waitcnt vmcnt(10) lgkmcnt(1)
	v_mul_f64 v[195:196], v[187:188], v[32:33]
	v_mul_f64 v[32:33], v[189:190], v[32:33]
	s_waitcnt vmcnt(9) lgkmcnt(0)
	v_mul_f64 v[201:202], v[2:3], v[36:37]
	v_mul_f64 v[36:37], v[4:5], v[36:37]
	v_add_f64 v[191:192], v[191:192], v[179:180]
	v_add_f64 v[193:194], v[193:194], v[181:182]
	ds_load_b128 v[179:182], v1 offset:1024
	v_fma_f64 v[189:190], v[189:190], v[30:31], v[195:196]
	v_fma_f64 v[187:188], v[187:188], v[30:31], -v[32:33]
	scratch_load_b128 v[30:33], off, off offset:448
	v_add_f64 v[191:192], v[191:192], v[199:200]
	v_add_f64 v[193:194], v[193:194], v[197:198]
	v_fma_f64 v[199:200], v[4:5], v[34:35], v[201:202]
	v_fma_f64 v[201:202], v[2:3], v[34:35], -v[36:37]
	scratch_load_b128 v[34:37], off, off offset:464
	ds_load_b128 v[2:5], v1 offset:1040
	s_waitcnt vmcnt(9) lgkmcnt(1)
	v_mul_f64 v[195:196], v[179:180], v[185:186]
	v_mul_f64 v[197:198], v[181:182], v[185:186]
	v_add_f64 v[191:192], v[191:192], v[187:188]
	v_add_f64 v[189:190], v[193:194], v[189:190]
	ds_load_b128 v[185:188], v1 offset:1056
	v_fma_f64 v[195:196], v[181:182], v[183:184], v[195:196]
	v_fma_f64 v[183:184], v[179:180], v[183:184], -v[197:198]
	scratch_load_b128 v[179:182], off, off offset:480
	s_waitcnt vmcnt(9) lgkmcnt(1)
	v_mul_f64 v[193:194], v[2:3], v[40:41]
	v_mul_f64 v[40:41], v[4:5], v[40:41]
	v_add_f64 v[191:192], v[191:192], v[201:202]
	v_add_f64 v[189:190], v[189:190], v[199:200]
	s_delay_alu instid0(VALU_DEP_4) | instskip(NEXT) | instid1(VALU_DEP_4)
	v_fma_f64 v[193:194], v[4:5], v[38:39], v[193:194]
	v_fma_f64 v[199:200], v[2:3], v[38:39], -v[40:41]
	scratch_load_b128 v[38:41], off, off offset:496
	ds_load_b128 v[2:5], v1 offset:1072
	s_waitcnt vmcnt(9) lgkmcnt(1)
	v_mul_f64 v[197:198], v[185:186], v[8:9]
	v_mul_f64 v[8:9], v[187:188], v[8:9]
	s_waitcnt vmcnt(8) lgkmcnt(0)
	v_mul_f64 v[201:202], v[2:3], v[12:13]
	v_mul_f64 v[12:13], v[4:5], v[12:13]
	v_add_f64 v[183:184], v[191:192], v[183:184]
	v_add_f64 v[195:196], v[189:190], v[195:196]
	ds_load_b128 v[189:192], v1 offset:1088
	v_fma_f64 v[187:188], v[187:188], v[6:7], v[197:198]
	v_fma_f64 v[185:186], v[185:186], v[6:7], -v[8:9]
	scratch_load_b128 v[6:9], off, off offset:512
	v_fma_f64 v[197:198], v[4:5], v[10:11], v[201:202]
	v_add_f64 v[183:184], v[183:184], v[199:200]
	v_add_f64 v[193:194], v[195:196], v[193:194]
	v_fma_f64 v[199:200], v[2:3], v[10:11], -v[12:13]
	scratch_load_b128 v[10:13], off, off offset:528
	ds_load_b128 v[2:5], v1 offset:1104
	s_waitcnt vmcnt(9) lgkmcnt(1)
	v_mul_f64 v[195:196], v[189:190], v[16:17]
	v_mul_f64 v[16:17], v[191:192], v[16:17]
	v_add_f64 v[201:202], v[183:184], v[185:186]
	v_add_f64 v[187:188], v[193:194], v[187:188]
	s_waitcnt vmcnt(8) lgkmcnt(0)
	v_mul_f64 v[193:194], v[2:3], v[20:21]
	v_mul_f64 v[20:21], v[4:5], v[20:21]
	ds_load_b128 v[183:186], v1 offset:1120
	v_fma_f64 v[191:192], v[191:192], v[14:15], v[195:196]
	v_fma_f64 v[189:190], v[189:190], v[14:15], -v[16:17]
	scratch_load_b128 v[14:17], off, off offset:544
	v_add_f64 v[195:196], v[201:202], v[199:200]
	v_add_f64 v[187:188], v[187:188], v[197:198]
	v_fma_f64 v[193:194], v[4:5], v[18:19], v[193:194]
	v_fma_f64 v[199:200], v[2:3], v[18:19], -v[20:21]
	scratch_load_b128 v[18:21], off, off offset:560
	ds_load_b128 v[2:5], v1 offset:1136
	s_waitcnt vmcnt(9) lgkmcnt(1)
	v_mul_f64 v[197:198], v[183:184], v[24:25]
	v_mul_f64 v[24:25], v[185:186], v[24:25]
	s_waitcnt vmcnt(8) lgkmcnt(0)
	v_mul_f64 v[201:202], v[2:3], v[28:29]
	v_mul_f64 v[28:29], v[4:5], v[28:29]
	v_add_f64 v[195:196], v[195:196], v[189:190]
	v_add_f64 v[191:192], v[187:188], v[191:192]
	ds_load_b128 v[187:190], v1 offset:1152
	v_fma_f64 v[185:186], v[185:186], v[22:23], v[197:198]
	v_fma_f64 v[183:184], v[183:184], v[22:23], -v[24:25]
	scratch_load_b128 v[22:25], off, off offset:576
	v_fma_f64 v[197:198], v[4:5], v[26:27], v[201:202]
	v_add_f64 v[195:196], v[195:196], v[199:200]
	v_add_f64 v[191:192], v[191:192], v[193:194]
	v_fma_f64 v[199:200], v[2:3], v[26:27], -v[28:29]
	scratch_load_b128 v[26:29], off, off offset:592
	ds_load_b128 v[2:5], v1 offset:1168
	s_waitcnt vmcnt(9) lgkmcnt(1)
	v_mul_f64 v[193:194], v[187:188], v[32:33]
	v_mul_f64 v[32:33], v[189:190], v[32:33]
	s_waitcnt vmcnt(8) lgkmcnt(0)
	v_mul_f64 v[201:202], v[2:3], v[36:37]
	v_mul_f64 v[36:37], v[4:5], v[36:37]
	v_add_f64 v[195:196], v[195:196], v[183:184]
	v_add_f64 v[191:192], v[191:192], v[185:186]
	ds_load_b128 v[183:186], v1 offset:1184
	v_fma_f64 v[189:190], v[189:190], v[30:31], v[193:194]
	v_fma_f64 v[187:188], v[187:188], v[30:31], -v[32:33]
	scratch_load_b128 v[30:33], off, off offset:608
	v_add_f64 v[193:194], v[195:196], v[199:200]
	v_add_f64 v[191:192], v[191:192], v[197:198]
	v_fma_f64 v[197:198], v[4:5], v[34:35], v[201:202]
	v_fma_f64 v[199:200], v[2:3], v[34:35], -v[36:37]
	scratch_load_b128 v[34:37], off, off offset:624
	ds_load_b128 v[2:5], v1 offset:1200
	s_waitcnt vmcnt(9) lgkmcnt(1)
	v_mul_f64 v[195:196], v[183:184], v[181:182]
	v_mul_f64 v[181:182], v[185:186], v[181:182]
	s_waitcnt vmcnt(8) lgkmcnt(0)
	v_mul_f64 v[201:202], v[2:3], v[40:41]
	v_mul_f64 v[40:41], v[4:5], v[40:41]
	v_add_f64 v[193:194], v[193:194], v[187:188]
	v_add_f64 v[191:192], v[191:192], v[189:190]
	ds_load_b128 v[187:190], v1 offset:1216
	v_fma_f64 v[185:186], v[185:186], v[179:180], v[195:196]
	v_fma_f64 v[183:184], v[183:184], v[179:180], -v[181:182]
	scratch_load_b128 v[179:182], off, off offset:640
	v_add_f64 v[193:194], v[193:194], v[199:200]
	v_add_f64 v[191:192], v[191:192], v[197:198]
	v_fma_f64 v[197:198], v[4:5], v[38:39], v[201:202]
	;; [unrolled: 18-line block ×3, first 2 shown]
	v_fma_f64 v[199:200], v[2:3], v[10:11], -v[12:13]
	scratch_load_b128 v[10:13], off, off offset:688
	ds_load_b128 v[2:5], v1 offset:1264
	s_waitcnt vmcnt(9) lgkmcnt(1)
	v_mul_f64 v[195:196], v[183:184], v[16:17]
	v_mul_f64 v[16:17], v[185:186], v[16:17]
	s_waitcnt vmcnt(8) lgkmcnt(0)
	v_mul_f64 v[201:202], v[2:3], v[20:21]
	v_mul_f64 v[20:21], v[4:5], v[20:21]
	v_add_f64 v[193:194], v[193:194], v[187:188]
	v_add_f64 v[191:192], v[191:192], v[189:190]
	ds_load_b128 v[187:190], v1 offset:1280
	v_fma_f64 v[185:186], v[185:186], v[14:15], v[195:196]
	v_fma_f64 v[14:15], v[183:184], v[14:15], -v[16:17]
	v_add_f64 v[16:17], v[193:194], v[199:200]
	v_add_f64 v[183:184], v[191:192], v[197:198]
	s_waitcnt vmcnt(7) lgkmcnt(0)
	v_mul_f64 v[191:192], v[187:188], v[24:25]
	v_mul_f64 v[24:25], v[189:190], v[24:25]
	v_fma_f64 v[193:194], v[4:5], v[18:19], v[201:202]
	v_fma_f64 v[18:19], v[2:3], v[18:19], -v[20:21]
	v_add_f64 v[20:21], v[16:17], v[14:15]
	v_add_f64 v[183:184], v[183:184], v[185:186]
	ds_load_b128 v[2:5], v1 offset:1296
	ds_load_b128 v[14:17], v1 offset:1312
	v_fma_f64 v[189:190], v[189:190], v[22:23], v[191:192]
	v_fma_f64 v[22:23], v[187:188], v[22:23], -v[24:25]
	s_waitcnt vmcnt(6) lgkmcnt(1)
	v_mul_f64 v[185:186], v[2:3], v[28:29]
	v_mul_f64 v[28:29], v[4:5], v[28:29]
	s_waitcnt vmcnt(5) lgkmcnt(0)
	v_mul_f64 v[24:25], v[14:15], v[32:33]
	v_mul_f64 v[32:33], v[16:17], v[32:33]
	v_add_f64 v[18:19], v[20:21], v[18:19]
	v_add_f64 v[20:21], v[183:184], v[193:194]
	v_fma_f64 v[183:184], v[4:5], v[26:27], v[185:186]
	v_fma_f64 v[26:27], v[2:3], v[26:27], -v[28:29]
	v_fma_f64 v[16:17], v[16:17], v[30:31], v[24:25]
	v_fma_f64 v[14:15], v[14:15], v[30:31], -v[32:33]
	v_add_f64 v[22:23], v[18:19], v[22:23]
	v_add_f64 v[28:29], v[20:21], v[189:190]
	ds_load_b128 v[2:5], v1 offset:1328
	ds_load_b128 v[18:21], v1 offset:1344
	s_waitcnt vmcnt(4) lgkmcnt(1)
	v_mul_f64 v[185:186], v[2:3], v[36:37]
	v_mul_f64 v[36:37], v[4:5], v[36:37]
	v_add_f64 v[22:23], v[22:23], v[26:27]
	v_add_f64 v[24:25], v[28:29], v[183:184]
	s_waitcnt vmcnt(3) lgkmcnt(0)
	v_mul_f64 v[26:27], v[18:19], v[181:182]
	v_mul_f64 v[28:29], v[20:21], v[181:182]
	v_fma_f64 v[30:31], v[4:5], v[34:35], v[185:186]
	v_fma_f64 v[32:33], v[2:3], v[34:35], -v[36:37]
	v_add_f64 v[22:23], v[22:23], v[14:15]
	v_add_f64 v[24:25], v[24:25], v[16:17]
	ds_load_b128 v[2:5], v1 offset:1360
	ds_load_b128 v[14:17], v1 offset:1376
	v_fma_f64 v[20:21], v[20:21], v[179:180], v[26:27]
	v_fma_f64 v[18:19], v[18:19], v[179:180], -v[28:29]
	s_waitcnt vmcnt(2) lgkmcnt(1)
	v_mul_f64 v[34:35], v[2:3], v[40:41]
	v_mul_f64 v[36:37], v[4:5], v[40:41]
	s_waitcnt vmcnt(1) lgkmcnt(0)
	v_mul_f64 v[26:27], v[14:15], v[8:9]
	v_mul_f64 v[8:9], v[16:17], v[8:9]
	v_add_f64 v[22:23], v[22:23], v[32:33]
	v_add_f64 v[24:25], v[24:25], v[30:31]
	v_fma_f64 v[28:29], v[4:5], v[38:39], v[34:35]
	v_fma_f64 v[30:31], v[2:3], v[38:39], -v[36:37]
	ds_load_b128 v[2:5], v1 offset:1392
	v_fma_f64 v[16:17], v[16:17], v[6:7], v[26:27]
	v_fma_f64 v[6:7], v[14:15], v[6:7], -v[8:9]
	v_add_f64 v[18:19], v[22:23], v[18:19]
	v_add_f64 v[20:21], v[24:25], v[20:21]
	s_waitcnt vmcnt(0) lgkmcnt(0)
	v_mul_f64 v[22:23], v[2:3], v[12:13]
	v_mul_f64 v[12:13], v[4:5], v[12:13]
	s_delay_alu instid0(VALU_DEP_4) | instskip(NEXT) | instid1(VALU_DEP_4)
	v_add_f64 v[8:9], v[18:19], v[30:31]
	v_add_f64 v[14:15], v[20:21], v[28:29]
	s_delay_alu instid0(VALU_DEP_4) | instskip(NEXT) | instid1(VALU_DEP_4)
	v_fma_f64 v[4:5], v[4:5], v[10:11], v[22:23]
	v_fma_f64 v[2:3], v[2:3], v[10:11], -v[12:13]
	s_delay_alu instid0(VALU_DEP_4) | instskip(NEXT) | instid1(VALU_DEP_4)
	v_add_f64 v[6:7], v[8:9], v[6:7]
	v_add_f64 v[8:9], v[14:15], v[16:17]
	s_delay_alu instid0(VALU_DEP_2) | instskip(NEXT) | instid1(VALU_DEP_2)
	v_add_f64 v[2:3], v[6:7], v[2:3]
	v_add_f64 v[4:5], v[8:9], v[4:5]
	s_delay_alu instid0(VALU_DEP_2) | instskip(NEXT) | instid1(VALU_DEP_2)
	v_add_f64 v[2:3], v[42:43], -v[2:3]
	v_add_f64 v[4:5], v[44:45], -v[4:5]
	scratch_store_b128 off, v[2:5], off offset:160
	v_cmpx_lt_u32_e32 9, v134
	s_cbranch_execz .LBB107_259
; %bb.258:
	scratch_load_b128 v[5:8], v171, off
	v_mov_b32_e32 v2, v1
	v_mov_b32_e32 v3, v1
	;; [unrolled: 1-line block ×3, first 2 shown]
	scratch_store_b128 off, v[1:4], off offset:144
	s_waitcnt vmcnt(0)
	ds_store_b128 v178, v[5:8]
.LBB107_259:
	s_or_b32 exec_lo, exec_lo, s2
	s_waitcnt lgkmcnt(0)
	s_waitcnt_vscnt null, 0x0
	s_barrier
	buffer_gl0_inv
	s_clause 0x8
	scratch_load_b128 v[2:5], off, off offset:160
	scratch_load_b128 v[6:9], off, off offset:176
	;; [unrolled: 1-line block ×9, first 2 shown]
	ds_load_b128 v[42:45], v1 offset:864
	ds_load_b128 v[38:41], v1 offset:880
	s_clause 0x1
	scratch_load_b128 v[179:182], off, off offset:144
	scratch_load_b128 v[183:186], off, off offset:304
	s_mov_b32 s2, exec_lo
	s_waitcnt vmcnt(10) lgkmcnt(1)
	v_mul_f64 v[187:188], v[44:45], v[4:5]
	v_mul_f64 v[4:5], v[42:43], v[4:5]
	s_waitcnt vmcnt(9) lgkmcnt(0)
	v_mul_f64 v[191:192], v[38:39], v[8:9]
	v_mul_f64 v[8:9], v[40:41], v[8:9]
	s_delay_alu instid0(VALU_DEP_4) | instskip(NEXT) | instid1(VALU_DEP_4)
	v_fma_f64 v[193:194], v[42:43], v[2:3], -v[187:188]
	v_fma_f64 v[195:196], v[44:45], v[2:3], v[4:5]
	ds_load_b128 v[2:5], v1 offset:896
	ds_load_b128 v[187:190], v1 offset:912
	scratch_load_b128 v[42:45], off, off offset:320
	v_fma_f64 v[40:41], v[40:41], v[6:7], v[191:192]
	v_fma_f64 v[38:39], v[38:39], v[6:7], -v[8:9]
	scratch_load_b128 v[6:9], off, off offset:336
	s_waitcnt vmcnt(10) lgkmcnt(1)
	v_mul_f64 v[197:198], v[2:3], v[12:13]
	v_mul_f64 v[12:13], v[4:5], v[12:13]
	v_add_f64 v[191:192], v[193:194], 0
	v_add_f64 v[193:194], v[195:196], 0
	s_waitcnt vmcnt(9) lgkmcnt(0)
	v_mul_f64 v[195:196], v[187:188], v[16:17]
	v_mul_f64 v[16:17], v[189:190], v[16:17]
	v_fma_f64 v[197:198], v[4:5], v[10:11], v[197:198]
	v_fma_f64 v[199:200], v[2:3], v[10:11], -v[12:13]
	ds_load_b128 v[2:5], v1 offset:928
	scratch_load_b128 v[10:13], off, off offset:352
	v_add_f64 v[191:192], v[191:192], v[38:39]
	v_add_f64 v[193:194], v[193:194], v[40:41]
	ds_load_b128 v[38:41], v1 offset:944
	v_fma_f64 v[189:190], v[189:190], v[14:15], v[195:196]
	v_fma_f64 v[187:188], v[187:188], v[14:15], -v[16:17]
	scratch_load_b128 v[14:17], off, off offset:368
	s_waitcnt vmcnt(10) lgkmcnt(1)
	v_mul_f64 v[201:202], v[2:3], v[20:21]
	v_mul_f64 v[20:21], v[4:5], v[20:21]
	s_waitcnt vmcnt(9) lgkmcnt(0)
	v_mul_f64 v[195:196], v[38:39], v[24:25]
	v_mul_f64 v[24:25], v[40:41], v[24:25]
	v_add_f64 v[191:192], v[191:192], v[199:200]
	v_add_f64 v[193:194], v[193:194], v[197:198]
	v_fma_f64 v[197:198], v[4:5], v[18:19], v[201:202]
	v_fma_f64 v[199:200], v[2:3], v[18:19], -v[20:21]
	ds_load_b128 v[2:5], v1 offset:960
	scratch_load_b128 v[18:21], off, off offset:384
	v_fma_f64 v[40:41], v[40:41], v[22:23], v[195:196]
	v_fma_f64 v[38:39], v[38:39], v[22:23], -v[24:25]
	scratch_load_b128 v[22:25], off, off offset:400
	v_add_f64 v[191:192], v[191:192], v[187:188]
	v_add_f64 v[193:194], v[193:194], v[189:190]
	ds_load_b128 v[187:190], v1 offset:976
	s_waitcnt vmcnt(10) lgkmcnt(1)
	v_mul_f64 v[201:202], v[2:3], v[28:29]
	v_mul_f64 v[28:29], v[4:5], v[28:29]
	s_waitcnt vmcnt(9) lgkmcnt(0)
	v_mul_f64 v[195:196], v[187:188], v[32:33]
	v_mul_f64 v[32:33], v[189:190], v[32:33]
	v_add_f64 v[191:192], v[191:192], v[199:200]
	v_add_f64 v[193:194], v[193:194], v[197:198]
	v_fma_f64 v[197:198], v[4:5], v[26:27], v[201:202]
	v_fma_f64 v[199:200], v[2:3], v[26:27], -v[28:29]
	ds_load_b128 v[2:5], v1 offset:992
	scratch_load_b128 v[26:29], off, off offset:416
	v_fma_f64 v[189:190], v[189:190], v[30:31], v[195:196]
	v_fma_f64 v[187:188], v[187:188], v[30:31], -v[32:33]
	scratch_load_b128 v[30:33], off, off offset:432
	v_add_f64 v[191:192], v[191:192], v[38:39]
	v_add_f64 v[193:194], v[193:194], v[40:41]
	ds_load_b128 v[38:41], v1 offset:1008
	s_waitcnt vmcnt(10) lgkmcnt(1)
	v_mul_f64 v[201:202], v[2:3], v[36:37]
	v_mul_f64 v[36:37], v[4:5], v[36:37]
	s_waitcnt vmcnt(8) lgkmcnt(0)
	v_mul_f64 v[195:196], v[38:39], v[185:186]
	v_add_f64 v[191:192], v[191:192], v[199:200]
	v_add_f64 v[193:194], v[193:194], v[197:198]
	v_mul_f64 v[197:198], v[40:41], v[185:186]
	v_fma_f64 v[199:200], v[4:5], v[34:35], v[201:202]
	v_fma_f64 v[201:202], v[2:3], v[34:35], -v[36:37]
	ds_load_b128 v[2:5], v1 offset:1024
	scratch_load_b128 v[34:37], off, off offset:448
	v_fma_f64 v[195:196], v[40:41], v[183:184], v[195:196]
	v_add_f64 v[191:192], v[191:192], v[187:188]
	v_add_f64 v[189:190], v[193:194], v[189:190]
	ds_load_b128 v[185:188], v1 offset:1040
	v_fma_f64 v[183:184], v[38:39], v[183:184], -v[197:198]
	scratch_load_b128 v[38:41], off, off offset:464
	s_waitcnt vmcnt(9) lgkmcnt(1)
	v_mul_f64 v[193:194], v[2:3], v[44:45]
	v_mul_f64 v[44:45], v[4:5], v[44:45]
	s_waitcnt vmcnt(8) lgkmcnt(0)
	v_mul_f64 v[197:198], v[185:186], v[8:9]
	v_mul_f64 v[8:9], v[187:188], v[8:9]
	v_add_f64 v[191:192], v[191:192], v[201:202]
	v_add_f64 v[189:190], v[189:190], v[199:200]
	v_fma_f64 v[193:194], v[4:5], v[42:43], v[193:194]
	v_fma_f64 v[199:200], v[2:3], v[42:43], -v[44:45]
	ds_load_b128 v[2:5], v1 offset:1056
	scratch_load_b128 v[42:45], off, off offset:480
	v_fma_f64 v[187:188], v[187:188], v[6:7], v[197:198]
	v_fma_f64 v[185:186], v[185:186], v[6:7], -v[8:9]
	scratch_load_b128 v[6:9], off, off offset:496
	v_add_f64 v[183:184], v[191:192], v[183:184]
	v_add_f64 v[195:196], v[189:190], v[195:196]
	ds_load_b128 v[189:192], v1 offset:1072
	s_waitcnt vmcnt(9) lgkmcnt(1)
	v_mul_f64 v[201:202], v[2:3], v[12:13]
	v_mul_f64 v[12:13], v[4:5], v[12:13]
	v_add_f64 v[183:184], v[183:184], v[199:200]
	v_add_f64 v[193:194], v[195:196], v[193:194]
	s_waitcnt vmcnt(8) lgkmcnt(0)
	v_mul_f64 v[195:196], v[189:190], v[16:17]
	v_mul_f64 v[16:17], v[191:192], v[16:17]
	v_fma_f64 v[197:198], v[4:5], v[10:11], v[201:202]
	v_fma_f64 v[199:200], v[2:3], v[10:11], -v[12:13]
	ds_load_b128 v[2:5], v1 offset:1088
	scratch_load_b128 v[10:13], off, off offset:512
	v_add_f64 v[201:202], v[183:184], v[185:186]
	v_add_f64 v[187:188], v[193:194], v[187:188]
	ds_load_b128 v[183:186], v1 offset:1104
	s_waitcnt vmcnt(8) lgkmcnt(1)
	v_mul_f64 v[193:194], v[2:3], v[20:21]
	v_mul_f64 v[20:21], v[4:5], v[20:21]
	v_fma_f64 v[191:192], v[191:192], v[14:15], v[195:196]
	v_fma_f64 v[189:190], v[189:190], v[14:15], -v[16:17]
	scratch_load_b128 v[14:17], off, off offset:528
	v_add_f64 v[195:196], v[201:202], v[199:200]
	v_add_f64 v[187:188], v[187:188], v[197:198]
	s_waitcnt vmcnt(8) lgkmcnt(0)
	v_mul_f64 v[197:198], v[183:184], v[24:25]
	v_mul_f64 v[24:25], v[185:186], v[24:25]
	v_fma_f64 v[193:194], v[4:5], v[18:19], v[193:194]
	v_fma_f64 v[199:200], v[2:3], v[18:19], -v[20:21]
	ds_load_b128 v[2:5], v1 offset:1120
	scratch_load_b128 v[18:21], off, off offset:544
	v_add_f64 v[195:196], v[195:196], v[189:190]
	v_add_f64 v[191:192], v[187:188], v[191:192]
	ds_load_b128 v[187:190], v1 offset:1136
	s_waitcnt vmcnt(8) lgkmcnt(1)
	v_mul_f64 v[201:202], v[2:3], v[28:29]
	v_mul_f64 v[28:29], v[4:5], v[28:29]
	v_fma_f64 v[185:186], v[185:186], v[22:23], v[197:198]
	v_fma_f64 v[183:184], v[183:184], v[22:23], -v[24:25]
	scratch_load_b128 v[22:25], off, off offset:560
	;; [unrolled: 18-line block ×4, first 2 shown]
	s_waitcnt vmcnt(8) lgkmcnt(0)
	v_mul_f64 v[195:196], v[187:188], v[8:9]
	v_mul_f64 v[8:9], v[189:190], v[8:9]
	v_add_f64 v[193:194], v[193:194], v[199:200]
	v_add_f64 v[191:192], v[191:192], v[197:198]
	v_fma_f64 v[197:198], v[4:5], v[42:43], v[201:202]
	v_fma_f64 v[199:200], v[2:3], v[42:43], -v[44:45]
	ds_load_b128 v[2:5], v1 offset:1216
	scratch_load_b128 v[42:45], off, off offset:640
	v_fma_f64 v[189:190], v[189:190], v[6:7], v[195:196]
	v_fma_f64 v[187:188], v[187:188], v[6:7], -v[8:9]
	scratch_load_b128 v[6:9], off, off offset:656
	v_add_f64 v[193:194], v[193:194], v[183:184]
	v_add_f64 v[191:192], v[191:192], v[185:186]
	ds_load_b128 v[183:186], v1 offset:1232
	s_waitcnt vmcnt(9) lgkmcnt(1)
	v_mul_f64 v[201:202], v[2:3], v[12:13]
	v_mul_f64 v[12:13], v[4:5], v[12:13]
	s_waitcnt vmcnt(8) lgkmcnt(0)
	v_mul_f64 v[195:196], v[183:184], v[16:17]
	v_mul_f64 v[16:17], v[185:186], v[16:17]
	v_add_f64 v[193:194], v[193:194], v[199:200]
	v_add_f64 v[191:192], v[191:192], v[197:198]
	v_fma_f64 v[197:198], v[4:5], v[10:11], v[201:202]
	v_fma_f64 v[199:200], v[2:3], v[10:11], -v[12:13]
	ds_load_b128 v[2:5], v1 offset:1248
	scratch_load_b128 v[10:13], off, off offset:672
	v_fma_f64 v[185:186], v[185:186], v[14:15], v[195:196]
	v_fma_f64 v[183:184], v[183:184], v[14:15], -v[16:17]
	scratch_load_b128 v[14:17], off, off offset:688
	v_add_f64 v[193:194], v[193:194], v[187:188]
	v_add_f64 v[191:192], v[191:192], v[189:190]
	ds_load_b128 v[187:190], v1 offset:1264
	s_waitcnt vmcnt(9) lgkmcnt(1)
	v_mul_f64 v[201:202], v[2:3], v[20:21]
	v_mul_f64 v[20:21], v[4:5], v[20:21]
	s_waitcnt vmcnt(8) lgkmcnt(0)
	v_mul_f64 v[195:196], v[187:188], v[24:25]
	v_mul_f64 v[24:25], v[189:190], v[24:25]
	v_add_f64 v[193:194], v[193:194], v[199:200]
	v_add_f64 v[191:192], v[191:192], v[197:198]
	v_fma_f64 v[197:198], v[4:5], v[18:19], v[201:202]
	v_fma_f64 v[199:200], v[2:3], v[18:19], -v[20:21]
	ds_load_b128 v[2:5], v1 offset:1280
	ds_load_b128 v[18:21], v1 offset:1296
	v_fma_f64 v[189:190], v[189:190], v[22:23], v[195:196]
	v_fma_f64 v[22:23], v[187:188], v[22:23], -v[24:25]
	v_add_f64 v[183:184], v[193:194], v[183:184]
	v_add_f64 v[185:186], v[191:192], v[185:186]
	s_waitcnt vmcnt(7) lgkmcnt(1)
	v_mul_f64 v[191:192], v[2:3], v[28:29]
	v_mul_f64 v[28:29], v[4:5], v[28:29]
	s_delay_alu instid0(VALU_DEP_4) | instskip(NEXT) | instid1(VALU_DEP_4)
	v_add_f64 v[24:25], v[183:184], v[199:200]
	v_add_f64 v[183:184], v[185:186], v[197:198]
	s_waitcnt vmcnt(6) lgkmcnt(0)
	v_mul_f64 v[185:186], v[18:19], v[32:33]
	v_mul_f64 v[32:33], v[20:21], v[32:33]
	v_fma_f64 v[187:188], v[4:5], v[26:27], v[191:192]
	v_fma_f64 v[26:27], v[2:3], v[26:27], -v[28:29]
	v_add_f64 v[28:29], v[24:25], v[22:23]
	v_add_f64 v[183:184], v[183:184], v[189:190]
	ds_load_b128 v[2:5], v1 offset:1312
	ds_load_b128 v[22:25], v1 offset:1328
	v_fma_f64 v[20:21], v[20:21], v[30:31], v[185:186]
	v_fma_f64 v[18:19], v[18:19], v[30:31], -v[32:33]
	s_waitcnt vmcnt(5) lgkmcnt(1)
	v_mul_f64 v[189:190], v[2:3], v[36:37]
	v_mul_f64 v[36:37], v[4:5], v[36:37]
	s_waitcnt vmcnt(4) lgkmcnt(0)
	v_mul_f64 v[30:31], v[22:23], v[40:41]
	v_mul_f64 v[32:33], v[24:25], v[40:41]
	v_add_f64 v[26:27], v[28:29], v[26:27]
	v_add_f64 v[28:29], v[183:184], v[187:188]
	v_fma_f64 v[40:41], v[4:5], v[34:35], v[189:190]
	v_fma_f64 v[34:35], v[2:3], v[34:35], -v[36:37]
	v_fma_f64 v[24:25], v[24:25], v[38:39], v[30:31]
	v_fma_f64 v[22:23], v[22:23], v[38:39], -v[32:33]
	v_add_f64 v[26:27], v[26:27], v[18:19]
	v_add_f64 v[28:29], v[28:29], v[20:21]
	ds_load_b128 v[2:5], v1 offset:1344
	ds_load_b128 v[18:21], v1 offset:1360
	s_waitcnt vmcnt(3) lgkmcnt(1)
	v_mul_f64 v[36:37], v[2:3], v[44:45]
	v_mul_f64 v[44:45], v[4:5], v[44:45]
	s_waitcnt vmcnt(2) lgkmcnt(0)
	v_mul_f64 v[30:31], v[18:19], v[8:9]
	v_mul_f64 v[8:9], v[20:21], v[8:9]
	v_add_f64 v[26:27], v[26:27], v[34:35]
	v_add_f64 v[28:29], v[28:29], v[40:41]
	v_fma_f64 v[32:33], v[4:5], v[42:43], v[36:37]
	v_fma_f64 v[34:35], v[2:3], v[42:43], -v[44:45]
	v_fma_f64 v[20:21], v[20:21], v[6:7], v[30:31]
	v_fma_f64 v[6:7], v[18:19], v[6:7], -v[8:9]
	v_add_f64 v[26:27], v[26:27], v[22:23]
	v_add_f64 v[28:29], v[28:29], v[24:25]
	ds_load_b128 v[2:5], v1 offset:1376
	ds_load_b128 v[22:25], v1 offset:1392
	s_waitcnt vmcnt(1) lgkmcnt(1)
	v_mul_f64 v[36:37], v[2:3], v[12:13]
	v_mul_f64 v[12:13], v[4:5], v[12:13]
	v_add_f64 v[8:9], v[26:27], v[34:35]
	v_add_f64 v[18:19], v[28:29], v[32:33]
	s_waitcnt vmcnt(0) lgkmcnt(0)
	v_mul_f64 v[26:27], v[22:23], v[16:17]
	v_mul_f64 v[16:17], v[24:25], v[16:17]
	v_fma_f64 v[4:5], v[4:5], v[10:11], v[36:37]
	v_fma_f64 v[1:2], v[2:3], v[10:11], -v[12:13]
	v_add_f64 v[6:7], v[8:9], v[6:7]
	v_add_f64 v[8:9], v[18:19], v[20:21]
	v_fma_f64 v[10:11], v[24:25], v[14:15], v[26:27]
	v_fma_f64 v[12:13], v[22:23], v[14:15], -v[16:17]
	s_delay_alu instid0(VALU_DEP_4) | instskip(NEXT) | instid1(VALU_DEP_4)
	v_add_f64 v[1:2], v[6:7], v[1:2]
	v_add_f64 v[3:4], v[8:9], v[4:5]
	s_delay_alu instid0(VALU_DEP_2) | instskip(NEXT) | instid1(VALU_DEP_2)
	v_add_f64 v[1:2], v[1:2], v[12:13]
	v_add_f64 v[3:4], v[3:4], v[10:11]
	s_delay_alu instid0(VALU_DEP_2) | instskip(NEXT) | instid1(VALU_DEP_2)
	v_add_f64 v[1:2], v[179:180], -v[1:2]
	v_add_f64 v[3:4], v[181:182], -v[3:4]
	scratch_store_b128 off, v[1:4], off offset:144
	v_cmpx_lt_u32_e32 8, v134
	s_cbranch_execz .LBB107_261
; %bb.260:
	scratch_load_b128 v[1:4], v172, off
	v_mov_b32_e32 v5, 0
	s_delay_alu instid0(VALU_DEP_1)
	v_mov_b32_e32 v6, v5
	v_mov_b32_e32 v7, v5
	;; [unrolled: 1-line block ×3, first 2 shown]
	scratch_store_b128 off, v[5:8], off offset:128
	s_waitcnt vmcnt(0)
	ds_store_b128 v178, v[1:4]
.LBB107_261:
	s_or_b32 exec_lo, exec_lo, s2
	s_waitcnt lgkmcnt(0)
	s_waitcnt_vscnt null, 0x0
	s_barrier
	buffer_gl0_inv
	s_clause 0x7
	scratch_load_b128 v[2:5], off, off offset:144
	scratch_load_b128 v[6:9], off, off offset:160
	;; [unrolled: 1-line block ×8, first 2 shown]
	v_mov_b32_e32 v1, 0
	s_mov_b32 s2, exec_lo
	ds_load_b128 v[38:41], v1 offset:848
	s_clause 0x1
	scratch_load_b128 v[34:37], off, off offset:272
	scratch_load_b128 v[42:45], off, off offset:128
	ds_load_b128 v[179:182], v1 offset:864
	scratch_load_b128 v[183:186], off, off offset:288
	s_waitcnt vmcnt(10) lgkmcnt(1)
	v_mul_f64 v[187:188], v[40:41], v[4:5]
	v_mul_f64 v[4:5], v[38:39], v[4:5]
	s_delay_alu instid0(VALU_DEP_2) | instskip(NEXT) | instid1(VALU_DEP_2)
	v_fma_f64 v[193:194], v[38:39], v[2:3], -v[187:188]
	v_fma_f64 v[195:196], v[40:41], v[2:3], v[4:5]
	scratch_load_b128 v[38:41], off, off offset:304
	ds_load_b128 v[2:5], v1 offset:880
	s_waitcnt vmcnt(10) lgkmcnt(1)
	v_mul_f64 v[191:192], v[179:180], v[8:9]
	v_mul_f64 v[8:9], v[181:182], v[8:9]
	ds_load_b128 v[187:190], v1 offset:896
	s_waitcnt vmcnt(9) lgkmcnt(1)
	v_mul_f64 v[197:198], v[2:3], v[12:13]
	v_mul_f64 v[12:13], v[4:5], v[12:13]
	v_fma_f64 v[181:182], v[181:182], v[6:7], v[191:192]
	v_fma_f64 v[179:180], v[179:180], v[6:7], -v[8:9]
	v_add_f64 v[191:192], v[193:194], 0
	v_add_f64 v[193:194], v[195:196], 0
	scratch_load_b128 v[6:9], off, off offset:320
	v_fma_f64 v[197:198], v[4:5], v[10:11], v[197:198]
	v_fma_f64 v[199:200], v[2:3], v[10:11], -v[12:13]
	scratch_load_b128 v[10:13], off, off offset:336
	ds_load_b128 v[2:5], v1 offset:912
	s_waitcnt vmcnt(10) lgkmcnt(1)
	v_mul_f64 v[195:196], v[187:188], v[16:17]
	v_mul_f64 v[16:17], v[189:190], v[16:17]
	v_add_f64 v[191:192], v[191:192], v[179:180]
	v_add_f64 v[193:194], v[193:194], v[181:182]
	s_waitcnt vmcnt(9) lgkmcnt(0)
	v_mul_f64 v[201:202], v[2:3], v[20:21]
	v_mul_f64 v[20:21], v[4:5], v[20:21]
	ds_load_b128 v[179:182], v1 offset:928
	v_fma_f64 v[189:190], v[189:190], v[14:15], v[195:196]
	v_fma_f64 v[187:188], v[187:188], v[14:15], -v[16:17]
	scratch_load_b128 v[14:17], off, off offset:352
	v_add_f64 v[191:192], v[191:192], v[199:200]
	v_add_f64 v[193:194], v[193:194], v[197:198]
	v_fma_f64 v[197:198], v[4:5], v[18:19], v[201:202]
	v_fma_f64 v[199:200], v[2:3], v[18:19], -v[20:21]
	scratch_load_b128 v[18:21], off, off offset:368
	ds_load_b128 v[2:5], v1 offset:944
	s_waitcnt vmcnt(10) lgkmcnt(1)
	v_mul_f64 v[195:196], v[179:180], v[24:25]
	v_mul_f64 v[24:25], v[181:182], v[24:25]
	s_waitcnt vmcnt(9) lgkmcnt(0)
	v_mul_f64 v[201:202], v[2:3], v[28:29]
	v_mul_f64 v[28:29], v[4:5], v[28:29]
	v_add_f64 v[191:192], v[191:192], v[187:188]
	v_add_f64 v[193:194], v[193:194], v[189:190]
	ds_load_b128 v[187:190], v1 offset:960
	v_fma_f64 v[181:182], v[181:182], v[22:23], v[195:196]
	v_fma_f64 v[179:180], v[179:180], v[22:23], -v[24:25]
	scratch_load_b128 v[22:25], off, off offset:384
	v_add_f64 v[191:192], v[191:192], v[199:200]
	v_add_f64 v[193:194], v[193:194], v[197:198]
	v_fma_f64 v[197:198], v[4:5], v[26:27], v[201:202]
	v_fma_f64 v[199:200], v[2:3], v[26:27], -v[28:29]
	scratch_load_b128 v[26:29], off, off offset:400
	ds_load_b128 v[2:5], v1 offset:976
	s_waitcnt vmcnt(10) lgkmcnt(1)
	v_mul_f64 v[195:196], v[187:188], v[32:33]
	v_mul_f64 v[32:33], v[189:190], v[32:33]
	s_waitcnt vmcnt(9) lgkmcnt(0)
	v_mul_f64 v[201:202], v[2:3], v[36:37]
	v_mul_f64 v[36:37], v[4:5], v[36:37]
	v_add_f64 v[191:192], v[191:192], v[179:180]
	v_add_f64 v[193:194], v[193:194], v[181:182]
	ds_load_b128 v[179:182], v1 offset:992
	v_fma_f64 v[189:190], v[189:190], v[30:31], v[195:196]
	v_fma_f64 v[187:188], v[187:188], v[30:31], -v[32:33]
	scratch_load_b128 v[30:33], off, off offset:416
	v_add_f64 v[191:192], v[191:192], v[199:200]
	v_add_f64 v[193:194], v[193:194], v[197:198]
	v_fma_f64 v[199:200], v[4:5], v[34:35], v[201:202]
	v_fma_f64 v[201:202], v[2:3], v[34:35], -v[36:37]
	scratch_load_b128 v[34:37], off, off offset:432
	ds_load_b128 v[2:5], v1 offset:1008
	s_waitcnt vmcnt(9) lgkmcnt(1)
	v_mul_f64 v[195:196], v[179:180], v[185:186]
	v_mul_f64 v[197:198], v[181:182], v[185:186]
	v_add_f64 v[191:192], v[191:192], v[187:188]
	v_add_f64 v[189:190], v[193:194], v[189:190]
	ds_load_b128 v[185:188], v1 offset:1024
	v_fma_f64 v[195:196], v[181:182], v[183:184], v[195:196]
	v_fma_f64 v[183:184], v[179:180], v[183:184], -v[197:198]
	scratch_load_b128 v[179:182], off, off offset:448
	s_waitcnt vmcnt(9) lgkmcnt(1)
	v_mul_f64 v[193:194], v[2:3], v[40:41]
	v_mul_f64 v[40:41], v[4:5], v[40:41]
	v_add_f64 v[191:192], v[191:192], v[201:202]
	v_add_f64 v[189:190], v[189:190], v[199:200]
	s_delay_alu instid0(VALU_DEP_4) | instskip(NEXT) | instid1(VALU_DEP_4)
	v_fma_f64 v[193:194], v[4:5], v[38:39], v[193:194]
	v_fma_f64 v[199:200], v[2:3], v[38:39], -v[40:41]
	scratch_load_b128 v[38:41], off, off offset:464
	ds_load_b128 v[2:5], v1 offset:1040
	s_waitcnt vmcnt(9) lgkmcnt(1)
	v_mul_f64 v[197:198], v[185:186], v[8:9]
	v_mul_f64 v[8:9], v[187:188], v[8:9]
	s_waitcnt vmcnt(8) lgkmcnt(0)
	v_mul_f64 v[201:202], v[2:3], v[12:13]
	v_mul_f64 v[12:13], v[4:5], v[12:13]
	v_add_f64 v[183:184], v[191:192], v[183:184]
	v_add_f64 v[195:196], v[189:190], v[195:196]
	ds_load_b128 v[189:192], v1 offset:1056
	v_fma_f64 v[187:188], v[187:188], v[6:7], v[197:198]
	v_fma_f64 v[185:186], v[185:186], v[6:7], -v[8:9]
	scratch_load_b128 v[6:9], off, off offset:480
	v_fma_f64 v[197:198], v[4:5], v[10:11], v[201:202]
	v_add_f64 v[183:184], v[183:184], v[199:200]
	v_add_f64 v[193:194], v[195:196], v[193:194]
	v_fma_f64 v[199:200], v[2:3], v[10:11], -v[12:13]
	scratch_load_b128 v[10:13], off, off offset:496
	ds_load_b128 v[2:5], v1 offset:1072
	s_waitcnt vmcnt(9) lgkmcnt(1)
	v_mul_f64 v[195:196], v[189:190], v[16:17]
	v_mul_f64 v[16:17], v[191:192], v[16:17]
	v_add_f64 v[201:202], v[183:184], v[185:186]
	v_add_f64 v[187:188], v[193:194], v[187:188]
	s_waitcnt vmcnt(8) lgkmcnt(0)
	v_mul_f64 v[193:194], v[2:3], v[20:21]
	v_mul_f64 v[20:21], v[4:5], v[20:21]
	ds_load_b128 v[183:186], v1 offset:1088
	v_fma_f64 v[191:192], v[191:192], v[14:15], v[195:196]
	v_fma_f64 v[189:190], v[189:190], v[14:15], -v[16:17]
	scratch_load_b128 v[14:17], off, off offset:512
	v_add_f64 v[195:196], v[201:202], v[199:200]
	v_add_f64 v[187:188], v[187:188], v[197:198]
	v_fma_f64 v[193:194], v[4:5], v[18:19], v[193:194]
	v_fma_f64 v[199:200], v[2:3], v[18:19], -v[20:21]
	scratch_load_b128 v[18:21], off, off offset:528
	ds_load_b128 v[2:5], v1 offset:1104
	s_waitcnt vmcnt(9) lgkmcnt(1)
	v_mul_f64 v[197:198], v[183:184], v[24:25]
	v_mul_f64 v[24:25], v[185:186], v[24:25]
	s_waitcnt vmcnt(8) lgkmcnt(0)
	v_mul_f64 v[201:202], v[2:3], v[28:29]
	v_mul_f64 v[28:29], v[4:5], v[28:29]
	v_add_f64 v[195:196], v[195:196], v[189:190]
	v_add_f64 v[191:192], v[187:188], v[191:192]
	ds_load_b128 v[187:190], v1 offset:1120
	v_fma_f64 v[185:186], v[185:186], v[22:23], v[197:198]
	v_fma_f64 v[183:184], v[183:184], v[22:23], -v[24:25]
	scratch_load_b128 v[22:25], off, off offset:544
	v_fma_f64 v[197:198], v[4:5], v[26:27], v[201:202]
	v_add_f64 v[195:196], v[195:196], v[199:200]
	v_add_f64 v[191:192], v[191:192], v[193:194]
	v_fma_f64 v[199:200], v[2:3], v[26:27], -v[28:29]
	scratch_load_b128 v[26:29], off, off offset:560
	ds_load_b128 v[2:5], v1 offset:1136
	s_waitcnt vmcnt(9) lgkmcnt(1)
	v_mul_f64 v[193:194], v[187:188], v[32:33]
	v_mul_f64 v[32:33], v[189:190], v[32:33]
	s_waitcnt vmcnt(8) lgkmcnt(0)
	v_mul_f64 v[201:202], v[2:3], v[36:37]
	v_mul_f64 v[36:37], v[4:5], v[36:37]
	v_add_f64 v[195:196], v[195:196], v[183:184]
	v_add_f64 v[191:192], v[191:192], v[185:186]
	ds_load_b128 v[183:186], v1 offset:1152
	v_fma_f64 v[189:190], v[189:190], v[30:31], v[193:194]
	v_fma_f64 v[187:188], v[187:188], v[30:31], -v[32:33]
	scratch_load_b128 v[30:33], off, off offset:576
	v_add_f64 v[193:194], v[195:196], v[199:200]
	v_add_f64 v[191:192], v[191:192], v[197:198]
	v_fma_f64 v[197:198], v[4:5], v[34:35], v[201:202]
	v_fma_f64 v[199:200], v[2:3], v[34:35], -v[36:37]
	scratch_load_b128 v[34:37], off, off offset:592
	ds_load_b128 v[2:5], v1 offset:1168
	s_waitcnt vmcnt(9) lgkmcnt(1)
	v_mul_f64 v[195:196], v[183:184], v[181:182]
	v_mul_f64 v[181:182], v[185:186], v[181:182]
	s_waitcnt vmcnt(8) lgkmcnt(0)
	v_mul_f64 v[201:202], v[2:3], v[40:41]
	v_mul_f64 v[40:41], v[4:5], v[40:41]
	v_add_f64 v[193:194], v[193:194], v[187:188]
	v_add_f64 v[191:192], v[191:192], v[189:190]
	ds_load_b128 v[187:190], v1 offset:1184
	v_fma_f64 v[185:186], v[185:186], v[179:180], v[195:196]
	v_fma_f64 v[183:184], v[183:184], v[179:180], -v[181:182]
	scratch_load_b128 v[179:182], off, off offset:608
	v_add_f64 v[193:194], v[193:194], v[199:200]
	v_add_f64 v[191:192], v[191:192], v[197:198]
	v_fma_f64 v[197:198], v[4:5], v[38:39], v[201:202]
	;; [unrolled: 18-line block ×4, first 2 shown]
	v_fma_f64 v[199:200], v[2:3], v[18:19], -v[20:21]
	scratch_load_b128 v[18:21], off, off offset:688
	ds_load_b128 v[2:5], v1 offset:1264
	s_waitcnt vmcnt(9) lgkmcnt(1)
	v_mul_f64 v[195:196], v[187:188], v[24:25]
	v_mul_f64 v[24:25], v[189:190], v[24:25]
	s_waitcnt vmcnt(8) lgkmcnt(0)
	v_mul_f64 v[201:202], v[2:3], v[28:29]
	v_mul_f64 v[28:29], v[4:5], v[28:29]
	v_add_f64 v[193:194], v[193:194], v[183:184]
	v_add_f64 v[191:192], v[191:192], v[185:186]
	ds_load_b128 v[183:186], v1 offset:1280
	v_fma_f64 v[189:190], v[189:190], v[22:23], v[195:196]
	v_fma_f64 v[22:23], v[187:188], v[22:23], -v[24:25]
	v_add_f64 v[24:25], v[193:194], v[199:200]
	v_add_f64 v[187:188], v[191:192], v[197:198]
	s_waitcnt vmcnt(7) lgkmcnt(0)
	v_mul_f64 v[191:192], v[183:184], v[32:33]
	v_mul_f64 v[32:33], v[185:186], v[32:33]
	v_fma_f64 v[193:194], v[4:5], v[26:27], v[201:202]
	v_fma_f64 v[26:27], v[2:3], v[26:27], -v[28:29]
	v_add_f64 v[28:29], v[24:25], v[22:23]
	v_add_f64 v[187:188], v[187:188], v[189:190]
	ds_load_b128 v[2:5], v1 offset:1296
	ds_load_b128 v[22:25], v1 offset:1312
	v_fma_f64 v[185:186], v[185:186], v[30:31], v[191:192]
	v_fma_f64 v[30:31], v[183:184], v[30:31], -v[32:33]
	s_waitcnt vmcnt(6) lgkmcnt(1)
	v_mul_f64 v[189:190], v[2:3], v[36:37]
	v_mul_f64 v[36:37], v[4:5], v[36:37]
	s_waitcnt vmcnt(5) lgkmcnt(0)
	v_mul_f64 v[32:33], v[22:23], v[181:182]
	v_mul_f64 v[181:182], v[24:25], v[181:182]
	v_add_f64 v[26:27], v[28:29], v[26:27]
	v_add_f64 v[28:29], v[187:188], v[193:194]
	v_fma_f64 v[183:184], v[4:5], v[34:35], v[189:190]
	v_fma_f64 v[34:35], v[2:3], v[34:35], -v[36:37]
	v_fma_f64 v[24:25], v[24:25], v[179:180], v[32:33]
	v_fma_f64 v[22:23], v[22:23], v[179:180], -v[181:182]
	v_add_f64 v[30:31], v[26:27], v[30:31]
	v_add_f64 v[36:37], v[28:29], v[185:186]
	ds_load_b128 v[2:5], v1 offset:1328
	ds_load_b128 v[26:29], v1 offset:1344
	s_waitcnt vmcnt(4) lgkmcnt(1)
	v_mul_f64 v[185:186], v[2:3], v[40:41]
	v_mul_f64 v[40:41], v[4:5], v[40:41]
	v_add_f64 v[30:31], v[30:31], v[34:35]
	v_add_f64 v[32:33], v[36:37], v[183:184]
	s_waitcnt vmcnt(3) lgkmcnt(0)
	v_mul_f64 v[34:35], v[26:27], v[8:9]
	v_mul_f64 v[8:9], v[28:29], v[8:9]
	v_fma_f64 v[36:37], v[4:5], v[38:39], v[185:186]
	v_fma_f64 v[38:39], v[2:3], v[38:39], -v[40:41]
	v_add_f64 v[30:31], v[30:31], v[22:23]
	v_add_f64 v[32:33], v[32:33], v[24:25]
	ds_load_b128 v[2:5], v1 offset:1360
	ds_load_b128 v[22:25], v1 offset:1376
	v_fma_f64 v[28:29], v[28:29], v[6:7], v[34:35]
	v_fma_f64 v[6:7], v[26:27], v[6:7], -v[8:9]
	s_waitcnt vmcnt(2) lgkmcnt(1)
	v_mul_f64 v[40:41], v[2:3], v[12:13]
	v_mul_f64 v[12:13], v[4:5], v[12:13]
	v_add_f64 v[8:9], v[30:31], v[38:39]
	v_add_f64 v[26:27], v[32:33], v[36:37]
	s_waitcnt vmcnt(1) lgkmcnt(0)
	v_mul_f64 v[30:31], v[22:23], v[16:17]
	v_mul_f64 v[16:17], v[24:25], v[16:17]
	v_fma_f64 v[32:33], v[4:5], v[10:11], v[40:41]
	v_fma_f64 v[10:11], v[2:3], v[10:11], -v[12:13]
	ds_load_b128 v[2:5], v1 offset:1392
	v_add_f64 v[6:7], v[8:9], v[6:7]
	v_add_f64 v[8:9], v[26:27], v[28:29]
	v_fma_f64 v[24:25], v[24:25], v[14:15], v[30:31]
	v_fma_f64 v[14:15], v[22:23], v[14:15], -v[16:17]
	s_waitcnt vmcnt(0) lgkmcnt(0)
	v_mul_f64 v[12:13], v[2:3], v[20:21]
	v_mul_f64 v[20:21], v[4:5], v[20:21]
	v_add_f64 v[6:7], v[6:7], v[10:11]
	v_add_f64 v[8:9], v[8:9], v[32:33]
	s_delay_alu instid0(VALU_DEP_4) | instskip(NEXT) | instid1(VALU_DEP_4)
	v_fma_f64 v[4:5], v[4:5], v[18:19], v[12:13]
	v_fma_f64 v[2:3], v[2:3], v[18:19], -v[20:21]
	s_delay_alu instid0(VALU_DEP_4) | instskip(NEXT) | instid1(VALU_DEP_4)
	v_add_f64 v[6:7], v[6:7], v[14:15]
	v_add_f64 v[8:9], v[8:9], v[24:25]
	s_delay_alu instid0(VALU_DEP_2) | instskip(NEXT) | instid1(VALU_DEP_2)
	v_add_f64 v[2:3], v[6:7], v[2:3]
	v_add_f64 v[4:5], v[8:9], v[4:5]
	s_delay_alu instid0(VALU_DEP_2) | instskip(NEXT) | instid1(VALU_DEP_2)
	v_add_f64 v[2:3], v[42:43], -v[2:3]
	v_add_f64 v[4:5], v[44:45], -v[4:5]
	scratch_store_b128 off, v[2:5], off offset:128
	v_cmpx_lt_u32_e32 7, v134
	s_cbranch_execz .LBB107_263
; %bb.262:
	scratch_load_b128 v[5:8], v173, off
	v_mov_b32_e32 v2, v1
	v_mov_b32_e32 v3, v1
	;; [unrolled: 1-line block ×3, first 2 shown]
	scratch_store_b128 off, v[1:4], off offset:112
	s_waitcnt vmcnt(0)
	ds_store_b128 v178, v[5:8]
.LBB107_263:
	s_or_b32 exec_lo, exec_lo, s2
	s_waitcnt lgkmcnt(0)
	s_waitcnt_vscnt null, 0x0
	s_barrier
	buffer_gl0_inv
	s_clause 0x8
	scratch_load_b128 v[2:5], off, off offset:128
	scratch_load_b128 v[6:9], off, off offset:144
	;; [unrolled: 1-line block ×9, first 2 shown]
	ds_load_b128 v[42:45], v1 offset:832
	ds_load_b128 v[38:41], v1 offset:848
	s_clause 0x1
	scratch_load_b128 v[179:182], off, off offset:112
	scratch_load_b128 v[183:186], off, off offset:272
	s_mov_b32 s2, exec_lo
	s_waitcnt vmcnt(10) lgkmcnt(1)
	v_mul_f64 v[187:188], v[44:45], v[4:5]
	v_mul_f64 v[4:5], v[42:43], v[4:5]
	s_waitcnt vmcnt(9) lgkmcnt(0)
	v_mul_f64 v[191:192], v[38:39], v[8:9]
	v_mul_f64 v[8:9], v[40:41], v[8:9]
	s_delay_alu instid0(VALU_DEP_4) | instskip(NEXT) | instid1(VALU_DEP_4)
	v_fma_f64 v[193:194], v[42:43], v[2:3], -v[187:188]
	v_fma_f64 v[195:196], v[44:45], v[2:3], v[4:5]
	ds_load_b128 v[2:5], v1 offset:864
	ds_load_b128 v[187:190], v1 offset:880
	scratch_load_b128 v[42:45], off, off offset:288
	v_fma_f64 v[40:41], v[40:41], v[6:7], v[191:192]
	v_fma_f64 v[38:39], v[38:39], v[6:7], -v[8:9]
	scratch_load_b128 v[6:9], off, off offset:304
	s_waitcnt vmcnt(10) lgkmcnt(1)
	v_mul_f64 v[197:198], v[2:3], v[12:13]
	v_mul_f64 v[12:13], v[4:5], v[12:13]
	v_add_f64 v[191:192], v[193:194], 0
	v_add_f64 v[193:194], v[195:196], 0
	s_waitcnt vmcnt(9) lgkmcnt(0)
	v_mul_f64 v[195:196], v[187:188], v[16:17]
	v_mul_f64 v[16:17], v[189:190], v[16:17]
	v_fma_f64 v[197:198], v[4:5], v[10:11], v[197:198]
	v_fma_f64 v[199:200], v[2:3], v[10:11], -v[12:13]
	ds_load_b128 v[2:5], v1 offset:896
	scratch_load_b128 v[10:13], off, off offset:320
	v_add_f64 v[191:192], v[191:192], v[38:39]
	v_add_f64 v[193:194], v[193:194], v[40:41]
	ds_load_b128 v[38:41], v1 offset:912
	v_fma_f64 v[189:190], v[189:190], v[14:15], v[195:196]
	v_fma_f64 v[187:188], v[187:188], v[14:15], -v[16:17]
	scratch_load_b128 v[14:17], off, off offset:336
	s_waitcnt vmcnt(10) lgkmcnt(1)
	v_mul_f64 v[201:202], v[2:3], v[20:21]
	v_mul_f64 v[20:21], v[4:5], v[20:21]
	s_waitcnt vmcnt(9) lgkmcnt(0)
	v_mul_f64 v[195:196], v[38:39], v[24:25]
	v_mul_f64 v[24:25], v[40:41], v[24:25]
	v_add_f64 v[191:192], v[191:192], v[199:200]
	v_add_f64 v[193:194], v[193:194], v[197:198]
	v_fma_f64 v[197:198], v[4:5], v[18:19], v[201:202]
	v_fma_f64 v[199:200], v[2:3], v[18:19], -v[20:21]
	ds_load_b128 v[2:5], v1 offset:928
	scratch_load_b128 v[18:21], off, off offset:352
	v_fma_f64 v[40:41], v[40:41], v[22:23], v[195:196]
	v_fma_f64 v[38:39], v[38:39], v[22:23], -v[24:25]
	scratch_load_b128 v[22:25], off, off offset:368
	v_add_f64 v[191:192], v[191:192], v[187:188]
	v_add_f64 v[193:194], v[193:194], v[189:190]
	ds_load_b128 v[187:190], v1 offset:944
	s_waitcnt vmcnt(10) lgkmcnt(1)
	v_mul_f64 v[201:202], v[2:3], v[28:29]
	v_mul_f64 v[28:29], v[4:5], v[28:29]
	s_waitcnt vmcnt(9) lgkmcnt(0)
	v_mul_f64 v[195:196], v[187:188], v[32:33]
	v_mul_f64 v[32:33], v[189:190], v[32:33]
	v_add_f64 v[191:192], v[191:192], v[199:200]
	v_add_f64 v[193:194], v[193:194], v[197:198]
	v_fma_f64 v[197:198], v[4:5], v[26:27], v[201:202]
	v_fma_f64 v[199:200], v[2:3], v[26:27], -v[28:29]
	ds_load_b128 v[2:5], v1 offset:960
	scratch_load_b128 v[26:29], off, off offset:384
	v_fma_f64 v[189:190], v[189:190], v[30:31], v[195:196]
	v_fma_f64 v[187:188], v[187:188], v[30:31], -v[32:33]
	scratch_load_b128 v[30:33], off, off offset:400
	v_add_f64 v[191:192], v[191:192], v[38:39]
	v_add_f64 v[193:194], v[193:194], v[40:41]
	ds_load_b128 v[38:41], v1 offset:976
	s_waitcnt vmcnt(10) lgkmcnt(1)
	v_mul_f64 v[201:202], v[2:3], v[36:37]
	v_mul_f64 v[36:37], v[4:5], v[36:37]
	s_waitcnt vmcnt(8) lgkmcnt(0)
	v_mul_f64 v[195:196], v[38:39], v[185:186]
	v_add_f64 v[191:192], v[191:192], v[199:200]
	v_add_f64 v[193:194], v[193:194], v[197:198]
	v_mul_f64 v[197:198], v[40:41], v[185:186]
	v_fma_f64 v[199:200], v[4:5], v[34:35], v[201:202]
	v_fma_f64 v[201:202], v[2:3], v[34:35], -v[36:37]
	ds_load_b128 v[2:5], v1 offset:992
	scratch_load_b128 v[34:37], off, off offset:416
	v_fma_f64 v[195:196], v[40:41], v[183:184], v[195:196]
	v_add_f64 v[191:192], v[191:192], v[187:188]
	v_add_f64 v[189:190], v[193:194], v[189:190]
	ds_load_b128 v[185:188], v1 offset:1008
	v_fma_f64 v[183:184], v[38:39], v[183:184], -v[197:198]
	scratch_load_b128 v[38:41], off, off offset:432
	s_waitcnt vmcnt(9) lgkmcnt(1)
	v_mul_f64 v[193:194], v[2:3], v[44:45]
	v_mul_f64 v[44:45], v[4:5], v[44:45]
	s_waitcnt vmcnt(8) lgkmcnt(0)
	v_mul_f64 v[197:198], v[185:186], v[8:9]
	v_mul_f64 v[8:9], v[187:188], v[8:9]
	v_add_f64 v[191:192], v[191:192], v[201:202]
	v_add_f64 v[189:190], v[189:190], v[199:200]
	v_fma_f64 v[193:194], v[4:5], v[42:43], v[193:194]
	v_fma_f64 v[199:200], v[2:3], v[42:43], -v[44:45]
	ds_load_b128 v[2:5], v1 offset:1024
	scratch_load_b128 v[42:45], off, off offset:448
	v_fma_f64 v[187:188], v[187:188], v[6:7], v[197:198]
	v_fma_f64 v[185:186], v[185:186], v[6:7], -v[8:9]
	scratch_load_b128 v[6:9], off, off offset:464
	v_add_f64 v[183:184], v[191:192], v[183:184]
	v_add_f64 v[195:196], v[189:190], v[195:196]
	ds_load_b128 v[189:192], v1 offset:1040
	s_waitcnt vmcnt(9) lgkmcnt(1)
	v_mul_f64 v[201:202], v[2:3], v[12:13]
	v_mul_f64 v[12:13], v[4:5], v[12:13]
	v_add_f64 v[183:184], v[183:184], v[199:200]
	v_add_f64 v[193:194], v[195:196], v[193:194]
	s_waitcnt vmcnt(8) lgkmcnt(0)
	v_mul_f64 v[195:196], v[189:190], v[16:17]
	v_mul_f64 v[16:17], v[191:192], v[16:17]
	v_fma_f64 v[197:198], v[4:5], v[10:11], v[201:202]
	v_fma_f64 v[199:200], v[2:3], v[10:11], -v[12:13]
	ds_load_b128 v[2:5], v1 offset:1056
	scratch_load_b128 v[10:13], off, off offset:480
	v_add_f64 v[201:202], v[183:184], v[185:186]
	v_add_f64 v[187:188], v[193:194], v[187:188]
	ds_load_b128 v[183:186], v1 offset:1072
	s_waitcnt vmcnt(8) lgkmcnt(1)
	v_mul_f64 v[193:194], v[2:3], v[20:21]
	v_mul_f64 v[20:21], v[4:5], v[20:21]
	v_fma_f64 v[191:192], v[191:192], v[14:15], v[195:196]
	v_fma_f64 v[189:190], v[189:190], v[14:15], -v[16:17]
	scratch_load_b128 v[14:17], off, off offset:496
	v_add_f64 v[195:196], v[201:202], v[199:200]
	v_add_f64 v[187:188], v[187:188], v[197:198]
	s_waitcnt vmcnt(8) lgkmcnt(0)
	v_mul_f64 v[197:198], v[183:184], v[24:25]
	v_mul_f64 v[24:25], v[185:186], v[24:25]
	v_fma_f64 v[193:194], v[4:5], v[18:19], v[193:194]
	v_fma_f64 v[199:200], v[2:3], v[18:19], -v[20:21]
	ds_load_b128 v[2:5], v1 offset:1088
	scratch_load_b128 v[18:21], off, off offset:512
	v_add_f64 v[195:196], v[195:196], v[189:190]
	v_add_f64 v[191:192], v[187:188], v[191:192]
	ds_load_b128 v[187:190], v1 offset:1104
	s_waitcnt vmcnt(8) lgkmcnt(1)
	v_mul_f64 v[201:202], v[2:3], v[28:29]
	v_mul_f64 v[28:29], v[4:5], v[28:29]
	v_fma_f64 v[185:186], v[185:186], v[22:23], v[197:198]
	v_fma_f64 v[183:184], v[183:184], v[22:23], -v[24:25]
	scratch_load_b128 v[22:25], off, off offset:528
	;; [unrolled: 18-line block ×4, first 2 shown]
	s_waitcnt vmcnt(8) lgkmcnt(0)
	v_mul_f64 v[195:196], v[187:188], v[8:9]
	v_mul_f64 v[8:9], v[189:190], v[8:9]
	v_add_f64 v[193:194], v[193:194], v[199:200]
	v_add_f64 v[191:192], v[191:192], v[197:198]
	v_fma_f64 v[197:198], v[4:5], v[42:43], v[201:202]
	v_fma_f64 v[199:200], v[2:3], v[42:43], -v[44:45]
	ds_load_b128 v[2:5], v1 offset:1184
	scratch_load_b128 v[42:45], off, off offset:608
	v_fma_f64 v[189:190], v[189:190], v[6:7], v[195:196]
	v_fma_f64 v[187:188], v[187:188], v[6:7], -v[8:9]
	scratch_load_b128 v[6:9], off, off offset:624
	v_add_f64 v[193:194], v[193:194], v[183:184]
	v_add_f64 v[191:192], v[191:192], v[185:186]
	ds_load_b128 v[183:186], v1 offset:1200
	s_waitcnt vmcnt(9) lgkmcnt(1)
	v_mul_f64 v[201:202], v[2:3], v[12:13]
	v_mul_f64 v[12:13], v[4:5], v[12:13]
	s_waitcnt vmcnt(8) lgkmcnt(0)
	v_mul_f64 v[195:196], v[183:184], v[16:17]
	v_mul_f64 v[16:17], v[185:186], v[16:17]
	v_add_f64 v[193:194], v[193:194], v[199:200]
	v_add_f64 v[191:192], v[191:192], v[197:198]
	v_fma_f64 v[197:198], v[4:5], v[10:11], v[201:202]
	v_fma_f64 v[199:200], v[2:3], v[10:11], -v[12:13]
	ds_load_b128 v[2:5], v1 offset:1216
	scratch_load_b128 v[10:13], off, off offset:640
	v_fma_f64 v[185:186], v[185:186], v[14:15], v[195:196]
	v_fma_f64 v[183:184], v[183:184], v[14:15], -v[16:17]
	scratch_load_b128 v[14:17], off, off offset:656
	v_add_f64 v[193:194], v[193:194], v[187:188]
	v_add_f64 v[191:192], v[191:192], v[189:190]
	ds_load_b128 v[187:190], v1 offset:1232
	s_waitcnt vmcnt(9) lgkmcnt(1)
	v_mul_f64 v[201:202], v[2:3], v[20:21]
	v_mul_f64 v[20:21], v[4:5], v[20:21]
	;; [unrolled: 18-line block ×3, first 2 shown]
	s_waitcnt vmcnt(8) lgkmcnt(0)
	v_mul_f64 v[195:196], v[183:184], v[32:33]
	v_mul_f64 v[32:33], v[185:186], v[32:33]
	v_add_f64 v[193:194], v[193:194], v[199:200]
	v_add_f64 v[191:192], v[191:192], v[197:198]
	v_fma_f64 v[197:198], v[4:5], v[26:27], v[201:202]
	v_fma_f64 v[199:200], v[2:3], v[26:27], -v[28:29]
	ds_load_b128 v[2:5], v1 offset:1280
	ds_load_b128 v[26:29], v1 offset:1296
	v_fma_f64 v[185:186], v[185:186], v[30:31], v[195:196]
	v_fma_f64 v[30:31], v[183:184], v[30:31], -v[32:33]
	v_add_f64 v[187:188], v[193:194], v[187:188]
	v_add_f64 v[189:190], v[191:192], v[189:190]
	s_waitcnt vmcnt(7) lgkmcnt(1)
	v_mul_f64 v[191:192], v[2:3], v[36:37]
	v_mul_f64 v[36:37], v[4:5], v[36:37]
	s_delay_alu instid0(VALU_DEP_4) | instskip(NEXT) | instid1(VALU_DEP_4)
	v_add_f64 v[32:33], v[187:188], v[199:200]
	v_add_f64 v[183:184], v[189:190], v[197:198]
	s_waitcnt vmcnt(6) lgkmcnt(0)
	v_mul_f64 v[187:188], v[26:27], v[40:41]
	v_mul_f64 v[40:41], v[28:29], v[40:41]
	v_fma_f64 v[189:190], v[4:5], v[34:35], v[191:192]
	v_fma_f64 v[34:35], v[2:3], v[34:35], -v[36:37]
	v_add_f64 v[36:37], v[32:33], v[30:31]
	v_add_f64 v[183:184], v[183:184], v[185:186]
	ds_load_b128 v[2:5], v1 offset:1312
	ds_load_b128 v[30:33], v1 offset:1328
	v_fma_f64 v[28:29], v[28:29], v[38:39], v[187:188]
	v_fma_f64 v[26:27], v[26:27], v[38:39], -v[40:41]
	s_waitcnt vmcnt(5) lgkmcnt(1)
	v_mul_f64 v[185:186], v[2:3], v[44:45]
	v_mul_f64 v[44:45], v[4:5], v[44:45]
	s_waitcnt vmcnt(4) lgkmcnt(0)
	v_mul_f64 v[38:39], v[30:31], v[8:9]
	v_mul_f64 v[8:9], v[32:33], v[8:9]
	v_add_f64 v[34:35], v[36:37], v[34:35]
	v_add_f64 v[36:37], v[183:184], v[189:190]
	v_fma_f64 v[40:41], v[4:5], v[42:43], v[185:186]
	v_fma_f64 v[42:43], v[2:3], v[42:43], -v[44:45]
	v_fma_f64 v[32:33], v[32:33], v[6:7], v[38:39]
	v_fma_f64 v[6:7], v[30:31], v[6:7], -v[8:9]
	v_add_f64 v[34:35], v[34:35], v[26:27]
	v_add_f64 v[36:37], v[36:37], v[28:29]
	ds_load_b128 v[2:5], v1 offset:1344
	ds_load_b128 v[26:29], v1 offset:1360
	s_waitcnt vmcnt(3) lgkmcnt(1)
	v_mul_f64 v[44:45], v[2:3], v[12:13]
	v_mul_f64 v[12:13], v[4:5], v[12:13]
	v_add_f64 v[8:9], v[34:35], v[42:43]
	v_add_f64 v[30:31], v[36:37], v[40:41]
	s_waitcnt vmcnt(2) lgkmcnt(0)
	v_mul_f64 v[34:35], v[26:27], v[16:17]
	v_mul_f64 v[16:17], v[28:29], v[16:17]
	v_fma_f64 v[36:37], v[4:5], v[10:11], v[44:45]
	v_fma_f64 v[10:11], v[2:3], v[10:11], -v[12:13]
	v_add_f64 v[12:13], v[8:9], v[6:7]
	v_add_f64 v[30:31], v[30:31], v[32:33]
	ds_load_b128 v[2:5], v1 offset:1376
	ds_load_b128 v[6:9], v1 offset:1392
	v_fma_f64 v[28:29], v[28:29], v[14:15], v[34:35]
	v_fma_f64 v[14:15], v[26:27], v[14:15], -v[16:17]
	s_waitcnt vmcnt(1) lgkmcnt(1)
	v_mul_f64 v[32:33], v[2:3], v[20:21]
	v_mul_f64 v[20:21], v[4:5], v[20:21]
	s_waitcnt vmcnt(0) lgkmcnt(0)
	v_mul_f64 v[16:17], v[6:7], v[24:25]
	v_mul_f64 v[24:25], v[8:9], v[24:25]
	v_add_f64 v[10:11], v[12:13], v[10:11]
	v_add_f64 v[12:13], v[30:31], v[36:37]
	v_fma_f64 v[4:5], v[4:5], v[18:19], v[32:33]
	v_fma_f64 v[1:2], v[2:3], v[18:19], -v[20:21]
	v_fma_f64 v[8:9], v[8:9], v[22:23], v[16:17]
	v_fma_f64 v[6:7], v[6:7], v[22:23], -v[24:25]
	v_add_f64 v[10:11], v[10:11], v[14:15]
	v_add_f64 v[12:13], v[12:13], v[28:29]
	s_delay_alu instid0(VALU_DEP_2) | instskip(NEXT) | instid1(VALU_DEP_2)
	v_add_f64 v[1:2], v[10:11], v[1:2]
	v_add_f64 v[3:4], v[12:13], v[4:5]
	s_delay_alu instid0(VALU_DEP_2) | instskip(NEXT) | instid1(VALU_DEP_2)
	;; [unrolled: 3-line block ×3, first 2 shown]
	v_add_f64 v[1:2], v[179:180], -v[1:2]
	v_add_f64 v[3:4], v[181:182], -v[3:4]
	scratch_store_b128 off, v[1:4], off offset:112
	v_cmpx_lt_u32_e32 6, v134
	s_cbranch_execz .LBB107_265
; %bb.264:
	scratch_load_b128 v[1:4], v174, off
	v_mov_b32_e32 v5, 0
	s_delay_alu instid0(VALU_DEP_1)
	v_mov_b32_e32 v6, v5
	v_mov_b32_e32 v7, v5
	;; [unrolled: 1-line block ×3, first 2 shown]
	scratch_store_b128 off, v[5:8], off offset:96
	s_waitcnt vmcnt(0)
	ds_store_b128 v178, v[1:4]
.LBB107_265:
	s_or_b32 exec_lo, exec_lo, s2
	s_waitcnt lgkmcnt(0)
	s_waitcnt_vscnt null, 0x0
	s_barrier
	buffer_gl0_inv
	s_clause 0x7
	scratch_load_b128 v[2:5], off, off offset:112
	scratch_load_b128 v[6:9], off, off offset:128
	;; [unrolled: 1-line block ×8, first 2 shown]
	v_mov_b32_e32 v1, 0
	s_mov_b32 s2, exec_lo
	ds_load_b128 v[38:41], v1 offset:816
	s_clause 0x1
	scratch_load_b128 v[34:37], off, off offset:240
	scratch_load_b128 v[42:45], off, off offset:96
	ds_load_b128 v[179:182], v1 offset:832
	scratch_load_b128 v[183:186], off, off offset:256
	s_waitcnt vmcnt(10) lgkmcnt(1)
	v_mul_f64 v[187:188], v[40:41], v[4:5]
	v_mul_f64 v[4:5], v[38:39], v[4:5]
	s_delay_alu instid0(VALU_DEP_2) | instskip(NEXT) | instid1(VALU_DEP_2)
	v_fma_f64 v[193:194], v[38:39], v[2:3], -v[187:188]
	v_fma_f64 v[195:196], v[40:41], v[2:3], v[4:5]
	scratch_load_b128 v[38:41], off, off offset:272
	ds_load_b128 v[2:5], v1 offset:848
	s_waitcnt vmcnt(10) lgkmcnt(1)
	v_mul_f64 v[191:192], v[179:180], v[8:9]
	v_mul_f64 v[8:9], v[181:182], v[8:9]
	ds_load_b128 v[187:190], v1 offset:864
	s_waitcnt vmcnt(9) lgkmcnt(1)
	v_mul_f64 v[197:198], v[2:3], v[12:13]
	v_mul_f64 v[12:13], v[4:5], v[12:13]
	v_fma_f64 v[181:182], v[181:182], v[6:7], v[191:192]
	v_fma_f64 v[179:180], v[179:180], v[6:7], -v[8:9]
	v_add_f64 v[191:192], v[193:194], 0
	v_add_f64 v[193:194], v[195:196], 0
	scratch_load_b128 v[6:9], off, off offset:288
	v_fma_f64 v[197:198], v[4:5], v[10:11], v[197:198]
	v_fma_f64 v[199:200], v[2:3], v[10:11], -v[12:13]
	scratch_load_b128 v[10:13], off, off offset:304
	ds_load_b128 v[2:5], v1 offset:880
	s_waitcnt vmcnt(10) lgkmcnt(1)
	v_mul_f64 v[195:196], v[187:188], v[16:17]
	v_mul_f64 v[16:17], v[189:190], v[16:17]
	v_add_f64 v[191:192], v[191:192], v[179:180]
	v_add_f64 v[193:194], v[193:194], v[181:182]
	s_waitcnt vmcnt(9) lgkmcnt(0)
	v_mul_f64 v[201:202], v[2:3], v[20:21]
	v_mul_f64 v[20:21], v[4:5], v[20:21]
	ds_load_b128 v[179:182], v1 offset:896
	v_fma_f64 v[189:190], v[189:190], v[14:15], v[195:196]
	v_fma_f64 v[187:188], v[187:188], v[14:15], -v[16:17]
	scratch_load_b128 v[14:17], off, off offset:320
	v_add_f64 v[191:192], v[191:192], v[199:200]
	v_add_f64 v[193:194], v[193:194], v[197:198]
	v_fma_f64 v[197:198], v[4:5], v[18:19], v[201:202]
	v_fma_f64 v[199:200], v[2:3], v[18:19], -v[20:21]
	scratch_load_b128 v[18:21], off, off offset:336
	ds_load_b128 v[2:5], v1 offset:912
	s_waitcnt vmcnt(10) lgkmcnt(1)
	v_mul_f64 v[195:196], v[179:180], v[24:25]
	v_mul_f64 v[24:25], v[181:182], v[24:25]
	s_waitcnt vmcnt(9) lgkmcnt(0)
	v_mul_f64 v[201:202], v[2:3], v[28:29]
	v_mul_f64 v[28:29], v[4:5], v[28:29]
	v_add_f64 v[191:192], v[191:192], v[187:188]
	v_add_f64 v[193:194], v[193:194], v[189:190]
	ds_load_b128 v[187:190], v1 offset:928
	v_fma_f64 v[181:182], v[181:182], v[22:23], v[195:196]
	v_fma_f64 v[179:180], v[179:180], v[22:23], -v[24:25]
	scratch_load_b128 v[22:25], off, off offset:352
	v_add_f64 v[191:192], v[191:192], v[199:200]
	v_add_f64 v[193:194], v[193:194], v[197:198]
	v_fma_f64 v[197:198], v[4:5], v[26:27], v[201:202]
	v_fma_f64 v[199:200], v[2:3], v[26:27], -v[28:29]
	scratch_load_b128 v[26:29], off, off offset:368
	ds_load_b128 v[2:5], v1 offset:944
	s_waitcnt vmcnt(10) lgkmcnt(1)
	v_mul_f64 v[195:196], v[187:188], v[32:33]
	v_mul_f64 v[32:33], v[189:190], v[32:33]
	s_waitcnt vmcnt(9) lgkmcnt(0)
	v_mul_f64 v[201:202], v[2:3], v[36:37]
	v_mul_f64 v[36:37], v[4:5], v[36:37]
	v_add_f64 v[191:192], v[191:192], v[179:180]
	v_add_f64 v[193:194], v[193:194], v[181:182]
	ds_load_b128 v[179:182], v1 offset:960
	v_fma_f64 v[189:190], v[189:190], v[30:31], v[195:196]
	v_fma_f64 v[187:188], v[187:188], v[30:31], -v[32:33]
	scratch_load_b128 v[30:33], off, off offset:384
	v_add_f64 v[191:192], v[191:192], v[199:200]
	v_add_f64 v[193:194], v[193:194], v[197:198]
	v_fma_f64 v[199:200], v[4:5], v[34:35], v[201:202]
	v_fma_f64 v[201:202], v[2:3], v[34:35], -v[36:37]
	scratch_load_b128 v[34:37], off, off offset:400
	ds_load_b128 v[2:5], v1 offset:976
	s_waitcnt vmcnt(9) lgkmcnt(1)
	v_mul_f64 v[195:196], v[179:180], v[185:186]
	v_mul_f64 v[197:198], v[181:182], v[185:186]
	v_add_f64 v[191:192], v[191:192], v[187:188]
	v_add_f64 v[189:190], v[193:194], v[189:190]
	ds_load_b128 v[185:188], v1 offset:992
	v_fma_f64 v[195:196], v[181:182], v[183:184], v[195:196]
	v_fma_f64 v[183:184], v[179:180], v[183:184], -v[197:198]
	scratch_load_b128 v[179:182], off, off offset:416
	s_waitcnt vmcnt(9) lgkmcnt(1)
	v_mul_f64 v[193:194], v[2:3], v[40:41]
	v_mul_f64 v[40:41], v[4:5], v[40:41]
	v_add_f64 v[191:192], v[191:192], v[201:202]
	v_add_f64 v[189:190], v[189:190], v[199:200]
	s_delay_alu instid0(VALU_DEP_4) | instskip(NEXT) | instid1(VALU_DEP_4)
	v_fma_f64 v[193:194], v[4:5], v[38:39], v[193:194]
	v_fma_f64 v[199:200], v[2:3], v[38:39], -v[40:41]
	scratch_load_b128 v[38:41], off, off offset:432
	ds_load_b128 v[2:5], v1 offset:1008
	s_waitcnt vmcnt(9) lgkmcnt(1)
	v_mul_f64 v[197:198], v[185:186], v[8:9]
	v_mul_f64 v[8:9], v[187:188], v[8:9]
	s_waitcnt vmcnt(8) lgkmcnt(0)
	v_mul_f64 v[201:202], v[2:3], v[12:13]
	v_mul_f64 v[12:13], v[4:5], v[12:13]
	v_add_f64 v[183:184], v[191:192], v[183:184]
	v_add_f64 v[195:196], v[189:190], v[195:196]
	ds_load_b128 v[189:192], v1 offset:1024
	v_fma_f64 v[187:188], v[187:188], v[6:7], v[197:198]
	v_fma_f64 v[185:186], v[185:186], v[6:7], -v[8:9]
	scratch_load_b128 v[6:9], off, off offset:448
	v_fma_f64 v[197:198], v[4:5], v[10:11], v[201:202]
	v_add_f64 v[183:184], v[183:184], v[199:200]
	v_add_f64 v[193:194], v[195:196], v[193:194]
	v_fma_f64 v[199:200], v[2:3], v[10:11], -v[12:13]
	scratch_load_b128 v[10:13], off, off offset:464
	ds_load_b128 v[2:5], v1 offset:1040
	s_waitcnt vmcnt(9) lgkmcnt(1)
	v_mul_f64 v[195:196], v[189:190], v[16:17]
	v_mul_f64 v[16:17], v[191:192], v[16:17]
	v_add_f64 v[201:202], v[183:184], v[185:186]
	v_add_f64 v[187:188], v[193:194], v[187:188]
	s_waitcnt vmcnt(8) lgkmcnt(0)
	v_mul_f64 v[193:194], v[2:3], v[20:21]
	v_mul_f64 v[20:21], v[4:5], v[20:21]
	ds_load_b128 v[183:186], v1 offset:1056
	v_fma_f64 v[191:192], v[191:192], v[14:15], v[195:196]
	v_fma_f64 v[189:190], v[189:190], v[14:15], -v[16:17]
	scratch_load_b128 v[14:17], off, off offset:480
	v_add_f64 v[195:196], v[201:202], v[199:200]
	v_add_f64 v[187:188], v[187:188], v[197:198]
	v_fma_f64 v[193:194], v[4:5], v[18:19], v[193:194]
	v_fma_f64 v[199:200], v[2:3], v[18:19], -v[20:21]
	scratch_load_b128 v[18:21], off, off offset:496
	ds_load_b128 v[2:5], v1 offset:1072
	s_waitcnt vmcnt(9) lgkmcnt(1)
	v_mul_f64 v[197:198], v[183:184], v[24:25]
	v_mul_f64 v[24:25], v[185:186], v[24:25]
	s_waitcnt vmcnt(8) lgkmcnt(0)
	v_mul_f64 v[201:202], v[2:3], v[28:29]
	v_mul_f64 v[28:29], v[4:5], v[28:29]
	v_add_f64 v[195:196], v[195:196], v[189:190]
	v_add_f64 v[191:192], v[187:188], v[191:192]
	ds_load_b128 v[187:190], v1 offset:1088
	v_fma_f64 v[185:186], v[185:186], v[22:23], v[197:198]
	v_fma_f64 v[183:184], v[183:184], v[22:23], -v[24:25]
	scratch_load_b128 v[22:25], off, off offset:512
	v_fma_f64 v[197:198], v[4:5], v[26:27], v[201:202]
	v_add_f64 v[195:196], v[195:196], v[199:200]
	v_add_f64 v[191:192], v[191:192], v[193:194]
	v_fma_f64 v[199:200], v[2:3], v[26:27], -v[28:29]
	scratch_load_b128 v[26:29], off, off offset:528
	ds_load_b128 v[2:5], v1 offset:1104
	s_waitcnt vmcnt(9) lgkmcnt(1)
	v_mul_f64 v[193:194], v[187:188], v[32:33]
	v_mul_f64 v[32:33], v[189:190], v[32:33]
	s_waitcnt vmcnt(8) lgkmcnt(0)
	v_mul_f64 v[201:202], v[2:3], v[36:37]
	v_mul_f64 v[36:37], v[4:5], v[36:37]
	v_add_f64 v[195:196], v[195:196], v[183:184]
	v_add_f64 v[191:192], v[191:192], v[185:186]
	ds_load_b128 v[183:186], v1 offset:1120
	v_fma_f64 v[189:190], v[189:190], v[30:31], v[193:194]
	v_fma_f64 v[187:188], v[187:188], v[30:31], -v[32:33]
	scratch_load_b128 v[30:33], off, off offset:544
	v_add_f64 v[193:194], v[195:196], v[199:200]
	v_add_f64 v[191:192], v[191:192], v[197:198]
	v_fma_f64 v[197:198], v[4:5], v[34:35], v[201:202]
	v_fma_f64 v[199:200], v[2:3], v[34:35], -v[36:37]
	scratch_load_b128 v[34:37], off, off offset:560
	ds_load_b128 v[2:5], v1 offset:1136
	s_waitcnt vmcnt(9) lgkmcnt(1)
	v_mul_f64 v[195:196], v[183:184], v[181:182]
	v_mul_f64 v[181:182], v[185:186], v[181:182]
	s_waitcnt vmcnt(8) lgkmcnt(0)
	v_mul_f64 v[201:202], v[2:3], v[40:41]
	v_mul_f64 v[40:41], v[4:5], v[40:41]
	v_add_f64 v[193:194], v[193:194], v[187:188]
	v_add_f64 v[191:192], v[191:192], v[189:190]
	ds_load_b128 v[187:190], v1 offset:1152
	v_fma_f64 v[185:186], v[185:186], v[179:180], v[195:196]
	v_fma_f64 v[183:184], v[183:184], v[179:180], -v[181:182]
	scratch_load_b128 v[179:182], off, off offset:576
	v_add_f64 v[193:194], v[193:194], v[199:200]
	v_add_f64 v[191:192], v[191:192], v[197:198]
	v_fma_f64 v[197:198], v[4:5], v[38:39], v[201:202]
	;; [unrolled: 18-line block ×5, first 2 shown]
	v_fma_f64 v[199:200], v[2:3], v[26:27], -v[28:29]
	scratch_load_b128 v[26:29], off, off offset:688
	ds_load_b128 v[2:5], v1 offset:1264
	s_waitcnt vmcnt(9) lgkmcnt(1)
	v_mul_f64 v[195:196], v[183:184], v[32:33]
	v_mul_f64 v[32:33], v[185:186], v[32:33]
	s_waitcnt vmcnt(8) lgkmcnt(0)
	v_mul_f64 v[201:202], v[2:3], v[36:37]
	v_mul_f64 v[36:37], v[4:5], v[36:37]
	v_add_f64 v[193:194], v[193:194], v[187:188]
	v_add_f64 v[191:192], v[191:192], v[189:190]
	ds_load_b128 v[187:190], v1 offset:1280
	v_fma_f64 v[185:186], v[185:186], v[30:31], v[195:196]
	v_fma_f64 v[30:31], v[183:184], v[30:31], -v[32:33]
	v_add_f64 v[32:33], v[193:194], v[199:200]
	v_add_f64 v[183:184], v[191:192], v[197:198]
	s_waitcnt vmcnt(7) lgkmcnt(0)
	v_mul_f64 v[191:192], v[187:188], v[181:182]
	v_mul_f64 v[181:182], v[189:190], v[181:182]
	v_fma_f64 v[193:194], v[4:5], v[34:35], v[201:202]
	v_fma_f64 v[34:35], v[2:3], v[34:35], -v[36:37]
	v_add_f64 v[36:37], v[32:33], v[30:31]
	v_add_f64 v[183:184], v[183:184], v[185:186]
	ds_load_b128 v[2:5], v1 offset:1296
	ds_load_b128 v[30:33], v1 offset:1312
	v_fma_f64 v[189:190], v[189:190], v[179:180], v[191:192]
	v_fma_f64 v[179:180], v[187:188], v[179:180], -v[181:182]
	s_waitcnt vmcnt(6) lgkmcnt(1)
	v_mul_f64 v[185:186], v[2:3], v[40:41]
	v_mul_f64 v[40:41], v[4:5], v[40:41]
	s_waitcnt vmcnt(5) lgkmcnt(0)
	v_mul_f64 v[181:182], v[30:31], v[8:9]
	v_mul_f64 v[8:9], v[32:33], v[8:9]
	v_add_f64 v[34:35], v[36:37], v[34:35]
	v_add_f64 v[36:37], v[183:184], v[193:194]
	v_fma_f64 v[183:184], v[4:5], v[38:39], v[185:186]
	v_fma_f64 v[38:39], v[2:3], v[38:39], -v[40:41]
	v_fma_f64 v[32:33], v[32:33], v[6:7], v[181:182]
	v_fma_f64 v[6:7], v[30:31], v[6:7], -v[8:9]
	v_add_f64 v[40:41], v[34:35], v[179:180]
	v_add_f64 v[179:180], v[36:37], v[189:190]
	ds_load_b128 v[2:5], v1 offset:1328
	ds_load_b128 v[34:37], v1 offset:1344
	s_waitcnt vmcnt(4) lgkmcnt(1)
	v_mul_f64 v[185:186], v[2:3], v[12:13]
	v_mul_f64 v[12:13], v[4:5], v[12:13]
	v_add_f64 v[8:9], v[40:41], v[38:39]
	v_add_f64 v[30:31], v[179:180], v[183:184]
	s_waitcnt vmcnt(3) lgkmcnt(0)
	v_mul_f64 v[38:39], v[34:35], v[16:17]
	v_mul_f64 v[16:17], v[36:37], v[16:17]
	v_fma_f64 v[40:41], v[4:5], v[10:11], v[185:186]
	v_fma_f64 v[10:11], v[2:3], v[10:11], -v[12:13]
	v_add_f64 v[12:13], v[8:9], v[6:7]
	v_add_f64 v[30:31], v[30:31], v[32:33]
	ds_load_b128 v[2:5], v1 offset:1360
	ds_load_b128 v[6:9], v1 offset:1376
	v_fma_f64 v[36:37], v[36:37], v[14:15], v[38:39]
	v_fma_f64 v[14:15], v[34:35], v[14:15], -v[16:17]
	s_waitcnt vmcnt(2) lgkmcnt(1)
	v_mul_f64 v[32:33], v[2:3], v[20:21]
	v_mul_f64 v[20:21], v[4:5], v[20:21]
	s_waitcnt vmcnt(1) lgkmcnt(0)
	v_mul_f64 v[16:17], v[6:7], v[24:25]
	v_mul_f64 v[24:25], v[8:9], v[24:25]
	v_add_f64 v[10:11], v[12:13], v[10:11]
	v_add_f64 v[12:13], v[30:31], v[40:41]
	v_fma_f64 v[30:31], v[4:5], v[18:19], v[32:33]
	v_fma_f64 v[18:19], v[2:3], v[18:19], -v[20:21]
	ds_load_b128 v[2:5], v1 offset:1392
	v_fma_f64 v[8:9], v[8:9], v[22:23], v[16:17]
	v_fma_f64 v[6:7], v[6:7], v[22:23], -v[24:25]
	v_add_f64 v[10:11], v[10:11], v[14:15]
	v_add_f64 v[12:13], v[12:13], v[36:37]
	s_waitcnt vmcnt(0) lgkmcnt(0)
	v_mul_f64 v[14:15], v[2:3], v[28:29]
	v_mul_f64 v[20:21], v[4:5], v[28:29]
	s_delay_alu instid0(VALU_DEP_4) | instskip(NEXT) | instid1(VALU_DEP_4)
	v_add_f64 v[10:11], v[10:11], v[18:19]
	v_add_f64 v[12:13], v[12:13], v[30:31]
	s_delay_alu instid0(VALU_DEP_4) | instskip(NEXT) | instid1(VALU_DEP_4)
	v_fma_f64 v[4:5], v[4:5], v[26:27], v[14:15]
	v_fma_f64 v[2:3], v[2:3], v[26:27], -v[20:21]
	s_delay_alu instid0(VALU_DEP_4) | instskip(NEXT) | instid1(VALU_DEP_4)
	v_add_f64 v[6:7], v[10:11], v[6:7]
	v_add_f64 v[8:9], v[12:13], v[8:9]
	s_delay_alu instid0(VALU_DEP_2) | instskip(NEXT) | instid1(VALU_DEP_2)
	v_add_f64 v[2:3], v[6:7], v[2:3]
	v_add_f64 v[4:5], v[8:9], v[4:5]
	s_delay_alu instid0(VALU_DEP_2) | instskip(NEXT) | instid1(VALU_DEP_2)
	v_add_f64 v[2:3], v[42:43], -v[2:3]
	v_add_f64 v[4:5], v[44:45], -v[4:5]
	scratch_store_b128 off, v[2:5], off offset:96
	v_cmpx_lt_u32_e32 5, v134
	s_cbranch_execz .LBB107_267
; %bb.266:
	scratch_load_b128 v[5:8], v175, off
	v_mov_b32_e32 v2, v1
	v_mov_b32_e32 v3, v1
	;; [unrolled: 1-line block ×3, first 2 shown]
	scratch_store_b128 off, v[1:4], off offset:80
	s_waitcnt vmcnt(0)
	ds_store_b128 v178, v[5:8]
.LBB107_267:
	s_or_b32 exec_lo, exec_lo, s2
	s_waitcnt lgkmcnt(0)
	s_waitcnt_vscnt null, 0x0
	s_barrier
	buffer_gl0_inv
	s_clause 0x8
	scratch_load_b128 v[2:5], off, off offset:96
	scratch_load_b128 v[6:9], off, off offset:112
	scratch_load_b128 v[10:13], off, off offset:128
	scratch_load_b128 v[14:17], off, off offset:144
	scratch_load_b128 v[18:21], off, off offset:160
	scratch_load_b128 v[22:25], off, off offset:176
	scratch_load_b128 v[26:29], off, off offset:192
	scratch_load_b128 v[30:33], off, off offset:208
	scratch_load_b128 v[34:37], off, off offset:224
	ds_load_b128 v[42:45], v1 offset:800
	ds_load_b128 v[38:41], v1 offset:816
	s_clause 0x1
	scratch_load_b128 v[179:182], off, off offset:80
	scratch_load_b128 v[183:186], off, off offset:240
	s_mov_b32 s2, exec_lo
	s_waitcnt vmcnt(10) lgkmcnt(1)
	v_mul_f64 v[187:188], v[44:45], v[4:5]
	v_mul_f64 v[4:5], v[42:43], v[4:5]
	s_waitcnt vmcnt(9) lgkmcnt(0)
	v_mul_f64 v[191:192], v[38:39], v[8:9]
	v_mul_f64 v[8:9], v[40:41], v[8:9]
	s_delay_alu instid0(VALU_DEP_4) | instskip(NEXT) | instid1(VALU_DEP_4)
	v_fma_f64 v[193:194], v[42:43], v[2:3], -v[187:188]
	v_fma_f64 v[195:196], v[44:45], v[2:3], v[4:5]
	ds_load_b128 v[2:5], v1 offset:832
	ds_load_b128 v[187:190], v1 offset:848
	scratch_load_b128 v[42:45], off, off offset:256
	v_fma_f64 v[40:41], v[40:41], v[6:7], v[191:192]
	v_fma_f64 v[38:39], v[38:39], v[6:7], -v[8:9]
	scratch_load_b128 v[6:9], off, off offset:272
	s_waitcnt vmcnt(10) lgkmcnt(1)
	v_mul_f64 v[197:198], v[2:3], v[12:13]
	v_mul_f64 v[12:13], v[4:5], v[12:13]
	v_add_f64 v[191:192], v[193:194], 0
	v_add_f64 v[193:194], v[195:196], 0
	s_waitcnt vmcnt(9) lgkmcnt(0)
	v_mul_f64 v[195:196], v[187:188], v[16:17]
	v_mul_f64 v[16:17], v[189:190], v[16:17]
	v_fma_f64 v[197:198], v[4:5], v[10:11], v[197:198]
	v_fma_f64 v[199:200], v[2:3], v[10:11], -v[12:13]
	ds_load_b128 v[2:5], v1 offset:864
	scratch_load_b128 v[10:13], off, off offset:288
	v_add_f64 v[191:192], v[191:192], v[38:39]
	v_add_f64 v[193:194], v[193:194], v[40:41]
	ds_load_b128 v[38:41], v1 offset:880
	v_fma_f64 v[189:190], v[189:190], v[14:15], v[195:196]
	v_fma_f64 v[187:188], v[187:188], v[14:15], -v[16:17]
	scratch_load_b128 v[14:17], off, off offset:304
	s_waitcnt vmcnt(10) lgkmcnt(1)
	v_mul_f64 v[201:202], v[2:3], v[20:21]
	v_mul_f64 v[20:21], v[4:5], v[20:21]
	s_waitcnt vmcnt(9) lgkmcnt(0)
	v_mul_f64 v[195:196], v[38:39], v[24:25]
	v_mul_f64 v[24:25], v[40:41], v[24:25]
	v_add_f64 v[191:192], v[191:192], v[199:200]
	v_add_f64 v[193:194], v[193:194], v[197:198]
	v_fma_f64 v[197:198], v[4:5], v[18:19], v[201:202]
	v_fma_f64 v[199:200], v[2:3], v[18:19], -v[20:21]
	ds_load_b128 v[2:5], v1 offset:896
	scratch_load_b128 v[18:21], off, off offset:320
	v_fma_f64 v[40:41], v[40:41], v[22:23], v[195:196]
	v_fma_f64 v[38:39], v[38:39], v[22:23], -v[24:25]
	scratch_load_b128 v[22:25], off, off offset:336
	v_add_f64 v[191:192], v[191:192], v[187:188]
	v_add_f64 v[193:194], v[193:194], v[189:190]
	ds_load_b128 v[187:190], v1 offset:912
	s_waitcnt vmcnt(10) lgkmcnt(1)
	v_mul_f64 v[201:202], v[2:3], v[28:29]
	v_mul_f64 v[28:29], v[4:5], v[28:29]
	s_waitcnt vmcnt(9) lgkmcnt(0)
	v_mul_f64 v[195:196], v[187:188], v[32:33]
	v_mul_f64 v[32:33], v[189:190], v[32:33]
	v_add_f64 v[191:192], v[191:192], v[199:200]
	v_add_f64 v[193:194], v[193:194], v[197:198]
	v_fma_f64 v[197:198], v[4:5], v[26:27], v[201:202]
	v_fma_f64 v[199:200], v[2:3], v[26:27], -v[28:29]
	ds_load_b128 v[2:5], v1 offset:928
	scratch_load_b128 v[26:29], off, off offset:352
	v_fma_f64 v[189:190], v[189:190], v[30:31], v[195:196]
	v_fma_f64 v[187:188], v[187:188], v[30:31], -v[32:33]
	scratch_load_b128 v[30:33], off, off offset:368
	v_add_f64 v[191:192], v[191:192], v[38:39]
	v_add_f64 v[193:194], v[193:194], v[40:41]
	ds_load_b128 v[38:41], v1 offset:944
	s_waitcnt vmcnt(10) lgkmcnt(1)
	v_mul_f64 v[201:202], v[2:3], v[36:37]
	v_mul_f64 v[36:37], v[4:5], v[36:37]
	s_waitcnt vmcnt(8) lgkmcnt(0)
	v_mul_f64 v[195:196], v[38:39], v[185:186]
	v_add_f64 v[191:192], v[191:192], v[199:200]
	v_add_f64 v[193:194], v[193:194], v[197:198]
	v_mul_f64 v[197:198], v[40:41], v[185:186]
	v_fma_f64 v[199:200], v[4:5], v[34:35], v[201:202]
	v_fma_f64 v[201:202], v[2:3], v[34:35], -v[36:37]
	ds_load_b128 v[2:5], v1 offset:960
	scratch_load_b128 v[34:37], off, off offset:384
	v_fma_f64 v[195:196], v[40:41], v[183:184], v[195:196]
	v_add_f64 v[191:192], v[191:192], v[187:188]
	v_add_f64 v[189:190], v[193:194], v[189:190]
	ds_load_b128 v[185:188], v1 offset:976
	v_fma_f64 v[183:184], v[38:39], v[183:184], -v[197:198]
	scratch_load_b128 v[38:41], off, off offset:400
	s_waitcnt vmcnt(9) lgkmcnt(1)
	v_mul_f64 v[193:194], v[2:3], v[44:45]
	v_mul_f64 v[44:45], v[4:5], v[44:45]
	s_waitcnt vmcnt(8) lgkmcnt(0)
	v_mul_f64 v[197:198], v[185:186], v[8:9]
	v_mul_f64 v[8:9], v[187:188], v[8:9]
	v_add_f64 v[191:192], v[191:192], v[201:202]
	v_add_f64 v[189:190], v[189:190], v[199:200]
	v_fma_f64 v[193:194], v[4:5], v[42:43], v[193:194]
	v_fma_f64 v[199:200], v[2:3], v[42:43], -v[44:45]
	ds_load_b128 v[2:5], v1 offset:992
	scratch_load_b128 v[42:45], off, off offset:416
	v_fma_f64 v[187:188], v[187:188], v[6:7], v[197:198]
	v_fma_f64 v[185:186], v[185:186], v[6:7], -v[8:9]
	scratch_load_b128 v[6:9], off, off offset:432
	v_add_f64 v[183:184], v[191:192], v[183:184]
	v_add_f64 v[195:196], v[189:190], v[195:196]
	ds_load_b128 v[189:192], v1 offset:1008
	s_waitcnt vmcnt(9) lgkmcnt(1)
	v_mul_f64 v[201:202], v[2:3], v[12:13]
	v_mul_f64 v[12:13], v[4:5], v[12:13]
	v_add_f64 v[183:184], v[183:184], v[199:200]
	v_add_f64 v[193:194], v[195:196], v[193:194]
	s_waitcnt vmcnt(8) lgkmcnt(0)
	v_mul_f64 v[195:196], v[189:190], v[16:17]
	v_mul_f64 v[16:17], v[191:192], v[16:17]
	v_fma_f64 v[197:198], v[4:5], v[10:11], v[201:202]
	v_fma_f64 v[199:200], v[2:3], v[10:11], -v[12:13]
	ds_load_b128 v[2:5], v1 offset:1024
	scratch_load_b128 v[10:13], off, off offset:448
	v_add_f64 v[201:202], v[183:184], v[185:186]
	v_add_f64 v[187:188], v[193:194], v[187:188]
	ds_load_b128 v[183:186], v1 offset:1040
	s_waitcnt vmcnt(8) lgkmcnt(1)
	v_mul_f64 v[193:194], v[2:3], v[20:21]
	v_mul_f64 v[20:21], v[4:5], v[20:21]
	v_fma_f64 v[191:192], v[191:192], v[14:15], v[195:196]
	v_fma_f64 v[189:190], v[189:190], v[14:15], -v[16:17]
	scratch_load_b128 v[14:17], off, off offset:464
	v_add_f64 v[195:196], v[201:202], v[199:200]
	v_add_f64 v[187:188], v[187:188], v[197:198]
	s_waitcnt vmcnt(8) lgkmcnt(0)
	v_mul_f64 v[197:198], v[183:184], v[24:25]
	v_mul_f64 v[24:25], v[185:186], v[24:25]
	v_fma_f64 v[193:194], v[4:5], v[18:19], v[193:194]
	v_fma_f64 v[199:200], v[2:3], v[18:19], -v[20:21]
	ds_load_b128 v[2:5], v1 offset:1056
	scratch_load_b128 v[18:21], off, off offset:480
	v_add_f64 v[195:196], v[195:196], v[189:190]
	v_add_f64 v[191:192], v[187:188], v[191:192]
	ds_load_b128 v[187:190], v1 offset:1072
	s_waitcnt vmcnt(8) lgkmcnt(1)
	v_mul_f64 v[201:202], v[2:3], v[28:29]
	v_mul_f64 v[28:29], v[4:5], v[28:29]
	v_fma_f64 v[185:186], v[185:186], v[22:23], v[197:198]
	v_fma_f64 v[183:184], v[183:184], v[22:23], -v[24:25]
	scratch_load_b128 v[22:25], off, off offset:496
	;; [unrolled: 18-line block ×4, first 2 shown]
	s_waitcnt vmcnt(8) lgkmcnt(0)
	v_mul_f64 v[195:196], v[187:188], v[8:9]
	v_mul_f64 v[8:9], v[189:190], v[8:9]
	v_add_f64 v[193:194], v[193:194], v[199:200]
	v_add_f64 v[191:192], v[191:192], v[197:198]
	v_fma_f64 v[197:198], v[4:5], v[42:43], v[201:202]
	v_fma_f64 v[199:200], v[2:3], v[42:43], -v[44:45]
	ds_load_b128 v[2:5], v1 offset:1152
	scratch_load_b128 v[42:45], off, off offset:576
	v_fma_f64 v[189:190], v[189:190], v[6:7], v[195:196]
	v_fma_f64 v[187:188], v[187:188], v[6:7], -v[8:9]
	scratch_load_b128 v[6:9], off, off offset:592
	v_add_f64 v[193:194], v[193:194], v[183:184]
	v_add_f64 v[191:192], v[191:192], v[185:186]
	ds_load_b128 v[183:186], v1 offset:1168
	s_waitcnt vmcnt(9) lgkmcnt(1)
	v_mul_f64 v[201:202], v[2:3], v[12:13]
	v_mul_f64 v[12:13], v[4:5], v[12:13]
	s_waitcnt vmcnt(8) lgkmcnt(0)
	v_mul_f64 v[195:196], v[183:184], v[16:17]
	v_mul_f64 v[16:17], v[185:186], v[16:17]
	v_add_f64 v[193:194], v[193:194], v[199:200]
	v_add_f64 v[191:192], v[191:192], v[197:198]
	v_fma_f64 v[197:198], v[4:5], v[10:11], v[201:202]
	v_fma_f64 v[199:200], v[2:3], v[10:11], -v[12:13]
	ds_load_b128 v[2:5], v1 offset:1184
	scratch_load_b128 v[10:13], off, off offset:608
	v_fma_f64 v[185:186], v[185:186], v[14:15], v[195:196]
	v_fma_f64 v[183:184], v[183:184], v[14:15], -v[16:17]
	scratch_load_b128 v[14:17], off, off offset:624
	v_add_f64 v[193:194], v[193:194], v[187:188]
	v_add_f64 v[191:192], v[191:192], v[189:190]
	ds_load_b128 v[187:190], v1 offset:1200
	s_waitcnt vmcnt(9) lgkmcnt(1)
	v_mul_f64 v[201:202], v[2:3], v[20:21]
	v_mul_f64 v[20:21], v[4:5], v[20:21]
	;; [unrolled: 18-line block ×4, first 2 shown]
	s_waitcnt vmcnt(8) lgkmcnt(0)
	v_mul_f64 v[195:196], v[187:188], v[40:41]
	v_mul_f64 v[40:41], v[189:190], v[40:41]
	v_add_f64 v[193:194], v[193:194], v[199:200]
	v_add_f64 v[191:192], v[191:192], v[197:198]
	v_fma_f64 v[197:198], v[4:5], v[34:35], v[201:202]
	v_fma_f64 v[199:200], v[2:3], v[34:35], -v[36:37]
	ds_load_b128 v[2:5], v1 offset:1280
	ds_load_b128 v[34:37], v1 offset:1296
	v_fma_f64 v[189:190], v[189:190], v[38:39], v[195:196]
	v_fma_f64 v[38:39], v[187:188], v[38:39], -v[40:41]
	v_add_f64 v[183:184], v[193:194], v[183:184]
	v_add_f64 v[185:186], v[191:192], v[185:186]
	s_waitcnt vmcnt(7) lgkmcnt(1)
	v_mul_f64 v[191:192], v[2:3], v[44:45]
	v_mul_f64 v[44:45], v[4:5], v[44:45]
	s_delay_alu instid0(VALU_DEP_4) | instskip(NEXT) | instid1(VALU_DEP_4)
	v_add_f64 v[40:41], v[183:184], v[199:200]
	v_add_f64 v[183:184], v[185:186], v[197:198]
	s_waitcnt vmcnt(6) lgkmcnt(0)
	v_mul_f64 v[185:186], v[34:35], v[8:9]
	v_mul_f64 v[8:9], v[36:37], v[8:9]
	v_fma_f64 v[187:188], v[4:5], v[42:43], v[191:192]
	v_fma_f64 v[42:43], v[2:3], v[42:43], -v[44:45]
	v_add_f64 v[44:45], v[40:41], v[38:39]
	v_add_f64 v[183:184], v[183:184], v[189:190]
	ds_load_b128 v[2:5], v1 offset:1312
	ds_load_b128 v[38:41], v1 offset:1328
	v_fma_f64 v[36:37], v[36:37], v[6:7], v[185:186]
	v_fma_f64 v[6:7], v[34:35], v[6:7], -v[8:9]
	s_waitcnt vmcnt(5) lgkmcnt(1)
	v_mul_f64 v[189:190], v[2:3], v[12:13]
	v_mul_f64 v[12:13], v[4:5], v[12:13]
	v_add_f64 v[8:9], v[44:45], v[42:43]
	v_add_f64 v[34:35], v[183:184], v[187:188]
	s_waitcnt vmcnt(4) lgkmcnt(0)
	v_mul_f64 v[42:43], v[38:39], v[16:17]
	v_mul_f64 v[16:17], v[40:41], v[16:17]
	v_fma_f64 v[44:45], v[4:5], v[10:11], v[189:190]
	v_fma_f64 v[10:11], v[2:3], v[10:11], -v[12:13]
	v_add_f64 v[12:13], v[8:9], v[6:7]
	v_add_f64 v[34:35], v[34:35], v[36:37]
	ds_load_b128 v[2:5], v1 offset:1344
	ds_load_b128 v[6:9], v1 offset:1360
	v_fma_f64 v[40:41], v[40:41], v[14:15], v[42:43]
	v_fma_f64 v[14:15], v[38:39], v[14:15], -v[16:17]
	s_waitcnt vmcnt(3) lgkmcnt(1)
	v_mul_f64 v[36:37], v[2:3], v[20:21]
	v_mul_f64 v[20:21], v[4:5], v[20:21]
	s_waitcnt vmcnt(2) lgkmcnt(0)
	v_mul_f64 v[16:17], v[6:7], v[24:25]
	v_mul_f64 v[24:25], v[8:9], v[24:25]
	v_add_f64 v[10:11], v[12:13], v[10:11]
	v_add_f64 v[12:13], v[34:35], v[44:45]
	v_fma_f64 v[34:35], v[4:5], v[18:19], v[36:37]
	v_fma_f64 v[18:19], v[2:3], v[18:19], -v[20:21]
	v_fma_f64 v[8:9], v[8:9], v[22:23], v[16:17]
	v_fma_f64 v[6:7], v[6:7], v[22:23], -v[24:25]
	v_add_f64 v[14:15], v[10:11], v[14:15]
	v_add_f64 v[20:21], v[12:13], v[40:41]
	ds_load_b128 v[2:5], v1 offset:1376
	ds_load_b128 v[10:13], v1 offset:1392
	s_waitcnt vmcnt(1) lgkmcnt(1)
	v_mul_f64 v[36:37], v[2:3], v[28:29]
	v_mul_f64 v[28:29], v[4:5], v[28:29]
	v_add_f64 v[14:15], v[14:15], v[18:19]
	v_add_f64 v[16:17], v[20:21], v[34:35]
	s_waitcnt vmcnt(0) lgkmcnt(0)
	v_mul_f64 v[18:19], v[10:11], v[32:33]
	v_mul_f64 v[20:21], v[12:13], v[32:33]
	v_fma_f64 v[4:5], v[4:5], v[26:27], v[36:37]
	v_fma_f64 v[1:2], v[2:3], v[26:27], -v[28:29]
	v_add_f64 v[6:7], v[14:15], v[6:7]
	v_add_f64 v[8:9], v[16:17], v[8:9]
	v_fma_f64 v[12:13], v[12:13], v[30:31], v[18:19]
	v_fma_f64 v[10:11], v[10:11], v[30:31], -v[20:21]
	s_delay_alu instid0(VALU_DEP_4) | instskip(NEXT) | instid1(VALU_DEP_4)
	v_add_f64 v[1:2], v[6:7], v[1:2]
	v_add_f64 v[3:4], v[8:9], v[4:5]
	s_delay_alu instid0(VALU_DEP_2) | instskip(NEXT) | instid1(VALU_DEP_2)
	v_add_f64 v[1:2], v[1:2], v[10:11]
	v_add_f64 v[3:4], v[3:4], v[12:13]
	s_delay_alu instid0(VALU_DEP_2) | instskip(NEXT) | instid1(VALU_DEP_2)
	v_add_f64 v[1:2], v[179:180], -v[1:2]
	v_add_f64 v[3:4], v[181:182], -v[3:4]
	scratch_store_b128 off, v[1:4], off offset:80
	v_cmpx_lt_u32_e32 4, v134
	s_cbranch_execz .LBB107_269
; %bb.268:
	scratch_load_b128 v[1:4], v176, off
	v_mov_b32_e32 v5, 0
	s_delay_alu instid0(VALU_DEP_1)
	v_mov_b32_e32 v6, v5
	v_mov_b32_e32 v7, v5
	;; [unrolled: 1-line block ×3, first 2 shown]
	scratch_store_b128 off, v[5:8], off offset:64
	s_waitcnt vmcnt(0)
	ds_store_b128 v178, v[1:4]
.LBB107_269:
	s_or_b32 exec_lo, exec_lo, s2
	s_waitcnt lgkmcnt(0)
	s_waitcnt_vscnt null, 0x0
	s_barrier
	buffer_gl0_inv
	s_clause 0x7
	scratch_load_b128 v[2:5], off, off offset:80
	scratch_load_b128 v[6:9], off, off offset:96
	;; [unrolled: 1-line block ×8, first 2 shown]
	v_mov_b32_e32 v1, 0
	s_mov_b32 s2, exec_lo
	ds_load_b128 v[38:41], v1 offset:784
	s_clause 0x1
	scratch_load_b128 v[34:37], off, off offset:208
	scratch_load_b128 v[42:45], off, off offset:64
	ds_load_b128 v[179:182], v1 offset:800
	scratch_load_b128 v[183:186], off, off offset:224
	s_waitcnt vmcnt(10) lgkmcnt(1)
	v_mul_f64 v[187:188], v[40:41], v[4:5]
	v_mul_f64 v[4:5], v[38:39], v[4:5]
	s_delay_alu instid0(VALU_DEP_2) | instskip(NEXT) | instid1(VALU_DEP_2)
	v_fma_f64 v[193:194], v[38:39], v[2:3], -v[187:188]
	v_fma_f64 v[195:196], v[40:41], v[2:3], v[4:5]
	scratch_load_b128 v[38:41], off, off offset:240
	ds_load_b128 v[2:5], v1 offset:816
	s_waitcnt vmcnt(10) lgkmcnt(1)
	v_mul_f64 v[191:192], v[179:180], v[8:9]
	v_mul_f64 v[8:9], v[181:182], v[8:9]
	ds_load_b128 v[187:190], v1 offset:832
	s_waitcnt vmcnt(9) lgkmcnt(1)
	v_mul_f64 v[197:198], v[2:3], v[12:13]
	v_mul_f64 v[12:13], v[4:5], v[12:13]
	v_fma_f64 v[181:182], v[181:182], v[6:7], v[191:192]
	v_fma_f64 v[179:180], v[179:180], v[6:7], -v[8:9]
	v_add_f64 v[191:192], v[193:194], 0
	v_add_f64 v[193:194], v[195:196], 0
	scratch_load_b128 v[6:9], off, off offset:256
	v_fma_f64 v[197:198], v[4:5], v[10:11], v[197:198]
	v_fma_f64 v[199:200], v[2:3], v[10:11], -v[12:13]
	scratch_load_b128 v[10:13], off, off offset:272
	ds_load_b128 v[2:5], v1 offset:848
	s_waitcnt vmcnt(10) lgkmcnt(1)
	v_mul_f64 v[195:196], v[187:188], v[16:17]
	v_mul_f64 v[16:17], v[189:190], v[16:17]
	v_add_f64 v[191:192], v[191:192], v[179:180]
	v_add_f64 v[193:194], v[193:194], v[181:182]
	s_waitcnt vmcnt(9) lgkmcnt(0)
	v_mul_f64 v[201:202], v[2:3], v[20:21]
	v_mul_f64 v[20:21], v[4:5], v[20:21]
	ds_load_b128 v[179:182], v1 offset:864
	v_fma_f64 v[189:190], v[189:190], v[14:15], v[195:196]
	v_fma_f64 v[187:188], v[187:188], v[14:15], -v[16:17]
	scratch_load_b128 v[14:17], off, off offset:288
	v_add_f64 v[191:192], v[191:192], v[199:200]
	v_add_f64 v[193:194], v[193:194], v[197:198]
	v_fma_f64 v[197:198], v[4:5], v[18:19], v[201:202]
	v_fma_f64 v[199:200], v[2:3], v[18:19], -v[20:21]
	scratch_load_b128 v[18:21], off, off offset:304
	ds_load_b128 v[2:5], v1 offset:880
	s_waitcnt vmcnt(10) lgkmcnt(1)
	v_mul_f64 v[195:196], v[179:180], v[24:25]
	v_mul_f64 v[24:25], v[181:182], v[24:25]
	s_waitcnt vmcnt(9) lgkmcnt(0)
	v_mul_f64 v[201:202], v[2:3], v[28:29]
	v_mul_f64 v[28:29], v[4:5], v[28:29]
	v_add_f64 v[191:192], v[191:192], v[187:188]
	v_add_f64 v[193:194], v[193:194], v[189:190]
	ds_load_b128 v[187:190], v1 offset:896
	v_fma_f64 v[181:182], v[181:182], v[22:23], v[195:196]
	v_fma_f64 v[179:180], v[179:180], v[22:23], -v[24:25]
	scratch_load_b128 v[22:25], off, off offset:320
	v_add_f64 v[191:192], v[191:192], v[199:200]
	v_add_f64 v[193:194], v[193:194], v[197:198]
	v_fma_f64 v[197:198], v[4:5], v[26:27], v[201:202]
	v_fma_f64 v[199:200], v[2:3], v[26:27], -v[28:29]
	scratch_load_b128 v[26:29], off, off offset:336
	ds_load_b128 v[2:5], v1 offset:912
	s_waitcnt vmcnt(10) lgkmcnt(1)
	v_mul_f64 v[195:196], v[187:188], v[32:33]
	v_mul_f64 v[32:33], v[189:190], v[32:33]
	s_waitcnt vmcnt(9) lgkmcnt(0)
	v_mul_f64 v[201:202], v[2:3], v[36:37]
	v_mul_f64 v[36:37], v[4:5], v[36:37]
	v_add_f64 v[191:192], v[191:192], v[179:180]
	v_add_f64 v[193:194], v[193:194], v[181:182]
	ds_load_b128 v[179:182], v1 offset:928
	v_fma_f64 v[189:190], v[189:190], v[30:31], v[195:196]
	v_fma_f64 v[187:188], v[187:188], v[30:31], -v[32:33]
	scratch_load_b128 v[30:33], off, off offset:352
	v_add_f64 v[191:192], v[191:192], v[199:200]
	v_add_f64 v[193:194], v[193:194], v[197:198]
	v_fma_f64 v[199:200], v[4:5], v[34:35], v[201:202]
	v_fma_f64 v[201:202], v[2:3], v[34:35], -v[36:37]
	scratch_load_b128 v[34:37], off, off offset:368
	ds_load_b128 v[2:5], v1 offset:944
	s_waitcnt vmcnt(9) lgkmcnt(1)
	v_mul_f64 v[195:196], v[179:180], v[185:186]
	v_mul_f64 v[197:198], v[181:182], v[185:186]
	v_add_f64 v[191:192], v[191:192], v[187:188]
	v_add_f64 v[189:190], v[193:194], v[189:190]
	ds_load_b128 v[185:188], v1 offset:960
	v_fma_f64 v[195:196], v[181:182], v[183:184], v[195:196]
	v_fma_f64 v[183:184], v[179:180], v[183:184], -v[197:198]
	scratch_load_b128 v[179:182], off, off offset:384
	s_waitcnt vmcnt(9) lgkmcnt(1)
	v_mul_f64 v[193:194], v[2:3], v[40:41]
	v_mul_f64 v[40:41], v[4:5], v[40:41]
	v_add_f64 v[191:192], v[191:192], v[201:202]
	v_add_f64 v[189:190], v[189:190], v[199:200]
	s_delay_alu instid0(VALU_DEP_4) | instskip(NEXT) | instid1(VALU_DEP_4)
	v_fma_f64 v[193:194], v[4:5], v[38:39], v[193:194]
	v_fma_f64 v[199:200], v[2:3], v[38:39], -v[40:41]
	scratch_load_b128 v[38:41], off, off offset:400
	ds_load_b128 v[2:5], v1 offset:976
	s_waitcnt vmcnt(9) lgkmcnt(1)
	v_mul_f64 v[197:198], v[185:186], v[8:9]
	v_mul_f64 v[8:9], v[187:188], v[8:9]
	s_waitcnt vmcnt(8) lgkmcnt(0)
	v_mul_f64 v[201:202], v[2:3], v[12:13]
	v_mul_f64 v[12:13], v[4:5], v[12:13]
	v_add_f64 v[183:184], v[191:192], v[183:184]
	v_add_f64 v[195:196], v[189:190], v[195:196]
	ds_load_b128 v[189:192], v1 offset:992
	v_fma_f64 v[187:188], v[187:188], v[6:7], v[197:198]
	v_fma_f64 v[185:186], v[185:186], v[6:7], -v[8:9]
	scratch_load_b128 v[6:9], off, off offset:416
	v_fma_f64 v[197:198], v[4:5], v[10:11], v[201:202]
	v_add_f64 v[183:184], v[183:184], v[199:200]
	v_add_f64 v[193:194], v[195:196], v[193:194]
	v_fma_f64 v[199:200], v[2:3], v[10:11], -v[12:13]
	scratch_load_b128 v[10:13], off, off offset:432
	ds_load_b128 v[2:5], v1 offset:1008
	s_waitcnt vmcnt(9) lgkmcnt(1)
	v_mul_f64 v[195:196], v[189:190], v[16:17]
	v_mul_f64 v[16:17], v[191:192], v[16:17]
	v_add_f64 v[201:202], v[183:184], v[185:186]
	v_add_f64 v[187:188], v[193:194], v[187:188]
	s_waitcnt vmcnt(8) lgkmcnt(0)
	v_mul_f64 v[193:194], v[2:3], v[20:21]
	v_mul_f64 v[20:21], v[4:5], v[20:21]
	ds_load_b128 v[183:186], v1 offset:1024
	v_fma_f64 v[191:192], v[191:192], v[14:15], v[195:196]
	v_fma_f64 v[189:190], v[189:190], v[14:15], -v[16:17]
	scratch_load_b128 v[14:17], off, off offset:448
	v_add_f64 v[195:196], v[201:202], v[199:200]
	v_add_f64 v[187:188], v[187:188], v[197:198]
	v_fma_f64 v[193:194], v[4:5], v[18:19], v[193:194]
	v_fma_f64 v[199:200], v[2:3], v[18:19], -v[20:21]
	scratch_load_b128 v[18:21], off, off offset:464
	ds_load_b128 v[2:5], v1 offset:1040
	s_waitcnt vmcnt(9) lgkmcnt(1)
	v_mul_f64 v[197:198], v[183:184], v[24:25]
	v_mul_f64 v[24:25], v[185:186], v[24:25]
	s_waitcnt vmcnt(8) lgkmcnt(0)
	v_mul_f64 v[201:202], v[2:3], v[28:29]
	v_mul_f64 v[28:29], v[4:5], v[28:29]
	v_add_f64 v[195:196], v[195:196], v[189:190]
	v_add_f64 v[191:192], v[187:188], v[191:192]
	ds_load_b128 v[187:190], v1 offset:1056
	v_fma_f64 v[185:186], v[185:186], v[22:23], v[197:198]
	v_fma_f64 v[183:184], v[183:184], v[22:23], -v[24:25]
	scratch_load_b128 v[22:25], off, off offset:480
	v_fma_f64 v[197:198], v[4:5], v[26:27], v[201:202]
	v_add_f64 v[195:196], v[195:196], v[199:200]
	v_add_f64 v[191:192], v[191:192], v[193:194]
	v_fma_f64 v[199:200], v[2:3], v[26:27], -v[28:29]
	scratch_load_b128 v[26:29], off, off offset:496
	ds_load_b128 v[2:5], v1 offset:1072
	s_waitcnt vmcnt(9) lgkmcnt(1)
	v_mul_f64 v[193:194], v[187:188], v[32:33]
	v_mul_f64 v[32:33], v[189:190], v[32:33]
	s_waitcnt vmcnt(8) lgkmcnt(0)
	v_mul_f64 v[201:202], v[2:3], v[36:37]
	v_mul_f64 v[36:37], v[4:5], v[36:37]
	v_add_f64 v[195:196], v[195:196], v[183:184]
	v_add_f64 v[191:192], v[191:192], v[185:186]
	ds_load_b128 v[183:186], v1 offset:1088
	v_fma_f64 v[189:190], v[189:190], v[30:31], v[193:194]
	v_fma_f64 v[187:188], v[187:188], v[30:31], -v[32:33]
	scratch_load_b128 v[30:33], off, off offset:512
	v_add_f64 v[193:194], v[195:196], v[199:200]
	v_add_f64 v[191:192], v[191:192], v[197:198]
	v_fma_f64 v[197:198], v[4:5], v[34:35], v[201:202]
	v_fma_f64 v[199:200], v[2:3], v[34:35], -v[36:37]
	scratch_load_b128 v[34:37], off, off offset:528
	ds_load_b128 v[2:5], v1 offset:1104
	s_waitcnt vmcnt(9) lgkmcnt(1)
	v_mul_f64 v[195:196], v[183:184], v[181:182]
	v_mul_f64 v[181:182], v[185:186], v[181:182]
	s_waitcnt vmcnt(8) lgkmcnt(0)
	v_mul_f64 v[201:202], v[2:3], v[40:41]
	v_mul_f64 v[40:41], v[4:5], v[40:41]
	v_add_f64 v[193:194], v[193:194], v[187:188]
	v_add_f64 v[191:192], v[191:192], v[189:190]
	ds_load_b128 v[187:190], v1 offset:1120
	v_fma_f64 v[185:186], v[185:186], v[179:180], v[195:196]
	v_fma_f64 v[183:184], v[183:184], v[179:180], -v[181:182]
	scratch_load_b128 v[179:182], off, off offset:544
	v_add_f64 v[193:194], v[193:194], v[199:200]
	v_add_f64 v[191:192], v[191:192], v[197:198]
	v_fma_f64 v[197:198], v[4:5], v[38:39], v[201:202]
	;; [unrolled: 18-line block ×6, first 2 shown]
	v_fma_f64 v[201:202], v[2:3], v[34:35], -v[36:37]
	scratch_load_b128 v[34:37], off, off offset:688
	ds_load_b128 v[2:5], v1 offset:1264
	s_waitcnt vmcnt(9) lgkmcnt(1)
	v_mul_f64 v[195:196], v[187:188], v[181:182]
	v_mul_f64 v[197:198], v[189:190], v[181:182]
	v_add_f64 v[193:194], v[193:194], v[183:184]
	v_add_f64 v[185:186], v[191:192], v[185:186]
	s_waitcnt vmcnt(8) lgkmcnt(0)
	v_mul_f64 v[191:192], v[2:3], v[40:41]
	v_mul_f64 v[40:41], v[4:5], v[40:41]
	ds_load_b128 v[181:184], v1 offset:1280
	v_fma_f64 v[189:190], v[189:190], v[179:180], v[195:196]
	v_fma_f64 v[179:180], v[187:188], v[179:180], -v[197:198]
	v_add_f64 v[187:188], v[193:194], v[201:202]
	v_add_f64 v[185:186], v[185:186], v[199:200]
	s_waitcnt vmcnt(7) lgkmcnt(0)
	v_mul_f64 v[193:194], v[181:182], v[8:9]
	v_mul_f64 v[8:9], v[183:184], v[8:9]
	v_fma_f64 v[191:192], v[4:5], v[38:39], v[191:192]
	v_fma_f64 v[195:196], v[2:3], v[38:39], -v[40:41]
	ds_load_b128 v[2:5], v1 offset:1296
	ds_load_b128 v[38:41], v1 offset:1312
	v_add_f64 v[179:180], v[187:188], v[179:180]
	v_add_f64 v[185:186], v[185:186], v[189:190]
	s_waitcnt vmcnt(6) lgkmcnt(1)
	v_mul_f64 v[187:188], v[2:3], v[12:13]
	v_mul_f64 v[12:13], v[4:5], v[12:13]
	v_fma_f64 v[183:184], v[183:184], v[6:7], v[193:194]
	v_fma_f64 v[6:7], v[181:182], v[6:7], -v[8:9]
	s_waitcnt vmcnt(5) lgkmcnt(0)
	v_mul_f64 v[181:182], v[38:39], v[16:17]
	v_mul_f64 v[16:17], v[40:41], v[16:17]
	v_add_f64 v[8:9], v[179:180], v[195:196]
	v_add_f64 v[179:180], v[185:186], v[191:192]
	v_fma_f64 v[185:186], v[4:5], v[10:11], v[187:188]
	v_fma_f64 v[10:11], v[2:3], v[10:11], -v[12:13]
	v_fma_f64 v[40:41], v[40:41], v[14:15], v[181:182]
	v_fma_f64 v[14:15], v[38:39], v[14:15], -v[16:17]
	v_add_f64 v[12:13], v[8:9], v[6:7]
	v_add_f64 v[179:180], v[179:180], v[183:184]
	ds_load_b128 v[2:5], v1 offset:1328
	ds_load_b128 v[6:9], v1 offset:1344
	s_waitcnt vmcnt(4) lgkmcnt(1)
	v_mul_f64 v[183:184], v[2:3], v[20:21]
	v_mul_f64 v[20:21], v[4:5], v[20:21]
	s_waitcnt vmcnt(3) lgkmcnt(0)
	v_mul_f64 v[16:17], v[6:7], v[24:25]
	v_mul_f64 v[24:25], v[8:9], v[24:25]
	v_add_f64 v[10:11], v[12:13], v[10:11]
	v_add_f64 v[12:13], v[179:180], v[185:186]
	v_fma_f64 v[38:39], v[4:5], v[18:19], v[183:184]
	v_fma_f64 v[18:19], v[2:3], v[18:19], -v[20:21]
	v_fma_f64 v[8:9], v[8:9], v[22:23], v[16:17]
	v_fma_f64 v[6:7], v[6:7], v[22:23], -v[24:25]
	v_add_f64 v[14:15], v[10:11], v[14:15]
	v_add_f64 v[20:21], v[12:13], v[40:41]
	ds_load_b128 v[2:5], v1 offset:1360
	ds_load_b128 v[10:13], v1 offset:1376
	s_waitcnt vmcnt(2) lgkmcnt(1)
	v_mul_f64 v[40:41], v[2:3], v[28:29]
	v_mul_f64 v[28:29], v[4:5], v[28:29]
	v_add_f64 v[14:15], v[14:15], v[18:19]
	v_add_f64 v[16:17], v[20:21], v[38:39]
	s_waitcnt vmcnt(1) lgkmcnt(0)
	v_mul_f64 v[18:19], v[10:11], v[32:33]
	v_mul_f64 v[20:21], v[12:13], v[32:33]
	v_fma_f64 v[22:23], v[4:5], v[26:27], v[40:41]
	v_fma_f64 v[24:25], v[2:3], v[26:27], -v[28:29]
	ds_load_b128 v[2:5], v1 offset:1392
	v_add_f64 v[6:7], v[14:15], v[6:7]
	v_add_f64 v[8:9], v[16:17], v[8:9]
	v_fma_f64 v[12:13], v[12:13], v[30:31], v[18:19]
	v_fma_f64 v[10:11], v[10:11], v[30:31], -v[20:21]
	s_waitcnt vmcnt(0) lgkmcnt(0)
	v_mul_f64 v[14:15], v[2:3], v[36:37]
	v_mul_f64 v[16:17], v[4:5], v[36:37]
	v_add_f64 v[6:7], v[6:7], v[24:25]
	v_add_f64 v[8:9], v[8:9], v[22:23]
	s_delay_alu instid0(VALU_DEP_4) | instskip(NEXT) | instid1(VALU_DEP_4)
	v_fma_f64 v[4:5], v[4:5], v[34:35], v[14:15]
	v_fma_f64 v[2:3], v[2:3], v[34:35], -v[16:17]
	s_delay_alu instid0(VALU_DEP_4) | instskip(NEXT) | instid1(VALU_DEP_4)
	v_add_f64 v[6:7], v[6:7], v[10:11]
	v_add_f64 v[8:9], v[8:9], v[12:13]
	s_delay_alu instid0(VALU_DEP_2) | instskip(NEXT) | instid1(VALU_DEP_2)
	v_add_f64 v[2:3], v[6:7], v[2:3]
	v_add_f64 v[4:5], v[8:9], v[4:5]
	s_delay_alu instid0(VALU_DEP_2) | instskip(NEXT) | instid1(VALU_DEP_2)
	v_add_f64 v[2:3], v[42:43], -v[2:3]
	v_add_f64 v[4:5], v[44:45], -v[4:5]
	scratch_store_b128 off, v[2:5], off offset:64
	v_cmpx_lt_u32_e32 3, v134
	s_cbranch_execz .LBB107_271
; %bb.270:
	scratch_load_b128 v[5:8], v177, off
	v_mov_b32_e32 v2, v1
	v_mov_b32_e32 v3, v1
	;; [unrolled: 1-line block ×3, first 2 shown]
	scratch_store_b128 off, v[1:4], off offset:48
	s_waitcnt vmcnt(0)
	ds_store_b128 v178, v[5:8]
.LBB107_271:
	s_or_b32 exec_lo, exec_lo, s2
	s_waitcnt lgkmcnt(0)
	s_waitcnt_vscnt null, 0x0
	s_barrier
	buffer_gl0_inv
	s_clause 0x8
	scratch_load_b128 v[2:5], off, off offset:64
	scratch_load_b128 v[6:9], off, off offset:80
	;; [unrolled: 1-line block ×9, first 2 shown]
	ds_load_b128 v[42:45], v1 offset:768
	ds_load_b128 v[38:41], v1 offset:784
	s_clause 0x1
	scratch_load_b128 v[179:182], off, off offset:48
	scratch_load_b128 v[183:186], off, off offset:208
	s_mov_b32 s2, exec_lo
	s_waitcnt vmcnt(10) lgkmcnt(1)
	v_mul_f64 v[187:188], v[44:45], v[4:5]
	v_mul_f64 v[4:5], v[42:43], v[4:5]
	s_waitcnt vmcnt(9) lgkmcnt(0)
	v_mul_f64 v[191:192], v[38:39], v[8:9]
	v_mul_f64 v[8:9], v[40:41], v[8:9]
	s_delay_alu instid0(VALU_DEP_4) | instskip(NEXT) | instid1(VALU_DEP_4)
	v_fma_f64 v[193:194], v[42:43], v[2:3], -v[187:188]
	v_fma_f64 v[195:196], v[44:45], v[2:3], v[4:5]
	ds_load_b128 v[2:5], v1 offset:800
	ds_load_b128 v[187:190], v1 offset:816
	scratch_load_b128 v[42:45], off, off offset:224
	v_fma_f64 v[40:41], v[40:41], v[6:7], v[191:192]
	v_fma_f64 v[38:39], v[38:39], v[6:7], -v[8:9]
	scratch_load_b128 v[6:9], off, off offset:240
	s_waitcnt vmcnt(10) lgkmcnt(1)
	v_mul_f64 v[197:198], v[2:3], v[12:13]
	v_mul_f64 v[12:13], v[4:5], v[12:13]
	v_add_f64 v[191:192], v[193:194], 0
	v_add_f64 v[193:194], v[195:196], 0
	s_waitcnt vmcnt(9) lgkmcnt(0)
	v_mul_f64 v[195:196], v[187:188], v[16:17]
	v_mul_f64 v[16:17], v[189:190], v[16:17]
	v_fma_f64 v[197:198], v[4:5], v[10:11], v[197:198]
	v_fma_f64 v[199:200], v[2:3], v[10:11], -v[12:13]
	ds_load_b128 v[2:5], v1 offset:832
	scratch_load_b128 v[10:13], off, off offset:256
	v_add_f64 v[191:192], v[191:192], v[38:39]
	v_add_f64 v[193:194], v[193:194], v[40:41]
	ds_load_b128 v[38:41], v1 offset:848
	v_fma_f64 v[189:190], v[189:190], v[14:15], v[195:196]
	v_fma_f64 v[187:188], v[187:188], v[14:15], -v[16:17]
	scratch_load_b128 v[14:17], off, off offset:272
	s_waitcnt vmcnt(10) lgkmcnt(1)
	v_mul_f64 v[201:202], v[2:3], v[20:21]
	v_mul_f64 v[20:21], v[4:5], v[20:21]
	s_waitcnt vmcnt(9) lgkmcnt(0)
	v_mul_f64 v[195:196], v[38:39], v[24:25]
	v_mul_f64 v[24:25], v[40:41], v[24:25]
	v_add_f64 v[191:192], v[191:192], v[199:200]
	v_add_f64 v[193:194], v[193:194], v[197:198]
	v_fma_f64 v[197:198], v[4:5], v[18:19], v[201:202]
	v_fma_f64 v[199:200], v[2:3], v[18:19], -v[20:21]
	ds_load_b128 v[2:5], v1 offset:864
	scratch_load_b128 v[18:21], off, off offset:288
	v_fma_f64 v[40:41], v[40:41], v[22:23], v[195:196]
	v_fma_f64 v[38:39], v[38:39], v[22:23], -v[24:25]
	scratch_load_b128 v[22:25], off, off offset:304
	v_add_f64 v[191:192], v[191:192], v[187:188]
	v_add_f64 v[193:194], v[193:194], v[189:190]
	ds_load_b128 v[187:190], v1 offset:880
	s_waitcnt vmcnt(10) lgkmcnt(1)
	v_mul_f64 v[201:202], v[2:3], v[28:29]
	v_mul_f64 v[28:29], v[4:5], v[28:29]
	s_waitcnt vmcnt(9) lgkmcnt(0)
	v_mul_f64 v[195:196], v[187:188], v[32:33]
	v_mul_f64 v[32:33], v[189:190], v[32:33]
	v_add_f64 v[191:192], v[191:192], v[199:200]
	v_add_f64 v[193:194], v[193:194], v[197:198]
	v_fma_f64 v[197:198], v[4:5], v[26:27], v[201:202]
	v_fma_f64 v[199:200], v[2:3], v[26:27], -v[28:29]
	ds_load_b128 v[2:5], v1 offset:896
	scratch_load_b128 v[26:29], off, off offset:320
	v_fma_f64 v[189:190], v[189:190], v[30:31], v[195:196]
	v_fma_f64 v[187:188], v[187:188], v[30:31], -v[32:33]
	scratch_load_b128 v[30:33], off, off offset:336
	v_add_f64 v[191:192], v[191:192], v[38:39]
	v_add_f64 v[193:194], v[193:194], v[40:41]
	ds_load_b128 v[38:41], v1 offset:912
	s_waitcnt vmcnt(10) lgkmcnt(1)
	v_mul_f64 v[201:202], v[2:3], v[36:37]
	v_mul_f64 v[36:37], v[4:5], v[36:37]
	s_waitcnt vmcnt(8) lgkmcnt(0)
	v_mul_f64 v[195:196], v[38:39], v[185:186]
	v_add_f64 v[191:192], v[191:192], v[199:200]
	v_add_f64 v[193:194], v[193:194], v[197:198]
	v_mul_f64 v[197:198], v[40:41], v[185:186]
	v_fma_f64 v[199:200], v[4:5], v[34:35], v[201:202]
	v_fma_f64 v[201:202], v[2:3], v[34:35], -v[36:37]
	ds_load_b128 v[2:5], v1 offset:928
	scratch_load_b128 v[34:37], off, off offset:352
	v_fma_f64 v[195:196], v[40:41], v[183:184], v[195:196]
	v_add_f64 v[191:192], v[191:192], v[187:188]
	v_add_f64 v[189:190], v[193:194], v[189:190]
	ds_load_b128 v[185:188], v1 offset:944
	v_fma_f64 v[183:184], v[38:39], v[183:184], -v[197:198]
	scratch_load_b128 v[38:41], off, off offset:368
	s_waitcnt vmcnt(9) lgkmcnt(1)
	v_mul_f64 v[193:194], v[2:3], v[44:45]
	v_mul_f64 v[44:45], v[4:5], v[44:45]
	s_waitcnt vmcnt(8) lgkmcnt(0)
	v_mul_f64 v[197:198], v[185:186], v[8:9]
	v_mul_f64 v[8:9], v[187:188], v[8:9]
	v_add_f64 v[191:192], v[191:192], v[201:202]
	v_add_f64 v[189:190], v[189:190], v[199:200]
	v_fma_f64 v[193:194], v[4:5], v[42:43], v[193:194]
	v_fma_f64 v[199:200], v[2:3], v[42:43], -v[44:45]
	ds_load_b128 v[2:5], v1 offset:960
	scratch_load_b128 v[42:45], off, off offset:384
	v_fma_f64 v[187:188], v[187:188], v[6:7], v[197:198]
	v_fma_f64 v[185:186], v[185:186], v[6:7], -v[8:9]
	scratch_load_b128 v[6:9], off, off offset:400
	v_add_f64 v[183:184], v[191:192], v[183:184]
	v_add_f64 v[195:196], v[189:190], v[195:196]
	ds_load_b128 v[189:192], v1 offset:976
	s_waitcnt vmcnt(9) lgkmcnt(1)
	v_mul_f64 v[201:202], v[2:3], v[12:13]
	v_mul_f64 v[12:13], v[4:5], v[12:13]
	v_add_f64 v[183:184], v[183:184], v[199:200]
	v_add_f64 v[193:194], v[195:196], v[193:194]
	s_waitcnt vmcnt(8) lgkmcnt(0)
	v_mul_f64 v[195:196], v[189:190], v[16:17]
	v_mul_f64 v[16:17], v[191:192], v[16:17]
	v_fma_f64 v[197:198], v[4:5], v[10:11], v[201:202]
	v_fma_f64 v[199:200], v[2:3], v[10:11], -v[12:13]
	ds_load_b128 v[2:5], v1 offset:992
	scratch_load_b128 v[10:13], off, off offset:416
	v_add_f64 v[201:202], v[183:184], v[185:186]
	v_add_f64 v[187:188], v[193:194], v[187:188]
	ds_load_b128 v[183:186], v1 offset:1008
	s_waitcnt vmcnt(8) lgkmcnt(1)
	v_mul_f64 v[193:194], v[2:3], v[20:21]
	v_mul_f64 v[20:21], v[4:5], v[20:21]
	v_fma_f64 v[191:192], v[191:192], v[14:15], v[195:196]
	v_fma_f64 v[189:190], v[189:190], v[14:15], -v[16:17]
	scratch_load_b128 v[14:17], off, off offset:432
	v_add_f64 v[195:196], v[201:202], v[199:200]
	v_add_f64 v[187:188], v[187:188], v[197:198]
	s_waitcnt vmcnt(8) lgkmcnt(0)
	v_mul_f64 v[197:198], v[183:184], v[24:25]
	v_mul_f64 v[24:25], v[185:186], v[24:25]
	v_fma_f64 v[193:194], v[4:5], v[18:19], v[193:194]
	v_fma_f64 v[199:200], v[2:3], v[18:19], -v[20:21]
	ds_load_b128 v[2:5], v1 offset:1024
	scratch_load_b128 v[18:21], off, off offset:448
	v_add_f64 v[195:196], v[195:196], v[189:190]
	v_add_f64 v[191:192], v[187:188], v[191:192]
	ds_load_b128 v[187:190], v1 offset:1040
	s_waitcnt vmcnt(8) lgkmcnt(1)
	v_mul_f64 v[201:202], v[2:3], v[28:29]
	v_mul_f64 v[28:29], v[4:5], v[28:29]
	v_fma_f64 v[185:186], v[185:186], v[22:23], v[197:198]
	v_fma_f64 v[183:184], v[183:184], v[22:23], -v[24:25]
	scratch_load_b128 v[22:25], off, off offset:464
	;; [unrolled: 18-line block ×4, first 2 shown]
	s_waitcnt vmcnt(8) lgkmcnt(0)
	v_mul_f64 v[195:196], v[187:188], v[8:9]
	v_mul_f64 v[8:9], v[189:190], v[8:9]
	v_add_f64 v[193:194], v[193:194], v[199:200]
	v_add_f64 v[191:192], v[191:192], v[197:198]
	v_fma_f64 v[197:198], v[4:5], v[42:43], v[201:202]
	v_fma_f64 v[199:200], v[2:3], v[42:43], -v[44:45]
	ds_load_b128 v[2:5], v1 offset:1120
	scratch_load_b128 v[42:45], off, off offset:544
	v_fma_f64 v[189:190], v[189:190], v[6:7], v[195:196]
	v_fma_f64 v[187:188], v[187:188], v[6:7], -v[8:9]
	scratch_load_b128 v[6:9], off, off offset:560
	v_add_f64 v[193:194], v[193:194], v[183:184]
	v_add_f64 v[191:192], v[191:192], v[185:186]
	ds_load_b128 v[183:186], v1 offset:1136
	s_waitcnt vmcnt(9) lgkmcnt(1)
	v_mul_f64 v[201:202], v[2:3], v[12:13]
	v_mul_f64 v[12:13], v[4:5], v[12:13]
	s_waitcnt vmcnt(8) lgkmcnt(0)
	v_mul_f64 v[195:196], v[183:184], v[16:17]
	v_mul_f64 v[16:17], v[185:186], v[16:17]
	v_add_f64 v[193:194], v[193:194], v[199:200]
	v_add_f64 v[191:192], v[191:192], v[197:198]
	v_fma_f64 v[197:198], v[4:5], v[10:11], v[201:202]
	v_fma_f64 v[199:200], v[2:3], v[10:11], -v[12:13]
	ds_load_b128 v[2:5], v1 offset:1152
	scratch_load_b128 v[10:13], off, off offset:576
	v_fma_f64 v[185:186], v[185:186], v[14:15], v[195:196]
	v_fma_f64 v[183:184], v[183:184], v[14:15], -v[16:17]
	scratch_load_b128 v[14:17], off, off offset:592
	v_add_f64 v[193:194], v[193:194], v[187:188]
	v_add_f64 v[191:192], v[191:192], v[189:190]
	ds_load_b128 v[187:190], v1 offset:1168
	s_waitcnt vmcnt(9) lgkmcnt(1)
	v_mul_f64 v[201:202], v[2:3], v[20:21]
	v_mul_f64 v[20:21], v[4:5], v[20:21]
	;; [unrolled: 18-line block ×5, first 2 shown]
	s_waitcnt vmcnt(8) lgkmcnt(0)
	v_mul_f64 v[195:196], v[183:184], v[8:9]
	v_mul_f64 v[8:9], v[185:186], v[8:9]
	v_add_f64 v[193:194], v[193:194], v[199:200]
	v_add_f64 v[191:192], v[191:192], v[197:198]
	v_fma_f64 v[197:198], v[4:5], v[42:43], v[201:202]
	v_fma_f64 v[199:200], v[2:3], v[42:43], -v[44:45]
	ds_load_b128 v[2:5], v1 offset:1280
	ds_load_b128 v[42:45], v1 offset:1296
	v_fma_f64 v[185:186], v[185:186], v[6:7], v[195:196]
	v_fma_f64 v[6:7], v[183:184], v[6:7], -v[8:9]
	v_add_f64 v[187:188], v[193:194], v[187:188]
	v_add_f64 v[189:190], v[191:192], v[189:190]
	s_waitcnt vmcnt(7) lgkmcnt(1)
	v_mul_f64 v[191:192], v[2:3], v[12:13]
	v_mul_f64 v[12:13], v[4:5], v[12:13]
	s_delay_alu instid0(VALU_DEP_4) | instskip(NEXT) | instid1(VALU_DEP_4)
	v_add_f64 v[8:9], v[187:188], v[199:200]
	v_add_f64 v[183:184], v[189:190], v[197:198]
	s_waitcnt vmcnt(6) lgkmcnt(0)
	v_mul_f64 v[187:188], v[42:43], v[16:17]
	v_mul_f64 v[16:17], v[44:45], v[16:17]
	v_fma_f64 v[189:190], v[4:5], v[10:11], v[191:192]
	v_fma_f64 v[10:11], v[2:3], v[10:11], -v[12:13]
	v_add_f64 v[12:13], v[8:9], v[6:7]
	v_add_f64 v[183:184], v[183:184], v[185:186]
	ds_load_b128 v[2:5], v1 offset:1312
	ds_load_b128 v[6:9], v1 offset:1328
	v_fma_f64 v[44:45], v[44:45], v[14:15], v[187:188]
	v_fma_f64 v[14:15], v[42:43], v[14:15], -v[16:17]
	s_waitcnt vmcnt(5) lgkmcnt(1)
	v_mul_f64 v[185:186], v[2:3], v[20:21]
	v_mul_f64 v[20:21], v[4:5], v[20:21]
	s_waitcnt vmcnt(4) lgkmcnt(0)
	v_mul_f64 v[16:17], v[6:7], v[24:25]
	v_mul_f64 v[24:25], v[8:9], v[24:25]
	v_add_f64 v[10:11], v[12:13], v[10:11]
	v_add_f64 v[12:13], v[183:184], v[189:190]
	v_fma_f64 v[42:43], v[4:5], v[18:19], v[185:186]
	v_fma_f64 v[18:19], v[2:3], v[18:19], -v[20:21]
	v_fma_f64 v[8:9], v[8:9], v[22:23], v[16:17]
	v_fma_f64 v[6:7], v[6:7], v[22:23], -v[24:25]
	v_add_f64 v[14:15], v[10:11], v[14:15]
	v_add_f64 v[20:21], v[12:13], v[44:45]
	ds_load_b128 v[2:5], v1 offset:1344
	ds_load_b128 v[10:13], v1 offset:1360
	s_waitcnt vmcnt(3) lgkmcnt(1)
	v_mul_f64 v[44:45], v[2:3], v[28:29]
	v_mul_f64 v[28:29], v[4:5], v[28:29]
	v_add_f64 v[14:15], v[14:15], v[18:19]
	v_add_f64 v[16:17], v[20:21], v[42:43]
	s_waitcnt vmcnt(2) lgkmcnt(0)
	v_mul_f64 v[18:19], v[10:11], v[32:33]
	v_mul_f64 v[20:21], v[12:13], v[32:33]
	v_fma_f64 v[22:23], v[4:5], v[26:27], v[44:45]
	v_fma_f64 v[24:25], v[2:3], v[26:27], -v[28:29]
	v_add_f64 v[14:15], v[14:15], v[6:7]
	v_add_f64 v[16:17], v[16:17], v[8:9]
	ds_load_b128 v[2:5], v1 offset:1376
	ds_load_b128 v[6:9], v1 offset:1392
	v_fma_f64 v[12:13], v[12:13], v[30:31], v[18:19]
	v_fma_f64 v[10:11], v[10:11], v[30:31], -v[20:21]
	s_waitcnt vmcnt(1) lgkmcnt(1)
	v_mul_f64 v[26:27], v[2:3], v[36:37]
	v_mul_f64 v[28:29], v[4:5], v[36:37]
	s_waitcnt vmcnt(0) lgkmcnt(0)
	v_mul_f64 v[18:19], v[6:7], v[40:41]
	v_mul_f64 v[20:21], v[8:9], v[40:41]
	v_add_f64 v[14:15], v[14:15], v[24:25]
	v_add_f64 v[16:17], v[16:17], v[22:23]
	v_fma_f64 v[4:5], v[4:5], v[34:35], v[26:27]
	v_fma_f64 v[1:2], v[2:3], v[34:35], -v[28:29]
	v_fma_f64 v[8:9], v[8:9], v[38:39], v[18:19]
	v_fma_f64 v[6:7], v[6:7], v[38:39], -v[20:21]
	v_add_f64 v[10:11], v[14:15], v[10:11]
	v_add_f64 v[12:13], v[16:17], v[12:13]
	s_delay_alu instid0(VALU_DEP_2) | instskip(NEXT) | instid1(VALU_DEP_2)
	v_add_f64 v[1:2], v[10:11], v[1:2]
	v_add_f64 v[3:4], v[12:13], v[4:5]
	s_delay_alu instid0(VALU_DEP_2) | instskip(NEXT) | instid1(VALU_DEP_2)
	;; [unrolled: 3-line block ×3, first 2 shown]
	v_add_f64 v[1:2], v[179:180], -v[1:2]
	v_add_f64 v[3:4], v[181:182], -v[3:4]
	scratch_store_b128 off, v[1:4], off offset:48
	v_cmpx_lt_u32_e32 2, v134
	s_cbranch_execz .LBB107_273
; %bb.272:
	scratch_load_b128 v[1:4], v135, off
	v_mov_b32_e32 v5, 0
	s_delay_alu instid0(VALU_DEP_1)
	v_mov_b32_e32 v6, v5
	v_mov_b32_e32 v7, v5
	;; [unrolled: 1-line block ×3, first 2 shown]
	scratch_store_b128 off, v[5:8], off offset:32
	s_waitcnt vmcnt(0)
	ds_store_b128 v178, v[1:4]
.LBB107_273:
	s_or_b32 exec_lo, exec_lo, s2
	s_waitcnt lgkmcnt(0)
	s_waitcnt_vscnt null, 0x0
	s_barrier
	buffer_gl0_inv
	s_clause 0x7
	scratch_load_b128 v[2:5], off, off offset:48
	scratch_load_b128 v[6:9], off, off offset:64
	;; [unrolled: 1-line block ×8, first 2 shown]
	v_mov_b32_e32 v1, 0
	s_mov_b32 s2, exec_lo
	ds_load_b128 v[38:41], v1 offset:752
	s_clause 0x1
	scratch_load_b128 v[34:37], off, off offset:176
	scratch_load_b128 v[42:45], off, off offset:32
	ds_load_b128 v[179:182], v1 offset:768
	scratch_load_b128 v[183:186], off, off offset:192
	s_waitcnt vmcnt(10) lgkmcnt(1)
	v_mul_f64 v[187:188], v[40:41], v[4:5]
	v_mul_f64 v[4:5], v[38:39], v[4:5]
	s_delay_alu instid0(VALU_DEP_2) | instskip(NEXT) | instid1(VALU_DEP_2)
	v_fma_f64 v[193:194], v[38:39], v[2:3], -v[187:188]
	v_fma_f64 v[195:196], v[40:41], v[2:3], v[4:5]
	scratch_load_b128 v[38:41], off, off offset:208
	ds_load_b128 v[2:5], v1 offset:784
	s_waitcnt vmcnt(10) lgkmcnt(1)
	v_mul_f64 v[191:192], v[179:180], v[8:9]
	v_mul_f64 v[8:9], v[181:182], v[8:9]
	ds_load_b128 v[187:190], v1 offset:800
	s_waitcnt vmcnt(9) lgkmcnt(1)
	v_mul_f64 v[197:198], v[2:3], v[12:13]
	v_mul_f64 v[12:13], v[4:5], v[12:13]
	v_fma_f64 v[181:182], v[181:182], v[6:7], v[191:192]
	v_fma_f64 v[179:180], v[179:180], v[6:7], -v[8:9]
	v_add_f64 v[191:192], v[193:194], 0
	v_add_f64 v[193:194], v[195:196], 0
	scratch_load_b128 v[6:9], off, off offset:224
	v_fma_f64 v[197:198], v[4:5], v[10:11], v[197:198]
	v_fma_f64 v[199:200], v[2:3], v[10:11], -v[12:13]
	scratch_load_b128 v[10:13], off, off offset:240
	ds_load_b128 v[2:5], v1 offset:816
	s_waitcnt vmcnt(10) lgkmcnt(1)
	v_mul_f64 v[195:196], v[187:188], v[16:17]
	v_mul_f64 v[16:17], v[189:190], v[16:17]
	v_add_f64 v[191:192], v[191:192], v[179:180]
	v_add_f64 v[193:194], v[193:194], v[181:182]
	s_waitcnt vmcnt(9) lgkmcnt(0)
	v_mul_f64 v[201:202], v[2:3], v[20:21]
	v_mul_f64 v[20:21], v[4:5], v[20:21]
	ds_load_b128 v[179:182], v1 offset:832
	v_fma_f64 v[189:190], v[189:190], v[14:15], v[195:196]
	v_fma_f64 v[187:188], v[187:188], v[14:15], -v[16:17]
	scratch_load_b128 v[14:17], off, off offset:256
	v_add_f64 v[191:192], v[191:192], v[199:200]
	v_add_f64 v[193:194], v[193:194], v[197:198]
	v_fma_f64 v[197:198], v[4:5], v[18:19], v[201:202]
	v_fma_f64 v[199:200], v[2:3], v[18:19], -v[20:21]
	scratch_load_b128 v[18:21], off, off offset:272
	ds_load_b128 v[2:5], v1 offset:848
	s_waitcnt vmcnt(10) lgkmcnt(1)
	v_mul_f64 v[195:196], v[179:180], v[24:25]
	v_mul_f64 v[24:25], v[181:182], v[24:25]
	s_waitcnt vmcnt(9) lgkmcnt(0)
	v_mul_f64 v[201:202], v[2:3], v[28:29]
	v_mul_f64 v[28:29], v[4:5], v[28:29]
	v_add_f64 v[191:192], v[191:192], v[187:188]
	v_add_f64 v[193:194], v[193:194], v[189:190]
	ds_load_b128 v[187:190], v1 offset:864
	v_fma_f64 v[181:182], v[181:182], v[22:23], v[195:196]
	v_fma_f64 v[179:180], v[179:180], v[22:23], -v[24:25]
	scratch_load_b128 v[22:25], off, off offset:288
	v_add_f64 v[191:192], v[191:192], v[199:200]
	v_add_f64 v[193:194], v[193:194], v[197:198]
	v_fma_f64 v[197:198], v[4:5], v[26:27], v[201:202]
	v_fma_f64 v[199:200], v[2:3], v[26:27], -v[28:29]
	scratch_load_b128 v[26:29], off, off offset:304
	ds_load_b128 v[2:5], v1 offset:880
	s_waitcnt vmcnt(10) lgkmcnt(1)
	v_mul_f64 v[195:196], v[187:188], v[32:33]
	v_mul_f64 v[32:33], v[189:190], v[32:33]
	s_waitcnt vmcnt(9) lgkmcnt(0)
	v_mul_f64 v[201:202], v[2:3], v[36:37]
	v_mul_f64 v[36:37], v[4:5], v[36:37]
	v_add_f64 v[191:192], v[191:192], v[179:180]
	v_add_f64 v[193:194], v[193:194], v[181:182]
	ds_load_b128 v[179:182], v1 offset:896
	v_fma_f64 v[189:190], v[189:190], v[30:31], v[195:196]
	v_fma_f64 v[187:188], v[187:188], v[30:31], -v[32:33]
	scratch_load_b128 v[30:33], off, off offset:320
	v_add_f64 v[191:192], v[191:192], v[199:200]
	v_add_f64 v[193:194], v[193:194], v[197:198]
	v_fma_f64 v[199:200], v[4:5], v[34:35], v[201:202]
	v_fma_f64 v[201:202], v[2:3], v[34:35], -v[36:37]
	scratch_load_b128 v[34:37], off, off offset:336
	ds_load_b128 v[2:5], v1 offset:912
	s_waitcnt vmcnt(9) lgkmcnt(1)
	v_mul_f64 v[195:196], v[179:180], v[185:186]
	v_mul_f64 v[197:198], v[181:182], v[185:186]
	v_add_f64 v[191:192], v[191:192], v[187:188]
	v_add_f64 v[189:190], v[193:194], v[189:190]
	ds_load_b128 v[185:188], v1 offset:928
	v_fma_f64 v[195:196], v[181:182], v[183:184], v[195:196]
	v_fma_f64 v[183:184], v[179:180], v[183:184], -v[197:198]
	scratch_load_b128 v[179:182], off, off offset:352
	s_waitcnt vmcnt(9) lgkmcnt(1)
	v_mul_f64 v[193:194], v[2:3], v[40:41]
	v_mul_f64 v[40:41], v[4:5], v[40:41]
	v_add_f64 v[191:192], v[191:192], v[201:202]
	v_add_f64 v[189:190], v[189:190], v[199:200]
	s_delay_alu instid0(VALU_DEP_4) | instskip(NEXT) | instid1(VALU_DEP_4)
	v_fma_f64 v[193:194], v[4:5], v[38:39], v[193:194]
	v_fma_f64 v[199:200], v[2:3], v[38:39], -v[40:41]
	scratch_load_b128 v[38:41], off, off offset:368
	ds_load_b128 v[2:5], v1 offset:944
	s_waitcnt vmcnt(9) lgkmcnt(1)
	v_mul_f64 v[197:198], v[185:186], v[8:9]
	v_mul_f64 v[8:9], v[187:188], v[8:9]
	s_waitcnt vmcnt(8) lgkmcnt(0)
	v_mul_f64 v[201:202], v[2:3], v[12:13]
	v_mul_f64 v[12:13], v[4:5], v[12:13]
	v_add_f64 v[183:184], v[191:192], v[183:184]
	v_add_f64 v[195:196], v[189:190], v[195:196]
	ds_load_b128 v[189:192], v1 offset:960
	v_fma_f64 v[187:188], v[187:188], v[6:7], v[197:198]
	v_fma_f64 v[185:186], v[185:186], v[6:7], -v[8:9]
	scratch_load_b128 v[6:9], off, off offset:384
	v_fma_f64 v[197:198], v[4:5], v[10:11], v[201:202]
	v_add_f64 v[183:184], v[183:184], v[199:200]
	v_add_f64 v[193:194], v[195:196], v[193:194]
	v_fma_f64 v[199:200], v[2:3], v[10:11], -v[12:13]
	scratch_load_b128 v[10:13], off, off offset:400
	ds_load_b128 v[2:5], v1 offset:976
	s_waitcnt vmcnt(9) lgkmcnt(1)
	v_mul_f64 v[195:196], v[189:190], v[16:17]
	v_mul_f64 v[16:17], v[191:192], v[16:17]
	v_add_f64 v[201:202], v[183:184], v[185:186]
	v_add_f64 v[187:188], v[193:194], v[187:188]
	s_waitcnt vmcnt(8) lgkmcnt(0)
	v_mul_f64 v[193:194], v[2:3], v[20:21]
	v_mul_f64 v[20:21], v[4:5], v[20:21]
	ds_load_b128 v[183:186], v1 offset:992
	v_fma_f64 v[191:192], v[191:192], v[14:15], v[195:196]
	v_fma_f64 v[189:190], v[189:190], v[14:15], -v[16:17]
	scratch_load_b128 v[14:17], off, off offset:416
	v_add_f64 v[195:196], v[201:202], v[199:200]
	v_add_f64 v[187:188], v[187:188], v[197:198]
	v_fma_f64 v[193:194], v[4:5], v[18:19], v[193:194]
	v_fma_f64 v[199:200], v[2:3], v[18:19], -v[20:21]
	scratch_load_b128 v[18:21], off, off offset:432
	ds_load_b128 v[2:5], v1 offset:1008
	s_waitcnt vmcnt(9) lgkmcnt(1)
	v_mul_f64 v[197:198], v[183:184], v[24:25]
	v_mul_f64 v[24:25], v[185:186], v[24:25]
	s_waitcnt vmcnt(8) lgkmcnt(0)
	v_mul_f64 v[201:202], v[2:3], v[28:29]
	v_mul_f64 v[28:29], v[4:5], v[28:29]
	v_add_f64 v[195:196], v[195:196], v[189:190]
	v_add_f64 v[191:192], v[187:188], v[191:192]
	ds_load_b128 v[187:190], v1 offset:1024
	v_fma_f64 v[185:186], v[185:186], v[22:23], v[197:198]
	v_fma_f64 v[183:184], v[183:184], v[22:23], -v[24:25]
	scratch_load_b128 v[22:25], off, off offset:448
	v_fma_f64 v[197:198], v[4:5], v[26:27], v[201:202]
	v_add_f64 v[195:196], v[195:196], v[199:200]
	v_add_f64 v[191:192], v[191:192], v[193:194]
	v_fma_f64 v[199:200], v[2:3], v[26:27], -v[28:29]
	scratch_load_b128 v[26:29], off, off offset:464
	ds_load_b128 v[2:5], v1 offset:1040
	s_waitcnt vmcnt(9) lgkmcnt(1)
	v_mul_f64 v[193:194], v[187:188], v[32:33]
	v_mul_f64 v[32:33], v[189:190], v[32:33]
	s_waitcnt vmcnt(8) lgkmcnt(0)
	v_mul_f64 v[201:202], v[2:3], v[36:37]
	v_mul_f64 v[36:37], v[4:5], v[36:37]
	v_add_f64 v[195:196], v[195:196], v[183:184]
	v_add_f64 v[191:192], v[191:192], v[185:186]
	ds_load_b128 v[183:186], v1 offset:1056
	v_fma_f64 v[189:190], v[189:190], v[30:31], v[193:194]
	v_fma_f64 v[187:188], v[187:188], v[30:31], -v[32:33]
	scratch_load_b128 v[30:33], off, off offset:480
	v_add_f64 v[193:194], v[195:196], v[199:200]
	v_add_f64 v[191:192], v[191:192], v[197:198]
	v_fma_f64 v[197:198], v[4:5], v[34:35], v[201:202]
	v_fma_f64 v[199:200], v[2:3], v[34:35], -v[36:37]
	scratch_load_b128 v[34:37], off, off offset:496
	ds_load_b128 v[2:5], v1 offset:1072
	s_waitcnt vmcnt(9) lgkmcnt(1)
	v_mul_f64 v[195:196], v[183:184], v[181:182]
	v_mul_f64 v[181:182], v[185:186], v[181:182]
	s_waitcnt vmcnt(8) lgkmcnt(0)
	v_mul_f64 v[201:202], v[2:3], v[40:41]
	v_mul_f64 v[40:41], v[4:5], v[40:41]
	v_add_f64 v[193:194], v[193:194], v[187:188]
	v_add_f64 v[191:192], v[191:192], v[189:190]
	ds_load_b128 v[187:190], v1 offset:1088
	v_fma_f64 v[185:186], v[185:186], v[179:180], v[195:196]
	v_fma_f64 v[183:184], v[183:184], v[179:180], -v[181:182]
	scratch_load_b128 v[179:182], off, off offset:512
	v_add_f64 v[193:194], v[193:194], v[199:200]
	v_add_f64 v[191:192], v[191:192], v[197:198]
	v_fma_f64 v[197:198], v[4:5], v[38:39], v[201:202]
	;; [unrolled: 18-line block ×6, first 2 shown]
	v_fma_f64 v[201:202], v[2:3], v[34:35], -v[36:37]
	scratch_load_b128 v[34:37], off, off offset:656
	ds_load_b128 v[2:5], v1 offset:1232
	s_waitcnt vmcnt(9) lgkmcnt(1)
	v_mul_f64 v[195:196], v[187:188], v[181:182]
	v_mul_f64 v[197:198], v[189:190], v[181:182]
	v_add_f64 v[193:194], v[193:194], v[183:184]
	v_add_f64 v[185:186], v[191:192], v[185:186]
	s_waitcnt vmcnt(8) lgkmcnt(0)
	v_mul_f64 v[191:192], v[2:3], v[40:41]
	v_mul_f64 v[40:41], v[4:5], v[40:41]
	ds_load_b128 v[181:184], v1 offset:1248
	v_fma_f64 v[189:190], v[189:190], v[179:180], v[195:196]
	v_fma_f64 v[179:180], v[187:188], v[179:180], -v[197:198]
	v_add_f64 v[193:194], v[193:194], v[201:202]
	v_add_f64 v[195:196], v[185:186], v[199:200]
	scratch_load_b128 v[185:188], off, off offset:672
	v_fma_f64 v[199:200], v[4:5], v[38:39], v[191:192]
	v_fma_f64 v[201:202], v[2:3], v[38:39], -v[40:41]
	scratch_load_b128 v[38:41], off, off offset:688
	ds_load_b128 v[2:5], v1 offset:1264
	s_waitcnt vmcnt(9) lgkmcnt(1)
	v_mul_f64 v[197:198], v[181:182], v[8:9]
	v_mul_f64 v[8:9], v[183:184], v[8:9]
	v_add_f64 v[179:180], v[193:194], v[179:180]
	v_add_f64 v[193:194], v[195:196], v[189:190]
	s_waitcnt vmcnt(8) lgkmcnt(0)
	v_mul_f64 v[195:196], v[2:3], v[12:13]
	v_mul_f64 v[12:13], v[4:5], v[12:13]
	ds_load_b128 v[189:192], v1 offset:1280
	v_fma_f64 v[183:184], v[183:184], v[6:7], v[197:198]
	v_fma_f64 v[6:7], v[181:182], v[6:7], -v[8:9]
	s_waitcnt vmcnt(7) lgkmcnt(0)
	v_mul_f64 v[181:182], v[189:190], v[16:17]
	v_mul_f64 v[16:17], v[191:192], v[16:17]
	v_add_f64 v[8:9], v[179:180], v[201:202]
	v_add_f64 v[179:180], v[193:194], v[199:200]
	v_fma_f64 v[193:194], v[4:5], v[10:11], v[195:196]
	v_fma_f64 v[10:11], v[2:3], v[10:11], -v[12:13]
	v_fma_f64 v[181:182], v[191:192], v[14:15], v[181:182]
	v_fma_f64 v[14:15], v[189:190], v[14:15], -v[16:17]
	v_add_f64 v[12:13], v[8:9], v[6:7]
	v_add_f64 v[179:180], v[179:180], v[183:184]
	ds_load_b128 v[2:5], v1 offset:1296
	ds_load_b128 v[6:9], v1 offset:1312
	s_waitcnt vmcnt(6) lgkmcnt(1)
	v_mul_f64 v[183:184], v[2:3], v[20:21]
	v_mul_f64 v[20:21], v[4:5], v[20:21]
	s_waitcnt vmcnt(5) lgkmcnt(0)
	v_mul_f64 v[16:17], v[6:7], v[24:25]
	v_mul_f64 v[24:25], v[8:9], v[24:25]
	v_add_f64 v[10:11], v[12:13], v[10:11]
	v_add_f64 v[12:13], v[179:180], v[193:194]
	v_fma_f64 v[179:180], v[4:5], v[18:19], v[183:184]
	v_fma_f64 v[18:19], v[2:3], v[18:19], -v[20:21]
	v_fma_f64 v[8:9], v[8:9], v[22:23], v[16:17]
	v_fma_f64 v[6:7], v[6:7], v[22:23], -v[24:25]
	v_add_f64 v[14:15], v[10:11], v[14:15]
	v_add_f64 v[20:21], v[12:13], v[181:182]
	ds_load_b128 v[2:5], v1 offset:1328
	ds_load_b128 v[10:13], v1 offset:1344
	s_waitcnt vmcnt(4) lgkmcnt(1)
	v_mul_f64 v[181:182], v[2:3], v[28:29]
	v_mul_f64 v[28:29], v[4:5], v[28:29]
	v_add_f64 v[14:15], v[14:15], v[18:19]
	v_add_f64 v[16:17], v[20:21], v[179:180]
	s_waitcnt vmcnt(3) lgkmcnt(0)
	v_mul_f64 v[18:19], v[10:11], v[32:33]
	v_mul_f64 v[20:21], v[12:13], v[32:33]
	v_fma_f64 v[22:23], v[4:5], v[26:27], v[181:182]
	v_fma_f64 v[24:25], v[2:3], v[26:27], -v[28:29]
	v_add_f64 v[14:15], v[14:15], v[6:7]
	v_add_f64 v[16:17], v[16:17], v[8:9]
	ds_load_b128 v[2:5], v1 offset:1360
	ds_load_b128 v[6:9], v1 offset:1376
	v_fma_f64 v[12:13], v[12:13], v[30:31], v[18:19]
	v_fma_f64 v[10:11], v[10:11], v[30:31], -v[20:21]
	s_waitcnt vmcnt(2) lgkmcnt(1)
	v_mul_f64 v[26:27], v[2:3], v[36:37]
	v_mul_f64 v[28:29], v[4:5], v[36:37]
	v_add_f64 v[14:15], v[14:15], v[24:25]
	v_add_f64 v[16:17], v[16:17], v[22:23]
	s_waitcnt vmcnt(1) lgkmcnt(0)
	v_mul_f64 v[18:19], v[6:7], v[187:188]
	v_mul_f64 v[20:21], v[8:9], v[187:188]
	v_fma_f64 v[22:23], v[4:5], v[34:35], v[26:27]
	v_fma_f64 v[24:25], v[2:3], v[34:35], -v[28:29]
	ds_load_b128 v[2:5], v1 offset:1392
	v_add_f64 v[10:11], v[14:15], v[10:11]
	v_add_f64 v[12:13], v[16:17], v[12:13]
	s_waitcnt vmcnt(0) lgkmcnt(0)
	v_mul_f64 v[14:15], v[2:3], v[40:41]
	v_mul_f64 v[16:17], v[4:5], v[40:41]
	v_fma_f64 v[8:9], v[8:9], v[185:186], v[18:19]
	v_fma_f64 v[6:7], v[6:7], v[185:186], -v[20:21]
	v_add_f64 v[10:11], v[10:11], v[24:25]
	v_add_f64 v[12:13], v[12:13], v[22:23]
	v_fma_f64 v[4:5], v[4:5], v[38:39], v[14:15]
	v_fma_f64 v[2:3], v[2:3], v[38:39], -v[16:17]
	s_delay_alu instid0(VALU_DEP_4) | instskip(NEXT) | instid1(VALU_DEP_4)
	v_add_f64 v[6:7], v[10:11], v[6:7]
	v_add_f64 v[8:9], v[12:13], v[8:9]
	s_delay_alu instid0(VALU_DEP_2) | instskip(NEXT) | instid1(VALU_DEP_2)
	v_add_f64 v[2:3], v[6:7], v[2:3]
	v_add_f64 v[4:5], v[8:9], v[4:5]
	s_delay_alu instid0(VALU_DEP_2) | instskip(NEXT) | instid1(VALU_DEP_2)
	v_add_f64 v[2:3], v[42:43], -v[2:3]
	v_add_f64 v[4:5], v[44:45], -v[4:5]
	scratch_store_b128 off, v[2:5], off offset:32
	v_cmpx_lt_u32_e32 1, v134
	s_cbranch_execz .LBB107_275
; %bb.274:
	scratch_load_b128 v[5:8], v136, off
	v_mov_b32_e32 v2, v1
	v_mov_b32_e32 v3, v1
	;; [unrolled: 1-line block ×3, first 2 shown]
	scratch_store_b128 off, v[1:4], off offset:16
	s_waitcnt vmcnt(0)
	ds_store_b128 v178, v[5:8]
.LBB107_275:
	s_or_b32 exec_lo, exec_lo, s2
	s_waitcnt lgkmcnt(0)
	s_waitcnt_vscnt null, 0x0
	s_barrier
	buffer_gl0_inv
	s_clause 0x8
	scratch_load_b128 v[2:5], off, off offset:32
	scratch_load_b128 v[6:9], off, off offset:48
	scratch_load_b128 v[10:13], off, off offset:64
	scratch_load_b128 v[14:17], off, off offset:80
	scratch_load_b128 v[18:21], off, off offset:96
	scratch_load_b128 v[22:25], off, off offset:112
	scratch_load_b128 v[26:29], off, off offset:128
	scratch_load_b128 v[30:33], off, off offset:144
	scratch_load_b128 v[34:37], off, off offset:160
	ds_load_b128 v[42:45], v1 offset:736
	ds_load_b128 v[38:41], v1 offset:752
	s_clause 0x1
	scratch_load_b128 v[179:182], off, off offset:16
	scratch_load_b128 v[183:186], off, off offset:176
	s_mov_b32 s2, exec_lo
	s_waitcnt vmcnt(10) lgkmcnt(1)
	v_mul_f64 v[187:188], v[44:45], v[4:5]
	v_mul_f64 v[4:5], v[42:43], v[4:5]
	s_waitcnt vmcnt(9) lgkmcnt(0)
	v_mul_f64 v[191:192], v[38:39], v[8:9]
	v_mul_f64 v[8:9], v[40:41], v[8:9]
	s_delay_alu instid0(VALU_DEP_4) | instskip(NEXT) | instid1(VALU_DEP_4)
	v_fma_f64 v[193:194], v[42:43], v[2:3], -v[187:188]
	v_fma_f64 v[195:196], v[44:45], v[2:3], v[4:5]
	ds_load_b128 v[2:5], v1 offset:768
	ds_load_b128 v[187:190], v1 offset:784
	scratch_load_b128 v[42:45], off, off offset:192
	v_fma_f64 v[40:41], v[40:41], v[6:7], v[191:192]
	v_fma_f64 v[38:39], v[38:39], v[6:7], -v[8:9]
	scratch_load_b128 v[6:9], off, off offset:208
	s_waitcnt vmcnt(10) lgkmcnt(1)
	v_mul_f64 v[197:198], v[2:3], v[12:13]
	v_mul_f64 v[12:13], v[4:5], v[12:13]
	v_add_f64 v[191:192], v[193:194], 0
	v_add_f64 v[193:194], v[195:196], 0
	s_waitcnt vmcnt(9) lgkmcnt(0)
	v_mul_f64 v[195:196], v[187:188], v[16:17]
	v_mul_f64 v[16:17], v[189:190], v[16:17]
	v_fma_f64 v[197:198], v[4:5], v[10:11], v[197:198]
	v_fma_f64 v[199:200], v[2:3], v[10:11], -v[12:13]
	ds_load_b128 v[2:5], v1 offset:800
	scratch_load_b128 v[10:13], off, off offset:224
	v_add_f64 v[191:192], v[191:192], v[38:39]
	v_add_f64 v[193:194], v[193:194], v[40:41]
	ds_load_b128 v[38:41], v1 offset:816
	v_fma_f64 v[189:190], v[189:190], v[14:15], v[195:196]
	v_fma_f64 v[187:188], v[187:188], v[14:15], -v[16:17]
	scratch_load_b128 v[14:17], off, off offset:240
	s_waitcnt vmcnt(10) lgkmcnt(1)
	v_mul_f64 v[201:202], v[2:3], v[20:21]
	v_mul_f64 v[20:21], v[4:5], v[20:21]
	s_waitcnt vmcnt(9) lgkmcnt(0)
	v_mul_f64 v[195:196], v[38:39], v[24:25]
	v_mul_f64 v[24:25], v[40:41], v[24:25]
	v_add_f64 v[191:192], v[191:192], v[199:200]
	v_add_f64 v[193:194], v[193:194], v[197:198]
	v_fma_f64 v[197:198], v[4:5], v[18:19], v[201:202]
	v_fma_f64 v[199:200], v[2:3], v[18:19], -v[20:21]
	ds_load_b128 v[2:5], v1 offset:832
	scratch_load_b128 v[18:21], off, off offset:256
	v_fma_f64 v[40:41], v[40:41], v[22:23], v[195:196]
	v_fma_f64 v[38:39], v[38:39], v[22:23], -v[24:25]
	scratch_load_b128 v[22:25], off, off offset:272
	v_add_f64 v[191:192], v[191:192], v[187:188]
	v_add_f64 v[193:194], v[193:194], v[189:190]
	ds_load_b128 v[187:190], v1 offset:848
	s_waitcnt vmcnt(10) lgkmcnt(1)
	v_mul_f64 v[201:202], v[2:3], v[28:29]
	v_mul_f64 v[28:29], v[4:5], v[28:29]
	s_waitcnt vmcnt(9) lgkmcnt(0)
	v_mul_f64 v[195:196], v[187:188], v[32:33]
	v_mul_f64 v[32:33], v[189:190], v[32:33]
	v_add_f64 v[191:192], v[191:192], v[199:200]
	v_add_f64 v[193:194], v[193:194], v[197:198]
	v_fma_f64 v[197:198], v[4:5], v[26:27], v[201:202]
	v_fma_f64 v[199:200], v[2:3], v[26:27], -v[28:29]
	ds_load_b128 v[2:5], v1 offset:864
	scratch_load_b128 v[26:29], off, off offset:288
	v_fma_f64 v[189:190], v[189:190], v[30:31], v[195:196]
	v_fma_f64 v[187:188], v[187:188], v[30:31], -v[32:33]
	scratch_load_b128 v[30:33], off, off offset:304
	v_add_f64 v[191:192], v[191:192], v[38:39]
	v_add_f64 v[193:194], v[193:194], v[40:41]
	ds_load_b128 v[38:41], v1 offset:880
	s_waitcnt vmcnt(10) lgkmcnt(1)
	v_mul_f64 v[201:202], v[2:3], v[36:37]
	v_mul_f64 v[36:37], v[4:5], v[36:37]
	s_waitcnt vmcnt(8) lgkmcnt(0)
	v_mul_f64 v[195:196], v[38:39], v[185:186]
	v_add_f64 v[191:192], v[191:192], v[199:200]
	v_add_f64 v[193:194], v[193:194], v[197:198]
	v_mul_f64 v[197:198], v[40:41], v[185:186]
	v_fma_f64 v[199:200], v[4:5], v[34:35], v[201:202]
	v_fma_f64 v[201:202], v[2:3], v[34:35], -v[36:37]
	ds_load_b128 v[2:5], v1 offset:896
	scratch_load_b128 v[34:37], off, off offset:320
	v_fma_f64 v[195:196], v[40:41], v[183:184], v[195:196]
	v_add_f64 v[191:192], v[191:192], v[187:188]
	v_add_f64 v[189:190], v[193:194], v[189:190]
	ds_load_b128 v[185:188], v1 offset:912
	v_fma_f64 v[183:184], v[38:39], v[183:184], -v[197:198]
	scratch_load_b128 v[38:41], off, off offset:336
	s_waitcnt vmcnt(9) lgkmcnt(1)
	v_mul_f64 v[193:194], v[2:3], v[44:45]
	v_mul_f64 v[44:45], v[4:5], v[44:45]
	s_waitcnt vmcnt(8) lgkmcnt(0)
	v_mul_f64 v[197:198], v[185:186], v[8:9]
	v_mul_f64 v[8:9], v[187:188], v[8:9]
	v_add_f64 v[191:192], v[191:192], v[201:202]
	v_add_f64 v[189:190], v[189:190], v[199:200]
	v_fma_f64 v[193:194], v[4:5], v[42:43], v[193:194]
	v_fma_f64 v[199:200], v[2:3], v[42:43], -v[44:45]
	ds_load_b128 v[2:5], v1 offset:928
	scratch_load_b128 v[42:45], off, off offset:352
	v_fma_f64 v[187:188], v[187:188], v[6:7], v[197:198]
	v_fma_f64 v[185:186], v[185:186], v[6:7], -v[8:9]
	scratch_load_b128 v[6:9], off, off offset:368
	v_add_f64 v[183:184], v[191:192], v[183:184]
	v_add_f64 v[195:196], v[189:190], v[195:196]
	ds_load_b128 v[189:192], v1 offset:944
	s_waitcnt vmcnt(9) lgkmcnt(1)
	v_mul_f64 v[201:202], v[2:3], v[12:13]
	v_mul_f64 v[12:13], v[4:5], v[12:13]
	v_add_f64 v[183:184], v[183:184], v[199:200]
	v_add_f64 v[193:194], v[195:196], v[193:194]
	s_waitcnt vmcnt(8) lgkmcnt(0)
	v_mul_f64 v[195:196], v[189:190], v[16:17]
	v_mul_f64 v[16:17], v[191:192], v[16:17]
	v_fma_f64 v[197:198], v[4:5], v[10:11], v[201:202]
	v_fma_f64 v[199:200], v[2:3], v[10:11], -v[12:13]
	ds_load_b128 v[2:5], v1 offset:960
	scratch_load_b128 v[10:13], off, off offset:384
	v_add_f64 v[201:202], v[183:184], v[185:186]
	v_add_f64 v[187:188], v[193:194], v[187:188]
	ds_load_b128 v[183:186], v1 offset:976
	s_waitcnt vmcnt(8) lgkmcnt(1)
	v_mul_f64 v[193:194], v[2:3], v[20:21]
	v_mul_f64 v[20:21], v[4:5], v[20:21]
	v_fma_f64 v[191:192], v[191:192], v[14:15], v[195:196]
	v_fma_f64 v[189:190], v[189:190], v[14:15], -v[16:17]
	scratch_load_b128 v[14:17], off, off offset:400
	v_add_f64 v[195:196], v[201:202], v[199:200]
	v_add_f64 v[187:188], v[187:188], v[197:198]
	s_waitcnt vmcnt(8) lgkmcnt(0)
	v_mul_f64 v[197:198], v[183:184], v[24:25]
	v_mul_f64 v[24:25], v[185:186], v[24:25]
	v_fma_f64 v[193:194], v[4:5], v[18:19], v[193:194]
	v_fma_f64 v[199:200], v[2:3], v[18:19], -v[20:21]
	ds_load_b128 v[2:5], v1 offset:992
	scratch_load_b128 v[18:21], off, off offset:416
	v_add_f64 v[195:196], v[195:196], v[189:190]
	v_add_f64 v[191:192], v[187:188], v[191:192]
	ds_load_b128 v[187:190], v1 offset:1008
	s_waitcnt vmcnt(8) lgkmcnt(1)
	v_mul_f64 v[201:202], v[2:3], v[28:29]
	v_mul_f64 v[28:29], v[4:5], v[28:29]
	v_fma_f64 v[185:186], v[185:186], v[22:23], v[197:198]
	v_fma_f64 v[183:184], v[183:184], v[22:23], -v[24:25]
	scratch_load_b128 v[22:25], off, off offset:432
	;; [unrolled: 18-line block ×4, first 2 shown]
	s_waitcnt vmcnt(8) lgkmcnt(0)
	v_mul_f64 v[195:196], v[187:188], v[8:9]
	v_mul_f64 v[8:9], v[189:190], v[8:9]
	v_add_f64 v[193:194], v[193:194], v[199:200]
	v_add_f64 v[191:192], v[191:192], v[197:198]
	v_fma_f64 v[197:198], v[4:5], v[42:43], v[201:202]
	v_fma_f64 v[199:200], v[2:3], v[42:43], -v[44:45]
	ds_load_b128 v[2:5], v1 offset:1088
	scratch_load_b128 v[42:45], off, off offset:512
	v_fma_f64 v[189:190], v[189:190], v[6:7], v[195:196]
	v_fma_f64 v[187:188], v[187:188], v[6:7], -v[8:9]
	scratch_load_b128 v[6:9], off, off offset:528
	v_add_f64 v[193:194], v[193:194], v[183:184]
	v_add_f64 v[191:192], v[191:192], v[185:186]
	ds_load_b128 v[183:186], v1 offset:1104
	s_waitcnt vmcnt(9) lgkmcnt(1)
	v_mul_f64 v[201:202], v[2:3], v[12:13]
	v_mul_f64 v[12:13], v[4:5], v[12:13]
	s_waitcnt vmcnt(8) lgkmcnt(0)
	v_mul_f64 v[195:196], v[183:184], v[16:17]
	v_mul_f64 v[16:17], v[185:186], v[16:17]
	v_add_f64 v[193:194], v[193:194], v[199:200]
	v_add_f64 v[191:192], v[191:192], v[197:198]
	v_fma_f64 v[197:198], v[4:5], v[10:11], v[201:202]
	v_fma_f64 v[199:200], v[2:3], v[10:11], -v[12:13]
	ds_load_b128 v[2:5], v1 offset:1120
	scratch_load_b128 v[10:13], off, off offset:544
	v_fma_f64 v[185:186], v[185:186], v[14:15], v[195:196]
	v_fma_f64 v[183:184], v[183:184], v[14:15], -v[16:17]
	scratch_load_b128 v[14:17], off, off offset:560
	v_add_f64 v[193:194], v[193:194], v[187:188]
	v_add_f64 v[191:192], v[191:192], v[189:190]
	ds_load_b128 v[187:190], v1 offset:1136
	s_waitcnt vmcnt(9) lgkmcnt(1)
	v_mul_f64 v[201:202], v[2:3], v[20:21]
	v_mul_f64 v[20:21], v[4:5], v[20:21]
	;; [unrolled: 18-line block ×6, first 2 shown]
	s_waitcnt vmcnt(8) lgkmcnt(0)
	v_mul_f64 v[195:196], v[187:188], v[16:17]
	v_mul_f64 v[16:17], v[189:190], v[16:17]
	v_add_f64 v[193:194], v[193:194], v[199:200]
	v_add_f64 v[191:192], v[191:192], v[197:198]
	v_fma_f64 v[197:198], v[4:5], v[10:11], v[201:202]
	v_fma_f64 v[199:200], v[2:3], v[10:11], -v[12:13]
	ds_load_b128 v[2:5], v1 offset:1280
	ds_load_b128 v[10:13], v1 offset:1296
	v_fma_f64 v[189:190], v[189:190], v[14:15], v[195:196]
	v_fma_f64 v[14:15], v[187:188], v[14:15], -v[16:17]
	v_add_f64 v[183:184], v[193:194], v[183:184]
	v_add_f64 v[185:186], v[191:192], v[185:186]
	s_waitcnt vmcnt(7) lgkmcnt(1)
	v_mul_f64 v[191:192], v[2:3], v[20:21]
	v_mul_f64 v[20:21], v[4:5], v[20:21]
	s_delay_alu instid0(VALU_DEP_4) | instskip(NEXT) | instid1(VALU_DEP_4)
	v_add_f64 v[16:17], v[183:184], v[199:200]
	v_add_f64 v[183:184], v[185:186], v[197:198]
	s_waitcnt vmcnt(6) lgkmcnt(0)
	v_mul_f64 v[185:186], v[10:11], v[24:25]
	v_mul_f64 v[24:25], v[12:13], v[24:25]
	v_fma_f64 v[187:188], v[4:5], v[18:19], v[191:192]
	v_fma_f64 v[18:19], v[2:3], v[18:19], -v[20:21]
	v_add_f64 v[20:21], v[16:17], v[14:15]
	v_add_f64 v[183:184], v[183:184], v[189:190]
	ds_load_b128 v[2:5], v1 offset:1312
	ds_load_b128 v[14:17], v1 offset:1328
	v_fma_f64 v[12:13], v[12:13], v[22:23], v[185:186]
	v_fma_f64 v[10:11], v[10:11], v[22:23], -v[24:25]
	s_waitcnt vmcnt(5) lgkmcnt(1)
	v_mul_f64 v[189:190], v[2:3], v[28:29]
	v_mul_f64 v[28:29], v[4:5], v[28:29]
	s_waitcnt vmcnt(4) lgkmcnt(0)
	v_mul_f64 v[22:23], v[14:15], v[32:33]
	v_mul_f64 v[24:25], v[16:17], v[32:33]
	v_add_f64 v[18:19], v[20:21], v[18:19]
	v_add_f64 v[20:21], v[183:184], v[187:188]
	v_fma_f64 v[32:33], v[4:5], v[26:27], v[189:190]
	v_fma_f64 v[26:27], v[2:3], v[26:27], -v[28:29]
	v_fma_f64 v[16:17], v[16:17], v[30:31], v[22:23]
	v_fma_f64 v[14:15], v[14:15], v[30:31], -v[24:25]
	v_add_f64 v[18:19], v[18:19], v[10:11]
	v_add_f64 v[20:21], v[20:21], v[12:13]
	ds_load_b128 v[2:5], v1 offset:1344
	ds_load_b128 v[10:13], v1 offset:1360
	s_waitcnt vmcnt(3) lgkmcnt(1)
	v_mul_f64 v[28:29], v[2:3], v[36:37]
	v_mul_f64 v[36:37], v[4:5], v[36:37]
	s_waitcnt vmcnt(2) lgkmcnt(0)
	v_mul_f64 v[22:23], v[10:11], v[40:41]
	v_mul_f64 v[24:25], v[12:13], v[40:41]
	v_add_f64 v[18:19], v[18:19], v[26:27]
	v_add_f64 v[20:21], v[20:21], v[32:33]
	v_fma_f64 v[26:27], v[4:5], v[34:35], v[28:29]
	v_fma_f64 v[28:29], v[2:3], v[34:35], -v[36:37]
	v_fma_f64 v[12:13], v[12:13], v[38:39], v[22:23]
	v_fma_f64 v[10:11], v[10:11], v[38:39], -v[24:25]
	v_add_f64 v[18:19], v[18:19], v[14:15]
	v_add_f64 v[20:21], v[20:21], v[16:17]
	ds_load_b128 v[2:5], v1 offset:1376
	ds_load_b128 v[14:17], v1 offset:1392
	s_waitcnt vmcnt(1) lgkmcnt(1)
	v_mul_f64 v[30:31], v[2:3], v[44:45]
	v_mul_f64 v[32:33], v[4:5], v[44:45]
	s_waitcnt vmcnt(0) lgkmcnt(0)
	v_mul_f64 v[22:23], v[14:15], v[8:9]
	v_mul_f64 v[8:9], v[16:17], v[8:9]
	v_add_f64 v[18:19], v[18:19], v[28:29]
	v_add_f64 v[20:21], v[20:21], v[26:27]
	v_fma_f64 v[4:5], v[4:5], v[42:43], v[30:31]
	v_fma_f64 v[1:2], v[2:3], v[42:43], -v[32:33]
	v_fma_f64 v[16:17], v[16:17], v[6:7], v[22:23]
	v_fma_f64 v[6:7], v[14:15], v[6:7], -v[8:9]
	v_add_f64 v[10:11], v[18:19], v[10:11]
	v_add_f64 v[12:13], v[20:21], v[12:13]
	s_delay_alu instid0(VALU_DEP_2) | instskip(NEXT) | instid1(VALU_DEP_2)
	v_add_f64 v[1:2], v[10:11], v[1:2]
	v_add_f64 v[3:4], v[12:13], v[4:5]
	s_delay_alu instid0(VALU_DEP_2) | instskip(NEXT) | instid1(VALU_DEP_2)
	;; [unrolled: 3-line block ×3, first 2 shown]
	v_add_f64 v[1:2], v[179:180], -v[1:2]
	v_add_f64 v[3:4], v[181:182], -v[3:4]
	scratch_store_b128 off, v[1:4], off offset:16
	v_cmpx_ne_u32_e32 0, v134
	s_cbranch_execz .LBB107_277
; %bb.276:
	scratch_load_b128 v[1:4], off, off
	v_mov_b32_e32 v5, 0
	s_delay_alu instid0(VALU_DEP_1)
	v_mov_b32_e32 v6, v5
	v_mov_b32_e32 v7, v5
	;; [unrolled: 1-line block ×3, first 2 shown]
	scratch_store_b128 off, v[5:8], off
	s_waitcnt vmcnt(0)
	ds_store_b128 v178, v[1:4]
.LBB107_277:
	s_or_b32 exec_lo, exec_lo, s2
	s_waitcnt lgkmcnt(0)
	s_waitcnt_vscnt null, 0x0
	s_barrier
	buffer_gl0_inv
	s_clause 0x7
	scratch_load_b128 v[1:4], off, off offset:16
	scratch_load_b128 v[5:8], off, off offset:32
	;; [unrolled: 1-line block ×8, first 2 shown]
	v_mov_b32_e32 v41, 0
	s_and_b32 vcc_lo, exec_lo, s14
	ds_load_b128 v[37:40], v41 offset:720
	s_clause 0x1
	scratch_load_b128 v[33:36], off, off offset:144
	scratch_load_b128 v[42:45], off, off
	ds_load_b128 v[178:181], v41 offset:736
	scratch_load_b128 v[182:185], off, off offset:160
	s_waitcnt vmcnt(10) lgkmcnt(1)
	v_mul_f64 v[186:187], v[39:40], v[3:4]
	v_mul_f64 v[3:4], v[37:38], v[3:4]
	s_delay_alu instid0(VALU_DEP_2) | instskip(NEXT) | instid1(VALU_DEP_2)
	v_fma_f64 v[192:193], v[37:38], v[1:2], -v[186:187]
	v_fma_f64 v[194:195], v[39:40], v[1:2], v[3:4]
	scratch_load_b128 v[37:40], off, off offset:176
	ds_load_b128 v[1:4], v41 offset:752
	s_waitcnt vmcnt(10) lgkmcnt(1)
	v_mul_f64 v[190:191], v[178:179], v[7:8]
	v_mul_f64 v[7:8], v[180:181], v[7:8]
	ds_load_b128 v[186:189], v41 offset:768
	s_waitcnt vmcnt(9) lgkmcnt(1)
	v_mul_f64 v[196:197], v[1:2], v[11:12]
	v_mul_f64 v[11:12], v[3:4], v[11:12]
	v_fma_f64 v[180:181], v[180:181], v[5:6], v[190:191]
	v_fma_f64 v[178:179], v[178:179], v[5:6], -v[7:8]
	v_add_f64 v[190:191], v[192:193], 0
	v_add_f64 v[192:193], v[194:195], 0
	scratch_load_b128 v[5:8], off, off offset:192
	v_fma_f64 v[196:197], v[3:4], v[9:10], v[196:197]
	v_fma_f64 v[198:199], v[1:2], v[9:10], -v[11:12]
	scratch_load_b128 v[9:12], off, off offset:208
	ds_load_b128 v[1:4], v41 offset:784
	s_waitcnt vmcnt(10) lgkmcnt(1)
	v_mul_f64 v[194:195], v[186:187], v[15:16]
	v_mul_f64 v[15:16], v[188:189], v[15:16]
	v_add_f64 v[190:191], v[190:191], v[178:179]
	v_add_f64 v[192:193], v[192:193], v[180:181]
	s_waitcnt vmcnt(9) lgkmcnt(0)
	v_mul_f64 v[200:201], v[1:2], v[19:20]
	v_mul_f64 v[19:20], v[3:4], v[19:20]
	ds_load_b128 v[178:181], v41 offset:800
	v_fma_f64 v[188:189], v[188:189], v[13:14], v[194:195]
	v_fma_f64 v[186:187], v[186:187], v[13:14], -v[15:16]
	scratch_load_b128 v[13:16], off, off offset:224
	v_add_f64 v[190:191], v[190:191], v[198:199]
	v_add_f64 v[192:193], v[192:193], v[196:197]
	v_fma_f64 v[196:197], v[3:4], v[17:18], v[200:201]
	v_fma_f64 v[198:199], v[1:2], v[17:18], -v[19:20]
	scratch_load_b128 v[17:20], off, off offset:240
	ds_load_b128 v[1:4], v41 offset:816
	s_waitcnt vmcnt(10) lgkmcnt(1)
	v_mul_f64 v[194:195], v[178:179], v[23:24]
	v_mul_f64 v[23:24], v[180:181], v[23:24]
	s_waitcnt vmcnt(9) lgkmcnt(0)
	v_mul_f64 v[200:201], v[1:2], v[27:28]
	v_mul_f64 v[27:28], v[3:4], v[27:28]
	v_add_f64 v[190:191], v[190:191], v[186:187]
	v_add_f64 v[192:193], v[192:193], v[188:189]
	ds_load_b128 v[186:189], v41 offset:832
	v_fma_f64 v[180:181], v[180:181], v[21:22], v[194:195]
	v_fma_f64 v[178:179], v[178:179], v[21:22], -v[23:24]
	scratch_load_b128 v[21:24], off, off offset:256
	v_add_f64 v[190:191], v[190:191], v[198:199]
	v_add_f64 v[192:193], v[192:193], v[196:197]
	v_fma_f64 v[196:197], v[3:4], v[25:26], v[200:201]
	v_fma_f64 v[198:199], v[1:2], v[25:26], -v[27:28]
	scratch_load_b128 v[25:28], off, off offset:272
	ds_load_b128 v[1:4], v41 offset:848
	s_waitcnt vmcnt(10) lgkmcnt(1)
	v_mul_f64 v[194:195], v[186:187], v[31:32]
	v_mul_f64 v[31:32], v[188:189], v[31:32]
	s_waitcnt vmcnt(9) lgkmcnt(0)
	v_mul_f64 v[200:201], v[1:2], v[35:36]
	v_mul_f64 v[35:36], v[3:4], v[35:36]
	v_add_f64 v[190:191], v[190:191], v[178:179]
	v_add_f64 v[192:193], v[192:193], v[180:181]
	ds_load_b128 v[178:181], v41 offset:864
	v_fma_f64 v[188:189], v[188:189], v[29:30], v[194:195]
	v_fma_f64 v[186:187], v[186:187], v[29:30], -v[31:32]
	scratch_load_b128 v[29:32], off, off offset:288
	v_add_f64 v[190:191], v[190:191], v[198:199]
	v_add_f64 v[192:193], v[192:193], v[196:197]
	v_fma_f64 v[198:199], v[3:4], v[33:34], v[200:201]
	v_fma_f64 v[200:201], v[1:2], v[33:34], -v[35:36]
	scratch_load_b128 v[33:36], off, off offset:304
	ds_load_b128 v[1:4], v41 offset:880
	s_waitcnt vmcnt(9) lgkmcnt(1)
	v_mul_f64 v[194:195], v[178:179], v[184:185]
	v_mul_f64 v[196:197], v[180:181], v[184:185]
	v_add_f64 v[190:191], v[190:191], v[186:187]
	v_add_f64 v[188:189], v[192:193], v[188:189]
	ds_load_b128 v[184:187], v41 offset:896
	v_fma_f64 v[194:195], v[180:181], v[182:183], v[194:195]
	v_fma_f64 v[182:183], v[178:179], v[182:183], -v[196:197]
	scratch_load_b128 v[178:181], off, off offset:320
	s_waitcnt vmcnt(9) lgkmcnt(1)
	v_mul_f64 v[192:193], v[1:2], v[39:40]
	v_mul_f64 v[39:40], v[3:4], v[39:40]
	v_add_f64 v[190:191], v[190:191], v[200:201]
	v_add_f64 v[188:189], v[188:189], v[198:199]
	s_delay_alu instid0(VALU_DEP_4) | instskip(NEXT) | instid1(VALU_DEP_4)
	v_fma_f64 v[192:193], v[3:4], v[37:38], v[192:193]
	v_fma_f64 v[198:199], v[1:2], v[37:38], -v[39:40]
	scratch_load_b128 v[37:40], off, off offset:336
	ds_load_b128 v[1:4], v41 offset:912
	s_waitcnt vmcnt(9) lgkmcnt(1)
	v_mul_f64 v[196:197], v[184:185], v[7:8]
	v_mul_f64 v[7:8], v[186:187], v[7:8]
	s_waitcnt vmcnt(8) lgkmcnt(0)
	v_mul_f64 v[200:201], v[1:2], v[11:12]
	v_mul_f64 v[11:12], v[3:4], v[11:12]
	v_add_f64 v[182:183], v[190:191], v[182:183]
	v_add_f64 v[194:195], v[188:189], v[194:195]
	ds_load_b128 v[188:191], v41 offset:928
	v_fma_f64 v[186:187], v[186:187], v[5:6], v[196:197]
	v_fma_f64 v[184:185], v[184:185], v[5:6], -v[7:8]
	scratch_load_b128 v[5:8], off, off offset:352
	v_fma_f64 v[196:197], v[3:4], v[9:10], v[200:201]
	v_add_f64 v[182:183], v[182:183], v[198:199]
	v_add_f64 v[192:193], v[194:195], v[192:193]
	v_fma_f64 v[198:199], v[1:2], v[9:10], -v[11:12]
	scratch_load_b128 v[9:12], off, off offset:368
	ds_load_b128 v[1:4], v41 offset:944
	s_waitcnt vmcnt(9) lgkmcnt(1)
	v_mul_f64 v[194:195], v[188:189], v[15:16]
	v_mul_f64 v[15:16], v[190:191], v[15:16]
	v_add_f64 v[200:201], v[182:183], v[184:185]
	v_add_f64 v[186:187], v[192:193], v[186:187]
	s_waitcnt vmcnt(8) lgkmcnt(0)
	v_mul_f64 v[192:193], v[1:2], v[19:20]
	v_mul_f64 v[19:20], v[3:4], v[19:20]
	ds_load_b128 v[182:185], v41 offset:960
	v_fma_f64 v[190:191], v[190:191], v[13:14], v[194:195]
	v_fma_f64 v[188:189], v[188:189], v[13:14], -v[15:16]
	scratch_load_b128 v[13:16], off, off offset:384
	v_add_f64 v[194:195], v[200:201], v[198:199]
	v_add_f64 v[186:187], v[186:187], v[196:197]
	v_fma_f64 v[192:193], v[3:4], v[17:18], v[192:193]
	v_fma_f64 v[198:199], v[1:2], v[17:18], -v[19:20]
	scratch_load_b128 v[17:20], off, off offset:400
	ds_load_b128 v[1:4], v41 offset:976
	s_waitcnt vmcnt(9) lgkmcnt(1)
	v_mul_f64 v[196:197], v[182:183], v[23:24]
	v_mul_f64 v[23:24], v[184:185], v[23:24]
	s_waitcnt vmcnt(8) lgkmcnt(0)
	v_mul_f64 v[200:201], v[1:2], v[27:28]
	v_mul_f64 v[27:28], v[3:4], v[27:28]
	v_add_f64 v[194:195], v[194:195], v[188:189]
	v_add_f64 v[190:191], v[186:187], v[190:191]
	ds_load_b128 v[186:189], v41 offset:992
	v_fma_f64 v[184:185], v[184:185], v[21:22], v[196:197]
	v_fma_f64 v[182:183], v[182:183], v[21:22], -v[23:24]
	scratch_load_b128 v[21:24], off, off offset:416
	v_fma_f64 v[196:197], v[3:4], v[25:26], v[200:201]
	v_add_f64 v[194:195], v[194:195], v[198:199]
	v_add_f64 v[190:191], v[190:191], v[192:193]
	v_fma_f64 v[198:199], v[1:2], v[25:26], -v[27:28]
	scratch_load_b128 v[25:28], off, off offset:432
	ds_load_b128 v[1:4], v41 offset:1008
	s_waitcnt vmcnt(9) lgkmcnt(1)
	v_mul_f64 v[192:193], v[186:187], v[31:32]
	v_mul_f64 v[31:32], v[188:189], v[31:32]
	s_waitcnt vmcnt(8) lgkmcnt(0)
	v_mul_f64 v[200:201], v[1:2], v[35:36]
	v_mul_f64 v[35:36], v[3:4], v[35:36]
	v_add_f64 v[194:195], v[194:195], v[182:183]
	v_add_f64 v[190:191], v[190:191], v[184:185]
	ds_load_b128 v[182:185], v41 offset:1024
	v_fma_f64 v[188:189], v[188:189], v[29:30], v[192:193]
	v_fma_f64 v[186:187], v[186:187], v[29:30], -v[31:32]
	scratch_load_b128 v[29:32], off, off offset:448
	v_add_f64 v[192:193], v[194:195], v[198:199]
	v_add_f64 v[190:191], v[190:191], v[196:197]
	v_fma_f64 v[196:197], v[3:4], v[33:34], v[200:201]
	v_fma_f64 v[198:199], v[1:2], v[33:34], -v[35:36]
	scratch_load_b128 v[33:36], off, off offset:464
	ds_load_b128 v[1:4], v41 offset:1040
	s_waitcnt vmcnt(9) lgkmcnt(1)
	v_mul_f64 v[194:195], v[182:183], v[180:181]
	v_mul_f64 v[180:181], v[184:185], v[180:181]
	s_waitcnt vmcnt(8) lgkmcnt(0)
	v_mul_f64 v[200:201], v[1:2], v[39:40]
	v_mul_f64 v[39:40], v[3:4], v[39:40]
	v_add_f64 v[192:193], v[192:193], v[186:187]
	v_add_f64 v[190:191], v[190:191], v[188:189]
	ds_load_b128 v[186:189], v41 offset:1056
	v_fma_f64 v[184:185], v[184:185], v[178:179], v[194:195]
	v_fma_f64 v[182:183], v[182:183], v[178:179], -v[180:181]
	scratch_load_b128 v[178:181], off, off offset:480
	v_add_f64 v[192:193], v[192:193], v[198:199]
	v_add_f64 v[190:191], v[190:191], v[196:197]
	v_fma_f64 v[196:197], v[3:4], v[37:38], v[200:201]
	;; [unrolled: 18-line block ×6, first 2 shown]
	v_fma_f64 v[200:201], v[1:2], v[33:34], -v[35:36]
	scratch_load_b128 v[33:36], off, off offset:624
	ds_load_b128 v[1:4], v41 offset:1200
	s_waitcnt vmcnt(9) lgkmcnt(1)
	v_mul_f64 v[194:195], v[186:187], v[180:181]
	v_mul_f64 v[196:197], v[188:189], v[180:181]
	v_add_f64 v[192:193], v[192:193], v[182:183]
	v_add_f64 v[184:185], v[190:191], v[184:185]
	s_waitcnt vmcnt(8) lgkmcnt(0)
	v_mul_f64 v[190:191], v[1:2], v[39:40]
	v_mul_f64 v[39:40], v[3:4], v[39:40]
	ds_load_b128 v[180:183], v41 offset:1216
	v_fma_f64 v[188:189], v[188:189], v[178:179], v[194:195]
	v_fma_f64 v[178:179], v[186:187], v[178:179], -v[196:197]
	v_add_f64 v[192:193], v[192:193], v[200:201]
	v_add_f64 v[194:195], v[184:185], v[198:199]
	scratch_load_b128 v[184:187], off, off offset:640
	v_fma_f64 v[198:199], v[3:4], v[37:38], v[190:191]
	v_fma_f64 v[200:201], v[1:2], v[37:38], -v[39:40]
	scratch_load_b128 v[37:40], off, off offset:656
	ds_load_b128 v[1:4], v41 offset:1232
	s_waitcnt vmcnt(9) lgkmcnt(1)
	v_mul_f64 v[196:197], v[180:181], v[7:8]
	v_mul_f64 v[7:8], v[182:183], v[7:8]
	v_add_f64 v[178:179], v[192:193], v[178:179]
	v_add_f64 v[192:193], v[194:195], v[188:189]
	s_waitcnt vmcnt(8) lgkmcnt(0)
	v_mul_f64 v[194:195], v[1:2], v[11:12]
	v_mul_f64 v[11:12], v[3:4], v[11:12]
	ds_load_b128 v[188:191], v41 offset:1248
	v_fma_f64 v[182:183], v[182:183], v[5:6], v[196:197]
	v_fma_f64 v[180:181], v[180:181], v[5:6], -v[7:8]
	scratch_load_b128 v[5:8], off, off offset:672
	v_add_f64 v[178:179], v[178:179], v[200:201]
	v_add_f64 v[192:193], v[192:193], v[198:199]
	v_fma_f64 v[194:195], v[3:4], v[9:10], v[194:195]
	v_fma_f64 v[198:199], v[1:2], v[9:10], -v[11:12]
	scratch_load_b128 v[9:12], off, off offset:688
	ds_load_b128 v[1:4], v41 offset:1264
	s_waitcnt vmcnt(9) lgkmcnt(1)
	v_mul_f64 v[196:197], v[188:189], v[15:16]
	v_mul_f64 v[15:16], v[190:191], v[15:16]
	v_add_f64 v[200:201], v[178:179], v[180:181]
	v_add_f64 v[182:183], v[192:193], v[182:183]
	s_waitcnt vmcnt(8) lgkmcnt(0)
	v_mul_f64 v[192:193], v[1:2], v[19:20]
	v_mul_f64 v[19:20], v[3:4], v[19:20]
	ds_load_b128 v[178:181], v41 offset:1280
	v_fma_f64 v[190:191], v[190:191], v[13:14], v[196:197]
	v_fma_f64 v[13:14], v[188:189], v[13:14], -v[15:16]
	s_waitcnt vmcnt(7) lgkmcnt(0)
	v_mul_f64 v[188:189], v[178:179], v[23:24]
	v_mul_f64 v[23:24], v[180:181], v[23:24]
	v_add_f64 v[15:16], v[200:201], v[198:199]
	v_add_f64 v[182:183], v[182:183], v[194:195]
	v_fma_f64 v[192:193], v[3:4], v[17:18], v[192:193]
	v_fma_f64 v[17:18], v[1:2], v[17:18], -v[19:20]
	v_fma_f64 v[180:181], v[180:181], v[21:22], v[188:189]
	v_fma_f64 v[21:22], v[178:179], v[21:22], -v[23:24]
	v_add_f64 v[19:20], v[15:16], v[13:14]
	v_add_f64 v[182:183], v[182:183], v[190:191]
	ds_load_b128 v[1:4], v41 offset:1296
	ds_load_b128 v[13:16], v41 offset:1312
	s_waitcnt vmcnt(6) lgkmcnt(1)
	v_mul_f64 v[190:191], v[1:2], v[27:28]
	v_mul_f64 v[27:28], v[3:4], v[27:28]
	s_waitcnt vmcnt(5) lgkmcnt(0)
	v_mul_f64 v[23:24], v[13:14], v[31:32]
	v_mul_f64 v[31:32], v[15:16], v[31:32]
	v_add_f64 v[17:18], v[19:20], v[17:18]
	v_add_f64 v[19:20], v[182:183], v[192:193]
	v_fma_f64 v[178:179], v[3:4], v[25:26], v[190:191]
	v_fma_f64 v[25:26], v[1:2], v[25:26], -v[27:28]
	v_fma_f64 v[15:16], v[15:16], v[29:30], v[23:24]
	v_fma_f64 v[13:14], v[13:14], v[29:30], -v[31:32]
	v_add_f64 v[21:22], v[17:18], v[21:22]
	v_add_f64 v[27:28], v[19:20], v[180:181]
	ds_load_b128 v[1:4], v41 offset:1328
	ds_load_b128 v[17:20], v41 offset:1344
	s_waitcnt vmcnt(4) lgkmcnt(1)
	v_mul_f64 v[180:181], v[1:2], v[35:36]
	v_mul_f64 v[35:36], v[3:4], v[35:36]
	v_add_f64 v[21:22], v[21:22], v[25:26]
	v_add_f64 v[23:24], v[27:28], v[178:179]
	s_waitcnt vmcnt(3) lgkmcnt(0)
	v_mul_f64 v[25:26], v[17:18], v[186:187]
	v_mul_f64 v[27:28], v[19:20], v[186:187]
	v_fma_f64 v[29:30], v[3:4], v[33:34], v[180:181]
	v_fma_f64 v[31:32], v[1:2], v[33:34], -v[35:36]
	v_add_f64 v[21:22], v[21:22], v[13:14]
	v_add_f64 v[23:24], v[23:24], v[15:16]
	ds_load_b128 v[1:4], v41 offset:1360
	ds_load_b128 v[13:16], v41 offset:1376
	v_fma_f64 v[19:20], v[19:20], v[184:185], v[25:26]
	v_fma_f64 v[17:18], v[17:18], v[184:185], -v[27:28]
	s_waitcnt vmcnt(2) lgkmcnt(1)
	v_mul_f64 v[33:34], v[1:2], v[39:40]
	v_mul_f64 v[35:36], v[3:4], v[39:40]
	s_waitcnt vmcnt(1) lgkmcnt(0)
	v_mul_f64 v[25:26], v[13:14], v[7:8]
	v_mul_f64 v[7:8], v[15:16], v[7:8]
	v_add_f64 v[21:22], v[21:22], v[31:32]
	v_add_f64 v[23:24], v[23:24], v[29:30]
	v_fma_f64 v[27:28], v[3:4], v[37:38], v[33:34]
	v_fma_f64 v[29:30], v[1:2], v[37:38], -v[35:36]
	ds_load_b128 v[1:4], v41 offset:1392
	v_fma_f64 v[15:16], v[15:16], v[5:6], v[25:26]
	v_fma_f64 v[5:6], v[13:14], v[5:6], -v[7:8]
	v_add_f64 v[17:18], v[21:22], v[17:18]
	v_add_f64 v[19:20], v[23:24], v[19:20]
	s_waitcnt vmcnt(0) lgkmcnt(0)
	v_mul_f64 v[21:22], v[1:2], v[11:12]
	v_mul_f64 v[11:12], v[3:4], v[11:12]
	s_delay_alu instid0(VALU_DEP_4) | instskip(NEXT) | instid1(VALU_DEP_4)
	v_add_f64 v[7:8], v[17:18], v[29:30]
	v_add_f64 v[13:14], v[19:20], v[27:28]
	s_delay_alu instid0(VALU_DEP_4) | instskip(NEXT) | instid1(VALU_DEP_4)
	v_fma_f64 v[3:4], v[3:4], v[9:10], v[21:22]
	v_fma_f64 v[1:2], v[1:2], v[9:10], -v[11:12]
	s_delay_alu instid0(VALU_DEP_4) | instskip(NEXT) | instid1(VALU_DEP_4)
	v_add_f64 v[5:6], v[7:8], v[5:6]
	v_add_f64 v[7:8], v[13:14], v[15:16]
	s_delay_alu instid0(VALU_DEP_2) | instskip(NEXT) | instid1(VALU_DEP_2)
	v_add_f64 v[1:2], v[5:6], v[1:2]
	v_add_f64 v[3:4], v[7:8], v[3:4]
	s_delay_alu instid0(VALU_DEP_2) | instskip(NEXT) | instid1(VALU_DEP_2)
	v_add_f64 v[1:2], v[42:43], -v[1:2]
	v_add_f64 v[3:4], v[44:45], -v[3:4]
	scratch_store_b128 off, v[1:4], off
	s_cbranch_vccz .LBB107_365
; %bb.278:
	v_dual_mov_b32 v1, s8 :: v_dual_mov_b32 v2, s9
	s_load_b64 s[0:1], s[0:1], 0x4
	flat_load_b32 v1, v[1:2] offset:168
	v_bfe_u32 v2, v0, 10, 10
	v_bfe_u32 v0, v0, 20, 10
	s_waitcnt lgkmcnt(0)
	s_lshr_b32 s0, s0, 16
	s_delay_alu instid0(VALU_DEP_2) | instskip(SKIP_1) | instid1(SALU_CYCLE_1)
	v_mul_u32_u24_e32 v2, s1, v2
	s_mul_i32 s0, s0, s1
	v_mul_u32_u24_e32 v3, s0, v134
	s_mov_b32 s0, exec_lo
	s_delay_alu instid0(VALU_DEP_1) | instskip(NEXT) | instid1(VALU_DEP_1)
	v_add3_u32 v0, v3, v2, v0
	v_lshl_add_u32 v0, v0, 4, 0x588
	s_waitcnt vmcnt(0)
	v_cmpx_ne_u32_e32 43, v1
	s_cbranch_execz .LBB107_280
; %bb.279:
	v_lshl_add_u32 v9, v1, 4, 0
	s_clause 0x1
	scratch_load_b128 v[1:4], v146, off
	scratch_load_b128 v[5:8], v9, off offset:-16
	s_waitcnt vmcnt(1)
	ds_store_2addr_b64 v0, v[1:2], v[3:4] offset1:1
	s_waitcnt vmcnt(0)
	s_clause 0x1
	scratch_store_b128 v146, v[5:8], off
	scratch_store_b128 v9, v[1:4], off offset:-16
.LBB107_280:
	s_or_b32 exec_lo, exec_lo, s0
	v_dual_mov_b32 v1, s8 :: v_dual_mov_b32 v2, s9
	s_mov_b32 s0, exec_lo
	flat_load_b32 v1, v[1:2] offset:164
	s_waitcnt vmcnt(0) lgkmcnt(0)
	v_cmpx_ne_u32_e32 42, v1
	s_cbranch_execz .LBB107_282
; %bb.281:
	v_lshl_add_u32 v9, v1, 4, 0
	s_clause 0x1
	scratch_load_b128 v[1:4], v148, off
	scratch_load_b128 v[5:8], v9, off offset:-16
	s_waitcnt vmcnt(1)
	ds_store_2addr_b64 v0, v[1:2], v[3:4] offset1:1
	s_waitcnt vmcnt(0)
	s_clause 0x1
	scratch_store_b128 v148, v[5:8], off
	scratch_store_b128 v9, v[1:4], off offset:-16
.LBB107_282:
	s_or_b32 exec_lo, exec_lo, s0
	v_dual_mov_b32 v1, s8 :: v_dual_mov_b32 v2, s9
	s_mov_b32 s0, exec_lo
	flat_load_b32 v1, v[1:2] offset:160
	s_waitcnt vmcnt(0) lgkmcnt(0)
	;; [unrolled: 19-line block ×41, first 2 shown]
	v_cmpx_ne_u32_e32 2, v1
	s_cbranch_execz .LBB107_362
; %bb.361:
	v_lshl_add_u32 v9, v1, 4, 0
	s_clause 0x1
	scratch_load_b128 v[1:4], v136, off
	scratch_load_b128 v[5:8], v9, off offset:-16
	s_waitcnt vmcnt(1)
	ds_store_2addr_b64 v0, v[1:2], v[3:4] offset1:1
	s_waitcnt vmcnt(0)
	s_clause 0x1
	scratch_store_b128 v136, v[5:8], off
	scratch_store_b128 v9, v[1:4], off offset:-16
.LBB107_362:
	s_or_b32 exec_lo, exec_lo, s0
	v_dual_mov_b32 v1, s8 :: v_dual_mov_b32 v2, s9
	s_mov_b32 s0, exec_lo
	flat_load_b32 v1, v[1:2]
	s_waitcnt vmcnt(0) lgkmcnt(0)
	v_cmpx_ne_u32_e32 1, v1
	s_cbranch_execz .LBB107_364
; %bb.363:
	v_lshl_add_u32 v9, v1, 4, 0
	scratch_load_b128 v[1:4], off, off
	scratch_load_b128 v[5:8], v9, off offset:-16
	s_waitcnt vmcnt(1)
	ds_store_2addr_b64 v0, v[1:2], v[3:4] offset1:1
	s_waitcnt vmcnt(0)
	scratch_store_b128 off, v[5:8], off
	scratch_store_b128 v9, v[1:4], off offset:-16
.LBB107_364:
	s_or_b32 exec_lo, exec_lo, s0
.LBB107_365:
	scratch_load_b128 v[0:3], off, off
	s_clause 0x18
	scratch_load_b128 v[4:7], v136, off
	scratch_load_b128 v[8:11], v135, off
	;; [unrolled: 1-line block ×25, first 2 shown]
	s_waitcnt vmcnt(25)
	global_store_b128 v[46:47], v[0:3], off
	s_clause 0x1
	scratch_load_b128 v[0:3], v150, off
	scratch_load_b128 v[44:47], v149, off
	s_waitcnt vmcnt(26)
	global_store_b128 v[48:49], v[4:7], off
	s_clause 0x1
	scratch_load_b128 v[4:7], v147, off
	scratch_load_b128 v[221:224], v145, off
	;; [unrolled: 5-line block ×9, first 2 shown]
	s_waitcnt vmcnt(34)
	global_store_b128 v[62:63], v[36:39], off
	s_waitcnt vmcnt(33)
	global_store_b128 v[66:67], v[40:43], off
	;; [unrolled: 2-line block ×35, first 2 shown]
	s_endpgm
	.section	.rodata,"a",@progbits
	.p2align	6, 0x0
	.amdhsa_kernel _ZN9rocsolver6v33100L18getri_kernel_smallILi44E19rocblas_complex_numIdEPKPS3_EEvT1_iilPiilS8_bb
		.amdhsa_group_segment_fixed_size 2440
		.amdhsa_private_segment_fixed_size 720
		.amdhsa_kernarg_size 60
		.amdhsa_user_sgpr_count 15
		.amdhsa_user_sgpr_dispatch_ptr 1
		.amdhsa_user_sgpr_queue_ptr 0
		.amdhsa_user_sgpr_kernarg_segment_ptr 1
		.amdhsa_user_sgpr_dispatch_id 0
		.amdhsa_user_sgpr_private_segment_size 0
		.amdhsa_wavefront_size32 1
		.amdhsa_uses_dynamic_stack 0
		.amdhsa_enable_private_segment 1
		.amdhsa_system_sgpr_workgroup_id_x 1
		.amdhsa_system_sgpr_workgroup_id_y 0
		.amdhsa_system_sgpr_workgroup_id_z 0
		.amdhsa_system_sgpr_workgroup_info 0
		.amdhsa_system_vgpr_workitem_id 2
		.amdhsa_next_free_vgpr 242
		.amdhsa_next_free_sgpr 50
		.amdhsa_reserve_vcc 1
		.amdhsa_float_round_mode_32 0
		.amdhsa_float_round_mode_16_64 0
		.amdhsa_float_denorm_mode_32 3
		.amdhsa_float_denorm_mode_16_64 3
		.amdhsa_dx10_clamp 1
		.amdhsa_ieee_mode 1
		.amdhsa_fp16_overflow 0
		.amdhsa_workgroup_processor_mode 1
		.amdhsa_memory_ordered 1
		.amdhsa_forward_progress 0
		.amdhsa_shared_vgpr_count 0
		.amdhsa_exception_fp_ieee_invalid_op 0
		.amdhsa_exception_fp_denorm_src 0
		.amdhsa_exception_fp_ieee_div_zero 0
		.amdhsa_exception_fp_ieee_overflow 0
		.amdhsa_exception_fp_ieee_underflow 0
		.amdhsa_exception_fp_ieee_inexact 0
		.amdhsa_exception_int_div_zero 0
	.end_amdhsa_kernel
	.section	.text._ZN9rocsolver6v33100L18getri_kernel_smallILi44E19rocblas_complex_numIdEPKPS3_EEvT1_iilPiilS8_bb,"axG",@progbits,_ZN9rocsolver6v33100L18getri_kernel_smallILi44E19rocblas_complex_numIdEPKPS3_EEvT1_iilPiilS8_bb,comdat
.Lfunc_end107:
	.size	_ZN9rocsolver6v33100L18getri_kernel_smallILi44E19rocblas_complex_numIdEPKPS3_EEvT1_iilPiilS8_bb, .Lfunc_end107-_ZN9rocsolver6v33100L18getri_kernel_smallILi44E19rocblas_complex_numIdEPKPS3_EEvT1_iilPiilS8_bb
                                        ; -- End function
	.section	.AMDGPU.csdata,"",@progbits
; Kernel info:
; codeLenInByte = 91720
; NumSgprs: 52
; NumVgprs: 242
; ScratchSize: 720
; MemoryBound: 0
; FloatMode: 240
; IeeeMode: 1
; LDSByteSize: 2440 bytes/workgroup (compile time only)
; SGPRBlocks: 6
; VGPRBlocks: 30
; NumSGPRsForWavesPerEU: 52
; NumVGPRsForWavesPerEU: 242
; Occupancy: 5
; WaveLimiterHint : 1
; COMPUTE_PGM_RSRC2:SCRATCH_EN: 1
; COMPUTE_PGM_RSRC2:USER_SGPR: 15
; COMPUTE_PGM_RSRC2:TRAP_HANDLER: 0
; COMPUTE_PGM_RSRC2:TGID_X_EN: 1
; COMPUTE_PGM_RSRC2:TGID_Y_EN: 0
; COMPUTE_PGM_RSRC2:TGID_Z_EN: 0
; COMPUTE_PGM_RSRC2:TIDIG_COMP_CNT: 2
	.section	.text._ZN9rocsolver6v33100L18getri_kernel_smallILi45E19rocblas_complex_numIdEPKPS3_EEvT1_iilPiilS8_bb,"axG",@progbits,_ZN9rocsolver6v33100L18getri_kernel_smallILi45E19rocblas_complex_numIdEPKPS3_EEvT1_iilPiilS8_bb,comdat
	.globl	_ZN9rocsolver6v33100L18getri_kernel_smallILi45E19rocblas_complex_numIdEPKPS3_EEvT1_iilPiilS8_bb ; -- Begin function _ZN9rocsolver6v33100L18getri_kernel_smallILi45E19rocblas_complex_numIdEPKPS3_EEvT1_iilPiilS8_bb
	.p2align	8
	.type	_ZN9rocsolver6v33100L18getri_kernel_smallILi45E19rocblas_complex_numIdEPKPS3_EEvT1_iilPiilS8_bb,@function
_ZN9rocsolver6v33100L18getri_kernel_smallILi45E19rocblas_complex_numIdEPKPS3_EEvT1_iilPiilS8_bb: ; @_ZN9rocsolver6v33100L18getri_kernel_smallILi45E19rocblas_complex_numIdEPKPS3_EEvT1_iilPiilS8_bb
; %bb.0:
	v_and_b32_e32 v136, 0x3ff, v0
	s_mov_b32 s4, exec_lo
	s_delay_alu instid0(VALU_DEP_1)
	v_cmpx_gt_u32_e32 45, v136
	s_cbranch_execz .LBB108_194
; %bb.1:
	s_mov_b32 s10, s15
	s_clause 0x2
	s_load_b32 s15, s[2:3], 0x38
	s_load_b64 s[8:9], s[2:3], 0x0
	s_load_b128 s[4:7], s[2:3], 0x28
	s_waitcnt lgkmcnt(0)
	s_bitcmp1_b32 s15, 8
	s_cselect_b32 s14, -1, 0
	s_ashr_i32 s11, s10, 31
	s_delay_alu instid0(SALU_CYCLE_1) | instskip(NEXT) | instid1(SALU_CYCLE_1)
	s_lshl_b64 s[12:13], s[10:11], 3
	s_add_u32 s8, s8, s12
	s_addc_u32 s9, s9, s13
	s_load_b64 s[12:13], s[8:9], 0x0
	s_bfe_u32 s8, s15, 0x10008
	s_delay_alu instid0(SALU_CYCLE_1)
	s_cmp_eq_u32 s8, 0
                                        ; implicit-def: $sgpr8_sgpr9
	s_cbranch_scc1 .LBB108_3
; %bb.2:
	s_clause 0x1
	s_load_b32 s8, s[2:3], 0x20
	s_load_b64 s[16:17], s[2:3], 0x18
	s_mul_i32 s5, s10, s5
	s_mul_hi_u32 s9, s10, s4
	s_mul_i32 s18, s11, s4
	s_add_i32 s5, s9, s5
	s_mul_i32 s4, s10, s4
	s_add_i32 s5, s5, s18
	s_delay_alu instid0(SALU_CYCLE_1)
	s_lshl_b64 s[4:5], s[4:5], 2
	s_waitcnt lgkmcnt(0)
	s_ashr_i32 s9, s8, 31
	s_add_u32 s16, s16, s4
	s_addc_u32 s17, s17, s5
	s_lshl_b64 s[4:5], s[8:9], 2
	s_delay_alu instid0(SALU_CYCLE_1)
	s_add_u32 s8, s16, s4
	s_addc_u32 s9, s17, s5
.LBB108_3:
	s_load_b64 s[2:3], s[2:3], 0x8
	v_lshlrev_b32_e32 v13, 4, v136
	s_movk_i32 s18, 0xd0
	s_movk_i32 s19, 0xe0
	;; [unrolled: 1-line block ×18, first 2 shown]
	s_waitcnt lgkmcnt(0)
	v_add3_u32 v5, s3, s3, v136
	s_ashr_i32 s5, s2, 31
	s_mov_b32 s4, s2
	s_mov_b32 s16, s3
	s_lshl_b64 s[4:5], s[4:5], 4
	v_add_nc_u32_e32 v7, s3, v5
	v_ashrrev_i32_e32 v6, 31, v5
	s_add_u32 s4, s12, s4
	s_addc_u32 s5, s13, s5
	v_add_co_u32 v46, s2, s4, v13
	v_add_nc_u32_e32 v9, s3, v7
	s_ashr_i32 s17, s3, 31
	v_add_co_ci_u32_e64 v47, null, s5, 0, s2
	v_ashrrev_i32_e32 v8, 31, v7
	v_lshlrev_b64 v[5:6], 4, v[5:6]
	s_lshl_b64 s[12:13], s[16:17], 4
	v_ashrrev_i32_e32 v10, 31, v9
	v_add_co_u32 v48, vcc_lo, v46, s12
	v_add_nc_u32_e32 v11, s3, v9
	v_add_co_ci_u32_e32 v49, vcc_lo, s13, v47, vcc_lo
	v_lshlrev_b64 v[7:8], 4, v[7:8]
	v_add_co_u32 v50, vcc_lo, s4, v5
	v_add_co_ci_u32_e32 v51, vcc_lo, s5, v6, vcc_lo
	v_lshlrev_b64 v[5:6], 4, v[9:10]
	v_ashrrev_i32_e32 v12, 31, v11
	v_add_nc_u32_e32 v9, s3, v11
	v_add_co_u32 v52, vcc_lo, s4, v7
	v_add_co_ci_u32_e32 v53, vcc_lo, s5, v8, vcc_lo
	s_delay_alu instid0(VALU_DEP_4) | instskip(NEXT) | instid1(VALU_DEP_4)
	v_lshlrev_b64 v[7:8], 4, v[11:12]
	v_ashrrev_i32_e32 v10, 31, v9
	v_add_nc_u32_e32 v11, s3, v9
	v_add_co_u32 v54, vcc_lo, s4, v5
	v_add_co_ci_u32_e32 v55, vcc_lo, s5, v6, vcc_lo
	s_delay_alu instid0(VALU_DEP_4) | instskip(NEXT) | instid1(VALU_DEP_4)
	;; [unrolled: 6-line block ×6, first 2 shown]
	v_lshlrev_b64 v[5:6], 4, v[9:10]
	v_add_nc_u32_e32 v9, s3, v11
	v_ashrrev_i32_e32 v12, 31, v11
	v_add_co_u32 v64, vcc_lo, s4, v7
	v_add_co_ci_u32_e32 v65, vcc_lo, s5, v8, vcc_lo
	s_delay_alu instid0(VALU_DEP_4) | instskip(NEXT) | instid1(VALU_DEP_4)
	v_add_nc_u32_e32 v32, s3, v9
	v_lshlrev_b64 v[30:31], 4, v[11:12]
	v_ashrrev_i32_e32 v10, 31, v9
	v_add_co_u32 v66, vcc_lo, s4, v5
	s_delay_alu instid0(VALU_DEP_4)
	v_ashrrev_i32_e32 v33, 31, v32
	global_load_b128 v[1:4], v13, s[4:5]
	v_add_co_ci_u32_e32 v67, vcc_lo, s5, v6, vcc_lo
	v_lshlrev_b64 v[70:71], 4, v[9:10]
	s_clause 0x1
	global_load_b128 v[5:8], v[48:49], off
	global_load_b128 v[9:12], v[50:51], off
	v_add_co_u32 v68, vcc_lo, s4, v30
	s_clause 0x3
	global_load_b128 v[14:17], v[52:53], off
	global_load_b128 v[18:21], v[54:55], off
	;; [unrolled: 1-line block ×4, first 2 shown]
	v_add_co_ci_u32_e32 v69, vcc_lo, s5, v31, vcc_lo
	v_add_nc_u32_e32 v76, s3, v32
	v_lshlrev_b64 v[72:73], 4, v[32:33]
	s_clause 0x4
	global_load_b128 v[30:33], v[60:61], off
	global_load_b128 v[34:37], v[62:63], off
	;; [unrolled: 1-line block ×5, first 2 shown]
	v_add_co_u32 v70, vcc_lo, s4, v70
	v_ashrrev_i32_e32 v77, 31, v76
	v_add_co_ci_u32_e32 v71, vcc_lo, s5, v71, vcc_lo
	v_add_co_u32 v72, vcc_lo, s4, v72
	s_delay_alu instid0(VALU_DEP_3) | instskip(SKIP_4) | instid1(VALU_DEP_2)
	v_lshlrev_b64 v[74:75], 4, v[76:77]
	v_add_nc_u32_e32 v76, s3, v76
	v_add_co_ci_u32_e32 v73, vcc_lo, s5, v73, vcc_lo
	s_movk_i32 s2, 0x50
	s_movk_i32 s12, 0x90
	v_add_nc_u32_e32 v78, s3, v76
	v_ashrrev_i32_e32 v77, 31, v76
	v_add_co_u32 v74, vcc_lo, s4, v74
	v_add_co_ci_u32_e32 v75, vcc_lo, s5, v75, vcc_lo
	s_delay_alu instid0(VALU_DEP_4)
	v_add_nc_u32_e32 v80, s3, v78
	v_ashrrev_i32_e32 v79, 31, v78
	v_lshlrev_b64 v[76:77], 4, v[76:77]
	s_clause 0x2
	global_load_b128 v[141:144], v[70:71], off
	global_load_b128 v[145:148], v[72:73], off
	global_load_b128 v[149:152], v[74:75], off
	s_movk_i32 s13, 0xa0
	v_add_nc_u32_e32 v82, s3, v80
	v_ashrrev_i32_e32 v81, 31, v80
	v_lshlrev_b64 v[78:79], 4, v[78:79]
	v_add_co_u32 v76, vcc_lo, s4, v76
	s_delay_alu instid0(VALU_DEP_4) | instskip(SKIP_3) | instid1(VALU_DEP_4)
	v_add_nc_u32_e32 v84, s3, v82
	v_ashrrev_i32_e32 v83, 31, v82
	v_lshlrev_b64 v[80:81], 4, v[80:81]
	v_add_co_ci_u32_e32 v77, vcc_lo, s5, v77, vcc_lo
	v_add_nc_u32_e32 v86, s3, v84
	v_ashrrev_i32_e32 v85, 31, v84
	v_add_co_u32 v78, vcc_lo, s4, v78
	v_lshlrev_b64 v[82:83], 4, v[82:83]
	s_delay_alu instid0(VALU_DEP_4) | instskip(SKIP_3) | instid1(VALU_DEP_4)
	v_add_nc_u32_e32 v88, s3, v86
	v_ashrrev_i32_e32 v87, 31, v86
	v_add_co_ci_u32_e32 v79, vcc_lo, s5, v79, vcc_lo
	v_add_co_u32 v80, vcc_lo, s4, v80
	v_add_nc_u32_e32 v90, s3, v88
	v_lshlrev_b64 v[84:85], 4, v[84:85]
	v_ashrrev_i32_e32 v89, 31, v88
	v_add_co_ci_u32_e32 v81, vcc_lo, s5, v81, vcc_lo
	s_delay_alu instid0(VALU_DEP_4) | instskip(SKIP_3) | instid1(VALU_DEP_4)
	v_add_nc_u32_e32 v92, s3, v90
	v_add_co_u32 v82, vcc_lo, s4, v82
	v_lshlrev_b64 v[86:87], 4, v[86:87]
	v_ashrrev_i32_e32 v91, 31, v90
	v_add_nc_u32_e32 v94, s3, v92
	v_add_co_ci_u32_e32 v83, vcc_lo, s5, v83, vcc_lo
	v_add_co_u32 v84, vcc_lo, s4, v84
	s_delay_alu instid0(VALU_DEP_3) | instskip(SKIP_3) | instid1(VALU_DEP_4)
	v_add_nc_u32_e32 v96, s3, v94
	v_lshlrev_b64 v[88:89], 4, v[88:89]
	v_ashrrev_i32_e32 v93, 31, v92
	v_add_co_ci_u32_e32 v85, vcc_lo, s5, v85, vcc_lo
	v_add_nc_u32_e32 v98, s3, v96
	v_add_co_u32 v86, vcc_lo, s4, v86
	v_lshlrev_b64 v[90:91], 4, v[90:91]
	v_ashrrev_i32_e32 v95, 31, v94
	s_delay_alu instid0(VALU_DEP_4) | instskip(SKIP_2) | instid1(VALU_DEP_3)
	v_add_nc_u32_e32 v100, s3, v98
	v_add_co_ci_u32_e32 v87, vcc_lo, s5, v87, vcc_lo
	v_add_co_u32 v88, vcc_lo, s4, v88
	v_add_nc_u32_e32 v102, s3, v100
	v_lshlrev_b64 v[92:93], 4, v[92:93]
	v_ashrrev_i32_e32 v97, 31, v96
	v_add_co_ci_u32_e32 v89, vcc_lo, s5, v89, vcc_lo
	s_delay_alu instid0(VALU_DEP_4) | instskip(SKIP_3) | instid1(VALU_DEP_4)
	v_add_nc_u32_e32 v104, s3, v102
	v_add_co_u32 v90, vcc_lo, s4, v90
	v_lshlrev_b64 v[94:95], 4, v[94:95]
	v_ashrrev_i32_e32 v99, 31, v98
	v_add_nc_u32_e32 v106, s3, v104
	v_add_co_ci_u32_e32 v91, vcc_lo, s5, v91, vcc_lo
	v_add_co_u32 v92, vcc_lo, s4, v92
	s_delay_alu instid0(VALU_DEP_3) | instskip(SKIP_3) | instid1(VALU_DEP_4)
	v_add_nc_u32_e32 v108, s3, v106
	v_lshlrev_b64 v[96:97], 4, v[96:97]
	v_ashrrev_i32_e32 v101, 31, v100
	v_add_co_ci_u32_e32 v93, vcc_lo, s5, v93, vcc_lo
	v_add_nc_u32_e32 v110, s3, v108
	v_add_co_u32 v94, vcc_lo, s4, v94
	v_lshlrev_b64 v[98:99], 4, v[98:99]
	v_ashrrev_i32_e32 v103, 31, v102
	s_delay_alu instid0(VALU_DEP_4) | instskip(SKIP_2) | instid1(VALU_DEP_3)
	v_add_nc_u32_e32 v112, s3, v110
	v_add_co_ci_u32_e32 v95, vcc_lo, s5, v95, vcc_lo
	v_add_co_u32 v96, vcc_lo, s4, v96
	v_add_nc_u32_e32 v114, s3, v112
	v_lshlrev_b64 v[100:101], 4, v[100:101]
	v_ashrrev_i32_e32 v105, 31, v104
	v_add_co_ci_u32_e32 v97, vcc_lo, s5, v97, vcc_lo
	s_delay_alu instid0(VALU_DEP_4) | instskip(SKIP_3) | instid1(VALU_DEP_4)
	v_add_nc_u32_e32 v116, s3, v114
	v_add_co_u32 v98, vcc_lo, s4, v98
	v_lshlrev_b64 v[102:103], 4, v[102:103]
	v_ashrrev_i32_e32 v107, 31, v106
	v_add_nc_u32_e32 v118, s3, v116
	v_add_co_ci_u32_e32 v99, vcc_lo, s5, v99, vcc_lo
	v_add_co_u32 v100, vcc_lo, s4, v100
	v_lshlrev_b64 v[104:105], 4, v[104:105]
	s_delay_alu instid0(VALU_DEP_4)
	v_add_nc_u32_e32 v120, s3, v118
	v_ashrrev_i32_e32 v109, 31, v108
	v_add_co_ci_u32_e32 v101, vcc_lo, s5, v101, vcc_lo
	v_add_co_u32 v102, vcc_lo, s4, v102
	v_lshlrev_b64 v[106:107], 4, v[106:107]
	v_ashrrev_i32_e32 v111, 31, v110
	v_add_co_ci_u32_e32 v103, vcc_lo, s5, v103, vcc_lo
	v_add_nc_u32_e32 v122, s3, v120
	v_add_co_u32 v104, vcc_lo, s4, v104
	v_lshlrev_b64 v[108:109], 4, v[108:109]
	v_ashrrev_i32_e32 v113, 31, v112
	v_add_co_ci_u32_e32 v105, vcc_lo, s5, v105, vcc_lo
	v_add_co_u32 v106, vcc_lo, s4, v106
	v_lshlrev_b64 v[110:111], 4, v[110:111]
	v_ashrrev_i32_e32 v115, 31, v114
	v_add_nc_u32_e32 v124, s3, v122
	v_add_co_ci_u32_e32 v107, vcc_lo, s5, v107, vcc_lo
	v_add_co_u32 v108, vcc_lo, s4, v108
	v_lshlrev_b64 v[112:113], 4, v[112:113]
	v_ashrrev_i32_e32 v117, 31, v116
	v_add_co_ci_u32_e32 v109, vcc_lo, s5, v109, vcc_lo
	v_add_co_u32 v110, vcc_lo, s4, v110
	v_lshlrev_b64 v[114:115], 4, v[114:115]
	v_add_nc_u32_e32 v126, s3, v124
	v_ashrrev_i32_e32 v119, 31, v118
	v_add_co_ci_u32_e32 v111, vcc_lo, s5, v111, vcc_lo
	v_add_co_u32 v112, vcc_lo, s4, v112
	v_lshlrev_b64 v[116:117], 4, v[116:117]
	v_ashrrev_i32_e32 v121, 31, v120
	v_add_co_ci_u32_e32 v113, vcc_lo, s5, v113, vcc_lo
	v_add_nc_u32_e32 v128, s3, v126
	v_add_co_u32 v114, vcc_lo, s4, v114
	v_lshlrev_b64 v[118:119], 4, v[118:119]
	v_ashrrev_i32_e32 v123, 31, v122
	v_add_co_ci_u32_e32 v115, vcc_lo, s5, v115, vcc_lo
	v_add_co_u32 v116, vcc_lo, s4, v116
	v_lshlrev_b64 v[120:121], 4, v[120:121]
	v_ashrrev_i32_e32 v125, 31, v124
	v_add_nc_u32_e32 v130, s3, v128
	v_add_co_ci_u32_e32 v117, vcc_lo, s5, v117, vcc_lo
	v_add_co_u32 v118, vcc_lo, s4, v118
	v_lshlrev_b64 v[122:123], 4, v[122:123]
	v_ashrrev_i32_e32 v127, 31, v126
	v_add_co_ci_u32_e32 v119, vcc_lo, s5, v119, vcc_lo
	v_add_co_u32 v120, vcc_lo, s4, v120
	v_lshlrev_b64 v[124:125], 4, v[124:125]
	v_add_nc_u32_e32 v132, s3, v130
	v_ashrrev_i32_e32 v129, 31, v128
	v_add_co_ci_u32_e32 v121, vcc_lo, s5, v121, vcc_lo
	v_add_co_u32 v122, vcc_lo, s4, v122
	v_lshlrev_b64 v[126:127], 4, v[126:127]
	v_ashrrev_i32_e32 v131, 31, v130
	v_add_co_ci_u32_e32 v123, vcc_lo, s5, v123, vcc_lo
	v_add_nc_u32_e32 v134, s3, v132
	v_add_co_u32 v124, vcc_lo, s4, v124
	v_lshlrev_b64 v[128:129], 4, v[128:129]
	v_ashrrev_i32_e32 v133, 31, v132
	v_add_co_ci_u32_e32 v125, vcc_lo, s5, v125, vcc_lo
	v_add_co_u32 v126, vcc_lo, s4, v126
	v_lshlrev_b64 v[130:131], 4, v[130:131]
	v_ashrrev_i32_e32 v135, 31, v134
	v_add_co_ci_u32_e32 v127, vcc_lo, s5, v127, vcc_lo
	v_add_co_u32 v128, vcc_lo, s4, v128
	v_lshlrev_b64 v[132:133], 4, v[132:133]
	v_add_co_ci_u32_e32 v129, vcc_lo, s5, v129, vcc_lo
	v_add_co_u32 v130, vcc_lo, s4, v130
	v_lshlrev_b64 v[134:135], 4, v[134:135]
	v_add_co_ci_u32_e32 v131, vcc_lo, s5, v131, vcc_lo
	v_add_co_u32 v132, vcc_lo, s4, v132
	v_add_co_ci_u32_e32 v133, vcc_lo, s5, v133, vcc_lo
	s_delay_alu instid0(VALU_DEP_4)
	v_add_co_u32 v134, vcc_lo, s4, v134
	s_clause 0xd
	global_load_b128 v[153:156], v[76:77], off
	global_load_b128 v[157:160], v[78:79], off
	;; [unrolled: 1-line block ×14, first 2 shown]
	v_add_co_ci_u32_e32 v135, vcc_lo, s5, v135, vcc_lo
	s_movk_i32 s3, 0x60
	s_movk_i32 s4, 0x70
	;; [unrolled: 1-line block ×19, first 2 shown]
	v_add_nc_u32_e64 v180, 0, 16
	v_add_nc_u32_e64 v179, 0, 32
	;; [unrolled: 1-line block ×12, first 2 shown]
	s_bitcmp0_b32 s15, 0
	s_mov_b32 s3, -1
	s_waitcnt vmcnt(28)
	scratch_store_b128 off, v[1:4], off
	s_clause 0x1
	global_load_b128 v[1:4], v[104:105], off
	global_load_b128 v[221:224], v[106:107], off
	s_waitcnt vmcnt(29)
	scratch_store_b128 off, v[5:8], off offset:16
	s_waitcnt vmcnt(28)
	scratch_store_b128 off, v[9:12], off offset:32
	s_clause 0x1
	global_load_b128 v[5:8], v[108:109], off
	global_load_b128 v[9:12], v[110:111], off
	s_waitcnt vmcnt(29)
	scratch_store_b128 off, v[14:17], off offset:48
	s_waitcnt vmcnt(28)
	scratch_store_b128 off, v[18:21], off offset:64
	;; [unrolled: 7-line block ×5, first 2 shown]
	s_clause 0x5
	global_load_b128 v[38:41], v[124:125], off
	global_load_b128 v[42:45], v[126:127], off
	;; [unrolled: 1-line block ×6, first 2 shown]
	s_waitcnt vmcnt(33)
	scratch_store_b128 off, v[137:140], off offset:176
	v_add_nc_u32_e64 v140, s37, 0
	v_add_nc_u32_e64 v138, s38, 0
	;; [unrolled: 1-line block ×4, first 2 shown]
	s_waitcnt vmcnt(32)
	scratch_store_b128 off, v[141:144], off offset:192
	s_waitcnt vmcnt(31)
	scratch_store_b128 off, v[145:148], off offset:208
	;; [unrolled: 2-line block ×3, first 2 shown]
	v_add_nc_u32_e64 v151, s30, 0
	v_add_nc_u32_e64 v150, s31, 0
	;; [unrolled: 1-line block ×12, first 2 shown]
	s_waitcnt vmcnt(29)
	scratch_store_b128 off, v[153:156], off offset:240
	s_waitcnt vmcnt(28)
	scratch_store_b128 off, v[157:160], off offset:256
	;; [unrolled: 2-line block ×4, first 2 shown]
	v_add_nc_u32_e64 v168, s18, 0
	v_add_nc_u32_e64 v167, s19, 0
	;; [unrolled: 1-line block ×16, first 2 shown]
	s_waitcnt vmcnt(25)
	scratch_store_b128 off, v[181:184], off offset:304
	s_waitcnt vmcnt(24)
	scratch_store_b128 off, v[185:188], off offset:320
	;; [unrolled: 2-line block ×26, first 2 shown]
	s_cbranch_scc1 .LBB108_192
; %bb.4:
	v_cmp_eq_u32_e64 s2, 0, v136
	s_delay_alu instid0(VALU_DEP_1)
	s_and_saveexec_b32 s3, s2
	s_cbranch_execz .LBB108_6
; %bb.5:
	v_mov_b32_e32 v1, 0
	ds_store_b32 v1, v1 offset:1440
.LBB108_6:
	s_or_b32 exec_lo, exec_lo, s3
	s_waitcnt lgkmcnt(0)
	s_waitcnt_vscnt null, 0x0
	s_barrier
	buffer_gl0_inv
	scratch_load_b128 v[1:4], v13, off
	s_waitcnt vmcnt(0)
	v_cmp_eq_f64_e32 vcc_lo, 0, v[1:2]
	v_cmp_eq_f64_e64 s3, 0, v[3:4]
	s_delay_alu instid0(VALU_DEP_1) | instskip(NEXT) | instid1(SALU_CYCLE_1)
	s_and_b32 s3, vcc_lo, s3
	s_and_saveexec_b32 s4, s3
	s_cbranch_execz .LBB108_10
; %bb.7:
	v_mov_b32_e32 v1, 0
	s_mov_b32 s5, 0
	ds_load_b32 v2, v1 offset:1440
	s_waitcnt lgkmcnt(0)
	v_readfirstlane_b32 s3, v2
	v_add_nc_u32_e32 v2, 1, v136
	s_delay_alu instid0(VALU_DEP_2) | instskip(NEXT) | instid1(VALU_DEP_1)
	s_cmp_eq_u32 s3, 0
	v_cmp_gt_i32_e32 vcc_lo, s3, v2
	s_cselect_b32 s12, -1, 0
	s_delay_alu instid0(SALU_CYCLE_1) | instskip(NEXT) | instid1(SALU_CYCLE_1)
	s_or_b32 s12, s12, vcc_lo
	s_and_b32 exec_lo, exec_lo, s12
	s_cbranch_execz .LBB108_10
; %bb.8:
	v_mov_b32_e32 v3, s3
.LBB108_9:                              ; =>This Inner Loop Header: Depth=1
	ds_cmpstore_rtn_b32 v3, v1, v2, v3 offset:1440
	s_waitcnt lgkmcnt(0)
	v_cmp_ne_u32_e32 vcc_lo, 0, v3
	v_cmp_le_i32_e64 s3, v3, v2
	s_delay_alu instid0(VALU_DEP_1) | instskip(NEXT) | instid1(SALU_CYCLE_1)
	s_and_b32 s3, vcc_lo, s3
	s_and_b32 s3, exec_lo, s3
	s_delay_alu instid0(SALU_CYCLE_1) | instskip(NEXT) | instid1(SALU_CYCLE_1)
	s_or_b32 s5, s3, s5
	s_and_not1_b32 exec_lo, exec_lo, s5
	s_cbranch_execnz .LBB108_9
.LBB108_10:
	s_or_b32 exec_lo, exec_lo, s4
	v_mov_b32_e32 v1, 0
	s_barrier
	buffer_gl0_inv
	ds_load_b32 v2, v1 offset:1440
	s_and_saveexec_b32 s3, s2
	s_cbranch_execz .LBB108_12
; %bb.11:
	s_lshl_b64 s[4:5], s[10:11], 2
	s_delay_alu instid0(SALU_CYCLE_1)
	s_add_u32 s4, s6, s4
	s_addc_u32 s5, s7, s5
	s_waitcnt lgkmcnt(0)
	global_store_b32 v1, v2, s[4:5]
.LBB108_12:
	s_or_b32 exec_lo, exec_lo, s3
	s_waitcnt lgkmcnt(0)
	v_cmp_ne_u32_e32 vcc_lo, 0, v2
	s_mov_b32 s3, 0
	s_cbranch_vccnz .LBB108_192
; %bb.13:
	v_add_nc_u32_e32 v14, 0, v13
                                        ; implicit-def: $vgpr9_vgpr10
	scratch_load_b128 v[1:4], v14, off
	s_waitcnt vmcnt(0)
	v_mov_b32_e32 v5, v1
	v_cmp_gt_f64_e32 vcc_lo, 0, v[1:2]
	v_xor_b32_e32 v6, 0x80000000, v2
	v_xor_b32_e32 v7, 0x80000000, v4
	s_delay_alu instid0(VALU_DEP_2) | instskip(SKIP_1) | instid1(VALU_DEP_3)
	v_cndmask_b32_e32 v6, v2, v6, vcc_lo
	v_cmp_gt_f64_e32 vcc_lo, 0, v[3:4]
	v_dual_cndmask_b32 v8, v4, v7 :: v_dual_mov_b32 v7, v3
	s_delay_alu instid0(VALU_DEP_1) | instskip(SKIP_1) | instid1(SALU_CYCLE_1)
	v_cmp_ngt_f64_e32 vcc_lo, v[5:6], v[7:8]
                                        ; implicit-def: $vgpr5_vgpr6
	s_and_saveexec_b32 s3, vcc_lo
	s_xor_b32 s3, exec_lo, s3
	s_cbranch_execz .LBB108_15
; %bb.14:
	v_div_scale_f64 v[5:6], null, v[3:4], v[3:4], v[1:2]
	v_div_scale_f64 v[11:12], vcc_lo, v[1:2], v[3:4], v[1:2]
	s_delay_alu instid0(VALU_DEP_2) | instskip(SKIP_2) | instid1(VALU_DEP_1)
	v_rcp_f64_e32 v[7:8], v[5:6]
	s_waitcnt_depctr 0xfff
	v_fma_f64 v[9:10], -v[5:6], v[7:8], 1.0
	v_fma_f64 v[7:8], v[7:8], v[9:10], v[7:8]
	s_delay_alu instid0(VALU_DEP_1) | instskip(NEXT) | instid1(VALU_DEP_1)
	v_fma_f64 v[9:10], -v[5:6], v[7:8], 1.0
	v_fma_f64 v[7:8], v[7:8], v[9:10], v[7:8]
	s_delay_alu instid0(VALU_DEP_1) | instskip(NEXT) | instid1(VALU_DEP_1)
	v_mul_f64 v[9:10], v[11:12], v[7:8]
	v_fma_f64 v[5:6], -v[5:6], v[9:10], v[11:12]
	s_delay_alu instid0(VALU_DEP_1) | instskip(NEXT) | instid1(VALU_DEP_1)
	v_div_fmas_f64 v[5:6], v[5:6], v[7:8], v[9:10]
	v_div_fixup_f64 v[5:6], v[5:6], v[3:4], v[1:2]
	s_delay_alu instid0(VALU_DEP_1) | instskip(NEXT) | instid1(VALU_DEP_1)
	v_fma_f64 v[1:2], v[1:2], v[5:6], v[3:4]
	v_div_scale_f64 v[3:4], null, v[1:2], v[1:2], 1.0
	v_div_scale_f64 v[11:12], vcc_lo, 1.0, v[1:2], 1.0
	s_delay_alu instid0(VALU_DEP_2) | instskip(SKIP_2) | instid1(VALU_DEP_1)
	v_rcp_f64_e32 v[7:8], v[3:4]
	s_waitcnt_depctr 0xfff
	v_fma_f64 v[9:10], -v[3:4], v[7:8], 1.0
	v_fma_f64 v[7:8], v[7:8], v[9:10], v[7:8]
	s_delay_alu instid0(VALU_DEP_1) | instskip(NEXT) | instid1(VALU_DEP_1)
	v_fma_f64 v[9:10], -v[3:4], v[7:8], 1.0
	v_fma_f64 v[7:8], v[7:8], v[9:10], v[7:8]
	s_delay_alu instid0(VALU_DEP_1) | instskip(NEXT) | instid1(VALU_DEP_1)
	v_mul_f64 v[9:10], v[11:12], v[7:8]
	v_fma_f64 v[3:4], -v[3:4], v[9:10], v[11:12]
	s_delay_alu instid0(VALU_DEP_1) | instskip(NEXT) | instid1(VALU_DEP_1)
	v_div_fmas_f64 v[3:4], v[3:4], v[7:8], v[9:10]
	v_div_fixup_f64 v[7:8], v[3:4], v[1:2], 1.0
                                        ; implicit-def: $vgpr1_vgpr2
	s_delay_alu instid0(VALU_DEP_1) | instskip(SKIP_1) | instid1(VALU_DEP_2)
	v_mul_f64 v[5:6], v[5:6], v[7:8]
	v_xor_b32_e32 v8, 0x80000000, v8
	v_xor_b32_e32 v10, 0x80000000, v6
	s_delay_alu instid0(VALU_DEP_3)
	v_mov_b32_e32 v9, v5
.LBB108_15:
	s_and_not1_saveexec_b32 s3, s3
	s_cbranch_execz .LBB108_17
; %bb.16:
	v_div_scale_f64 v[5:6], null, v[1:2], v[1:2], v[3:4]
	v_div_scale_f64 v[11:12], vcc_lo, v[3:4], v[1:2], v[3:4]
	s_delay_alu instid0(VALU_DEP_2) | instskip(SKIP_2) | instid1(VALU_DEP_1)
	v_rcp_f64_e32 v[7:8], v[5:6]
	s_waitcnt_depctr 0xfff
	v_fma_f64 v[9:10], -v[5:6], v[7:8], 1.0
	v_fma_f64 v[7:8], v[7:8], v[9:10], v[7:8]
	s_delay_alu instid0(VALU_DEP_1) | instskip(NEXT) | instid1(VALU_DEP_1)
	v_fma_f64 v[9:10], -v[5:6], v[7:8], 1.0
	v_fma_f64 v[7:8], v[7:8], v[9:10], v[7:8]
	s_delay_alu instid0(VALU_DEP_1) | instskip(NEXT) | instid1(VALU_DEP_1)
	v_mul_f64 v[9:10], v[11:12], v[7:8]
	v_fma_f64 v[5:6], -v[5:6], v[9:10], v[11:12]
	s_delay_alu instid0(VALU_DEP_1) | instskip(NEXT) | instid1(VALU_DEP_1)
	v_div_fmas_f64 v[5:6], v[5:6], v[7:8], v[9:10]
	v_div_fixup_f64 v[7:8], v[5:6], v[1:2], v[3:4]
	s_delay_alu instid0(VALU_DEP_1) | instskip(NEXT) | instid1(VALU_DEP_1)
	v_fma_f64 v[1:2], v[3:4], v[7:8], v[1:2]
	v_div_scale_f64 v[3:4], null, v[1:2], v[1:2], 1.0
	s_delay_alu instid0(VALU_DEP_1) | instskip(SKIP_2) | instid1(VALU_DEP_1)
	v_rcp_f64_e32 v[5:6], v[3:4]
	s_waitcnt_depctr 0xfff
	v_fma_f64 v[9:10], -v[3:4], v[5:6], 1.0
	v_fma_f64 v[5:6], v[5:6], v[9:10], v[5:6]
	s_delay_alu instid0(VALU_DEP_1) | instskip(NEXT) | instid1(VALU_DEP_1)
	v_fma_f64 v[9:10], -v[3:4], v[5:6], 1.0
	v_fma_f64 v[5:6], v[5:6], v[9:10], v[5:6]
	v_div_scale_f64 v[9:10], vcc_lo, 1.0, v[1:2], 1.0
	s_delay_alu instid0(VALU_DEP_1) | instskip(NEXT) | instid1(VALU_DEP_1)
	v_mul_f64 v[11:12], v[9:10], v[5:6]
	v_fma_f64 v[3:4], -v[3:4], v[11:12], v[9:10]
	s_delay_alu instid0(VALU_DEP_1) | instskip(NEXT) | instid1(VALU_DEP_1)
	v_div_fmas_f64 v[3:4], v[3:4], v[5:6], v[11:12]
	v_div_fixup_f64 v[5:6], v[3:4], v[1:2], 1.0
	s_delay_alu instid0(VALU_DEP_1)
	v_mul_f64 v[7:8], v[7:8], -v[5:6]
	v_xor_b32_e32 v10, 0x80000000, v6
	v_mov_b32_e32 v9, v5
.LBB108_17:
	s_or_b32 exec_lo, exec_lo, s3
	scratch_store_b128 v14, v[5:8], off
	scratch_load_b128 v[1:4], v180, off
	v_xor_b32_e32 v12, 0x80000000, v8
	v_mov_b32_e32 v11, v7
	v_add_nc_u32_e32 v5, 0x2d0, v13
	ds_store_b128 v13, v[9:12]
	s_waitcnt vmcnt(0)
	ds_store_b128 v13, v[1:4] offset:720
	s_waitcnt lgkmcnt(0)
	s_waitcnt_vscnt null, 0x0
	s_barrier
	buffer_gl0_inv
	s_and_saveexec_b32 s3, s2
	s_cbranch_execz .LBB108_19
; %bb.18:
	scratch_load_b128 v[1:4], v14, off
	ds_load_b128 v[6:9], v5
	v_mov_b32_e32 v10, 0
	ds_load_b128 v[15:18], v10 offset:16
	s_waitcnt vmcnt(0) lgkmcnt(1)
	v_mul_f64 v[10:11], v[6:7], v[3:4]
	v_mul_f64 v[3:4], v[8:9], v[3:4]
	s_delay_alu instid0(VALU_DEP_2) | instskip(NEXT) | instid1(VALU_DEP_2)
	v_fma_f64 v[8:9], v[8:9], v[1:2], v[10:11]
	v_fma_f64 v[1:2], v[6:7], v[1:2], -v[3:4]
	s_delay_alu instid0(VALU_DEP_2) | instskip(NEXT) | instid1(VALU_DEP_2)
	v_add_f64 v[3:4], v[8:9], 0
	v_add_f64 v[1:2], v[1:2], 0
	s_waitcnt lgkmcnt(0)
	s_delay_alu instid0(VALU_DEP_2) | instskip(NEXT) | instid1(VALU_DEP_2)
	v_mul_f64 v[6:7], v[3:4], v[17:18]
	v_mul_f64 v[8:9], v[1:2], v[17:18]
	s_delay_alu instid0(VALU_DEP_2) | instskip(NEXT) | instid1(VALU_DEP_2)
	v_fma_f64 v[1:2], v[1:2], v[15:16], -v[6:7]
	v_fma_f64 v[3:4], v[3:4], v[15:16], v[8:9]
	scratch_store_b128 off, v[1:4], off offset:16
.LBB108_19:
	s_or_b32 exec_lo, exec_lo, s3
	s_waitcnt_vscnt null, 0x0
	s_barrier
	buffer_gl0_inv
	scratch_load_b128 v[1:4], v179, off
	s_mov_b32 s3, exec_lo
	s_waitcnt vmcnt(0)
	ds_store_b128 v5, v[1:4]
	s_waitcnt lgkmcnt(0)
	s_barrier
	buffer_gl0_inv
	v_cmpx_gt_u32_e32 2, v136
	s_cbranch_execz .LBB108_23
; %bb.20:
	scratch_load_b128 v[1:4], v14, off
	ds_load_b128 v[6:9], v5
	s_waitcnt vmcnt(0) lgkmcnt(0)
	v_mul_f64 v[10:11], v[8:9], v[3:4]
	v_mul_f64 v[3:4], v[6:7], v[3:4]
	s_delay_alu instid0(VALU_DEP_2) | instskip(NEXT) | instid1(VALU_DEP_2)
	v_fma_f64 v[6:7], v[6:7], v[1:2], -v[10:11]
	v_fma_f64 v[3:4], v[8:9], v[1:2], v[3:4]
	s_delay_alu instid0(VALU_DEP_2) | instskip(NEXT) | instid1(VALU_DEP_2)
	v_add_f64 v[1:2], v[6:7], 0
	v_add_f64 v[3:4], v[3:4], 0
	s_and_saveexec_b32 s4, s2
	s_cbranch_execz .LBB108_22
; %bb.21:
	scratch_load_b128 v[6:9], off, off offset:16
	v_mov_b32_e32 v10, 0
	ds_load_b128 v[15:18], v10 offset:736
	s_waitcnt vmcnt(0) lgkmcnt(0)
	v_mul_f64 v[10:11], v[15:16], v[8:9]
	v_mul_f64 v[8:9], v[17:18], v[8:9]
	s_delay_alu instid0(VALU_DEP_2) | instskip(NEXT) | instid1(VALU_DEP_2)
	v_fma_f64 v[10:11], v[17:18], v[6:7], v[10:11]
	v_fma_f64 v[6:7], v[15:16], v[6:7], -v[8:9]
	s_delay_alu instid0(VALU_DEP_2) | instskip(NEXT) | instid1(VALU_DEP_2)
	v_add_f64 v[3:4], v[3:4], v[10:11]
	v_add_f64 v[1:2], v[1:2], v[6:7]
.LBB108_22:
	s_or_b32 exec_lo, exec_lo, s4
	v_mov_b32_e32 v6, 0
	ds_load_b128 v[6:9], v6 offset:32
	s_waitcnt lgkmcnt(0)
	v_mul_f64 v[10:11], v[3:4], v[8:9]
	v_mul_f64 v[8:9], v[1:2], v[8:9]
	s_delay_alu instid0(VALU_DEP_2) | instskip(NEXT) | instid1(VALU_DEP_2)
	v_fma_f64 v[1:2], v[1:2], v[6:7], -v[10:11]
	v_fma_f64 v[3:4], v[3:4], v[6:7], v[8:9]
	scratch_store_b128 off, v[1:4], off offset:32
.LBB108_23:
	s_or_b32 exec_lo, exec_lo, s3
	s_waitcnt_vscnt null, 0x0
	s_barrier
	buffer_gl0_inv
	scratch_load_b128 v[1:4], v178, off
	v_add_nc_u32_e32 v6, -1, v136
	s_mov_b32 s2, exec_lo
	s_waitcnt vmcnt(0)
	ds_store_b128 v5, v[1:4]
	s_waitcnt lgkmcnt(0)
	s_barrier
	buffer_gl0_inv
	v_cmpx_gt_u32_e32 3, v136
	s_cbranch_execz .LBB108_27
; %bb.24:
	v_dual_mov_b32 v1, 0 :: v_dual_add_nc_u32 v8, 0x2d0, v13
	v_dual_mov_b32 v2, 0 :: v_dual_add_nc_u32 v7, -1, v136
	v_or_b32_e32 v9, 8, v14
	s_mov_b32 s3, 0
	s_delay_alu instid0(VALU_DEP_2)
	v_dual_mov_b32 v4, v2 :: v_dual_mov_b32 v3, v1
	.p2align	6
.LBB108_25:                             ; =>This Inner Loop Header: Depth=1
	scratch_load_b128 v[15:18], v9, off offset:-8
	ds_load_b128 v[19:22], v8
	v_add_nc_u32_e32 v7, 1, v7
	v_add_nc_u32_e32 v8, 16, v8
	;; [unrolled: 1-line block ×3, first 2 shown]
	s_delay_alu instid0(VALU_DEP_3) | instskip(SKIP_4) | instid1(VALU_DEP_2)
	v_cmp_lt_u32_e32 vcc_lo, 1, v7
	s_or_b32 s3, vcc_lo, s3
	s_waitcnt vmcnt(0) lgkmcnt(0)
	v_mul_f64 v[10:11], v[21:22], v[17:18]
	v_mul_f64 v[17:18], v[19:20], v[17:18]
	v_fma_f64 v[10:11], v[19:20], v[15:16], -v[10:11]
	s_delay_alu instid0(VALU_DEP_2) | instskip(NEXT) | instid1(VALU_DEP_2)
	v_fma_f64 v[15:16], v[21:22], v[15:16], v[17:18]
	v_add_f64 v[3:4], v[3:4], v[10:11]
	s_delay_alu instid0(VALU_DEP_2)
	v_add_f64 v[1:2], v[1:2], v[15:16]
	s_and_not1_b32 exec_lo, exec_lo, s3
	s_cbranch_execnz .LBB108_25
; %bb.26:
	s_or_b32 exec_lo, exec_lo, s3
	v_mov_b32_e32 v7, 0
	ds_load_b128 v[7:10], v7 offset:48
	s_waitcnt lgkmcnt(0)
	v_mul_f64 v[11:12], v[1:2], v[9:10]
	v_mul_f64 v[15:16], v[3:4], v[9:10]
	s_delay_alu instid0(VALU_DEP_2) | instskip(NEXT) | instid1(VALU_DEP_2)
	v_fma_f64 v[9:10], v[3:4], v[7:8], -v[11:12]
	v_fma_f64 v[11:12], v[1:2], v[7:8], v[15:16]
	scratch_store_b128 off, v[9:12], off offset:48
.LBB108_27:
	s_or_b32 exec_lo, exec_lo, s2
	s_waitcnt_vscnt null, 0x0
	s_barrier
	buffer_gl0_inv
	scratch_load_b128 v[1:4], v177, off
	s_mov_b32 s2, exec_lo
	s_waitcnt vmcnt(0)
	ds_store_b128 v5, v[1:4]
	s_waitcnt lgkmcnt(0)
	s_barrier
	buffer_gl0_inv
	v_cmpx_gt_u32_e32 4, v136
	s_cbranch_execz .LBB108_31
; %bb.28:
	v_dual_mov_b32 v1, 0 :: v_dual_add_nc_u32 v8, 0x2d0, v13
	v_dual_mov_b32 v2, 0 :: v_dual_add_nc_u32 v7, -1, v136
	v_or_b32_e32 v9, 8, v14
	s_mov_b32 s3, 0
	s_delay_alu instid0(VALU_DEP_2)
	v_dual_mov_b32 v4, v2 :: v_dual_mov_b32 v3, v1
	.p2align	6
.LBB108_29:                             ; =>This Inner Loop Header: Depth=1
	scratch_load_b128 v[15:18], v9, off offset:-8
	ds_load_b128 v[19:22], v8
	v_add_nc_u32_e32 v7, 1, v7
	v_add_nc_u32_e32 v8, 16, v8
	;; [unrolled: 1-line block ×3, first 2 shown]
	s_delay_alu instid0(VALU_DEP_3) | instskip(SKIP_4) | instid1(VALU_DEP_2)
	v_cmp_lt_u32_e32 vcc_lo, 2, v7
	s_or_b32 s3, vcc_lo, s3
	s_waitcnt vmcnt(0) lgkmcnt(0)
	v_mul_f64 v[10:11], v[21:22], v[17:18]
	v_mul_f64 v[17:18], v[19:20], v[17:18]
	v_fma_f64 v[10:11], v[19:20], v[15:16], -v[10:11]
	s_delay_alu instid0(VALU_DEP_2) | instskip(NEXT) | instid1(VALU_DEP_2)
	v_fma_f64 v[15:16], v[21:22], v[15:16], v[17:18]
	v_add_f64 v[3:4], v[3:4], v[10:11]
	s_delay_alu instid0(VALU_DEP_2)
	v_add_f64 v[1:2], v[1:2], v[15:16]
	s_and_not1_b32 exec_lo, exec_lo, s3
	s_cbranch_execnz .LBB108_29
; %bb.30:
	s_or_b32 exec_lo, exec_lo, s3
	v_mov_b32_e32 v7, 0
	ds_load_b128 v[7:10], v7 offset:64
	s_waitcnt lgkmcnt(0)
	v_mul_f64 v[11:12], v[1:2], v[9:10]
	v_mul_f64 v[15:16], v[3:4], v[9:10]
	s_delay_alu instid0(VALU_DEP_2) | instskip(NEXT) | instid1(VALU_DEP_2)
	v_fma_f64 v[9:10], v[3:4], v[7:8], -v[11:12]
	v_fma_f64 v[11:12], v[1:2], v[7:8], v[15:16]
	scratch_store_b128 off, v[9:12], off offset:64
.LBB108_31:
	s_or_b32 exec_lo, exec_lo, s2
	s_waitcnt_vscnt null, 0x0
	s_barrier
	buffer_gl0_inv
	scratch_load_b128 v[1:4], v176, off
	s_mov_b32 s2, exec_lo
	s_waitcnt vmcnt(0)
	ds_store_b128 v5, v[1:4]
	s_waitcnt lgkmcnt(0)
	s_barrier
	buffer_gl0_inv
	v_cmpx_gt_u32_e32 5, v136
	s_cbranch_execz .LBB108_35
; %bb.32:
	v_dual_mov_b32 v1, 0 :: v_dual_add_nc_u32 v8, 0x2d0, v13
	v_dual_mov_b32 v2, 0 :: v_dual_add_nc_u32 v7, -1, v136
	v_or_b32_e32 v9, 8, v14
	s_mov_b32 s3, 0
	s_delay_alu instid0(VALU_DEP_2)
	v_dual_mov_b32 v4, v2 :: v_dual_mov_b32 v3, v1
	.p2align	6
.LBB108_33:                             ; =>This Inner Loop Header: Depth=1
	scratch_load_b128 v[15:18], v9, off offset:-8
	ds_load_b128 v[19:22], v8
	v_add_nc_u32_e32 v7, 1, v7
	v_add_nc_u32_e32 v8, 16, v8
	;; [unrolled: 1-line block ×3, first 2 shown]
	s_delay_alu instid0(VALU_DEP_3) | instskip(SKIP_4) | instid1(VALU_DEP_2)
	v_cmp_lt_u32_e32 vcc_lo, 3, v7
	s_or_b32 s3, vcc_lo, s3
	s_waitcnt vmcnt(0) lgkmcnt(0)
	v_mul_f64 v[10:11], v[21:22], v[17:18]
	v_mul_f64 v[17:18], v[19:20], v[17:18]
	v_fma_f64 v[10:11], v[19:20], v[15:16], -v[10:11]
	s_delay_alu instid0(VALU_DEP_2) | instskip(NEXT) | instid1(VALU_DEP_2)
	v_fma_f64 v[15:16], v[21:22], v[15:16], v[17:18]
	v_add_f64 v[3:4], v[3:4], v[10:11]
	s_delay_alu instid0(VALU_DEP_2)
	v_add_f64 v[1:2], v[1:2], v[15:16]
	s_and_not1_b32 exec_lo, exec_lo, s3
	s_cbranch_execnz .LBB108_33
; %bb.34:
	s_or_b32 exec_lo, exec_lo, s3
	v_mov_b32_e32 v7, 0
	ds_load_b128 v[7:10], v7 offset:80
	s_waitcnt lgkmcnt(0)
	v_mul_f64 v[11:12], v[1:2], v[9:10]
	v_mul_f64 v[15:16], v[3:4], v[9:10]
	s_delay_alu instid0(VALU_DEP_2) | instskip(NEXT) | instid1(VALU_DEP_2)
	v_fma_f64 v[9:10], v[3:4], v[7:8], -v[11:12]
	v_fma_f64 v[11:12], v[1:2], v[7:8], v[15:16]
	scratch_store_b128 off, v[9:12], off offset:80
.LBB108_35:
	s_or_b32 exec_lo, exec_lo, s2
	s_waitcnt_vscnt null, 0x0
	s_barrier
	buffer_gl0_inv
	scratch_load_b128 v[1:4], v175, off
	s_mov_b32 s2, exec_lo
	s_waitcnt vmcnt(0)
	ds_store_b128 v5, v[1:4]
	s_waitcnt lgkmcnt(0)
	s_barrier
	buffer_gl0_inv
	v_cmpx_gt_u32_e32 6, v136
	s_cbranch_execz .LBB108_39
; %bb.36:
	v_dual_mov_b32 v1, 0 :: v_dual_add_nc_u32 v8, 0x2d0, v13
	v_dual_mov_b32 v2, 0 :: v_dual_add_nc_u32 v7, -1, v136
	v_or_b32_e32 v9, 8, v14
	s_mov_b32 s3, 0
	s_delay_alu instid0(VALU_DEP_2)
	v_dual_mov_b32 v4, v2 :: v_dual_mov_b32 v3, v1
	.p2align	6
.LBB108_37:                             ; =>This Inner Loop Header: Depth=1
	scratch_load_b128 v[15:18], v9, off offset:-8
	ds_load_b128 v[19:22], v8
	v_add_nc_u32_e32 v7, 1, v7
	v_add_nc_u32_e32 v8, 16, v8
	;; [unrolled: 1-line block ×3, first 2 shown]
	s_delay_alu instid0(VALU_DEP_3) | instskip(SKIP_4) | instid1(VALU_DEP_2)
	v_cmp_lt_u32_e32 vcc_lo, 4, v7
	s_or_b32 s3, vcc_lo, s3
	s_waitcnt vmcnt(0) lgkmcnt(0)
	v_mul_f64 v[10:11], v[21:22], v[17:18]
	v_mul_f64 v[17:18], v[19:20], v[17:18]
	v_fma_f64 v[10:11], v[19:20], v[15:16], -v[10:11]
	s_delay_alu instid0(VALU_DEP_2) | instskip(NEXT) | instid1(VALU_DEP_2)
	v_fma_f64 v[15:16], v[21:22], v[15:16], v[17:18]
	v_add_f64 v[3:4], v[3:4], v[10:11]
	s_delay_alu instid0(VALU_DEP_2)
	v_add_f64 v[1:2], v[1:2], v[15:16]
	s_and_not1_b32 exec_lo, exec_lo, s3
	s_cbranch_execnz .LBB108_37
; %bb.38:
	s_or_b32 exec_lo, exec_lo, s3
	v_mov_b32_e32 v7, 0
	ds_load_b128 v[7:10], v7 offset:96
	s_waitcnt lgkmcnt(0)
	v_mul_f64 v[11:12], v[1:2], v[9:10]
	v_mul_f64 v[15:16], v[3:4], v[9:10]
	s_delay_alu instid0(VALU_DEP_2) | instskip(NEXT) | instid1(VALU_DEP_2)
	v_fma_f64 v[9:10], v[3:4], v[7:8], -v[11:12]
	v_fma_f64 v[11:12], v[1:2], v[7:8], v[15:16]
	scratch_store_b128 off, v[9:12], off offset:96
.LBB108_39:
	s_or_b32 exec_lo, exec_lo, s2
	s_waitcnt_vscnt null, 0x0
	s_barrier
	buffer_gl0_inv
	scratch_load_b128 v[1:4], v174, off
	s_mov_b32 s2, exec_lo
	s_waitcnt vmcnt(0)
	ds_store_b128 v5, v[1:4]
	s_waitcnt lgkmcnt(0)
	s_barrier
	buffer_gl0_inv
	v_cmpx_gt_u32_e32 7, v136
	s_cbranch_execz .LBB108_43
; %bb.40:
	v_dual_mov_b32 v1, 0 :: v_dual_add_nc_u32 v8, 0x2d0, v13
	v_dual_mov_b32 v2, 0 :: v_dual_add_nc_u32 v7, -1, v136
	v_or_b32_e32 v9, 8, v14
	s_mov_b32 s3, 0
	s_delay_alu instid0(VALU_DEP_2)
	v_dual_mov_b32 v4, v2 :: v_dual_mov_b32 v3, v1
	.p2align	6
.LBB108_41:                             ; =>This Inner Loop Header: Depth=1
	scratch_load_b128 v[15:18], v9, off offset:-8
	ds_load_b128 v[19:22], v8
	v_add_nc_u32_e32 v7, 1, v7
	v_add_nc_u32_e32 v8, 16, v8
	;; [unrolled: 1-line block ×3, first 2 shown]
	s_delay_alu instid0(VALU_DEP_3) | instskip(SKIP_4) | instid1(VALU_DEP_2)
	v_cmp_lt_u32_e32 vcc_lo, 5, v7
	s_or_b32 s3, vcc_lo, s3
	s_waitcnt vmcnt(0) lgkmcnt(0)
	v_mul_f64 v[10:11], v[21:22], v[17:18]
	v_mul_f64 v[17:18], v[19:20], v[17:18]
	v_fma_f64 v[10:11], v[19:20], v[15:16], -v[10:11]
	s_delay_alu instid0(VALU_DEP_2) | instskip(NEXT) | instid1(VALU_DEP_2)
	v_fma_f64 v[15:16], v[21:22], v[15:16], v[17:18]
	v_add_f64 v[3:4], v[3:4], v[10:11]
	s_delay_alu instid0(VALU_DEP_2)
	v_add_f64 v[1:2], v[1:2], v[15:16]
	s_and_not1_b32 exec_lo, exec_lo, s3
	s_cbranch_execnz .LBB108_41
; %bb.42:
	s_or_b32 exec_lo, exec_lo, s3
	v_mov_b32_e32 v7, 0
	ds_load_b128 v[7:10], v7 offset:112
	s_waitcnt lgkmcnt(0)
	v_mul_f64 v[11:12], v[1:2], v[9:10]
	v_mul_f64 v[15:16], v[3:4], v[9:10]
	s_delay_alu instid0(VALU_DEP_2) | instskip(NEXT) | instid1(VALU_DEP_2)
	v_fma_f64 v[9:10], v[3:4], v[7:8], -v[11:12]
	v_fma_f64 v[11:12], v[1:2], v[7:8], v[15:16]
	scratch_store_b128 off, v[9:12], off offset:112
.LBB108_43:
	s_or_b32 exec_lo, exec_lo, s2
	s_waitcnt_vscnt null, 0x0
	s_barrier
	buffer_gl0_inv
	scratch_load_b128 v[1:4], v173, off
	s_mov_b32 s2, exec_lo
	s_waitcnt vmcnt(0)
	ds_store_b128 v5, v[1:4]
	s_waitcnt lgkmcnt(0)
	s_barrier
	buffer_gl0_inv
	v_cmpx_gt_u32_e32 8, v136
	s_cbranch_execz .LBB108_47
; %bb.44:
	v_dual_mov_b32 v1, 0 :: v_dual_add_nc_u32 v8, 0x2d0, v13
	v_dual_mov_b32 v2, 0 :: v_dual_add_nc_u32 v7, -1, v136
	v_or_b32_e32 v9, 8, v14
	s_mov_b32 s3, 0
	s_delay_alu instid0(VALU_DEP_2)
	v_dual_mov_b32 v4, v2 :: v_dual_mov_b32 v3, v1
	.p2align	6
.LBB108_45:                             ; =>This Inner Loop Header: Depth=1
	scratch_load_b128 v[15:18], v9, off offset:-8
	ds_load_b128 v[19:22], v8
	v_add_nc_u32_e32 v7, 1, v7
	v_add_nc_u32_e32 v8, 16, v8
	;; [unrolled: 1-line block ×3, first 2 shown]
	s_delay_alu instid0(VALU_DEP_3) | instskip(SKIP_4) | instid1(VALU_DEP_2)
	v_cmp_lt_u32_e32 vcc_lo, 6, v7
	s_or_b32 s3, vcc_lo, s3
	s_waitcnt vmcnt(0) lgkmcnt(0)
	v_mul_f64 v[10:11], v[21:22], v[17:18]
	v_mul_f64 v[17:18], v[19:20], v[17:18]
	v_fma_f64 v[10:11], v[19:20], v[15:16], -v[10:11]
	s_delay_alu instid0(VALU_DEP_2) | instskip(NEXT) | instid1(VALU_DEP_2)
	v_fma_f64 v[15:16], v[21:22], v[15:16], v[17:18]
	v_add_f64 v[3:4], v[3:4], v[10:11]
	s_delay_alu instid0(VALU_DEP_2)
	v_add_f64 v[1:2], v[1:2], v[15:16]
	s_and_not1_b32 exec_lo, exec_lo, s3
	s_cbranch_execnz .LBB108_45
; %bb.46:
	s_or_b32 exec_lo, exec_lo, s3
	v_mov_b32_e32 v7, 0
	ds_load_b128 v[7:10], v7 offset:128
	s_waitcnt lgkmcnt(0)
	v_mul_f64 v[11:12], v[1:2], v[9:10]
	v_mul_f64 v[15:16], v[3:4], v[9:10]
	s_delay_alu instid0(VALU_DEP_2) | instskip(NEXT) | instid1(VALU_DEP_2)
	v_fma_f64 v[9:10], v[3:4], v[7:8], -v[11:12]
	v_fma_f64 v[11:12], v[1:2], v[7:8], v[15:16]
	scratch_store_b128 off, v[9:12], off offset:128
.LBB108_47:
	s_or_b32 exec_lo, exec_lo, s2
	s_waitcnt_vscnt null, 0x0
	s_barrier
	buffer_gl0_inv
	scratch_load_b128 v[1:4], v172, off
	s_mov_b32 s2, exec_lo
	s_waitcnt vmcnt(0)
	ds_store_b128 v5, v[1:4]
	s_waitcnt lgkmcnt(0)
	s_barrier
	buffer_gl0_inv
	v_cmpx_gt_u32_e32 9, v136
	s_cbranch_execz .LBB108_51
; %bb.48:
	v_dual_mov_b32 v1, 0 :: v_dual_add_nc_u32 v8, 0x2d0, v13
	v_dual_mov_b32 v2, 0 :: v_dual_add_nc_u32 v7, -1, v136
	v_or_b32_e32 v9, 8, v14
	s_mov_b32 s3, 0
	s_delay_alu instid0(VALU_DEP_2)
	v_dual_mov_b32 v4, v2 :: v_dual_mov_b32 v3, v1
	.p2align	6
.LBB108_49:                             ; =>This Inner Loop Header: Depth=1
	scratch_load_b128 v[15:18], v9, off offset:-8
	ds_load_b128 v[19:22], v8
	v_add_nc_u32_e32 v7, 1, v7
	v_add_nc_u32_e32 v8, 16, v8
	;; [unrolled: 1-line block ×3, first 2 shown]
	s_delay_alu instid0(VALU_DEP_3) | instskip(SKIP_4) | instid1(VALU_DEP_2)
	v_cmp_lt_u32_e32 vcc_lo, 7, v7
	s_or_b32 s3, vcc_lo, s3
	s_waitcnt vmcnt(0) lgkmcnt(0)
	v_mul_f64 v[10:11], v[21:22], v[17:18]
	v_mul_f64 v[17:18], v[19:20], v[17:18]
	v_fma_f64 v[10:11], v[19:20], v[15:16], -v[10:11]
	s_delay_alu instid0(VALU_DEP_2) | instskip(NEXT) | instid1(VALU_DEP_2)
	v_fma_f64 v[15:16], v[21:22], v[15:16], v[17:18]
	v_add_f64 v[3:4], v[3:4], v[10:11]
	s_delay_alu instid0(VALU_DEP_2)
	v_add_f64 v[1:2], v[1:2], v[15:16]
	s_and_not1_b32 exec_lo, exec_lo, s3
	s_cbranch_execnz .LBB108_49
; %bb.50:
	s_or_b32 exec_lo, exec_lo, s3
	v_mov_b32_e32 v7, 0
	ds_load_b128 v[7:10], v7 offset:144
	s_waitcnt lgkmcnt(0)
	v_mul_f64 v[11:12], v[1:2], v[9:10]
	v_mul_f64 v[15:16], v[3:4], v[9:10]
	s_delay_alu instid0(VALU_DEP_2) | instskip(NEXT) | instid1(VALU_DEP_2)
	v_fma_f64 v[9:10], v[3:4], v[7:8], -v[11:12]
	v_fma_f64 v[11:12], v[1:2], v[7:8], v[15:16]
	scratch_store_b128 off, v[9:12], off offset:144
.LBB108_51:
	s_or_b32 exec_lo, exec_lo, s2
	s_waitcnt_vscnt null, 0x0
	s_barrier
	buffer_gl0_inv
	scratch_load_b128 v[1:4], v171, off
	s_mov_b32 s2, exec_lo
	s_waitcnt vmcnt(0)
	ds_store_b128 v5, v[1:4]
	s_waitcnt lgkmcnt(0)
	s_barrier
	buffer_gl0_inv
	v_cmpx_gt_u32_e32 10, v136
	s_cbranch_execz .LBB108_55
; %bb.52:
	v_dual_mov_b32 v1, 0 :: v_dual_add_nc_u32 v8, 0x2d0, v13
	v_dual_mov_b32 v2, 0 :: v_dual_add_nc_u32 v7, -1, v136
	v_or_b32_e32 v9, 8, v14
	s_mov_b32 s3, 0
	s_delay_alu instid0(VALU_DEP_2)
	v_dual_mov_b32 v4, v2 :: v_dual_mov_b32 v3, v1
	.p2align	6
.LBB108_53:                             ; =>This Inner Loop Header: Depth=1
	scratch_load_b128 v[15:18], v9, off offset:-8
	ds_load_b128 v[19:22], v8
	v_add_nc_u32_e32 v7, 1, v7
	v_add_nc_u32_e32 v8, 16, v8
	;; [unrolled: 1-line block ×3, first 2 shown]
	s_delay_alu instid0(VALU_DEP_3) | instskip(SKIP_4) | instid1(VALU_DEP_2)
	v_cmp_lt_u32_e32 vcc_lo, 8, v7
	s_or_b32 s3, vcc_lo, s3
	s_waitcnt vmcnt(0) lgkmcnt(0)
	v_mul_f64 v[10:11], v[21:22], v[17:18]
	v_mul_f64 v[17:18], v[19:20], v[17:18]
	v_fma_f64 v[10:11], v[19:20], v[15:16], -v[10:11]
	s_delay_alu instid0(VALU_DEP_2) | instskip(NEXT) | instid1(VALU_DEP_2)
	v_fma_f64 v[15:16], v[21:22], v[15:16], v[17:18]
	v_add_f64 v[3:4], v[3:4], v[10:11]
	s_delay_alu instid0(VALU_DEP_2)
	v_add_f64 v[1:2], v[1:2], v[15:16]
	s_and_not1_b32 exec_lo, exec_lo, s3
	s_cbranch_execnz .LBB108_53
; %bb.54:
	s_or_b32 exec_lo, exec_lo, s3
	v_mov_b32_e32 v7, 0
	ds_load_b128 v[7:10], v7 offset:160
	s_waitcnt lgkmcnt(0)
	v_mul_f64 v[11:12], v[1:2], v[9:10]
	v_mul_f64 v[15:16], v[3:4], v[9:10]
	s_delay_alu instid0(VALU_DEP_2) | instskip(NEXT) | instid1(VALU_DEP_2)
	v_fma_f64 v[9:10], v[3:4], v[7:8], -v[11:12]
	v_fma_f64 v[11:12], v[1:2], v[7:8], v[15:16]
	scratch_store_b128 off, v[9:12], off offset:160
.LBB108_55:
	s_or_b32 exec_lo, exec_lo, s2
	s_waitcnt_vscnt null, 0x0
	s_barrier
	buffer_gl0_inv
	scratch_load_b128 v[1:4], v170, off
	s_mov_b32 s2, exec_lo
	s_waitcnt vmcnt(0)
	ds_store_b128 v5, v[1:4]
	s_waitcnt lgkmcnt(0)
	s_barrier
	buffer_gl0_inv
	v_cmpx_gt_u32_e32 11, v136
	s_cbranch_execz .LBB108_59
; %bb.56:
	v_dual_mov_b32 v1, 0 :: v_dual_add_nc_u32 v8, 0x2d0, v13
	v_dual_mov_b32 v2, 0 :: v_dual_add_nc_u32 v7, -1, v136
	v_or_b32_e32 v9, 8, v14
	s_mov_b32 s3, 0
	s_delay_alu instid0(VALU_DEP_2)
	v_dual_mov_b32 v4, v2 :: v_dual_mov_b32 v3, v1
	.p2align	6
.LBB108_57:                             ; =>This Inner Loop Header: Depth=1
	scratch_load_b128 v[15:18], v9, off offset:-8
	ds_load_b128 v[19:22], v8
	v_add_nc_u32_e32 v7, 1, v7
	v_add_nc_u32_e32 v8, 16, v8
	;; [unrolled: 1-line block ×3, first 2 shown]
	s_delay_alu instid0(VALU_DEP_3) | instskip(SKIP_4) | instid1(VALU_DEP_2)
	v_cmp_lt_u32_e32 vcc_lo, 9, v7
	s_or_b32 s3, vcc_lo, s3
	s_waitcnt vmcnt(0) lgkmcnt(0)
	v_mul_f64 v[10:11], v[21:22], v[17:18]
	v_mul_f64 v[17:18], v[19:20], v[17:18]
	v_fma_f64 v[10:11], v[19:20], v[15:16], -v[10:11]
	s_delay_alu instid0(VALU_DEP_2) | instskip(NEXT) | instid1(VALU_DEP_2)
	v_fma_f64 v[15:16], v[21:22], v[15:16], v[17:18]
	v_add_f64 v[3:4], v[3:4], v[10:11]
	s_delay_alu instid0(VALU_DEP_2)
	v_add_f64 v[1:2], v[1:2], v[15:16]
	s_and_not1_b32 exec_lo, exec_lo, s3
	s_cbranch_execnz .LBB108_57
; %bb.58:
	s_or_b32 exec_lo, exec_lo, s3
	v_mov_b32_e32 v7, 0
	ds_load_b128 v[7:10], v7 offset:176
	s_waitcnt lgkmcnt(0)
	v_mul_f64 v[11:12], v[1:2], v[9:10]
	v_mul_f64 v[15:16], v[3:4], v[9:10]
	s_delay_alu instid0(VALU_DEP_2) | instskip(NEXT) | instid1(VALU_DEP_2)
	v_fma_f64 v[9:10], v[3:4], v[7:8], -v[11:12]
	v_fma_f64 v[11:12], v[1:2], v[7:8], v[15:16]
	scratch_store_b128 off, v[9:12], off offset:176
.LBB108_59:
	s_or_b32 exec_lo, exec_lo, s2
	s_waitcnt_vscnt null, 0x0
	s_barrier
	buffer_gl0_inv
	scratch_load_b128 v[1:4], v169, off
	s_mov_b32 s2, exec_lo
	s_waitcnt vmcnt(0)
	ds_store_b128 v5, v[1:4]
	s_waitcnt lgkmcnt(0)
	s_barrier
	buffer_gl0_inv
	v_cmpx_gt_u32_e32 12, v136
	s_cbranch_execz .LBB108_63
; %bb.60:
	v_dual_mov_b32 v1, 0 :: v_dual_add_nc_u32 v8, 0x2d0, v13
	v_dual_mov_b32 v2, 0 :: v_dual_add_nc_u32 v7, -1, v136
	v_or_b32_e32 v9, 8, v14
	s_mov_b32 s3, 0
	s_delay_alu instid0(VALU_DEP_2)
	v_dual_mov_b32 v4, v2 :: v_dual_mov_b32 v3, v1
	.p2align	6
.LBB108_61:                             ; =>This Inner Loop Header: Depth=1
	scratch_load_b128 v[15:18], v9, off offset:-8
	ds_load_b128 v[19:22], v8
	v_add_nc_u32_e32 v7, 1, v7
	v_add_nc_u32_e32 v8, 16, v8
	;; [unrolled: 1-line block ×3, first 2 shown]
	s_delay_alu instid0(VALU_DEP_3) | instskip(SKIP_4) | instid1(VALU_DEP_2)
	v_cmp_lt_u32_e32 vcc_lo, 10, v7
	s_or_b32 s3, vcc_lo, s3
	s_waitcnt vmcnt(0) lgkmcnt(0)
	v_mul_f64 v[10:11], v[21:22], v[17:18]
	v_mul_f64 v[17:18], v[19:20], v[17:18]
	v_fma_f64 v[10:11], v[19:20], v[15:16], -v[10:11]
	s_delay_alu instid0(VALU_DEP_2) | instskip(NEXT) | instid1(VALU_DEP_2)
	v_fma_f64 v[15:16], v[21:22], v[15:16], v[17:18]
	v_add_f64 v[3:4], v[3:4], v[10:11]
	s_delay_alu instid0(VALU_DEP_2)
	v_add_f64 v[1:2], v[1:2], v[15:16]
	s_and_not1_b32 exec_lo, exec_lo, s3
	s_cbranch_execnz .LBB108_61
; %bb.62:
	s_or_b32 exec_lo, exec_lo, s3
	v_mov_b32_e32 v7, 0
	ds_load_b128 v[7:10], v7 offset:192
	s_waitcnt lgkmcnt(0)
	v_mul_f64 v[11:12], v[1:2], v[9:10]
	v_mul_f64 v[15:16], v[3:4], v[9:10]
	s_delay_alu instid0(VALU_DEP_2) | instskip(NEXT) | instid1(VALU_DEP_2)
	v_fma_f64 v[9:10], v[3:4], v[7:8], -v[11:12]
	v_fma_f64 v[11:12], v[1:2], v[7:8], v[15:16]
	scratch_store_b128 off, v[9:12], off offset:192
.LBB108_63:
	s_or_b32 exec_lo, exec_lo, s2
	s_waitcnt_vscnt null, 0x0
	s_barrier
	buffer_gl0_inv
	scratch_load_b128 v[1:4], v168, off
	s_mov_b32 s2, exec_lo
	s_waitcnt vmcnt(0)
	ds_store_b128 v5, v[1:4]
	s_waitcnt lgkmcnt(0)
	s_barrier
	buffer_gl0_inv
	v_cmpx_gt_u32_e32 13, v136
	s_cbranch_execz .LBB108_67
; %bb.64:
	v_dual_mov_b32 v1, 0 :: v_dual_add_nc_u32 v8, 0x2d0, v13
	v_dual_mov_b32 v2, 0 :: v_dual_add_nc_u32 v7, -1, v136
	v_or_b32_e32 v9, 8, v14
	s_mov_b32 s3, 0
	s_delay_alu instid0(VALU_DEP_2)
	v_dual_mov_b32 v4, v2 :: v_dual_mov_b32 v3, v1
	.p2align	6
.LBB108_65:                             ; =>This Inner Loop Header: Depth=1
	scratch_load_b128 v[15:18], v9, off offset:-8
	ds_load_b128 v[19:22], v8
	v_add_nc_u32_e32 v7, 1, v7
	v_add_nc_u32_e32 v8, 16, v8
	;; [unrolled: 1-line block ×3, first 2 shown]
	s_delay_alu instid0(VALU_DEP_3) | instskip(SKIP_4) | instid1(VALU_DEP_2)
	v_cmp_lt_u32_e32 vcc_lo, 11, v7
	s_or_b32 s3, vcc_lo, s3
	s_waitcnt vmcnt(0) lgkmcnt(0)
	v_mul_f64 v[10:11], v[21:22], v[17:18]
	v_mul_f64 v[17:18], v[19:20], v[17:18]
	v_fma_f64 v[10:11], v[19:20], v[15:16], -v[10:11]
	s_delay_alu instid0(VALU_DEP_2) | instskip(NEXT) | instid1(VALU_DEP_2)
	v_fma_f64 v[15:16], v[21:22], v[15:16], v[17:18]
	v_add_f64 v[3:4], v[3:4], v[10:11]
	s_delay_alu instid0(VALU_DEP_2)
	v_add_f64 v[1:2], v[1:2], v[15:16]
	s_and_not1_b32 exec_lo, exec_lo, s3
	s_cbranch_execnz .LBB108_65
; %bb.66:
	s_or_b32 exec_lo, exec_lo, s3
	v_mov_b32_e32 v7, 0
	ds_load_b128 v[7:10], v7 offset:208
	s_waitcnt lgkmcnt(0)
	v_mul_f64 v[11:12], v[1:2], v[9:10]
	v_mul_f64 v[15:16], v[3:4], v[9:10]
	s_delay_alu instid0(VALU_DEP_2) | instskip(NEXT) | instid1(VALU_DEP_2)
	v_fma_f64 v[9:10], v[3:4], v[7:8], -v[11:12]
	v_fma_f64 v[11:12], v[1:2], v[7:8], v[15:16]
	scratch_store_b128 off, v[9:12], off offset:208
.LBB108_67:
	s_or_b32 exec_lo, exec_lo, s2
	s_waitcnt_vscnt null, 0x0
	s_barrier
	buffer_gl0_inv
	scratch_load_b128 v[1:4], v167, off
	s_mov_b32 s2, exec_lo
	s_waitcnt vmcnt(0)
	ds_store_b128 v5, v[1:4]
	s_waitcnt lgkmcnt(0)
	s_barrier
	buffer_gl0_inv
	v_cmpx_gt_u32_e32 14, v136
	s_cbranch_execz .LBB108_71
; %bb.68:
	v_dual_mov_b32 v1, 0 :: v_dual_add_nc_u32 v8, 0x2d0, v13
	v_dual_mov_b32 v2, 0 :: v_dual_add_nc_u32 v7, -1, v136
	v_or_b32_e32 v9, 8, v14
	s_mov_b32 s3, 0
	s_delay_alu instid0(VALU_DEP_2)
	v_dual_mov_b32 v4, v2 :: v_dual_mov_b32 v3, v1
	.p2align	6
.LBB108_69:                             ; =>This Inner Loop Header: Depth=1
	scratch_load_b128 v[15:18], v9, off offset:-8
	ds_load_b128 v[19:22], v8
	v_add_nc_u32_e32 v7, 1, v7
	v_add_nc_u32_e32 v8, 16, v8
	;; [unrolled: 1-line block ×3, first 2 shown]
	s_delay_alu instid0(VALU_DEP_3) | instskip(SKIP_4) | instid1(VALU_DEP_2)
	v_cmp_lt_u32_e32 vcc_lo, 12, v7
	s_or_b32 s3, vcc_lo, s3
	s_waitcnt vmcnt(0) lgkmcnt(0)
	v_mul_f64 v[10:11], v[21:22], v[17:18]
	v_mul_f64 v[17:18], v[19:20], v[17:18]
	v_fma_f64 v[10:11], v[19:20], v[15:16], -v[10:11]
	s_delay_alu instid0(VALU_DEP_2) | instskip(NEXT) | instid1(VALU_DEP_2)
	v_fma_f64 v[15:16], v[21:22], v[15:16], v[17:18]
	v_add_f64 v[3:4], v[3:4], v[10:11]
	s_delay_alu instid0(VALU_DEP_2)
	v_add_f64 v[1:2], v[1:2], v[15:16]
	s_and_not1_b32 exec_lo, exec_lo, s3
	s_cbranch_execnz .LBB108_69
; %bb.70:
	s_or_b32 exec_lo, exec_lo, s3
	v_mov_b32_e32 v7, 0
	ds_load_b128 v[7:10], v7 offset:224
	s_waitcnt lgkmcnt(0)
	v_mul_f64 v[11:12], v[1:2], v[9:10]
	v_mul_f64 v[15:16], v[3:4], v[9:10]
	s_delay_alu instid0(VALU_DEP_2) | instskip(NEXT) | instid1(VALU_DEP_2)
	v_fma_f64 v[9:10], v[3:4], v[7:8], -v[11:12]
	v_fma_f64 v[11:12], v[1:2], v[7:8], v[15:16]
	scratch_store_b128 off, v[9:12], off offset:224
.LBB108_71:
	s_or_b32 exec_lo, exec_lo, s2
	s_waitcnt_vscnt null, 0x0
	s_barrier
	buffer_gl0_inv
	scratch_load_b128 v[1:4], v166, off
	s_mov_b32 s2, exec_lo
	s_waitcnt vmcnt(0)
	ds_store_b128 v5, v[1:4]
	s_waitcnt lgkmcnt(0)
	s_barrier
	buffer_gl0_inv
	v_cmpx_gt_u32_e32 15, v136
	s_cbranch_execz .LBB108_75
; %bb.72:
	v_dual_mov_b32 v1, 0 :: v_dual_add_nc_u32 v8, 0x2d0, v13
	v_dual_mov_b32 v2, 0 :: v_dual_add_nc_u32 v7, -1, v136
	v_or_b32_e32 v9, 8, v14
	s_mov_b32 s3, 0
	s_delay_alu instid0(VALU_DEP_2)
	v_dual_mov_b32 v4, v2 :: v_dual_mov_b32 v3, v1
	.p2align	6
.LBB108_73:                             ; =>This Inner Loop Header: Depth=1
	scratch_load_b128 v[15:18], v9, off offset:-8
	ds_load_b128 v[19:22], v8
	v_add_nc_u32_e32 v7, 1, v7
	v_add_nc_u32_e32 v8, 16, v8
	;; [unrolled: 1-line block ×3, first 2 shown]
	s_delay_alu instid0(VALU_DEP_3) | instskip(SKIP_4) | instid1(VALU_DEP_2)
	v_cmp_lt_u32_e32 vcc_lo, 13, v7
	s_or_b32 s3, vcc_lo, s3
	s_waitcnt vmcnt(0) lgkmcnt(0)
	v_mul_f64 v[10:11], v[21:22], v[17:18]
	v_mul_f64 v[17:18], v[19:20], v[17:18]
	v_fma_f64 v[10:11], v[19:20], v[15:16], -v[10:11]
	s_delay_alu instid0(VALU_DEP_2) | instskip(NEXT) | instid1(VALU_DEP_2)
	v_fma_f64 v[15:16], v[21:22], v[15:16], v[17:18]
	v_add_f64 v[3:4], v[3:4], v[10:11]
	s_delay_alu instid0(VALU_DEP_2)
	v_add_f64 v[1:2], v[1:2], v[15:16]
	s_and_not1_b32 exec_lo, exec_lo, s3
	s_cbranch_execnz .LBB108_73
; %bb.74:
	s_or_b32 exec_lo, exec_lo, s3
	v_mov_b32_e32 v7, 0
	ds_load_b128 v[7:10], v7 offset:240
	s_waitcnt lgkmcnt(0)
	v_mul_f64 v[11:12], v[1:2], v[9:10]
	v_mul_f64 v[15:16], v[3:4], v[9:10]
	s_delay_alu instid0(VALU_DEP_2) | instskip(NEXT) | instid1(VALU_DEP_2)
	v_fma_f64 v[9:10], v[3:4], v[7:8], -v[11:12]
	v_fma_f64 v[11:12], v[1:2], v[7:8], v[15:16]
	scratch_store_b128 off, v[9:12], off offset:240
.LBB108_75:
	s_or_b32 exec_lo, exec_lo, s2
	s_waitcnt_vscnt null, 0x0
	s_barrier
	buffer_gl0_inv
	scratch_load_b128 v[1:4], v165, off
	s_mov_b32 s2, exec_lo
	s_waitcnt vmcnt(0)
	ds_store_b128 v5, v[1:4]
	s_waitcnt lgkmcnt(0)
	s_barrier
	buffer_gl0_inv
	v_cmpx_gt_u32_e32 16, v136
	s_cbranch_execz .LBB108_79
; %bb.76:
	v_dual_mov_b32 v1, 0 :: v_dual_add_nc_u32 v8, 0x2d0, v13
	v_dual_mov_b32 v2, 0 :: v_dual_add_nc_u32 v7, -1, v136
	v_or_b32_e32 v9, 8, v14
	s_mov_b32 s3, 0
	s_delay_alu instid0(VALU_DEP_2)
	v_dual_mov_b32 v4, v2 :: v_dual_mov_b32 v3, v1
	.p2align	6
.LBB108_77:                             ; =>This Inner Loop Header: Depth=1
	scratch_load_b128 v[15:18], v9, off offset:-8
	ds_load_b128 v[19:22], v8
	v_add_nc_u32_e32 v7, 1, v7
	v_add_nc_u32_e32 v8, 16, v8
	;; [unrolled: 1-line block ×3, first 2 shown]
	s_delay_alu instid0(VALU_DEP_3) | instskip(SKIP_4) | instid1(VALU_DEP_2)
	v_cmp_lt_u32_e32 vcc_lo, 14, v7
	s_or_b32 s3, vcc_lo, s3
	s_waitcnt vmcnt(0) lgkmcnt(0)
	v_mul_f64 v[10:11], v[21:22], v[17:18]
	v_mul_f64 v[17:18], v[19:20], v[17:18]
	v_fma_f64 v[10:11], v[19:20], v[15:16], -v[10:11]
	s_delay_alu instid0(VALU_DEP_2) | instskip(NEXT) | instid1(VALU_DEP_2)
	v_fma_f64 v[15:16], v[21:22], v[15:16], v[17:18]
	v_add_f64 v[3:4], v[3:4], v[10:11]
	s_delay_alu instid0(VALU_DEP_2)
	v_add_f64 v[1:2], v[1:2], v[15:16]
	s_and_not1_b32 exec_lo, exec_lo, s3
	s_cbranch_execnz .LBB108_77
; %bb.78:
	s_or_b32 exec_lo, exec_lo, s3
	v_mov_b32_e32 v7, 0
	ds_load_b128 v[7:10], v7 offset:256
	s_waitcnt lgkmcnt(0)
	v_mul_f64 v[11:12], v[1:2], v[9:10]
	v_mul_f64 v[15:16], v[3:4], v[9:10]
	s_delay_alu instid0(VALU_DEP_2) | instskip(NEXT) | instid1(VALU_DEP_2)
	v_fma_f64 v[9:10], v[3:4], v[7:8], -v[11:12]
	v_fma_f64 v[11:12], v[1:2], v[7:8], v[15:16]
	scratch_store_b128 off, v[9:12], off offset:256
.LBB108_79:
	s_or_b32 exec_lo, exec_lo, s2
	s_waitcnt_vscnt null, 0x0
	s_barrier
	buffer_gl0_inv
	scratch_load_b128 v[1:4], v164, off
	s_mov_b32 s2, exec_lo
	s_waitcnt vmcnt(0)
	ds_store_b128 v5, v[1:4]
	s_waitcnt lgkmcnt(0)
	s_barrier
	buffer_gl0_inv
	v_cmpx_gt_u32_e32 17, v136
	s_cbranch_execz .LBB108_83
; %bb.80:
	v_dual_mov_b32 v1, 0 :: v_dual_add_nc_u32 v8, 0x2d0, v13
	v_dual_mov_b32 v2, 0 :: v_dual_add_nc_u32 v7, -1, v136
	v_or_b32_e32 v9, 8, v14
	s_mov_b32 s3, 0
	s_delay_alu instid0(VALU_DEP_2)
	v_dual_mov_b32 v4, v2 :: v_dual_mov_b32 v3, v1
	.p2align	6
.LBB108_81:                             ; =>This Inner Loop Header: Depth=1
	scratch_load_b128 v[15:18], v9, off offset:-8
	ds_load_b128 v[19:22], v8
	v_add_nc_u32_e32 v7, 1, v7
	v_add_nc_u32_e32 v8, 16, v8
	v_add_nc_u32_e32 v9, 16, v9
	s_delay_alu instid0(VALU_DEP_3) | instskip(SKIP_4) | instid1(VALU_DEP_2)
	v_cmp_lt_u32_e32 vcc_lo, 15, v7
	s_or_b32 s3, vcc_lo, s3
	s_waitcnt vmcnt(0) lgkmcnt(0)
	v_mul_f64 v[10:11], v[21:22], v[17:18]
	v_mul_f64 v[17:18], v[19:20], v[17:18]
	v_fma_f64 v[10:11], v[19:20], v[15:16], -v[10:11]
	s_delay_alu instid0(VALU_DEP_2) | instskip(NEXT) | instid1(VALU_DEP_2)
	v_fma_f64 v[15:16], v[21:22], v[15:16], v[17:18]
	v_add_f64 v[3:4], v[3:4], v[10:11]
	s_delay_alu instid0(VALU_DEP_2)
	v_add_f64 v[1:2], v[1:2], v[15:16]
	s_and_not1_b32 exec_lo, exec_lo, s3
	s_cbranch_execnz .LBB108_81
; %bb.82:
	s_or_b32 exec_lo, exec_lo, s3
	v_mov_b32_e32 v7, 0
	ds_load_b128 v[7:10], v7 offset:272
	s_waitcnt lgkmcnt(0)
	v_mul_f64 v[11:12], v[1:2], v[9:10]
	v_mul_f64 v[15:16], v[3:4], v[9:10]
	s_delay_alu instid0(VALU_DEP_2) | instskip(NEXT) | instid1(VALU_DEP_2)
	v_fma_f64 v[9:10], v[3:4], v[7:8], -v[11:12]
	v_fma_f64 v[11:12], v[1:2], v[7:8], v[15:16]
	scratch_store_b128 off, v[9:12], off offset:272
.LBB108_83:
	s_or_b32 exec_lo, exec_lo, s2
	s_waitcnt_vscnt null, 0x0
	s_barrier
	buffer_gl0_inv
	scratch_load_b128 v[1:4], v162, off
	s_mov_b32 s2, exec_lo
	s_waitcnt vmcnt(0)
	ds_store_b128 v5, v[1:4]
	s_waitcnt lgkmcnt(0)
	s_barrier
	buffer_gl0_inv
	v_cmpx_gt_u32_e32 18, v136
	s_cbranch_execz .LBB108_87
; %bb.84:
	v_dual_mov_b32 v1, 0 :: v_dual_add_nc_u32 v8, 0x2d0, v13
	v_dual_mov_b32 v2, 0 :: v_dual_add_nc_u32 v7, -1, v136
	v_or_b32_e32 v9, 8, v14
	s_mov_b32 s3, 0
	s_delay_alu instid0(VALU_DEP_2)
	v_dual_mov_b32 v4, v2 :: v_dual_mov_b32 v3, v1
	.p2align	6
.LBB108_85:                             ; =>This Inner Loop Header: Depth=1
	scratch_load_b128 v[15:18], v9, off offset:-8
	ds_load_b128 v[19:22], v8
	v_add_nc_u32_e32 v7, 1, v7
	v_add_nc_u32_e32 v8, 16, v8
	;; [unrolled: 1-line block ×3, first 2 shown]
	s_delay_alu instid0(VALU_DEP_3) | instskip(SKIP_4) | instid1(VALU_DEP_2)
	v_cmp_lt_u32_e32 vcc_lo, 16, v7
	s_or_b32 s3, vcc_lo, s3
	s_waitcnt vmcnt(0) lgkmcnt(0)
	v_mul_f64 v[10:11], v[21:22], v[17:18]
	v_mul_f64 v[17:18], v[19:20], v[17:18]
	v_fma_f64 v[10:11], v[19:20], v[15:16], -v[10:11]
	s_delay_alu instid0(VALU_DEP_2) | instskip(NEXT) | instid1(VALU_DEP_2)
	v_fma_f64 v[15:16], v[21:22], v[15:16], v[17:18]
	v_add_f64 v[3:4], v[3:4], v[10:11]
	s_delay_alu instid0(VALU_DEP_2)
	v_add_f64 v[1:2], v[1:2], v[15:16]
	s_and_not1_b32 exec_lo, exec_lo, s3
	s_cbranch_execnz .LBB108_85
; %bb.86:
	s_or_b32 exec_lo, exec_lo, s3
	v_mov_b32_e32 v7, 0
	ds_load_b128 v[7:10], v7 offset:288
	s_waitcnt lgkmcnt(0)
	v_mul_f64 v[11:12], v[1:2], v[9:10]
	v_mul_f64 v[15:16], v[3:4], v[9:10]
	s_delay_alu instid0(VALU_DEP_2) | instskip(NEXT) | instid1(VALU_DEP_2)
	v_fma_f64 v[9:10], v[3:4], v[7:8], -v[11:12]
	v_fma_f64 v[11:12], v[1:2], v[7:8], v[15:16]
	scratch_store_b128 off, v[9:12], off offset:288
.LBB108_87:
	s_or_b32 exec_lo, exec_lo, s2
	s_waitcnt_vscnt null, 0x0
	s_barrier
	buffer_gl0_inv
	scratch_load_b128 v[1:4], v161, off
	s_mov_b32 s2, exec_lo
	s_waitcnt vmcnt(0)
	ds_store_b128 v5, v[1:4]
	s_waitcnt lgkmcnt(0)
	s_barrier
	buffer_gl0_inv
	v_cmpx_gt_u32_e32 19, v136
	s_cbranch_execz .LBB108_91
; %bb.88:
	v_dual_mov_b32 v1, 0 :: v_dual_add_nc_u32 v8, 0x2d0, v13
	v_dual_mov_b32 v2, 0 :: v_dual_add_nc_u32 v7, -1, v136
	v_or_b32_e32 v9, 8, v14
	s_mov_b32 s3, 0
	s_delay_alu instid0(VALU_DEP_2)
	v_dual_mov_b32 v4, v2 :: v_dual_mov_b32 v3, v1
	.p2align	6
.LBB108_89:                             ; =>This Inner Loop Header: Depth=1
	scratch_load_b128 v[15:18], v9, off offset:-8
	ds_load_b128 v[19:22], v8
	v_add_nc_u32_e32 v7, 1, v7
	v_add_nc_u32_e32 v8, 16, v8
	v_add_nc_u32_e32 v9, 16, v9
	s_delay_alu instid0(VALU_DEP_3) | instskip(SKIP_4) | instid1(VALU_DEP_2)
	v_cmp_lt_u32_e32 vcc_lo, 17, v7
	s_or_b32 s3, vcc_lo, s3
	s_waitcnt vmcnt(0) lgkmcnt(0)
	v_mul_f64 v[10:11], v[21:22], v[17:18]
	v_mul_f64 v[17:18], v[19:20], v[17:18]
	v_fma_f64 v[10:11], v[19:20], v[15:16], -v[10:11]
	s_delay_alu instid0(VALU_DEP_2) | instskip(NEXT) | instid1(VALU_DEP_2)
	v_fma_f64 v[15:16], v[21:22], v[15:16], v[17:18]
	v_add_f64 v[3:4], v[3:4], v[10:11]
	s_delay_alu instid0(VALU_DEP_2)
	v_add_f64 v[1:2], v[1:2], v[15:16]
	s_and_not1_b32 exec_lo, exec_lo, s3
	s_cbranch_execnz .LBB108_89
; %bb.90:
	s_or_b32 exec_lo, exec_lo, s3
	v_mov_b32_e32 v7, 0
	ds_load_b128 v[7:10], v7 offset:304
	s_waitcnt lgkmcnt(0)
	v_mul_f64 v[11:12], v[1:2], v[9:10]
	v_mul_f64 v[15:16], v[3:4], v[9:10]
	s_delay_alu instid0(VALU_DEP_2) | instskip(NEXT) | instid1(VALU_DEP_2)
	v_fma_f64 v[9:10], v[3:4], v[7:8], -v[11:12]
	v_fma_f64 v[11:12], v[1:2], v[7:8], v[15:16]
	scratch_store_b128 off, v[9:12], off offset:304
.LBB108_91:
	s_or_b32 exec_lo, exec_lo, s2
	s_waitcnt_vscnt null, 0x0
	s_barrier
	buffer_gl0_inv
	scratch_load_b128 v[1:4], v159, off
	s_mov_b32 s2, exec_lo
	s_waitcnt vmcnt(0)
	ds_store_b128 v5, v[1:4]
	s_waitcnt lgkmcnt(0)
	s_barrier
	buffer_gl0_inv
	v_cmpx_gt_u32_e32 20, v136
	s_cbranch_execz .LBB108_95
; %bb.92:
	v_dual_mov_b32 v1, 0 :: v_dual_add_nc_u32 v8, 0x2d0, v13
	v_dual_mov_b32 v2, 0 :: v_dual_add_nc_u32 v7, -1, v136
	v_or_b32_e32 v9, 8, v14
	s_mov_b32 s3, 0
	s_delay_alu instid0(VALU_DEP_2)
	v_dual_mov_b32 v4, v2 :: v_dual_mov_b32 v3, v1
	.p2align	6
.LBB108_93:                             ; =>This Inner Loop Header: Depth=1
	scratch_load_b128 v[15:18], v9, off offset:-8
	ds_load_b128 v[19:22], v8
	v_add_nc_u32_e32 v7, 1, v7
	v_add_nc_u32_e32 v8, 16, v8
	v_add_nc_u32_e32 v9, 16, v9
	s_delay_alu instid0(VALU_DEP_3) | instskip(SKIP_4) | instid1(VALU_DEP_2)
	v_cmp_lt_u32_e32 vcc_lo, 18, v7
	s_or_b32 s3, vcc_lo, s3
	s_waitcnt vmcnt(0) lgkmcnt(0)
	v_mul_f64 v[10:11], v[21:22], v[17:18]
	v_mul_f64 v[17:18], v[19:20], v[17:18]
	v_fma_f64 v[10:11], v[19:20], v[15:16], -v[10:11]
	s_delay_alu instid0(VALU_DEP_2) | instskip(NEXT) | instid1(VALU_DEP_2)
	v_fma_f64 v[15:16], v[21:22], v[15:16], v[17:18]
	v_add_f64 v[3:4], v[3:4], v[10:11]
	s_delay_alu instid0(VALU_DEP_2)
	v_add_f64 v[1:2], v[1:2], v[15:16]
	s_and_not1_b32 exec_lo, exec_lo, s3
	s_cbranch_execnz .LBB108_93
; %bb.94:
	s_or_b32 exec_lo, exec_lo, s3
	v_mov_b32_e32 v7, 0
	ds_load_b128 v[7:10], v7 offset:320
	s_waitcnt lgkmcnt(0)
	v_mul_f64 v[11:12], v[1:2], v[9:10]
	v_mul_f64 v[15:16], v[3:4], v[9:10]
	s_delay_alu instid0(VALU_DEP_2) | instskip(NEXT) | instid1(VALU_DEP_2)
	v_fma_f64 v[9:10], v[3:4], v[7:8], -v[11:12]
	v_fma_f64 v[11:12], v[1:2], v[7:8], v[15:16]
	scratch_store_b128 off, v[9:12], off offset:320
.LBB108_95:
	s_or_b32 exec_lo, exec_lo, s2
	s_waitcnt_vscnt null, 0x0
	s_barrier
	buffer_gl0_inv
	scratch_load_b128 v[1:4], v158, off
	s_mov_b32 s2, exec_lo
	s_waitcnt vmcnt(0)
	ds_store_b128 v5, v[1:4]
	s_waitcnt lgkmcnt(0)
	s_barrier
	buffer_gl0_inv
	v_cmpx_gt_u32_e32 21, v136
	s_cbranch_execz .LBB108_99
; %bb.96:
	v_dual_mov_b32 v1, 0 :: v_dual_add_nc_u32 v8, 0x2d0, v13
	v_dual_mov_b32 v2, 0 :: v_dual_add_nc_u32 v7, -1, v136
	v_or_b32_e32 v9, 8, v14
	s_mov_b32 s3, 0
	s_delay_alu instid0(VALU_DEP_2)
	v_dual_mov_b32 v4, v2 :: v_dual_mov_b32 v3, v1
	.p2align	6
.LBB108_97:                             ; =>This Inner Loop Header: Depth=1
	scratch_load_b128 v[15:18], v9, off offset:-8
	ds_load_b128 v[19:22], v8
	v_add_nc_u32_e32 v7, 1, v7
	v_add_nc_u32_e32 v8, 16, v8
	;; [unrolled: 1-line block ×3, first 2 shown]
	s_delay_alu instid0(VALU_DEP_3) | instskip(SKIP_4) | instid1(VALU_DEP_2)
	v_cmp_lt_u32_e32 vcc_lo, 19, v7
	s_or_b32 s3, vcc_lo, s3
	s_waitcnt vmcnt(0) lgkmcnt(0)
	v_mul_f64 v[10:11], v[21:22], v[17:18]
	v_mul_f64 v[17:18], v[19:20], v[17:18]
	v_fma_f64 v[10:11], v[19:20], v[15:16], -v[10:11]
	s_delay_alu instid0(VALU_DEP_2) | instskip(NEXT) | instid1(VALU_DEP_2)
	v_fma_f64 v[15:16], v[21:22], v[15:16], v[17:18]
	v_add_f64 v[3:4], v[3:4], v[10:11]
	s_delay_alu instid0(VALU_DEP_2)
	v_add_f64 v[1:2], v[1:2], v[15:16]
	s_and_not1_b32 exec_lo, exec_lo, s3
	s_cbranch_execnz .LBB108_97
; %bb.98:
	s_or_b32 exec_lo, exec_lo, s3
	v_mov_b32_e32 v7, 0
	ds_load_b128 v[7:10], v7 offset:336
	s_waitcnt lgkmcnt(0)
	v_mul_f64 v[11:12], v[1:2], v[9:10]
	v_mul_f64 v[15:16], v[3:4], v[9:10]
	s_delay_alu instid0(VALU_DEP_2) | instskip(NEXT) | instid1(VALU_DEP_2)
	v_fma_f64 v[9:10], v[3:4], v[7:8], -v[11:12]
	v_fma_f64 v[11:12], v[1:2], v[7:8], v[15:16]
	scratch_store_b128 off, v[9:12], off offset:336
.LBB108_99:
	s_or_b32 exec_lo, exec_lo, s2
	s_waitcnt_vscnt null, 0x0
	s_barrier
	buffer_gl0_inv
	scratch_load_b128 v[1:4], v156, off
	s_mov_b32 s2, exec_lo
	s_waitcnt vmcnt(0)
	ds_store_b128 v5, v[1:4]
	s_waitcnt lgkmcnt(0)
	s_barrier
	buffer_gl0_inv
	v_cmpx_gt_u32_e32 22, v136
	s_cbranch_execz .LBB108_103
; %bb.100:
	v_dual_mov_b32 v1, 0 :: v_dual_add_nc_u32 v8, 0x2d0, v13
	v_dual_mov_b32 v2, 0 :: v_dual_add_nc_u32 v7, -1, v136
	v_or_b32_e32 v9, 8, v14
	s_mov_b32 s3, 0
	s_delay_alu instid0(VALU_DEP_2)
	v_dual_mov_b32 v4, v2 :: v_dual_mov_b32 v3, v1
	.p2align	6
.LBB108_101:                            ; =>This Inner Loop Header: Depth=1
	scratch_load_b128 v[15:18], v9, off offset:-8
	ds_load_b128 v[19:22], v8
	v_add_nc_u32_e32 v7, 1, v7
	v_add_nc_u32_e32 v8, 16, v8
	;; [unrolled: 1-line block ×3, first 2 shown]
	s_delay_alu instid0(VALU_DEP_3) | instskip(SKIP_4) | instid1(VALU_DEP_2)
	v_cmp_lt_u32_e32 vcc_lo, 20, v7
	s_or_b32 s3, vcc_lo, s3
	s_waitcnt vmcnt(0) lgkmcnt(0)
	v_mul_f64 v[10:11], v[21:22], v[17:18]
	v_mul_f64 v[17:18], v[19:20], v[17:18]
	v_fma_f64 v[10:11], v[19:20], v[15:16], -v[10:11]
	s_delay_alu instid0(VALU_DEP_2) | instskip(NEXT) | instid1(VALU_DEP_2)
	v_fma_f64 v[15:16], v[21:22], v[15:16], v[17:18]
	v_add_f64 v[3:4], v[3:4], v[10:11]
	s_delay_alu instid0(VALU_DEP_2)
	v_add_f64 v[1:2], v[1:2], v[15:16]
	s_and_not1_b32 exec_lo, exec_lo, s3
	s_cbranch_execnz .LBB108_101
; %bb.102:
	s_or_b32 exec_lo, exec_lo, s3
	v_mov_b32_e32 v7, 0
	ds_load_b128 v[7:10], v7 offset:352
	s_waitcnt lgkmcnt(0)
	v_mul_f64 v[11:12], v[1:2], v[9:10]
	v_mul_f64 v[15:16], v[3:4], v[9:10]
	s_delay_alu instid0(VALU_DEP_2) | instskip(NEXT) | instid1(VALU_DEP_2)
	v_fma_f64 v[9:10], v[3:4], v[7:8], -v[11:12]
	v_fma_f64 v[11:12], v[1:2], v[7:8], v[15:16]
	scratch_store_b128 off, v[9:12], off offset:352
.LBB108_103:
	s_or_b32 exec_lo, exec_lo, s2
	s_waitcnt_vscnt null, 0x0
	s_barrier
	buffer_gl0_inv
	scratch_load_b128 v[1:4], v155, off
	s_mov_b32 s2, exec_lo
	s_waitcnt vmcnt(0)
	ds_store_b128 v5, v[1:4]
	s_waitcnt lgkmcnt(0)
	s_barrier
	buffer_gl0_inv
	v_cmpx_gt_u32_e32 23, v136
	s_cbranch_execz .LBB108_107
; %bb.104:
	v_dual_mov_b32 v1, 0 :: v_dual_add_nc_u32 v8, 0x2d0, v13
	v_dual_mov_b32 v2, 0 :: v_dual_add_nc_u32 v7, -1, v136
	v_or_b32_e32 v9, 8, v14
	s_mov_b32 s3, 0
	s_delay_alu instid0(VALU_DEP_2)
	v_dual_mov_b32 v4, v2 :: v_dual_mov_b32 v3, v1
	.p2align	6
.LBB108_105:                            ; =>This Inner Loop Header: Depth=1
	scratch_load_b128 v[15:18], v9, off offset:-8
	ds_load_b128 v[19:22], v8
	v_add_nc_u32_e32 v7, 1, v7
	v_add_nc_u32_e32 v8, 16, v8
	;; [unrolled: 1-line block ×3, first 2 shown]
	s_delay_alu instid0(VALU_DEP_3) | instskip(SKIP_4) | instid1(VALU_DEP_2)
	v_cmp_lt_u32_e32 vcc_lo, 21, v7
	s_or_b32 s3, vcc_lo, s3
	s_waitcnt vmcnt(0) lgkmcnt(0)
	v_mul_f64 v[10:11], v[21:22], v[17:18]
	v_mul_f64 v[17:18], v[19:20], v[17:18]
	v_fma_f64 v[10:11], v[19:20], v[15:16], -v[10:11]
	s_delay_alu instid0(VALU_DEP_2) | instskip(NEXT) | instid1(VALU_DEP_2)
	v_fma_f64 v[15:16], v[21:22], v[15:16], v[17:18]
	v_add_f64 v[3:4], v[3:4], v[10:11]
	s_delay_alu instid0(VALU_DEP_2)
	v_add_f64 v[1:2], v[1:2], v[15:16]
	s_and_not1_b32 exec_lo, exec_lo, s3
	s_cbranch_execnz .LBB108_105
; %bb.106:
	s_or_b32 exec_lo, exec_lo, s3
	v_mov_b32_e32 v7, 0
	ds_load_b128 v[7:10], v7 offset:368
	s_waitcnt lgkmcnt(0)
	v_mul_f64 v[11:12], v[1:2], v[9:10]
	v_mul_f64 v[15:16], v[3:4], v[9:10]
	s_delay_alu instid0(VALU_DEP_2) | instskip(NEXT) | instid1(VALU_DEP_2)
	v_fma_f64 v[9:10], v[3:4], v[7:8], -v[11:12]
	v_fma_f64 v[11:12], v[1:2], v[7:8], v[15:16]
	scratch_store_b128 off, v[9:12], off offset:368
.LBB108_107:
	s_or_b32 exec_lo, exec_lo, s2
	s_waitcnt_vscnt null, 0x0
	s_barrier
	buffer_gl0_inv
	scratch_load_b128 v[1:4], v153, off
	s_mov_b32 s2, exec_lo
	s_waitcnt vmcnt(0)
	ds_store_b128 v5, v[1:4]
	s_waitcnt lgkmcnt(0)
	s_barrier
	buffer_gl0_inv
	v_cmpx_gt_u32_e32 24, v136
	s_cbranch_execz .LBB108_111
; %bb.108:
	v_dual_mov_b32 v1, 0 :: v_dual_add_nc_u32 v8, 0x2d0, v13
	v_dual_mov_b32 v2, 0 :: v_dual_add_nc_u32 v7, -1, v136
	v_or_b32_e32 v9, 8, v14
	s_mov_b32 s3, 0
	s_delay_alu instid0(VALU_DEP_2)
	v_dual_mov_b32 v4, v2 :: v_dual_mov_b32 v3, v1
	.p2align	6
.LBB108_109:                            ; =>This Inner Loop Header: Depth=1
	scratch_load_b128 v[15:18], v9, off offset:-8
	ds_load_b128 v[19:22], v8
	v_add_nc_u32_e32 v7, 1, v7
	v_add_nc_u32_e32 v8, 16, v8
	;; [unrolled: 1-line block ×3, first 2 shown]
	s_delay_alu instid0(VALU_DEP_3) | instskip(SKIP_4) | instid1(VALU_DEP_2)
	v_cmp_lt_u32_e32 vcc_lo, 22, v7
	s_or_b32 s3, vcc_lo, s3
	s_waitcnt vmcnt(0) lgkmcnt(0)
	v_mul_f64 v[10:11], v[21:22], v[17:18]
	v_mul_f64 v[17:18], v[19:20], v[17:18]
	v_fma_f64 v[10:11], v[19:20], v[15:16], -v[10:11]
	s_delay_alu instid0(VALU_DEP_2) | instskip(NEXT) | instid1(VALU_DEP_2)
	v_fma_f64 v[15:16], v[21:22], v[15:16], v[17:18]
	v_add_f64 v[3:4], v[3:4], v[10:11]
	s_delay_alu instid0(VALU_DEP_2)
	v_add_f64 v[1:2], v[1:2], v[15:16]
	s_and_not1_b32 exec_lo, exec_lo, s3
	s_cbranch_execnz .LBB108_109
; %bb.110:
	s_or_b32 exec_lo, exec_lo, s3
	v_mov_b32_e32 v7, 0
	ds_load_b128 v[7:10], v7 offset:384
	s_waitcnt lgkmcnt(0)
	v_mul_f64 v[11:12], v[1:2], v[9:10]
	v_mul_f64 v[15:16], v[3:4], v[9:10]
	s_delay_alu instid0(VALU_DEP_2) | instskip(NEXT) | instid1(VALU_DEP_2)
	v_fma_f64 v[9:10], v[3:4], v[7:8], -v[11:12]
	v_fma_f64 v[11:12], v[1:2], v[7:8], v[15:16]
	scratch_store_b128 off, v[9:12], off offset:384
.LBB108_111:
	s_or_b32 exec_lo, exec_lo, s2
	s_waitcnt_vscnt null, 0x0
	s_barrier
	buffer_gl0_inv
	scratch_load_b128 v[1:4], v151, off
	s_mov_b32 s2, exec_lo
	s_waitcnt vmcnt(0)
	ds_store_b128 v5, v[1:4]
	s_waitcnt lgkmcnt(0)
	s_barrier
	buffer_gl0_inv
	v_cmpx_gt_u32_e32 25, v136
	s_cbranch_execz .LBB108_115
; %bb.112:
	v_dual_mov_b32 v1, 0 :: v_dual_add_nc_u32 v8, 0x2d0, v13
	v_dual_mov_b32 v2, 0 :: v_dual_add_nc_u32 v7, -1, v136
	v_or_b32_e32 v9, 8, v14
	s_mov_b32 s3, 0
	s_delay_alu instid0(VALU_DEP_2)
	v_dual_mov_b32 v4, v2 :: v_dual_mov_b32 v3, v1
	.p2align	6
.LBB108_113:                            ; =>This Inner Loop Header: Depth=1
	scratch_load_b128 v[15:18], v9, off offset:-8
	ds_load_b128 v[19:22], v8
	v_add_nc_u32_e32 v7, 1, v7
	v_add_nc_u32_e32 v8, 16, v8
	;; [unrolled: 1-line block ×3, first 2 shown]
	s_delay_alu instid0(VALU_DEP_3) | instskip(SKIP_4) | instid1(VALU_DEP_2)
	v_cmp_lt_u32_e32 vcc_lo, 23, v7
	s_or_b32 s3, vcc_lo, s3
	s_waitcnt vmcnt(0) lgkmcnt(0)
	v_mul_f64 v[10:11], v[21:22], v[17:18]
	v_mul_f64 v[17:18], v[19:20], v[17:18]
	v_fma_f64 v[10:11], v[19:20], v[15:16], -v[10:11]
	s_delay_alu instid0(VALU_DEP_2) | instskip(NEXT) | instid1(VALU_DEP_2)
	v_fma_f64 v[15:16], v[21:22], v[15:16], v[17:18]
	v_add_f64 v[3:4], v[3:4], v[10:11]
	s_delay_alu instid0(VALU_DEP_2)
	v_add_f64 v[1:2], v[1:2], v[15:16]
	s_and_not1_b32 exec_lo, exec_lo, s3
	s_cbranch_execnz .LBB108_113
; %bb.114:
	s_or_b32 exec_lo, exec_lo, s3
	v_mov_b32_e32 v7, 0
	ds_load_b128 v[7:10], v7 offset:400
	s_waitcnt lgkmcnt(0)
	v_mul_f64 v[11:12], v[1:2], v[9:10]
	v_mul_f64 v[15:16], v[3:4], v[9:10]
	s_delay_alu instid0(VALU_DEP_2) | instskip(NEXT) | instid1(VALU_DEP_2)
	v_fma_f64 v[9:10], v[3:4], v[7:8], -v[11:12]
	v_fma_f64 v[11:12], v[1:2], v[7:8], v[15:16]
	scratch_store_b128 off, v[9:12], off offset:400
.LBB108_115:
	s_or_b32 exec_lo, exec_lo, s2
	s_waitcnt_vscnt null, 0x0
	s_barrier
	buffer_gl0_inv
	scratch_load_b128 v[1:4], v150, off
	s_mov_b32 s2, exec_lo
	s_waitcnt vmcnt(0)
	ds_store_b128 v5, v[1:4]
	s_waitcnt lgkmcnt(0)
	s_barrier
	buffer_gl0_inv
	v_cmpx_gt_u32_e32 26, v136
	s_cbranch_execz .LBB108_119
; %bb.116:
	v_dual_mov_b32 v1, 0 :: v_dual_add_nc_u32 v8, 0x2d0, v13
	v_dual_mov_b32 v2, 0 :: v_dual_add_nc_u32 v7, -1, v136
	v_or_b32_e32 v9, 8, v14
	s_mov_b32 s3, 0
	s_delay_alu instid0(VALU_DEP_2)
	v_dual_mov_b32 v4, v2 :: v_dual_mov_b32 v3, v1
	.p2align	6
.LBB108_117:                            ; =>This Inner Loop Header: Depth=1
	scratch_load_b128 v[15:18], v9, off offset:-8
	ds_load_b128 v[19:22], v8
	v_add_nc_u32_e32 v7, 1, v7
	v_add_nc_u32_e32 v8, 16, v8
	;; [unrolled: 1-line block ×3, first 2 shown]
	s_delay_alu instid0(VALU_DEP_3) | instskip(SKIP_4) | instid1(VALU_DEP_2)
	v_cmp_lt_u32_e32 vcc_lo, 24, v7
	s_or_b32 s3, vcc_lo, s3
	s_waitcnt vmcnt(0) lgkmcnt(0)
	v_mul_f64 v[10:11], v[21:22], v[17:18]
	v_mul_f64 v[17:18], v[19:20], v[17:18]
	v_fma_f64 v[10:11], v[19:20], v[15:16], -v[10:11]
	s_delay_alu instid0(VALU_DEP_2) | instskip(NEXT) | instid1(VALU_DEP_2)
	v_fma_f64 v[15:16], v[21:22], v[15:16], v[17:18]
	v_add_f64 v[3:4], v[3:4], v[10:11]
	s_delay_alu instid0(VALU_DEP_2)
	v_add_f64 v[1:2], v[1:2], v[15:16]
	s_and_not1_b32 exec_lo, exec_lo, s3
	s_cbranch_execnz .LBB108_117
; %bb.118:
	s_or_b32 exec_lo, exec_lo, s3
	v_mov_b32_e32 v7, 0
	ds_load_b128 v[7:10], v7 offset:416
	s_waitcnt lgkmcnt(0)
	v_mul_f64 v[11:12], v[1:2], v[9:10]
	v_mul_f64 v[15:16], v[3:4], v[9:10]
	s_delay_alu instid0(VALU_DEP_2) | instskip(NEXT) | instid1(VALU_DEP_2)
	v_fma_f64 v[9:10], v[3:4], v[7:8], -v[11:12]
	v_fma_f64 v[11:12], v[1:2], v[7:8], v[15:16]
	scratch_store_b128 off, v[9:12], off offset:416
.LBB108_119:
	s_or_b32 exec_lo, exec_lo, s2
	s_waitcnt_vscnt null, 0x0
	s_barrier
	buffer_gl0_inv
	scratch_load_b128 v[1:4], v147, off
	s_mov_b32 s2, exec_lo
	s_waitcnt vmcnt(0)
	ds_store_b128 v5, v[1:4]
	s_waitcnt lgkmcnt(0)
	s_barrier
	buffer_gl0_inv
	v_cmpx_gt_u32_e32 27, v136
	s_cbranch_execz .LBB108_123
; %bb.120:
	v_dual_mov_b32 v1, 0 :: v_dual_add_nc_u32 v8, 0x2d0, v13
	v_dual_mov_b32 v2, 0 :: v_dual_add_nc_u32 v7, -1, v136
	v_or_b32_e32 v9, 8, v14
	s_mov_b32 s3, 0
	s_delay_alu instid0(VALU_DEP_2)
	v_dual_mov_b32 v4, v2 :: v_dual_mov_b32 v3, v1
	.p2align	6
.LBB108_121:                            ; =>This Inner Loop Header: Depth=1
	scratch_load_b128 v[15:18], v9, off offset:-8
	ds_load_b128 v[19:22], v8
	v_add_nc_u32_e32 v7, 1, v7
	v_add_nc_u32_e32 v8, 16, v8
	;; [unrolled: 1-line block ×3, first 2 shown]
	s_delay_alu instid0(VALU_DEP_3) | instskip(SKIP_4) | instid1(VALU_DEP_2)
	v_cmp_lt_u32_e32 vcc_lo, 25, v7
	s_or_b32 s3, vcc_lo, s3
	s_waitcnt vmcnt(0) lgkmcnt(0)
	v_mul_f64 v[10:11], v[21:22], v[17:18]
	v_mul_f64 v[17:18], v[19:20], v[17:18]
	v_fma_f64 v[10:11], v[19:20], v[15:16], -v[10:11]
	s_delay_alu instid0(VALU_DEP_2) | instskip(NEXT) | instid1(VALU_DEP_2)
	v_fma_f64 v[15:16], v[21:22], v[15:16], v[17:18]
	v_add_f64 v[3:4], v[3:4], v[10:11]
	s_delay_alu instid0(VALU_DEP_2)
	v_add_f64 v[1:2], v[1:2], v[15:16]
	s_and_not1_b32 exec_lo, exec_lo, s3
	s_cbranch_execnz .LBB108_121
; %bb.122:
	s_or_b32 exec_lo, exec_lo, s3
	v_mov_b32_e32 v7, 0
	ds_load_b128 v[7:10], v7 offset:432
	s_waitcnt lgkmcnt(0)
	v_mul_f64 v[11:12], v[1:2], v[9:10]
	v_mul_f64 v[15:16], v[3:4], v[9:10]
	s_delay_alu instid0(VALU_DEP_2) | instskip(NEXT) | instid1(VALU_DEP_2)
	v_fma_f64 v[9:10], v[3:4], v[7:8], -v[11:12]
	v_fma_f64 v[11:12], v[1:2], v[7:8], v[15:16]
	scratch_store_b128 off, v[9:12], off offset:432
.LBB108_123:
	s_or_b32 exec_lo, exec_lo, s2
	s_waitcnt_vscnt null, 0x0
	s_barrier
	buffer_gl0_inv
	scratch_load_b128 v[1:4], v146, off
	s_mov_b32 s2, exec_lo
	s_waitcnt vmcnt(0)
	ds_store_b128 v5, v[1:4]
	s_waitcnt lgkmcnt(0)
	s_barrier
	buffer_gl0_inv
	v_cmpx_gt_u32_e32 28, v136
	s_cbranch_execz .LBB108_127
; %bb.124:
	v_dual_mov_b32 v1, 0 :: v_dual_add_nc_u32 v8, 0x2d0, v13
	v_dual_mov_b32 v2, 0 :: v_dual_add_nc_u32 v7, -1, v136
	v_or_b32_e32 v9, 8, v14
	s_mov_b32 s3, 0
	s_delay_alu instid0(VALU_DEP_2)
	v_dual_mov_b32 v4, v2 :: v_dual_mov_b32 v3, v1
	.p2align	6
.LBB108_125:                            ; =>This Inner Loop Header: Depth=1
	scratch_load_b128 v[15:18], v9, off offset:-8
	ds_load_b128 v[19:22], v8
	v_add_nc_u32_e32 v7, 1, v7
	v_add_nc_u32_e32 v8, 16, v8
	;; [unrolled: 1-line block ×3, first 2 shown]
	s_delay_alu instid0(VALU_DEP_3) | instskip(SKIP_4) | instid1(VALU_DEP_2)
	v_cmp_lt_u32_e32 vcc_lo, 26, v7
	s_or_b32 s3, vcc_lo, s3
	s_waitcnt vmcnt(0) lgkmcnt(0)
	v_mul_f64 v[10:11], v[21:22], v[17:18]
	v_mul_f64 v[17:18], v[19:20], v[17:18]
	v_fma_f64 v[10:11], v[19:20], v[15:16], -v[10:11]
	s_delay_alu instid0(VALU_DEP_2) | instskip(NEXT) | instid1(VALU_DEP_2)
	v_fma_f64 v[15:16], v[21:22], v[15:16], v[17:18]
	v_add_f64 v[3:4], v[3:4], v[10:11]
	s_delay_alu instid0(VALU_DEP_2)
	v_add_f64 v[1:2], v[1:2], v[15:16]
	s_and_not1_b32 exec_lo, exec_lo, s3
	s_cbranch_execnz .LBB108_125
; %bb.126:
	s_or_b32 exec_lo, exec_lo, s3
	v_mov_b32_e32 v7, 0
	ds_load_b128 v[7:10], v7 offset:448
	s_waitcnt lgkmcnt(0)
	v_mul_f64 v[11:12], v[1:2], v[9:10]
	v_mul_f64 v[15:16], v[3:4], v[9:10]
	s_delay_alu instid0(VALU_DEP_2) | instskip(NEXT) | instid1(VALU_DEP_2)
	v_fma_f64 v[9:10], v[3:4], v[7:8], -v[11:12]
	v_fma_f64 v[11:12], v[1:2], v[7:8], v[15:16]
	scratch_store_b128 off, v[9:12], off offset:448
.LBB108_127:
	s_or_b32 exec_lo, exec_lo, s2
	s_waitcnt_vscnt null, 0x0
	s_barrier
	buffer_gl0_inv
	scratch_load_b128 v[1:4], v144, off
	s_mov_b32 s2, exec_lo
	s_waitcnt vmcnt(0)
	ds_store_b128 v5, v[1:4]
	s_waitcnt lgkmcnt(0)
	s_barrier
	buffer_gl0_inv
	v_cmpx_gt_u32_e32 29, v136
	s_cbranch_execz .LBB108_131
; %bb.128:
	v_dual_mov_b32 v1, 0 :: v_dual_add_nc_u32 v8, 0x2d0, v13
	v_dual_mov_b32 v2, 0 :: v_dual_add_nc_u32 v7, -1, v136
	v_or_b32_e32 v9, 8, v14
	s_mov_b32 s3, 0
	s_delay_alu instid0(VALU_DEP_2)
	v_dual_mov_b32 v4, v2 :: v_dual_mov_b32 v3, v1
	.p2align	6
.LBB108_129:                            ; =>This Inner Loop Header: Depth=1
	scratch_load_b128 v[15:18], v9, off offset:-8
	ds_load_b128 v[19:22], v8
	v_add_nc_u32_e32 v7, 1, v7
	v_add_nc_u32_e32 v8, 16, v8
	;; [unrolled: 1-line block ×3, first 2 shown]
	s_delay_alu instid0(VALU_DEP_3) | instskip(SKIP_4) | instid1(VALU_DEP_2)
	v_cmp_lt_u32_e32 vcc_lo, 27, v7
	s_or_b32 s3, vcc_lo, s3
	s_waitcnt vmcnt(0) lgkmcnt(0)
	v_mul_f64 v[10:11], v[21:22], v[17:18]
	v_mul_f64 v[17:18], v[19:20], v[17:18]
	v_fma_f64 v[10:11], v[19:20], v[15:16], -v[10:11]
	s_delay_alu instid0(VALU_DEP_2) | instskip(NEXT) | instid1(VALU_DEP_2)
	v_fma_f64 v[15:16], v[21:22], v[15:16], v[17:18]
	v_add_f64 v[3:4], v[3:4], v[10:11]
	s_delay_alu instid0(VALU_DEP_2)
	v_add_f64 v[1:2], v[1:2], v[15:16]
	s_and_not1_b32 exec_lo, exec_lo, s3
	s_cbranch_execnz .LBB108_129
; %bb.130:
	s_or_b32 exec_lo, exec_lo, s3
	v_mov_b32_e32 v7, 0
	ds_load_b128 v[7:10], v7 offset:464
	s_waitcnt lgkmcnt(0)
	v_mul_f64 v[11:12], v[1:2], v[9:10]
	v_mul_f64 v[15:16], v[3:4], v[9:10]
	s_delay_alu instid0(VALU_DEP_2) | instskip(NEXT) | instid1(VALU_DEP_2)
	v_fma_f64 v[9:10], v[3:4], v[7:8], -v[11:12]
	v_fma_f64 v[11:12], v[1:2], v[7:8], v[15:16]
	scratch_store_b128 off, v[9:12], off offset:464
.LBB108_131:
	s_or_b32 exec_lo, exec_lo, s2
	s_waitcnt_vscnt null, 0x0
	s_barrier
	buffer_gl0_inv
	scratch_load_b128 v[1:4], v142, off
	s_mov_b32 s2, exec_lo
	s_waitcnt vmcnt(0)
	ds_store_b128 v5, v[1:4]
	s_waitcnt lgkmcnt(0)
	s_barrier
	buffer_gl0_inv
	v_cmpx_gt_u32_e32 30, v136
	s_cbranch_execz .LBB108_135
; %bb.132:
	v_dual_mov_b32 v1, 0 :: v_dual_add_nc_u32 v8, 0x2d0, v13
	v_dual_mov_b32 v2, 0 :: v_dual_add_nc_u32 v7, -1, v136
	v_or_b32_e32 v9, 8, v14
	s_mov_b32 s3, 0
	s_delay_alu instid0(VALU_DEP_2)
	v_dual_mov_b32 v4, v2 :: v_dual_mov_b32 v3, v1
	.p2align	6
.LBB108_133:                            ; =>This Inner Loop Header: Depth=1
	scratch_load_b128 v[15:18], v9, off offset:-8
	ds_load_b128 v[19:22], v8
	v_add_nc_u32_e32 v7, 1, v7
	v_add_nc_u32_e32 v8, 16, v8
	;; [unrolled: 1-line block ×3, first 2 shown]
	s_delay_alu instid0(VALU_DEP_3) | instskip(SKIP_4) | instid1(VALU_DEP_2)
	v_cmp_lt_u32_e32 vcc_lo, 28, v7
	s_or_b32 s3, vcc_lo, s3
	s_waitcnt vmcnt(0) lgkmcnt(0)
	v_mul_f64 v[10:11], v[21:22], v[17:18]
	v_mul_f64 v[17:18], v[19:20], v[17:18]
	v_fma_f64 v[10:11], v[19:20], v[15:16], -v[10:11]
	s_delay_alu instid0(VALU_DEP_2) | instskip(NEXT) | instid1(VALU_DEP_2)
	v_fma_f64 v[15:16], v[21:22], v[15:16], v[17:18]
	v_add_f64 v[3:4], v[3:4], v[10:11]
	s_delay_alu instid0(VALU_DEP_2)
	v_add_f64 v[1:2], v[1:2], v[15:16]
	s_and_not1_b32 exec_lo, exec_lo, s3
	s_cbranch_execnz .LBB108_133
; %bb.134:
	s_or_b32 exec_lo, exec_lo, s3
	v_mov_b32_e32 v7, 0
	ds_load_b128 v[7:10], v7 offset:480
	s_waitcnt lgkmcnt(0)
	v_mul_f64 v[11:12], v[1:2], v[9:10]
	v_mul_f64 v[15:16], v[3:4], v[9:10]
	s_delay_alu instid0(VALU_DEP_2) | instskip(NEXT) | instid1(VALU_DEP_2)
	v_fma_f64 v[9:10], v[3:4], v[7:8], -v[11:12]
	v_fma_f64 v[11:12], v[1:2], v[7:8], v[15:16]
	scratch_store_b128 off, v[9:12], off offset:480
.LBB108_135:
	s_or_b32 exec_lo, exec_lo, s2
	s_waitcnt_vscnt null, 0x0
	s_barrier
	buffer_gl0_inv
	scratch_load_b128 v[1:4], v140, off
	s_mov_b32 s2, exec_lo
	s_waitcnt vmcnt(0)
	ds_store_b128 v5, v[1:4]
	s_waitcnt lgkmcnt(0)
	s_barrier
	buffer_gl0_inv
	v_cmpx_gt_u32_e32 31, v136
	s_cbranch_execz .LBB108_139
; %bb.136:
	v_dual_mov_b32 v1, 0 :: v_dual_add_nc_u32 v8, 0x2d0, v13
	v_dual_mov_b32 v2, 0 :: v_dual_add_nc_u32 v7, -1, v136
	v_or_b32_e32 v9, 8, v14
	s_mov_b32 s3, 0
	s_delay_alu instid0(VALU_DEP_2)
	v_dual_mov_b32 v4, v2 :: v_dual_mov_b32 v3, v1
	.p2align	6
.LBB108_137:                            ; =>This Inner Loop Header: Depth=1
	scratch_load_b128 v[15:18], v9, off offset:-8
	ds_load_b128 v[19:22], v8
	v_add_nc_u32_e32 v7, 1, v7
	v_add_nc_u32_e32 v8, 16, v8
	;; [unrolled: 1-line block ×3, first 2 shown]
	s_delay_alu instid0(VALU_DEP_3) | instskip(SKIP_4) | instid1(VALU_DEP_2)
	v_cmp_lt_u32_e32 vcc_lo, 29, v7
	s_or_b32 s3, vcc_lo, s3
	s_waitcnt vmcnt(0) lgkmcnt(0)
	v_mul_f64 v[10:11], v[21:22], v[17:18]
	v_mul_f64 v[17:18], v[19:20], v[17:18]
	v_fma_f64 v[10:11], v[19:20], v[15:16], -v[10:11]
	s_delay_alu instid0(VALU_DEP_2) | instskip(NEXT) | instid1(VALU_DEP_2)
	v_fma_f64 v[15:16], v[21:22], v[15:16], v[17:18]
	v_add_f64 v[3:4], v[3:4], v[10:11]
	s_delay_alu instid0(VALU_DEP_2)
	v_add_f64 v[1:2], v[1:2], v[15:16]
	s_and_not1_b32 exec_lo, exec_lo, s3
	s_cbranch_execnz .LBB108_137
; %bb.138:
	s_or_b32 exec_lo, exec_lo, s3
	v_mov_b32_e32 v7, 0
	ds_load_b128 v[7:10], v7 offset:496
	s_waitcnt lgkmcnt(0)
	v_mul_f64 v[11:12], v[1:2], v[9:10]
	v_mul_f64 v[15:16], v[3:4], v[9:10]
	s_delay_alu instid0(VALU_DEP_2) | instskip(NEXT) | instid1(VALU_DEP_2)
	v_fma_f64 v[9:10], v[3:4], v[7:8], -v[11:12]
	v_fma_f64 v[11:12], v[1:2], v[7:8], v[15:16]
	scratch_store_b128 off, v[9:12], off offset:496
.LBB108_139:
	s_or_b32 exec_lo, exec_lo, s2
	s_waitcnt_vscnt null, 0x0
	s_barrier
	buffer_gl0_inv
	scratch_load_b128 v[1:4], v138, off
	s_mov_b32 s2, exec_lo
	s_waitcnt vmcnt(0)
	ds_store_b128 v5, v[1:4]
	s_waitcnt lgkmcnt(0)
	s_barrier
	buffer_gl0_inv
	v_cmpx_gt_u32_e32 32, v136
	s_cbranch_execz .LBB108_143
; %bb.140:
	v_dual_mov_b32 v1, 0 :: v_dual_add_nc_u32 v8, 0x2d0, v13
	v_dual_mov_b32 v2, 0 :: v_dual_add_nc_u32 v7, -1, v136
	v_or_b32_e32 v9, 8, v14
	s_mov_b32 s3, 0
	s_delay_alu instid0(VALU_DEP_2)
	v_dual_mov_b32 v4, v2 :: v_dual_mov_b32 v3, v1
	.p2align	6
.LBB108_141:                            ; =>This Inner Loop Header: Depth=1
	scratch_load_b128 v[15:18], v9, off offset:-8
	ds_load_b128 v[19:22], v8
	v_add_nc_u32_e32 v7, 1, v7
	v_add_nc_u32_e32 v8, 16, v8
	;; [unrolled: 1-line block ×3, first 2 shown]
	s_delay_alu instid0(VALU_DEP_3) | instskip(SKIP_4) | instid1(VALU_DEP_2)
	v_cmp_lt_u32_e32 vcc_lo, 30, v7
	s_or_b32 s3, vcc_lo, s3
	s_waitcnt vmcnt(0) lgkmcnt(0)
	v_mul_f64 v[10:11], v[21:22], v[17:18]
	v_mul_f64 v[17:18], v[19:20], v[17:18]
	v_fma_f64 v[10:11], v[19:20], v[15:16], -v[10:11]
	s_delay_alu instid0(VALU_DEP_2) | instskip(NEXT) | instid1(VALU_DEP_2)
	v_fma_f64 v[15:16], v[21:22], v[15:16], v[17:18]
	v_add_f64 v[3:4], v[3:4], v[10:11]
	s_delay_alu instid0(VALU_DEP_2)
	v_add_f64 v[1:2], v[1:2], v[15:16]
	s_and_not1_b32 exec_lo, exec_lo, s3
	s_cbranch_execnz .LBB108_141
; %bb.142:
	s_or_b32 exec_lo, exec_lo, s3
	v_mov_b32_e32 v7, 0
	ds_load_b128 v[7:10], v7 offset:512
	s_waitcnt lgkmcnt(0)
	v_mul_f64 v[11:12], v[1:2], v[9:10]
	v_mul_f64 v[15:16], v[3:4], v[9:10]
	s_delay_alu instid0(VALU_DEP_2) | instskip(NEXT) | instid1(VALU_DEP_2)
	v_fma_f64 v[9:10], v[3:4], v[7:8], -v[11:12]
	v_fma_f64 v[11:12], v[1:2], v[7:8], v[15:16]
	scratch_store_b128 off, v[9:12], off offset:512
.LBB108_143:
	s_or_b32 exec_lo, exec_lo, s2
	s_waitcnt_vscnt null, 0x0
	s_barrier
	buffer_gl0_inv
	scratch_load_b128 v[1:4], v137, off
	s_mov_b32 s2, exec_lo
	s_waitcnt vmcnt(0)
	ds_store_b128 v5, v[1:4]
	s_waitcnt lgkmcnt(0)
	s_barrier
	buffer_gl0_inv
	v_cmpx_gt_u32_e32 33, v136
	s_cbranch_execz .LBB108_147
; %bb.144:
	v_dual_mov_b32 v1, 0 :: v_dual_add_nc_u32 v8, 0x2d0, v13
	v_dual_mov_b32 v2, 0 :: v_dual_add_nc_u32 v7, -1, v136
	v_or_b32_e32 v9, 8, v14
	s_mov_b32 s3, 0
	s_delay_alu instid0(VALU_DEP_2)
	v_dual_mov_b32 v4, v2 :: v_dual_mov_b32 v3, v1
	.p2align	6
.LBB108_145:                            ; =>This Inner Loop Header: Depth=1
	scratch_load_b128 v[15:18], v9, off offset:-8
	ds_load_b128 v[19:22], v8
	v_add_nc_u32_e32 v7, 1, v7
	v_add_nc_u32_e32 v8, 16, v8
	;; [unrolled: 1-line block ×3, first 2 shown]
	s_delay_alu instid0(VALU_DEP_3) | instskip(SKIP_4) | instid1(VALU_DEP_2)
	v_cmp_lt_u32_e32 vcc_lo, 31, v7
	s_or_b32 s3, vcc_lo, s3
	s_waitcnt vmcnt(0) lgkmcnt(0)
	v_mul_f64 v[10:11], v[21:22], v[17:18]
	v_mul_f64 v[17:18], v[19:20], v[17:18]
	v_fma_f64 v[10:11], v[19:20], v[15:16], -v[10:11]
	s_delay_alu instid0(VALU_DEP_2) | instskip(NEXT) | instid1(VALU_DEP_2)
	v_fma_f64 v[15:16], v[21:22], v[15:16], v[17:18]
	v_add_f64 v[3:4], v[3:4], v[10:11]
	s_delay_alu instid0(VALU_DEP_2)
	v_add_f64 v[1:2], v[1:2], v[15:16]
	s_and_not1_b32 exec_lo, exec_lo, s3
	s_cbranch_execnz .LBB108_145
; %bb.146:
	s_or_b32 exec_lo, exec_lo, s3
	v_mov_b32_e32 v7, 0
	ds_load_b128 v[7:10], v7 offset:528
	s_waitcnt lgkmcnt(0)
	v_mul_f64 v[11:12], v[1:2], v[9:10]
	v_mul_f64 v[15:16], v[3:4], v[9:10]
	s_delay_alu instid0(VALU_DEP_2) | instskip(NEXT) | instid1(VALU_DEP_2)
	v_fma_f64 v[9:10], v[3:4], v[7:8], -v[11:12]
	v_fma_f64 v[11:12], v[1:2], v[7:8], v[15:16]
	scratch_store_b128 off, v[9:12], off offset:528
.LBB108_147:
	s_or_b32 exec_lo, exec_lo, s2
	s_waitcnt_vscnt null, 0x0
	s_barrier
	buffer_gl0_inv
	scratch_load_b128 v[1:4], v163, off
	s_mov_b32 s2, exec_lo
	s_waitcnt vmcnt(0)
	ds_store_b128 v5, v[1:4]
	s_waitcnt lgkmcnt(0)
	s_barrier
	buffer_gl0_inv
	v_cmpx_gt_u32_e32 34, v136
	s_cbranch_execz .LBB108_151
; %bb.148:
	v_dual_mov_b32 v1, 0 :: v_dual_add_nc_u32 v8, 0x2d0, v13
	v_dual_mov_b32 v2, 0 :: v_dual_add_nc_u32 v7, -1, v136
	v_or_b32_e32 v9, 8, v14
	s_mov_b32 s3, 0
	s_delay_alu instid0(VALU_DEP_2)
	v_dual_mov_b32 v4, v2 :: v_dual_mov_b32 v3, v1
	.p2align	6
.LBB108_149:                            ; =>This Inner Loop Header: Depth=1
	scratch_load_b128 v[15:18], v9, off offset:-8
	ds_load_b128 v[19:22], v8
	v_add_nc_u32_e32 v7, 1, v7
	v_add_nc_u32_e32 v8, 16, v8
	;; [unrolled: 1-line block ×3, first 2 shown]
	s_delay_alu instid0(VALU_DEP_3) | instskip(SKIP_4) | instid1(VALU_DEP_2)
	v_cmp_lt_u32_e32 vcc_lo, 32, v7
	s_or_b32 s3, vcc_lo, s3
	s_waitcnt vmcnt(0) lgkmcnt(0)
	v_mul_f64 v[10:11], v[21:22], v[17:18]
	v_mul_f64 v[17:18], v[19:20], v[17:18]
	v_fma_f64 v[10:11], v[19:20], v[15:16], -v[10:11]
	s_delay_alu instid0(VALU_DEP_2) | instskip(NEXT) | instid1(VALU_DEP_2)
	v_fma_f64 v[15:16], v[21:22], v[15:16], v[17:18]
	v_add_f64 v[3:4], v[3:4], v[10:11]
	s_delay_alu instid0(VALU_DEP_2)
	v_add_f64 v[1:2], v[1:2], v[15:16]
	s_and_not1_b32 exec_lo, exec_lo, s3
	s_cbranch_execnz .LBB108_149
; %bb.150:
	s_or_b32 exec_lo, exec_lo, s3
	v_mov_b32_e32 v7, 0
	ds_load_b128 v[7:10], v7 offset:544
	s_waitcnt lgkmcnt(0)
	v_mul_f64 v[11:12], v[1:2], v[9:10]
	v_mul_f64 v[15:16], v[3:4], v[9:10]
	s_delay_alu instid0(VALU_DEP_2) | instskip(NEXT) | instid1(VALU_DEP_2)
	v_fma_f64 v[9:10], v[3:4], v[7:8], -v[11:12]
	v_fma_f64 v[11:12], v[1:2], v[7:8], v[15:16]
	scratch_store_b128 off, v[9:12], off offset:544
.LBB108_151:
	s_or_b32 exec_lo, exec_lo, s2
	s_waitcnt_vscnt null, 0x0
	s_barrier
	buffer_gl0_inv
	scratch_load_b128 v[1:4], v160, off
	s_mov_b32 s2, exec_lo
	s_waitcnt vmcnt(0)
	ds_store_b128 v5, v[1:4]
	s_waitcnt lgkmcnt(0)
	s_barrier
	buffer_gl0_inv
	v_cmpx_gt_u32_e32 35, v136
	s_cbranch_execz .LBB108_155
; %bb.152:
	v_dual_mov_b32 v1, 0 :: v_dual_add_nc_u32 v8, 0x2d0, v13
	v_dual_mov_b32 v2, 0 :: v_dual_add_nc_u32 v7, -1, v136
	v_or_b32_e32 v9, 8, v14
	s_mov_b32 s3, 0
	s_delay_alu instid0(VALU_DEP_2)
	v_dual_mov_b32 v4, v2 :: v_dual_mov_b32 v3, v1
	.p2align	6
.LBB108_153:                            ; =>This Inner Loop Header: Depth=1
	scratch_load_b128 v[15:18], v9, off offset:-8
	ds_load_b128 v[19:22], v8
	v_add_nc_u32_e32 v7, 1, v7
	v_add_nc_u32_e32 v8, 16, v8
	;; [unrolled: 1-line block ×3, first 2 shown]
	s_delay_alu instid0(VALU_DEP_3) | instskip(SKIP_4) | instid1(VALU_DEP_2)
	v_cmp_lt_u32_e32 vcc_lo, 33, v7
	s_or_b32 s3, vcc_lo, s3
	s_waitcnt vmcnt(0) lgkmcnt(0)
	v_mul_f64 v[10:11], v[21:22], v[17:18]
	v_mul_f64 v[17:18], v[19:20], v[17:18]
	v_fma_f64 v[10:11], v[19:20], v[15:16], -v[10:11]
	s_delay_alu instid0(VALU_DEP_2) | instskip(NEXT) | instid1(VALU_DEP_2)
	v_fma_f64 v[15:16], v[21:22], v[15:16], v[17:18]
	v_add_f64 v[3:4], v[3:4], v[10:11]
	s_delay_alu instid0(VALU_DEP_2)
	v_add_f64 v[1:2], v[1:2], v[15:16]
	s_and_not1_b32 exec_lo, exec_lo, s3
	s_cbranch_execnz .LBB108_153
; %bb.154:
	s_or_b32 exec_lo, exec_lo, s3
	v_mov_b32_e32 v7, 0
	ds_load_b128 v[7:10], v7 offset:560
	s_waitcnt lgkmcnt(0)
	v_mul_f64 v[11:12], v[1:2], v[9:10]
	v_mul_f64 v[15:16], v[3:4], v[9:10]
	s_delay_alu instid0(VALU_DEP_2) | instskip(NEXT) | instid1(VALU_DEP_2)
	v_fma_f64 v[9:10], v[3:4], v[7:8], -v[11:12]
	v_fma_f64 v[11:12], v[1:2], v[7:8], v[15:16]
	scratch_store_b128 off, v[9:12], off offset:560
.LBB108_155:
	s_or_b32 exec_lo, exec_lo, s2
	s_waitcnt_vscnt null, 0x0
	s_barrier
	buffer_gl0_inv
	scratch_load_b128 v[1:4], v157, off
	s_mov_b32 s2, exec_lo
	s_waitcnt vmcnt(0)
	ds_store_b128 v5, v[1:4]
	s_waitcnt lgkmcnt(0)
	s_barrier
	buffer_gl0_inv
	v_cmpx_gt_u32_e32 36, v136
	s_cbranch_execz .LBB108_159
; %bb.156:
	v_dual_mov_b32 v1, 0 :: v_dual_add_nc_u32 v8, 0x2d0, v13
	v_dual_mov_b32 v2, 0 :: v_dual_add_nc_u32 v7, -1, v136
	v_or_b32_e32 v9, 8, v14
	s_mov_b32 s3, 0
	s_delay_alu instid0(VALU_DEP_2)
	v_dual_mov_b32 v4, v2 :: v_dual_mov_b32 v3, v1
	.p2align	6
.LBB108_157:                            ; =>This Inner Loop Header: Depth=1
	scratch_load_b128 v[15:18], v9, off offset:-8
	ds_load_b128 v[19:22], v8
	v_add_nc_u32_e32 v7, 1, v7
	v_add_nc_u32_e32 v8, 16, v8
	;; [unrolled: 1-line block ×3, first 2 shown]
	s_delay_alu instid0(VALU_DEP_3) | instskip(SKIP_4) | instid1(VALU_DEP_2)
	v_cmp_lt_u32_e32 vcc_lo, 34, v7
	s_or_b32 s3, vcc_lo, s3
	s_waitcnt vmcnt(0) lgkmcnt(0)
	v_mul_f64 v[10:11], v[21:22], v[17:18]
	v_mul_f64 v[17:18], v[19:20], v[17:18]
	v_fma_f64 v[10:11], v[19:20], v[15:16], -v[10:11]
	s_delay_alu instid0(VALU_DEP_2) | instskip(NEXT) | instid1(VALU_DEP_2)
	v_fma_f64 v[15:16], v[21:22], v[15:16], v[17:18]
	v_add_f64 v[3:4], v[3:4], v[10:11]
	s_delay_alu instid0(VALU_DEP_2)
	v_add_f64 v[1:2], v[1:2], v[15:16]
	s_and_not1_b32 exec_lo, exec_lo, s3
	s_cbranch_execnz .LBB108_157
; %bb.158:
	s_or_b32 exec_lo, exec_lo, s3
	v_mov_b32_e32 v7, 0
	ds_load_b128 v[7:10], v7 offset:576
	s_waitcnt lgkmcnt(0)
	v_mul_f64 v[11:12], v[1:2], v[9:10]
	v_mul_f64 v[15:16], v[3:4], v[9:10]
	s_delay_alu instid0(VALU_DEP_2) | instskip(NEXT) | instid1(VALU_DEP_2)
	v_fma_f64 v[9:10], v[3:4], v[7:8], -v[11:12]
	v_fma_f64 v[11:12], v[1:2], v[7:8], v[15:16]
	scratch_store_b128 off, v[9:12], off offset:576
.LBB108_159:
	s_or_b32 exec_lo, exec_lo, s2
	s_waitcnt_vscnt null, 0x0
	s_barrier
	buffer_gl0_inv
	scratch_load_b128 v[1:4], v154, off
	s_mov_b32 s2, exec_lo
	s_waitcnt vmcnt(0)
	ds_store_b128 v5, v[1:4]
	s_waitcnt lgkmcnt(0)
	s_barrier
	buffer_gl0_inv
	v_cmpx_gt_u32_e32 37, v136
	s_cbranch_execz .LBB108_163
; %bb.160:
	v_dual_mov_b32 v1, 0 :: v_dual_add_nc_u32 v8, 0x2d0, v13
	v_dual_mov_b32 v2, 0 :: v_dual_add_nc_u32 v7, -1, v136
	v_or_b32_e32 v9, 8, v14
	s_mov_b32 s3, 0
	s_delay_alu instid0(VALU_DEP_2)
	v_dual_mov_b32 v4, v2 :: v_dual_mov_b32 v3, v1
	.p2align	6
.LBB108_161:                            ; =>This Inner Loop Header: Depth=1
	scratch_load_b128 v[15:18], v9, off offset:-8
	ds_load_b128 v[19:22], v8
	v_add_nc_u32_e32 v7, 1, v7
	v_add_nc_u32_e32 v8, 16, v8
	;; [unrolled: 1-line block ×3, first 2 shown]
	s_delay_alu instid0(VALU_DEP_3) | instskip(SKIP_4) | instid1(VALU_DEP_2)
	v_cmp_lt_u32_e32 vcc_lo, 35, v7
	s_or_b32 s3, vcc_lo, s3
	s_waitcnt vmcnt(0) lgkmcnt(0)
	v_mul_f64 v[10:11], v[21:22], v[17:18]
	v_mul_f64 v[17:18], v[19:20], v[17:18]
	v_fma_f64 v[10:11], v[19:20], v[15:16], -v[10:11]
	s_delay_alu instid0(VALU_DEP_2) | instskip(NEXT) | instid1(VALU_DEP_2)
	v_fma_f64 v[15:16], v[21:22], v[15:16], v[17:18]
	v_add_f64 v[3:4], v[3:4], v[10:11]
	s_delay_alu instid0(VALU_DEP_2)
	v_add_f64 v[1:2], v[1:2], v[15:16]
	s_and_not1_b32 exec_lo, exec_lo, s3
	s_cbranch_execnz .LBB108_161
; %bb.162:
	s_or_b32 exec_lo, exec_lo, s3
	v_mov_b32_e32 v7, 0
	ds_load_b128 v[7:10], v7 offset:592
	s_waitcnt lgkmcnt(0)
	v_mul_f64 v[11:12], v[1:2], v[9:10]
	v_mul_f64 v[15:16], v[3:4], v[9:10]
	s_delay_alu instid0(VALU_DEP_2) | instskip(NEXT) | instid1(VALU_DEP_2)
	v_fma_f64 v[9:10], v[3:4], v[7:8], -v[11:12]
	v_fma_f64 v[11:12], v[1:2], v[7:8], v[15:16]
	scratch_store_b128 off, v[9:12], off offset:592
.LBB108_163:
	s_or_b32 exec_lo, exec_lo, s2
	s_waitcnt_vscnt null, 0x0
	s_barrier
	buffer_gl0_inv
	scratch_load_b128 v[1:4], v152, off
	s_mov_b32 s2, exec_lo
	s_waitcnt vmcnt(0)
	ds_store_b128 v5, v[1:4]
	s_waitcnt lgkmcnt(0)
	s_barrier
	buffer_gl0_inv
	v_cmpx_gt_u32_e32 38, v136
	s_cbranch_execz .LBB108_167
; %bb.164:
	v_dual_mov_b32 v1, 0 :: v_dual_add_nc_u32 v8, 0x2d0, v13
	v_dual_mov_b32 v2, 0 :: v_dual_add_nc_u32 v7, -1, v136
	v_or_b32_e32 v9, 8, v14
	s_mov_b32 s3, 0
	s_delay_alu instid0(VALU_DEP_2)
	v_dual_mov_b32 v4, v2 :: v_dual_mov_b32 v3, v1
	.p2align	6
.LBB108_165:                            ; =>This Inner Loop Header: Depth=1
	scratch_load_b128 v[15:18], v9, off offset:-8
	ds_load_b128 v[19:22], v8
	v_add_nc_u32_e32 v7, 1, v7
	v_add_nc_u32_e32 v8, 16, v8
	;; [unrolled: 1-line block ×3, first 2 shown]
	s_delay_alu instid0(VALU_DEP_3) | instskip(SKIP_4) | instid1(VALU_DEP_2)
	v_cmp_lt_u32_e32 vcc_lo, 36, v7
	s_or_b32 s3, vcc_lo, s3
	s_waitcnt vmcnt(0) lgkmcnt(0)
	v_mul_f64 v[10:11], v[21:22], v[17:18]
	v_mul_f64 v[17:18], v[19:20], v[17:18]
	v_fma_f64 v[10:11], v[19:20], v[15:16], -v[10:11]
	s_delay_alu instid0(VALU_DEP_2) | instskip(NEXT) | instid1(VALU_DEP_2)
	v_fma_f64 v[15:16], v[21:22], v[15:16], v[17:18]
	v_add_f64 v[3:4], v[3:4], v[10:11]
	s_delay_alu instid0(VALU_DEP_2)
	v_add_f64 v[1:2], v[1:2], v[15:16]
	s_and_not1_b32 exec_lo, exec_lo, s3
	s_cbranch_execnz .LBB108_165
; %bb.166:
	s_or_b32 exec_lo, exec_lo, s3
	v_mov_b32_e32 v7, 0
	ds_load_b128 v[7:10], v7 offset:608
	s_waitcnt lgkmcnt(0)
	v_mul_f64 v[11:12], v[1:2], v[9:10]
	v_mul_f64 v[15:16], v[3:4], v[9:10]
	s_delay_alu instid0(VALU_DEP_2) | instskip(NEXT) | instid1(VALU_DEP_2)
	v_fma_f64 v[9:10], v[3:4], v[7:8], -v[11:12]
	v_fma_f64 v[11:12], v[1:2], v[7:8], v[15:16]
	scratch_store_b128 off, v[9:12], off offset:608
.LBB108_167:
	s_or_b32 exec_lo, exec_lo, s2
	s_waitcnt_vscnt null, 0x0
	s_barrier
	buffer_gl0_inv
	scratch_load_b128 v[1:4], v149, off
	s_mov_b32 s2, exec_lo
	s_waitcnt vmcnt(0)
	ds_store_b128 v5, v[1:4]
	s_waitcnt lgkmcnt(0)
	s_barrier
	buffer_gl0_inv
	v_cmpx_gt_u32_e32 39, v136
	s_cbranch_execz .LBB108_171
; %bb.168:
	v_dual_mov_b32 v1, 0 :: v_dual_add_nc_u32 v8, 0x2d0, v13
	v_dual_mov_b32 v2, 0 :: v_dual_add_nc_u32 v7, -1, v136
	v_or_b32_e32 v9, 8, v14
	s_mov_b32 s3, 0
	s_delay_alu instid0(VALU_DEP_2)
	v_dual_mov_b32 v4, v2 :: v_dual_mov_b32 v3, v1
	.p2align	6
.LBB108_169:                            ; =>This Inner Loop Header: Depth=1
	scratch_load_b128 v[15:18], v9, off offset:-8
	ds_load_b128 v[19:22], v8
	v_add_nc_u32_e32 v7, 1, v7
	v_add_nc_u32_e32 v8, 16, v8
	v_add_nc_u32_e32 v9, 16, v9
	s_delay_alu instid0(VALU_DEP_3) | instskip(SKIP_4) | instid1(VALU_DEP_2)
	v_cmp_lt_u32_e32 vcc_lo, 37, v7
	s_or_b32 s3, vcc_lo, s3
	s_waitcnt vmcnt(0) lgkmcnt(0)
	v_mul_f64 v[10:11], v[21:22], v[17:18]
	v_mul_f64 v[17:18], v[19:20], v[17:18]
	v_fma_f64 v[10:11], v[19:20], v[15:16], -v[10:11]
	s_delay_alu instid0(VALU_DEP_2) | instskip(NEXT) | instid1(VALU_DEP_2)
	v_fma_f64 v[15:16], v[21:22], v[15:16], v[17:18]
	v_add_f64 v[3:4], v[3:4], v[10:11]
	s_delay_alu instid0(VALU_DEP_2)
	v_add_f64 v[1:2], v[1:2], v[15:16]
	s_and_not1_b32 exec_lo, exec_lo, s3
	s_cbranch_execnz .LBB108_169
; %bb.170:
	s_or_b32 exec_lo, exec_lo, s3
	v_mov_b32_e32 v7, 0
	ds_load_b128 v[7:10], v7 offset:624
	s_waitcnt lgkmcnt(0)
	v_mul_f64 v[11:12], v[1:2], v[9:10]
	v_mul_f64 v[15:16], v[3:4], v[9:10]
	s_delay_alu instid0(VALU_DEP_2) | instskip(NEXT) | instid1(VALU_DEP_2)
	v_fma_f64 v[9:10], v[3:4], v[7:8], -v[11:12]
	v_fma_f64 v[11:12], v[1:2], v[7:8], v[15:16]
	scratch_store_b128 off, v[9:12], off offset:624
.LBB108_171:
	s_or_b32 exec_lo, exec_lo, s2
	s_waitcnt_vscnt null, 0x0
	s_barrier
	buffer_gl0_inv
	scratch_load_b128 v[1:4], v148, off
	s_mov_b32 s2, exec_lo
	s_waitcnt vmcnt(0)
	ds_store_b128 v5, v[1:4]
	s_waitcnt lgkmcnt(0)
	s_barrier
	buffer_gl0_inv
	v_cmpx_gt_u32_e32 40, v136
	s_cbranch_execz .LBB108_175
; %bb.172:
	v_dual_mov_b32 v1, 0 :: v_dual_add_nc_u32 v8, 0x2d0, v13
	v_dual_mov_b32 v2, 0 :: v_dual_add_nc_u32 v7, -1, v136
	v_or_b32_e32 v9, 8, v14
	s_mov_b32 s3, 0
	s_delay_alu instid0(VALU_DEP_2)
	v_dual_mov_b32 v4, v2 :: v_dual_mov_b32 v3, v1
	.p2align	6
.LBB108_173:                            ; =>This Inner Loop Header: Depth=1
	scratch_load_b128 v[15:18], v9, off offset:-8
	ds_load_b128 v[19:22], v8
	v_add_nc_u32_e32 v7, 1, v7
	v_add_nc_u32_e32 v8, 16, v8
	;; [unrolled: 1-line block ×3, first 2 shown]
	s_delay_alu instid0(VALU_DEP_3) | instskip(SKIP_4) | instid1(VALU_DEP_2)
	v_cmp_lt_u32_e32 vcc_lo, 38, v7
	s_or_b32 s3, vcc_lo, s3
	s_waitcnt vmcnt(0) lgkmcnt(0)
	v_mul_f64 v[10:11], v[21:22], v[17:18]
	v_mul_f64 v[17:18], v[19:20], v[17:18]
	v_fma_f64 v[10:11], v[19:20], v[15:16], -v[10:11]
	s_delay_alu instid0(VALU_DEP_2) | instskip(NEXT) | instid1(VALU_DEP_2)
	v_fma_f64 v[15:16], v[21:22], v[15:16], v[17:18]
	v_add_f64 v[3:4], v[3:4], v[10:11]
	s_delay_alu instid0(VALU_DEP_2)
	v_add_f64 v[1:2], v[1:2], v[15:16]
	s_and_not1_b32 exec_lo, exec_lo, s3
	s_cbranch_execnz .LBB108_173
; %bb.174:
	s_or_b32 exec_lo, exec_lo, s3
	v_mov_b32_e32 v7, 0
	ds_load_b128 v[7:10], v7 offset:640
	s_waitcnt lgkmcnt(0)
	v_mul_f64 v[11:12], v[1:2], v[9:10]
	v_mul_f64 v[15:16], v[3:4], v[9:10]
	s_delay_alu instid0(VALU_DEP_2) | instskip(NEXT) | instid1(VALU_DEP_2)
	v_fma_f64 v[9:10], v[3:4], v[7:8], -v[11:12]
	v_fma_f64 v[11:12], v[1:2], v[7:8], v[15:16]
	scratch_store_b128 off, v[9:12], off offset:640
.LBB108_175:
	s_or_b32 exec_lo, exec_lo, s2
	s_waitcnt_vscnt null, 0x0
	s_barrier
	buffer_gl0_inv
	scratch_load_b128 v[1:4], v145, off
	s_mov_b32 s2, exec_lo
	s_waitcnt vmcnt(0)
	ds_store_b128 v5, v[1:4]
	s_waitcnt lgkmcnt(0)
	s_barrier
	buffer_gl0_inv
	v_cmpx_gt_u32_e32 41, v136
	s_cbranch_execz .LBB108_179
; %bb.176:
	v_dual_mov_b32 v1, 0 :: v_dual_add_nc_u32 v8, 0x2d0, v13
	v_dual_mov_b32 v2, 0 :: v_dual_add_nc_u32 v7, -1, v136
	v_or_b32_e32 v9, 8, v14
	s_mov_b32 s3, 0
	s_delay_alu instid0(VALU_DEP_2)
	v_dual_mov_b32 v4, v2 :: v_dual_mov_b32 v3, v1
	.p2align	6
.LBB108_177:                            ; =>This Inner Loop Header: Depth=1
	scratch_load_b128 v[15:18], v9, off offset:-8
	ds_load_b128 v[19:22], v8
	v_add_nc_u32_e32 v7, 1, v7
	v_add_nc_u32_e32 v8, 16, v8
	;; [unrolled: 1-line block ×3, first 2 shown]
	s_delay_alu instid0(VALU_DEP_3) | instskip(SKIP_4) | instid1(VALU_DEP_2)
	v_cmp_lt_u32_e32 vcc_lo, 39, v7
	s_or_b32 s3, vcc_lo, s3
	s_waitcnt vmcnt(0) lgkmcnt(0)
	v_mul_f64 v[10:11], v[21:22], v[17:18]
	v_mul_f64 v[17:18], v[19:20], v[17:18]
	v_fma_f64 v[10:11], v[19:20], v[15:16], -v[10:11]
	s_delay_alu instid0(VALU_DEP_2) | instskip(NEXT) | instid1(VALU_DEP_2)
	v_fma_f64 v[15:16], v[21:22], v[15:16], v[17:18]
	v_add_f64 v[3:4], v[3:4], v[10:11]
	s_delay_alu instid0(VALU_DEP_2)
	v_add_f64 v[1:2], v[1:2], v[15:16]
	s_and_not1_b32 exec_lo, exec_lo, s3
	s_cbranch_execnz .LBB108_177
; %bb.178:
	s_or_b32 exec_lo, exec_lo, s3
	v_mov_b32_e32 v7, 0
	ds_load_b128 v[7:10], v7 offset:656
	s_waitcnt lgkmcnt(0)
	v_mul_f64 v[11:12], v[1:2], v[9:10]
	v_mul_f64 v[15:16], v[3:4], v[9:10]
	s_delay_alu instid0(VALU_DEP_2) | instskip(NEXT) | instid1(VALU_DEP_2)
	v_fma_f64 v[9:10], v[3:4], v[7:8], -v[11:12]
	v_fma_f64 v[11:12], v[1:2], v[7:8], v[15:16]
	scratch_store_b128 off, v[9:12], off offset:656
.LBB108_179:
	s_or_b32 exec_lo, exec_lo, s2
	s_waitcnt_vscnt null, 0x0
	s_barrier
	buffer_gl0_inv
	scratch_load_b128 v[1:4], v143, off
	s_mov_b32 s2, exec_lo
	s_waitcnt vmcnt(0)
	ds_store_b128 v5, v[1:4]
	s_waitcnt lgkmcnt(0)
	s_barrier
	buffer_gl0_inv
	v_cmpx_gt_u32_e32 42, v136
	s_cbranch_execz .LBB108_183
; %bb.180:
	v_dual_mov_b32 v1, 0 :: v_dual_add_nc_u32 v8, 0x2d0, v13
	v_dual_mov_b32 v2, 0 :: v_dual_add_nc_u32 v7, -1, v136
	v_or_b32_e32 v9, 8, v14
	s_mov_b32 s3, 0
	s_delay_alu instid0(VALU_DEP_2)
	v_dual_mov_b32 v4, v2 :: v_dual_mov_b32 v3, v1
	.p2align	6
.LBB108_181:                            ; =>This Inner Loop Header: Depth=1
	scratch_load_b128 v[15:18], v9, off offset:-8
	ds_load_b128 v[19:22], v8
	v_add_nc_u32_e32 v7, 1, v7
	v_add_nc_u32_e32 v8, 16, v8
	;; [unrolled: 1-line block ×3, first 2 shown]
	s_delay_alu instid0(VALU_DEP_3) | instskip(SKIP_4) | instid1(VALU_DEP_2)
	v_cmp_lt_u32_e32 vcc_lo, 40, v7
	s_or_b32 s3, vcc_lo, s3
	s_waitcnt vmcnt(0) lgkmcnt(0)
	v_mul_f64 v[10:11], v[21:22], v[17:18]
	v_mul_f64 v[17:18], v[19:20], v[17:18]
	v_fma_f64 v[10:11], v[19:20], v[15:16], -v[10:11]
	s_delay_alu instid0(VALU_DEP_2) | instskip(NEXT) | instid1(VALU_DEP_2)
	v_fma_f64 v[15:16], v[21:22], v[15:16], v[17:18]
	v_add_f64 v[3:4], v[3:4], v[10:11]
	s_delay_alu instid0(VALU_DEP_2)
	v_add_f64 v[1:2], v[1:2], v[15:16]
	s_and_not1_b32 exec_lo, exec_lo, s3
	s_cbranch_execnz .LBB108_181
; %bb.182:
	s_or_b32 exec_lo, exec_lo, s3
	v_mov_b32_e32 v7, 0
	ds_load_b128 v[7:10], v7 offset:672
	s_waitcnt lgkmcnt(0)
	v_mul_f64 v[11:12], v[1:2], v[9:10]
	v_mul_f64 v[15:16], v[3:4], v[9:10]
	s_delay_alu instid0(VALU_DEP_2) | instskip(NEXT) | instid1(VALU_DEP_2)
	v_fma_f64 v[9:10], v[3:4], v[7:8], -v[11:12]
	v_fma_f64 v[11:12], v[1:2], v[7:8], v[15:16]
	scratch_store_b128 off, v[9:12], off offset:672
.LBB108_183:
	s_or_b32 exec_lo, exec_lo, s2
	s_waitcnt_vscnt null, 0x0
	s_barrier
	buffer_gl0_inv
	scratch_load_b128 v[1:4], v141, off
	s_mov_b32 s2, exec_lo
	s_waitcnt vmcnt(0)
	ds_store_b128 v5, v[1:4]
	s_waitcnt lgkmcnt(0)
	s_barrier
	buffer_gl0_inv
	v_cmpx_gt_u32_e32 43, v136
	s_cbranch_execz .LBB108_187
; %bb.184:
	v_dual_mov_b32 v1, 0 :: v_dual_add_nc_u32 v8, 0x2d0, v13
	v_dual_mov_b32 v2, 0 :: v_dual_add_nc_u32 v7, -1, v136
	v_or_b32_e32 v9, 8, v14
	s_mov_b32 s3, 0
	s_delay_alu instid0(VALU_DEP_2)
	v_dual_mov_b32 v4, v2 :: v_dual_mov_b32 v3, v1
	.p2align	6
.LBB108_185:                            ; =>This Inner Loop Header: Depth=1
	scratch_load_b128 v[10:13], v9, off offset:-8
	ds_load_b128 v[15:18], v8
	v_add_nc_u32_e32 v7, 1, v7
	v_add_nc_u32_e32 v8, 16, v8
	;; [unrolled: 1-line block ×3, first 2 shown]
	s_delay_alu instid0(VALU_DEP_3) | instskip(SKIP_4) | instid1(VALU_DEP_2)
	v_cmp_lt_u32_e32 vcc_lo, 41, v7
	s_or_b32 s3, vcc_lo, s3
	s_waitcnt vmcnt(0) lgkmcnt(0)
	v_mul_f64 v[19:20], v[17:18], v[12:13]
	v_mul_f64 v[12:13], v[15:16], v[12:13]
	v_fma_f64 v[15:16], v[15:16], v[10:11], -v[19:20]
	s_delay_alu instid0(VALU_DEP_2) | instskip(NEXT) | instid1(VALU_DEP_2)
	v_fma_f64 v[10:11], v[17:18], v[10:11], v[12:13]
	v_add_f64 v[3:4], v[3:4], v[15:16]
	s_delay_alu instid0(VALU_DEP_2)
	v_add_f64 v[1:2], v[1:2], v[10:11]
	s_and_not1_b32 exec_lo, exec_lo, s3
	s_cbranch_execnz .LBB108_185
; %bb.186:
	s_or_b32 exec_lo, exec_lo, s3
	v_mov_b32_e32 v7, 0
	ds_load_b128 v[7:10], v7 offset:688
	s_waitcnt lgkmcnt(0)
	v_mul_f64 v[11:12], v[1:2], v[9:10]
	v_mul_f64 v[15:16], v[3:4], v[9:10]
	s_delay_alu instid0(VALU_DEP_2) | instskip(NEXT) | instid1(VALU_DEP_2)
	v_fma_f64 v[9:10], v[3:4], v[7:8], -v[11:12]
	v_fma_f64 v[11:12], v[1:2], v[7:8], v[15:16]
	scratch_store_b128 off, v[9:12], off offset:688
.LBB108_187:
	s_or_b32 exec_lo, exec_lo, s2
	s_waitcnt_vscnt null, 0x0
	s_barrier
	buffer_gl0_inv
	scratch_load_b128 v[1:4], v139, off
	s_mov_b32 s2, exec_lo
	s_waitcnt vmcnt(0)
	ds_store_b128 v5, v[1:4]
	s_waitcnt lgkmcnt(0)
	s_barrier
	buffer_gl0_inv
	v_cmpx_ne_u32_e32 44, v136
	s_cbranch_execz .LBB108_191
; %bb.188:
	v_mov_b32_e32 v1, 0
	v_mov_b32_e32 v2, 0
	v_or_b32_e32 v7, 8, v14
	s_mov_b32 s3, 0
	s_delay_alu instid0(VALU_DEP_2)
	v_dual_mov_b32 v4, v2 :: v_dual_mov_b32 v3, v1
	.p2align	6
.LBB108_189:                            ; =>This Inner Loop Header: Depth=1
	scratch_load_b128 v[8:11], v7, off offset:-8
	ds_load_b128 v[12:15], v5
	v_add_nc_u32_e32 v6, 1, v6
	v_add_nc_u32_e32 v5, 16, v5
	;; [unrolled: 1-line block ×3, first 2 shown]
	s_delay_alu instid0(VALU_DEP_3) | instskip(SKIP_4) | instid1(VALU_DEP_2)
	v_cmp_lt_u32_e32 vcc_lo, 42, v6
	s_or_b32 s3, vcc_lo, s3
	s_waitcnt vmcnt(0) lgkmcnt(0)
	v_mul_f64 v[16:17], v[14:15], v[10:11]
	v_mul_f64 v[10:11], v[12:13], v[10:11]
	v_fma_f64 v[12:13], v[12:13], v[8:9], -v[16:17]
	s_delay_alu instid0(VALU_DEP_2) | instskip(NEXT) | instid1(VALU_DEP_2)
	v_fma_f64 v[8:9], v[14:15], v[8:9], v[10:11]
	v_add_f64 v[3:4], v[3:4], v[12:13]
	s_delay_alu instid0(VALU_DEP_2)
	v_add_f64 v[1:2], v[1:2], v[8:9]
	s_and_not1_b32 exec_lo, exec_lo, s3
	s_cbranch_execnz .LBB108_189
; %bb.190:
	s_or_b32 exec_lo, exec_lo, s3
	v_mov_b32_e32 v5, 0
	ds_load_b128 v[5:8], v5 offset:704
	s_waitcnt lgkmcnt(0)
	v_mul_f64 v[9:10], v[1:2], v[7:8]
	v_mul_f64 v[7:8], v[3:4], v[7:8]
	s_delay_alu instid0(VALU_DEP_2) | instskip(NEXT) | instid1(VALU_DEP_2)
	v_fma_f64 v[3:4], v[3:4], v[5:6], -v[9:10]
	v_fma_f64 v[5:6], v[1:2], v[5:6], v[7:8]
	scratch_store_b128 off, v[3:6], off offset:704
.LBB108_191:
	s_or_b32 exec_lo, exec_lo, s2
	s_mov_b32 s3, -1
	s_waitcnt_vscnt null, 0x0
	s_barrier
	buffer_gl0_inv
.LBB108_192:
	s_and_b32 vcc_lo, exec_lo, s3
	s_cbranch_vccz .LBB108_194
; %bb.193:
	s_lshl_b64 s[2:3], s[10:11], 2
	v_mov_b32_e32 v1, 0
	s_add_u32 s2, s6, s2
	s_addc_u32 s3, s7, s3
	global_load_b32 v1, v1, s[2:3]
	s_waitcnt vmcnt(0)
	v_cmp_ne_u32_e32 vcc_lo, 0, v1
	s_cbranch_vccz .LBB108_195
.LBB108_194:
	s_endpgm
.LBB108_195:
	v_lshl_add_u32 v181, v136, 4, 0x2d0
	s_mov_b32 s2, exec_lo
	v_cmpx_eq_u32_e32 44, v136
	s_cbranch_execz .LBB108_197
; %bb.196:
	scratch_load_b128 v[1:4], v141, off
	v_mov_b32_e32 v5, 0
	s_delay_alu instid0(VALU_DEP_1)
	v_mov_b32_e32 v6, v5
	v_mov_b32_e32 v7, v5
	;; [unrolled: 1-line block ×3, first 2 shown]
	scratch_store_b128 off, v[5:8], off offset:688
	s_waitcnt vmcnt(0)
	ds_store_b128 v181, v[1:4]
.LBB108_197:
	s_or_b32 exec_lo, exec_lo, s2
	s_waitcnt lgkmcnt(0)
	s_waitcnt_vscnt null, 0x0
	s_barrier
	buffer_gl0_inv
	s_clause 0x1
	scratch_load_b128 v[2:5], off, off offset:704
	scratch_load_b128 v[6:9], off, off offset:688
	v_mov_b32_e32 v1, 0
	s_mov_b32 s2, exec_lo
	ds_load_b128 v[10:13], v1 offset:1424
	s_waitcnt vmcnt(1) lgkmcnt(0)
	v_mul_f64 v[14:15], v[12:13], v[4:5]
	v_mul_f64 v[4:5], v[10:11], v[4:5]
	s_delay_alu instid0(VALU_DEP_2) | instskip(NEXT) | instid1(VALU_DEP_2)
	v_fma_f64 v[10:11], v[10:11], v[2:3], -v[14:15]
	v_fma_f64 v[2:3], v[12:13], v[2:3], v[4:5]
	s_delay_alu instid0(VALU_DEP_2) | instskip(NEXT) | instid1(VALU_DEP_2)
	v_add_f64 v[4:5], v[10:11], 0
	v_add_f64 v[10:11], v[2:3], 0
	s_waitcnt vmcnt(0)
	s_delay_alu instid0(VALU_DEP_2) | instskip(NEXT) | instid1(VALU_DEP_2)
	v_add_f64 v[2:3], v[6:7], -v[4:5]
	v_add_f64 v[4:5], v[8:9], -v[10:11]
	scratch_store_b128 off, v[2:5], off offset:688
	v_cmpx_lt_u32_e32 42, v136
	s_cbranch_execz .LBB108_199
; %bb.198:
	scratch_load_b128 v[5:8], v143, off
	v_mov_b32_e32 v2, v1
	v_mov_b32_e32 v3, v1
	v_mov_b32_e32 v4, v1
	scratch_store_b128 off, v[1:4], off offset:672
	s_waitcnt vmcnt(0)
	ds_store_b128 v181, v[5:8]
.LBB108_199:
	s_or_b32 exec_lo, exec_lo, s2
	s_waitcnt lgkmcnt(0)
	s_waitcnt_vscnt null, 0x0
	s_barrier
	buffer_gl0_inv
	s_clause 0x2
	scratch_load_b128 v[2:5], off, off offset:688
	scratch_load_b128 v[6:9], off, off offset:704
	;; [unrolled: 1-line block ×3, first 2 shown]
	ds_load_b128 v[14:17], v1 offset:1408
	ds_load_b128 v[18:21], v1 offset:1424
	s_mov_b32 s2, exec_lo
	s_waitcnt vmcnt(2) lgkmcnt(1)
	v_mul_f64 v[22:23], v[16:17], v[4:5]
	v_mul_f64 v[4:5], v[14:15], v[4:5]
	s_waitcnt vmcnt(1) lgkmcnt(0)
	v_mul_f64 v[24:25], v[18:19], v[8:9]
	v_mul_f64 v[8:9], v[20:21], v[8:9]
	s_delay_alu instid0(VALU_DEP_4) | instskip(NEXT) | instid1(VALU_DEP_4)
	v_fma_f64 v[14:15], v[14:15], v[2:3], -v[22:23]
	v_fma_f64 v[1:2], v[16:17], v[2:3], v[4:5]
	s_delay_alu instid0(VALU_DEP_4) | instskip(NEXT) | instid1(VALU_DEP_4)
	v_fma_f64 v[3:4], v[20:21], v[6:7], v[24:25]
	v_fma_f64 v[5:6], v[18:19], v[6:7], -v[8:9]
	s_delay_alu instid0(VALU_DEP_4) | instskip(NEXT) | instid1(VALU_DEP_4)
	v_add_f64 v[7:8], v[14:15], 0
	v_add_f64 v[1:2], v[1:2], 0
	s_delay_alu instid0(VALU_DEP_2) | instskip(NEXT) | instid1(VALU_DEP_2)
	v_add_f64 v[5:6], v[7:8], v[5:6]
	v_add_f64 v[3:4], v[1:2], v[3:4]
	s_waitcnt vmcnt(0)
	s_delay_alu instid0(VALU_DEP_2) | instskip(NEXT) | instid1(VALU_DEP_2)
	v_add_f64 v[1:2], v[10:11], -v[5:6]
	v_add_f64 v[3:4], v[12:13], -v[3:4]
	scratch_store_b128 off, v[1:4], off offset:672
	v_cmpx_lt_u32_e32 41, v136
	s_cbranch_execz .LBB108_201
; %bb.200:
	scratch_load_b128 v[1:4], v145, off
	v_mov_b32_e32 v5, 0
	s_delay_alu instid0(VALU_DEP_1)
	v_mov_b32_e32 v6, v5
	v_mov_b32_e32 v7, v5
	;; [unrolled: 1-line block ×3, first 2 shown]
	scratch_store_b128 off, v[5:8], off offset:656
	s_waitcnt vmcnt(0)
	ds_store_b128 v181, v[1:4]
.LBB108_201:
	s_or_b32 exec_lo, exec_lo, s2
	s_waitcnt lgkmcnt(0)
	s_waitcnt_vscnt null, 0x0
	s_barrier
	buffer_gl0_inv
	s_clause 0x3
	scratch_load_b128 v[2:5], off, off offset:672
	scratch_load_b128 v[6:9], off, off offset:688
	;; [unrolled: 1-line block ×4, first 2 shown]
	v_mov_b32_e32 v1, 0
	ds_load_b128 v[18:21], v1 offset:1392
	ds_load_b128 v[22:25], v1 offset:1408
	s_mov_b32 s2, exec_lo
	s_waitcnt vmcnt(3) lgkmcnt(1)
	v_mul_f64 v[26:27], v[20:21], v[4:5]
	v_mul_f64 v[4:5], v[18:19], v[4:5]
	s_waitcnt vmcnt(2) lgkmcnt(0)
	v_mul_f64 v[28:29], v[22:23], v[8:9]
	v_mul_f64 v[8:9], v[24:25], v[8:9]
	s_delay_alu instid0(VALU_DEP_4) | instskip(NEXT) | instid1(VALU_DEP_4)
	v_fma_f64 v[18:19], v[18:19], v[2:3], -v[26:27]
	v_fma_f64 v[20:21], v[20:21], v[2:3], v[4:5]
	ds_load_b128 v[2:5], v1 offset:1424
	v_fma_f64 v[24:25], v[24:25], v[6:7], v[28:29]
	v_fma_f64 v[6:7], v[22:23], v[6:7], -v[8:9]
	s_waitcnt vmcnt(1) lgkmcnt(0)
	v_mul_f64 v[26:27], v[2:3], v[12:13]
	v_mul_f64 v[12:13], v[4:5], v[12:13]
	v_add_f64 v[8:9], v[18:19], 0
	v_add_f64 v[18:19], v[20:21], 0
	s_delay_alu instid0(VALU_DEP_4) | instskip(NEXT) | instid1(VALU_DEP_4)
	v_fma_f64 v[4:5], v[4:5], v[10:11], v[26:27]
	v_fma_f64 v[2:3], v[2:3], v[10:11], -v[12:13]
	s_delay_alu instid0(VALU_DEP_4) | instskip(NEXT) | instid1(VALU_DEP_4)
	v_add_f64 v[6:7], v[8:9], v[6:7]
	v_add_f64 v[8:9], v[18:19], v[24:25]
	s_delay_alu instid0(VALU_DEP_2) | instskip(NEXT) | instid1(VALU_DEP_2)
	v_add_f64 v[2:3], v[6:7], v[2:3]
	v_add_f64 v[4:5], v[8:9], v[4:5]
	s_waitcnt vmcnt(0)
	s_delay_alu instid0(VALU_DEP_2) | instskip(NEXT) | instid1(VALU_DEP_2)
	v_add_f64 v[2:3], v[14:15], -v[2:3]
	v_add_f64 v[4:5], v[16:17], -v[4:5]
	scratch_store_b128 off, v[2:5], off offset:656
	v_cmpx_lt_u32_e32 40, v136
	s_cbranch_execz .LBB108_203
; %bb.202:
	scratch_load_b128 v[5:8], v148, off
	v_mov_b32_e32 v2, v1
	v_mov_b32_e32 v3, v1
	;; [unrolled: 1-line block ×3, first 2 shown]
	scratch_store_b128 off, v[1:4], off offset:640
	s_waitcnt vmcnt(0)
	ds_store_b128 v181, v[5:8]
.LBB108_203:
	s_or_b32 exec_lo, exec_lo, s2
	s_waitcnt lgkmcnt(0)
	s_waitcnt_vscnt null, 0x0
	s_barrier
	buffer_gl0_inv
	s_clause 0x4
	scratch_load_b128 v[2:5], off, off offset:656
	scratch_load_b128 v[6:9], off, off offset:672
	;; [unrolled: 1-line block ×5, first 2 shown]
	ds_load_b128 v[22:25], v1 offset:1376
	ds_load_b128 v[26:29], v1 offset:1392
	s_mov_b32 s2, exec_lo
	s_waitcnt vmcnt(4) lgkmcnt(1)
	v_mul_f64 v[30:31], v[24:25], v[4:5]
	v_mul_f64 v[4:5], v[22:23], v[4:5]
	s_waitcnt vmcnt(3) lgkmcnt(0)
	v_mul_f64 v[32:33], v[26:27], v[8:9]
	v_mul_f64 v[8:9], v[28:29], v[8:9]
	s_delay_alu instid0(VALU_DEP_4) | instskip(NEXT) | instid1(VALU_DEP_4)
	v_fma_f64 v[30:31], v[22:23], v[2:3], -v[30:31]
	v_fma_f64 v[34:35], v[24:25], v[2:3], v[4:5]
	ds_load_b128 v[2:5], v1 offset:1408
	ds_load_b128 v[22:25], v1 offset:1424
	v_fma_f64 v[28:29], v[28:29], v[6:7], v[32:33]
	v_fma_f64 v[6:7], v[26:27], v[6:7], -v[8:9]
	s_waitcnt vmcnt(2) lgkmcnt(1)
	v_mul_f64 v[36:37], v[2:3], v[12:13]
	v_mul_f64 v[12:13], v[4:5], v[12:13]
	v_add_f64 v[8:9], v[30:31], 0
	v_add_f64 v[26:27], v[34:35], 0
	s_waitcnt vmcnt(1) lgkmcnt(0)
	v_mul_f64 v[30:31], v[22:23], v[16:17]
	v_mul_f64 v[16:17], v[24:25], v[16:17]
	v_fma_f64 v[4:5], v[4:5], v[10:11], v[36:37]
	v_fma_f64 v[1:2], v[2:3], v[10:11], -v[12:13]
	v_add_f64 v[6:7], v[8:9], v[6:7]
	v_add_f64 v[8:9], v[26:27], v[28:29]
	v_fma_f64 v[10:11], v[24:25], v[14:15], v[30:31]
	v_fma_f64 v[12:13], v[22:23], v[14:15], -v[16:17]
	s_delay_alu instid0(VALU_DEP_4) | instskip(NEXT) | instid1(VALU_DEP_4)
	v_add_f64 v[1:2], v[6:7], v[1:2]
	v_add_f64 v[3:4], v[8:9], v[4:5]
	s_delay_alu instid0(VALU_DEP_2) | instskip(NEXT) | instid1(VALU_DEP_2)
	v_add_f64 v[1:2], v[1:2], v[12:13]
	v_add_f64 v[3:4], v[3:4], v[10:11]
	s_waitcnt vmcnt(0)
	s_delay_alu instid0(VALU_DEP_2) | instskip(NEXT) | instid1(VALU_DEP_2)
	v_add_f64 v[1:2], v[18:19], -v[1:2]
	v_add_f64 v[3:4], v[20:21], -v[3:4]
	scratch_store_b128 off, v[1:4], off offset:640
	v_cmpx_lt_u32_e32 39, v136
	s_cbranch_execz .LBB108_205
; %bb.204:
	scratch_load_b128 v[1:4], v149, off
	v_mov_b32_e32 v5, 0
	s_delay_alu instid0(VALU_DEP_1)
	v_mov_b32_e32 v6, v5
	v_mov_b32_e32 v7, v5
	;; [unrolled: 1-line block ×3, first 2 shown]
	scratch_store_b128 off, v[5:8], off offset:624
	s_waitcnt vmcnt(0)
	ds_store_b128 v181, v[1:4]
.LBB108_205:
	s_or_b32 exec_lo, exec_lo, s2
	s_waitcnt lgkmcnt(0)
	s_waitcnt_vscnt null, 0x0
	s_barrier
	buffer_gl0_inv
	s_clause 0x5
	scratch_load_b128 v[2:5], off, off offset:640
	scratch_load_b128 v[6:9], off, off offset:656
	;; [unrolled: 1-line block ×6, first 2 shown]
	v_mov_b32_e32 v1, 0
	ds_load_b128 v[26:29], v1 offset:1360
	ds_load_b128 v[30:33], v1 offset:1376
	s_mov_b32 s2, exec_lo
	s_waitcnt vmcnt(5) lgkmcnt(1)
	v_mul_f64 v[34:35], v[28:29], v[4:5]
	v_mul_f64 v[4:5], v[26:27], v[4:5]
	s_waitcnt vmcnt(4) lgkmcnt(0)
	v_mul_f64 v[36:37], v[30:31], v[8:9]
	v_mul_f64 v[8:9], v[32:33], v[8:9]
	s_delay_alu instid0(VALU_DEP_4) | instskip(NEXT) | instid1(VALU_DEP_4)
	v_fma_f64 v[34:35], v[26:27], v[2:3], -v[34:35]
	v_fma_f64 v[38:39], v[28:29], v[2:3], v[4:5]
	ds_load_b128 v[2:5], v1 offset:1392
	ds_load_b128 v[26:29], v1 offset:1408
	v_fma_f64 v[32:33], v[32:33], v[6:7], v[36:37]
	v_fma_f64 v[6:7], v[30:31], v[6:7], -v[8:9]
	s_waitcnt vmcnt(3) lgkmcnt(1)
	v_mul_f64 v[40:41], v[2:3], v[12:13]
	v_mul_f64 v[12:13], v[4:5], v[12:13]
	v_add_f64 v[8:9], v[34:35], 0
	v_add_f64 v[30:31], v[38:39], 0
	s_waitcnt vmcnt(2) lgkmcnt(0)
	v_mul_f64 v[34:35], v[26:27], v[16:17]
	v_mul_f64 v[16:17], v[28:29], v[16:17]
	v_fma_f64 v[36:37], v[4:5], v[10:11], v[40:41]
	v_fma_f64 v[10:11], v[2:3], v[10:11], -v[12:13]
	ds_load_b128 v[2:5], v1 offset:1424
	v_add_f64 v[6:7], v[8:9], v[6:7]
	v_add_f64 v[8:9], v[30:31], v[32:33]
	v_fma_f64 v[28:29], v[28:29], v[14:15], v[34:35]
	v_fma_f64 v[14:15], v[26:27], v[14:15], -v[16:17]
	s_waitcnt vmcnt(1) lgkmcnt(0)
	v_mul_f64 v[12:13], v[2:3], v[20:21]
	v_mul_f64 v[20:21], v[4:5], v[20:21]
	v_add_f64 v[6:7], v[6:7], v[10:11]
	v_add_f64 v[8:9], v[8:9], v[36:37]
	s_delay_alu instid0(VALU_DEP_4) | instskip(NEXT) | instid1(VALU_DEP_4)
	v_fma_f64 v[4:5], v[4:5], v[18:19], v[12:13]
	v_fma_f64 v[2:3], v[2:3], v[18:19], -v[20:21]
	s_delay_alu instid0(VALU_DEP_4) | instskip(NEXT) | instid1(VALU_DEP_4)
	v_add_f64 v[6:7], v[6:7], v[14:15]
	v_add_f64 v[8:9], v[8:9], v[28:29]
	s_delay_alu instid0(VALU_DEP_2) | instskip(NEXT) | instid1(VALU_DEP_2)
	v_add_f64 v[2:3], v[6:7], v[2:3]
	v_add_f64 v[4:5], v[8:9], v[4:5]
	s_waitcnt vmcnt(0)
	s_delay_alu instid0(VALU_DEP_2) | instskip(NEXT) | instid1(VALU_DEP_2)
	v_add_f64 v[2:3], v[22:23], -v[2:3]
	v_add_f64 v[4:5], v[24:25], -v[4:5]
	scratch_store_b128 off, v[2:5], off offset:624
	v_cmpx_lt_u32_e32 38, v136
	s_cbranch_execz .LBB108_207
; %bb.206:
	scratch_load_b128 v[5:8], v152, off
	v_mov_b32_e32 v2, v1
	v_mov_b32_e32 v3, v1
	;; [unrolled: 1-line block ×3, first 2 shown]
	scratch_store_b128 off, v[1:4], off offset:608
	s_waitcnt vmcnt(0)
	ds_store_b128 v181, v[5:8]
.LBB108_207:
	s_or_b32 exec_lo, exec_lo, s2
	s_waitcnt lgkmcnt(0)
	s_waitcnt_vscnt null, 0x0
	s_barrier
	buffer_gl0_inv
	s_clause 0x5
	scratch_load_b128 v[2:5], off, off offset:624
	scratch_load_b128 v[6:9], off, off offset:640
	;; [unrolled: 1-line block ×6, first 2 shown]
	ds_load_b128 v[26:29], v1 offset:1344
	ds_load_b128 v[34:37], v1 offset:1360
	scratch_load_b128 v[30:33], off, off offset:608
	s_mov_b32 s2, exec_lo
	s_waitcnt vmcnt(6) lgkmcnt(1)
	v_mul_f64 v[38:39], v[28:29], v[4:5]
	v_mul_f64 v[4:5], v[26:27], v[4:5]
	s_waitcnt vmcnt(5) lgkmcnt(0)
	v_mul_f64 v[40:41], v[34:35], v[8:9]
	v_mul_f64 v[8:9], v[36:37], v[8:9]
	s_delay_alu instid0(VALU_DEP_4) | instskip(NEXT) | instid1(VALU_DEP_4)
	v_fma_f64 v[38:39], v[26:27], v[2:3], -v[38:39]
	v_fma_f64 v[42:43], v[28:29], v[2:3], v[4:5]
	ds_load_b128 v[2:5], v1 offset:1376
	ds_load_b128 v[26:29], v1 offset:1392
	v_fma_f64 v[36:37], v[36:37], v[6:7], v[40:41]
	v_fma_f64 v[6:7], v[34:35], v[6:7], -v[8:9]
	s_waitcnt vmcnt(4) lgkmcnt(1)
	v_mul_f64 v[44:45], v[2:3], v[12:13]
	v_mul_f64 v[12:13], v[4:5], v[12:13]
	v_add_f64 v[8:9], v[38:39], 0
	v_add_f64 v[34:35], v[42:43], 0
	s_waitcnt vmcnt(3) lgkmcnt(0)
	v_mul_f64 v[38:39], v[26:27], v[16:17]
	v_mul_f64 v[16:17], v[28:29], v[16:17]
	v_fma_f64 v[40:41], v[4:5], v[10:11], v[44:45]
	v_fma_f64 v[10:11], v[2:3], v[10:11], -v[12:13]
	v_add_f64 v[12:13], v[8:9], v[6:7]
	v_add_f64 v[34:35], v[34:35], v[36:37]
	ds_load_b128 v[2:5], v1 offset:1408
	ds_load_b128 v[6:9], v1 offset:1424
	v_fma_f64 v[28:29], v[28:29], v[14:15], v[38:39]
	v_fma_f64 v[14:15], v[26:27], v[14:15], -v[16:17]
	s_waitcnt vmcnt(2) lgkmcnt(1)
	v_mul_f64 v[36:37], v[2:3], v[20:21]
	v_mul_f64 v[20:21], v[4:5], v[20:21]
	s_waitcnt vmcnt(1) lgkmcnt(0)
	v_mul_f64 v[16:17], v[6:7], v[24:25]
	v_mul_f64 v[24:25], v[8:9], v[24:25]
	v_add_f64 v[10:11], v[12:13], v[10:11]
	v_add_f64 v[12:13], v[34:35], v[40:41]
	v_fma_f64 v[4:5], v[4:5], v[18:19], v[36:37]
	v_fma_f64 v[1:2], v[2:3], v[18:19], -v[20:21]
	v_fma_f64 v[8:9], v[8:9], v[22:23], v[16:17]
	v_fma_f64 v[6:7], v[6:7], v[22:23], -v[24:25]
	v_add_f64 v[10:11], v[10:11], v[14:15]
	v_add_f64 v[12:13], v[12:13], v[28:29]
	s_delay_alu instid0(VALU_DEP_2) | instskip(NEXT) | instid1(VALU_DEP_2)
	v_add_f64 v[1:2], v[10:11], v[1:2]
	v_add_f64 v[3:4], v[12:13], v[4:5]
	s_delay_alu instid0(VALU_DEP_2) | instskip(NEXT) | instid1(VALU_DEP_2)
	v_add_f64 v[1:2], v[1:2], v[6:7]
	v_add_f64 v[3:4], v[3:4], v[8:9]
	s_waitcnt vmcnt(0)
	s_delay_alu instid0(VALU_DEP_2) | instskip(NEXT) | instid1(VALU_DEP_2)
	v_add_f64 v[1:2], v[30:31], -v[1:2]
	v_add_f64 v[3:4], v[32:33], -v[3:4]
	scratch_store_b128 off, v[1:4], off offset:608
	v_cmpx_lt_u32_e32 37, v136
	s_cbranch_execz .LBB108_209
; %bb.208:
	scratch_load_b128 v[1:4], v154, off
	v_mov_b32_e32 v5, 0
	s_delay_alu instid0(VALU_DEP_1)
	v_mov_b32_e32 v6, v5
	v_mov_b32_e32 v7, v5
	v_mov_b32_e32 v8, v5
	scratch_store_b128 off, v[5:8], off offset:592
	s_waitcnt vmcnt(0)
	ds_store_b128 v181, v[1:4]
.LBB108_209:
	s_or_b32 exec_lo, exec_lo, s2
	s_waitcnt lgkmcnt(0)
	s_waitcnt_vscnt null, 0x0
	s_barrier
	buffer_gl0_inv
	s_clause 0x6
	scratch_load_b128 v[2:5], off, off offset:608
	scratch_load_b128 v[6:9], off, off offset:624
	scratch_load_b128 v[10:13], off, off offset:640
	scratch_load_b128 v[14:17], off, off offset:656
	scratch_load_b128 v[18:21], off, off offset:672
	scratch_load_b128 v[22:25], off, off offset:688
	scratch_load_b128 v[26:29], off, off offset:704
	v_mov_b32_e32 v1, 0
	scratch_load_b128 v[34:37], off, off offset:592
	s_mov_b32 s2, exec_lo
	ds_load_b128 v[30:33], v1 offset:1328
	ds_load_b128 v[38:41], v1 offset:1344
	s_waitcnt vmcnt(7) lgkmcnt(1)
	v_mul_f64 v[42:43], v[32:33], v[4:5]
	v_mul_f64 v[4:5], v[30:31], v[4:5]
	s_waitcnt vmcnt(6) lgkmcnt(0)
	v_mul_f64 v[44:45], v[38:39], v[8:9]
	v_mul_f64 v[8:9], v[40:41], v[8:9]
	s_delay_alu instid0(VALU_DEP_4) | instskip(NEXT) | instid1(VALU_DEP_4)
	v_fma_f64 v[42:43], v[30:31], v[2:3], -v[42:43]
	v_fma_f64 v[182:183], v[32:33], v[2:3], v[4:5]
	ds_load_b128 v[2:5], v1 offset:1360
	ds_load_b128 v[30:33], v1 offset:1376
	v_fma_f64 v[40:41], v[40:41], v[6:7], v[44:45]
	v_fma_f64 v[6:7], v[38:39], v[6:7], -v[8:9]
	s_waitcnt vmcnt(5) lgkmcnt(1)
	v_mul_f64 v[184:185], v[2:3], v[12:13]
	v_mul_f64 v[12:13], v[4:5], v[12:13]
	v_add_f64 v[8:9], v[42:43], 0
	v_add_f64 v[38:39], v[182:183], 0
	s_waitcnt vmcnt(4) lgkmcnt(0)
	v_mul_f64 v[42:43], v[30:31], v[16:17]
	v_mul_f64 v[16:17], v[32:33], v[16:17]
	v_fma_f64 v[44:45], v[4:5], v[10:11], v[184:185]
	v_fma_f64 v[10:11], v[2:3], v[10:11], -v[12:13]
	v_add_f64 v[12:13], v[8:9], v[6:7]
	v_add_f64 v[38:39], v[38:39], v[40:41]
	ds_load_b128 v[2:5], v1 offset:1392
	ds_load_b128 v[6:9], v1 offset:1408
	v_fma_f64 v[32:33], v[32:33], v[14:15], v[42:43]
	v_fma_f64 v[14:15], v[30:31], v[14:15], -v[16:17]
	s_waitcnt vmcnt(3) lgkmcnt(1)
	v_mul_f64 v[40:41], v[2:3], v[20:21]
	v_mul_f64 v[20:21], v[4:5], v[20:21]
	s_waitcnt vmcnt(2) lgkmcnt(0)
	v_mul_f64 v[16:17], v[6:7], v[24:25]
	v_mul_f64 v[24:25], v[8:9], v[24:25]
	v_add_f64 v[10:11], v[12:13], v[10:11]
	v_add_f64 v[12:13], v[38:39], v[44:45]
	v_fma_f64 v[30:31], v[4:5], v[18:19], v[40:41]
	v_fma_f64 v[18:19], v[2:3], v[18:19], -v[20:21]
	ds_load_b128 v[2:5], v1 offset:1424
	v_fma_f64 v[8:9], v[8:9], v[22:23], v[16:17]
	v_fma_f64 v[6:7], v[6:7], v[22:23], -v[24:25]
	v_add_f64 v[10:11], v[10:11], v[14:15]
	v_add_f64 v[12:13], v[12:13], v[32:33]
	s_waitcnt vmcnt(1) lgkmcnt(0)
	v_mul_f64 v[14:15], v[2:3], v[28:29]
	v_mul_f64 v[20:21], v[4:5], v[28:29]
	s_delay_alu instid0(VALU_DEP_4) | instskip(NEXT) | instid1(VALU_DEP_4)
	v_add_f64 v[10:11], v[10:11], v[18:19]
	v_add_f64 v[12:13], v[12:13], v[30:31]
	s_delay_alu instid0(VALU_DEP_4) | instskip(NEXT) | instid1(VALU_DEP_4)
	v_fma_f64 v[4:5], v[4:5], v[26:27], v[14:15]
	v_fma_f64 v[2:3], v[2:3], v[26:27], -v[20:21]
	s_delay_alu instid0(VALU_DEP_4) | instskip(NEXT) | instid1(VALU_DEP_4)
	v_add_f64 v[6:7], v[10:11], v[6:7]
	v_add_f64 v[8:9], v[12:13], v[8:9]
	s_delay_alu instid0(VALU_DEP_2) | instskip(NEXT) | instid1(VALU_DEP_2)
	v_add_f64 v[2:3], v[6:7], v[2:3]
	v_add_f64 v[4:5], v[8:9], v[4:5]
	s_waitcnt vmcnt(0)
	s_delay_alu instid0(VALU_DEP_2) | instskip(NEXT) | instid1(VALU_DEP_2)
	v_add_f64 v[2:3], v[34:35], -v[2:3]
	v_add_f64 v[4:5], v[36:37], -v[4:5]
	scratch_store_b128 off, v[2:5], off offset:592
	v_cmpx_lt_u32_e32 36, v136
	s_cbranch_execz .LBB108_211
; %bb.210:
	scratch_load_b128 v[5:8], v157, off
	v_mov_b32_e32 v2, v1
	v_mov_b32_e32 v3, v1
	v_mov_b32_e32 v4, v1
	scratch_store_b128 off, v[1:4], off offset:576
	s_waitcnt vmcnt(0)
	ds_store_b128 v181, v[5:8]
.LBB108_211:
	s_or_b32 exec_lo, exec_lo, s2
	s_waitcnt lgkmcnt(0)
	s_waitcnt_vscnt null, 0x0
	s_barrier
	buffer_gl0_inv
	s_clause 0x7
	scratch_load_b128 v[2:5], off, off offset:592
	scratch_load_b128 v[6:9], off, off offset:608
	;; [unrolled: 1-line block ×8, first 2 shown]
	ds_load_b128 v[34:37], v1 offset:1312
	ds_load_b128 v[38:41], v1 offset:1328
	scratch_load_b128 v[42:45], off, off offset:576
	s_mov_b32 s2, exec_lo
	s_waitcnt vmcnt(8) lgkmcnt(1)
	v_mul_f64 v[182:183], v[36:37], v[4:5]
	v_mul_f64 v[4:5], v[34:35], v[4:5]
	s_waitcnt vmcnt(7) lgkmcnt(0)
	v_mul_f64 v[184:185], v[38:39], v[8:9]
	v_mul_f64 v[8:9], v[40:41], v[8:9]
	s_delay_alu instid0(VALU_DEP_4) | instskip(NEXT) | instid1(VALU_DEP_4)
	v_fma_f64 v[182:183], v[34:35], v[2:3], -v[182:183]
	v_fma_f64 v[186:187], v[36:37], v[2:3], v[4:5]
	ds_load_b128 v[2:5], v1 offset:1344
	ds_load_b128 v[34:37], v1 offset:1360
	v_fma_f64 v[40:41], v[40:41], v[6:7], v[184:185]
	v_fma_f64 v[6:7], v[38:39], v[6:7], -v[8:9]
	s_waitcnt vmcnt(6) lgkmcnt(1)
	v_mul_f64 v[188:189], v[2:3], v[12:13]
	v_mul_f64 v[12:13], v[4:5], v[12:13]
	v_add_f64 v[8:9], v[182:183], 0
	v_add_f64 v[38:39], v[186:187], 0
	s_waitcnt vmcnt(5) lgkmcnt(0)
	v_mul_f64 v[182:183], v[34:35], v[16:17]
	v_mul_f64 v[16:17], v[36:37], v[16:17]
	v_fma_f64 v[184:185], v[4:5], v[10:11], v[188:189]
	v_fma_f64 v[10:11], v[2:3], v[10:11], -v[12:13]
	v_add_f64 v[12:13], v[8:9], v[6:7]
	v_add_f64 v[38:39], v[38:39], v[40:41]
	ds_load_b128 v[2:5], v1 offset:1376
	ds_load_b128 v[6:9], v1 offset:1392
	v_fma_f64 v[36:37], v[36:37], v[14:15], v[182:183]
	v_fma_f64 v[14:15], v[34:35], v[14:15], -v[16:17]
	s_waitcnt vmcnt(4) lgkmcnt(1)
	v_mul_f64 v[40:41], v[2:3], v[20:21]
	v_mul_f64 v[20:21], v[4:5], v[20:21]
	s_waitcnt vmcnt(3) lgkmcnt(0)
	v_mul_f64 v[16:17], v[6:7], v[24:25]
	v_mul_f64 v[24:25], v[8:9], v[24:25]
	v_add_f64 v[10:11], v[12:13], v[10:11]
	v_add_f64 v[12:13], v[38:39], v[184:185]
	v_fma_f64 v[34:35], v[4:5], v[18:19], v[40:41]
	v_fma_f64 v[18:19], v[2:3], v[18:19], -v[20:21]
	v_fma_f64 v[8:9], v[8:9], v[22:23], v[16:17]
	v_fma_f64 v[6:7], v[6:7], v[22:23], -v[24:25]
	v_add_f64 v[14:15], v[10:11], v[14:15]
	v_add_f64 v[20:21], v[12:13], v[36:37]
	ds_load_b128 v[2:5], v1 offset:1408
	ds_load_b128 v[10:13], v1 offset:1424
	s_waitcnt vmcnt(2) lgkmcnt(1)
	v_mul_f64 v[36:37], v[2:3], v[28:29]
	v_mul_f64 v[28:29], v[4:5], v[28:29]
	v_add_f64 v[14:15], v[14:15], v[18:19]
	v_add_f64 v[16:17], v[20:21], v[34:35]
	s_waitcnt vmcnt(1) lgkmcnt(0)
	v_mul_f64 v[18:19], v[10:11], v[32:33]
	v_mul_f64 v[20:21], v[12:13], v[32:33]
	v_fma_f64 v[4:5], v[4:5], v[26:27], v[36:37]
	v_fma_f64 v[1:2], v[2:3], v[26:27], -v[28:29]
	v_add_f64 v[6:7], v[14:15], v[6:7]
	v_add_f64 v[8:9], v[16:17], v[8:9]
	v_fma_f64 v[12:13], v[12:13], v[30:31], v[18:19]
	v_fma_f64 v[10:11], v[10:11], v[30:31], -v[20:21]
	s_delay_alu instid0(VALU_DEP_4) | instskip(NEXT) | instid1(VALU_DEP_4)
	v_add_f64 v[1:2], v[6:7], v[1:2]
	v_add_f64 v[3:4], v[8:9], v[4:5]
	s_delay_alu instid0(VALU_DEP_2) | instskip(NEXT) | instid1(VALU_DEP_2)
	v_add_f64 v[1:2], v[1:2], v[10:11]
	v_add_f64 v[3:4], v[3:4], v[12:13]
	s_waitcnt vmcnt(0)
	s_delay_alu instid0(VALU_DEP_2) | instskip(NEXT) | instid1(VALU_DEP_2)
	v_add_f64 v[1:2], v[42:43], -v[1:2]
	v_add_f64 v[3:4], v[44:45], -v[3:4]
	scratch_store_b128 off, v[1:4], off offset:576
	v_cmpx_lt_u32_e32 35, v136
	s_cbranch_execz .LBB108_213
; %bb.212:
	scratch_load_b128 v[1:4], v160, off
	v_mov_b32_e32 v5, 0
	s_delay_alu instid0(VALU_DEP_1)
	v_mov_b32_e32 v6, v5
	v_mov_b32_e32 v7, v5
	;; [unrolled: 1-line block ×3, first 2 shown]
	scratch_store_b128 off, v[5:8], off offset:560
	s_waitcnt vmcnt(0)
	ds_store_b128 v181, v[1:4]
.LBB108_213:
	s_or_b32 exec_lo, exec_lo, s2
	s_waitcnt lgkmcnt(0)
	s_waitcnt_vscnt null, 0x0
	s_barrier
	buffer_gl0_inv
	s_clause 0x7
	scratch_load_b128 v[2:5], off, off offset:576
	scratch_load_b128 v[6:9], off, off offset:592
	;; [unrolled: 1-line block ×8, first 2 shown]
	v_mov_b32_e32 v1, 0
	scratch_load_b128 v[38:41], off, off offset:704
	s_mov_b32 s2, exec_lo
	ds_load_b128 v[34:37], v1 offset:1296
	ds_load_b128 v[42:45], v1 offset:1312
	s_waitcnt vmcnt(8) lgkmcnt(1)
	v_mul_f64 v[182:183], v[36:37], v[4:5]
	v_mul_f64 v[4:5], v[34:35], v[4:5]
	s_waitcnt vmcnt(7) lgkmcnt(0)
	v_mul_f64 v[184:185], v[42:43], v[8:9]
	v_mul_f64 v[8:9], v[44:45], v[8:9]
	s_delay_alu instid0(VALU_DEP_4) | instskip(NEXT) | instid1(VALU_DEP_4)
	v_fma_f64 v[34:35], v[34:35], v[2:3], -v[182:183]
	v_fma_f64 v[36:37], v[36:37], v[2:3], v[4:5]
	ds_load_b128 v[2:5], v1 offset:1328
	v_fma_f64 v[44:45], v[44:45], v[6:7], v[184:185]
	v_fma_f64 v[42:43], v[42:43], v[6:7], -v[8:9]
	ds_load_b128 v[6:9], v1 offset:1344
	s_waitcnt vmcnt(6) lgkmcnt(1)
	v_mul_f64 v[182:183], v[2:3], v[12:13]
	v_mul_f64 v[12:13], v[4:5], v[12:13]
	s_waitcnt vmcnt(5) lgkmcnt(0)
	v_mul_f64 v[188:189], v[6:7], v[16:17]
	v_mul_f64 v[16:17], v[8:9], v[16:17]
	v_add_f64 v[184:185], v[34:35], 0
	v_add_f64 v[186:187], v[36:37], 0
	scratch_load_b128 v[34:37], off, off offset:560
	v_fma_f64 v[182:183], v[4:5], v[10:11], v[182:183]
	v_fma_f64 v[10:11], v[2:3], v[10:11], -v[12:13]
	ds_load_b128 v[2:5], v1 offset:1360
	v_add_f64 v[12:13], v[184:185], v[42:43]
	v_add_f64 v[42:43], v[186:187], v[44:45]
	v_fma_f64 v[184:185], v[8:9], v[14:15], v[188:189]
	v_fma_f64 v[14:15], v[6:7], v[14:15], -v[16:17]
	ds_load_b128 v[6:9], v1 offset:1376
	s_waitcnt vmcnt(5) lgkmcnt(1)
	v_mul_f64 v[44:45], v[2:3], v[20:21]
	v_mul_f64 v[20:21], v[4:5], v[20:21]
	s_waitcnt vmcnt(4) lgkmcnt(0)
	v_mul_f64 v[16:17], v[6:7], v[24:25]
	v_mul_f64 v[24:25], v[8:9], v[24:25]
	v_add_f64 v[10:11], v[12:13], v[10:11]
	v_add_f64 v[12:13], v[42:43], v[182:183]
	v_fma_f64 v[42:43], v[4:5], v[18:19], v[44:45]
	v_fma_f64 v[18:19], v[2:3], v[18:19], -v[20:21]
	ds_load_b128 v[2:5], v1 offset:1392
	v_fma_f64 v[16:17], v[8:9], v[22:23], v[16:17]
	v_fma_f64 v[22:23], v[6:7], v[22:23], -v[24:25]
	ds_load_b128 v[6:9], v1 offset:1408
	s_waitcnt vmcnt(3) lgkmcnt(1)
	v_mul_f64 v[20:21], v[4:5], v[28:29]
	v_add_f64 v[10:11], v[10:11], v[14:15]
	v_add_f64 v[12:13], v[12:13], v[184:185]
	v_mul_f64 v[14:15], v[2:3], v[28:29]
	s_waitcnt vmcnt(2) lgkmcnt(0)
	v_mul_f64 v[24:25], v[8:9], v[32:33]
	v_fma_f64 v[20:21], v[2:3], v[26:27], -v[20:21]
	v_add_f64 v[10:11], v[10:11], v[18:19]
	v_add_f64 v[12:13], v[12:13], v[42:43]
	v_mul_f64 v[18:19], v[6:7], v[32:33]
	v_fma_f64 v[14:15], v[4:5], v[26:27], v[14:15]
	ds_load_b128 v[2:5], v1 offset:1424
	v_fma_f64 v[6:7], v[6:7], v[30:31], -v[24:25]
	v_add_f64 v[10:11], v[10:11], v[22:23]
	v_add_f64 v[12:13], v[12:13], v[16:17]
	s_waitcnt vmcnt(1) lgkmcnt(0)
	v_mul_f64 v[16:17], v[2:3], v[40:41]
	v_mul_f64 v[22:23], v[4:5], v[40:41]
	v_fma_f64 v[8:9], v[8:9], v[30:31], v[18:19]
	v_add_f64 v[10:11], v[10:11], v[20:21]
	v_add_f64 v[12:13], v[12:13], v[14:15]
	v_fma_f64 v[4:5], v[4:5], v[38:39], v[16:17]
	v_fma_f64 v[2:3], v[2:3], v[38:39], -v[22:23]
	s_delay_alu instid0(VALU_DEP_4) | instskip(NEXT) | instid1(VALU_DEP_4)
	v_add_f64 v[6:7], v[10:11], v[6:7]
	v_add_f64 v[8:9], v[12:13], v[8:9]
	s_delay_alu instid0(VALU_DEP_2) | instskip(NEXT) | instid1(VALU_DEP_2)
	v_add_f64 v[2:3], v[6:7], v[2:3]
	v_add_f64 v[4:5], v[8:9], v[4:5]
	s_waitcnt vmcnt(0)
	s_delay_alu instid0(VALU_DEP_2) | instskip(NEXT) | instid1(VALU_DEP_2)
	v_add_f64 v[2:3], v[34:35], -v[2:3]
	v_add_f64 v[4:5], v[36:37], -v[4:5]
	scratch_store_b128 off, v[2:5], off offset:560
	v_cmpx_lt_u32_e32 34, v136
	s_cbranch_execz .LBB108_215
; %bb.214:
	scratch_load_b128 v[5:8], v163, off
	v_mov_b32_e32 v2, v1
	v_mov_b32_e32 v3, v1
	v_mov_b32_e32 v4, v1
	scratch_store_b128 off, v[1:4], off offset:544
	s_waitcnt vmcnt(0)
	ds_store_b128 v181, v[5:8]
.LBB108_215:
	s_or_b32 exec_lo, exec_lo, s2
	s_waitcnt lgkmcnt(0)
	s_waitcnt_vscnt null, 0x0
	s_barrier
	buffer_gl0_inv
	s_clause 0x7
	scratch_load_b128 v[2:5], off, off offset:560
	scratch_load_b128 v[6:9], off, off offset:576
	;; [unrolled: 1-line block ×8, first 2 shown]
	ds_load_b128 v[34:37], v1 offset:1280
	ds_load_b128 v[42:45], v1 offset:1296
	s_clause 0x1
	scratch_load_b128 v[38:41], off, off offset:688
	scratch_load_b128 v[182:185], off, off offset:704
	s_mov_b32 s2, exec_lo
	s_waitcnt vmcnt(9) lgkmcnt(1)
	v_mul_f64 v[186:187], v[36:37], v[4:5]
	v_mul_f64 v[4:5], v[34:35], v[4:5]
	s_waitcnt vmcnt(8) lgkmcnt(0)
	v_mul_f64 v[188:189], v[42:43], v[8:9]
	v_mul_f64 v[8:9], v[44:45], v[8:9]
	s_delay_alu instid0(VALU_DEP_4) | instskip(NEXT) | instid1(VALU_DEP_4)
	v_fma_f64 v[34:35], v[34:35], v[2:3], -v[186:187]
	v_fma_f64 v[36:37], v[36:37], v[2:3], v[4:5]
	ds_load_b128 v[2:5], v1 offset:1312
	v_fma_f64 v[44:45], v[44:45], v[6:7], v[188:189]
	v_fma_f64 v[42:43], v[42:43], v[6:7], -v[8:9]
	ds_load_b128 v[6:9], v1 offset:1328
	s_waitcnt vmcnt(7) lgkmcnt(1)
	v_mul_f64 v[186:187], v[2:3], v[12:13]
	v_mul_f64 v[12:13], v[4:5], v[12:13]
	s_waitcnt vmcnt(6) lgkmcnt(0)
	v_mul_f64 v[188:189], v[6:7], v[16:17]
	v_mul_f64 v[16:17], v[8:9], v[16:17]
	v_add_f64 v[34:35], v[34:35], 0
	v_add_f64 v[36:37], v[36:37], 0
	v_fma_f64 v[186:187], v[4:5], v[10:11], v[186:187]
	v_fma_f64 v[190:191], v[2:3], v[10:11], -v[12:13]
	ds_load_b128 v[2:5], v1 offset:1344
	scratch_load_b128 v[10:13], off, off offset:544
	v_add_f64 v[34:35], v[34:35], v[42:43]
	v_add_f64 v[36:37], v[36:37], v[44:45]
	v_fma_f64 v[44:45], v[8:9], v[14:15], v[188:189]
	v_fma_f64 v[14:15], v[6:7], v[14:15], -v[16:17]
	ds_load_b128 v[6:9], v1 offset:1360
	s_waitcnt vmcnt(6) lgkmcnt(1)
	v_mul_f64 v[42:43], v[2:3], v[20:21]
	v_mul_f64 v[20:21], v[4:5], v[20:21]
	v_add_f64 v[16:17], v[34:35], v[190:191]
	v_add_f64 v[34:35], v[36:37], v[186:187]
	s_waitcnt vmcnt(5) lgkmcnt(0)
	v_mul_f64 v[36:37], v[6:7], v[24:25]
	v_mul_f64 v[24:25], v[8:9], v[24:25]
	v_fma_f64 v[42:43], v[4:5], v[18:19], v[42:43]
	v_fma_f64 v[18:19], v[2:3], v[18:19], -v[20:21]
	ds_load_b128 v[2:5], v1 offset:1376
	v_add_f64 v[14:15], v[16:17], v[14:15]
	v_add_f64 v[16:17], v[34:35], v[44:45]
	v_fma_f64 v[34:35], v[8:9], v[22:23], v[36:37]
	v_fma_f64 v[22:23], v[6:7], v[22:23], -v[24:25]
	ds_load_b128 v[6:9], v1 offset:1392
	s_waitcnt vmcnt(4) lgkmcnt(1)
	v_mul_f64 v[20:21], v[2:3], v[28:29]
	v_mul_f64 v[28:29], v[4:5], v[28:29]
	s_waitcnt vmcnt(3) lgkmcnt(0)
	v_mul_f64 v[24:25], v[8:9], v[32:33]
	v_add_f64 v[14:15], v[14:15], v[18:19]
	v_add_f64 v[16:17], v[16:17], v[42:43]
	v_mul_f64 v[18:19], v[6:7], v[32:33]
	v_fma_f64 v[20:21], v[4:5], v[26:27], v[20:21]
	v_fma_f64 v[26:27], v[2:3], v[26:27], -v[28:29]
	ds_load_b128 v[2:5], v1 offset:1408
	v_fma_f64 v[24:25], v[6:7], v[30:31], -v[24:25]
	v_add_f64 v[14:15], v[14:15], v[22:23]
	v_add_f64 v[16:17], v[16:17], v[34:35]
	v_fma_f64 v[18:19], v[8:9], v[30:31], v[18:19]
	ds_load_b128 v[6:9], v1 offset:1424
	s_waitcnt vmcnt(2) lgkmcnt(1)
	v_mul_f64 v[22:23], v[2:3], v[40:41]
	v_mul_f64 v[28:29], v[4:5], v[40:41]
	v_add_f64 v[14:15], v[14:15], v[26:27]
	v_add_f64 v[16:17], v[16:17], v[20:21]
	s_waitcnt vmcnt(1) lgkmcnt(0)
	v_mul_f64 v[20:21], v[6:7], v[184:185]
	v_mul_f64 v[26:27], v[8:9], v[184:185]
	v_fma_f64 v[4:5], v[4:5], v[38:39], v[22:23]
	v_fma_f64 v[1:2], v[2:3], v[38:39], -v[28:29]
	v_add_f64 v[14:15], v[14:15], v[24:25]
	v_add_f64 v[16:17], v[16:17], v[18:19]
	v_fma_f64 v[8:9], v[8:9], v[182:183], v[20:21]
	v_fma_f64 v[6:7], v[6:7], v[182:183], -v[26:27]
	s_delay_alu instid0(VALU_DEP_4) | instskip(NEXT) | instid1(VALU_DEP_4)
	v_add_f64 v[1:2], v[14:15], v[1:2]
	v_add_f64 v[3:4], v[16:17], v[4:5]
	s_delay_alu instid0(VALU_DEP_2) | instskip(NEXT) | instid1(VALU_DEP_2)
	v_add_f64 v[1:2], v[1:2], v[6:7]
	v_add_f64 v[3:4], v[3:4], v[8:9]
	s_waitcnt vmcnt(0)
	s_delay_alu instid0(VALU_DEP_2) | instskip(NEXT) | instid1(VALU_DEP_2)
	v_add_f64 v[1:2], v[10:11], -v[1:2]
	v_add_f64 v[3:4], v[12:13], -v[3:4]
	scratch_store_b128 off, v[1:4], off offset:544
	v_cmpx_lt_u32_e32 33, v136
	s_cbranch_execz .LBB108_217
; %bb.216:
	scratch_load_b128 v[1:4], v137, off
	v_mov_b32_e32 v5, 0
	s_delay_alu instid0(VALU_DEP_1)
	v_mov_b32_e32 v6, v5
	v_mov_b32_e32 v7, v5
	;; [unrolled: 1-line block ×3, first 2 shown]
	scratch_store_b128 off, v[5:8], off offset:528
	s_waitcnt vmcnt(0)
	ds_store_b128 v181, v[1:4]
.LBB108_217:
	s_or_b32 exec_lo, exec_lo, s2
	s_waitcnt lgkmcnt(0)
	s_waitcnt_vscnt null, 0x0
	s_barrier
	buffer_gl0_inv
	s_clause 0x7
	scratch_load_b128 v[2:5], off, off offset:544
	scratch_load_b128 v[6:9], off, off offset:560
	;; [unrolled: 1-line block ×8, first 2 shown]
	v_mov_b32_e32 v1, 0
	s_clause 0x1
	scratch_load_b128 v[38:41], off, off offset:672
	scratch_load_b128 v[182:185], off, off offset:688
	s_mov_b32 s2, exec_lo
	ds_load_b128 v[34:37], v1 offset:1264
	ds_load_b128 v[42:45], v1 offset:1280
	s_waitcnt vmcnt(9) lgkmcnt(1)
	v_mul_f64 v[186:187], v[36:37], v[4:5]
	v_mul_f64 v[4:5], v[34:35], v[4:5]
	s_waitcnt vmcnt(8) lgkmcnt(0)
	v_mul_f64 v[188:189], v[42:43], v[8:9]
	v_mul_f64 v[8:9], v[44:45], v[8:9]
	s_delay_alu instid0(VALU_DEP_4) | instskip(NEXT) | instid1(VALU_DEP_4)
	v_fma_f64 v[186:187], v[34:35], v[2:3], -v[186:187]
	v_fma_f64 v[190:191], v[36:37], v[2:3], v[4:5]
	ds_load_b128 v[2:5], v1 offset:1296
	scratch_load_b128 v[34:37], off, off offset:704
	v_fma_f64 v[44:45], v[44:45], v[6:7], v[188:189]
	v_fma_f64 v[42:43], v[42:43], v[6:7], -v[8:9]
	ds_load_b128 v[6:9], v1 offset:1312
	s_waitcnt vmcnt(8) lgkmcnt(1)
	v_mul_f64 v[192:193], v[2:3], v[12:13]
	v_mul_f64 v[12:13], v[4:5], v[12:13]
	v_add_f64 v[186:187], v[186:187], 0
	v_add_f64 v[188:189], v[190:191], 0
	s_waitcnt vmcnt(7) lgkmcnt(0)
	v_mul_f64 v[190:191], v[6:7], v[16:17]
	v_mul_f64 v[16:17], v[8:9], v[16:17]
	v_fma_f64 v[192:193], v[4:5], v[10:11], v[192:193]
	v_fma_f64 v[10:11], v[2:3], v[10:11], -v[12:13]
	ds_load_b128 v[2:5], v1 offset:1328
	v_add_f64 v[12:13], v[186:187], v[42:43]
	v_add_f64 v[42:43], v[188:189], v[44:45]
	v_fma_f64 v[186:187], v[8:9], v[14:15], v[190:191]
	v_fma_f64 v[14:15], v[6:7], v[14:15], -v[16:17]
	ds_load_b128 v[6:9], v1 offset:1344
	s_waitcnt vmcnt(6) lgkmcnt(1)
	v_mul_f64 v[44:45], v[2:3], v[20:21]
	v_mul_f64 v[20:21], v[4:5], v[20:21]
	s_waitcnt vmcnt(5) lgkmcnt(0)
	v_mul_f64 v[188:189], v[6:7], v[24:25]
	v_mul_f64 v[24:25], v[8:9], v[24:25]
	v_add_f64 v[16:17], v[12:13], v[10:11]
	v_add_f64 v[42:43], v[42:43], v[192:193]
	scratch_load_b128 v[10:13], off, off offset:528
	v_fma_f64 v[44:45], v[4:5], v[18:19], v[44:45]
	v_fma_f64 v[18:19], v[2:3], v[18:19], -v[20:21]
	ds_load_b128 v[2:5], v1 offset:1360
	v_add_f64 v[14:15], v[16:17], v[14:15]
	v_add_f64 v[16:17], v[42:43], v[186:187]
	v_fma_f64 v[42:43], v[8:9], v[22:23], v[188:189]
	v_fma_f64 v[22:23], v[6:7], v[22:23], -v[24:25]
	ds_load_b128 v[6:9], v1 offset:1376
	s_waitcnt vmcnt(5) lgkmcnt(1)
	v_mul_f64 v[20:21], v[2:3], v[28:29]
	v_mul_f64 v[28:29], v[4:5], v[28:29]
	s_waitcnt vmcnt(4) lgkmcnt(0)
	v_mul_f64 v[24:25], v[8:9], v[32:33]
	v_add_f64 v[14:15], v[14:15], v[18:19]
	v_add_f64 v[16:17], v[16:17], v[44:45]
	v_mul_f64 v[18:19], v[6:7], v[32:33]
	v_fma_f64 v[20:21], v[4:5], v[26:27], v[20:21]
	v_fma_f64 v[26:27], v[2:3], v[26:27], -v[28:29]
	ds_load_b128 v[2:5], v1 offset:1392
	v_fma_f64 v[24:25], v[6:7], v[30:31], -v[24:25]
	v_add_f64 v[14:15], v[14:15], v[22:23]
	v_add_f64 v[16:17], v[16:17], v[42:43]
	v_fma_f64 v[18:19], v[8:9], v[30:31], v[18:19]
	ds_load_b128 v[6:9], v1 offset:1408
	s_waitcnt vmcnt(3) lgkmcnt(1)
	v_mul_f64 v[22:23], v[2:3], v[40:41]
	v_mul_f64 v[28:29], v[4:5], v[40:41]
	v_add_f64 v[14:15], v[14:15], v[26:27]
	v_add_f64 v[16:17], v[16:17], v[20:21]
	s_waitcnt vmcnt(2) lgkmcnt(0)
	v_mul_f64 v[20:21], v[6:7], v[184:185]
	v_mul_f64 v[26:27], v[8:9], v[184:185]
	v_fma_f64 v[22:23], v[4:5], v[38:39], v[22:23]
	v_fma_f64 v[28:29], v[2:3], v[38:39], -v[28:29]
	ds_load_b128 v[2:5], v1 offset:1424
	v_add_f64 v[14:15], v[14:15], v[24:25]
	v_add_f64 v[16:17], v[16:17], v[18:19]
	v_fma_f64 v[8:9], v[8:9], v[182:183], v[20:21]
	v_fma_f64 v[6:7], v[6:7], v[182:183], -v[26:27]
	s_waitcnt vmcnt(1) lgkmcnt(0)
	v_mul_f64 v[18:19], v[2:3], v[36:37]
	v_mul_f64 v[24:25], v[4:5], v[36:37]
	v_add_f64 v[14:15], v[14:15], v[28:29]
	v_add_f64 v[16:17], v[16:17], v[22:23]
	s_delay_alu instid0(VALU_DEP_4) | instskip(NEXT) | instid1(VALU_DEP_4)
	v_fma_f64 v[4:5], v[4:5], v[34:35], v[18:19]
	v_fma_f64 v[2:3], v[2:3], v[34:35], -v[24:25]
	s_delay_alu instid0(VALU_DEP_4) | instskip(NEXT) | instid1(VALU_DEP_4)
	v_add_f64 v[6:7], v[14:15], v[6:7]
	v_add_f64 v[8:9], v[16:17], v[8:9]
	s_delay_alu instid0(VALU_DEP_2) | instskip(NEXT) | instid1(VALU_DEP_2)
	v_add_f64 v[2:3], v[6:7], v[2:3]
	v_add_f64 v[4:5], v[8:9], v[4:5]
	s_waitcnt vmcnt(0)
	s_delay_alu instid0(VALU_DEP_2) | instskip(NEXT) | instid1(VALU_DEP_2)
	v_add_f64 v[2:3], v[10:11], -v[2:3]
	v_add_f64 v[4:5], v[12:13], -v[4:5]
	scratch_store_b128 off, v[2:5], off offset:528
	v_cmpx_lt_u32_e32 32, v136
	s_cbranch_execz .LBB108_219
; %bb.218:
	scratch_load_b128 v[5:8], v138, off
	v_mov_b32_e32 v2, v1
	v_mov_b32_e32 v3, v1
	;; [unrolled: 1-line block ×3, first 2 shown]
	scratch_store_b128 off, v[1:4], off offset:512
	s_waitcnt vmcnt(0)
	ds_store_b128 v181, v[5:8]
.LBB108_219:
	s_or_b32 exec_lo, exec_lo, s2
	s_waitcnt lgkmcnt(0)
	s_waitcnt_vscnt null, 0x0
	s_barrier
	buffer_gl0_inv
	s_clause 0x8
	scratch_load_b128 v[2:5], off, off offset:528
	scratch_load_b128 v[6:9], off, off offset:544
	;; [unrolled: 1-line block ×9, first 2 shown]
	ds_load_b128 v[38:41], v1 offset:1248
	ds_load_b128 v[42:45], v1 offset:1264
	s_clause 0x1
	scratch_load_b128 v[182:185], off, off offset:512
	scratch_load_b128 v[186:189], off, off offset:672
	s_mov_b32 s2, exec_lo
	s_waitcnt vmcnt(10) lgkmcnt(1)
	v_mul_f64 v[190:191], v[40:41], v[4:5]
	v_mul_f64 v[4:5], v[38:39], v[4:5]
	s_waitcnt vmcnt(9) lgkmcnt(0)
	v_mul_f64 v[194:195], v[42:43], v[8:9]
	v_mul_f64 v[8:9], v[44:45], v[8:9]
	s_delay_alu instid0(VALU_DEP_4) | instskip(NEXT) | instid1(VALU_DEP_4)
	v_fma_f64 v[196:197], v[38:39], v[2:3], -v[190:191]
	v_fma_f64 v[198:199], v[40:41], v[2:3], v[4:5]
	ds_load_b128 v[2:5], v1 offset:1280
	ds_load_b128 v[190:193], v1 offset:1296
	scratch_load_b128 v[38:41], off, off offset:688
	v_fma_f64 v[44:45], v[44:45], v[6:7], v[194:195]
	v_fma_f64 v[42:43], v[42:43], v[6:7], -v[8:9]
	scratch_load_b128 v[6:9], off, off offset:704
	s_waitcnt vmcnt(10) lgkmcnt(1)
	v_mul_f64 v[200:201], v[2:3], v[12:13]
	v_mul_f64 v[12:13], v[4:5], v[12:13]
	v_add_f64 v[194:195], v[196:197], 0
	v_add_f64 v[196:197], v[198:199], 0
	s_waitcnt vmcnt(9) lgkmcnt(0)
	v_mul_f64 v[198:199], v[190:191], v[16:17]
	v_mul_f64 v[16:17], v[192:193], v[16:17]
	v_fma_f64 v[200:201], v[4:5], v[10:11], v[200:201]
	v_fma_f64 v[202:203], v[2:3], v[10:11], -v[12:13]
	ds_load_b128 v[2:5], v1 offset:1312
	ds_load_b128 v[10:13], v1 offset:1328
	v_add_f64 v[42:43], v[194:195], v[42:43]
	v_add_f64 v[44:45], v[196:197], v[44:45]
	v_fma_f64 v[192:193], v[192:193], v[14:15], v[198:199]
	v_fma_f64 v[14:15], v[190:191], v[14:15], -v[16:17]
	s_waitcnt vmcnt(8) lgkmcnt(1)
	v_mul_f64 v[194:195], v[2:3], v[20:21]
	v_mul_f64 v[20:21], v[4:5], v[20:21]
	v_add_f64 v[16:17], v[42:43], v[202:203]
	v_add_f64 v[42:43], v[44:45], v[200:201]
	s_waitcnt vmcnt(7) lgkmcnt(0)
	v_mul_f64 v[44:45], v[10:11], v[24:25]
	v_mul_f64 v[24:25], v[12:13], v[24:25]
	v_fma_f64 v[190:191], v[4:5], v[18:19], v[194:195]
	v_fma_f64 v[18:19], v[2:3], v[18:19], -v[20:21]
	v_add_f64 v[20:21], v[16:17], v[14:15]
	v_add_f64 v[42:43], v[42:43], v[192:193]
	ds_load_b128 v[2:5], v1 offset:1344
	ds_load_b128 v[14:17], v1 offset:1360
	v_fma_f64 v[12:13], v[12:13], v[22:23], v[44:45]
	v_fma_f64 v[10:11], v[10:11], v[22:23], -v[24:25]
	s_waitcnt vmcnt(6) lgkmcnt(1)
	v_mul_f64 v[192:193], v[2:3], v[28:29]
	v_mul_f64 v[28:29], v[4:5], v[28:29]
	s_waitcnt vmcnt(5) lgkmcnt(0)
	v_mul_f64 v[22:23], v[14:15], v[32:33]
	v_mul_f64 v[24:25], v[16:17], v[32:33]
	v_add_f64 v[18:19], v[20:21], v[18:19]
	v_add_f64 v[20:21], v[42:43], v[190:191]
	v_fma_f64 v[32:33], v[4:5], v[26:27], v[192:193]
	v_fma_f64 v[26:27], v[2:3], v[26:27], -v[28:29]
	v_fma_f64 v[16:17], v[16:17], v[30:31], v[22:23]
	v_fma_f64 v[14:15], v[14:15], v[30:31], -v[24:25]
	v_add_f64 v[18:19], v[18:19], v[10:11]
	v_add_f64 v[20:21], v[20:21], v[12:13]
	ds_load_b128 v[2:5], v1 offset:1376
	ds_load_b128 v[10:13], v1 offset:1392
	s_waitcnt vmcnt(4) lgkmcnt(1)
	v_mul_f64 v[28:29], v[2:3], v[36:37]
	v_mul_f64 v[36:37], v[4:5], v[36:37]
	s_waitcnt vmcnt(2) lgkmcnt(0)
	v_mul_f64 v[22:23], v[10:11], v[188:189]
	v_mul_f64 v[24:25], v[12:13], v[188:189]
	v_add_f64 v[18:19], v[18:19], v[26:27]
	v_add_f64 v[20:21], v[20:21], v[32:33]
	v_fma_f64 v[26:27], v[4:5], v[34:35], v[28:29]
	v_fma_f64 v[28:29], v[2:3], v[34:35], -v[36:37]
	v_fma_f64 v[12:13], v[12:13], v[186:187], v[22:23]
	v_fma_f64 v[10:11], v[10:11], v[186:187], -v[24:25]
	v_add_f64 v[18:19], v[18:19], v[14:15]
	v_add_f64 v[20:21], v[20:21], v[16:17]
	ds_load_b128 v[2:5], v1 offset:1408
	ds_load_b128 v[14:17], v1 offset:1424
	s_waitcnt vmcnt(1) lgkmcnt(1)
	v_mul_f64 v[30:31], v[2:3], v[40:41]
	v_mul_f64 v[32:33], v[4:5], v[40:41]
	s_waitcnt vmcnt(0) lgkmcnt(0)
	v_mul_f64 v[22:23], v[14:15], v[8:9]
	v_mul_f64 v[8:9], v[16:17], v[8:9]
	v_add_f64 v[18:19], v[18:19], v[28:29]
	v_add_f64 v[20:21], v[20:21], v[26:27]
	v_fma_f64 v[4:5], v[4:5], v[38:39], v[30:31]
	v_fma_f64 v[1:2], v[2:3], v[38:39], -v[32:33]
	v_fma_f64 v[16:17], v[16:17], v[6:7], v[22:23]
	v_fma_f64 v[6:7], v[14:15], v[6:7], -v[8:9]
	v_add_f64 v[10:11], v[18:19], v[10:11]
	v_add_f64 v[12:13], v[20:21], v[12:13]
	s_delay_alu instid0(VALU_DEP_2) | instskip(NEXT) | instid1(VALU_DEP_2)
	v_add_f64 v[1:2], v[10:11], v[1:2]
	v_add_f64 v[3:4], v[12:13], v[4:5]
	s_delay_alu instid0(VALU_DEP_2) | instskip(NEXT) | instid1(VALU_DEP_2)
	;; [unrolled: 3-line block ×3, first 2 shown]
	v_add_f64 v[1:2], v[182:183], -v[1:2]
	v_add_f64 v[3:4], v[184:185], -v[3:4]
	scratch_store_b128 off, v[1:4], off offset:512
	v_cmpx_lt_u32_e32 31, v136
	s_cbranch_execz .LBB108_221
; %bb.220:
	scratch_load_b128 v[1:4], v140, off
	v_mov_b32_e32 v5, 0
	s_delay_alu instid0(VALU_DEP_1)
	v_mov_b32_e32 v6, v5
	v_mov_b32_e32 v7, v5
	;; [unrolled: 1-line block ×3, first 2 shown]
	scratch_store_b128 off, v[5:8], off offset:496
	s_waitcnt vmcnt(0)
	ds_store_b128 v181, v[1:4]
.LBB108_221:
	s_or_b32 exec_lo, exec_lo, s2
	s_waitcnt lgkmcnt(0)
	s_waitcnt_vscnt null, 0x0
	s_barrier
	buffer_gl0_inv
	s_clause 0x7
	scratch_load_b128 v[2:5], off, off offset:512
	scratch_load_b128 v[6:9], off, off offset:528
	;; [unrolled: 1-line block ×8, first 2 shown]
	v_mov_b32_e32 v1, 0
	s_mov_b32 s2, exec_lo
	ds_load_b128 v[34:37], v1 offset:1232
	s_clause 0x1
	scratch_load_b128 v[38:41], off, off offset:640
	scratch_load_b128 v[42:45], off, off offset:496
	ds_load_b128 v[182:185], v1 offset:1248
	scratch_load_b128 v[186:189], off, off offset:656
	s_waitcnt vmcnt(10) lgkmcnt(1)
	v_mul_f64 v[190:191], v[36:37], v[4:5]
	v_mul_f64 v[4:5], v[34:35], v[4:5]
	s_delay_alu instid0(VALU_DEP_2) | instskip(NEXT) | instid1(VALU_DEP_2)
	v_fma_f64 v[196:197], v[34:35], v[2:3], -v[190:191]
	v_fma_f64 v[198:199], v[36:37], v[2:3], v[4:5]
	scratch_load_b128 v[34:37], off, off offset:672
	ds_load_b128 v[2:5], v1 offset:1264
	s_waitcnt vmcnt(10) lgkmcnt(1)
	v_mul_f64 v[194:195], v[182:183], v[8:9]
	v_mul_f64 v[8:9], v[184:185], v[8:9]
	ds_load_b128 v[190:193], v1 offset:1280
	s_waitcnt vmcnt(9) lgkmcnt(1)
	v_mul_f64 v[200:201], v[2:3], v[12:13]
	v_mul_f64 v[12:13], v[4:5], v[12:13]
	v_fma_f64 v[184:185], v[184:185], v[6:7], v[194:195]
	v_fma_f64 v[182:183], v[182:183], v[6:7], -v[8:9]
	v_add_f64 v[194:195], v[196:197], 0
	v_add_f64 v[196:197], v[198:199], 0
	scratch_load_b128 v[6:9], off, off offset:688
	v_fma_f64 v[200:201], v[4:5], v[10:11], v[200:201]
	v_fma_f64 v[202:203], v[2:3], v[10:11], -v[12:13]
	scratch_load_b128 v[10:13], off, off offset:704
	ds_load_b128 v[2:5], v1 offset:1296
	s_waitcnt vmcnt(10) lgkmcnt(1)
	v_mul_f64 v[198:199], v[190:191], v[16:17]
	v_mul_f64 v[16:17], v[192:193], v[16:17]
	v_add_f64 v[194:195], v[194:195], v[182:183]
	v_add_f64 v[196:197], v[196:197], v[184:185]
	s_waitcnt vmcnt(9) lgkmcnt(0)
	v_mul_f64 v[204:205], v[2:3], v[20:21]
	v_mul_f64 v[20:21], v[4:5], v[20:21]
	ds_load_b128 v[182:185], v1 offset:1312
	v_fma_f64 v[192:193], v[192:193], v[14:15], v[198:199]
	v_fma_f64 v[14:15], v[190:191], v[14:15], -v[16:17]
	v_add_f64 v[16:17], v[194:195], v[202:203]
	v_add_f64 v[190:191], v[196:197], v[200:201]
	s_waitcnt vmcnt(8) lgkmcnt(0)
	v_mul_f64 v[194:195], v[182:183], v[24:25]
	v_mul_f64 v[24:25], v[184:185], v[24:25]
	v_fma_f64 v[196:197], v[4:5], v[18:19], v[204:205]
	v_fma_f64 v[18:19], v[2:3], v[18:19], -v[20:21]
	v_add_f64 v[20:21], v[16:17], v[14:15]
	v_add_f64 v[190:191], v[190:191], v[192:193]
	ds_load_b128 v[2:5], v1 offset:1328
	ds_load_b128 v[14:17], v1 offset:1344
	v_fma_f64 v[184:185], v[184:185], v[22:23], v[194:195]
	v_fma_f64 v[22:23], v[182:183], v[22:23], -v[24:25]
	s_waitcnt vmcnt(7) lgkmcnt(1)
	v_mul_f64 v[192:193], v[2:3], v[28:29]
	v_mul_f64 v[28:29], v[4:5], v[28:29]
	s_waitcnt vmcnt(6) lgkmcnt(0)
	v_mul_f64 v[24:25], v[14:15], v[32:33]
	v_mul_f64 v[32:33], v[16:17], v[32:33]
	v_add_f64 v[18:19], v[20:21], v[18:19]
	v_add_f64 v[20:21], v[190:191], v[196:197]
	v_fma_f64 v[182:183], v[4:5], v[26:27], v[192:193]
	v_fma_f64 v[26:27], v[2:3], v[26:27], -v[28:29]
	v_fma_f64 v[16:17], v[16:17], v[30:31], v[24:25]
	v_fma_f64 v[14:15], v[14:15], v[30:31], -v[32:33]
	v_add_f64 v[22:23], v[18:19], v[22:23]
	v_add_f64 v[28:29], v[20:21], v[184:185]
	ds_load_b128 v[2:5], v1 offset:1360
	ds_load_b128 v[18:21], v1 offset:1376
	s_waitcnt vmcnt(5) lgkmcnt(1)
	v_mul_f64 v[184:185], v[2:3], v[40:41]
	v_mul_f64 v[40:41], v[4:5], v[40:41]
	v_add_f64 v[22:23], v[22:23], v[26:27]
	v_add_f64 v[24:25], v[28:29], v[182:183]
	s_waitcnt vmcnt(3) lgkmcnt(0)
	v_mul_f64 v[26:27], v[18:19], v[188:189]
	v_mul_f64 v[28:29], v[20:21], v[188:189]
	v_fma_f64 v[30:31], v[4:5], v[38:39], v[184:185]
	v_fma_f64 v[32:33], v[2:3], v[38:39], -v[40:41]
	v_add_f64 v[22:23], v[22:23], v[14:15]
	v_add_f64 v[24:25], v[24:25], v[16:17]
	ds_load_b128 v[2:5], v1 offset:1392
	ds_load_b128 v[14:17], v1 offset:1408
	v_fma_f64 v[20:21], v[20:21], v[186:187], v[26:27]
	v_fma_f64 v[18:19], v[18:19], v[186:187], -v[28:29]
	s_waitcnt vmcnt(2) lgkmcnt(1)
	v_mul_f64 v[38:39], v[2:3], v[36:37]
	v_mul_f64 v[36:37], v[4:5], v[36:37]
	v_add_f64 v[22:23], v[22:23], v[32:33]
	v_add_f64 v[24:25], v[24:25], v[30:31]
	s_waitcnt vmcnt(1) lgkmcnt(0)
	v_mul_f64 v[26:27], v[14:15], v[8:9]
	v_mul_f64 v[8:9], v[16:17], v[8:9]
	v_fma_f64 v[28:29], v[4:5], v[34:35], v[38:39]
	v_fma_f64 v[30:31], v[2:3], v[34:35], -v[36:37]
	ds_load_b128 v[2:5], v1 offset:1424
	v_add_f64 v[18:19], v[22:23], v[18:19]
	v_add_f64 v[20:21], v[24:25], v[20:21]
	s_waitcnt vmcnt(0) lgkmcnt(0)
	v_mul_f64 v[22:23], v[2:3], v[12:13]
	v_mul_f64 v[12:13], v[4:5], v[12:13]
	v_fma_f64 v[16:17], v[16:17], v[6:7], v[26:27]
	v_fma_f64 v[6:7], v[14:15], v[6:7], -v[8:9]
	v_add_f64 v[8:9], v[18:19], v[30:31]
	v_add_f64 v[14:15], v[20:21], v[28:29]
	v_fma_f64 v[4:5], v[4:5], v[10:11], v[22:23]
	v_fma_f64 v[2:3], v[2:3], v[10:11], -v[12:13]
	s_delay_alu instid0(VALU_DEP_4) | instskip(NEXT) | instid1(VALU_DEP_4)
	v_add_f64 v[6:7], v[8:9], v[6:7]
	v_add_f64 v[8:9], v[14:15], v[16:17]
	s_delay_alu instid0(VALU_DEP_2) | instskip(NEXT) | instid1(VALU_DEP_2)
	v_add_f64 v[2:3], v[6:7], v[2:3]
	v_add_f64 v[4:5], v[8:9], v[4:5]
	s_delay_alu instid0(VALU_DEP_2) | instskip(NEXT) | instid1(VALU_DEP_2)
	v_add_f64 v[2:3], v[42:43], -v[2:3]
	v_add_f64 v[4:5], v[44:45], -v[4:5]
	scratch_store_b128 off, v[2:5], off offset:496
	v_cmpx_lt_u32_e32 30, v136
	s_cbranch_execz .LBB108_223
; %bb.222:
	scratch_load_b128 v[5:8], v142, off
	v_mov_b32_e32 v2, v1
	v_mov_b32_e32 v3, v1
	;; [unrolled: 1-line block ×3, first 2 shown]
	scratch_store_b128 off, v[1:4], off offset:480
	s_waitcnt vmcnt(0)
	ds_store_b128 v181, v[5:8]
.LBB108_223:
	s_or_b32 exec_lo, exec_lo, s2
	s_waitcnt lgkmcnt(0)
	s_waitcnt_vscnt null, 0x0
	s_barrier
	buffer_gl0_inv
	s_clause 0x8
	scratch_load_b128 v[2:5], off, off offset:496
	scratch_load_b128 v[6:9], off, off offset:512
	;; [unrolled: 1-line block ×9, first 2 shown]
	ds_load_b128 v[38:41], v1 offset:1216
	ds_load_b128 v[42:45], v1 offset:1232
	s_clause 0x1
	scratch_load_b128 v[182:185], off, off offset:480
	scratch_load_b128 v[186:189], off, off offset:640
	s_mov_b32 s2, exec_lo
	s_waitcnt vmcnt(10) lgkmcnt(1)
	v_mul_f64 v[190:191], v[40:41], v[4:5]
	v_mul_f64 v[4:5], v[38:39], v[4:5]
	s_waitcnt vmcnt(9) lgkmcnt(0)
	v_mul_f64 v[194:195], v[42:43], v[8:9]
	v_mul_f64 v[8:9], v[44:45], v[8:9]
	s_delay_alu instid0(VALU_DEP_4) | instskip(NEXT) | instid1(VALU_DEP_4)
	v_fma_f64 v[196:197], v[38:39], v[2:3], -v[190:191]
	v_fma_f64 v[198:199], v[40:41], v[2:3], v[4:5]
	ds_load_b128 v[2:5], v1 offset:1248
	ds_load_b128 v[190:193], v1 offset:1264
	scratch_load_b128 v[38:41], off, off offset:656
	v_fma_f64 v[44:45], v[44:45], v[6:7], v[194:195]
	v_fma_f64 v[42:43], v[42:43], v[6:7], -v[8:9]
	scratch_load_b128 v[6:9], off, off offset:672
	s_waitcnt vmcnt(10) lgkmcnt(1)
	v_mul_f64 v[200:201], v[2:3], v[12:13]
	v_mul_f64 v[12:13], v[4:5], v[12:13]
	v_add_f64 v[194:195], v[196:197], 0
	v_add_f64 v[196:197], v[198:199], 0
	s_waitcnt vmcnt(9) lgkmcnt(0)
	v_mul_f64 v[198:199], v[190:191], v[16:17]
	v_mul_f64 v[16:17], v[192:193], v[16:17]
	v_fma_f64 v[200:201], v[4:5], v[10:11], v[200:201]
	v_fma_f64 v[202:203], v[2:3], v[10:11], -v[12:13]
	ds_load_b128 v[2:5], v1 offset:1280
	scratch_load_b128 v[10:13], off, off offset:688
	v_add_f64 v[194:195], v[194:195], v[42:43]
	v_add_f64 v[196:197], v[196:197], v[44:45]
	ds_load_b128 v[42:45], v1 offset:1296
	v_fma_f64 v[192:193], v[192:193], v[14:15], v[198:199]
	v_fma_f64 v[190:191], v[190:191], v[14:15], -v[16:17]
	scratch_load_b128 v[14:17], off, off offset:704
	s_waitcnt vmcnt(10) lgkmcnt(1)
	v_mul_f64 v[204:205], v[2:3], v[20:21]
	v_mul_f64 v[20:21], v[4:5], v[20:21]
	s_waitcnt vmcnt(9) lgkmcnt(0)
	v_mul_f64 v[198:199], v[42:43], v[24:25]
	v_mul_f64 v[24:25], v[44:45], v[24:25]
	v_add_f64 v[194:195], v[194:195], v[202:203]
	v_add_f64 v[196:197], v[196:197], v[200:201]
	v_fma_f64 v[200:201], v[4:5], v[18:19], v[204:205]
	v_fma_f64 v[202:203], v[2:3], v[18:19], -v[20:21]
	ds_load_b128 v[2:5], v1 offset:1312
	ds_load_b128 v[18:21], v1 offset:1328
	v_fma_f64 v[44:45], v[44:45], v[22:23], v[198:199]
	v_fma_f64 v[22:23], v[42:43], v[22:23], -v[24:25]
	v_add_f64 v[190:191], v[194:195], v[190:191]
	v_add_f64 v[192:193], v[196:197], v[192:193]
	s_waitcnt vmcnt(8) lgkmcnt(1)
	v_mul_f64 v[194:195], v[2:3], v[28:29]
	v_mul_f64 v[28:29], v[4:5], v[28:29]
	s_delay_alu instid0(VALU_DEP_4) | instskip(NEXT) | instid1(VALU_DEP_4)
	v_add_f64 v[24:25], v[190:191], v[202:203]
	v_add_f64 v[42:43], v[192:193], v[200:201]
	s_waitcnt vmcnt(7) lgkmcnt(0)
	v_mul_f64 v[190:191], v[18:19], v[32:33]
	v_mul_f64 v[32:33], v[20:21], v[32:33]
	v_fma_f64 v[192:193], v[4:5], v[26:27], v[194:195]
	v_fma_f64 v[26:27], v[2:3], v[26:27], -v[28:29]
	v_add_f64 v[28:29], v[24:25], v[22:23]
	v_add_f64 v[42:43], v[42:43], v[44:45]
	ds_load_b128 v[2:5], v1 offset:1344
	ds_load_b128 v[22:25], v1 offset:1360
	v_fma_f64 v[20:21], v[20:21], v[30:31], v[190:191]
	v_fma_f64 v[18:19], v[18:19], v[30:31], -v[32:33]
	s_waitcnt vmcnt(6) lgkmcnt(1)
	v_mul_f64 v[44:45], v[2:3], v[36:37]
	v_mul_f64 v[36:37], v[4:5], v[36:37]
	s_waitcnt vmcnt(4) lgkmcnt(0)
	v_mul_f64 v[30:31], v[22:23], v[188:189]
	v_mul_f64 v[32:33], v[24:25], v[188:189]
	v_add_f64 v[26:27], v[28:29], v[26:27]
	v_add_f64 v[28:29], v[42:43], v[192:193]
	v_fma_f64 v[42:43], v[4:5], v[34:35], v[44:45]
	v_fma_f64 v[34:35], v[2:3], v[34:35], -v[36:37]
	v_fma_f64 v[24:25], v[24:25], v[186:187], v[30:31]
	v_fma_f64 v[22:23], v[22:23], v[186:187], -v[32:33]
	v_add_f64 v[26:27], v[26:27], v[18:19]
	v_add_f64 v[28:29], v[28:29], v[20:21]
	ds_load_b128 v[2:5], v1 offset:1376
	ds_load_b128 v[18:21], v1 offset:1392
	s_waitcnt vmcnt(3) lgkmcnt(1)
	v_mul_f64 v[36:37], v[2:3], v[40:41]
	v_mul_f64 v[40:41], v[4:5], v[40:41]
	s_waitcnt vmcnt(2) lgkmcnt(0)
	v_mul_f64 v[30:31], v[18:19], v[8:9]
	v_mul_f64 v[8:9], v[20:21], v[8:9]
	v_add_f64 v[26:27], v[26:27], v[34:35]
	v_add_f64 v[28:29], v[28:29], v[42:43]
	v_fma_f64 v[32:33], v[4:5], v[38:39], v[36:37]
	v_fma_f64 v[34:35], v[2:3], v[38:39], -v[40:41]
	v_fma_f64 v[20:21], v[20:21], v[6:7], v[30:31]
	v_fma_f64 v[6:7], v[18:19], v[6:7], -v[8:9]
	v_add_f64 v[26:27], v[26:27], v[22:23]
	v_add_f64 v[28:29], v[28:29], v[24:25]
	ds_load_b128 v[2:5], v1 offset:1408
	ds_load_b128 v[22:25], v1 offset:1424
	s_waitcnt vmcnt(1) lgkmcnt(1)
	v_mul_f64 v[36:37], v[2:3], v[12:13]
	v_mul_f64 v[12:13], v[4:5], v[12:13]
	v_add_f64 v[8:9], v[26:27], v[34:35]
	v_add_f64 v[18:19], v[28:29], v[32:33]
	s_waitcnt vmcnt(0) lgkmcnt(0)
	v_mul_f64 v[26:27], v[22:23], v[16:17]
	v_mul_f64 v[16:17], v[24:25], v[16:17]
	v_fma_f64 v[4:5], v[4:5], v[10:11], v[36:37]
	v_fma_f64 v[1:2], v[2:3], v[10:11], -v[12:13]
	v_add_f64 v[6:7], v[8:9], v[6:7]
	v_add_f64 v[8:9], v[18:19], v[20:21]
	v_fma_f64 v[10:11], v[24:25], v[14:15], v[26:27]
	v_fma_f64 v[12:13], v[22:23], v[14:15], -v[16:17]
	s_delay_alu instid0(VALU_DEP_4) | instskip(NEXT) | instid1(VALU_DEP_4)
	v_add_f64 v[1:2], v[6:7], v[1:2]
	v_add_f64 v[3:4], v[8:9], v[4:5]
	s_delay_alu instid0(VALU_DEP_2) | instskip(NEXT) | instid1(VALU_DEP_2)
	v_add_f64 v[1:2], v[1:2], v[12:13]
	v_add_f64 v[3:4], v[3:4], v[10:11]
	s_delay_alu instid0(VALU_DEP_2) | instskip(NEXT) | instid1(VALU_DEP_2)
	v_add_f64 v[1:2], v[182:183], -v[1:2]
	v_add_f64 v[3:4], v[184:185], -v[3:4]
	scratch_store_b128 off, v[1:4], off offset:480
	v_cmpx_lt_u32_e32 29, v136
	s_cbranch_execz .LBB108_225
; %bb.224:
	scratch_load_b128 v[1:4], v144, off
	v_mov_b32_e32 v5, 0
	s_delay_alu instid0(VALU_DEP_1)
	v_mov_b32_e32 v6, v5
	v_mov_b32_e32 v7, v5
	;; [unrolled: 1-line block ×3, first 2 shown]
	scratch_store_b128 off, v[5:8], off offset:464
	s_waitcnt vmcnt(0)
	ds_store_b128 v181, v[1:4]
.LBB108_225:
	s_or_b32 exec_lo, exec_lo, s2
	s_waitcnt lgkmcnt(0)
	s_waitcnt_vscnt null, 0x0
	s_barrier
	buffer_gl0_inv
	s_clause 0x7
	scratch_load_b128 v[2:5], off, off offset:480
	scratch_load_b128 v[6:9], off, off offset:496
	;; [unrolled: 1-line block ×8, first 2 shown]
	v_mov_b32_e32 v1, 0
	s_mov_b32 s2, exec_lo
	ds_load_b128 v[34:37], v1 offset:1200
	s_clause 0x1
	scratch_load_b128 v[38:41], off, off offset:608
	scratch_load_b128 v[42:45], off, off offset:464
	ds_load_b128 v[182:185], v1 offset:1216
	scratch_load_b128 v[186:189], off, off offset:624
	s_waitcnt vmcnt(10) lgkmcnt(1)
	v_mul_f64 v[190:191], v[36:37], v[4:5]
	v_mul_f64 v[4:5], v[34:35], v[4:5]
	s_delay_alu instid0(VALU_DEP_2) | instskip(NEXT) | instid1(VALU_DEP_2)
	v_fma_f64 v[196:197], v[34:35], v[2:3], -v[190:191]
	v_fma_f64 v[198:199], v[36:37], v[2:3], v[4:5]
	scratch_load_b128 v[34:37], off, off offset:640
	ds_load_b128 v[2:5], v1 offset:1232
	s_waitcnt vmcnt(10) lgkmcnt(1)
	v_mul_f64 v[194:195], v[182:183], v[8:9]
	v_mul_f64 v[8:9], v[184:185], v[8:9]
	ds_load_b128 v[190:193], v1 offset:1248
	s_waitcnt vmcnt(9) lgkmcnt(1)
	v_mul_f64 v[200:201], v[2:3], v[12:13]
	v_mul_f64 v[12:13], v[4:5], v[12:13]
	v_fma_f64 v[184:185], v[184:185], v[6:7], v[194:195]
	v_fma_f64 v[182:183], v[182:183], v[6:7], -v[8:9]
	v_add_f64 v[194:195], v[196:197], 0
	v_add_f64 v[196:197], v[198:199], 0
	scratch_load_b128 v[6:9], off, off offset:656
	v_fma_f64 v[200:201], v[4:5], v[10:11], v[200:201]
	v_fma_f64 v[202:203], v[2:3], v[10:11], -v[12:13]
	scratch_load_b128 v[10:13], off, off offset:672
	ds_load_b128 v[2:5], v1 offset:1264
	s_waitcnt vmcnt(10) lgkmcnt(1)
	v_mul_f64 v[198:199], v[190:191], v[16:17]
	v_mul_f64 v[16:17], v[192:193], v[16:17]
	v_add_f64 v[194:195], v[194:195], v[182:183]
	v_add_f64 v[196:197], v[196:197], v[184:185]
	s_waitcnt vmcnt(9) lgkmcnt(0)
	v_mul_f64 v[204:205], v[2:3], v[20:21]
	v_mul_f64 v[20:21], v[4:5], v[20:21]
	ds_load_b128 v[182:185], v1 offset:1280
	v_fma_f64 v[192:193], v[192:193], v[14:15], v[198:199]
	v_fma_f64 v[190:191], v[190:191], v[14:15], -v[16:17]
	scratch_load_b128 v[14:17], off, off offset:688
	v_add_f64 v[194:195], v[194:195], v[202:203]
	v_add_f64 v[196:197], v[196:197], v[200:201]
	v_fma_f64 v[200:201], v[4:5], v[18:19], v[204:205]
	v_fma_f64 v[202:203], v[2:3], v[18:19], -v[20:21]
	scratch_load_b128 v[18:21], off, off offset:704
	ds_load_b128 v[2:5], v1 offset:1296
	s_waitcnt vmcnt(10) lgkmcnt(1)
	v_mul_f64 v[198:199], v[182:183], v[24:25]
	v_mul_f64 v[24:25], v[184:185], v[24:25]
	s_waitcnt vmcnt(9) lgkmcnt(0)
	v_mul_f64 v[204:205], v[2:3], v[28:29]
	v_mul_f64 v[28:29], v[4:5], v[28:29]
	v_add_f64 v[194:195], v[194:195], v[190:191]
	v_add_f64 v[196:197], v[196:197], v[192:193]
	ds_load_b128 v[190:193], v1 offset:1312
	v_fma_f64 v[184:185], v[184:185], v[22:23], v[198:199]
	v_fma_f64 v[22:23], v[182:183], v[22:23], -v[24:25]
	v_add_f64 v[24:25], v[194:195], v[202:203]
	v_add_f64 v[182:183], v[196:197], v[200:201]
	s_waitcnt vmcnt(8) lgkmcnt(0)
	v_mul_f64 v[194:195], v[190:191], v[32:33]
	v_mul_f64 v[32:33], v[192:193], v[32:33]
	v_fma_f64 v[196:197], v[4:5], v[26:27], v[204:205]
	v_fma_f64 v[26:27], v[2:3], v[26:27], -v[28:29]
	v_add_f64 v[28:29], v[24:25], v[22:23]
	v_add_f64 v[182:183], v[182:183], v[184:185]
	ds_load_b128 v[2:5], v1 offset:1328
	ds_load_b128 v[22:25], v1 offset:1344
	v_fma_f64 v[192:193], v[192:193], v[30:31], v[194:195]
	v_fma_f64 v[30:31], v[190:191], v[30:31], -v[32:33]
	s_waitcnt vmcnt(7) lgkmcnt(1)
	v_mul_f64 v[184:185], v[2:3], v[40:41]
	v_mul_f64 v[40:41], v[4:5], v[40:41]
	s_waitcnt vmcnt(5) lgkmcnt(0)
	v_mul_f64 v[32:33], v[22:23], v[188:189]
	v_add_f64 v[26:27], v[28:29], v[26:27]
	v_add_f64 v[28:29], v[182:183], v[196:197]
	v_mul_f64 v[182:183], v[24:25], v[188:189]
	v_fma_f64 v[184:185], v[4:5], v[38:39], v[184:185]
	v_fma_f64 v[38:39], v[2:3], v[38:39], -v[40:41]
	v_fma_f64 v[24:25], v[24:25], v[186:187], v[32:33]
	v_add_f64 v[30:31], v[26:27], v[30:31]
	v_add_f64 v[40:41], v[28:29], v[192:193]
	ds_load_b128 v[2:5], v1 offset:1360
	ds_load_b128 v[26:29], v1 offset:1376
	v_fma_f64 v[22:23], v[22:23], v[186:187], -v[182:183]
	s_waitcnt vmcnt(4) lgkmcnt(1)
	v_mul_f64 v[188:189], v[2:3], v[36:37]
	v_mul_f64 v[36:37], v[4:5], v[36:37]
	v_add_f64 v[30:31], v[30:31], v[38:39]
	v_add_f64 v[32:33], v[40:41], v[184:185]
	s_waitcnt vmcnt(3) lgkmcnt(0)
	v_mul_f64 v[38:39], v[26:27], v[8:9]
	v_mul_f64 v[8:9], v[28:29], v[8:9]
	v_fma_f64 v[40:41], v[4:5], v[34:35], v[188:189]
	v_fma_f64 v[34:35], v[2:3], v[34:35], -v[36:37]
	v_add_f64 v[30:31], v[30:31], v[22:23]
	v_add_f64 v[32:33], v[32:33], v[24:25]
	ds_load_b128 v[2:5], v1 offset:1392
	ds_load_b128 v[22:25], v1 offset:1408
	v_fma_f64 v[28:29], v[28:29], v[6:7], v[38:39]
	v_fma_f64 v[6:7], v[26:27], v[6:7], -v[8:9]
	s_waitcnt vmcnt(2) lgkmcnt(1)
	v_mul_f64 v[36:37], v[2:3], v[12:13]
	v_mul_f64 v[12:13], v[4:5], v[12:13]
	v_add_f64 v[8:9], v[30:31], v[34:35]
	v_add_f64 v[26:27], v[32:33], v[40:41]
	s_waitcnt vmcnt(1) lgkmcnt(0)
	v_mul_f64 v[30:31], v[22:23], v[16:17]
	v_mul_f64 v[16:17], v[24:25], v[16:17]
	v_fma_f64 v[32:33], v[4:5], v[10:11], v[36:37]
	v_fma_f64 v[10:11], v[2:3], v[10:11], -v[12:13]
	ds_load_b128 v[2:5], v1 offset:1424
	v_add_f64 v[6:7], v[8:9], v[6:7]
	v_add_f64 v[8:9], v[26:27], v[28:29]
	v_fma_f64 v[24:25], v[24:25], v[14:15], v[30:31]
	v_fma_f64 v[14:15], v[22:23], v[14:15], -v[16:17]
	s_waitcnt vmcnt(0) lgkmcnt(0)
	v_mul_f64 v[12:13], v[2:3], v[20:21]
	v_mul_f64 v[20:21], v[4:5], v[20:21]
	v_add_f64 v[6:7], v[6:7], v[10:11]
	v_add_f64 v[8:9], v[8:9], v[32:33]
	s_delay_alu instid0(VALU_DEP_4) | instskip(NEXT) | instid1(VALU_DEP_4)
	v_fma_f64 v[4:5], v[4:5], v[18:19], v[12:13]
	v_fma_f64 v[2:3], v[2:3], v[18:19], -v[20:21]
	s_delay_alu instid0(VALU_DEP_4) | instskip(NEXT) | instid1(VALU_DEP_4)
	v_add_f64 v[6:7], v[6:7], v[14:15]
	v_add_f64 v[8:9], v[8:9], v[24:25]
	s_delay_alu instid0(VALU_DEP_2) | instskip(NEXT) | instid1(VALU_DEP_2)
	v_add_f64 v[2:3], v[6:7], v[2:3]
	v_add_f64 v[4:5], v[8:9], v[4:5]
	s_delay_alu instid0(VALU_DEP_2) | instskip(NEXT) | instid1(VALU_DEP_2)
	v_add_f64 v[2:3], v[42:43], -v[2:3]
	v_add_f64 v[4:5], v[44:45], -v[4:5]
	scratch_store_b128 off, v[2:5], off offset:464
	v_cmpx_lt_u32_e32 28, v136
	s_cbranch_execz .LBB108_227
; %bb.226:
	scratch_load_b128 v[5:8], v146, off
	v_mov_b32_e32 v2, v1
	v_mov_b32_e32 v3, v1
	;; [unrolled: 1-line block ×3, first 2 shown]
	scratch_store_b128 off, v[1:4], off offset:448
	s_waitcnt vmcnt(0)
	ds_store_b128 v181, v[5:8]
.LBB108_227:
	s_or_b32 exec_lo, exec_lo, s2
	s_waitcnt lgkmcnt(0)
	s_waitcnt_vscnt null, 0x0
	s_barrier
	buffer_gl0_inv
	s_clause 0x8
	scratch_load_b128 v[2:5], off, off offset:464
	scratch_load_b128 v[6:9], off, off offset:480
	;; [unrolled: 1-line block ×9, first 2 shown]
	ds_load_b128 v[38:41], v1 offset:1184
	ds_load_b128 v[42:45], v1 offset:1200
	s_clause 0x1
	scratch_load_b128 v[182:185], off, off offset:448
	scratch_load_b128 v[186:189], off, off offset:608
	s_mov_b32 s2, exec_lo
	s_waitcnt vmcnt(10) lgkmcnt(1)
	v_mul_f64 v[190:191], v[40:41], v[4:5]
	v_mul_f64 v[4:5], v[38:39], v[4:5]
	s_waitcnt vmcnt(9) lgkmcnt(0)
	v_mul_f64 v[194:195], v[42:43], v[8:9]
	v_mul_f64 v[8:9], v[44:45], v[8:9]
	s_delay_alu instid0(VALU_DEP_4) | instskip(NEXT) | instid1(VALU_DEP_4)
	v_fma_f64 v[196:197], v[38:39], v[2:3], -v[190:191]
	v_fma_f64 v[198:199], v[40:41], v[2:3], v[4:5]
	ds_load_b128 v[2:5], v1 offset:1216
	ds_load_b128 v[190:193], v1 offset:1232
	scratch_load_b128 v[38:41], off, off offset:624
	v_fma_f64 v[44:45], v[44:45], v[6:7], v[194:195]
	v_fma_f64 v[42:43], v[42:43], v[6:7], -v[8:9]
	scratch_load_b128 v[6:9], off, off offset:640
	s_waitcnt vmcnt(10) lgkmcnt(1)
	v_mul_f64 v[200:201], v[2:3], v[12:13]
	v_mul_f64 v[12:13], v[4:5], v[12:13]
	v_add_f64 v[194:195], v[196:197], 0
	v_add_f64 v[196:197], v[198:199], 0
	s_waitcnt vmcnt(9) lgkmcnt(0)
	v_mul_f64 v[198:199], v[190:191], v[16:17]
	v_mul_f64 v[16:17], v[192:193], v[16:17]
	v_fma_f64 v[200:201], v[4:5], v[10:11], v[200:201]
	v_fma_f64 v[202:203], v[2:3], v[10:11], -v[12:13]
	ds_load_b128 v[2:5], v1 offset:1248
	scratch_load_b128 v[10:13], off, off offset:656
	v_add_f64 v[194:195], v[194:195], v[42:43]
	v_add_f64 v[196:197], v[196:197], v[44:45]
	ds_load_b128 v[42:45], v1 offset:1264
	v_fma_f64 v[192:193], v[192:193], v[14:15], v[198:199]
	v_fma_f64 v[190:191], v[190:191], v[14:15], -v[16:17]
	scratch_load_b128 v[14:17], off, off offset:672
	s_waitcnt vmcnt(10) lgkmcnt(1)
	v_mul_f64 v[204:205], v[2:3], v[20:21]
	v_mul_f64 v[20:21], v[4:5], v[20:21]
	s_waitcnt vmcnt(9) lgkmcnt(0)
	v_mul_f64 v[198:199], v[42:43], v[24:25]
	v_mul_f64 v[24:25], v[44:45], v[24:25]
	v_add_f64 v[194:195], v[194:195], v[202:203]
	v_add_f64 v[196:197], v[196:197], v[200:201]
	v_fma_f64 v[200:201], v[4:5], v[18:19], v[204:205]
	v_fma_f64 v[202:203], v[2:3], v[18:19], -v[20:21]
	ds_load_b128 v[2:5], v1 offset:1280
	scratch_load_b128 v[18:21], off, off offset:688
	v_fma_f64 v[44:45], v[44:45], v[22:23], v[198:199]
	v_fma_f64 v[42:43], v[42:43], v[22:23], -v[24:25]
	scratch_load_b128 v[22:25], off, off offset:704
	v_add_f64 v[194:195], v[194:195], v[190:191]
	v_add_f64 v[196:197], v[196:197], v[192:193]
	ds_load_b128 v[190:193], v1 offset:1296
	s_waitcnt vmcnt(10) lgkmcnt(1)
	v_mul_f64 v[204:205], v[2:3], v[28:29]
	v_mul_f64 v[28:29], v[4:5], v[28:29]
	s_waitcnt vmcnt(9) lgkmcnt(0)
	v_mul_f64 v[198:199], v[190:191], v[32:33]
	v_mul_f64 v[32:33], v[192:193], v[32:33]
	v_add_f64 v[194:195], v[194:195], v[202:203]
	v_add_f64 v[196:197], v[196:197], v[200:201]
	v_fma_f64 v[200:201], v[4:5], v[26:27], v[204:205]
	v_fma_f64 v[202:203], v[2:3], v[26:27], -v[28:29]
	ds_load_b128 v[2:5], v1 offset:1312
	ds_load_b128 v[26:29], v1 offset:1328
	v_fma_f64 v[192:193], v[192:193], v[30:31], v[198:199]
	v_fma_f64 v[30:31], v[190:191], v[30:31], -v[32:33]
	v_add_f64 v[42:43], v[194:195], v[42:43]
	v_add_f64 v[44:45], v[196:197], v[44:45]
	s_waitcnt vmcnt(8) lgkmcnt(1)
	v_mul_f64 v[194:195], v[2:3], v[36:37]
	v_mul_f64 v[36:37], v[4:5], v[36:37]
	s_delay_alu instid0(VALU_DEP_4) | instskip(NEXT) | instid1(VALU_DEP_4)
	v_add_f64 v[32:33], v[42:43], v[202:203]
	v_add_f64 v[42:43], v[44:45], v[200:201]
	s_waitcnt vmcnt(6) lgkmcnt(0)
	v_mul_f64 v[44:45], v[26:27], v[188:189]
	v_mul_f64 v[188:189], v[28:29], v[188:189]
	v_fma_f64 v[190:191], v[4:5], v[34:35], v[194:195]
	v_fma_f64 v[34:35], v[2:3], v[34:35], -v[36:37]
	v_add_f64 v[36:37], v[32:33], v[30:31]
	v_add_f64 v[42:43], v[42:43], v[192:193]
	ds_load_b128 v[2:5], v1 offset:1344
	ds_load_b128 v[30:33], v1 offset:1360
	v_fma_f64 v[28:29], v[28:29], v[186:187], v[44:45]
	v_fma_f64 v[26:27], v[26:27], v[186:187], -v[188:189]
	s_waitcnt vmcnt(5) lgkmcnt(1)
	v_mul_f64 v[192:193], v[2:3], v[40:41]
	v_mul_f64 v[40:41], v[4:5], v[40:41]
	v_add_f64 v[34:35], v[36:37], v[34:35]
	v_add_f64 v[36:37], v[42:43], v[190:191]
	s_waitcnt vmcnt(4) lgkmcnt(0)
	v_mul_f64 v[42:43], v[30:31], v[8:9]
	v_mul_f64 v[8:9], v[32:33], v[8:9]
	v_fma_f64 v[44:45], v[4:5], v[38:39], v[192:193]
	v_fma_f64 v[38:39], v[2:3], v[38:39], -v[40:41]
	v_add_f64 v[34:35], v[34:35], v[26:27]
	v_add_f64 v[36:37], v[36:37], v[28:29]
	ds_load_b128 v[2:5], v1 offset:1376
	ds_load_b128 v[26:29], v1 offset:1392
	v_fma_f64 v[32:33], v[32:33], v[6:7], v[42:43]
	v_fma_f64 v[6:7], v[30:31], v[6:7], -v[8:9]
	s_waitcnt vmcnt(3) lgkmcnt(1)
	v_mul_f64 v[40:41], v[2:3], v[12:13]
	v_mul_f64 v[12:13], v[4:5], v[12:13]
	;; [unrolled: 16-line block ×3, first 2 shown]
	s_waitcnt vmcnt(0) lgkmcnt(0)
	v_mul_f64 v[16:17], v[6:7], v[24:25]
	v_mul_f64 v[24:25], v[8:9], v[24:25]
	v_add_f64 v[10:11], v[12:13], v[10:11]
	v_add_f64 v[12:13], v[30:31], v[36:37]
	v_fma_f64 v[4:5], v[4:5], v[18:19], v[32:33]
	v_fma_f64 v[1:2], v[2:3], v[18:19], -v[20:21]
	v_fma_f64 v[8:9], v[8:9], v[22:23], v[16:17]
	v_fma_f64 v[6:7], v[6:7], v[22:23], -v[24:25]
	v_add_f64 v[10:11], v[10:11], v[14:15]
	v_add_f64 v[12:13], v[12:13], v[28:29]
	s_delay_alu instid0(VALU_DEP_2) | instskip(NEXT) | instid1(VALU_DEP_2)
	v_add_f64 v[1:2], v[10:11], v[1:2]
	v_add_f64 v[3:4], v[12:13], v[4:5]
	s_delay_alu instid0(VALU_DEP_2) | instskip(NEXT) | instid1(VALU_DEP_2)
	;; [unrolled: 3-line block ×3, first 2 shown]
	v_add_f64 v[1:2], v[182:183], -v[1:2]
	v_add_f64 v[3:4], v[184:185], -v[3:4]
	scratch_store_b128 off, v[1:4], off offset:448
	v_cmpx_lt_u32_e32 27, v136
	s_cbranch_execz .LBB108_229
; %bb.228:
	scratch_load_b128 v[1:4], v147, off
	v_mov_b32_e32 v5, 0
	s_delay_alu instid0(VALU_DEP_1)
	v_mov_b32_e32 v6, v5
	v_mov_b32_e32 v7, v5
	;; [unrolled: 1-line block ×3, first 2 shown]
	scratch_store_b128 off, v[5:8], off offset:432
	s_waitcnt vmcnt(0)
	ds_store_b128 v181, v[1:4]
.LBB108_229:
	s_or_b32 exec_lo, exec_lo, s2
	s_waitcnt lgkmcnt(0)
	s_waitcnt_vscnt null, 0x0
	s_barrier
	buffer_gl0_inv
	s_clause 0x7
	scratch_load_b128 v[2:5], off, off offset:448
	scratch_load_b128 v[6:9], off, off offset:464
	;; [unrolled: 1-line block ×8, first 2 shown]
	v_mov_b32_e32 v1, 0
	s_mov_b32 s2, exec_lo
	ds_load_b128 v[34:37], v1 offset:1168
	s_clause 0x1
	scratch_load_b128 v[38:41], off, off offset:576
	scratch_load_b128 v[42:45], off, off offset:432
	ds_load_b128 v[182:185], v1 offset:1184
	scratch_load_b128 v[186:189], off, off offset:592
	s_waitcnt vmcnt(10) lgkmcnt(1)
	v_mul_f64 v[190:191], v[36:37], v[4:5]
	v_mul_f64 v[4:5], v[34:35], v[4:5]
	s_delay_alu instid0(VALU_DEP_2) | instskip(NEXT) | instid1(VALU_DEP_2)
	v_fma_f64 v[196:197], v[34:35], v[2:3], -v[190:191]
	v_fma_f64 v[198:199], v[36:37], v[2:3], v[4:5]
	scratch_load_b128 v[34:37], off, off offset:608
	ds_load_b128 v[2:5], v1 offset:1200
	s_waitcnt vmcnt(10) lgkmcnt(1)
	v_mul_f64 v[194:195], v[182:183], v[8:9]
	v_mul_f64 v[8:9], v[184:185], v[8:9]
	ds_load_b128 v[190:193], v1 offset:1216
	s_waitcnt vmcnt(9) lgkmcnt(1)
	v_mul_f64 v[200:201], v[2:3], v[12:13]
	v_mul_f64 v[12:13], v[4:5], v[12:13]
	v_fma_f64 v[184:185], v[184:185], v[6:7], v[194:195]
	v_fma_f64 v[182:183], v[182:183], v[6:7], -v[8:9]
	v_add_f64 v[194:195], v[196:197], 0
	v_add_f64 v[196:197], v[198:199], 0
	scratch_load_b128 v[6:9], off, off offset:624
	v_fma_f64 v[200:201], v[4:5], v[10:11], v[200:201]
	v_fma_f64 v[202:203], v[2:3], v[10:11], -v[12:13]
	scratch_load_b128 v[10:13], off, off offset:640
	ds_load_b128 v[2:5], v1 offset:1232
	s_waitcnt vmcnt(10) lgkmcnt(1)
	v_mul_f64 v[198:199], v[190:191], v[16:17]
	v_mul_f64 v[16:17], v[192:193], v[16:17]
	v_add_f64 v[194:195], v[194:195], v[182:183]
	v_add_f64 v[196:197], v[196:197], v[184:185]
	s_waitcnt vmcnt(9) lgkmcnt(0)
	v_mul_f64 v[204:205], v[2:3], v[20:21]
	v_mul_f64 v[20:21], v[4:5], v[20:21]
	ds_load_b128 v[182:185], v1 offset:1248
	v_fma_f64 v[192:193], v[192:193], v[14:15], v[198:199]
	v_fma_f64 v[190:191], v[190:191], v[14:15], -v[16:17]
	scratch_load_b128 v[14:17], off, off offset:656
	v_add_f64 v[194:195], v[194:195], v[202:203]
	v_add_f64 v[196:197], v[196:197], v[200:201]
	v_fma_f64 v[200:201], v[4:5], v[18:19], v[204:205]
	v_fma_f64 v[202:203], v[2:3], v[18:19], -v[20:21]
	scratch_load_b128 v[18:21], off, off offset:672
	ds_load_b128 v[2:5], v1 offset:1264
	s_waitcnt vmcnt(10) lgkmcnt(1)
	v_mul_f64 v[198:199], v[182:183], v[24:25]
	v_mul_f64 v[24:25], v[184:185], v[24:25]
	s_waitcnt vmcnt(9) lgkmcnt(0)
	v_mul_f64 v[204:205], v[2:3], v[28:29]
	v_mul_f64 v[28:29], v[4:5], v[28:29]
	v_add_f64 v[194:195], v[194:195], v[190:191]
	v_add_f64 v[196:197], v[196:197], v[192:193]
	ds_load_b128 v[190:193], v1 offset:1280
	v_fma_f64 v[184:185], v[184:185], v[22:23], v[198:199]
	v_fma_f64 v[182:183], v[182:183], v[22:23], -v[24:25]
	scratch_load_b128 v[22:25], off, off offset:688
	v_add_f64 v[194:195], v[194:195], v[202:203]
	v_add_f64 v[196:197], v[196:197], v[200:201]
	v_fma_f64 v[200:201], v[4:5], v[26:27], v[204:205]
	v_fma_f64 v[202:203], v[2:3], v[26:27], -v[28:29]
	scratch_load_b128 v[26:29], off, off offset:704
	ds_load_b128 v[2:5], v1 offset:1296
	s_waitcnt vmcnt(10) lgkmcnt(1)
	v_mul_f64 v[198:199], v[190:191], v[32:33]
	v_mul_f64 v[32:33], v[192:193], v[32:33]
	s_waitcnt vmcnt(9) lgkmcnt(0)
	v_mul_f64 v[204:205], v[2:3], v[40:41]
	v_mul_f64 v[40:41], v[4:5], v[40:41]
	v_add_f64 v[194:195], v[194:195], v[182:183]
	v_add_f64 v[196:197], v[196:197], v[184:185]
	ds_load_b128 v[182:185], v1 offset:1312
	v_fma_f64 v[192:193], v[192:193], v[30:31], v[198:199]
	v_fma_f64 v[30:31], v[190:191], v[30:31], -v[32:33]
	v_add_f64 v[32:33], v[194:195], v[202:203]
	v_add_f64 v[190:191], v[196:197], v[200:201]
	s_waitcnt vmcnt(7) lgkmcnt(0)
	v_mul_f64 v[194:195], v[182:183], v[188:189]
	v_mul_f64 v[188:189], v[184:185], v[188:189]
	v_fma_f64 v[196:197], v[4:5], v[38:39], v[204:205]
	v_fma_f64 v[38:39], v[2:3], v[38:39], -v[40:41]
	v_add_f64 v[40:41], v[32:33], v[30:31]
	v_add_f64 v[190:191], v[190:191], v[192:193]
	ds_load_b128 v[2:5], v1 offset:1328
	ds_load_b128 v[30:33], v1 offset:1344
	v_fma_f64 v[184:185], v[184:185], v[186:187], v[194:195]
	v_fma_f64 v[182:183], v[182:183], v[186:187], -v[188:189]
	s_waitcnt vmcnt(6) lgkmcnt(1)
	v_mul_f64 v[192:193], v[2:3], v[36:37]
	v_mul_f64 v[36:37], v[4:5], v[36:37]
	v_add_f64 v[38:39], v[40:41], v[38:39]
	v_add_f64 v[40:41], v[190:191], v[196:197]
	s_waitcnt vmcnt(5) lgkmcnt(0)
	v_mul_f64 v[186:187], v[30:31], v[8:9]
	v_mul_f64 v[8:9], v[32:33], v[8:9]
	v_fma_f64 v[188:189], v[4:5], v[34:35], v[192:193]
	v_fma_f64 v[190:191], v[2:3], v[34:35], -v[36:37]
	ds_load_b128 v[2:5], v1 offset:1360
	ds_load_b128 v[34:37], v1 offset:1376
	v_add_f64 v[38:39], v[38:39], v[182:183]
	v_add_f64 v[40:41], v[40:41], v[184:185]
	s_waitcnt vmcnt(4) lgkmcnt(1)
	v_mul_f64 v[182:183], v[2:3], v[12:13]
	v_mul_f64 v[12:13], v[4:5], v[12:13]
	v_fma_f64 v[32:33], v[32:33], v[6:7], v[186:187]
	v_fma_f64 v[6:7], v[30:31], v[6:7], -v[8:9]
	v_add_f64 v[8:9], v[38:39], v[190:191]
	v_add_f64 v[30:31], v[40:41], v[188:189]
	s_waitcnt vmcnt(3) lgkmcnt(0)
	v_mul_f64 v[38:39], v[34:35], v[16:17]
	v_mul_f64 v[16:17], v[36:37], v[16:17]
	v_fma_f64 v[40:41], v[4:5], v[10:11], v[182:183]
	v_fma_f64 v[10:11], v[2:3], v[10:11], -v[12:13]
	v_add_f64 v[12:13], v[8:9], v[6:7]
	v_add_f64 v[30:31], v[30:31], v[32:33]
	ds_load_b128 v[2:5], v1 offset:1392
	ds_load_b128 v[6:9], v1 offset:1408
	v_fma_f64 v[36:37], v[36:37], v[14:15], v[38:39]
	v_fma_f64 v[14:15], v[34:35], v[14:15], -v[16:17]
	s_waitcnt vmcnt(2) lgkmcnt(1)
	v_mul_f64 v[32:33], v[2:3], v[20:21]
	v_mul_f64 v[20:21], v[4:5], v[20:21]
	s_waitcnt vmcnt(1) lgkmcnt(0)
	v_mul_f64 v[16:17], v[6:7], v[24:25]
	v_mul_f64 v[24:25], v[8:9], v[24:25]
	v_add_f64 v[10:11], v[12:13], v[10:11]
	v_add_f64 v[12:13], v[30:31], v[40:41]
	v_fma_f64 v[30:31], v[4:5], v[18:19], v[32:33]
	v_fma_f64 v[18:19], v[2:3], v[18:19], -v[20:21]
	ds_load_b128 v[2:5], v1 offset:1424
	v_fma_f64 v[8:9], v[8:9], v[22:23], v[16:17]
	v_fma_f64 v[6:7], v[6:7], v[22:23], -v[24:25]
	v_add_f64 v[10:11], v[10:11], v[14:15]
	v_add_f64 v[12:13], v[12:13], v[36:37]
	s_waitcnt vmcnt(0) lgkmcnt(0)
	v_mul_f64 v[14:15], v[2:3], v[28:29]
	v_mul_f64 v[20:21], v[4:5], v[28:29]
	s_delay_alu instid0(VALU_DEP_4) | instskip(NEXT) | instid1(VALU_DEP_4)
	v_add_f64 v[10:11], v[10:11], v[18:19]
	v_add_f64 v[12:13], v[12:13], v[30:31]
	s_delay_alu instid0(VALU_DEP_4) | instskip(NEXT) | instid1(VALU_DEP_4)
	v_fma_f64 v[4:5], v[4:5], v[26:27], v[14:15]
	v_fma_f64 v[2:3], v[2:3], v[26:27], -v[20:21]
	s_delay_alu instid0(VALU_DEP_4) | instskip(NEXT) | instid1(VALU_DEP_4)
	v_add_f64 v[6:7], v[10:11], v[6:7]
	v_add_f64 v[8:9], v[12:13], v[8:9]
	s_delay_alu instid0(VALU_DEP_2) | instskip(NEXT) | instid1(VALU_DEP_2)
	v_add_f64 v[2:3], v[6:7], v[2:3]
	v_add_f64 v[4:5], v[8:9], v[4:5]
	s_delay_alu instid0(VALU_DEP_2) | instskip(NEXT) | instid1(VALU_DEP_2)
	v_add_f64 v[2:3], v[42:43], -v[2:3]
	v_add_f64 v[4:5], v[44:45], -v[4:5]
	scratch_store_b128 off, v[2:5], off offset:432
	v_cmpx_lt_u32_e32 26, v136
	s_cbranch_execz .LBB108_231
; %bb.230:
	scratch_load_b128 v[5:8], v150, off
	v_mov_b32_e32 v2, v1
	v_mov_b32_e32 v3, v1
	;; [unrolled: 1-line block ×3, first 2 shown]
	scratch_store_b128 off, v[1:4], off offset:416
	s_waitcnt vmcnt(0)
	ds_store_b128 v181, v[5:8]
.LBB108_231:
	s_or_b32 exec_lo, exec_lo, s2
	s_waitcnt lgkmcnt(0)
	s_waitcnt_vscnt null, 0x0
	s_barrier
	buffer_gl0_inv
	s_clause 0x8
	scratch_load_b128 v[2:5], off, off offset:432
	scratch_load_b128 v[6:9], off, off offset:448
	;; [unrolled: 1-line block ×9, first 2 shown]
	ds_load_b128 v[38:41], v1 offset:1152
	ds_load_b128 v[42:45], v1 offset:1168
	s_clause 0x1
	scratch_load_b128 v[182:185], off, off offset:416
	scratch_load_b128 v[186:189], off, off offset:576
	s_mov_b32 s2, exec_lo
	s_waitcnt vmcnt(10) lgkmcnt(1)
	v_mul_f64 v[190:191], v[40:41], v[4:5]
	v_mul_f64 v[4:5], v[38:39], v[4:5]
	s_waitcnt vmcnt(9) lgkmcnt(0)
	v_mul_f64 v[194:195], v[42:43], v[8:9]
	v_mul_f64 v[8:9], v[44:45], v[8:9]
	s_delay_alu instid0(VALU_DEP_4) | instskip(NEXT) | instid1(VALU_DEP_4)
	v_fma_f64 v[196:197], v[38:39], v[2:3], -v[190:191]
	v_fma_f64 v[198:199], v[40:41], v[2:3], v[4:5]
	ds_load_b128 v[2:5], v1 offset:1184
	ds_load_b128 v[190:193], v1 offset:1200
	scratch_load_b128 v[38:41], off, off offset:592
	v_fma_f64 v[44:45], v[44:45], v[6:7], v[194:195]
	v_fma_f64 v[42:43], v[42:43], v[6:7], -v[8:9]
	scratch_load_b128 v[6:9], off, off offset:608
	s_waitcnt vmcnt(10) lgkmcnt(1)
	v_mul_f64 v[200:201], v[2:3], v[12:13]
	v_mul_f64 v[12:13], v[4:5], v[12:13]
	v_add_f64 v[194:195], v[196:197], 0
	v_add_f64 v[196:197], v[198:199], 0
	s_waitcnt vmcnt(9) lgkmcnt(0)
	v_mul_f64 v[198:199], v[190:191], v[16:17]
	v_mul_f64 v[16:17], v[192:193], v[16:17]
	v_fma_f64 v[200:201], v[4:5], v[10:11], v[200:201]
	v_fma_f64 v[202:203], v[2:3], v[10:11], -v[12:13]
	ds_load_b128 v[2:5], v1 offset:1216
	scratch_load_b128 v[10:13], off, off offset:624
	v_add_f64 v[194:195], v[194:195], v[42:43]
	v_add_f64 v[196:197], v[196:197], v[44:45]
	ds_load_b128 v[42:45], v1 offset:1232
	v_fma_f64 v[192:193], v[192:193], v[14:15], v[198:199]
	v_fma_f64 v[190:191], v[190:191], v[14:15], -v[16:17]
	scratch_load_b128 v[14:17], off, off offset:640
	s_waitcnt vmcnt(10) lgkmcnt(1)
	v_mul_f64 v[204:205], v[2:3], v[20:21]
	v_mul_f64 v[20:21], v[4:5], v[20:21]
	s_waitcnt vmcnt(9) lgkmcnt(0)
	v_mul_f64 v[198:199], v[42:43], v[24:25]
	v_mul_f64 v[24:25], v[44:45], v[24:25]
	v_add_f64 v[194:195], v[194:195], v[202:203]
	v_add_f64 v[196:197], v[196:197], v[200:201]
	v_fma_f64 v[200:201], v[4:5], v[18:19], v[204:205]
	v_fma_f64 v[202:203], v[2:3], v[18:19], -v[20:21]
	ds_load_b128 v[2:5], v1 offset:1248
	scratch_load_b128 v[18:21], off, off offset:656
	v_fma_f64 v[44:45], v[44:45], v[22:23], v[198:199]
	v_fma_f64 v[42:43], v[42:43], v[22:23], -v[24:25]
	scratch_load_b128 v[22:25], off, off offset:672
	v_add_f64 v[194:195], v[194:195], v[190:191]
	v_add_f64 v[196:197], v[196:197], v[192:193]
	ds_load_b128 v[190:193], v1 offset:1264
	s_waitcnt vmcnt(10) lgkmcnt(1)
	v_mul_f64 v[204:205], v[2:3], v[28:29]
	v_mul_f64 v[28:29], v[4:5], v[28:29]
	s_waitcnt vmcnt(9) lgkmcnt(0)
	v_mul_f64 v[198:199], v[190:191], v[32:33]
	v_mul_f64 v[32:33], v[192:193], v[32:33]
	v_add_f64 v[194:195], v[194:195], v[202:203]
	v_add_f64 v[196:197], v[196:197], v[200:201]
	v_fma_f64 v[200:201], v[4:5], v[26:27], v[204:205]
	v_fma_f64 v[202:203], v[2:3], v[26:27], -v[28:29]
	ds_load_b128 v[2:5], v1 offset:1280
	scratch_load_b128 v[26:29], off, off offset:688
	v_fma_f64 v[192:193], v[192:193], v[30:31], v[198:199]
	v_fma_f64 v[190:191], v[190:191], v[30:31], -v[32:33]
	scratch_load_b128 v[30:33], off, off offset:704
	v_add_f64 v[194:195], v[194:195], v[42:43]
	v_add_f64 v[196:197], v[196:197], v[44:45]
	ds_load_b128 v[42:45], v1 offset:1296
	s_waitcnt vmcnt(10) lgkmcnt(1)
	v_mul_f64 v[204:205], v[2:3], v[36:37]
	v_mul_f64 v[36:37], v[4:5], v[36:37]
	s_waitcnt vmcnt(8) lgkmcnt(0)
	v_mul_f64 v[198:199], v[42:43], v[188:189]
	v_mul_f64 v[188:189], v[44:45], v[188:189]
	v_add_f64 v[194:195], v[194:195], v[202:203]
	v_add_f64 v[196:197], v[196:197], v[200:201]
	v_fma_f64 v[200:201], v[4:5], v[34:35], v[204:205]
	v_fma_f64 v[202:203], v[2:3], v[34:35], -v[36:37]
	ds_load_b128 v[2:5], v1 offset:1312
	ds_load_b128 v[34:37], v1 offset:1328
	v_fma_f64 v[44:45], v[44:45], v[186:187], v[198:199]
	v_fma_f64 v[42:43], v[42:43], v[186:187], -v[188:189]
	v_add_f64 v[190:191], v[194:195], v[190:191]
	v_add_f64 v[192:193], v[196:197], v[192:193]
	s_waitcnt vmcnt(7) lgkmcnt(1)
	v_mul_f64 v[194:195], v[2:3], v[40:41]
	v_mul_f64 v[40:41], v[4:5], v[40:41]
	s_delay_alu instid0(VALU_DEP_4) | instskip(NEXT) | instid1(VALU_DEP_4)
	v_add_f64 v[186:187], v[190:191], v[202:203]
	v_add_f64 v[188:189], v[192:193], v[200:201]
	s_waitcnt vmcnt(6) lgkmcnt(0)
	v_mul_f64 v[190:191], v[34:35], v[8:9]
	v_mul_f64 v[8:9], v[36:37], v[8:9]
	v_fma_f64 v[192:193], v[4:5], v[38:39], v[194:195]
	v_fma_f64 v[194:195], v[2:3], v[38:39], -v[40:41]
	ds_load_b128 v[2:5], v1 offset:1344
	ds_load_b128 v[38:41], v1 offset:1360
	v_add_f64 v[42:43], v[186:187], v[42:43]
	v_add_f64 v[44:45], v[188:189], v[44:45]
	v_fma_f64 v[36:37], v[36:37], v[6:7], v[190:191]
	s_waitcnt vmcnt(5) lgkmcnt(1)
	v_mul_f64 v[186:187], v[2:3], v[12:13]
	v_mul_f64 v[12:13], v[4:5], v[12:13]
	v_fma_f64 v[6:7], v[34:35], v[6:7], -v[8:9]
	v_add_f64 v[8:9], v[42:43], v[194:195]
	v_add_f64 v[34:35], v[44:45], v[192:193]
	s_waitcnt vmcnt(4) lgkmcnt(0)
	v_mul_f64 v[42:43], v[38:39], v[16:17]
	v_mul_f64 v[16:17], v[40:41], v[16:17]
	v_fma_f64 v[44:45], v[4:5], v[10:11], v[186:187]
	v_fma_f64 v[10:11], v[2:3], v[10:11], -v[12:13]
	v_add_f64 v[12:13], v[8:9], v[6:7]
	v_add_f64 v[34:35], v[34:35], v[36:37]
	ds_load_b128 v[2:5], v1 offset:1376
	ds_load_b128 v[6:9], v1 offset:1392
	v_fma_f64 v[40:41], v[40:41], v[14:15], v[42:43]
	v_fma_f64 v[14:15], v[38:39], v[14:15], -v[16:17]
	s_waitcnt vmcnt(3) lgkmcnt(1)
	v_mul_f64 v[36:37], v[2:3], v[20:21]
	v_mul_f64 v[20:21], v[4:5], v[20:21]
	s_waitcnt vmcnt(2) lgkmcnt(0)
	v_mul_f64 v[16:17], v[6:7], v[24:25]
	v_mul_f64 v[24:25], v[8:9], v[24:25]
	v_add_f64 v[10:11], v[12:13], v[10:11]
	v_add_f64 v[12:13], v[34:35], v[44:45]
	v_fma_f64 v[34:35], v[4:5], v[18:19], v[36:37]
	v_fma_f64 v[18:19], v[2:3], v[18:19], -v[20:21]
	v_fma_f64 v[8:9], v[8:9], v[22:23], v[16:17]
	v_fma_f64 v[6:7], v[6:7], v[22:23], -v[24:25]
	v_add_f64 v[14:15], v[10:11], v[14:15]
	v_add_f64 v[20:21], v[12:13], v[40:41]
	ds_load_b128 v[2:5], v1 offset:1408
	ds_load_b128 v[10:13], v1 offset:1424
	s_waitcnt vmcnt(1) lgkmcnt(1)
	v_mul_f64 v[36:37], v[2:3], v[28:29]
	v_mul_f64 v[28:29], v[4:5], v[28:29]
	v_add_f64 v[14:15], v[14:15], v[18:19]
	v_add_f64 v[16:17], v[20:21], v[34:35]
	s_waitcnt vmcnt(0) lgkmcnt(0)
	v_mul_f64 v[18:19], v[10:11], v[32:33]
	v_mul_f64 v[20:21], v[12:13], v[32:33]
	v_fma_f64 v[4:5], v[4:5], v[26:27], v[36:37]
	v_fma_f64 v[1:2], v[2:3], v[26:27], -v[28:29]
	v_add_f64 v[6:7], v[14:15], v[6:7]
	v_add_f64 v[8:9], v[16:17], v[8:9]
	v_fma_f64 v[12:13], v[12:13], v[30:31], v[18:19]
	v_fma_f64 v[10:11], v[10:11], v[30:31], -v[20:21]
	s_delay_alu instid0(VALU_DEP_4) | instskip(NEXT) | instid1(VALU_DEP_4)
	v_add_f64 v[1:2], v[6:7], v[1:2]
	v_add_f64 v[3:4], v[8:9], v[4:5]
	s_delay_alu instid0(VALU_DEP_2) | instskip(NEXT) | instid1(VALU_DEP_2)
	v_add_f64 v[1:2], v[1:2], v[10:11]
	v_add_f64 v[3:4], v[3:4], v[12:13]
	s_delay_alu instid0(VALU_DEP_2) | instskip(NEXT) | instid1(VALU_DEP_2)
	v_add_f64 v[1:2], v[182:183], -v[1:2]
	v_add_f64 v[3:4], v[184:185], -v[3:4]
	scratch_store_b128 off, v[1:4], off offset:416
	v_cmpx_lt_u32_e32 25, v136
	s_cbranch_execz .LBB108_233
; %bb.232:
	scratch_load_b128 v[1:4], v151, off
	v_mov_b32_e32 v5, 0
	s_delay_alu instid0(VALU_DEP_1)
	v_mov_b32_e32 v6, v5
	v_mov_b32_e32 v7, v5
	;; [unrolled: 1-line block ×3, first 2 shown]
	scratch_store_b128 off, v[5:8], off offset:400
	s_waitcnt vmcnt(0)
	ds_store_b128 v181, v[1:4]
.LBB108_233:
	s_or_b32 exec_lo, exec_lo, s2
	s_waitcnt lgkmcnt(0)
	s_waitcnt_vscnt null, 0x0
	s_barrier
	buffer_gl0_inv
	s_clause 0x7
	scratch_load_b128 v[2:5], off, off offset:416
	scratch_load_b128 v[6:9], off, off offset:432
	;; [unrolled: 1-line block ×8, first 2 shown]
	v_mov_b32_e32 v1, 0
	s_mov_b32 s2, exec_lo
	ds_load_b128 v[34:37], v1 offset:1136
	s_clause 0x1
	scratch_load_b128 v[38:41], off, off offset:544
	scratch_load_b128 v[42:45], off, off offset:400
	ds_load_b128 v[182:185], v1 offset:1152
	scratch_load_b128 v[186:189], off, off offset:560
	s_waitcnt vmcnt(10) lgkmcnt(1)
	v_mul_f64 v[190:191], v[36:37], v[4:5]
	v_mul_f64 v[4:5], v[34:35], v[4:5]
	s_delay_alu instid0(VALU_DEP_2) | instskip(NEXT) | instid1(VALU_DEP_2)
	v_fma_f64 v[196:197], v[34:35], v[2:3], -v[190:191]
	v_fma_f64 v[198:199], v[36:37], v[2:3], v[4:5]
	scratch_load_b128 v[34:37], off, off offset:576
	ds_load_b128 v[2:5], v1 offset:1168
	s_waitcnt vmcnt(10) lgkmcnt(1)
	v_mul_f64 v[194:195], v[182:183], v[8:9]
	v_mul_f64 v[8:9], v[184:185], v[8:9]
	ds_load_b128 v[190:193], v1 offset:1184
	s_waitcnt vmcnt(9) lgkmcnt(1)
	v_mul_f64 v[200:201], v[2:3], v[12:13]
	v_mul_f64 v[12:13], v[4:5], v[12:13]
	v_fma_f64 v[184:185], v[184:185], v[6:7], v[194:195]
	v_fma_f64 v[182:183], v[182:183], v[6:7], -v[8:9]
	v_add_f64 v[194:195], v[196:197], 0
	v_add_f64 v[196:197], v[198:199], 0
	scratch_load_b128 v[6:9], off, off offset:592
	v_fma_f64 v[200:201], v[4:5], v[10:11], v[200:201]
	v_fma_f64 v[202:203], v[2:3], v[10:11], -v[12:13]
	scratch_load_b128 v[10:13], off, off offset:608
	ds_load_b128 v[2:5], v1 offset:1200
	s_waitcnt vmcnt(10) lgkmcnt(1)
	v_mul_f64 v[198:199], v[190:191], v[16:17]
	v_mul_f64 v[16:17], v[192:193], v[16:17]
	v_add_f64 v[194:195], v[194:195], v[182:183]
	v_add_f64 v[196:197], v[196:197], v[184:185]
	s_waitcnt vmcnt(9) lgkmcnt(0)
	v_mul_f64 v[204:205], v[2:3], v[20:21]
	v_mul_f64 v[20:21], v[4:5], v[20:21]
	ds_load_b128 v[182:185], v1 offset:1216
	v_fma_f64 v[192:193], v[192:193], v[14:15], v[198:199]
	v_fma_f64 v[190:191], v[190:191], v[14:15], -v[16:17]
	scratch_load_b128 v[14:17], off, off offset:624
	v_add_f64 v[194:195], v[194:195], v[202:203]
	v_add_f64 v[196:197], v[196:197], v[200:201]
	v_fma_f64 v[200:201], v[4:5], v[18:19], v[204:205]
	v_fma_f64 v[202:203], v[2:3], v[18:19], -v[20:21]
	scratch_load_b128 v[18:21], off, off offset:640
	ds_load_b128 v[2:5], v1 offset:1232
	s_waitcnt vmcnt(10) lgkmcnt(1)
	v_mul_f64 v[198:199], v[182:183], v[24:25]
	v_mul_f64 v[24:25], v[184:185], v[24:25]
	s_waitcnt vmcnt(9) lgkmcnt(0)
	v_mul_f64 v[204:205], v[2:3], v[28:29]
	v_mul_f64 v[28:29], v[4:5], v[28:29]
	v_add_f64 v[194:195], v[194:195], v[190:191]
	v_add_f64 v[196:197], v[196:197], v[192:193]
	ds_load_b128 v[190:193], v1 offset:1248
	v_fma_f64 v[184:185], v[184:185], v[22:23], v[198:199]
	v_fma_f64 v[182:183], v[182:183], v[22:23], -v[24:25]
	scratch_load_b128 v[22:25], off, off offset:656
	v_add_f64 v[194:195], v[194:195], v[202:203]
	v_add_f64 v[196:197], v[196:197], v[200:201]
	v_fma_f64 v[200:201], v[4:5], v[26:27], v[204:205]
	v_fma_f64 v[202:203], v[2:3], v[26:27], -v[28:29]
	scratch_load_b128 v[26:29], off, off offset:672
	ds_load_b128 v[2:5], v1 offset:1264
	s_waitcnt vmcnt(10) lgkmcnt(1)
	v_mul_f64 v[198:199], v[190:191], v[32:33]
	v_mul_f64 v[32:33], v[192:193], v[32:33]
	s_waitcnt vmcnt(9) lgkmcnt(0)
	v_mul_f64 v[204:205], v[2:3], v[40:41]
	v_mul_f64 v[40:41], v[4:5], v[40:41]
	v_add_f64 v[194:195], v[194:195], v[182:183]
	v_add_f64 v[196:197], v[196:197], v[184:185]
	ds_load_b128 v[182:185], v1 offset:1280
	v_fma_f64 v[192:193], v[192:193], v[30:31], v[198:199]
	v_fma_f64 v[190:191], v[190:191], v[30:31], -v[32:33]
	scratch_load_b128 v[30:33], off, off offset:688
	v_add_f64 v[194:195], v[194:195], v[202:203]
	v_add_f64 v[196:197], v[196:197], v[200:201]
	v_fma_f64 v[202:203], v[4:5], v[38:39], v[204:205]
	v_fma_f64 v[204:205], v[2:3], v[38:39], -v[40:41]
	scratch_load_b128 v[38:41], off, off offset:704
	ds_load_b128 v[2:5], v1 offset:1296
	s_waitcnt vmcnt(9) lgkmcnt(1)
	v_mul_f64 v[198:199], v[182:183], v[188:189]
	v_mul_f64 v[200:201], v[184:185], v[188:189]
	v_add_f64 v[194:195], v[194:195], v[190:191]
	v_add_f64 v[192:193], v[196:197], v[192:193]
	ds_load_b128 v[188:191], v1 offset:1312
	v_fma_f64 v[184:185], v[184:185], v[186:187], v[198:199]
	v_fma_f64 v[182:183], v[182:183], v[186:187], -v[200:201]
	s_waitcnt vmcnt(8) lgkmcnt(1)
	v_mul_f64 v[196:197], v[2:3], v[36:37]
	v_mul_f64 v[36:37], v[4:5], v[36:37]
	v_add_f64 v[186:187], v[194:195], v[204:205]
	v_add_f64 v[192:193], v[192:193], v[202:203]
	s_delay_alu instid0(VALU_DEP_4) | instskip(NEXT) | instid1(VALU_DEP_4)
	v_fma_f64 v[196:197], v[4:5], v[34:35], v[196:197]
	v_fma_f64 v[198:199], v[2:3], v[34:35], -v[36:37]
	ds_load_b128 v[2:5], v1 offset:1328
	ds_load_b128 v[34:37], v1 offset:1344
	s_waitcnt vmcnt(7) lgkmcnt(2)
	v_mul_f64 v[194:195], v[188:189], v[8:9]
	v_mul_f64 v[8:9], v[190:191], v[8:9]
	v_add_f64 v[182:183], v[186:187], v[182:183]
	v_add_f64 v[184:185], v[192:193], v[184:185]
	s_waitcnt vmcnt(6) lgkmcnt(1)
	v_mul_f64 v[186:187], v[2:3], v[12:13]
	v_mul_f64 v[12:13], v[4:5], v[12:13]
	v_fma_f64 v[190:191], v[190:191], v[6:7], v[194:195]
	v_fma_f64 v[6:7], v[188:189], v[6:7], -v[8:9]
	v_add_f64 v[8:9], v[182:183], v[198:199]
	v_add_f64 v[182:183], v[184:185], v[196:197]
	s_waitcnt vmcnt(5) lgkmcnt(0)
	v_mul_f64 v[184:185], v[34:35], v[16:17]
	v_mul_f64 v[16:17], v[36:37], v[16:17]
	v_fma_f64 v[186:187], v[4:5], v[10:11], v[186:187]
	v_fma_f64 v[10:11], v[2:3], v[10:11], -v[12:13]
	v_add_f64 v[12:13], v[8:9], v[6:7]
	v_add_f64 v[182:183], v[182:183], v[190:191]
	ds_load_b128 v[2:5], v1 offset:1360
	ds_load_b128 v[6:9], v1 offset:1376
	v_fma_f64 v[36:37], v[36:37], v[14:15], v[184:185]
	v_fma_f64 v[14:15], v[34:35], v[14:15], -v[16:17]
	s_waitcnt vmcnt(4) lgkmcnt(1)
	v_mul_f64 v[188:189], v[2:3], v[20:21]
	v_mul_f64 v[20:21], v[4:5], v[20:21]
	s_waitcnt vmcnt(3) lgkmcnt(0)
	v_mul_f64 v[16:17], v[6:7], v[24:25]
	v_mul_f64 v[24:25], v[8:9], v[24:25]
	v_add_f64 v[10:11], v[12:13], v[10:11]
	v_add_f64 v[12:13], v[182:183], v[186:187]
	v_fma_f64 v[34:35], v[4:5], v[18:19], v[188:189]
	v_fma_f64 v[18:19], v[2:3], v[18:19], -v[20:21]
	v_fma_f64 v[8:9], v[8:9], v[22:23], v[16:17]
	v_fma_f64 v[6:7], v[6:7], v[22:23], -v[24:25]
	v_add_f64 v[14:15], v[10:11], v[14:15]
	v_add_f64 v[20:21], v[12:13], v[36:37]
	ds_load_b128 v[2:5], v1 offset:1392
	ds_load_b128 v[10:13], v1 offset:1408
	s_waitcnt vmcnt(2) lgkmcnt(1)
	v_mul_f64 v[36:37], v[2:3], v[28:29]
	v_mul_f64 v[28:29], v[4:5], v[28:29]
	v_add_f64 v[14:15], v[14:15], v[18:19]
	v_add_f64 v[16:17], v[20:21], v[34:35]
	s_waitcnt vmcnt(1) lgkmcnt(0)
	v_mul_f64 v[18:19], v[10:11], v[32:33]
	v_mul_f64 v[20:21], v[12:13], v[32:33]
	v_fma_f64 v[22:23], v[4:5], v[26:27], v[36:37]
	v_fma_f64 v[24:25], v[2:3], v[26:27], -v[28:29]
	ds_load_b128 v[2:5], v1 offset:1424
	v_add_f64 v[6:7], v[14:15], v[6:7]
	v_add_f64 v[8:9], v[16:17], v[8:9]
	v_fma_f64 v[12:13], v[12:13], v[30:31], v[18:19]
	v_fma_f64 v[10:11], v[10:11], v[30:31], -v[20:21]
	s_waitcnt vmcnt(0) lgkmcnt(0)
	v_mul_f64 v[14:15], v[2:3], v[40:41]
	v_mul_f64 v[16:17], v[4:5], v[40:41]
	v_add_f64 v[6:7], v[6:7], v[24:25]
	v_add_f64 v[8:9], v[8:9], v[22:23]
	s_delay_alu instid0(VALU_DEP_4) | instskip(NEXT) | instid1(VALU_DEP_4)
	v_fma_f64 v[4:5], v[4:5], v[38:39], v[14:15]
	v_fma_f64 v[2:3], v[2:3], v[38:39], -v[16:17]
	s_delay_alu instid0(VALU_DEP_4) | instskip(NEXT) | instid1(VALU_DEP_4)
	v_add_f64 v[6:7], v[6:7], v[10:11]
	v_add_f64 v[8:9], v[8:9], v[12:13]
	s_delay_alu instid0(VALU_DEP_2) | instskip(NEXT) | instid1(VALU_DEP_2)
	v_add_f64 v[2:3], v[6:7], v[2:3]
	v_add_f64 v[4:5], v[8:9], v[4:5]
	s_delay_alu instid0(VALU_DEP_2) | instskip(NEXT) | instid1(VALU_DEP_2)
	v_add_f64 v[2:3], v[42:43], -v[2:3]
	v_add_f64 v[4:5], v[44:45], -v[4:5]
	scratch_store_b128 off, v[2:5], off offset:400
	v_cmpx_lt_u32_e32 24, v136
	s_cbranch_execz .LBB108_235
; %bb.234:
	scratch_load_b128 v[5:8], v153, off
	v_mov_b32_e32 v2, v1
	v_mov_b32_e32 v3, v1
	;; [unrolled: 1-line block ×3, first 2 shown]
	scratch_store_b128 off, v[1:4], off offset:384
	s_waitcnt vmcnt(0)
	ds_store_b128 v181, v[5:8]
.LBB108_235:
	s_or_b32 exec_lo, exec_lo, s2
	s_waitcnt lgkmcnt(0)
	s_waitcnt_vscnt null, 0x0
	s_barrier
	buffer_gl0_inv
	s_clause 0x8
	scratch_load_b128 v[2:5], off, off offset:400
	scratch_load_b128 v[6:9], off, off offset:416
	;; [unrolled: 1-line block ×9, first 2 shown]
	ds_load_b128 v[38:41], v1 offset:1120
	ds_load_b128 v[42:45], v1 offset:1136
	s_clause 0x1
	scratch_load_b128 v[182:185], off, off offset:384
	scratch_load_b128 v[186:189], off, off offset:544
	s_mov_b32 s2, exec_lo
	s_waitcnt vmcnt(10) lgkmcnt(1)
	v_mul_f64 v[190:191], v[40:41], v[4:5]
	v_mul_f64 v[4:5], v[38:39], v[4:5]
	s_waitcnt vmcnt(9) lgkmcnt(0)
	v_mul_f64 v[194:195], v[42:43], v[8:9]
	v_mul_f64 v[8:9], v[44:45], v[8:9]
	s_delay_alu instid0(VALU_DEP_4) | instskip(NEXT) | instid1(VALU_DEP_4)
	v_fma_f64 v[196:197], v[38:39], v[2:3], -v[190:191]
	v_fma_f64 v[198:199], v[40:41], v[2:3], v[4:5]
	ds_load_b128 v[2:5], v1 offset:1152
	ds_load_b128 v[190:193], v1 offset:1168
	scratch_load_b128 v[38:41], off, off offset:560
	v_fma_f64 v[44:45], v[44:45], v[6:7], v[194:195]
	v_fma_f64 v[42:43], v[42:43], v[6:7], -v[8:9]
	scratch_load_b128 v[6:9], off, off offset:576
	s_waitcnt vmcnt(10) lgkmcnt(1)
	v_mul_f64 v[200:201], v[2:3], v[12:13]
	v_mul_f64 v[12:13], v[4:5], v[12:13]
	v_add_f64 v[194:195], v[196:197], 0
	v_add_f64 v[196:197], v[198:199], 0
	s_waitcnt vmcnt(9) lgkmcnt(0)
	v_mul_f64 v[198:199], v[190:191], v[16:17]
	v_mul_f64 v[16:17], v[192:193], v[16:17]
	v_fma_f64 v[200:201], v[4:5], v[10:11], v[200:201]
	v_fma_f64 v[202:203], v[2:3], v[10:11], -v[12:13]
	ds_load_b128 v[2:5], v1 offset:1184
	scratch_load_b128 v[10:13], off, off offset:592
	v_add_f64 v[194:195], v[194:195], v[42:43]
	v_add_f64 v[196:197], v[196:197], v[44:45]
	ds_load_b128 v[42:45], v1 offset:1200
	v_fma_f64 v[192:193], v[192:193], v[14:15], v[198:199]
	v_fma_f64 v[190:191], v[190:191], v[14:15], -v[16:17]
	scratch_load_b128 v[14:17], off, off offset:608
	s_waitcnt vmcnt(10) lgkmcnt(1)
	v_mul_f64 v[204:205], v[2:3], v[20:21]
	v_mul_f64 v[20:21], v[4:5], v[20:21]
	s_waitcnt vmcnt(9) lgkmcnt(0)
	v_mul_f64 v[198:199], v[42:43], v[24:25]
	v_mul_f64 v[24:25], v[44:45], v[24:25]
	v_add_f64 v[194:195], v[194:195], v[202:203]
	v_add_f64 v[196:197], v[196:197], v[200:201]
	v_fma_f64 v[200:201], v[4:5], v[18:19], v[204:205]
	v_fma_f64 v[202:203], v[2:3], v[18:19], -v[20:21]
	ds_load_b128 v[2:5], v1 offset:1216
	scratch_load_b128 v[18:21], off, off offset:624
	v_fma_f64 v[44:45], v[44:45], v[22:23], v[198:199]
	v_fma_f64 v[42:43], v[42:43], v[22:23], -v[24:25]
	scratch_load_b128 v[22:25], off, off offset:640
	v_add_f64 v[194:195], v[194:195], v[190:191]
	v_add_f64 v[196:197], v[196:197], v[192:193]
	ds_load_b128 v[190:193], v1 offset:1232
	s_waitcnt vmcnt(10) lgkmcnt(1)
	v_mul_f64 v[204:205], v[2:3], v[28:29]
	v_mul_f64 v[28:29], v[4:5], v[28:29]
	s_waitcnt vmcnt(9) lgkmcnt(0)
	v_mul_f64 v[198:199], v[190:191], v[32:33]
	v_mul_f64 v[32:33], v[192:193], v[32:33]
	v_add_f64 v[194:195], v[194:195], v[202:203]
	v_add_f64 v[196:197], v[196:197], v[200:201]
	v_fma_f64 v[200:201], v[4:5], v[26:27], v[204:205]
	v_fma_f64 v[202:203], v[2:3], v[26:27], -v[28:29]
	ds_load_b128 v[2:5], v1 offset:1248
	scratch_load_b128 v[26:29], off, off offset:656
	v_fma_f64 v[192:193], v[192:193], v[30:31], v[198:199]
	v_fma_f64 v[190:191], v[190:191], v[30:31], -v[32:33]
	scratch_load_b128 v[30:33], off, off offset:672
	v_add_f64 v[194:195], v[194:195], v[42:43]
	v_add_f64 v[196:197], v[196:197], v[44:45]
	ds_load_b128 v[42:45], v1 offset:1264
	s_waitcnt vmcnt(10) lgkmcnt(1)
	v_mul_f64 v[204:205], v[2:3], v[36:37]
	v_mul_f64 v[36:37], v[4:5], v[36:37]
	s_waitcnt vmcnt(8) lgkmcnt(0)
	v_mul_f64 v[198:199], v[42:43], v[188:189]
	v_add_f64 v[194:195], v[194:195], v[202:203]
	v_add_f64 v[196:197], v[196:197], v[200:201]
	v_mul_f64 v[200:201], v[44:45], v[188:189]
	v_fma_f64 v[202:203], v[4:5], v[34:35], v[204:205]
	v_fma_f64 v[204:205], v[2:3], v[34:35], -v[36:37]
	ds_load_b128 v[2:5], v1 offset:1280
	scratch_load_b128 v[34:37], off, off offset:688
	v_fma_f64 v[44:45], v[44:45], v[186:187], v[198:199]
	v_add_f64 v[194:195], v[194:195], v[190:191]
	v_add_f64 v[192:193], v[196:197], v[192:193]
	ds_load_b128 v[188:191], v1 offset:1296
	v_fma_f64 v[186:187], v[42:43], v[186:187], -v[200:201]
	s_waitcnt vmcnt(8) lgkmcnt(1)
	v_mul_f64 v[196:197], v[2:3], v[40:41]
	v_mul_f64 v[206:207], v[4:5], v[40:41]
	scratch_load_b128 v[40:43], off, off offset:704
	s_waitcnt vmcnt(8) lgkmcnt(0)
	v_mul_f64 v[198:199], v[188:189], v[8:9]
	v_mul_f64 v[8:9], v[190:191], v[8:9]
	v_add_f64 v[194:195], v[194:195], v[204:205]
	v_add_f64 v[192:193], v[192:193], v[202:203]
	v_fma_f64 v[196:197], v[4:5], v[38:39], v[196:197]
	v_fma_f64 v[38:39], v[2:3], v[38:39], -v[206:207]
	v_fma_f64 v[190:191], v[190:191], v[6:7], v[198:199]
	v_fma_f64 v[6:7], v[188:189], v[6:7], -v[8:9]
	v_add_f64 v[186:187], v[194:195], v[186:187]
	v_add_f64 v[44:45], v[192:193], v[44:45]
	ds_load_b128 v[2:5], v1 offset:1312
	ds_load_b128 v[192:195], v1 offset:1328
	s_waitcnt vmcnt(7) lgkmcnt(1)
	v_mul_f64 v[200:201], v[2:3], v[12:13]
	v_mul_f64 v[12:13], v[4:5], v[12:13]
	v_add_f64 v[8:9], v[186:187], v[38:39]
	v_add_f64 v[38:39], v[44:45], v[196:197]
	s_waitcnt vmcnt(6) lgkmcnt(0)
	v_mul_f64 v[44:45], v[192:193], v[16:17]
	v_mul_f64 v[16:17], v[194:195], v[16:17]
	v_fma_f64 v[186:187], v[4:5], v[10:11], v[200:201]
	v_fma_f64 v[10:11], v[2:3], v[10:11], -v[12:13]
	v_add_f64 v[12:13], v[8:9], v[6:7]
	v_add_f64 v[38:39], v[38:39], v[190:191]
	ds_load_b128 v[2:5], v1 offset:1344
	ds_load_b128 v[6:9], v1 offset:1360
	v_fma_f64 v[44:45], v[194:195], v[14:15], v[44:45]
	v_fma_f64 v[14:15], v[192:193], v[14:15], -v[16:17]
	s_waitcnt vmcnt(5) lgkmcnt(1)
	v_mul_f64 v[188:189], v[2:3], v[20:21]
	v_mul_f64 v[20:21], v[4:5], v[20:21]
	s_waitcnt vmcnt(4) lgkmcnt(0)
	v_mul_f64 v[16:17], v[6:7], v[24:25]
	v_mul_f64 v[24:25], v[8:9], v[24:25]
	v_add_f64 v[10:11], v[12:13], v[10:11]
	v_add_f64 v[12:13], v[38:39], v[186:187]
	v_fma_f64 v[38:39], v[4:5], v[18:19], v[188:189]
	v_fma_f64 v[18:19], v[2:3], v[18:19], -v[20:21]
	v_fma_f64 v[8:9], v[8:9], v[22:23], v[16:17]
	v_fma_f64 v[6:7], v[6:7], v[22:23], -v[24:25]
	v_add_f64 v[14:15], v[10:11], v[14:15]
	v_add_f64 v[20:21], v[12:13], v[44:45]
	ds_load_b128 v[2:5], v1 offset:1376
	ds_load_b128 v[10:13], v1 offset:1392
	s_waitcnt vmcnt(3) lgkmcnt(1)
	v_mul_f64 v[44:45], v[2:3], v[28:29]
	v_mul_f64 v[28:29], v[4:5], v[28:29]
	v_add_f64 v[14:15], v[14:15], v[18:19]
	v_add_f64 v[16:17], v[20:21], v[38:39]
	s_waitcnt vmcnt(2) lgkmcnt(0)
	v_mul_f64 v[18:19], v[10:11], v[32:33]
	v_mul_f64 v[20:21], v[12:13], v[32:33]
	v_fma_f64 v[22:23], v[4:5], v[26:27], v[44:45]
	v_fma_f64 v[24:25], v[2:3], v[26:27], -v[28:29]
	v_add_f64 v[14:15], v[14:15], v[6:7]
	v_add_f64 v[16:17], v[16:17], v[8:9]
	ds_load_b128 v[2:5], v1 offset:1408
	ds_load_b128 v[6:9], v1 offset:1424
	v_fma_f64 v[12:13], v[12:13], v[30:31], v[18:19]
	v_fma_f64 v[10:11], v[10:11], v[30:31], -v[20:21]
	s_waitcnt vmcnt(1) lgkmcnt(1)
	v_mul_f64 v[26:27], v[2:3], v[36:37]
	v_mul_f64 v[28:29], v[4:5], v[36:37]
	s_waitcnt vmcnt(0) lgkmcnt(0)
	v_mul_f64 v[18:19], v[6:7], v[42:43]
	v_add_f64 v[14:15], v[14:15], v[24:25]
	v_add_f64 v[16:17], v[16:17], v[22:23]
	v_mul_f64 v[20:21], v[8:9], v[42:43]
	v_fma_f64 v[4:5], v[4:5], v[34:35], v[26:27]
	v_fma_f64 v[1:2], v[2:3], v[34:35], -v[28:29]
	v_fma_f64 v[8:9], v[8:9], v[40:41], v[18:19]
	v_add_f64 v[10:11], v[14:15], v[10:11]
	v_add_f64 v[12:13], v[16:17], v[12:13]
	v_fma_f64 v[6:7], v[6:7], v[40:41], -v[20:21]
	s_delay_alu instid0(VALU_DEP_3) | instskip(NEXT) | instid1(VALU_DEP_3)
	v_add_f64 v[1:2], v[10:11], v[1:2]
	v_add_f64 v[3:4], v[12:13], v[4:5]
	s_delay_alu instid0(VALU_DEP_2) | instskip(NEXT) | instid1(VALU_DEP_2)
	v_add_f64 v[1:2], v[1:2], v[6:7]
	v_add_f64 v[3:4], v[3:4], v[8:9]
	s_delay_alu instid0(VALU_DEP_2) | instskip(NEXT) | instid1(VALU_DEP_2)
	v_add_f64 v[1:2], v[182:183], -v[1:2]
	v_add_f64 v[3:4], v[184:185], -v[3:4]
	scratch_store_b128 off, v[1:4], off offset:384
	v_cmpx_lt_u32_e32 23, v136
	s_cbranch_execz .LBB108_237
; %bb.236:
	scratch_load_b128 v[1:4], v155, off
	v_mov_b32_e32 v5, 0
	s_delay_alu instid0(VALU_DEP_1)
	v_mov_b32_e32 v6, v5
	v_mov_b32_e32 v7, v5
	;; [unrolled: 1-line block ×3, first 2 shown]
	scratch_store_b128 off, v[5:8], off offset:368
	s_waitcnt vmcnt(0)
	ds_store_b128 v181, v[1:4]
.LBB108_237:
	s_or_b32 exec_lo, exec_lo, s2
	s_waitcnt lgkmcnt(0)
	s_waitcnt_vscnt null, 0x0
	s_barrier
	buffer_gl0_inv
	s_clause 0x7
	scratch_load_b128 v[2:5], off, off offset:384
	scratch_load_b128 v[6:9], off, off offset:400
	;; [unrolled: 1-line block ×8, first 2 shown]
	v_mov_b32_e32 v1, 0
	s_mov_b32 s2, exec_lo
	ds_load_b128 v[34:37], v1 offset:1104
	s_clause 0x1
	scratch_load_b128 v[38:41], off, off offset:512
	scratch_load_b128 v[42:45], off, off offset:368
	ds_load_b128 v[182:185], v1 offset:1120
	scratch_load_b128 v[186:189], off, off offset:528
	s_waitcnt vmcnt(10) lgkmcnt(1)
	v_mul_f64 v[190:191], v[36:37], v[4:5]
	v_mul_f64 v[4:5], v[34:35], v[4:5]
	s_delay_alu instid0(VALU_DEP_2) | instskip(NEXT) | instid1(VALU_DEP_2)
	v_fma_f64 v[196:197], v[34:35], v[2:3], -v[190:191]
	v_fma_f64 v[198:199], v[36:37], v[2:3], v[4:5]
	scratch_load_b128 v[34:37], off, off offset:544
	ds_load_b128 v[2:5], v1 offset:1136
	s_waitcnt vmcnt(10) lgkmcnt(1)
	v_mul_f64 v[194:195], v[182:183], v[8:9]
	v_mul_f64 v[8:9], v[184:185], v[8:9]
	ds_load_b128 v[190:193], v1 offset:1152
	s_waitcnt vmcnt(9) lgkmcnt(1)
	v_mul_f64 v[200:201], v[2:3], v[12:13]
	v_mul_f64 v[12:13], v[4:5], v[12:13]
	v_fma_f64 v[184:185], v[184:185], v[6:7], v[194:195]
	v_fma_f64 v[182:183], v[182:183], v[6:7], -v[8:9]
	v_add_f64 v[194:195], v[196:197], 0
	v_add_f64 v[196:197], v[198:199], 0
	scratch_load_b128 v[6:9], off, off offset:560
	v_fma_f64 v[200:201], v[4:5], v[10:11], v[200:201]
	v_fma_f64 v[202:203], v[2:3], v[10:11], -v[12:13]
	scratch_load_b128 v[10:13], off, off offset:576
	ds_load_b128 v[2:5], v1 offset:1168
	s_waitcnt vmcnt(10) lgkmcnt(1)
	v_mul_f64 v[198:199], v[190:191], v[16:17]
	v_mul_f64 v[16:17], v[192:193], v[16:17]
	v_add_f64 v[194:195], v[194:195], v[182:183]
	v_add_f64 v[196:197], v[196:197], v[184:185]
	s_waitcnt vmcnt(9) lgkmcnt(0)
	v_mul_f64 v[204:205], v[2:3], v[20:21]
	v_mul_f64 v[20:21], v[4:5], v[20:21]
	ds_load_b128 v[182:185], v1 offset:1184
	v_fma_f64 v[192:193], v[192:193], v[14:15], v[198:199]
	v_fma_f64 v[190:191], v[190:191], v[14:15], -v[16:17]
	scratch_load_b128 v[14:17], off, off offset:592
	v_add_f64 v[194:195], v[194:195], v[202:203]
	v_add_f64 v[196:197], v[196:197], v[200:201]
	v_fma_f64 v[200:201], v[4:5], v[18:19], v[204:205]
	v_fma_f64 v[202:203], v[2:3], v[18:19], -v[20:21]
	scratch_load_b128 v[18:21], off, off offset:608
	ds_load_b128 v[2:5], v1 offset:1200
	s_waitcnt vmcnt(10) lgkmcnt(1)
	v_mul_f64 v[198:199], v[182:183], v[24:25]
	v_mul_f64 v[24:25], v[184:185], v[24:25]
	s_waitcnt vmcnt(9) lgkmcnt(0)
	v_mul_f64 v[204:205], v[2:3], v[28:29]
	v_mul_f64 v[28:29], v[4:5], v[28:29]
	v_add_f64 v[194:195], v[194:195], v[190:191]
	v_add_f64 v[196:197], v[196:197], v[192:193]
	ds_load_b128 v[190:193], v1 offset:1216
	v_fma_f64 v[184:185], v[184:185], v[22:23], v[198:199]
	v_fma_f64 v[182:183], v[182:183], v[22:23], -v[24:25]
	scratch_load_b128 v[22:25], off, off offset:624
	v_add_f64 v[194:195], v[194:195], v[202:203]
	v_add_f64 v[196:197], v[196:197], v[200:201]
	v_fma_f64 v[200:201], v[4:5], v[26:27], v[204:205]
	v_fma_f64 v[202:203], v[2:3], v[26:27], -v[28:29]
	scratch_load_b128 v[26:29], off, off offset:640
	ds_load_b128 v[2:5], v1 offset:1232
	s_waitcnt vmcnt(10) lgkmcnt(1)
	v_mul_f64 v[198:199], v[190:191], v[32:33]
	v_mul_f64 v[32:33], v[192:193], v[32:33]
	s_waitcnt vmcnt(9) lgkmcnt(0)
	v_mul_f64 v[204:205], v[2:3], v[40:41]
	v_mul_f64 v[40:41], v[4:5], v[40:41]
	v_add_f64 v[194:195], v[194:195], v[182:183]
	v_add_f64 v[196:197], v[196:197], v[184:185]
	ds_load_b128 v[182:185], v1 offset:1248
	v_fma_f64 v[192:193], v[192:193], v[30:31], v[198:199]
	v_fma_f64 v[190:191], v[190:191], v[30:31], -v[32:33]
	scratch_load_b128 v[30:33], off, off offset:656
	v_add_f64 v[194:195], v[194:195], v[202:203]
	v_add_f64 v[196:197], v[196:197], v[200:201]
	v_fma_f64 v[202:203], v[4:5], v[38:39], v[204:205]
	v_fma_f64 v[204:205], v[2:3], v[38:39], -v[40:41]
	scratch_load_b128 v[38:41], off, off offset:672
	ds_load_b128 v[2:5], v1 offset:1264
	s_waitcnt vmcnt(9) lgkmcnt(1)
	v_mul_f64 v[198:199], v[182:183], v[188:189]
	v_mul_f64 v[200:201], v[184:185], v[188:189]
	v_add_f64 v[194:195], v[194:195], v[190:191]
	v_add_f64 v[192:193], v[196:197], v[192:193]
	ds_load_b128 v[188:191], v1 offset:1280
	v_fma_f64 v[198:199], v[184:185], v[186:187], v[198:199]
	v_fma_f64 v[186:187], v[182:183], v[186:187], -v[200:201]
	scratch_load_b128 v[182:185], off, off offset:688
	s_waitcnt vmcnt(9) lgkmcnt(1)
	v_mul_f64 v[196:197], v[2:3], v[36:37]
	v_mul_f64 v[36:37], v[4:5], v[36:37]
	v_add_f64 v[194:195], v[194:195], v[204:205]
	v_add_f64 v[192:193], v[192:193], v[202:203]
	s_delay_alu instid0(VALU_DEP_4) | instskip(NEXT) | instid1(VALU_DEP_4)
	v_fma_f64 v[196:197], v[4:5], v[34:35], v[196:197]
	v_fma_f64 v[202:203], v[2:3], v[34:35], -v[36:37]
	scratch_load_b128 v[34:37], off, off offset:704
	ds_load_b128 v[2:5], v1 offset:1296
	s_waitcnt vmcnt(9) lgkmcnt(1)
	v_mul_f64 v[200:201], v[188:189], v[8:9]
	v_mul_f64 v[8:9], v[190:191], v[8:9]
	s_waitcnt vmcnt(8) lgkmcnt(0)
	v_mul_f64 v[204:205], v[2:3], v[12:13]
	v_mul_f64 v[12:13], v[4:5], v[12:13]
	v_add_f64 v[186:187], v[194:195], v[186:187]
	v_add_f64 v[198:199], v[192:193], v[198:199]
	ds_load_b128 v[192:195], v1 offset:1312
	v_fma_f64 v[190:191], v[190:191], v[6:7], v[200:201]
	v_fma_f64 v[6:7], v[188:189], v[6:7], -v[8:9]
	v_add_f64 v[8:9], v[186:187], v[202:203]
	v_add_f64 v[186:187], v[198:199], v[196:197]
	s_waitcnt vmcnt(7) lgkmcnt(0)
	v_mul_f64 v[188:189], v[192:193], v[16:17]
	v_mul_f64 v[16:17], v[194:195], v[16:17]
	v_fma_f64 v[196:197], v[4:5], v[10:11], v[204:205]
	v_fma_f64 v[10:11], v[2:3], v[10:11], -v[12:13]
	v_add_f64 v[12:13], v[8:9], v[6:7]
	v_add_f64 v[186:187], v[186:187], v[190:191]
	ds_load_b128 v[2:5], v1 offset:1328
	ds_load_b128 v[6:9], v1 offset:1344
	v_fma_f64 v[188:189], v[194:195], v[14:15], v[188:189]
	v_fma_f64 v[14:15], v[192:193], v[14:15], -v[16:17]
	s_waitcnt vmcnt(6) lgkmcnt(1)
	v_mul_f64 v[190:191], v[2:3], v[20:21]
	v_mul_f64 v[20:21], v[4:5], v[20:21]
	s_waitcnt vmcnt(5) lgkmcnt(0)
	v_mul_f64 v[16:17], v[6:7], v[24:25]
	v_mul_f64 v[24:25], v[8:9], v[24:25]
	v_add_f64 v[10:11], v[12:13], v[10:11]
	v_add_f64 v[12:13], v[186:187], v[196:197]
	v_fma_f64 v[186:187], v[4:5], v[18:19], v[190:191]
	v_fma_f64 v[18:19], v[2:3], v[18:19], -v[20:21]
	v_fma_f64 v[8:9], v[8:9], v[22:23], v[16:17]
	v_fma_f64 v[6:7], v[6:7], v[22:23], -v[24:25]
	v_add_f64 v[14:15], v[10:11], v[14:15]
	v_add_f64 v[20:21], v[12:13], v[188:189]
	ds_load_b128 v[2:5], v1 offset:1360
	ds_load_b128 v[10:13], v1 offset:1376
	s_waitcnt vmcnt(4) lgkmcnt(1)
	v_mul_f64 v[188:189], v[2:3], v[28:29]
	v_mul_f64 v[28:29], v[4:5], v[28:29]
	v_add_f64 v[14:15], v[14:15], v[18:19]
	v_add_f64 v[16:17], v[20:21], v[186:187]
	s_waitcnt vmcnt(3) lgkmcnt(0)
	v_mul_f64 v[18:19], v[10:11], v[32:33]
	v_mul_f64 v[20:21], v[12:13], v[32:33]
	v_fma_f64 v[22:23], v[4:5], v[26:27], v[188:189]
	v_fma_f64 v[24:25], v[2:3], v[26:27], -v[28:29]
	v_add_f64 v[14:15], v[14:15], v[6:7]
	v_add_f64 v[16:17], v[16:17], v[8:9]
	ds_load_b128 v[2:5], v1 offset:1392
	ds_load_b128 v[6:9], v1 offset:1408
	v_fma_f64 v[12:13], v[12:13], v[30:31], v[18:19]
	v_fma_f64 v[10:11], v[10:11], v[30:31], -v[20:21]
	s_waitcnt vmcnt(2) lgkmcnt(1)
	v_mul_f64 v[26:27], v[2:3], v[40:41]
	v_mul_f64 v[28:29], v[4:5], v[40:41]
	s_waitcnt vmcnt(1) lgkmcnt(0)
	v_mul_f64 v[18:19], v[6:7], v[184:185]
	v_mul_f64 v[20:21], v[8:9], v[184:185]
	v_add_f64 v[14:15], v[14:15], v[24:25]
	v_add_f64 v[16:17], v[16:17], v[22:23]
	v_fma_f64 v[22:23], v[4:5], v[38:39], v[26:27]
	v_fma_f64 v[24:25], v[2:3], v[38:39], -v[28:29]
	ds_load_b128 v[2:5], v1 offset:1424
	v_fma_f64 v[8:9], v[8:9], v[182:183], v[18:19]
	v_fma_f64 v[6:7], v[6:7], v[182:183], -v[20:21]
	v_add_f64 v[10:11], v[14:15], v[10:11]
	v_add_f64 v[12:13], v[16:17], v[12:13]
	s_waitcnt vmcnt(0) lgkmcnt(0)
	v_mul_f64 v[14:15], v[2:3], v[36:37]
	v_mul_f64 v[16:17], v[4:5], v[36:37]
	s_delay_alu instid0(VALU_DEP_4) | instskip(NEXT) | instid1(VALU_DEP_4)
	v_add_f64 v[10:11], v[10:11], v[24:25]
	v_add_f64 v[12:13], v[12:13], v[22:23]
	s_delay_alu instid0(VALU_DEP_4) | instskip(NEXT) | instid1(VALU_DEP_4)
	v_fma_f64 v[4:5], v[4:5], v[34:35], v[14:15]
	v_fma_f64 v[2:3], v[2:3], v[34:35], -v[16:17]
	s_delay_alu instid0(VALU_DEP_4) | instskip(NEXT) | instid1(VALU_DEP_4)
	v_add_f64 v[6:7], v[10:11], v[6:7]
	v_add_f64 v[8:9], v[12:13], v[8:9]
	s_delay_alu instid0(VALU_DEP_2) | instskip(NEXT) | instid1(VALU_DEP_2)
	v_add_f64 v[2:3], v[6:7], v[2:3]
	v_add_f64 v[4:5], v[8:9], v[4:5]
	s_delay_alu instid0(VALU_DEP_2) | instskip(NEXT) | instid1(VALU_DEP_2)
	v_add_f64 v[2:3], v[42:43], -v[2:3]
	v_add_f64 v[4:5], v[44:45], -v[4:5]
	scratch_store_b128 off, v[2:5], off offset:368
	v_cmpx_lt_u32_e32 22, v136
	s_cbranch_execz .LBB108_239
; %bb.238:
	scratch_load_b128 v[5:8], v156, off
	v_mov_b32_e32 v2, v1
	v_mov_b32_e32 v3, v1
	;; [unrolled: 1-line block ×3, first 2 shown]
	scratch_store_b128 off, v[1:4], off offset:352
	s_waitcnt vmcnt(0)
	ds_store_b128 v181, v[5:8]
.LBB108_239:
	s_or_b32 exec_lo, exec_lo, s2
	s_waitcnt lgkmcnt(0)
	s_waitcnt_vscnt null, 0x0
	s_barrier
	buffer_gl0_inv
	s_clause 0x8
	scratch_load_b128 v[2:5], off, off offset:368
	scratch_load_b128 v[6:9], off, off offset:384
	;; [unrolled: 1-line block ×9, first 2 shown]
	ds_load_b128 v[38:41], v1 offset:1088
	ds_load_b128 v[42:45], v1 offset:1104
	s_clause 0x1
	scratch_load_b128 v[182:185], off, off offset:352
	scratch_load_b128 v[186:189], off, off offset:512
	s_mov_b32 s2, exec_lo
	s_waitcnt vmcnt(10) lgkmcnt(1)
	v_mul_f64 v[190:191], v[40:41], v[4:5]
	v_mul_f64 v[4:5], v[38:39], v[4:5]
	s_waitcnt vmcnt(9) lgkmcnt(0)
	v_mul_f64 v[194:195], v[42:43], v[8:9]
	v_mul_f64 v[8:9], v[44:45], v[8:9]
	s_delay_alu instid0(VALU_DEP_4) | instskip(NEXT) | instid1(VALU_DEP_4)
	v_fma_f64 v[196:197], v[38:39], v[2:3], -v[190:191]
	v_fma_f64 v[198:199], v[40:41], v[2:3], v[4:5]
	ds_load_b128 v[2:5], v1 offset:1120
	ds_load_b128 v[190:193], v1 offset:1136
	scratch_load_b128 v[38:41], off, off offset:528
	v_fma_f64 v[44:45], v[44:45], v[6:7], v[194:195]
	v_fma_f64 v[42:43], v[42:43], v[6:7], -v[8:9]
	scratch_load_b128 v[6:9], off, off offset:544
	s_waitcnt vmcnt(10) lgkmcnt(1)
	v_mul_f64 v[200:201], v[2:3], v[12:13]
	v_mul_f64 v[12:13], v[4:5], v[12:13]
	v_add_f64 v[194:195], v[196:197], 0
	v_add_f64 v[196:197], v[198:199], 0
	s_waitcnt vmcnt(9) lgkmcnt(0)
	v_mul_f64 v[198:199], v[190:191], v[16:17]
	v_mul_f64 v[16:17], v[192:193], v[16:17]
	v_fma_f64 v[200:201], v[4:5], v[10:11], v[200:201]
	v_fma_f64 v[202:203], v[2:3], v[10:11], -v[12:13]
	ds_load_b128 v[2:5], v1 offset:1152
	scratch_load_b128 v[10:13], off, off offset:560
	v_add_f64 v[194:195], v[194:195], v[42:43]
	v_add_f64 v[196:197], v[196:197], v[44:45]
	ds_load_b128 v[42:45], v1 offset:1168
	v_fma_f64 v[192:193], v[192:193], v[14:15], v[198:199]
	v_fma_f64 v[190:191], v[190:191], v[14:15], -v[16:17]
	scratch_load_b128 v[14:17], off, off offset:576
	s_waitcnt vmcnt(10) lgkmcnt(1)
	v_mul_f64 v[204:205], v[2:3], v[20:21]
	v_mul_f64 v[20:21], v[4:5], v[20:21]
	s_waitcnt vmcnt(9) lgkmcnt(0)
	v_mul_f64 v[198:199], v[42:43], v[24:25]
	v_mul_f64 v[24:25], v[44:45], v[24:25]
	v_add_f64 v[194:195], v[194:195], v[202:203]
	v_add_f64 v[196:197], v[196:197], v[200:201]
	v_fma_f64 v[200:201], v[4:5], v[18:19], v[204:205]
	v_fma_f64 v[202:203], v[2:3], v[18:19], -v[20:21]
	ds_load_b128 v[2:5], v1 offset:1184
	scratch_load_b128 v[18:21], off, off offset:592
	v_fma_f64 v[44:45], v[44:45], v[22:23], v[198:199]
	v_fma_f64 v[42:43], v[42:43], v[22:23], -v[24:25]
	scratch_load_b128 v[22:25], off, off offset:608
	v_add_f64 v[194:195], v[194:195], v[190:191]
	v_add_f64 v[196:197], v[196:197], v[192:193]
	ds_load_b128 v[190:193], v1 offset:1200
	s_waitcnt vmcnt(10) lgkmcnt(1)
	v_mul_f64 v[204:205], v[2:3], v[28:29]
	v_mul_f64 v[28:29], v[4:5], v[28:29]
	s_waitcnt vmcnt(9) lgkmcnt(0)
	v_mul_f64 v[198:199], v[190:191], v[32:33]
	v_mul_f64 v[32:33], v[192:193], v[32:33]
	v_add_f64 v[194:195], v[194:195], v[202:203]
	v_add_f64 v[196:197], v[196:197], v[200:201]
	v_fma_f64 v[200:201], v[4:5], v[26:27], v[204:205]
	v_fma_f64 v[202:203], v[2:3], v[26:27], -v[28:29]
	ds_load_b128 v[2:5], v1 offset:1216
	scratch_load_b128 v[26:29], off, off offset:624
	v_fma_f64 v[192:193], v[192:193], v[30:31], v[198:199]
	v_fma_f64 v[190:191], v[190:191], v[30:31], -v[32:33]
	scratch_load_b128 v[30:33], off, off offset:640
	v_add_f64 v[194:195], v[194:195], v[42:43]
	v_add_f64 v[196:197], v[196:197], v[44:45]
	ds_load_b128 v[42:45], v1 offset:1232
	s_waitcnt vmcnt(10) lgkmcnt(1)
	v_mul_f64 v[204:205], v[2:3], v[36:37]
	v_mul_f64 v[36:37], v[4:5], v[36:37]
	s_waitcnt vmcnt(8) lgkmcnt(0)
	v_mul_f64 v[198:199], v[42:43], v[188:189]
	v_add_f64 v[194:195], v[194:195], v[202:203]
	v_add_f64 v[196:197], v[196:197], v[200:201]
	v_mul_f64 v[200:201], v[44:45], v[188:189]
	v_fma_f64 v[202:203], v[4:5], v[34:35], v[204:205]
	v_fma_f64 v[204:205], v[2:3], v[34:35], -v[36:37]
	ds_load_b128 v[2:5], v1 offset:1248
	scratch_load_b128 v[34:37], off, off offset:656
	v_fma_f64 v[44:45], v[44:45], v[186:187], v[198:199]
	v_add_f64 v[194:195], v[194:195], v[190:191]
	v_add_f64 v[192:193], v[196:197], v[192:193]
	ds_load_b128 v[188:191], v1 offset:1264
	v_fma_f64 v[186:187], v[42:43], v[186:187], -v[200:201]
	s_waitcnt vmcnt(8) lgkmcnt(1)
	v_mul_f64 v[196:197], v[2:3], v[40:41]
	v_mul_f64 v[206:207], v[4:5], v[40:41]
	scratch_load_b128 v[40:43], off, off offset:672
	s_waitcnt vmcnt(8) lgkmcnt(0)
	v_mul_f64 v[200:201], v[188:189], v[8:9]
	v_mul_f64 v[8:9], v[190:191], v[8:9]
	v_add_f64 v[194:195], v[194:195], v[204:205]
	v_add_f64 v[192:193], v[192:193], v[202:203]
	v_fma_f64 v[202:203], v[4:5], v[38:39], v[196:197]
	v_fma_f64 v[38:39], v[2:3], v[38:39], -v[206:207]
	ds_load_b128 v[2:5], v1 offset:1280
	ds_load_b128 v[196:199], v1 offset:1296
	v_fma_f64 v[190:191], v[190:191], v[6:7], v[200:201]
	v_fma_f64 v[188:189], v[188:189], v[6:7], -v[8:9]
	scratch_load_b128 v[6:9], off, off offset:704
	v_add_f64 v[186:187], v[194:195], v[186:187]
	v_add_f64 v[44:45], v[192:193], v[44:45]
	scratch_load_b128 v[192:195], off, off offset:688
	s_waitcnt vmcnt(9) lgkmcnt(1)
	v_mul_f64 v[204:205], v[2:3], v[12:13]
	v_mul_f64 v[12:13], v[4:5], v[12:13]
	v_add_f64 v[38:39], v[186:187], v[38:39]
	v_add_f64 v[44:45], v[44:45], v[202:203]
	s_waitcnt vmcnt(8) lgkmcnt(0)
	v_mul_f64 v[186:187], v[196:197], v[16:17]
	v_mul_f64 v[16:17], v[198:199], v[16:17]
	v_fma_f64 v[200:201], v[4:5], v[10:11], v[204:205]
	v_fma_f64 v[202:203], v[2:3], v[10:11], -v[12:13]
	ds_load_b128 v[2:5], v1 offset:1312
	ds_load_b128 v[10:13], v1 offset:1328
	v_add_f64 v[38:39], v[38:39], v[188:189]
	v_add_f64 v[44:45], v[44:45], v[190:191]
	s_waitcnt vmcnt(7) lgkmcnt(1)
	v_mul_f64 v[188:189], v[2:3], v[20:21]
	v_mul_f64 v[20:21], v[4:5], v[20:21]
	v_fma_f64 v[186:187], v[198:199], v[14:15], v[186:187]
	v_fma_f64 v[14:15], v[196:197], v[14:15], -v[16:17]
	v_add_f64 v[16:17], v[38:39], v[202:203]
	v_add_f64 v[38:39], v[44:45], v[200:201]
	s_waitcnt vmcnt(6) lgkmcnt(0)
	v_mul_f64 v[44:45], v[10:11], v[24:25]
	v_mul_f64 v[24:25], v[12:13], v[24:25]
	v_fma_f64 v[188:189], v[4:5], v[18:19], v[188:189]
	v_fma_f64 v[18:19], v[2:3], v[18:19], -v[20:21]
	v_add_f64 v[20:21], v[16:17], v[14:15]
	v_add_f64 v[38:39], v[38:39], v[186:187]
	ds_load_b128 v[2:5], v1 offset:1344
	ds_load_b128 v[14:17], v1 offset:1360
	v_fma_f64 v[12:13], v[12:13], v[22:23], v[44:45]
	v_fma_f64 v[10:11], v[10:11], v[22:23], -v[24:25]
	s_waitcnt vmcnt(5) lgkmcnt(1)
	v_mul_f64 v[186:187], v[2:3], v[28:29]
	v_mul_f64 v[28:29], v[4:5], v[28:29]
	s_waitcnt vmcnt(4) lgkmcnt(0)
	v_mul_f64 v[22:23], v[14:15], v[32:33]
	v_mul_f64 v[24:25], v[16:17], v[32:33]
	v_add_f64 v[18:19], v[20:21], v[18:19]
	v_add_f64 v[20:21], v[38:39], v[188:189]
	v_fma_f64 v[32:33], v[4:5], v[26:27], v[186:187]
	v_fma_f64 v[26:27], v[2:3], v[26:27], -v[28:29]
	v_fma_f64 v[16:17], v[16:17], v[30:31], v[22:23]
	v_fma_f64 v[14:15], v[14:15], v[30:31], -v[24:25]
	v_add_f64 v[18:19], v[18:19], v[10:11]
	v_add_f64 v[20:21], v[20:21], v[12:13]
	ds_load_b128 v[2:5], v1 offset:1376
	ds_load_b128 v[10:13], v1 offset:1392
	s_waitcnt vmcnt(3) lgkmcnt(1)
	v_mul_f64 v[28:29], v[2:3], v[36:37]
	v_mul_f64 v[36:37], v[4:5], v[36:37]
	s_waitcnt vmcnt(2) lgkmcnt(0)
	v_mul_f64 v[22:23], v[10:11], v[42:43]
	v_add_f64 v[18:19], v[18:19], v[26:27]
	v_add_f64 v[20:21], v[20:21], v[32:33]
	v_mul_f64 v[24:25], v[12:13], v[42:43]
	v_fma_f64 v[26:27], v[4:5], v[34:35], v[28:29]
	v_fma_f64 v[28:29], v[2:3], v[34:35], -v[36:37]
	v_fma_f64 v[12:13], v[12:13], v[40:41], v[22:23]
	v_add_f64 v[18:19], v[18:19], v[14:15]
	v_add_f64 v[20:21], v[20:21], v[16:17]
	ds_load_b128 v[2:5], v1 offset:1408
	ds_load_b128 v[14:17], v1 offset:1424
	v_fma_f64 v[10:11], v[10:11], v[40:41], -v[24:25]
	s_waitcnt vmcnt(0) lgkmcnt(1)
	v_mul_f64 v[30:31], v[2:3], v[194:195]
	v_mul_f64 v[32:33], v[4:5], v[194:195]
	s_waitcnt lgkmcnt(0)
	v_mul_f64 v[22:23], v[14:15], v[8:9]
	v_mul_f64 v[8:9], v[16:17], v[8:9]
	v_add_f64 v[18:19], v[18:19], v[28:29]
	v_add_f64 v[20:21], v[20:21], v[26:27]
	v_fma_f64 v[4:5], v[4:5], v[192:193], v[30:31]
	v_fma_f64 v[1:2], v[2:3], v[192:193], -v[32:33]
	v_fma_f64 v[16:17], v[16:17], v[6:7], v[22:23]
	v_fma_f64 v[6:7], v[14:15], v[6:7], -v[8:9]
	v_add_f64 v[10:11], v[18:19], v[10:11]
	v_add_f64 v[12:13], v[20:21], v[12:13]
	s_delay_alu instid0(VALU_DEP_2) | instskip(NEXT) | instid1(VALU_DEP_2)
	v_add_f64 v[1:2], v[10:11], v[1:2]
	v_add_f64 v[3:4], v[12:13], v[4:5]
	s_delay_alu instid0(VALU_DEP_2) | instskip(NEXT) | instid1(VALU_DEP_2)
	;; [unrolled: 3-line block ×3, first 2 shown]
	v_add_f64 v[1:2], v[182:183], -v[1:2]
	v_add_f64 v[3:4], v[184:185], -v[3:4]
	scratch_store_b128 off, v[1:4], off offset:352
	v_cmpx_lt_u32_e32 21, v136
	s_cbranch_execz .LBB108_241
; %bb.240:
	scratch_load_b128 v[1:4], v158, off
	v_mov_b32_e32 v5, 0
	s_delay_alu instid0(VALU_DEP_1)
	v_mov_b32_e32 v6, v5
	v_mov_b32_e32 v7, v5
	;; [unrolled: 1-line block ×3, first 2 shown]
	scratch_store_b128 off, v[5:8], off offset:336
	s_waitcnt vmcnt(0)
	ds_store_b128 v181, v[1:4]
.LBB108_241:
	s_or_b32 exec_lo, exec_lo, s2
	s_waitcnt lgkmcnt(0)
	s_waitcnt_vscnt null, 0x0
	s_barrier
	buffer_gl0_inv
	s_clause 0x7
	scratch_load_b128 v[2:5], off, off offset:352
	scratch_load_b128 v[6:9], off, off offset:368
	;; [unrolled: 1-line block ×8, first 2 shown]
	v_mov_b32_e32 v1, 0
	s_mov_b32 s2, exec_lo
	ds_load_b128 v[34:37], v1 offset:1072
	s_clause 0x1
	scratch_load_b128 v[38:41], off, off offset:480
	scratch_load_b128 v[42:45], off, off offset:336
	ds_load_b128 v[182:185], v1 offset:1088
	scratch_load_b128 v[186:189], off, off offset:496
	s_waitcnt vmcnt(10) lgkmcnt(1)
	v_mul_f64 v[190:191], v[36:37], v[4:5]
	v_mul_f64 v[4:5], v[34:35], v[4:5]
	s_delay_alu instid0(VALU_DEP_2) | instskip(NEXT) | instid1(VALU_DEP_2)
	v_fma_f64 v[196:197], v[34:35], v[2:3], -v[190:191]
	v_fma_f64 v[198:199], v[36:37], v[2:3], v[4:5]
	scratch_load_b128 v[34:37], off, off offset:512
	ds_load_b128 v[2:5], v1 offset:1104
	s_waitcnt vmcnt(10) lgkmcnt(1)
	v_mul_f64 v[194:195], v[182:183], v[8:9]
	v_mul_f64 v[8:9], v[184:185], v[8:9]
	ds_load_b128 v[190:193], v1 offset:1120
	s_waitcnt vmcnt(9) lgkmcnt(1)
	v_mul_f64 v[200:201], v[2:3], v[12:13]
	v_mul_f64 v[12:13], v[4:5], v[12:13]
	v_fma_f64 v[184:185], v[184:185], v[6:7], v[194:195]
	v_fma_f64 v[182:183], v[182:183], v[6:7], -v[8:9]
	v_add_f64 v[194:195], v[196:197], 0
	v_add_f64 v[196:197], v[198:199], 0
	scratch_load_b128 v[6:9], off, off offset:528
	v_fma_f64 v[200:201], v[4:5], v[10:11], v[200:201]
	v_fma_f64 v[202:203], v[2:3], v[10:11], -v[12:13]
	scratch_load_b128 v[10:13], off, off offset:544
	ds_load_b128 v[2:5], v1 offset:1136
	s_waitcnt vmcnt(10) lgkmcnt(1)
	v_mul_f64 v[198:199], v[190:191], v[16:17]
	v_mul_f64 v[16:17], v[192:193], v[16:17]
	v_add_f64 v[194:195], v[194:195], v[182:183]
	v_add_f64 v[196:197], v[196:197], v[184:185]
	s_waitcnt vmcnt(9) lgkmcnt(0)
	v_mul_f64 v[204:205], v[2:3], v[20:21]
	v_mul_f64 v[20:21], v[4:5], v[20:21]
	ds_load_b128 v[182:185], v1 offset:1152
	v_fma_f64 v[192:193], v[192:193], v[14:15], v[198:199]
	v_fma_f64 v[190:191], v[190:191], v[14:15], -v[16:17]
	scratch_load_b128 v[14:17], off, off offset:560
	v_add_f64 v[194:195], v[194:195], v[202:203]
	v_add_f64 v[196:197], v[196:197], v[200:201]
	v_fma_f64 v[200:201], v[4:5], v[18:19], v[204:205]
	v_fma_f64 v[202:203], v[2:3], v[18:19], -v[20:21]
	scratch_load_b128 v[18:21], off, off offset:576
	ds_load_b128 v[2:5], v1 offset:1168
	s_waitcnt vmcnt(10) lgkmcnt(1)
	v_mul_f64 v[198:199], v[182:183], v[24:25]
	v_mul_f64 v[24:25], v[184:185], v[24:25]
	s_waitcnt vmcnt(9) lgkmcnt(0)
	v_mul_f64 v[204:205], v[2:3], v[28:29]
	v_mul_f64 v[28:29], v[4:5], v[28:29]
	v_add_f64 v[194:195], v[194:195], v[190:191]
	v_add_f64 v[196:197], v[196:197], v[192:193]
	ds_load_b128 v[190:193], v1 offset:1184
	v_fma_f64 v[184:185], v[184:185], v[22:23], v[198:199]
	v_fma_f64 v[182:183], v[182:183], v[22:23], -v[24:25]
	scratch_load_b128 v[22:25], off, off offset:592
	v_add_f64 v[194:195], v[194:195], v[202:203]
	v_add_f64 v[196:197], v[196:197], v[200:201]
	v_fma_f64 v[200:201], v[4:5], v[26:27], v[204:205]
	v_fma_f64 v[202:203], v[2:3], v[26:27], -v[28:29]
	scratch_load_b128 v[26:29], off, off offset:608
	ds_load_b128 v[2:5], v1 offset:1200
	s_waitcnt vmcnt(10) lgkmcnt(1)
	v_mul_f64 v[198:199], v[190:191], v[32:33]
	v_mul_f64 v[32:33], v[192:193], v[32:33]
	s_waitcnt vmcnt(9) lgkmcnt(0)
	v_mul_f64 v[204:205], v[2:3], v[40:41]
	v_mul_f64 v[40:41], v[4:5], v[40:41]
	v_add_f64 v[194:195], v[194:195], v[182:183]
	v_add_f64 v[196:197], v[196:197], v[184:185]
	ds_load_b128 v[182:185], v1 offset:1216
	v_fma_f64 v[192:193], v[192:193], v[30:31], v[198:199]
	v_fma_f64 v[190:191], v[190:191], v[30:31], -v[32:33]
	scratch_load_b128 v[30:33], off, off offset:624
	v_add_f64 v[194:195], v[194:195], v[202:203]
	v_add_f64 v[196:197], v[196:197], v[200:201]
	v_fma_f64 v[202:203], v[4:5], v[38:39], v[204:205]
	v_fma_f64 v[204:205], v[2:3], v[38:39], -v[40:41]
	scratch_load_b128 v[38:41], off, off offset:640
	ds_load_b128 v[2:5], v1 offset:1232
	s_waitcnt vmcnt(9) lgkmcnt(1)
	v_mul_f64 v[198:199], v[182:183], v[188:189]
	v_mul_f64 v[200:201], v[184:185], v[188:189]
	v_add_f64 v[194:195], v[194:195], v[190:191]
	v_add_f64 v[192:193], v[196:197], v[192:193]
	ds_load_b128 v[188:191], v1 offset:1248
	v_fma_f64 v[198:199], v[184:185], v[186:187], v[198:199]
	v_fma_f64 v[186:187], v[182:183], v[186:187], -v[200:201]
	scratch_load_b128 v[182:185], off, off offset:656
	s_waitcnt vmcnt(9) lgkmcnt(1)
	v_mul_f64 v[196:197], v[2:3], v[36:37]
	v_mul_f64 v[36:37], v[4:5], v[36:37]
	v_add_f64 v[194:195], v[194:195], v[204:205]
	v_add_f64 v[192:193], v[192:193], v[202:203]
	s_delay_alu instid0(VALU_DEP_4) | instskip(NEXT) | instid1(VALU_DEP_4)
	v_fma_f64 v[196:197], v[4:5], v[34:35], v[196:197]
	v_fma_f64 v[202:203], v[2:3], v[34:35], -v[36:37]
	scratch_load_b128 v[34:37], off, off offset:672
	ds_load_b128 v[2:5], v1 offset:1264
	s_waitcnt vmcnt(9) lgkmcnt(1)
	v_mul_f64 v[200:201], v[188:189], v[8:9]
	v_mul_f64 v[8:9], v[190:191], v[8:9]
	s_waitcnt vmcnt(8) lgkmcnt(0)
	v_mul_f64 v[204:205], v[2:3], v[12:13]
	v_mul_f64 v[12:13], v[4:5], v[12:13]
	v_add_f64 v[186:187], v[194:195], v[186:187]
	v_add_f64 v[198:199], v[192:193], v[198:199]
	ds_load_b128 v[192:195], v1 offset:1280
	v_fma_f64 v[190:191], v[190:191], v[6:7], v[200:201]
	v_fma_f64 v[188:189], v[188:189], v[6:7], -v[8:9]
	scratch_load_b128 v[6:9], off, off offset:688
	v_fma_f64 v[200:201], v[4:5], v[10:11], v[204:205]
	v_add_f64 v[186:187], v[186:187], v[202:203]
	v_add_f64 v[196:197], v[198:199], v[196:197]
	v_fma_f64 v[202:203], v[2:3], v[10:11], -v[12:13]
	scratch_load_b128 v[10:13], off, off offset:704
	ds_load_b128 v[2:5], v1 offset:1296
	s_waitcnt vmcnt(9) lgkmcnt(1)
	v_mul_f64 v[198:199], v[192:193], v[16:17]
	v_mul_f64 v[16:17], v[194:195], v[16:17]
	v_add_f64 v[204:205], v[186:187], v[188:189]
	v_add_f64 v[190:191], v[196:197], v[190:191]
	s_waitcnt vmcnt(8) lgkmcnt(0)
	v_mul_f64 v[196:197], v[2:3], v[20:21]
	v_mul_f64 v[20:21], v[4:5], v[20:21]
	ds_load_b128 v[186:189], v1 offset:1312
	v_fma_f64 v[194:195], v[194:195], v[14:15], v[198:199]
	v_fma_f64 v[14:15], v[192:193], v[14:15], -v[16:17]
	s_waitcnt vmcnt(7) lgkmcnt(0)
	v_mul_f64 v[192:193], v[186:187], v[24:25]
	v_mul_f64 v[24:25], v[188:189], v[24:25]
	v_add_f64 v[16:17], v[204:205], v[202:203]
	v_add_f64 v[190:191], v[190:191], v[200:201]
	v_fma_f64 v[196:197], v[4:5], v[18:19], v[196:197]
	v_fma_f64 v[18:19], v[2:3], v[18:19], -v[20:21]
	v_fma_f64 v[188:189], v[188:189], v[22:23], v[192:193]
	v_fma_f64 v[22:23], v[186:187], v[22:23], -v[24:25]
	v_add_f64 v[20:21], v[16:17], v[14:15]
	v_add_f64 v[190:191], v[190:191], v[194:195]
	ds_load_b128 v[2:5], v1 offset:1328
	ds_load_b128 v[14:17], v1 offset:1344
	s_waitcnt vmcnt(6) lgkmcnt(1)
	v_mul_f64 v[194:195], v[2:3], v[28:29]
	v_mul_f64 v[28:29], v[4:5], v[28:29]
	s_waitcnt vmcnt(5) lgkmcnt(0)
	v_mul_f64 v[24:25], v[14:15], v[32:33]
	v_mul_f64 v[32:33], v[16:17], v[32:33]
	v_add_f64 v[18:19], v[20:21], v[18:19]
	v_add_f64 v[20:21], v[190:191], v[196:197]
	v_fma_f64 v[186:187], v[4:5], v[26:27], v[194:195]
	v_fma_f64 v[26:27], v[2:3], v[26:27], -v[28:29]
	v_fma_f64 v[16:17], v[16:17], v[30:31], v[24:25]
	v_fma_f64 v[14:15], v[14:15], v[30:31], -v[32:33]
	v_add_f64 v[22:23], v[18:19], v[22:23]
	v_add_f64 v[28:29], v[20:21], v[188:189]
	ds_load_b128 v[2:5], v1 offset:1360
	ds_load_b128 v[18:21], v1 offset:1376
	s_waitcnt vmcnt(4) lgkmcnt(1)
	v_mul_f64 v[188:189], v[2:3], v[40:41]
	v_mul_f64 v[40:41], v[4:5], v[40:41]
	v_add_f64 v[22:23], v[22:23], v[26:27]
	v_add_f64 v[24:25], v[28:29], v[186:187]
	s_waitcnt vmcnt(3) lgkmcnt(0)
	v_mul_f64 v[26:27], v[18:19], v[184:185]
	v_mul_f64 v[28:29], v[20:21], v[184:185]
	v_fma_f64 v[30:31], v[4:5], v[38:39], v[188:189]
	v_fma_f64 v[32:33], v[2:3], v[38:39], -v[40:41]
	v_add_f64 v[22:23], v[22:23], v[14:15]
	v_add_f64 v[24:25], v[24:25], v[16:17]
	ds_load_b128 v[2:5], v1 offset:1392
	ds_load_b128 v[14:17], v1 offset:1408
	v_fma_f64 v[20:21], v[20:21], v[182:183], v[26:27]
	v_fma_f64 v[18:19], v[18:19], v[182:183], -v[28:29]
	s_waitcnt vmcnt(2) lgkmcnt(1)
	v_mul_f64 v[38:39], v[2:3], v[36:37]
	v_mul_f64 v[36:37], v[4:5], v[36:37]
	s_waitcnt vmcnt(1) lgkmcnt(0)
	v_mul_f64 v[26:27], v[14:15], v[8:9]
	v_mul_f64 v[8:9], v[16:17], v[8:9]
	v_add_f64 v[22:23], v[22:23], v[32:33]
	v_add_f64 v[24:25], v[24:25], v[30:31]
	v_fma_f64 v[28:29], v[4:5], v[34:35], v[38:39]
	v_fma_f64 v[30:31], v[2:3], v[34:35], -v[36:37]
	ds_load_b128 v[2:5], v1 offset:1424
	v_fma_f64 v[16:17], v[16:17], v[6:7], v[26:27]
	v_fma_f64 v[6:7], v[14:15], v[6:7], -v[8:9]
	v_add_f64 v[18:19], v[22:23], v[18:19]
	v_add_f64 v[20:21], v[24:25], v[20:21]
	s_waitcnt vmcnt(0) lgkmcnt(0)
	v_mul_f64 v[22:23], v[2:3], v[12:13]
	v_mul_f64 v[12:13], v[4:5], v[12:13]
	s_delay_alu instid0(VALU_DEP_4) | instskip(NEXT) | instid1(VALU_DEP_4)
	v_add_f64 v[8:9], v[18:19], v[30:31]
	v_add_f64 v[14:15], v[20:21], v[28:29]
	s_delay_alu instid0(VALU_DEP_4) | instskip(NEXT) | instid1(VALU_DEP_4)
	v_fma_f64 v[4:5], v[4:5], v[10:11], v[22:23]
	v_fma_f64 v[2:3], v[2:3], v[10:11], -v[12:13]
	s_delay_alu instid0(VALU_DEP_4) | instskip(NEXT) | instid1(VALU_DEP_4)
	v_add_f64 v[6:7], v[8:9], v[6:7]
	v_add_f64 v[8:9], v[14:15], v[16:17]
	s_delay_alu instid0(VALU_DEP_2) | instskip(NEXT) | instid1(VALU_DEP_2)
	v_add_f64 v[2:3], v[6:7], v[2:3]
	v_add_f64 v[4:5], v[8:9], v[4:5]
	s_delay_alu instid0(VALU_DEP_2) | instskip(NEXT) | instid1(VALU_DEP_2)
	v_add_f64 v[2:3], v[42:43], -v[2:3]
	v_add_f64 v[4:5], v[44:45], -v[4:5]
	scratch_store_b128 off, v[2:5], off offset:336
	v_cmpx_lt_u32_e32 20, v136
	s_cbranch_execz .LBB108_243
; %bb.242:
	scratch_load_b128 v[5:8], v159, off
	v_mov_b32_e32 v2, v1
	v_mov_b32_e32 v3, v1
	;; [unrolled: 1-line block ×3, first 2 shown]
	scratch_store_b128 off, v[1:4], off offset:320
	s_waitcnt vmcnt(0)
	ds_store_b128 v181, v[5:8]
.LBB108_243:
	s_or_b32 exec_lo, exec_lo, s2
	s_waitcnt lgkmcnt(0)
	s_waitcnt_vscnt null, 0x0
	s_barrier
	buffer_gl0_inv
	s_clause 0x8
	scratch_load_b128 v[2:5], off, off offset:336
	scratch_load_b128 v[6:9], off, off offset:352
	;; [unrolled: 1-line block ×9, first 2 shown]
	ds_load_b128 v[38:41], v1 offset:1056
	ds_load_b128 v[42:45], v1 offset:1072
	s_clause 0x1
	scratch_load_b128 v[182:185], off, off offset:320
	scratch_load_b128 v[186:189], off, off offset:480
	s_mov_b32 s2, exec_lo
	s_waitcnt vmcnt(10) lgkmcnt(1)
	v_mul_f64 v[190:191], v[40:41], v[4:5]
	v_mul_f64 v[4:5], v[38:39], v[4:5]
	s_waitcnt vmcnt(9) lgkmcnt(0)
	v_mul_f64 v[194:195], v[42:43], v[8:9]
	v_mul_f64 v[8:9], v[44:45], v[8:9]
	s_delay_alu instid0(VALU_DEP_4) | instskip(NEXT) | instid1(VALU_DEP_4)
	v_fma_f64 v[196:197], v[38:39], v[2:3], -v[190:191]
	v_fma_f64 v[198:199], v[40:41], v[2:3], v[4:5]
	ds_load_b128 v[2:5], v1 offset:1088
	ds_load_b128 v[190:193], v1 offset:1104
	scratch_load_b128 v[38:41], off, off offset:496
	v_fma_f64 v[44:45], v[44:45], v[6:7], v[194:195]
	v_fma_f64 v[42:43], v[42:43], v[6:7], -v[8:9]
	scratch_load_b128 v[6:9], off, off offset:512
	s_waitcnt vmcnt(10) lgkmcnt(1)
	v_mul_f64 v[200:201], v[2:3], v[12:13]
	v_mul_f64 v[12:13], v[4:5], v[12:13]
	v_add_f64 v[194:195], v[196:197], 0
	v_add_f64 v[196:197], v[198:199], 0
	s_waitcnt vmcnt(9) lgkmcnt(0)
	v_mul_f64 v[198:199], v[190:191], v[16:17]
	v_mul_f64 v[16:17], v[192:193], v[16:17]
	v_fma_f64 v[200:201], v[4:5], v[10:11], v[200:201]
	v_fma_f64 v[202:203], v[2:3], v[10:11], -v[12:13]
	ds_load_b128 v[2:5], v1 offset:1120
	scratch_load_b128 v[10:13], off, off offset:528
	v_add_f64 v[194:195], v[194:195], v[42:43]
	v_add_f64 v[196:197], v[196:197], v[44:45]
	ds_load_b128 v[42:45], v1 offset:1136
	v_fma_f64 v[192:193], v[192:193], v[14:15], v[198:199]
	v_fma_f64 v[190:191], v[190:191], v[14:15], -v[16:17]
	scratch_load_b128 v[14:17], off, off offset:544
	s_waitcnt vmcnt(10) lgkmcnt(1)
	v_mul_f64 v[204:205], v[2:3], v[20:21]
	v_mul_f64 v[20:21], v[4:5], v[20:21]
	s_waitcnt vmcnt(9) lgkmcnt(0)
	v_mul_f64 v[198:199], v[42:43], v[24:25]
	v_mul_f64 v[24:25], v[44:45], v[24:25]
	v_add_f64 v[194:195], v[194:195], v[202:203]
	v_add_f64 v[196:197], v[196:197], v[200:201]
	v_fma_f64 v[200:201], v[4:5], v[18:19], v[204:205]
	v_fma_f64 v[202:203], v[2:3], v[18:19], -v[20:21]
	ds_load_b128 v[2:5], v1 offset:1152
	scratch_load_b128 v[18:21], off, off offset:560
	v_fma_f64 v[44:45], v[44:45], v[22:23], v[198:199]
	v_fma_f64 v[42:43], v[42:43], v[22:23], -v[24:25]
	scratch_load_b128 v[22:25], off, off offset:576
	v_add_f64 v[194:195], v[194:195], v[190:191]
	v_add_f64 v[196:197], v[196:197], v[192:193]
	ds_load_b128 v[190:193], v1 offset:1168
	s_waitcnt vmcnt(10) lgkmcnt(1)
	v_mul_f64 v[204:205], v[2:3], v[28:29]
	v_mul_f64 v[28:29], v[4:5], v[28:29]
	s_waitcnt vmcnt(9) lgkmcnt(0)
	v_mul_f64 v[198:199], v[190:191], v[32:33]
	v_mul_f64 v[32:33], v[192:193], v[32:33]
	v_add_f64 v[194:195], v[194:195], v[202:203]
	v_add_f64 v[196:197], v[196:197], v[200:201]
	v_fma_f64 v[200:201], v[4:5], v[26:27], v[204:205]
	v_fma_f64 v[202:203], v[2:3], v[26:27], -v[28:29]
	ds_load_b128 v[2:5], v1 offset:1184
	scratch_load_b128 v[26:29], off, off offset:592
	v_fma_f64 v[192:193], v[192:193], v[30:31], v[198:199]
	v_fma_f64 v[190:191], v[190:191], v[30:31], -v[32:33]
	scratch_load_b128 v[30:33], off, off offset:608
	v_add_f64 v[194:195], v[194:195], v[42:43]
	v_add_f64 v[196:197], v[196:197], v[44:45]
	ds_load_b128 v[42:45], v1 offset:1200
	s_waitcnt vmcnt(10) lgkmcnt(1)
	v_mul_f64 v[204:205], v[2:3], v[36:37]
	v_mul_f64 v[36:37], v[4:5], v[36:37]
	s_waitcnt vmcnt(8) lgkmcnt(0)
	v_mul_f64 v[198:199], v[42:43], v[188:189]
	v_add_f64 v[194:195], v[194:195], v[202:203]
	v_add_f64 v[196:197], v[196:197], v[200:201]
	v_mul_f64 v[200:201], v[44:45], v[188:189]
	v_fma_f64 v[202:203], v[4:5], v[34:35], v[204:205]
	v_fma_f64 v[204:205], v[2:3], v[34:35], -v[36:37]
	ds_load_b128 v[2:5], v1 offset:1216
	scratch_load_b128 v[34:37], off, off offset:624
	v_fma_f64 v[44:45], v[44:45], v[186:187], v[198:199]
	v_add_f64 v[194:195], v[194:195], v[190:191]
	v_add_f64 v[192:193], v[196:197], v[192:193]
	ds_load_b128 v[188:191], v1 offset:1232
	v_fma_f64 v[186:187], v[42:43], v[186:187], -v[200:201]
	s_waitcnt vmcnt(8) lgkmcnt(1)
	v_mul_f64 v[196:197], v[2:3], v[40:41]
	v_mul_f64 v[206:207], v[4:5], v[40:41]
	scratch_load_b128 v[40:43], off, off offset:640
	s_waitcnt vmcnt(8) lgkmcnt(0)
	v_mul_f64 v[200:201], v[188:189], v[8:9]
	v_mul_f64 v[8:9], v[190:191], v[8:9]
	v_add_f64 v[194:195], v[194:195], v[204:205]
	v_add_f64 v[192:193], v[192:193], v[202:203]
	v_fma_f64 v[202:203], v[4:5], v[38:39], v[196:197]
	v_fma_f64 v[38:39], v[2:3], v[38:39], -v[206:207]
	ds_load_b128 v[2:5], v1 offset:1248
	ds_load_b128 v[196:199], v1 offset:1264
	v_fma_f64 v[190:191], v[190:191], v[6:7], v[200:201]
	v_fma_f64 v[188:189], v[188:189], v[6:7], -v[8:9]
	scratch_load_b128 v[6:9], off, off offset:672
	v_add_f64 v[186:187], v[194:195], v[186:187]
	v_add_f64 v[44:45], v[192:193], v[44:45]
	scratch_load_b128 v[192:195], off, off offset:656
	s_waitcnt vmcnt(9) lgkmcnt(1)
	v_mul_f64 v[204:205], v[2:3], v[12:13]
	v_mul_f64 v[12:13], v[4:5], v[12:13]
	s_waitcnt vmcnt(8) lgkmcnt(0)
	v_mul_f64 v[200:201], v[196:197], v[16:17]
	v_mul_f64 v[16:17], v[198:199], v[16:17]
	v_add_f64 v[38:39], v[186:187], v[38:39]
	v_add_f64 v[44:45], v[44:45], v[202:203]
	v_fma_f64 v[202:203], v[4:5], v[10:11], v[204:205]
	v_fma_f64 v[204:205], v[2:3], v[10:11], -v[12:13]
	ds_load_b128 v[2:5], v1 offset:1280
	scratch_load_b128 v[10:13], off, off offset:688
	v_fma_f64 v[198:199], v[198:199], v[14:15], v[200:201]
	v_fma_f64 v[196:197], v[196:197], v[14:15], -v[16:17]
	scratch_load_b128 v[14:17], off, off offset:704
	v_add_f64 v[38:39], v[38:39], v[188:189]
	v_add_f64 v[44:45], v[44:45], v[190:191]
	ds_load_b128 v[186:189], v1 offset:1296
	s_waitcnt vmcnt(9) lgkmcnt(1)
	v_mul_f64 v[190:191], v[2:3], v[20:21]
	v_mul_f64 v[20:21], v[4:5], v[20:21]
	s_waitcnt vmcnt(8) lgkmcnt(0)
	v_mul_f64 v[200:201], v[186:187], v[24:25]
	v_mul_f64 v[24:25], v[188:189], v[24:25]
	v_add_f64 v[38:39], v[38:39], v[204:205]
	v_add_f64 v[44:45], v[44:45], v[202:203]
	v_fma_f64 v[190:191], v[4:5], v[18:19], v[190:191]
	v_fma_f64 v[202:203], v[2:3], v[18:19], -v[20:21]
	ds_load_b128 v[2:5], v1 offset:1312
	ds_load_b128 v[18:21], v1 offset:1328
	v_fma_f64 v[188:189], v[188:189], v[22:23], v[200:201]
	v_fma_f64 v[22:23], v[186:187], v[22:23], -v[24:25]
	v_add_f64 v[38:39], v[38:39], v[196:197]
	v_add_f64 v[44:45], v[44:45], v[198:199]
	s_waitcnt vmcnt(7) lgkmcnt(1)
	v_mul_f64 v[196:197], v[2:3], v[28:29]
	v_mul_f64 v[28:29], v[4:5], v[28:29]
	s_delay_alu instid0(VALU_DEP_4) | instskip(NEXT) | instid1(VALU_DEP_4)
	v_add_f64 v[24:25], v[38:39], v[202:203]
	v_add_f64 v[38:39], v[44:45], v[190:191]
	s_waitcnt vmcnt(6) lgkmcnt(0)
	v_mul_f64 v[44:45], v[18:19], v[32:33]
	v_mul_f64 v[32:33], v[20:21], v[32:33]
	v_fma_f64 v[186:187], v[4:5], v[26:27], v[196:197]
	v_fma_f64 v[26:27], v[2:3], v[26:27], -v[28:29]
	v_add_f64 v[28:29], v[24:25], v[22:23]
	v_add_f64 v[38:39], v[38:39], v[188:189]
	ds_load_b128 v[2:5], v1 offset:1344
	ds_load_b128 v[22:25], v1 offset:1360
	v_fma_f64 v[20:21], v[20:21], v[30:31], v[44:45]
	v_fma_f64 v[18:19], v[18:19], v[30:31], -v[32:33]
	s_waitcnt vmcnt(5) lgkmcnt(1)
	v_mul_f64 v[188:189], v[2:3], v[36:37]
	v_mul_f64 v[36:37], v[4:5], v[36:37]
	s_waitcnt vmcnt(4) lgkmcnt(0)
	v_mul_f64 v[30:31], v[22:23], v[42:43]
	v_add_f64 v[26:27], v[28:29], v[26:27]
	v_add_f64 v[28:29], v[38:39], v[186:187]
	v_mul_f64 v[32:33], v[24:25], v[42:43]
	v_fma_f64 v[38:39], v[4:5], v[34:35], v[188:189]
	v_fma_f64 v[34:35], v[2:3], v[34:35], -v[36:37]
	v_fma_f64 v[24:25], v[24:25], v[40:41], v[30:31]
	v_add_f64 v[26:27], v[26:27], v[18:19]
	v_add_f64 v[28:29], v[28:29], v[20:21]
	ds_load_b128 v[2:5], v1 offset:1376
	ds_load_b128 v[18:21], v1 offset:1392
	v_fma_f64 v[22:23], v[22:23], v[40:41], -v[32:33]
	s_waitcnt vmcnt(2) lgkmcnt(1)
	v_mul_f64 v[36:37], v[2:3], v[194:195]
	v_mul_f64 v[42:43], v[4:5], v[194:195]
	s_waitcnt lgkmcnt(0)
	v_mul_f64 v[30:31], v[18:19], v[8:9]
	v_mul_f64 v[8:9], v[20:21], v[8:9]
	v_add_f64 v[26:27], v[26:27], v[34:35]
	v_add_f64 v[28:29], v[28:29], v[38:39]
	v_fma_f64 v[32:33], v[4:5], v[192:193], v[36:37]
	v_fma_f64 v[34:35], v[2:3], v[192:193], -v[42:43]
	v_fma_f64 v[20:21], v[20:21], v[6:7], v[30:31]
	v_fma_f64 v[6:7], v[18:19], v[6:7], -v[8:9]
	v_add_f64 v[26:27], v[26:27], v[22:23]
	v_add_f64 v[28:29], v[28:29], v[24:25]
	ds_load_b128 v[2:5], v1 offset:1408
	ds_load_b128 v[22:25], v1 offset:1424
	s_waitcnt vmcnt(1) lgkmcnt(1)
	v_mul_f64 v[36:37], v[2:3], v[12:13]
	v_mul_f64 v[12:13], v[4:5], v[12:13]
	v_add_f64 v[8:9], v[26:27], v[34:35]
	v_add_f64 v[18:19], v[28:29], v[32:33]
	s_waitcnt vmcnt(0) lgkmcnt(0)
	v_mul_f64 v[26:27], v[22:23], v[16:17]
	v_mul_f64 v[16:17], v[24:25], v[16:17]
	v_fma_f64 v[4:5], v[4:5], v[10:11], v[36:37]
	v_fma_f64 v[1:2], v[2:3], v[10:11], -v[12:13]
	v_add_f64 v[6:7], v[8:9], v[6:7]
	v_add_f64 v[8:9], v[18:19], v[20:21]
	v_fma_f64 v[10:11], v[24:25], v[14:15], v[26:27]
	v_fma_f64 v[12:13], v[22:23], v[14:15], -v[16:17]
	s_delay_alu instid0(VALU_DEP_4) | instskip(NEXT) | instid1(VALU_DEP_4)
	v_add_f64 v[1:2], v[6:7], v[1:2]
	v_add_f64 v[3:4], v[8:9], v[4:5]
	s_delay_alu instid0(VALU_DEP_2) | instskip(NEXT) | instid1(VALU_DEP_2)
	v_add_f64 v[1:2], v[1:2], v[12:13]
	v_add_f64 v[3:4], v[3:4], v[10:11]
	s_delay_alu instid0(VALU_DEP_2) | instskip(NEXT) | instid1(VALU_DEP_2)
	v_add_f64 v[1:2], v[182:183], -v[1:2]
	v_add_f64 v[3:4], v[184:185], -v[3:4]
	scratch_store_b128 off, v[1:4], off offset:320
	v_cmpx_lt_u32_e32 19, v136
	s_cbranch_execz .LBB108_245
; %bb.244:
	scratch_load_b128 v[1:4], v161, off
	v_mov_b32_e32 v5, 0
	s_delay_alu instid0(VALU_DEP_1)
	v_mov_b32_e32 v6, v5
	v_mov_b32_e32 v7, v5
	;; [unrolled: 1-line block ×3, first 2 shown]
	scratch_store_b128 off, v[5:8], off offset:304
	s_waitcnt vmcnt(0)
	ds_store_b128 v181, v[1:4]
.LBB108_245:
	s_or_b32 exec_lo, exec_lo, s2
	s_waitcnt lgkmcnt(0)
	s_waitcnt_vscnt null, 0x0
	s_barrier
	buffer_gl0_inv
	s_clause 0x7
	scratch_load_b128 v[2:5], off, off offset:320
	scratch_load_b128 v[6:9], off, off offset:336
	;; [unrolled: 1-line block ×8, first 2 shown]
	v_mov_b32_e32 v1, 0
	s_mov_b32 s2, exec_lo
	ds_load_b128 v[34:37], v1 offset:1040
	s_clause 0x1
	scratch_load_b128 v[38:41], off, off offset:448
	scratch_load_b128 v[42:45], off, off offset:304
	ds_load_b128 v[182:185], v1 offset:1056
	scratch_load_b128 v[186:189], off, off offset:464
	s_waitcnt vmcnt(10) lgkmcnt(1)
	v_mul_f64 v[190:191], v[36:37], v[4:5]
	v_mul_f64 v[4:5], v[34:35], v[4:5]
	s_delay_alu instid0(VALU_DEP_2) | instskip(NEXT) | instid1(VALU_DEP_2)
	v_fma_f64 v[196:197], v[34:35], v[2:3], -v[190:191]
	v_fma_f64 v[198:199], v[36:37], v[2:3], v[4:5]
	scratch_load_b128 v[34:37], off, off offset:480
	ds_load_b128 v[2:5], v1 offset:1072
	s_waitcnt vmcnt(10) lgkmcnt(1)
	v_mul_f64 v[194:195], v[182:183], v[8:9]
	v_mul_f64 v[8:9], v[184:185], v[8:9]
	ds_load_b128 v[190:193], v1 offset:1088
	s_waitcnt vmcnt(9) lgkmcnt(1)
	v_mul_f64 v[200:201], v[2:3], v[12:13]
	v_mul_f64 v[12:13], v[4:5], v[12:13]
	v_fma_f64 v[184:185], v[184:185], v[6:7], v[194:195]
	v_fma_f64 v[182:183], v[182:183], v[6:7], -v[8:9]
	v_add_f64 v[194:195], v[196:197], 0
	v_add_f64 v[196:197], v[198:199], 0
	scratch_load_b128 v[6:9], off, off offset:496
	v_fma_f64 v[200:201], v[4:5], v[10:11], v[200:201]
	v_fma_f64 v[202:203], v[2:3], v[10:11], -v[12:13]
	scratch_load_b128 v[10:13], off, off offset:512
	ds_load_b128 v[2:5], v1 offset:1104
	s_waitcnt vmcnt(10) lgkmcnt(1)
	v_mul_f64 v[198:199], v[190:191], v[16:17]
	v_mul_f64 v[16:17], v[192:193], v[16:17]
	v_add_f64 v[194:195], v[194:195], v[182:183]
	v_add_f64 v[196:197], v[196:197], v[184:185]
	s_waitcnt vmcnt(9) lgkmcnt(0)
	v_mul_f64 v[204:205], v[2:3], v[20:21]
	v_mul_f64 v[20:21], v[4:5], v[20:21]
	ds_load_b128 v[182:185], v1 offset:1120
	v_fma_f64 v[192:193], v[192:193], v[14:15], v[198:199]
	v_fma_f64 v[190:191], v[190:191], v[14:15], -v[16:17]
	scratch_load_b128 v[14:17], off, off offset:528
	v_add_f64 v[194:195], v[194:195], v[202:203]
	v_add_f64 v[196:197], v[196:197], v[200:201]
	v_fma_f64 v[200:201], v[4:5], v[18:19], v[204:205]
	v_fma_f64 v[202:203], v[2:3], v[18:19], -v[20:21]
	scratch_load_b128 v[18:21], off, off offset:544
	ds_load_b128 v[2:5], v1 offset:1136
	s_waitcnt vmcnt(10) lgkmcnt(1)
	v_mul_f64 v[198:199], v[182:183], v[24:25]
	v_mul_f64 v[24:25], v[184:185], v[24:25]
	s_waitcnt vmcnt(9) lgkmcnt(0)
	v_mul_f64 v[204:205], v[2:3], v[28:29]
	v_mul_f64 v[28:29], v[4:5], v[28:29]
	v_add_f64 v[194:195], v[194:195], v[190:191]
	v_add_f64 v[196:197], v[196:197], v[192:193]
	ds_load_b128 v[190:193], v1 offset:1152
	v_fma_f64 v[184:185], v[184:185], v[22:23], v[198:199]
	v_fma_f64 v[182:183], v[182:183], v[22:23], -v[24:25]
	scratch_load_b128 v[22:25], off, off offset:560
	v_add_f64 v[194:195], v[194:195], v[202:203]
	v_add_f64 v[196:197], v[196:197], v[200:201]
	v_fma_f64 v[200:201], v[4:5], v[26:27], v[204:205]
	v_fma_f64 v[202:203], v[2:3], v[26:27], -v[28:29]
	scratch_load_b128 v[26:29], off, off offset:576
	ds_load_b128 v[2:5], v1 offset:1168
	s_waitcnt vmcnt(10) lgkmcnt(1)
	v_mul_f64 v[198:199], v[190:191], v[32:33]
	v_mul_f64 v[32:33], v[192:193], v[32:33]
	s_waitcnt vmcnt(9) lgkmcnt(0)
	v_mul_f64 v[204:205], v[2:3], v[40:41]
	v_mul_f64 v[40:41], v[4:5], v[40:41]
	v_add_f64 v[194:195], v[194:195], v[182:183]
	v_add_f64 v[196:197], v[196:197], v[184:185]
	ds_load_b128 v[182:185], v1 offset:1184
	v_fma_f64 v[192:193], v[192:193], v[30:31], v[198:199]
	v_fma_f64 v[190:191], v[190:191], v[30:31], -v[32:33]
	scratch_load_b128 v[30:33], off, off offset:592
	v_add_f64 v[194:195], v[194:195], v[202:203]
	v_add_f64 v[196:197], v[196:197], v[200:201]
	v_fma_f64 v[202:203], v[4:5], v[38:39], v[204:205]
	v_fma_f64 v[204:205], v[2:3], v[38:39], -v[40:41]
	scratch_load_b128 v[38:41], off, off offset:608
	ds_load_b128 v[2:5], v1 offset:1200
	s_waitcnt vmcnt(9) lgkmcnt(1)
	v_mul_f64 v[198:199], v[182:183], v[188:189]
	v_mul_f64 v[200:201], v[184:185], v[188:189]
	v_add_f64 v[194:195], v[194:195], v[190:191]
	v_add_f64 v[192:193], v[196:197], v[192:193]
	ds_load_b128 v[188:191], v1 offset:1216
	v_fma_f64 v[198:199], v[184:185], v[186:187], v[198:199]
	v_fma_f64 v[186:187], v[182:183], v[186:187], -v[200:201]
	scratch_load_b128 v[182:185], off, off offset:624
	s_waitcnt vmcnt(9) lgkmcnt(1)
	v_mul_f64 v[196:197], v[2:3], v[36:37]
	v_mul_f64 v[36:37], v[4:5], v[36:37]
	v_add_f64 v[194:195], v[194:195], v[204:205]
	v_add_f64 v[192:193], v[192:193], v[202:203]
	s_delay_alu instid0(VALU_DEP_4) | instskip(NEXT) | instid1(VALU_DEP_4)
	v_fma_f64 v[196:197], v[4:5], v[34:35], v[196:197]
	v_fma_f64 v[202:203], v[2:3], v[34:35], -v[36:37]
	scratch_load_b128 v[34:37], off, off offset:640
	ds_load_b128 v[2:5], v1 offset:1232
	s_waitcnt vmcnt(9) lgkmcnt(1)
	v_mul_f64 v[200:201], v[188:189], v[8:9]
	v_mul_f64 v[8:9], v[190:191], v[8:9]
	s_waitcnt vmcnt(8) lgkmcnt(0)
	v_mul_f64 v[204:205], v[2:3], v[12:13]
	v_mul_f64 v[12:13], v[4:5], v[12:13]
	v_add_f64 v[186:187], v[194:195], v[186:187]
	v_add_f64 v[198:199], v[192:193], v[198:199]
	ds_load_b128 v[192:195], v1 offset:1248
	v_fma_f64 v[190:191], v[190:191], v[6:7], v[200:201]
	v_fma_f64 v[188:189], v[188:189], v[6:7], -v[8:9]
	scratch_load_b128 v[6:9], off, off offset:656
	v_fma_f64 v[200:201], v[4:5], v[10:11], v[204:205]
	v_add_f64 v[186:187], v[186:187], v[202:203]
	v_add_f64 v[196:197], v[198:199], v[196:197]
	v_fma_f64 v[202:203], v[2:3], v[10:11], -v[12:13]
	scratch_load_b128 v[10:13], off, off offset:672
	ds_load_b128 v[2:5], v1 offset:1264
	s_waitcnt vmcnt(9) lgkmcnt(1)
	v_mul_f64 v[198:199], v[192:193], v[16:17]
	v_mul_f64 v[16:17], v[194:195], v[16:17]
	v_add_f64 v[204:205], v[186:187], v[188:189]
	v_add_f64 v[190:191], v[196:197], v[190:191]
	s_waitcnt vmcnt(8) lgkmcnt(0)
	v_mul_f64 v[196:197], v[2:3], v[20:21]
	v_mul_f64 v[20:21], v[4:5], v[20:21]
	ds_load_b128 v[186:189], v1 offset:1280
	v_fma_f64 v[194:195], v[194:195], v[14:15], v[198:199]
	v_fma_f64 v[192:193], v[192:193], v[14:15], -v[16:17]
	scratch_load_b128 v[14:17], off, off offset:688
	v_add_f64 v[198:199], v[204:205], v[202:203]
	v_add_f64 v[190:191], v[190:191], v[200:201]
	v_fma_f64 v[196:197], v[4:5], v[18:19], v[196:197]
	v_fma_f64 v[202:203], v[2:3], v[18:19], -v[20:21]
	scratch_load_b128 v[18:21], off, off offset:704
	ds_load_b128 v[2:5], v1 offset:1296
	s_waitcnt vmcnt(9) lgkmcnt(1)
	v_mul_f64 v[200:201], v[186:187], v[24:25]
	v_mul_f64 v[24:25], v[188:189], v[24:25]
	s_waitcnt vmcnt(8) lgkmcnt(0)
	v_mul_f64 v[204:205], v[2:3], v[28:29]
	v_mul_f64 v[28:29], v[4:5], v[28:29]
	v_add_f64 v[198:199], v[198:199], v[192:193]
	v_add_f64 v[194:195], v[190:191], v[194:195]
	ds_load_b128 v[190:193], v1 offset:1312
	v_fma_f64 v[188:189], v[188:189], v[22:23], v[200:201]
	v_fma_f64 v[22:23], v[186:187], v[22:23], -v[24:25]
	v_add_f64 v[24:25], v[198:199], v[202:203]
	v_add_f64 v[186:187], v[194:195], v[196:197]
	s_waitcnt vmcnt(7) lgkmcnt(0)
	v_mul_f64 v[194:195], v[190:191], v[32:33]
	v_mul_f64 v[32:33], v[192:193], v[32:33]
	v_fma_f64 v[196:197], v[4:5], v[26:27], v[204:205]
	v_fma_f64 v[26:27], v[2:3], v[26:27], -v[28:29]
	v_add_f64 v[28:29], v[24:25], v[22:23]
	v_add_f64 v[186:187], v[186:187], v[188:189]
	ds_load_b128 v[2:5], v1 offset:1328
	ds_load_b128 v[22:25], v1 offset:1344
	v_fma_f64 v[192:193], v[192:193], v[30:31], v[194:195]
	v_fma_f64 v[30:31], v[190:191], v[30:31], -v[32:33]
	s_waitcnt vmcnt(6) lgkmcnt(1)
	v_mul_f64 v[188:189], v[2:3], v[40:41]
	v_mul_f64 v[40:41], v[4:5], v[40:41]
	s_waitcnt vmcnt(5) lgkmcnt(0)
	v_mul_f64 v[32:33], v[22:23], v[184:185]
	v_mul_f64 v[184:185], v[24:25], v[184:185]
	v_add_f64 v[26:27], v[28:29], v[26:27]
	v_add_f64 v[28:29], v[186:187], v[196:197]
	v_fma_f64 v[186:187], v[4:5], v[38:39], v[188:189]
	v_fma_f64 v[38:39], v[2:3], v[38:39], -v[40:41]
	v_fma_f64 v[24:25], v[24:25], v[182:183], v[32:33]
	v_fma_f64 v[22:23], v[22:23], v[182:183], -v[184:185]
	v_add_f64 v[30:31], v[26:27], v[30:31]
	v_add_f64 v[40:41], v[28:29], v[192:193]
	ds_load_b128 v[2:5], v1 offset:1360
	ds_load_b128 v[26:29], v1 offset:1376
	s_waitcnt vmcnt(4) lgkmcnt(1)
	v_mul_f64 v[188:189], v[2:3], v[36:37]
	v_mul_f64 v[36:37], v[4:5], v[36:37]
	v_add_f64 v[30:31], v[30:31], v[38:39]
	v_add_f64 v[32:33], v[40:41], v[186:187]
	s_waitcnt vmcnt(3) lgkmcnt(0)
	v_mul_f64 v[38:39], v[26:27], v[8:9]
	v_mul_f64 v[8:9], v[28:29], v[8:9]
	v_fma_f64 v[40:41], v[4:5], v[34:35], v[188:189]
	v_fma_f64 v[34:35], v[2:3], v[34:35], -v[36:37]
	v_add_f64 v[30:31], v[30:31], v[22:23]
	v_add_f64 v[32:33], v[32:33], v[24:25]
	ds_load_b128 v[2:5], v1 offset:1392
	ds_load_b128 v[22:25], v1 offset:1408
	v_fma_f64 v[28:29], v[28:29], v[6:7], v[38:39]
	v_fma_f64 v[6:7], v[26:27], v[6:7], -v[8:9]
	s_waitcnt vmcnt(2) lgkmcnt(1)
	v_mul_f64 v[36:37], v[2:3], v[12:13]
	v_mul_f64 v[12:13], v[4:5], v[12:13]
	v_add_f64 v[8:9], v[30:31], v[34:35]
	v_add_f64 v[26:27], v[32:33], v[40:41]
	s_waitcnt vmcnt(1) lgkmcnt(0)
	v_mul_f64 v[30:31], v[22:23], v[16:17]
	v_mul_f64 v[16:17], v[24:25], v[16:17]
	v_fma_f64 v[32:33], v[4:5], v[10:11], v[36:37]
	v_fma_f64 v[10:11], v[2:3], v[10:11], -v[12:13]
	ds_load_b128 v[2:5], v1 offset:1424
	v_add_f64 v[6:7], v[8:9], v[6:7]
	v_add_f64 v[8:9], v[26:27], v[28:29]
	v_fma_f64 v[24:25], v[24:25], v[14:15], v[30:31]
	v_fma_f64 v[14:15], v[22:23], v[14:15], -v[16:17]
	s_waitcnt vmcnt(0) lgkmcnt(0)
	v_mul_f64 v[12:13], v[2:3], v[20:21]
	v_mul_f64 v[20:21], v[4:5], v[20:21]
	v_add_f64 v[6:7], v[6:7], v[10:11]
	v_add_f64 v[8:9], v[8:9], v[32:33]
	s_delay_alu instid0(VALU_DEP_4) | instskip(NEXT) | instid1(VALU_DEP_4)
	v_fma_f64 v[4:5], v[4:5], v[18:19], v[12:13]
	v_fma_f64 v[2:3], v[2:3], v[18:19], -v[20:21]
	s_delay_alu instid0(VALU_DEP_4) | instskip(NEXT) | instid1(VALU_DEP_4)
	v_add_f64 v[6:7], v[6:7], v[14:15]
	v_add_f64 v[8:9], v[8:9], v[24:25]
	s_delay_alu instid0(VALU_DEP_2) | instskip(NEXT) | instid1(VALU_DEP_2)
	v_add_f64 v[2:3], v[6:7], v[2:3]
	v_add_f64 v[4:5], v[8:9], v[4:5]
	s_delay_alu instid0(VALU_DEP_2) | instskip(NEXT) | instid1(VALU_DEP_2)
	v_add_f64 v[2:3], v[42:43], -v[2:3]
	v_add_f64 v[4:5], v[44:45], -v[4:5]
	scratch_store_b128 off, v[2:5], off offset:304
	v_cmpx_lt_u32_e32 18, v136
	s_cbranch_execz .LBB108_247
; %bb.246:
	scratch_load_b128 v[5:8], v162, off
	v_mov_b32_e32 v2, v1
	v_mov_b32_e32 v3, v1
	;; [unrolled: 1-line block ×3, first 2 shown]
	scratch_store_b128 off, v[1:4], off offset:288
	s_waitcnt vmcnt(0)
	ds_store_b128 v181, v[5:8]
.LBB108_247:
	s_or_b32 exec_lo, exec_lo, s2
	s_waitcnt lgkmcnt(0)
	s_waitcnt_vscnt null, 0x0
	s_barrier
	buffer_gl0_inv
	s_clause 0x8
	scratch_load_b128 v[2:5], off, off offset:304
	scratch_load_b128 v[6:9], off, off offset:320
	;; [unrolled: 1-line block ×9, first 2 shown]
	ds_load_b128 v[38:41], v1 offset:1024
	ds_load_b128 v[42:45], v1 offset:1040
	s_clause 0x1
	scratch_load_b128 v[182:185], off, off offset:288
	scratch_load_b128 v[186:189], off, off offset:448
	s_mov_b32 s2, exec_lo
	s_waitcnt vmcnt(10) lgkmcnt(1)
	v_mul_f64 v[190:191], v[40:41], v[4:5]
	v_mul_f64 v[4:5], v[38:39], v[4:5]
	s_waitcnt vmcnt(9) lgkmcnt(0)
	v_mul_f64 v[194:195], v[42:43], v[8:9]
	v_mul_f64 v[8:9], v[44:45], v[8:9]
	s_delay_alu instid0(VALU_DEP_4) | instskip(NEXT) | instid1(VALU_DEP_4)
	v_fma_f64 v[196:197], v[38:39], v[2:3], -v[190:191]
	v_fma_f64 v[198:199], v[40:41], v[2:3], v[4:5]
	ds_load_b128 v[2:5], v1 offset:1056
	ds_load_b128 v[190:193], v1 offset:1072
	scratch_load_b128 v[38:41], off, off offset:464
	v_fma_f64 v[44:45], v[44:45], v[6:7], v[194:195]
	v_fma_f64 v[42:43], v[42:43], v[6:7], -v[8:9]
	scratch_load_b128 v[6:9], off, off offset:480
	s_waitcnt vmcnt(10) lgkmcnt(1)
	v_mul_f64 v[200:201], v[2:3], v[12:13]
	v_mul_f64 v[12:13], v[4:5], v[12:13]
	v_add_f64 v[194:195], v[196:197], 0
	v_add_f64 v[196:197], v[198:199], 0
	s_waitcnt vmcnt(9) lgkmcnt(0)
	v_mul_f64 v[198:199], v[190:191], v[16:17]
	v_mul_f64 v[16:17], v[192:193], v[16:17]
	v_fma_f64 v[200:201], v[4:5], v[10:11], v[200:201]
	v_fma_f64 v[202:203], v[2:3], v[10:11], -v[12:13]
	ds_load_b128 v[2:5], v1 offset:1088
	scratch_load_b128 v[10:13], off, off offset:496
	v_add_f64 v[194:195], v[194:195], v[42:43]
	v_add_f64 v[196:197], v[196:197], v[44:45]
	ds_load_b128 v[42:45], v1 offset:1104
	v_fma_f64 v[192:193], v[192:193], v[14:15], v[198:199]
	v_fma_f64 v[190:191], v[190:191], v[14:15], -v[16:17]
	scratch_load_b128 v[14:17], off, off offset:512
	s_waitcnt vmcnt(10) lgkmcnt(1)
	v_mul_f64 v[204:205], v[2:3], v[20:21]
	v_mul_f64 v[20:21], v[4:5], v[20:21]
	s_waitcnt vmcnt(9) lgkmcnt(0)
	v_mul_f64 v[198:199], v[42:43], v[24:25]
	v_mul_f64 v[24:25], v[44:45], v[24:25]
	v_add_f64 v[194:195], v[194:195], v[202:203]
	v_add_f64 v[196:197], v[196:197], v[200:201]
	v_fma_f64 v[200:201], v[4:5], v[18:19], v[204:205]
	v_fma_f64 v[202:203], v[2:3], v[18:19], -v[20:21]
	ds_load_b128 v[2:5], v1 offset:1120
	scratch_load_b128 v[18:21], off, off offset:528
	v_fma_f64 v[44:45], v[44:45], v[22:23], v[198:199]
	v_fma_f64 v[42:43], v[42:43], v[22:23], -v[24:25]
	scratch_load_b128 v[22:25], off, off offset:544
	v_add_f64 v[194:195], v[194:195], v[190:191]
	v_add_f64 v[196:197], v[196:197], v[192:193]
	ds_load_b128 v[190:193], v1 offset:1136
	s_waitcnt vmcnt(10) lgkmcnt(1)
	v_mul_f64 v[204:205], v[2:3], v[28:29]
	v_mul_f64 v[28:29], v[4:5], v[28:29]
	s_waitcnt vmcnt(9) lgkmcnt(0)
	v_mul_f64 v[198:199], v[190:191], v[32:33]
	v_mul_f64 v[32:33], v[192:193], v[32:33]
	v_add_f64 v[194:195], v[194:195], v[202:203]
	v_add_f64 v[196:197], v[196:197], v[200:201]
	v_fma_f64 v[200:201], v[4:5], v[26:27], v[204:205]
	v_fma_f64 v[202:203], v[2:3], v[26:27], -v[28:29]
	ds_load_b128 v[2:5], v1 offset:1152
	scratch_load_b128 v[26:29], off, off offset:560
	v_fma_f64 v[192:193], v[192:193], v[30:31], v[198:199]
	v_fma_f64 v[190:191], v[190:191], v[30:31], -v[32:33]
	scratch_load_b128 v[30:33], off, off offset:576
	v_add_f64 v[194:195], v[194:195], v[42:43]
	v_add_f64 v[196:197], v[196:197], v[44:45]
	ds_load_b128 v[42:45], v1 offset:1168
	s_waitcnt vmcnt(10) lgkmcnt(1)
	v_mul_f64 v[204:205], v[2:3], v[36:37]
	v_mul_f64 v[36:37], v[4:5], v[36:37]
	s_waitcnt vmcnt(8) lgkmcnt(0)
	v_mul_f64 v[198:199], v[42:43], v[188:189]
	v_add_f64 v[194:195], v[194:195], v[202:203]
	v_add_f64 v[196:197], v[196:197], v[200:201]
	v_mul_f64 v[200:201], v[44:45], v[188:189]
	v_fma_f64 v[202:203], v[4:5], v[34:35], v[204:205]
	v_fma_f64 v[204:205], v[2:3], v[34:35], -v[36:37]
	ds_load_b128 v[2:5], v1 offset:1184
	scratch_load_b128 v[34:37], off, off offset:592
	v_fma_f64 v[44:45], v[44:45], v[186:187], v[198:199]
	v_add_f64 v[194:195], v[194:195], v[190:191]
	v_add_f64 v[192:193], v[196:197], v[192:193]
	ds_load_b128 v[188:191], v1 offset:1200
	v_fma_f64 v[186:187], v[42:43], v[186:187], -v[200:201]
	s_waitcnt vmcnt(8) lgkmcnt(1)
	v_mul_f64 v[196:197], v[2:3], v[40:41]
	v_mul_f64 v[206:207], v[4:5], v[40:41]
	scratch_load_b128 v[40:43], off, off offset:608
	s_waitcnt vmcnt(8) lgkmcnt(0)
	v_mul_f64 v[200:201], v[188:189], v[8:9]
	v_mul_f64 v[8:9], v[190:191], v[8:9]
	v_add_f64 v[194:195], v[194:195], v[204:205]
	v_add_f64 v[192:193], v[192:193], v[202:203]
	v_fma_f64 v[202:203], v[4:5], v[38:39], v[196:197]
	v_fma_f64 v[38:39], v[2:3], v[38:39], -v[206:207]
	ds_load_b128 v[2:5], v1 offset:1216
	ds_load_b128 v[196:199], v1 offset:1232
	v_fma_f64 v[190:191], v[190:191], v[6:7], v[200:201]
	v_fma_f64 v[188:189], v[188:189], v[6:7], -v[8:9]
	scratch_load_b128 v[6:9], off, off offset:640
	v_add_f64 v[186:187], v[194:195], v[186:187]
	v_add_f64 v[44:45], v[192:193], v[44:45]
	scratch_load_b128 v[192:195], off, off offset:624
	s_waitcnt vmcnt(9) lgkmcnt(1)
	v_mul_f64 v[204:205], v[2:3], v[12:13]
	v_mul_f64 v[12:13], v[4:5], v[12:13]
	s_waitcnt vmcnt(8) lgkmcnt(0)
	v_mul_f64 v[200:201], v[196:197], v[16:17]
	v_mul_f64 v[16:17], v[198:199], v[16:17]
	v_add_f64 v[38:39], v[186:187], v[38:39]
	v_add_f64 v[44:45], v[44:45], v[202:203]
	v_fma_f64 v[202:203], v[4:5], v[10:11], v[204:205]
	v_fma_f64 v[204:205], v[2:3], v[10:11], -v[12:13]
	ds_load_b128 v[2:5], v1 offset:1248
	scratch_load_b128 v[10:13], off, off offset:656
	v_fma_f64 v[198:199], v[198:199], v[14:15], v[200:201]
	v_fma_f64 v[196:197], v[196:197], v[14:15], -v[16:17]
	scratch_load_b128 v[14:17], off, off offset:672
	v_add_f64 v[38:39], v[38:39], v[188:189]
	v_add_f64 v[44:45], v[44:45], v[190:191]
	ds_load_b128 v[186:189], v1 offset:1264
	s_waitcnt vmcnt(9) lgkmcnt(1)
	v_mul_f64 v[190:191], v[2:3], v[20:21]
	v_mul_f64 v[20:21], v[4:5], v[20:21]
	s_waitcnt vmcnt(8) lgkmcnt(0)
	v_mul_f64 v[200:201], v[186:187], v[24:25]
	v_mul_f64 v[24:25], v[188:189], v[24:25]
	v_add_f64 v[38:39], v[38:39], v[204:205]
	v_add_f64 v[44:45], v[44:45], v[202:203]
	v_fma_f64 v[190:191], v[4:5], v[18:19], v[190:191]
	v_fma_f64 v[202:203], v[2:3], v[18:19], -v[20:21]
	ds_load_b128 v[2:5], v1 offset:1280
	scratch_load_b128 v[18:21], off, off offset:688
	v_fma_f64 v[188:189], v[188:189], v[22:23], v[200:201]
	v_fma_f64 v[186:187], v[186:187], v[22:23], -v[24:25]
	scratch_load_b128 v[22:25], off, off offset:704
	v_add_f64 v[38:39], v[38:39], v[196:197]
	v_add_f64 v[44:45], v[44:45], v[198:199]
	ds_load_b128 v[196:199], v1 offset:1296
	s_waitcnt vmcnt(9) lgkmcnt(1)
	v_mul_f64 v[204:205], v[2:3], v[28:29]
	v_mul_f64 v[28:29], v[4:5], v[28:29]
	v_add_f64 v[38:39], v[38:39], v[202:203]
	v_add_f64 v[44:45], v[44:45], v[190:191]
	s_waitcnt vmcnt(8) lgkmcnt(0)
	v_mul_f64 v[190:191], v[196:197], v[32:33]
	v_mul_f64 v[32:33], v[198:199], v[32:33]
	v_fma_f64 v[200:201], v[4:5], v[26:27], v[204:205]
	v_fma_f64 v[202:203], v[2:3], v[26:27], -v[28:29]
	ds_load_b128 v[2:5], v1 offset:1312
	ds_load_b128 v[26:29], v1 offset:1328
	v_add_f64 v[38:39], v[38:39], v[186:187]
	v_add_f64 v[44:45], v[44:45], v[188:189]
	s_waitcnt vmcnt(7) lgkmcnt(1)
	v_mul_f64 v[186:187], v[2:3], v[36:37]
	v_mul_f64 v[36:37], v[4:5], v[36:37]
	v_fma_f64 v[188:189], v[198:199], v[30:31], v[190:191]
	v_fma_f64 v[30:31], v[196:197], v[30:31], -v[32:33]
	v_add_f64 v[32:33], v[38:39], v[202:203]
	v_add_f64 v[38:39], v[44:45], v[200:201]
	s_waitcnt vmcnt(6) lgkmcnt(0)
	v_mul_f64 v[44:45], v[26:27], v[42:43]
	v_mul_f64 v[42:43], v[28:29], v[42:43]
	v_fma_f64 v[186:187], v[4:5], v[34:35], v[186:187]
	v_fma_f64 v[34:35], v[2:3], v[34:35], -v[36:37]
	v_add_f64 v[36:37], v[32:33], v[30:31]
	v_add_f64 v[38:39], v[38:39], v[188:189]
	ds_load_b128 v[2:5], v1 offset:1344
	ds_load_b128 v[30:33], v1 offset:1360
	v_fma_f64 v[28:29], v[28:29], v[40:41], v[44:45]
	v_fma_f64 v[26:27], v[26:27], v[40:41], -v[42:43]
	s_waitcnt vmcnt(4) lgkmcnt(1)
	v_mul_f64 v[188:189], v[2:3], v[194:195]
	v_mul_f64 v[190:191], v[4:5], v[194:195]
	v_add_f64 v[34:35], v[36:37], v[34:35]
	v_add_f64 v[36:37], v[38:39], v[186:187]
	s_waitcnt lgkmcnt(0)
	v_mul_f64 v[38:39], v[30:31], v[8:9]
	v_mul_f64 v[8:9], v[32:33], v[8:9]
	v_fma_f64 v[40:41], v[4:5], v[192:193], v[188:189]
	v_fma_f64 v[42:43], v[2:3], v[192:193], -v[190:191]
	v_add_f64 v[34:35], v[34:35], v[26:27]
	v_add_f64 v[36:37], v[36:37], v[28:29]
	ds_load_b128 v[2:5], v1 offset:1376
	ds_load_b128 v[26:29], v1 offset:1392
	v_fma_f64 v[32:33], v[32:33], v[6:7], v[38:39]
	v_fma_f64 v[6:7], v[30:31], v[6:7], -v[8:9]
	s_waitcnt vmcnt(3) lgkmcnt(1)
	v_mul_f64 v[44:45], v[2:3], v[12:13]
	v_mul_f64 v[12:13], v[4:5], v[12:13]
	v_add_f64 v[8:9], v[34:35], v[42:43]
	v_add_f64 v[30:31], v[36:37], v[40:41]
	s_waitcnt vmcnt(2) lgkmcnt(0)
	v_mul_f64 v[34:35], v[26:27], v[16:17]
	v_mul_f64 v[16:17], v[28:29], v[16:17]
	v_fma_f64 v[36:37], v[4:5], v[10:11], v[44:45]
	v_fma_f64 v[10:11], v[2:3], v[10:11], -v[12:13]
	v_add_f64 v[12:13], v[8:9], v[6:7]
	v_add_f64 v[30:31], v[30:31], v[32:33]
	ds_load_b128 v[2:5], v1 offset:1408
	ds_load_b128 v[6:9], v1 offset:1424
	v_fma_f64 v[28:29], v[28:29], v[14:15], v[34:35]
	v_fma_f64 v[14:15], v[26:27], v[14:15], -v[16:17]
	s_waitcnt vmcnt(1) lgkmcnt(1)
	v_mul_f64 v[32:33], v[2:3], v[20:21]
	v_mul_f64 v[20:21], v[4:5], v[20:21]
	s_waitcnt vmcnt(0) lgkmcnt(0)
	v_mul_f64 v[16:17], v[6:7], v[24:25]
	v_mul_f64 v[24:25], v[8:9], v[24:25]
	v_add_f64 v[10:11], v[12:13], v[10:11]
	v_add_f64 v[12:13], v[30:31], v[36:37]
	v_fma_f64 v[4:5], v[4:5], v[18:19], v[32:33]
	v_fma_f64 v[1:2], v[2:3], v[18:19], -v[20:21]
	v_fma_f64 v[8:9], v[8:9], v[22:23], v[16:17]
	v_fma_f64 v[6:7], v[6:7], v[22:23], -v[24:25]
	v_add_f64 v[10:11], v[10:11], v[14:15]
	v_add_f64 v[12:13], v[12:13], v[28:29]
	s_delay_alu instid0(VALU_DEP_2) | instskip(NEXT) | instid1(VALU_DEP_2)
	v_add_f64 v[1:2], v[10:11], v[1:2]
	v_add_f64 v[3:4], v[12:13], v[4:5]
	s_delay_alu instid0(VALU_DEP_2) | instskip(NEXT) | instid1(VALU_DEP_2)
	;; [unrolled: 3-line block ×3, first 2 shown]
	v_add_f64 v[1:2], v[182:183], -v[1:2]
	v_add_f64 v[3:4], v[184:185], -v[3:4]
	scratch_store_b128 off, v[1:4], off offset:288
	v_cmpx_lt_u32_e32 17, v136
	s_cbranch_execz .LBB108_249
; %bb.248:
	scratch_load_b128 v[1:4], v164, off
	v_mov_b32_e32 v5, 0
	s_delay_alu instid0(VALU_DEP_1)
	v_mov_b32_e32 v6, v5
	v_mov_b32_e32 v7, v5
	;; [unrolled: 1-line block ×3, first 2 shown]
	scratch_store_b128 off, v[5:8], off offset:272
	s_waitcnt vmcnt(0)
	ds_store_b128 v181, v[1:4]
.LBB108_249:
	s_or_b32 exec_lo, exec_lo, s2
	s_waitcnt lgkmcnt(0)
	s_waitcnt_vscnt null, 0x0
	s_barrier
	buffer_gl0_inv
	s_clause 0x7
	scratch_load_b128 v[2:5], off, off offset:288
	scratch_load_b128 v[6:9], off, off offset:304
	;; [unrolled: 1-line block ×8, first 2 shown]
	v_mov_b32_e32 v1, 0
	s_mov_b32 s2, exec_lo
	ds_load_b128 v[38:41], v1 offset:1008
	s_clause 0x1
	scratch_load_b128 v[34:37], off, off offset:416
	scratch_load_b128 v[42:45], off, off offset:272
	ds_load_b128 v[182:185], v1 offset:1024
	scratch_load_b128 v[186:189], off, off offset:432
	s_waitcnt vmcnt(10) lgkmcnt(1)
	v_mul_f64 v[190:191], v[40:41], v[4:5]
	v_mul_f64 v[4:5], v[38:39], v[4:5]
	s_delay_alu instid0(VALU_DEP_2) | instskip(NEXT) | instid1(VALU_DEP_2)
	v_fma_f64 v[196:197], v[38:39], v[2:3], -v[190:191]
	v_fma_f64 v[198:199], v[40:41], v[2:3], v[4:5]
	scratch_load_b128 v[38:41], off, off offset:448
	ds_load_b128 v[2:5], v1 offset:1040
	s_waitcnt vmcnt(10) lgkmcnt(1)
	v_mul_f64 v[194:195], v[182:183], v[8:9]
	v_mul_f64 v[8:9], v[184:185], v[8:9]
	ds_load_b128 v[190:193], v1 offset:1056
	s_waitcnt vmcnt(9) lgkmcnt(1)
	v_mul_f64 v[200:201], v[2:3], v[12:13]
	v_mul_f64 v[12:13], v[4:5], v[12:13]
	v_fma_f64 v[184:185], v[184:185], v[6:7], v[194:195]
	v_fma_f64 v[182:183], v[182:183], v[6:7], -v[8:9]
	v_add_f64 v[194:195], v[196:197], 0
	v_add_f64 v[196:197], v[198:199], 0
	scratch_load_b128 v[6:9], off, off offset:464
	v_fma_f64 v[200:201], v[4:5], v[10:11], v[200:201]
	v_fma_f64 v[202:203], v[2:3], v[10:11], -v[12:13]
	scratch_load_b128 v[10:13], off, off offset:480
	ds_load_b128 v[2:5], v1 offset:1072
	s_waitcnt vmcnt(10) lgkmcnt(1)
	v_mul_f64 v[198:199], v[190:191], v[16:17]
	v_mul_f64 v[16:17], v[192:193], v[16:17]
	v_add_f64 v[194:195], v[194:195], v[182:183]
	v_add_f64 v[196:197], v[196:197], v[184:185]
	s_waitcnt vmcnt(9) lgkmcnt(0)
	v_mul_f64 v[204:205], v[2:3], v[20:21]
	v_mul_f64 v[20:21], v[4:5], v[20:21]
	ds_load_b128 v[182:185], v1 offset:1088
	v_fma_f64 v[192:193], v[192:193], v[14:15], v[198:199]
	v_fma_f64 v[190:191], v[190:191], v[14:15], -v[16:17]
	scratch_load_b128 v[14:17], off, off offset:496
	v_add_f64 v[194:195], v[194:195], v[202:203]
	v_add_f64 v[196:197], v[196:197], v[200:201]
	v_fma_f64 v[200:201], v[4:5], v[18:19], v[204:205]
	v_fma_f64 v[202:203], v[2:3], v[18:19], -v[20:21]
	scratch_load_b128 v[18:21], off, off offset:512
	ds_load_b128 v[2:5], v1 offset:1104
	s_waitcnt vmcnt(10) lgkmcnt(1)
	v_mul_f64 v[198:199], v[182:183], v[24:25]
	v_mul_f64 v[24:25], v[184:185], v[24:25]
	s_waitcnt vmcnt(9) lgkmcnt(0)
	v_mul_f64 v[204:205], v[2:3], v[28:29]
	v_mul_f64 v[28:29], v[4:5], v[28:29]
	v_add_f64 v[194:195], v[194:195], v[190:191]
	v_add_f64 v[196:197], v[196:197], v[192:193]
	ds_load_b128 v[190:193], v1 offset:1120
	v_fma_f64 v[184:185], v[184:185], v[22:23], v[198:199]
	v_fma_f64 v[182:183], v[182:183], v[22:23], -v[24:25]
	scratch_load_b128 v[22:25], off, off offset:528
	v_add_f64 v[194:195], v[194:195], v[202:203]
	v_add_f64 v[196:197], v[196:197], v[200:201]
	v_fma_f64 v[200:201], v[4:5], v[26:27], v[204:205]
	v_fma_f64 v[202:203], v[2:3], v[26:27], -v[28:29]
	scratch_load_b128 v[26:29], off, off offset:544
	ds_load_b128 v[2:5], v1 offset:1136
	s_waitcnt vmcnt(10) lgkmcnt(1)
	v_mul_f64 v[198:199], v[190:191], v[32:33]
	v_mul_f64 v[32:33], v[192:193], v[32:33]
	s_waitcnt vmcnt(9) lgkmcnt(0)
	v_mul_f64 v[204:205], v[2:3], v[36:37]
	v_mul_f64 v[36:37], v[4:5], v[36:37]
	v_add_f64 v[194:195], v[194:195], v[182:183]
	v_add_f64 v[196:197], v[196:197], v[184:185]
	ds_load_b128 v[182:185], v1 offset:1152
	v_fma_f64 v[192:193], v[192:193], v[30:31], v[198:199]
	v_fma_f64 v[190:191], v[190:191], v[30:31], -v[32:33]
	scratch_load_b128 v[30:33], off, off offset:560
	v_add_f64 v[194:195], v[194:195], v[202:203]
	v_add_f64 v[196:197], v[196:197], v[200:201]
	v_fma_f64 v[202:203], v[4:5], v[34:35], v[204:205]
	v_fma_f64 v[204:205], v[2:3], v[34:35], -v[36:37]
	scratch_load_b128 v[34:37], off, off offset:576
	ds_load_b128 v[2:5], v1 offset:1168
	s_waitcnt vmcnt(9) lgkmcnt(1)
	v_mul_f64 v[198:199], v[182:183], v[188:189]
	v_mul_f64 v[200:201], v[184:185], v[188:189]
	v_add_f64 v[194:195], v[194:195], v[190:191]
	v_add_f64 v[192:193], v[196:197], v[192:193]
	ds_load_b128 v[188:191], v1 offset:1184
	v_fma_f64 v[198:199], v[184:185], v[186:187], v[198:199]
	v_fma_f64 v[186:187], v[182:183], v[186:187], -v[200:201]
	scratch_load_b128 v[182:185], off, off offset:592
	s_waitcnt vmcnt(9) lgkmcnt(1)
	v_mul_f64 v[196:197], v[2:3], v[40:41]
	v_mul_f64 v[40:41], v[4:5], v[40:41]
	v_add_f64 v[194:195], v[194:195], v[204:205]
	v_add_f64 v[192:193], v[192:193], v[202:203]
	s_delay_alu instid0(VALU_DEP_4) | instskip(NEXT) | instid1(VALU_DEP_4)
	v_fma_f64 v[196:197], v[4:5], v[38:39], v[196:197]
	v_fma_f64 v[202:203], v[2:3], v[38:39], -v[40:41]
	scratch_load_b128 v[38:41], off, off offset:608
	ds_load_b128 v[2:5], v1 offset:1200
	s_waitcnt vmcnt(9) lgkmcnt(1)
	v_mul_f64 v[200:201], v[188:189], v[8:9]
	v_mul_f64 v[8:9], v[190:191], v[8:9]
	s_waitcnt vmcnt(8) lgkmcnt(0)
	v_mul_f64 v[204:205], v[2:3], v[12:13]
	v_mul_f64 v[12:13], v[4:5], v[12:13]
	v_add_f64 v[186:187], v[194:195], v[186:187]
	v_add_f64 v[198:199], v[192:193], v[198:199]
	ds_load_b128 v[192:195], v1 offset:1216
	v_fma_f64 v[190:191], v[190:191], v[6:7], v[200:201]
	v_fma_f64 v[188:189], v[188:189], v[6:7], -v[8:9]
	scratch_load_b128 v[6:9], off, off offset:624
	v_fma_f64 v[200:201], v[4:5], v[10:11], v[204:205]
	v_add_f64 v[186:187], v[186:187], v[202:203]
	v_add_f64 v[196:197], v[198:199], v[196:197]
	v_fma_f64 v[202:203], v[2:3], v[10:11], -v[12:13]
	scratch_load_b128 v[10:13], off, off offset:640
	ds_load_b128 v[2:5], v1 offset:1232
	s_waitcnt vmcnt(9) lgkmcnt(1)
	v_mul_f64 v[198:199], v[192:193], v[16:17]
	v_mul_f64 v[16:17], v[194:195], v[16:17]
	v_add_f64 v[204:205], v[186:187], v[188:189]
	v_add_f64 v[190:191], v[196:197], v[190:191]
	s_waitcnt vmcnt(8) lgkmcnt(0)
	v_mul_f64 v[196:197], v[2:3], v[20:21]
	v_mul_f64 v[20:21], v[4:5], v[20:21]
	ds_load_b128 v[186:189], v1 offset:1248
	v_fma_f64 v[194:195], v[194:195], v[14:15], v[198:199]
	v_fma_f64 v[192:193], v[192:193], v[14:15], -v[16:17]
	scratch_load_b128 v[14:17], off, off offset:656
	v_add_f64 v[198:199], v[204:205], v[202:203]
	v_add_f64 v[190:191], v[190:191], v[200:201]
	v_fma_f64 v[196:197], v[4:5], v[18:19], v[196:197]
	v_fma_f64 v[202:203], v[2:3], v[18:19], -v[20:21]
	scratch_load_b128 v[18:21], off, off offset:672
	ds_load_b128 v[2:5], v1 offset:1264
	s_waitcnt vmcnt(9) lgkmcnt(1)
	v_mul_f64 v[200:201], v[186:187], v[24:25]
	v_mul_f64 v[24:25], v[188:189], v[24:25]
	s_waitcnt vmcnt(8) lgkmcnt(0)
	v_mul_f64 v[204:205], v[2:3], v[28:29]
	v_mul_f64 v[28:29], v[4:5], v[28:29]
	v_add_f64 v[198:199], v[198:199], v[192:193]
	v_add_f64 v[194:195], v[190:191], v[194:195]
	ds_load_b128 v[190:193], v1 offset:1280
	v_fma_f64 v[188:189], v[188:189], v[22:23], v[200:201]
	v_fma_f64 v[186:187], v[186:187], v[22:23], -v[24:25]
	scratch_load_b128 v[22:25], off, off offset:688
	v_fma_f64 v[200:201], v[4:5], v[26:27], v[204:205]
	v_add_f64 v[198:199], v[198:199], v[202:203]
	v_add_f64 v[194:195], v[194:195], v[196:197]
	v_fma_f64 v[202:203], v[2:3], v[26:27], -v[28:29]
	scratch_load_b128 v[26:29], off, off offset:704
	ds_load_b128 v[2:5], v1 offset:1296
	s_waitcnt vmcnt(9) lgkmcnt(1)
	v_mul_f64 v[196:197], v[190:191], v[32:33]
	v_mul_f64 v[32:33], v[192:193], v[32:33]
	s_waitcnt vmcnt(8) lgkmcnt(0)
	v_mul_f64 v[204:205], v[2:3], v[36:37]
	v_mul_f64 v[36:37], v[4:5], v[36:37]
	v_add_f64 v[198:199], v[198:199], v[186:187]
	v_add_f64 v[194:195], v[194:195], v[188:189]
	ds_load_b128 v[186:189], v1 offset:1312
	v_fma_f64 v[192:193], v[192:193], v[30:31], v[196:197]
	v_fma_f64 v[30:31], v[190:191], v[30:31], -v[32:33]
	v_fma_f64 v[196:197], v[4:5], v[34:35], v[204:205]
	v_fma_f64 v[34:35], v[2:3], v[34:35], -v[36:37]
	v_add_f64 v[32:33], v[198:199], v[202:203]
	v_add_f64 v[190:191], v[194:195], v[200:201]
	s_waitcnt vmcnt(7) lgkmcnt(0)
	v_mul_f64 v[194:195], v[186:187], v[184:185]
	v_mul_f64 v[184:185], v[188:189], v[184:185]
	s_delay_alu instid0(VALU_DEP_4) | instskip(NEXT) | instid1(VALU_DEP_4)
	v_add_f64 v[36:37], v[32:33], v[30:31]
	v_add_f64 v[190:191], v[190:191], v[192:193]
	ds_load_b128 v[2:5], v1 offset:1328
	ds_load_b128 v[30:33], v1 offset:1344
	v_fma_f64 v[188:189], v[188:189], v[182:183], v[194:195]
	v_fma_f64 v[182:183], v[186:187], v[182:183], -v[184:185]
	s_waitcnt vmcnt(6) lgkmcnt(1)
	v_mul_f64 v[192:193], v[2:3], v[40:41]
	v_mul_f64 v[40:41], v[4:5], v[40:41]
	s_waitcnt vmcnt(5) lgkmcnt(0)
	v_mul_f64 v[184:185], v[30:31], v[8:9]
	v_mul_f64 v[8:9], v[32:33], v[8:9]
	v_add_f64 v[34:35], v[36:37], v[34:35]
	v_add_f64 v[36:37], v[190:191], v[196:197]
	v_fma_f64 v[186:187], v[4:5], v[38:39], v[192:193]
	v_fma_f64 v[38:39], v[2:3], v[38:39], -v[40:41]
	v_fma_f64 v[32:33], v[32:33], v[6:7], v[184:185]
	v_fma_f64 v[6:7], v[30:31], v[6:7], -v[8:9]
	v_add_f64 v[40:41], v[34:35], v[182:183]
	v_add_f64 v[182:183], v[36:37], v[188:189]
	ds_load_b128 v[2:5], v1 offset:1360
	ds_load_b128 v[34:37], v1 offset:1376
	s_waitcnt vmcnt(4) lgkmcnt(1)
	v_mul_f64 v[188:189], v[2:3], v[12:13]
	v_mul_f64 v[12:13], v[4:5], v[12:13]
	v_add_f64 v[8:9], v[40:41], v[38:39]
	v_add_f64 v[30:31], v[182:183], v[186:187]
	s_waitcnt vmcnt(3) lgkmcnt(0)
	v_mul_f64 v[38:39], v[34:35], v[16:17]
	v_mul_f64 v[16:17], v[36:37], v[16:17]
	v_fma_f64 v[40:41], v[4:5], v[10:11], v[188:189]
	v_fma_f64 v[10:11], v[2:3], v[10:11], -v[12:13]
	v_add_f64 v[12:13], v[8:9], v[6:7]
	v_add_f64 v[30:31], v[30:31], v[32:33]
	ds_load_b128 v[2:5], v1 offset:1392
	ds_load_b128 v[6:9], v1 offset:1408
	v_fma_f64 v[36:37], v[36:37], v[14:15], v[38:39]
	v_fma_f64 v[14:15], v[34:35], v[14:15], -v[16:17]
	s_waitcnt vmcnt(2) lgkmcnt(1)
	v_mul_f64 v[32:33], v[2:3], v[20:21]
	v_mul_f64 v[20:21], v[4:5], v[20:21]
	s_waitcnt vmcnt(1) lgkmcnt(0)
	v_mul_f64 v[16:17], v[6:7], v[24:25]
	v_mul_f64 v[24:25], v[8:9], v[24:25]
	v_add_f64 v[10:11], v[12:13], v[10:11]
	v_add_f64 v[12:13], v[30:31], v[40:41]
	v_fma_f64 v[30:31], v[4:5], v[18:19], v[32:33]
	v_fma_f64 v[18:19], v[2:3], v[18:19], -v[20:21]
	ds_load_b128 v[2:5], v1 offset:1424
	v_fma_f64 v[8:9], v[8:9], v[22:23], v[16:17]
	v_fma_f64 v[6:7], v[6:7], v[22:23], -v[24:25]
	v_add_f64 v[10:11], v[10:11], v[14:15]
	v_add_f64 v[12:13], v[12:13], v[36:37]
	s_waitcnt vmcnt(0) lgkmcnt(0)
	v_mul_f64 v[14:15], v[2:3], v[28:29]
	v_mul_f64 v[20:21], v[4:5], v[28:29]
	s_delay_alu instid0(VALU_DEP_4) | instskip(NEXT) | instid1(VALU_DEP_4)
	v_add_f64 v[10:11], v[10:11], v[18:19]
	v_add_f64 v[12:13], v[12:13], v[30:31]
	s_delay_alu instid0(VALU_DEP_4) | instskip(NEXT) | instid1(VALU_DEP_4)
	v_fma_f64 v[4:5], v[4:5], v[26:27], v[14:15]
	v_fma_f64 v[2:3], v[2:3], v[26:27], -v[20:21]
	s_delay_alu instid0(VALU_DEP_4) | instskip(NEXT) | instid1(VALU_DEP_4)
	v_add_f64 v[6:7], v[10:11], v[6:7]
	v_add_f64 v[8:9], v[12:13], v[8:9]
	s_delay_alu instid0(VALU_DEP_2) | instskip(NEXT) | instid1(VALU_DEP_2)
	v_add_f64 v[2:3], v[6:7], v[2:3]
	v_add_f64 v[4:5], v[8:9], v[4:5]
	s_delay_alu instid0(VALU_DEP_2) | instskip(NEXT) | instid1(VALU_DEP_2)
	v_add_f64 v[2:3], v[42:43], -v[2:3]
	v_add_f64 v[4:5], v[44:45], -v[4:5]
	scratch_store_b128 off, v[2:5], off offset:272
	v_cmpx_lt_u32_e32 16, v136
	s_cbranch_execz .LBB108_251
; %bb.250:
	scratch_load_b128 v[5:8], v165, off
	v_mov_b32_e32 v2, v1
	v_mov_b32_e32 v3, v1
	;; [unrolled: 1-line block ×3, first 2 shown]
	scratch_store_b128 off, v[1:4], off offset:256
	s_waitcnt vmcnt(0)
	ds_store_b128 v181, v[5:8]
.LBB108_251:
	s_or_b32 exec_lo, exec_lo, s2
	s_waitcnt lgkmcnt(0)
	s_waitcnt_vscnt null, 0x0
	s_barrier
	buffer_gl0_inv
	s_clause 0x8
	scratch_load_b128 v[2:5], off, off offset:272
	scratch_load_b128 v[6:9], off, off offset:288
	scratch_load_b128 v[10:13], off, off offset:304
	scratch_load_b128 v[14:17], off, off offset:320
	scratch_load_b128 v[18:21], off, off offset:336
	scratch_load_b128 v[22:25], off, off offset:352
	scratch_load_b128 v[26:29], off, off offset:368
	scratch_load_b128 v[30:33], off, off offset:384
	scratch_load_b128 v[34:37], off, off offset:400
	ds_load_b128 v[42:45], v1 offset:992
	ds_load_b128 v[38:41], v1 offset:1008
	s_clause 0x1
	scratch_load_b128 v[182:185], off, off offset:256
	scratch_load_b128 v[186:189], off, off offset:416
	s_mov_b32 s2, exec_lo
	s_waitcnt vmcnt(10) lgkmcnt(1)
	v_mul_f64 v[190:191], v[44:45], v[4:5]
	v_mul_f64 v[4:5], v[42:43], v[4:5]
	s_waitcnt vmcnt(9) lgkmcnt(0)
	v_mul_f64 v[194:195], v[38:39], v[8:9]
	v_mul_f64 v[8:9], v[40:41], v[8:9]
	s_delay_alu instid0(VALU_DEP_4) | instskip(NEXT) | instid1(VALU_DEP_4)
	v_fma_f64 v[196:197], v[42:43], v[2:3], -v[190:191]
	v_fma_f64 v[198:199], v[44:45], v[2:3], v[4:5]
	ds_load_b128 v[2:5], v1 offset:1024
	ds_load_b128 v[190:193], v1 offset:1040
	scratch_load_b128 v[42:45], off, off offset:432
	v_fma_f64 v[40:41], v[40:41], v[6:7], v[194:195]
	v_fma_f64 v[38:39], v[38:39], v[6:7], -v[8:9]
	scratch_load_b128 v[6:9], off, off offset:448
	s_waitcnt vmcnt(10) lgkmcnt(1)
	v_mul_f64 v[200:201], v[2:3], v[12:13]
	v_mul_f64 v[12:13], v[4:5], v[12:13]
	v_add_f64 v[194:195], v[196:197], 0
	v_add_f64 v[196:197], v[198:199], 0
	s_waitcnt vmcnt(9) lgkmcnt(0)
	v_mul_f64 v[198:199], v[190:191], v[16:17]
	v_mul_f64 v[16:17], v[192:193], v[16:17]
	v_fma_f64 v[200:201], v[4:5], v[10:11], v[200:201]
	v_fma_f64 v[202:203], v[2:3], v[10:11], -v[12:13]
	ds_load_b128 v[2:5], v1 offset:1056
	scratch_load_b128 v[10:13], off, off offset:464
	v_add_f64 v[194:195], v[194:195], v[38:39]
	v_add_f64 v[196:197], v[196:197], v[40:41]
	ds_load_b128 v[38:41], v1 offset:1072
	v_fma_f64 v[192:193], v[192:193], v[14:15], v[198:199]
	v_fma_f64 v[190:191], v[190:191], v[14:15], -v[16:17]
	scratch_load_b128 v[14:17], off, off offset:480
	s_waitcnt vmcnt(10) lgkmcnt(1)
	v_mul_f64 v[204:205], v[2:3], v[20:21]
	v_mul_f64 v[20:21], v[4:5], v[20:21]
	s_waitcnt vmcnt(9) lgkmcnt(0)
	v_mul_f64 v[198:199], v[38:39], v[24:25]
	v_mul_f64 v[24:25], v[40:41], v[24:25]
	v_add_f64 v[194:195], v[194:195], v[202:203]
	v_add_f64 v[196:197], v[196:197], v[200:201]
	v_fma_f64 v[200:201], v[4:5], v[18:19], v[204:205]
	v_fma_f64 v[202:203], v[2:3], v[18:19], -v[20:21]
	ds_load_b128 v[2:5], v1 offset:1088
	scratch_load_b128 v[18:21], off, off offset:496
	v_fma_f64 v[40:41], v[40:41], v[22:23], v[198:199]
	v_fma_f64 v[38:39], v[38:39], v[22:23], -v[24:25]
	scratch_load_b128 v[22:25], off, off offset:512
	v_add_f64 v[194:195], v[194:195], v[190:191]
	v_add_f64 v[196:197], v[196:197], v[192:193]
	ds_load_b128 v[190:193], v1 offset:1104
	s_waitcnt vmcnt(10) lgkmcnt(1)
	v_mul_f64 v[204:205], v[2:3], v[28:29]
	v_mul_f64 v[28:29], v[4:5], v[28:29]
	s_waitcnt vmcnt(9) lgkmcnt(0)
	v_mul_f64 v[198:199], v[190:191], v[32:33]
	v_mul_f64 v[32:33], v[192:193], v[32:33]
	v_add_f64 v[194:195], v[194:195], v[202:203]
	v_add_f64 v[196:197], v[196:197], v[200:201]
	v_fma_f64 v[200:201], v[4:5], v[26:27], v[204:205]
	v_fma_f64 v[202:203], v[2:3], v[26:27], -v[28:29]
	ds_load_b128 v[2:5], v1 offset:1120
	scratch_load_b128 v[26:29], off, off offset:528
	v_fma_f64 v[192:193], v[192:193], v[30:31], v[198:199]
	v_fma_f64 v[190:191], v[190:191], v[30:31], -v[32:33]
	scratch_load_b128 v[30:33], off, off offset:544
	v_add_f64 v[194:195], v[194:195], v[38:39]
	v_add_f64 v[196:197], v[196:197], v[40:41]
	ds_load_b128 v[38:41], v1 offset:1136
	s_waitcnt vmcnt(10) lgkmcnt(1)
	v_mul_f64 v[204:205], v[2:3], v[36:37]
	v_mul_f64 v[36:37], v[4:5], v[36:37]
	s_waitcnt vmcnt(8) lgkmcnt(0)
	v_mul_f64 v[198:199], v[38:39], v[188:189]
	v_add_f64 v[194:195], v[194:195], v[202:203]
	v_add_f64 v[196:197], v[196:197], v[200:201]
	v_mul_f64 v[200:201], v[40:41], v[188:189]
	v_fma_f64 v[202:203], v[4:5], v[34:35], v[204:205]
	v_fma_f64 v[204:205], v[2:3], v[34:35], -v[36:37]
	ds_load_b128 v[2:5], v1 offset:1152
	scratch_load_b128 v[34:37], off, off offset:560
	v_fma_f64 v[198:199], v[40:41], v[186:187], v[198:199]
	v_add_f64 v[194:195], v[194:195], v[190:191]
	v_add_f64 v[192:193], v[196:197], v[192:193]
	ds_load_b128 v[188:191], v1 offset:1168
	v_fma_f64 v[186:187], v[38:39], v[186:187], -v[200:201]
	scratch_load_b128 v[38:41], off, off offset:576
	s_waitcnt vmcnt(9) lgkmcnt(1)
	v_mul_f64 v[196:197], v[2:3], v[44:45]
	v_mul_f64 v[44:45], v[4:5], v[44:45]
	s_waitcnt vmcnt(8) lgkmcnt(0)
	v_mul_f64 v[200:201], v[188:189], v[8:9]
	v_mul_f64 v[8:9], v[190:191], v[8:9]
	v_add_f64 v[194:195], v[194:195], v[204:205]
	v_add_f64 v[192:193], v[192:193], v[202:203]
	v_fma_f64 v[196:197], v[4:5], v[42:43], v[196:197]
	v_fma_f64 v[202:203], v[2:3], v[42:43], -v[44:45]
	ds_load_b128 v[2:5], v1 offset:1184
	scratch_load_b128 v[42:45], off, off offset:592
	v_fma_f64 v[190:191], v[190:191], v[6:7], v[200:201]
	v_fma_f64 v[188:189], v[188:189], v[6:7], -v[8:9]
	scratch_load_b128 v[6:9], off, off offset:608
	v_add_f64 v[186:187], v[194:195], v[186:187]
	v_add_f64 v[198:199], v[192:193], v[198:199]
	ds_load_b128 v[192:195], v1 offset:1200
	s_waitcnt vmcnt(9) lgkmcnt(1)
	v_mul_f64 v[204:205], v[2:3], v[12:13]
	v_mul_f64 v[12:13], v[4:5], v[12:13]
	v_add_f64 v[186:187], v[186:187], v[202:203]
	v_add_f64 v[196:197], v[198:199], v[196:197]
	s_waitcnt vmcnt(8) lgkmcnt(0)
	v_mul_f64 v[198:199], v[192:193], v[16:17]
	v_mul_f64 v[16:17], v[194:195], v[16:17]
	v_fma_f64 v[200:201], v[4:5], v[10:11], v[204:205]
	v_fma_f64 v[202:203], v[2:3], v[10:11], -v[12:13]
	ds_load_b128 v[2:5], v1 offset:1216
	scratch_load_b128 v[10:13], off, off offset:624
	v_add_f64 v[204:205], v[186:187], v[188:189]
	v_add_f64 v[190:191], v[196:197], v[190:191]
	ds_load_b128 v[186:189], v1 offset:1232
	s_waitcnt vmcnt(8) lgkmcnt(1)
	v_mul_f64 v[196:197], v[2:3], v[20:21]
	v_mul_f64 v[20:21], v[4:5], v[20:21]
	v_fma_f64 v[194:195], v[194:195], v[14:15], v[198:199]
	v_fma_f64 v[192:193], v[192:193], v[14:15], -v[16:17]
	scratch_load_b128 v[14:17], off, off offset:640
	v_add_f64 v[198:199], v[204:205], v[202:203]
	v_add_f64 v[190:191], v[190:191], v[200:201]
	s_waitcnt vmcnt(8) lgkmcnt(0)
	v_mul_f64 v[200:201], v[186:187], v[24:25]
	v_mul_f64 v[24:25], v[188:189], v[24:25]
	v_fma_f64 v[196:197], v[4:5], v[18:19], v[196:197]
	v_fma_f64 v[202:203], v[2:3], v[18:19], -v[20:21]
	ds_load_b128 v[2:5], v1 offset:1248
	scratch_load_b128 v[18:21], off, off offset:656
	v_add_f64 v[198:199], v[198:199], v[192:193]
	v_add_f64 v[194:195], v[190:191], v[194:195]
	ds_load_b128 v[190:193], v1 offset:1264
	s_waitcnt vmcnt(8) lgkmcnt(1)
	v_mul_f64 v[204:205], v[2:3], v[28:29]
	v_mul_f64 v[28:29], v[4:5], v[28:29]
	v_fma_f64 v[188:189], v[188:189], v[22:23], v[200:201]
	v_fma_f64 v[186:187], v[186:187], v[22:23], -v[24:25]
	scratch_load_b128 v[22:25], off, off offset:672
	;; [unrolled: 18-line block ×3, first 2 shown]
	v_add_f64 v[196:197], v[198:199], v[202:203]
	v_add_f64 v[194:195], v[194:195], v[200:201]
	s_waitcnt vmcnt(8) lgkmcnt(0)
	v_mul_f64 v[198:199], v[186:187], v[40:41]
	v_mul_f64 v[40:41], v[188:189], v[40:41]
	v_fma_f64 v[200:201], v[4:5], v[34:35], v[204:205]
	v_fma_f64 v[202:203], v[2:3], v[34:35], -v[36:37]
	ds_load_b128 v[2:5], v1 offset:1312
	ds_load_b128 v[34:37], v1 offset:1328
	v_add_f64 v[190:191], v[196:197], v[190:191]
	v_add_f64 v[192:193], v[194:195], v[192:193]
	s_waitcnt vmcnt(7) lgkmcnt(1)
	v_mul_f64 v[194:195], v[2:3], v[44:45]
	v_mul_f64 v[44:45], v[4:5], v[44:45]
	v_fma_f64 v[188:189], v[188:189], v[38:39], v[198:199]
	v_fma_f64 v[38:39], v[186:187], v[38:39], -v[40:41]
	v_add_f64 v[40:41], v[190:191], v[202:203]
	v_add_f64 v[186:187], v[192:193], v[200:201]
	s_waitcnt vmcnt(6) lgkmcnt(0)
	v_mul_f64 v[190:191], v[34:35], v[8:9]
	v_mul_f64 v[8:9], v[36:37], v[8:9]
	v_fma_f64 v[192:193], v[4:5], v[42:43], v[194:195]
	v_fma_f64 v[42:43], v[2:3], v[42:43], -v[44:45]
	v_add_f64 v[44:45], v[40:41], v[38:39]
	v_add_f64 v[186:187], v[186:187], v[188:189]
	ds_load_b128 v[2:5], v1 offset:1344
	ds_load_b128 v[38:41], v1 offset:1360
	v_fma_f64 v[36:37], v[36:37], v[6:7], v[190:191]
	v_fma_f64 v[6:7], v[34:35], v[6:7], -v[8:9]
	s_waitcnt vmcnt(5) lgkmcnt(1)
	v_mul_f64 v[188:189], v[2:3], v[12:13]
	v_mul_f64 v[12:13], v[4:5], v[12:13]
	v_add_f64 v[8:9], v[44:45], v[42:43]
	v_add_f64 v[34:35], v[186:187], v[192:193]
	s_waitcnt vmcnt(4) lgkmcnt(0)
	v_mul_f64 v[42:43], v[38:39], v[16:17]
	v_mul_f64 v[16:17], v[40:41], v[16:17]
	v_fma_f64 v[44:45], v[4:5], v[10:11], v[188:189]
	v_fma_f64 v[10:11], v[2:3], v[10:11], -v[12:13]
	v_add_f64 v[12:13], v[8:9], v[6:7]
	v_add_f64 v[34:35], v[34:35], v[36:37]
	ds_load_b128 v[2:5], v1 offset:1376
	ds_load_b128 v[6:9], v1 offset:1392
	v_fma_f64 v[40:41], v[40:41], v[14:15], v[42:43]
	v_fma_f64 v[14:15], v[38:39], v[14:15], -v[16:17]
	s_waitcnt vmcnt(3) lgkmcnt(1)
	v_mul_f64 v[36:37], v[2:3], v[20:21]
	v_mul_f64 v[20:21], v[4:5], v[20:21]
	s_waitcnt vmcnt(2) lgkmcnt(0)
	v_mul_f64 v[16:17], v[6:7], v[24:25]
	v_mul_f64 v[24:25], v[8:9], v[24:25]
	v_add_f64 v[10:11], v[12:13], v[10:11]
	v_add_f64 v[12:13], v[34:35], v[44:45]
	v_fma_f64 v[34:35], v[4:5], v[18:19], v[36:37]
	v_fma_f64 v[18:19], v[2:3], v[18:19], -v[20:21]
	v_fma_f64 v[8:9], v[8:9], v[22:23], v[16:17]
	v_fma_f64 v[6:7], v[6:7], v[22:23], -v[24:25]
	v_add_f64 v[14:15], v[10:11], v[14:15]
	v_add_f64 v[20:21], v[12:13], v[40:41]
	ds_load_b128 v[2:5], v1 offset:1408
	ds_load_b128 v[10:13], v1 offset:1424
	s_waitcnt vmcnt(1) lgkmcnt(1)
	v_mul_f64 v[36:37], v[2:3], v[28:29]
	v_mul_f64 v[28:29], v[4:5], v[28:29]
	v_add_f64 v[14:15], v[14:15], v[18:19]
	v_add_f64 v[16:17], v[20:21], v[34:35]
	s_waitcnt vmcnt(0) lgkmcnt(0)
	v_mul_f64 v[18:19], v[10:11], v[32:33]
	v_mul_f64 v[20:21], v[12:13], v[32:33]
	v_fma_f64 v[4:5], v[4:5], v[26:27], v[36:37]
	v_fma_f64 v[1:2], v[2:3], v[26:27], -v[28:29]
	v_add_f64 v[6:7], v[14:15], v[6:7]
	v_add_f64 v[8:9], v[16:17], v[8:9]
	v_fma_f64 v[12:13], v[12:13], v[30:31], v[18:19]
	v_fma_f64 v[10:11], v[10:11], v[30:31], -v[20:21]
	s_delay_alu instid0(VALU_DEP_4) | instskip(NEXT) | instid1(VALU_DEP_4)
	v_add_f64 v[1:2], v[6:7], v[1:2]
	v_add_f64 v[3:4], v[8:9], v[4:5]
	s_delay_alu instid0(VALU_DEP_2) | instskip(NEXT) | instid1(VALU_DEP_2)
	v_add_f64 v[1:2], v[1:2], v[10:11]
	v_add_f64 v[3:4], v[3:4], v[12:13]
	s_delay_alu instid0(VALU_DEP_2) | instskip(NEXT) | instid1(VALU_DEP_2)
	v_add_f64 v[1:2], v[182:183], -v[1:2]
	v_add_f64 v[3:4], v[184:185], -v[3:4]
	scratch_store_b128 off, v[1:4], off offset:256
	v_cmpx_lt_u32_e32 15, v136
	s_cbranch_execz .LBB108_253
; %bb.252:
	scratch_load_b128 v[1:4], v166, off
	v_mov_b32_e32 v5, 0
	s_delay_alu instid0(VALU_DEP_1)
	v_mov_b32_e32 v6, v5
	v_mov_b32_e32 v7, v5
	;; [unrolled: 1-line block ×3, first 2 shown]
	scratch_store_b128 off, v[5:8], off offset:240
	s_waitcnt vmcnt(0)
	ds_store_b128 v181, v[1:4]
.LBB108_253:
	s_or_b32 exec_lo, exec_lo, s2
	s_waitcnt lgkmcnt(0)
	s_waitcnt_vscnt null, 0x0
	s_barrier
	buffer_gl0_inv
	s_clause 0x7
	scratch_load_b128 v[2:5], off, off offset:256
	scratch_load_b128 v[6:9], off, off offset:272
	;; [unrolled: 1-line block ×8, first 2 shown]
	v_mov_b32_e32 v1, 0
	s_mov_b32 s2, exec_lo
	ds_load_b128 v[38:41], v1 offset:976
	s_clause 0x1
	scratch_load_b128 v[34:37], off, off offset:384
	scratch_load_b128 v[42:45], off, off offset:240
	ds_load_b128 v[182:185], v1 offset:992
	scratch_load_b128 v[186:189], off, off offset:400
	s_waitcnt vmcnt(10) lgkmcnt(1)
	v_mul_f64 v[190:191], v[40:41], v[4:5]
	v_mul_f64 v[4:5], v[38:39], v[4:5]
	s_delay_alu instid0(VALU_DEP_2) | instskip(NEXT) | instid1(VALU_DEP_2)
	v_fma_f64 v[196:197], v[38:39], v[2:3], -v[190:191]
	v_fma_f64 v[198:199], v[40:41], v[2:3], v[4:5]
	scratch_load_b128 v[38:41], off, off offset:416
	ds_load_b128 v[2:5], v1 offset:1008
	s_waitcnt vmcnt(10) lgkmcnt(1)
	v_mul_f64 v[194:195], v[182:183], v[8:9]
	v_mul_f64 v[8:9], v[184:185], v[8:9]
	ds_load_b128 v[190:193], v1 offset:1024
	s_waitcnt vmcnt(9) lgkmcnt(1)
	v_mul_f64 v[200:201], v[2:3], v[12:13]
	v_mul_f64 v[12:13], v[4:5], v[12:13]
	v_fma_f64 v[184:185], v[184:185], v[6:7], v[194:195]
	v_fma_f64 v[182:183], v[182:183], v[6:7], -v[8:9]
	v_add_f64 v[194:195], v[196:197], 0
	v_add_f64 v[196:197], v[198:199], 0
	scratch_load_b128 v[6:9], off, off offset:432
	v_fma_f64 v[200:201], v[4:5], v[10:11], v[200:201]
	v_fma_f64 v[202:203], v[2:3], v[10:11], -v[12:13]
	scratch_load_b128 v[10:13], off, off offset:448
	ds_load_b128 v[2:5], v1 offset:1040
	s_waitcnt vmcnt(10) lgkmcnt(1)
	v_mul_f64 v[198:199], v[190:191], v[16:17]
	v_mul_f64 v[16:17], v[192:193], v[16:17]
	v_add_f64 v[194:195], v[194:195], v[182:183]
	v_add_f64 v[196:197], v[196:197], v[184:185]
	s_waitcnt vmcnt(9) lgkmcnt(0)
	v_mul_f64 v[204:205], v[2:3], v[20:21]
	v_mul_f64 v[20:21], v[4:5], v[20:21]
	ds_load_b128 v[182:185], v1 offset:1056
	v_fma_f64 v[192:193], v[192:193], v[14:15], v[198:199]
	v_fma_f64 v[190:191], v[190:191], v[14:15], -v[16:17]
	scratch_load_b128 v[14:17], off, off offset:464
	v_add_f64 v[194:195], v[194:195], v[202:203]
	v_add_f64 v[196:197], v[196:197], v[200:201]
	v_fma_f64 v[200:201], v[4:5], v[18:19], v[204:205]
	v_fma_f64 v[202:203], v[2:3], v[18:19], -v[20:21]
	scratch_load_b128 v[18:21], off, off offset:480
	ds_load_b128 v[2:5], v1 offset:1072
	s_waitcnt vmcnt(10) lgkmcnt(1)
	v_mul_f64 v[198:199], v[182:183], v[24:25]
	v_mul_f64 v[24:25], v[184:185], v[24:25]
	s_waitcnt vmcnt(9) lgkmcnt(0)
	v_mul_f64 v[204:205], v[2:3], v[28:29]
	v_mul_f64 v[28:29], v[4:5], v[28:29]
	v_add_f64 v[194:195], v[194:195], v[190:191]
	v_add_f64 v[196:197], v[196:197], v[192:193]
	ds_load_b128 v[190:193], v1 offset:1088
	v_fma_f64 v[184:185], v[184:185], v[22:23], v[198:199]
	v_fma_f64 v[182:183], v[182:183], v[22:23], -v[24:25]
	scratch_load_b128 v[22:25], off, off offset:496
	v_add_f64 v[194:195], v[194:195], v[202:203]
	v_add_f64 v[196:197], v[196:197], v[200:201]
	v_fma_f64 v[200:201], v[4:5], v[26:27], v[204:205]
	v_fma_f64 v[202:203], v[2:3], v[26:27], -v[28:29]
	scratch_load_b128 v[26:29], off, off offset:512
	ds_load_b128 v[2:5], v1 offset:1104
	s_waitcnt vmcnt(10) lgkmcnt(1)
	v_mul_f64 v[198:199], v[190:191], v[32:33]
	v_mul_f64 v[32:33], v[192:193], v[32:33]
	s_waitcnt vmcnt(9) lgkmcnt(0)
	v_mul_f64 v[204:205], v[2:3], v[36:37]
	v_mul_f64 v[36:37], v[4:5], v[36:37]
	v_add_f64 v[194:195], v[194:195], v[182:183]
	v_add_f64 v[196:197], v[196:197], v[184:185]
	ds_load_b128 v[182:185], v1 offset:1120
	v_fma_f64 v[192:193], v[192:193], v[30:31], v[198:199]
	v_fma_f64 v[190:191], v[190:191], v[30:31], -v[32:33]
	scratch_load_b128 v[30:33], off, off offset:528
	v_add_f64 v[194:195], v[194:195], v[202:203]
	v_add_f64 v[196:197], v[196:197], v[200:201]
	v_fma_f64 v[202:203], v[4:5], v[34:35], v[204:205]
	v_fma_f64 v[204:205], v[2:3], v[34:35], -v[36:37]
	scratch_load_b128 v[34:37], off, off offset:544
	ds_load_b128 v[2:5], v1 offset:1136
	s_waitcnt vmcnt(9) lgkmcnt(1)
	v_mul_f64 v[198:199], v[182:183], v[188:189]
	v_mul_f64 v[200:201], v[184:185], v[188:189]
	v_add_f64 v[194:195], v[194:195], v[190:191]
	v_add_f64 v[192:193], v[196:197], v[192:193]
	ds_load_b128 v[188:191], v1 offset:1152
	v_fma_f64 v[198:199], v[184:185], v[186:187], v[198:199]
	v_fma_f64 v[186:187], v[182:183], v[186:187], -v[200:201]
	scratch_load_b128 v[182:185], off, off offset:560
	s_waitcnt vmcnt(9) lgkmcnt(1)
	v_mul_f64 v[196:197], v[2:3], v[40:41]
	v_mul_f64 v[40:41], v[4:5], v[40:41]
	v_add_f64 v[194:195], v[194:195], v[204:205]
	v_add_f64 v[192:193], v[192:193], v[202:203]
	s_delay_alu instid0(VALU_DEP_4) | instskip(NEXT) | instid1(VALU_DEP_4)
	v_fma_f64 v[196:197], v[4:5], v[38:39], v[196:197]
	v_fma_f64 v[202:203], v[2:3], v[38:39], -v[40:41]
	scratch_load_b128 v[38:41], off, off offset:576
	ds_load_b128 v[2:5], v1 offset:1168
	s_waitcnt vmcnt(9) lgkmcnt(1)
	v_mul_f64 v[200:201], v[188:189], v[8:9]
	v_mul_f64 v[8:9], v[190:191], v[8:9]
	s_waitcnt vmcnt(8) lgkmcnt(0)
	v_mul_f64 v[204:205], v[2:3], v[12:13]
	v_mul_f64 v[12:13], v[4:5], v[12:13]
	v_add_f64 v[186:187], v[194:195], v[186:187]
	v_add_f64 v[198:199], v[192:193], v[198:199]
	ds_load_b128 v[192:195], v1 offset:1184
	v_fma_f64 v[190:191], v[190:191], v[6:7], v[200:201]
	v_fma_f64 v[188:189], v[188:189], v[6:7], -v[8:9]
	scratch_load_b128 v[6:9], off, off offset:592
	v_fma_f64 v[200:201], v[4:5], v[10:11], v[204:205]
	v_add_f64 v[186:187], v[186:187], v[202:203]
	v_add_f64 v[196:197], v[198:199], v[196:197]
	v_fma_f64 v[202:203], v[2:3], v[10:11], -v[12:13]
	scratch_load_b128 v[10:13], off, off offset:608
	ds_load_b128 v[2:5], v1 offset:1200
	s_waitcnt vmcnt(9) lgkmcnt(1)
	v_mul_f64 v[198:199], v[192:193], v[16:17]
	v_mul_f64 v[16:17], v[194:195], v[16:17]
	v_add_f64 v[204:205], v[186:187], v[188:189]
	v_add_f64 v[190:191], v[196:197], v[190:191]
	s_waitcnt vmcnt(8) lgkmcnt(0)
	v_mul_f64 v[196:197], v[2:3], v[20:21]
	v_mul_f64 v[20:21], v[4:5], v[20:21]
	ds_load_b128 v[186:189], v1 offset:1216
	v_fma_f64 v[194:195], v[194:195], v[14:15], v[198:199]
	v_fma_f64 v[192:193], v[192:193], v[14:15], -v[16:17]
	scratch_load_b128 v[14:17], off, off offset:624
	v_add_f64 v[198:199], v[204:205], v[202:203]
	v_add_f64 v[190:191], v[190:191], v[200:201]
	v_fma_f64 v[196:197], v[4:5], v[18:19], v[196:197]
	v_fma_f64 v[202:203], v[2:3], v[18:19], -v[20:21]
	scratch_load_b128 v[18:21], off, off offset:640
	ds_load_b128 v[2:5], v1 offset:1232
	s_waitcnt vmcnt(9) lgkmcnt(1)
	v_mul_f64 v[200:201], v[186:187], v[24:25]
	v_mul_f64 v[24:25], v[188:189], v[24:25]
	s_waitcnt vmcnt(8) lgkmcnt(0)
	v_mul_f64 v[204:205], v[2:3], v[28:29]
	v_mul_f64 v[28:29], v[4:5], v[28:29]
	v_add_f64 v[198:199], v[198:199], v[192:193]
	v_add_f64 v[194:195], v[190:191], v[194:195]
	ds_load_b128 v[190:193], v1 offset:1248
	v_fma_f64 v[188:189], v[188:189], v[22:23], v[200:201]
	v_fma_f64 v[186:187], v[186:187], v[22:23], -v[24:25]
	scratch_load_b128 v[22:25], off, off offset:656
	v_fma_f64 v[200:201], v[4:5], v[26:27], v[204:205]
	v_add_f64 v[198:199], v[198:199], v[202:203]
	v_add_f64 v[194:195], v[194:195], v[196:197]
	v_fma_f64 v[202:203], v[2:3], v[26:27], -v[28:29]
	scratch_load_b128 v[26:29], off, off offset:672
	ds_load_b128 v[2:5], v1 offset:1264
	s_waitcnt vmcnt(9) lgkmcnt(1)
	v_mul_f64 v[196:197], v[190:191], v[32:33]
	v_mul_f64 v[32:33], v[192:193], v[32:33]
	s_waitcnt vmcnt(8) lgkmcnt(0)
	v_mul_f64 v[204:205], v[2:3], v[36:37]
	v_mul_f64 v[36:37], v[4:5], v[36:37]
	v_add_f64 v[198:199], v[198:199], v[186:187]
	v_add_f64 v[194:195], v[194:195], v[188:189]
	ds_load_b128 v[186:189], v1 offset:1280
	v_fma_f64 v[192:193], v[192:193], v[30:31], v[196:197]
	v_fma_f64 v[190:191], v[190:191], v[30:31], -v[32:33]
	scratch_load_b128 v[30:33], off, off offset:688
	v_add_f64 v[196:197], v[198:199], v[202:203]
	v_add_f64 v[194:195], v[194:195], v[200:201]
	v_fma_f64 v[200:201], v[4:5], v[34:35], v[204:205]
	v_fma_f64 v[202:203], v[2:3], v[34:35], -v[36:37]
	scratch_load_b128 v[34:37], off, off offset:704
	ds_load_b128 v[2:5], v1 offset:1296
	s_waitcnt vmcnt(9) lgkmcnt(1)
	v_mul_f64 v[198:199], v[186:187], v[184:185]
	v_mul_f64 v[184:185], v[188:189], v[184:185]
	s_waitcnt vmcnt(8) lgkmcnt(0)
	v_mul_f64 v[204:205], v[2:3], v[40:41]
	v_mul_f64 v[40:41], v[4:5], v[40:41]
	v_add_f64 v[196:197], v[196:197], v[190:191]
	v_add_f64 v[194:195], v[194:195], v[192:193]
	ds_load_b128 v[190:193], v1 offset:1312
	v_fma_f64 v[188:189], v[188:189], v[182:183], v[198:199]
	v_fma_f64 v[182:183], v[186:187], v[182:183], -v[184:185]
	v_fma_f64 v[198:199], v[2:3], v[38:39], -v[40:41]
	v_add_f64 v[184:185], v[196:197], v[202:203]
	v_add_f64 v[186:187], v[194:195], v[200:201]
	s_waitcnt vmcnt(7) lgkmcnt(0)
	v_mul_f64 v[194:195], v[190:191], v[8:9]
	v_mul_f64 v[8:9], v[192:193], v[8:9]
	v_fma_f64 v[196:197], v[4:5], v[38:39], v[204:205]
	ds_load_b128 v[2:5], v1 offset:1328
	ds_load_b128 v[38:41], v1 offset:1344
	v_add_f64 v[182:183], v[184:185], v[182:183]
	v_add_f64 v[184:185], v[186:187], v[188:189]
	s_waitcnt vmcnt(6) lgkmcnt(1)
	v_mul_f64 v[186:187], v[2:3], v[12:13]
	v_mul_f64 v[12:13], v[4:5], v[12:13]
	v_fma_f64 v[188:189], v[192:193], v[6:7], v[194:195]
	v_fma_f64 v[6:7], v[190:191], v[6:7], -v[8:9]
	v_add_f64 v[8:9], v[182:183], v[198:199]
	v_add_f64 v[182:183], v[184:185], v[196:197]
	s_waitcnt vmcnt(5) lgkmcnt(0)
	v_mul_f64 v[184:185], v[38:39], v[16:17]
	v_mul_f64 v[16:17], v[40:41], v[16:17]
	v_fma_f64 v[186:187], v[4:5], v[10:11], v[186:187]
	v_fma_f64 v[10:11], v[2:3], v[10:11], -v[12:13]
	v_add_f64 v[12:13], v[8:9], v[6:7]
	v_add_f64 v[182:183], v[182:183], v[188:189]
	ds_load_b128 v[2:5], v1 offset:1360
	ds_load_b128 v[6:9], v1 offset:1376
	v_fma_f64 v[40:41], v[40:41], v[14:15], v[184:185]
	v_fma_f64 v[14:15], v[38:39], v[14:15], -v[16:17]
	s_waitcnt vmcnt(4) lgkmcnt(1)
	v_mul_f64 v[188:189], v[2:3], v[20:21]
	v_mul_f64 v[20:21], v[4:5], v[20:21]
	s_waitcnt vmcnt(3) lgkmcnt(0)
	v_mul_f64 v[16:17], v[6:7], v[24:25]
	v_mul_f64 v[24:25], v[8:9], v[24:25]
	v_add_f64 v[10:11], v[12:13], v[10:11]
	v_add_f64 v[12:13], v[182:183], v[186:187]
	v_fma_f64 v[38:39], v[4:5], v[18:19], v[188:189]
	v_fma_f64 v[18:19], v[2:3], v[18:19], -v[20:21]
	v_fma_f64 v[8:9], v[8:9], v[22:23], v[16:17]
	v_fma_f64 v[6:7], v[6:7], v[22:23], -v[24:25]
	v_add_f64 v[14:15], v[10:11], v[14:15]
	v_add_f64 v[20:21], v[12:13], v[40:41]
	ds_load_b128 v[2:5], v1 offset:1392
	ds_load_b128 v[10:13], v1 offset:1408
	s_waitcnt vmcnt(2) lgkmcnt(1)
	v_mul_f64 v[40:41], v[2:3], v[28:29]
	v_mul_f64 v[28:29], v[4:5], v[28:29]
	v_add_f64 v[14:15], v[14:15], v[18:19]
	v_add_f64 v[16:17], v[20:21], v[38:39]
	s_waitcnt vmcnt(1) lgkmcnt(0)
	v_mul_f64 v[18:19], v[10:11], v[32:33]
	v_mul_f64 v[20:21], v[12:13], v[32:33]
	v_fma_f64 v[22:23], v[4:5], v[26:27], v[40:41]
	v_fma_f64 v[24:25], v[2:3], v[26:27], -v[28:29]
	ds_load_b128 v[2:5], v1 offset:1424
	v_add_f64 v[6:7], v[14:15], v[6:7]
	v_add_f64 v[8:9], v[16:17], v[8:9]
	v_fma_f64 v[12:13], v[12:13], v[30:31], v[18:19]
	v_fma_f64 v[10:11], v[10:11], v[30:31], -v[20:21]
	s_waitcnt vmcnt(0) lgkmcnt(0)
	v_mul_f64 v[14:15], v[2:3], v[36:37]
	v_mul_f64 v[16:17], v[4:5], v[36:37]
	v_add_f64 v[6:7], v[6:7], v[24:25]
	v_add_f64 v[8:9], v[8:9], v[22:23]
	s_delay_alu instid0(VALU_DEP_4) | instskip(NEXT) | instid1(VALU_DEP_4)
	v_fma_f64 v[4:5], v[4:5], v[34:35], v[14:15]
	v_fma_f64 v[2:3], v[2:3], v[34:35], -v[16:17]
	s_delay_alu instid0(VALU_DEP_4) | instskip(NEXT) | instid1(VALU_DEP_4)
	v_add_f64 v[6:7], v[6:7], v[10:11]
	v_add_f64 v[8:9], v[8:9], v[12:13]
	s_delay_alu instid0(VALU_DEP_2) | instskip(NEXT) | instid1(VALU_DEP_2)
	v_add_f64 v[2:3], v[6:7], v[2:3]
	v_add_f64 v[4:5], v[8:9], v[4:5]
	s_delay_alu instid0(VALU_DEP_2) | instskip(NEXT) | instid1(VALU_DEP_2)
	v_add_f64 v[2:3], v[42:43], -v[2:3]
	v_add_f64 v[4:5], v[44:45], -v[4:5]
	scratch_store_b128 off, v[2:5], off offset:240
	v_cmpx_lt_u32_e32 14, v136
	s_cbranch_execz .LBB108_255
; %bb.254:
	scratch_load_b128 v[5:8], v167, off
	v_mov_b32_e32 v2, v1
	v_mov_b32_e32 v3, v1
	;; [unrolled: 1-line block ×3, first 2 shown]
	scratch_store_b128 off, v[1:4], off offset:224
	s_waitcnt vmcnt(0)
	ds_store_b128 v181, v[5:8]
.LBB108_255:
	s_or_b32 exec_lo, exec_lo, s2
	s_waitcnt lgkmcnt(0)
	s_waitcnt_vscnt null, 0x0
	s_barrier
	buffer_gl0_inv
	s_clause 0x8
	scratch_load_b128 v[2:5], off, off offset:240
	scratch_load_b128 v[6:9], off, off offset:256
	;; [unrolled: 1-line block ×9, first 2 shown]
	ds_load_b128 v[42:45], v1 offset:960
	ds_load_b128 v[38:41], v1 offset:976
	s_clause 0x1
	scratch_load_b128 v[182:185], off, off offset:224
	scratch_load_b128 v[186:189], off, off offset:384
	s_mov_b32 s2, exec_lo
	s_waitcnt vmcnt(10) lgkmcnt(1)
	v_mul_f64 v[190:191], v[44:45], v[4:5]
	v_mul_f64 v[4:5], v[42:43], v[4:5]
	s_waitcnt vmcnt(9) lgkmcnt(0)
	v_mul_f64 v[194:195], v[38:39], v[8:9]
	v_mul_f64 v[8:9], v[40:41], v[8:9]
	s_delay_alu instid0(VALU_DEP_4) | instskip(NEXT) | instid1(VALU_DEP_4)
	v_fma_f64 v[196:197], v[42:43], v[2:3], -v[190:191]
	v_fma_f64 v[198:199], v[44:45], v[2:3], v[4:5]
	ds_load_b128 v[2:5], v1 offset:992
	ds_load_b128 v[190:193], v1 offset:1008
	scratch_load_b128 v[42:45], off, off offset:400
	v_fma_f64 v[40:41], v[40:41], v[6:7], v[194:195]
	v_fma_f64 v[38:39], v[38:39], v[6:7], -v[8:9]
	scratch_load_b128 v[6:9], off, off offset:416
	s_waitcnt vmcnt(10) lgkmcnt(1)
	v_mul_f64 v[200:201], v[2:3], v[12:13]
	v_mul_f64 v[12:13], v[4:5], v[12:13]
	v_add_f64 v[194:195], v[196:197], 0
	v_add_f64 v[196:197], v[198:199], 0
	s_waitcnt vmcnt(9) lgkmcnt(0)
	v_mul_f64 v[198:199], v[190:191], v[16:17]
	v_mul_f64 v[16:17], v[192:193], v[16:17]
	v_fma_f64 v[200:201], v[4:5], v[10:11], v[200:201]
	v_fma_f64 v[202:203], v[2:3], v[10:11], -v[12:13]
	ds_load_b128 v[2:5], v1 offset:1024
	scratch_load_b128 v[10:13], off, off offset:432
	v_add_f64 v[194:195], v[194:195], v[38:39]
	v_add_f64 v[196:197], v[196:197], v[40:41]
	ds_load_b128 v[38:41], v1 offset:1040
	v_fma_f64 v[192:193], v[192:193], v[14:15], v[198:199]
	v_fma_f64 v[190:191], v[190:191], v[14:15], -v[16:17]
	scratch_load_b128 v[14:17], off, off offset:448
	s_waitcnt vmcnt(10) lgkmcnt(1)
	v_mul_f64 v[204:205], v[2:3], v[20:21]
	v_mul_f64 v[20:21], v[4:5], v[20:21]
	s_waitcnt vmcnt(9) lgkmcnt(0)
	v_mul_f64 v[198:199], v[38:39], v[24:25]
	v_mul_f64 v[24:25], v[40:41], v[24:25]
	v_add_f64 v[194:195], v[194:195], v[202:203]
	v_add_f64 v[196:197], v[196:197], v[200:201]
	v_fma_f64 v[200:201], v[4:5], v[18:19], v[204:205]
	v_fma_f64 v[202:203], v[2:3], v[18:19], -v[20:21]
	ds_load_b128 v[2:5], v1 offset:1056
	scratch_load_b128 v[18:21], off, off offset:464
	v_fma_f64 v[40:41], v[40:41], v[22:23], v[198:199]
	v_fma_f64 v[38:39], v[38:39], v[22:23], -v[24:25]
	scratch_load_b128 v[22:25], off, off offset:480
	v_add_f64 v[194:195], v[194:195], v[190:191]
	v_add_f64 v[196:197], v[196:197], v[192:193]
	ds_load_b128 v[190:193], v1 offset:1072
	s_waitcnt vmcnt(10) lgkmcnt(1)
	v_mul_f64 v[204:205], v[2:3], v[28:29]
	v_mul_f64 v[28:29], v[4:5], v[28:29]
	s_waitcnt vmcnt(9) lgkmcnt(0)
	v_mul_f64 v[198:199], v[190:191], v[32:33]
	v_mul_f64 v[32:33], v[192:193], v[32:33]
	v_add_f64 v[194:195], v[194:195], v[202:203]
	v_add_f64 v[196:197], v[196:197], v[200:201]
	v_fma_f64 v[200:201], v[4:5], v[26:27], v[204:205]
	v_fma_f64 v[202:203], v[2:3], v[26:27], -v[28:29]
	ds_load_b128 v[2:5], v1 offset:1088
	scratch_load_b128 v[26:29], off, off offset:496
	v_fma_f64 v[192:193], v[192:193], v[30:31], v[198:199]
	v_fma_f64 v[190:191], v[190:191], v[30:31], -v[32:33]
	scratch_load_b128 v[30:33], off, off offset:512
	v_add_f64 v[194:195], v[194:195], v[38:39]
	v_add_f64 v[196:197], v[196:197], v[40:41]
	ds_load_b128 v[38:41], v1 offset:1104
	s_waitcnt vmcnt(10) lgkmcnt(1)
	v_mul_f64 v[204:205], v[2:3], v[36:37]
	v_mul_f64 v[36:37], v[4:5], v[36:37]
	s_waitcnt vmcnt(8) lgkmcnt(0)
	v_mul_f64 v[198:199], v[38:39], v[188:189]
	v_add_f64 v[194:195], v[194:195], v[202:203]
	v_add_f64 v[196:197], v[196:197], v[200:201]
	v_mul_f64 v[200:201], v[40:41], v[188:189]
	v_fma_f64 v[202:203], v[4:5], v[34:35], v[204:205]
	v_fma_f64 v[204:205], v[2:3], v[34:35], -v[36:37]
	ds_load_b128 v[2:5], v1 offset:1120
	scratch_load_b128 v[34:37], off, off offset:528
	v_fma_f64 v[198:199], v[40:41], v[186:187], v[198:199]
	v_add_f64 v[194:195], v[194:195], v[190:191]
	v_add_f64 v[192:193], v[196:197], v[192:193]
	ds_load_b128 v[188:191], v1 offset:1136
	v_fma_f64 v[186:187], v[38:39], v[186:187], -v[200:201]
	scratch_load_b128 v[38:41], off, off offset:544
	s_waitcnt vmcnt(9) lgkmcnt(1)
	v_mul_f64 v[196:197], v[2:3], v[44:45]
	v_mul_f64 v[44:45], v[4:5], v[44:45]
	s_waitcnt vmcnt(8) lgkmcnt(0)
	v_mul_f64 v[200:201], v[188:189], v[8:9]
	v_mul_f64 v[8:9], v[190:191], v[8:9]
	v_add_f64 v[194:195], v[194:195], v[204:205]
	v_add_f64 v[192:193], v[192:193], v[202:203]
	v_fma_f64 v[196:197], v[4:5], v[42:43], v[196:197]
	v_fma_f64 v[202:203], v[2:3], v[42:43], -v[44:45]
	ds_load_b128 v[2:5], v1 offset:1152
	scratch_load_b128 v[42:45], off, off offset:560
	v_fma_f64 v[190:191], v[190:191], v[6:7], v[200:201]
	v_fma_f64 v[188:189], v[188:189], v[6:7], -v[8:9]
	scratch_load_b128 v[6:9], off, off offset:576
	v_add_f64 v[186:187], v[194:195], v[186:187]
	v_add_f64 v[198:199], v[192:193], v[198:199]
	ds_load_b128 v[192:195], v1 offset:1168
	s_waitcnt vmcnt(9) lgkmcnt(1)
	v_mul_f64 v[204:205], v[2:3], v[12:13]
	v_mul_f64 v[12:13], v[4:5], v[12:13]
	v_add_f64 v[186:187], v[186:187], v[202:203]
	v_add_f64 v[196:197], v[198:199], v[196:197]
	s_waitcnt vmcnt(8) lgkmcnt(0)
	v_mul_f64 v[198:199], v[192:193], v[16:17]
	v_mul_f64 v[16:17], v[194:195], v[16:17]
	v_fma_f64 v[200:201], v[4:5], v[10:11], v[204:205]
	v_fma_f64 v[202:203], v[2:3], v[10:11], -v[12:13]
	ds_load_b128 v[2:5], v1 offset:1184
	scratch_load_b128 v[10:13], off, off offset:592
	v_add_f64 v[204:205], v[186:187], v[188:189]
	v_add_f64 v[190:191], v[196:197], v[190:191]
	ds_load_b128 v[186:189], v1 offset:1200
	s_waitcnt vmcnt(8) lgkmcnt(1)
	v_mul_f64 v[196:197], v[2:3], v[20:21]
	v_mul_f64 v[20:21], v[4:5], v[20:21]
	v_fma_f64 v[194:195], v[194:195], v[14:15], v[198:199]
	v_fma_f64 v[192:193], v[192:193], v[14:15], -v[16:17]
	scratch_load_b128 v[14:17], off, off offset:608
	v_add_f64 v[198:199], v[204:205], v[202:203]
	v_add_f64 v[190:191], v[190:191], v[200:201]
	s_waitcnt vmcnt(8) lgkmcnt(0)
	v_mul_f64 v[200:201], v[186:187], v[24:25]
	v_mul_f64 v[24:25], v[188:189], v[24:25]
	v_fma_f64 v[196:197], v[4:5], v[18:19], v[196:197]
	v_fma_f64 v[202:203], v[2:3], v[18:19], -v[20:21]
	ds_load_b128 v[2:5], v1 offset:1216
	scratch_load_b128 v[18:21], off, off offset:624
	v_add_f64 v[198:199], v[198:199], v[192:193]
	v_add_f64 v[194:195], v[190:191], v[194:195]
	ds_load_b128 v[190:193], v1 offset:1232
	s_waitcnt vmcnt(8) lgkmcnt(1)
	v_mul_f64 v[204:205], v[2:3], v[28:29]
	v_mul_f64 v[28:29], v[4:5], v[28:29]
	v_fma_f64 v[188:189], v[188:189], v[22:23], v[200:201]
	v_fma_f64 v[186:187], v[186:187], v[22:23], -v[24:25]
	scratch_load_b128 v[22:25], off, off offset:640
	;; [unrolled: 18-line block ×4, first 2 shown]
	s_waitcnt vmcnt(8) lgkmcnt(0)
	v_mul_f64 v[198:199], v[190:191], v[8:9]
	v_mul_f64 v[8:9], v[192:193], v[8:9]
	v_add_f64 v[196:197], v[196:197], v[202:203]
	v_add_f64 v[194:195], v[194:195], v[200:201]
	v_fma_f64 v[200:201], v[4:5], v[42:43], v[204:205]
	v_fma_f64 v[202:203], v[2:3], v[42:43], -v[44:45]
	ds_load_b128 v[2:5], v1 offset:1312
	ds_load_b128 v[42:45], v1 offset:1328
	v_fma_f64 v[192:193], v[192:193], v[6:7], v[198:199]
	v_fma_f64 v[6:7], v[190:191], v[6:7], -v[8:9]
	v_add_f64 v[186:187], v[196:197], v[186:187]
	v_add_f64 v[188:189], v[194:195], v[188:189]
	s_waitcnt vmcnt(7) lgkmcnt(1)
	v_mul_f64 v[194:195], v[2:3], v[12:13]
	v_mul_f64 v[12:13], v[4:5], v[12:13]
	s_delay_alu instid0(VALU_DEP_4) | instskip(NEXT) | instid1(VALU_DEP_4)
	v_add_f64 v[8:9], v[186:187], v[202:203]
	v_add_f64 v[186:187], v[188:189], v[200:201]
	s_waitcnt vmcnt(6) lgkmcnt(0)
	v_mul_f64 v[188:189], v[42:43], v[16:17]
	v_mul_f64 v[16:17], v[44:45], v[16:17]
	v_fma_f64 v[190:191], v[4:5], v[10:11], v[194:195]
	v_fma_f64 v[10:11], v[2:3], v[10:11], -v[12:13]
	v_add_f64 v[12:13], v[8:9], v[6:7]
	v_add_f64 v[186:187], v[186:187], v[192:193]
	ds_load_b128 v[2:5], v1 offset:1344
	ds_load_b128 v[6:9], v1 offset:1360
	v_fma_f64 v[44:45], v[44:45], v[14:15], v[188:189]
	v_fma_f64 v[14:15], v[42:43], v[14:15], -v[16:17]
	s_waitcnt vmcnt(5) lgkmcnt(1)
	v_mul_f64 v[192:193], v[2:3], v[20:21]
	v_mul_f64 v[20:21], v[4:5], v[20:21]
	s_waitcnt vmcnt(4) lgkmcnt(0)
	v_mul_f64 v[16:17], v[6:7], v[24:25]
	v_mul_f64 v[24:25], v[8:9], v[24:25]
	v_add_f64 v[10:11], v[12:13], v[10:11]
	v_add_f64 v[12:13], v[186:187], v[190:191]
	v_fma_f64 v[42:43], v[4:5], v[18:19], v[192:193]
	v_fma_f64 v[18:19], v[2:3], v[18:19], -v[20:21]
	v_fma_f64 v[8:9], v[8:9], v[22:23], v[16:17]
	v_fma_f64 v[6:7], v[6:7], v[22:23], -v[24:25]
	v_add_f64 v[14:15], v[10:11], v[14:15]
	v_add_f64 v[20:21], v[12:13], v[44:45]
	ds_load_b128 v[2:5], v1 offset:1376
	ds_load_b128 v[10:13], v1 offset:1392
	s_waitcnt vmcnt(3) lgkmcnt(1)
	v_mul_f64 v[44:45], v[2:3], v[28:29]
	v_mul_f64 v[28:29], v[4:5], v[28:29]
	v_add_f64 v[14:15], v[14:15], v[18:19]
	v_add_f64 v[16:17], v[20:21], v[42:43]
	s_waitcnt vmcnt(2) lgkmcnt(0)
	v_mul_f64 v[18:19], v[10:11], v[32:33]
	v_mul_f64 v[20:21], v[12:13], v[32:33]
	v_fma_f64 v[22:23], v[4:5], v[26:27], v[44:45]
	v_fma_f64 v[24:25], v[2:3], v[26:27], -v[28:29]
	v_add_f64 v[14:15], v[14:15], v[6:7]
	v_add_f64 v[16:17], v[16:17], v[8:9]
	ds_load_b128 v[2:5], v1 offset:1408
	ds_load_b128 v[6:9], v1 offset:1424
	v_fma_f64 v[12:13], v[12:13], v[30:31], v[18:19]
	v_fma_f64 v[10:11], v[10:11], v[30:31], -v[20:21]
	s_waitcnt vmcnt(1) lgkmcnt(1)
	v_mul_f64 v[26:27], v[2:3], v[36:37]
	v_mul_f64 v[28:29], v[4:5], v[36:37]
	s_waitcnt vmcnt(0) lgkmcnt(0)
	v_mul_f64 v[18:19], v[6:7], v[40:41]
	v_mul_f64 v[20:21], v[8:9], v[40:41]
	v_add_f64 v[14:15], v[14:15], v[24:25]
	v_add_f64 v[16:17], v[16:17], v[22:23]
	v_fma_f64 v[4:5], v[4:5], v[34:35], v[26:27]
	v_fma_f64 v[1:2], v[2:3], v[34:35], -v[28:29]
	v_fma_f64 v[8:9], v[8:9], v[38:39], v[18:19]
	v_fma_f64 v[6:7], v[6:7], v[38:39], -v[20:21]
	v_add_f64 v[10:11], v[14:15], v[10:11]
	v_add_f64 v[12:13], v[16:17], v[12:13]
	s_delay_alu instid0(VALU_DEP_2) | instskip(NEXT) | instid1(VALU_DEP_2)
	v_add_f64 v[1:2], v[10:11], v[1:2]
	v_add_f64 v[3:4], v[12:13], v[4:5]
	s_delay_alu instid0(VALU_DEP_2) | instskip(NEXT) | instid1(VALU_DEP_2)
	;; [unrolled: 3-line block ×3, first 2 shown]
	v_add_f64 v[1:2], v[182:183], -v[1:2]
	v_add_f64 v[3:4], v[184:185], -v[3:4]
	scratch_store_b128 off, v[1:4], off offset:224
	v_cmpx_lt_u32_e32 13, v136
	s_cbranch_execz .LBB108_257
; %bb.256:
	scratch_load_b128 v[1:4], v168, off
	v_mov_b32_e32 v5, 0
	s_delay_alu instid0(VALU_DEP_1)
	v_mov_b32_e32 v6, v5
	v_mov_b32_e32 v7, v5
	;; [unrolled: 1-line block ×3, first 2 shown]
	scratch_store_b128 off, v[5:8], off offset:208
	s_waitcnt vmcnt(0)
	ds_store_b128 v181, v[1:4]
.LBB108_257:
	s_or_b32 exec_lo, exec_lo, s2
	s_waitcnt lgkmcnt(0)
	s_waitcnt_vscnt null, 0x0
	s_barrier
	buffer_gl0_inv
	s_clause 0x7
	scratch_load_b128 v[2:5], off, off offset:224
	scratch_load_b128 v[6:9], off, off offset:240
	;; [unrolled: 1-line block ×8, first 2 shown]
	v_mov_b32_e32 v1, 0
	s_mov_b32 s2, exec_lo
	ds_load_b128 v[38:41], v1 offset:944
	s_clause 0x1
	scratch_load_b128 v[34:37], off, off offset:352
	scratch_load_b128 v[42:45], off, off offset:208
	ds_load_b128 v[182:185], v1 offset:960
	scratch_load_b128 v[186:189], off, off offset:368
	s_waitcnt vmcnt(10) lgkmcnt(1)
	v_mul_f64 v[190:191], v[40:41], v[4:5]
	v_mul_f64 v[4:5], v[38:39], v[4:5]
	s_delay_alu instid0(VALU_DEP_2) | instskip(NEXT) | instid1(VALU_DEP_2)
	v_fma_f64 v[196:197], v[38:39], v[2:3], -v[190:191]
	v_fma_f64 v[198:199], v[40:41], v[2:3], v[4:5]
	scratch_load_b128 v[38:41], off, off offset:384
	ds_load_b128 v[2:5], v1 offset:976
	s_waitcnt vmcnt(10) lgkmcnt(1)
	v_mul_f64 v[194:195], v[182:183], v[8:9]
	v_mul_f64 v[8:9], v[184:185], v[8:9]
	ds_load_b128 v[190:193], v1 offset:992
	s_waitcnt vmcnt(9) lgkmcnt(1)
	v_mul_f64 v[200:201], v[2:3], v[12:13]
	v_mul_f64 v[12:13], v[4:5], v[12:13]
	v_fma_f64 v[184:185], v[184:185], v[6:7], v[194:195]
	v_fma_f64 v[182:183], v[182:183], v[6:7], -v[8:9]
	v_add_f64 v[194:195], v[196:197], 0
	v_add_f64 v[196:197], v[198:199], 0
	scratch_load_b128 v[6:9], off, off offset:400
	v_fma_f64 v[200:201], v[4:5], v[10:11], v[200:201]
	v_fma_f64 v[202:203], v[2:3], v[10:11], -v[12:13]
	scratch_load_b128 v[10:13], off, off offset:416
	ds_load_b128 v[2:5], v1 offset:1008
	s_waitcnt vmcnt(10) lgkmcnt(1)
	v_mul_f64 v[198:199], v[190:191], v[16:17]
	v_mul_f64 v[16:17], v[192:193], v[16:17]
	v_add_f64 v[194:195], v[194:195], v[182:183]
	v_add_f64 v[196:197], v[196:197], v[184:185]
	s_waitcnt vmcnt(9) lgkmcnt(0)
	v_mul_f64 v[204:205], v[2:3], v[20:21]
	v_mul_f64 v[20:21], v[4:5], v[20:21]
	ds_load_b128 v[182:185], v1 offset:1024
	v_fma_f64 v[192:193], v[192:193], v[14:15], v[198:199]
	v_fma_f64 v[190:191], v[190:191], v[14:15], -v[16:17]
	scratch_load_b128 v[14:17], off, off offset:432
	v_add_f64 v[194:195], v[194:195], v[202:203]
	v_add_f64 v[196:197], v[196:197], v[200:201]
	v_fma_f64 v[200:201], v[4:5], v[18:19], v[204:205]
	v_fma_f64 v[202:203], v[2:3], v[18:19], -v[20:21]
	scratch_load_b128 v[18:21], off, off offset:448
	ds_load_b128 v[2:5], v1 offset:1040
	s_waitcnt vmcnt(10) lgkmcnt(1)
	v_mul_f64 v[198:199], v[182:183], v[24:25]
	v_mul_f64 v[24:25], v[184:185], v[24:25]
	s_waitcnt vmcnt(9) lgkmcnt(0)
	v_mul_f64 v[204:205], v[2:3], v[28:29]
	v_mul_f64 v[28:29], v[4:5], v[28:29]
	v_add_f64 v[194:195], v[194:195], v[190:191]
	v_add_f64 v[196:197], v[196:197], v[192:193]
	ds_load_b128 v[190:193], v1 offset:1056
	v_fma_f64 v[184:185], v[184:185], v[22:23], v[198:199]
	v_fma_f64 v[182:183], v[182:183], v[22:23], -v[24:25]
	scratch_load_b128 v[22:25], off, off offset:464
	v_add_f64 v[194:195], v[194:195], v[202:203]
	v_add_f64 v[196:197], v[196:197], v[200:201]
	v_fma_f64 v[200:201], v[4:5], v[26:27], v[204:205]
	v_fma_f64 v[202:203], v[2:3], v[26:27], -v[28:29]
	scratch_load_b128 v[26:29], off, off offset:480
	ds_load_b128 v[2:5], v1 offset:1072
	s_waitcnt vmcnt(10) lgkmcnt(1)
	v_mul_f64 v[198:199], v[190:191], v[32:33]
	v_mul_f64 v[32:33], v[192:193], v[32:33]
	s_waitcnt vmcnt(9) lgkmcnt(0)
	v_mul_f64 v[204:205], v[2:3], v[36:37]
	v_mul_f64 v[36:37], v[4:5], v[36:37]
	v_add_f64 v[194:195], v[194:195], v[182:183]
	v_add_f64 v[196:197], v[196:197], v[184:185]
	ds_load_b128 v[182:185], v1 offset:1088
	v_fma_f64 v[192:193], v[192:193], v[30:31], v[198:199]
	v_fma_f64 v[190:191], v[190:191], v[30:31], -v[32:33]
	scratch_load_b128 v[30:33], off, off offset:496
	v_add_f64 v[194:195], v[194:195], v[202:203]
	v_add_f64 v[196:197], v[196:197], v[200:201]
	v_fma_f64 v[202:203], v[4:5], v[34:35], v[204:205]
	v_fma_f64 v[204:205], v[2:3], v[34:35], -v[36:37]
	scratch_load_b128 v[34:37], off, off offset:512
	ds_load_b128 v[2:5], v1 offset:1104
	s_waitcnt vmcnt(9) lgkmcnt(1)
	v_mul_f64 v[198:199], v[182:183], v[188:189]
	v_mul_f64 v[200:201], v[184:185], v[188:189]
	v_add_f64 v[194:195], v[194:195], v[190:191]
	v_add_f64 v[192:193], v[196:197], v[192:193]
	ds_load_b128 v[188:191], v1 offset:1120
	v_fma_f64 v[198:199], v[184:185], v[186:187], v[198:199]
	v_fma_f64 v[186:187], v[182:183], v[186:187], -v[200:201]
	scratch_load_b128 v[182:185], off, off offset:528
	s_waitcnt vmcnt(9) lgkmcnt(1)
	v_mul_f64 v[196:197], v[2:3], v[40:41]
	v_mul_f64 v[40:41], v[4:5], v[40:41]
	v_add_f64 v[194:195], v[194:195], v[204:205]
	v_add_f64 v[192:193], v[192:193], v[202:203]
	s_delay_alu instid0(VALU_DEP_4) | instskip(NEXT) | instid1(VALU_DEP_4)
	v_fma_f64 v[196:197], v[4:5], v[38:39], v[196:197]
	v_fma_f64 v[202:203], v[2:3], v[38:39], -v[40:41]
	scratch_load_b128 v[38:41], off, off offset:544
	ds_load_b128 v[2:5], v1 offset:1136
	s_waitcnt vmcnt(9) lgkmcnt(1)
	v_mul_f64 v[200:201], v[188:189], v[8:9]
	v_mul_f64 v[8:9], v[190:191], v[8:9]
	s_waitcnt vmcnt(8) lgkmcnt(0)
	v_mul_f64 v[204:205], v[2:3], v[12:13]
	v_mul_f64 v[12:13], v[4:5], v[12:13]
	v_add_f64 v[186:187], v[194:195], v[186:187]
	v_add_f64 v[198:199], v[192:193], v[198:199]
	ds_load_b128 v[192:195], v1 offset:1152
	v_fma_f64 v[190:191], v[190:191], v[6:7], v[200:201]
	v_fma_f64 v[188:189], v[188:189], v[6:7], -v[8:9]
	scratch_load_b128 v[6:9], off, off offset:560
	v_fma_f64 v[200:201], v[4:5], v[10:11], v[204:205]
	v_add_f64 v[186:187], v[186:187], v[202:203]
	v_add_f64 v[196:197], v[198:199], v[196:197]
	v_fma_f64 v[202:203], v[2:3], v[10:11], -v[12:13]
	scratch_load_b128 v[10:13], off, off offset:576
	ds_load_b128 v[2:5], v1 offset:1168
	s_waitcnt vmcnt(9) lgkmcnt(1)
	v_mul_f64 v[198:199], v[192:193], v[16:17]
	v_mul_f64 v[16:17], v[194:195], v[16:17]
	v_add_f64 v[204:205], v[186:187], v[188:189]
	v_add_f64 v[190:191], v[196:197], v[190:191]
	s_waitcnt vmcnt(8) lgkmcnt(0)
	v_mul_f64 v[196:197], v[2:3], v[20:21]
	v_mul_f64 v[20:21], v[4:5], v[20:21]
	ds_load_b128 v[186:189], v1 offset:1184
	v_fma_f64 v[194:195], v[194:195], v[14:15], v[198:199]
	v_fma_f64 v[192:193], v[192:193], v[14:15], -v[16:17]
	scratch_load_b128 v[14:17], off, off offset:592
	v_add_f64 v[198:199], v[204:205], v[202:203]
	v_add_f64 v[190:191], v[190:191], v[200:201]
	v_fma_f64 v[196:197], v[4:5], v[18:19], v[196:197]
	v_fma_f64 v[202:203], v[2:3], v[18:19], -v[20:21]
	scratch_load_b128 v[18:21], off, off offset:608
	ds_load_b128 v[2:5], v1 offset:1200
	s_waitcnt vmcnt(9) lgkmcnt(1)
	v_mul_f64 v[200:201], v[186:187], v[24:25]
	v_mul_f64 v[24:25], v[188:189], v[24:25]
	s_waitcnt vmcnt(8) lgkmcnt(0)
	v_mul_f64 v[204:205], v[2:3], v[28:29]
	v_mul_f64 v[28:29], v[4:5], v[28:29]
	v_add_f64 v[198:199], v[198:199], v[192:193]
	v_add_f64 v[194:195], v[190:191], v[194:195]
	ds_load_b128 v[190:193], v1 offset:1216
	v_fma_f64 v[188:189], v[188:189], v[22:23], v[200:201]
	v_fma_f64 v[186:187], v[186:187], v[22:23], -v[24:25]
	scratch_load_b128 v[22:25], off, off offset:624
	v_fma_f64 v[200:201], v[4:5], v[26:27], v[204:205]
	v_add_f64 v[198:199], v[198:199], v[202:203]
	v_add_f64 v[194:195], v[194:195], v[196:197]
	v_fma_f64 v[202:203], v[2:3], v[26:27], -v[28:29]
	scratch_load_b128 v[26:29], off, off offset:640
	ds_load_b128 v[2:5], v1 offset:1232
	s_waitcnt vmcnt(9) lgkmcnt(1)
	v_mul_f64 v[196:197], v[190:191], v[32:33]
	v_mul_f64 v[32:33], v[192:193], v[32:33]
	s_waitcnt vmcnt(8) lgkmcnt(0)
	v_mul_f64 v[204:205], v[2:3], v[36:37]
	v_mul_f64 v[36:37], v[4:5], v[36:37]
	v_add_f64 v[198:199], v[198:199], v[186:187]
	v_add_f64 v[194:195], v[194:195], v[188:189]
	ds_load_b128 v[186:189], v1 offset:1248
	v_fma_f64 v[192:193], v[192:193], v[30:31], v[196:197]
	v_fma_f64 v[190:191], v[190:191], v[30:31], -v[32:33]
	scratch_load_b128 v[30:33], off, off offset:656
	v_add_f64 v[196:197], v[198:199], v[202:203]
	v_add_f64 v[194:195], v[194:195], v[200:201]
	v_fma_f64 v[200:201], v[4:5], v[34:35], v[204:205]
	v_fma_f64 v[202:203], v[2:3], v[34:35], -v[36:37]
	scratch_load_b128 v[34:37], off, off offset:672
	ds_load_b128 v[2:5], v1 offset:1264
	s_waitcnt vmcnt(9) lgkmcnt(1)
	v_mul_f64 v[198:199], v[186:187], v[184:185]
	v_mul_f64 v[184:185], v[188:189], v[184:185]
	s_waitcnt vmcnt(8) lgkmcnt(0)
	v_mul_f64 v[204:205], v[2:3], v[40:41]
	v_mul_f64 v[40:41], v[4:5], v[40:41]
	v_add_f64 v[196:197], v[196:197], v[190:191]
	v_add_f64 v[194:195], v[194:195], v[192:193]
	ds_load_b128 v[190:193], v1 offset:1280
	v_fma_f64 v[188:189], v[188:189], v[182:183], v[198:199]
	v_fma_f64 v[186:187], v[186:187], v[182:183], -v[184:185]
	scratch_load_b128 v[182:185], off, off offset:688
	v_add_f64 v[196:197], v[196:197], v[202:203]
	v_add_f64 v[194:195], v[194:195], v[200:201]
	v_fma_f64 v[200:201], v[4:5], v[38:39], v[204:205]
	v_fma_f64 v[202:203], v[2:3], v[38:39], -v[40:41]
	scratch_load_b128 v[38:41], off, off offset:704
	ds_load_b128 v[2:5], v1 offset:1296
	s_waitcnt vmcnt(9) lgkmcnt(1)
	v_mul_f64 v[198:199], v[190:191], v[8:9]
	v_mul_f64 v[8:9], v[192:193], v[8:9]
	s_waitcnt vmcnt(8) lgkmcnt(0)
	v_mul_f64 v[204:205], v[2:3], v[12:13]
	v_mul_f64 v[12:13], v[4:5], v[12:13]
	v_add_f64 v[196:197], v[196:197], v[186:187]
	v_add_f64 v[194:195], v[194:195], v[188:189]
	ds_load_b128 v[186:189], v1 offset:1312
	v_fma_f64 v[192:193], v[192:193], v[6:7], v[198:199]
	v_fma_f64 v[6:7], v[190:191], v[6:7], -v[8:9]
	v_add_f64 v[8:9], v[196:197], v[202:203]
	v_add_f64 v[190:191], v[194:195], v[200:201]
	s_waitcnt vmcnt(7) lgkmcnt(0)
	v_mul_f64 v[194:195], v[186:187], v[16:17]
	v_mul_f64 v[16:17], v[188:189], v[16:17]
	v_fma_f64 v[196:197], v[4:5], v[10:11], v[204:205]
	v_fma_f64 v[10:11], v[2:3], v[10:11], -v[12:13]
	v_add_f64 v[12:13], v[8:9], v[6:7]
	v_add_f64 v[190:191], v[190:191], v[192:193]
	ds_load_b128 v[2:5], v1 offset:1328
	ds_load_b128 v[6:9], v1 offset:1344
	v_fma_f64 v[188:189], v[188:189], v[14:15], v[194:195]
	v_fma_f64 v[14:15], v[186:187], v[14:15], -v[16:17]
	s_waitcnt vmcnt(6) lgkmcnt(1)
	v_mul_f64 v[192:193], v[2:3], v[20:21]
	v_mul_f64 v[20:21], v[4:5], v[20:21]
	s_waitcnt vmcnt(5) lgkmcnt(0)
	v_mul_f64 v[16:17], v[6:7], v[24:25]
	v_mul_f64 v[24:25], v[8:9], v[24:25]
	v_add_f64 v[10:11], v[12:13], v[10:11]
	v_add_f64 v[12:13], v[190:191], v[196:197]
	v_fma_f64 v[186:187], v[4:5], v[18:19], v[192:193]
	v_fma_f64 v[18:19], v[2:3], v[18:19], -v[20:21]
	v_fma_f64 v[8:9], v[8:9], v[22:23], v[16:17]
	v_fma_f64 v[6:7], v[6:7], v[22:23], -v[24:25]
	v_add_f64 v[14:15], v[10:11], v[14:15]
	v_add_f64 v[20:21], v[12:13], v[188:189]
	ds_load_b128 v[2:5], v1 offset:1360
	ds_load_b128 v[10:13], v1 offset:1376
	s_waitcnt vmcnt(4) lgkmcnt(1)
	v_mul_f64 v[188:189], v[2:3], v[28:29]
	v_mul_f64 v[28:29], v[4:5], v[28:29]
	v_add_f64 v[14:15], v[14:15], v[18:19]
	v_add_f64 v[16:17], v[20:21], v[186:187]
	s_waitcnt vmcnt(3) lgkmcnt(0)
	v_mul_f64 v[18:19], v[10:11], v[32:33]
	v_mul_f64 v[20:21], v[12:13], v[32:33]
	v_fma_f64 v[22:23], v[4:5], v[26:27], v[188:189]
	v_fma_f64 v[24:25], v[2:3], v[26:27], -v[28:29]
	v_add_f64 v[14:15], v[14:15], v[6:7]
	v_add_f64 v[16:17], v[16:17], v[8:9]
	ds_load_b128 v[2:5], v1 offset:1392
	ds_load_b128 v[6:9], v1 offset:1408
	v_fma_f64 v[12:13], v[12:13], v[30:31], v[18:19]
	v_fma_f64 v[10:11], v[10:11], v[30:31], -v[20:21]
	s_waitcnt vmcnt(2) lgkmcnt(1)
	v_mul_f64 v[26:27], v[2:3], v[36:37]
	v_mul_f64 v[28:29], v[4:5], v[36:37]
	s_waitcnt vmcnt(1) lgkmcnt(0)
	v_mul_f64 v[18:19], v[6:7], v[184:185]
	v_mul_f64 v[20:21], v[8:9], v[184:185]
	v_add_f64 v[14:15], v[14:15], v[24:25]
	v_add_f64 v[16:17], v[16:17], v[22:23]
	v_fma_f64 v[22:23], v[4:5], v[34:35], v[26:27]
	v_fma_f64 v[24:25], v[2:3], v[34:35], -v[28:29]
	ds_load_b128 v[2:5], v1 offset:1424
	v_fma_f64 v[8:9], v[8:9], v[182:183], v[18:19]
	v_fma_f64 v[6:7], v[6:7], v[182:183], -v[20:21]
	v_add_f64 v[10:11], v[14:15], v[10:11]
	v_add_f64 v[12:13], v[16:17], v[12:13]
	s_waitcnt vmcnt(0) lgkmcnt(0)
	v_mul_f64 v[14:15], v[2:3], v[40:41]
	v_mul_f64 v[16:17], v[4:5], v[40:41]
	s_delay_alu instid0(VALU_DEP_4) | instskip(NEXT) | instid1(VALU_DEP_4)
	v_add_f64 v[10:11], v[10:11], v[24:25]
	v_add_f64 v[12:13], v[12:13], v[22:23]
	s_delay_alu instid0(VALU_DEP_4) | instskip(NEXT) | instid1(VALU_DEP_4)
	v_fma_f64 v[4:5], v[4:5], v[38:39], v[14:15]
	v_fma_f64 v[2:3], v[2:3], v[38:39], -v[16:17]
	s_delay_alu instid0(VALU_DEP_4) | instskip(NEXT) | instid1(VALU_DEP_4)
	v_add_f64 v[6:7], v[10:11], v[6:7]
	v_add_f64 v[8:9], v[12:13], v[8:9]
	s_delay_alu instid0(VALU_DEP_2) | instskip(NEXT) | instid1(VALU_DEP_2)
	v_add_f64 v[2:3], v[6:7], v[2:3]
	v_add_f64 v[4:5], v[8:9], v[4:5]
	s_delay_alu instid0(VALU_DEP_2) | instskip(NEXT) | instid1(VALU_DEP_2)
	v_add_f64 v[2:3], v[42:43], -v[2:3]
	v_add_f64 v[4:5], v[44:45], -v[4:5]
	scratch_store_b128 off, v[2:5], off offset:208
	v_cmpx_lt_u32_e32 12, v136
	s_cbranch_execz .LBB108_259
; %bb.258:
	scratch_load_b128 v[5:8], v169, off
	v_mov_b32_e32 v2, v1
	v_mov_b32_e32 v3, v1
	;; [unrolled: 1-line block ×3, first 2 shown]
	scratch_store_b128 off, v[1:4], off offset:192
	s_waitcnt vmcnt(0)
	ds_store_b128 v181, v[5:8]
.LBB108_259:
	s_or_b32 exec_lo, exec_lo, s2
	s_waitcnt lgkmcnt(0)
	s_waitcnt_vscnt null, 0x0
	s_barrier
	buffer_gl0_inv
	s_clause 0x8
	scratch_load_b128 v[2:5], off, off offset:208
	scratch_load_b128 v[6:9], off, off offset:224
	;; [unrolled: 1-line block ×9, first 2 shown]
	ds_load_b128 v[42:45], v1 offset:928
	ds_load_b128 v[38:41], v1 offset:944
	s_clause 0x1
	scratch_load_b128 v[182:185], off, off offset:192
	scratch_load_b128 v[186:189], off, off offset:352
	s_mov_b32 s2, exec_lo
	s_waitcnt vmcnt(10) lgkmcnt(1)
	v_mul_f64 v[190:191], v[44:45], v[4:5]
	v_mul_f64 v[4:5], v[42:43], v[4:5]
	s_waitcnt vmcnt(9) lgkmcnt(0)
	v_mul_f64 v[194:195], v[38:39], v[8:9]
	v_mul_f64 v[8:9], v[40:41], v[8:9]
	s_delay_alu instid0(VALU_DEP_4) | instskip(NEXT) | instid1(VALU_DEP_4)
	v_fma_f64 v[196:197], v[42:43], v[2:3], -v[190:191]
	v_fma_f64 v[198:199], v[44:45], v[2:3], v[4:5]
	ds_load_b128 v[2:5], v1 offset:960
	ds_load_b128 v[190:193], v1 offset:976
	scratch_load_b128 v[42:45], off, off offset:368
	v_fma_f64 v[40:41], v[40:41], v[6:7], v[194:195]
	v_fma_f64 v[38:39], v[38:39], v[6:7], -v[8:9]
	scratch_load_b128 v[6:9], off, off offset:384
	s_waitcnt vmcnt(10) lgkmcnt(1)
	v_mul_f64 v[200:201], v[2:3], v[12:13]
	v_mul_f64 v[12:13], v[4:5], v[12:13]
	v_add_f64 v[194:195], v[196:197], 0
	v_add_f64 v[196:197], v[198:199], 0
	s_waitcnt vmcnt(9) lgkmcnt(0)
	v_mul_f64 v[198:199], v[190:191], v[16:17]
	v_mul_f64 v[16:17], v[192:193], v[16:17]
	v_fma_f64 v[200:201], v[4:5], v[10:11], v[200:201]
	v_fma_f64 v[202:203], v[2:3], v[10:11], -v[12:13]
	ds_load_b128 v[2:5], v1 offset:992
	scratch_load_b128 v[10:13], off, off offset:400
	v_add_f64 v[194:195], v[194:195], v[38:39]
	v_add_f64 v[196:197], v[196:197], v[40:41]
	ds_load_b128 v[38:41], v1 offset:1008
	v_fma_f64 v[192:193], v[192:193], v[14:15], v[198:199]
	v_fma_f64 v[190:191], v[190:191], v[14:15], -v[16:17]
	scratch_load_b128 v[14:17], off, off offset:416
	s_waitcnt vmcnt(10) lgkmcnt(1)
	v_mul_f64 v[204:205], v[2:3], v[20:21]
	v_mul_f64 v[20:21], v[4:5], v[20:21]
	s_waitcnt vmcnt(9) lgkmcnt(0)
	v_mul_f64 v[198:199], v[38:39], v[24:25]
	v_mul_f64 v[24:25], v[40:41], v[24:25]
	v_add_f64 v[194:195], v[194:195], v[202:203]
	v_add_f64 v[196:197], v[196:197], v[200:201]
	v_fma_f64 v[200:201], v[4:5], v[18:19], v[204:205]
	v_fma_f64 v[202:203], v[2:3], v[18:19], -v[20:21]
	ds_load_b128 v[2:5], v1 offset:1024
	scratch_load_b128 v[18:21], off, off offset:432
	v_fma_f64 v[40:41], v[40:41], v[22:23], v[198:199]
	v_fma_f64 v[38:39], v[38:39], v[22:23], -v[24:25]
	scratch_load_b128 v[22:25], off, off offset:448
	v_add_f64 v[194:195], v[194:195], v[190:191]
	v_add_f64 v[196:197], v[196:197], v[192:193]
	ds_load_b128 v[190:193], v1 offset:1040
	s_waitcnt vmcnt(10) lgkmcnt(1)
	v_mul_f64 v[204:205], v[2:3], v[28:29]
	v_mul_f64 v[28:29], v[4:5], v[28:29]
	s_waitcnt vmcnt(9) lgkmcnt(0)
	v_mul_f64 v[198:199], v[190:191], v[32:33]
	v_mul_f64 v[32:33], v[192:193], v[32:33]
	v_add_f64 v[194:195], v[194:195], v[202:203]
	v_add_f64 v[196:197], v[196:197], v[200:201]
	v_fma_f64 v[200:201], v[4:5], v[26:27], v[204:205]
	v_fma_f64 v[202:203], v[2:3], v[26:27], -v[28:29]
	ds_load_b128 v[2:5], v1 offset:1056
	scratch_load_b128 v[26:29], off, off offset:464
	v_fma_f64 v[192:193], v[192:193], v[30:31], v[198:199]
	v_fma_f64 v[190:191], v[190:191], v[30:31], -v[32:33]
	scratch_load_b128 v[30:33], off, off offset:480
	v_add_f64 v[194:195], v[194:195], v[38:39]
	v_add_f64 v[196:197], v[196:197], v[40:41]
	ds_load_b128 v[38:41], v1 offset:1072
	s_waitcnt vmcnt(10) lgkmcnt(1)
	v_mul_f64 v[204:205], v[2:3], v[36:37]
	v_mul_f64 v[36:37], v[4:5], v[36:37]
	s_waitcnt vmcnt(8) lgkmcnt(0)
	v_mul_f64 v[198:199], v[38:39], v[188:189]
	v_add_f64 v[194:195], v[194:195], v[202:203]
	v_add_f64 v[196:197], v[196:197], v[200:201]
	v_mul_f64 v[200:201], v[40:41], v[188:189]
	v_fma_f64 v[202:203], v[4:5], v[34:35], v[204:205]
	v_fma_f64 v[204:205], v[2:3], v[34:35], -v[36:37]
	ds_load_b128 v[2:5], v1 offset:1088
	scratch_load_b128 v[34:37], off, off offset:496
	v_fma_f64 v[198:199], v[40:41], v[186:187], v[198:199]
	v_add_f64 v[194:195], v[194:195], v[190:191]
	v_add_f64 v[192:193], v[196:197], v[192:193]
	ds_load_b128 v[188:191], v1 offset:1104
	v_fma_f64 v[186:187], v[38:39], v[186:187], -v[200:201]
	scratch_load_b128 v[38:41], off, off offset:512
	s_waitcnt vmcnt(9) lgkmcnt(1)
	v_mul_f64 v[196:197], v[2:3], v[44:45]
	v_mul_f64 v[44:45], v[4:5], v[44:45]
	s_waitcnt vmcnt(8) lgkmcnt(0)
	v_mul_f64 v[200:201], v[188:189], v[8:9]
	v_mul_f64 v[8:9], v[190:191], v[8:9]
	v_add_f64 v[194:195], v[194:195], v[204:205]
	v_add_f64 v[192:193], v[192:193], v[202:203]
	v_fma_f64 v[196:197], v[4:5], v[42:43], v[196:197]
	v_fma_f64 v[202:203], v[2:3], v[42:43], -v[44:45]
	ds_load_b128 v[2:5], v1 offset:1120
	scratch_load_b128 v[42:45], off, off offset:528
	v_fma_f64 v[190:191], v[190:191], v[6:7], v[200:201]
	v_fma_f64 v[188:189], v[188:189], v[6:7], -v[8:9]
	scratch_load_b128 v[6:9], off, off offset:544
	v_add_f64 v[186:187], v[194:195], v[186:187]
	v_add_f64 v[198:199], v[192:193], v[198:199]
	ds_load_b128 v[192:195], v1 offset:1136
	s_waitcnt vmcnt(9) lgkmcnt(1)
	v_mul_f64 v[204:205], v[2:3], v[12:13]
	v_mul_f64 v[12:13], v[4:5], v[12:13]
	v_add_f64 v[186:187], v[186:187], v[202:203]
	v_add_f64 v[196:197], v[198:199], v[196:197]
	s_waitcnt vmcnt(8) lgkmcnt(0)
	v_mul_f64 v[198:199], v[192:193], v[16:17]
	v_mul_f64 v[16:17], v[194:195], v[16:17]
	v_fma_f64 v[200:201], v[4:5], v[10:11], v[204:205]
	v_fma_f64 v[202:203], v[2:3], v[10:11], -v[12:13]
	ds_load_b128 v[2:5], v1 offset:1152
	scratch_load_b128 v[10:13], off, off offset:560
	v_add_f64 v[204:205], v[186:187], v[188:189]
	v_add_f64 v[190:191], v[196:197], v[190:191]
	ds_load_b128 v[186:189], v1 offset:1168
	s_waitcnt vmcnt(8) lgkmcnt(1)
	v_mul_f64 v[196:197], v[2:3], v[20:21]
	v_mul_f64 v[20:21], v[4:5], v[20:21]
	v_fma_f64 v[194:195], v[194:195], v[14:15], v[198:199]
	v_fma_f64 v[192:193], v[192:193], v[14:15], -v[16:17]
	scratch_load_b128 v[14:17], off, off offset:576
	v_add_f64 v[198:199], v[204:205], v[202:203]
	v_add_f64 v[190:191], v[190:191], v[200:201]
	s_waitcnt vmcnt(8) lgkmcnt(0)
	v_mul_f64 v[200:201], v[186:187], v[24:25]
	v_mul_f64 v[24:25], v[188:189], v[24:25]
	v_fma_f64 v[196:197], v[4:5], v[18:19], v[196:197]
	v_fma_f64 v[202:203], v[2:3], v[18:19], -v[20:21]
	ds_load_b128 v[2:5], v1 offset:1184
	scratch_load_b128 v[18:21], off, off offset:592
	v_add_f64 v[198:199], v[198:199], v[192:193]
	v_add_f64 v[194:195], v[190:191], v[194:195]
	ds_load_b128 v[190:193], v1 offset:1200
	s_waitcnt vmcnt(8) lgkmcnt(1)
	v_mul_f64 v[204:205], v[2:3], v[28:29]
	v_mul_f64 v[28:29], v[4:5], v[28:29]
	v_fma_f64 v[188:189], v[188:189], v[22:23], v[200:201]
	v_fma_f64 v[186:187], v[186:187], v[22:23], -v[24:25]
	scratch_load_b128 v[22:25], off, off offset:608
	;; [unrolled: 18-line block ×4, first 2 shown]
	s_waitcnt vmcnt(8) lgkmcnt(0)
	v_mul_f64 v[198:199], v[190:191], v[8:9]
	v_mul_f64 v[8:9], v[192:193], v[8:9]
	v_add_f64 v[196:197], v[196:197], v[202:203]
	v_add_f64 v[194:195], v[194:195], v[200:201]
	v_fma_f64 v[200:201], v[4:5], v[42:43], v[204:205]
	v_fma_f64 v[202:203], v[2:3], v[42:43], -v[44:45]
	ds_load_b128 v[2:5], v1 offset:1280
	scratch_load_b128 v[42:45], off, off offset:688
	v_fma_f64 v[192:193], v[192:193], v[6:7], v[198:199]
	v_fma_f64 v[190:191], v[190:191], v[6:7], -v[8:9]
	scratch_load_b128 v[6:9], off, off offset:704
	v_add_f64 v[196:197], v[196:197], v[186:187]
	v_add_f64 v[194:195], v[194:195], v[188:189]
	ds_load_b128 v[186:189], v1 offset:1296
	s_waitcnt vmcnt(9) lgkmcnt(1)
	v_mul_f64 v[204:205], v[2:3], v[12:13]
	v_mul_f64 v[12:13], v[4:5], v[12:13]
	s_waitcnt vmcnt(8) lgkmcnt(0)
	v_mul_f64 v[198:199], v[186:187], v[16:17]
	v_mul_f64 v[16:17], v[188:189], v[16:17]
	v_add_f64 v[196:197], v[196:197], v[202:203]
	v_add_f64 v[194:195], v[194:195], v[200:201]
	v_fma_f64 v[200:201], v[4:5], v[10:11], v[204:205]
	v_fma_f64 v[202:203], v[2:3], v[10:11], -v[12:13]
	ds_load_b128 v[2:5], v1 offset:1312
	ds_load_b128 v[10:13], v1 offset:1328
	v_fma_f64 v[188:189], v[188:189], v[14:15], v[198:199]
	v_fma_f64 v[14:15], v[186:187], v[14:15], -v[16:17]
	v_add_f64 v[190:191], v[196:197], v[190:191]
	v_add_f64 v[192:193], v[194:195], v[192:193]
	s_waitcnt vmcnt(7) lgkmcnt(1)
	v_mul_f64 v[194:195], v[2:3], v[20:21]
	v_mul_f64 v[20:21], v[4:5], v[20:21]
	s_delay_alu instid0(VALU_DEP_4) | instskip(NEXT) | instid1(VALU_DEP_4)
	v_add_f64 v[16:17], v[190:191], v[202:203]
	v_add_f64 v[186:187], v[192:193], v[200:201]
	s_waitcnt vmcnt(6) lgkmcnt(0)
	v_mul_f64 v[190:191], v[10:11], v[24:25]
	v_mul_f64 v[24:25], v[12:13], v[24:25]
	v_fma_f64 v[192:193], v[4:5], v[18:19], v[194:195]
	v_fma_f64 v[18:19], v[2:3], v[18:19], -v[20:21]
	v_add_f64 v[20:21], v[16:17], v[14:15]
	v_add_f64 v[186:187], v[186:187], v[188:189]
	ds_load_b128 v[2:5], v1 offset:1344
	ds_load_b128 v[14:17], v1 offset:1360
	v_fma_f64 v[12:13], v[12:13], v[22:23], v[190:191]
	v_fma_f64 v[10:11], v[10:11], v[22:23], -v[24:25]
	s_waitcnt vmcnt(5) lgkmcnt(1)
	v_mul_f64 v[188:189], v[2:3], v[28:29]
	v_mul_f64 v[28:29], v[4:5], v[28:29]
	s_waitcnt vmcnt(4) lgkmcnt(0)
	v_mul_f64 v[22:23], v[14:15], v[32:33]
	v_mul_f64 v[24:25], v[16:17], v[32:33]
	v_add_f64 v[18:19], v[20:21], v[18:19]
	v_add_f64 v[20:21], v[186:187], v[192:193]
	v_fma_f64 v[32:33], v[4:5], v[26:27], v[188:189]
	v_fma_f64 v[26:27], v[2:3], v[26:27], -v[28:29]
	v_fma_f64 v[16:17], v[16:17], v[30:31], v[22:23]
	v_fma_f64 v[14:15], v[14:15], v[30:31], -v[24:25]
	v_add_f64 v[18:19], v[18:19], v[10:11]
	v_add_f64 v[20:21], v[20:21], v[12:13]
	ds_load_b128 v[2:5], v1 offset:1376
	ds_load_b128 v[10:13], v1 offset:1392
	s_waitcnt vmcnt(3) lgkmcnt(1)
	v_mul_f64 v[28:29], v[2:3], v[36:37]
	v_mul_f64 v[36:37], v[4:5], v[36:37]
	s_waitcnt vmcnt(2) lgkmcnt(0)
	v_mul_f64 v[22:23], v[10:11], v[40:41]
	v_mul_f64 v[24:25], v[12:13], v[40:41]
	v_add_f64 v[18:19], v[18:19], v[26:27]
	v_add_f64 v[20:21], v[20:21], v[32:33]
	v_fma_f64 v[26:27], v[4:5], v[34:35], v[28:29]
	v_fma_f64 v[28:29], v[2:3], v[34:35], -v[36:37]
	v_fma_f64 v[12:13], v[12:13], v[38:39], v[22:23]
	v_fma_f64 v[10:11], v[10:11], v[38:39], -v[24:25]
	v_add_f64 v[18:19], v[18:19], v[14:15]
	v_add_f64 v[20:21], v[20:21], v[16:17]
	ds_load_b128 v[2:5], v1 offset:1408
	ds_load_b128 v[14:17], v1 offset:1424
	s_waitcnt vmcnt(1) lgkmcnt(1)
	v_mul_f64 v[30:31], v[2:3], v[44:45]
	v_mul_f64 v[32:33], v[4:5], v[44:45]
	s_waitcnt vmcnt(0) lgkmcnt(0)
	v_mul_f64 v[22:23], v[14:15], v[8:9]
	v_mul_f64 v[8:9], v[16:17], v[8:9]
	v_add_f64 v[18:19], v[18:19], v[28:29]
	v_add_f64 v[20:21], v[20:21], v[26:27]
	v_fma_f64 v[4:5], v[4:5], v[42:43], v[30:31]
	v_fma_f64 v[1:2], v[2:3], v[42:43], -v[32:33]
	v_fma_f64 v[16:17], v[16:17], v[6:7], v[22:23]
	v_fma_f64 v[6:7], v[14:15], v[6:7], -v[8:9]
	v_add_f64 v[10:11], v[18:19], v[10:11]
	v_add_f64 v[12:13], v[20:21], v[12:13]
	s_delay_alu instid0(VALU_DEP_2) | instskip(NEXT) | instid1(VALU_DEP_2)
	v_add_f64 v[1:2], v[10:11], v[1:2]
	v_add_f64 v[3:4], v[12:13], v[4:5]
	s_delay_alu instid0(VALU_DEP_2) | instskip(NEXT) | instid1(VALU_DEP_2)
	;; [unrolled: 3-line block ×3, first 2 shown]
	v_add_f64 v[1:2], v[182:183], -v[1:2]
	v_add_f64 v[3:4], v[184:185], -v[3:4]
	scratch_store_b128 off, v[1:4], off offset:192
	v_cmpx_lt_u32_e32 11, v136
	s_cbranch_execz .LBB108_261
; %bb.260:
	scratch_load_b128 v[1:4], v170, off
	v_mov_b32_e32 v5, 0
	s_delay_alu instid0(VALU_DEP_1)
	v_mov_b32_e32 v6, v5
	v_mov_b32_e32 v7, v5
	;; [unrolled: 1-line block ×3, first 2 shown]
	scratch_store_b128 off, v[5:8], off offset:176
	s_waitcnt vmcnt(0)
	ds_store_b128 v181, v[1:4]
.LBB108_261:
	s_or_b32 exec_lo, exec_lo, s2
	s_waitcnt lgkmcnt(0)
	s_waitcnt_vscnt null, 0x0
	s_barrier
	buffer_gl0_inv
	s_clause 0x7
	scratch_load_b128 v[2:5], off, off offset:192
	scratch_load_b128 v[6:9], off, off offset:208
	scratch_load_b128 v[10:13], off, off offset:224
	scratch_load_b128 v[14:17], off, off offset:240
	scratch_load_b128 v[18:21], off, off offset:256
	scratch_load_b128 v[22:25], off, off offset:272
	scratch_load_b128 v[26:29], off, off offset:288
	scratch_load_b128 v[30:33], off, off offset:304
	v_mov_b32_e32 v1, 0
	s_mov_b32 s2, exec_lo
	ds_load_b128 v[38:41], v1 offset:912
	s_clause 0x1
	scratch_load_b128 v[34:37], off, off offset:320
	scratch_load_b128 v[42:45], off, off offset:176
	ds_load_b128 v[182:185], v1 offset:928
	scratch_load_b128 v[186:189], off, off offset:336
	s_waitcnt vmcnt(10) lgkmcnt(1)
	v_mul_f64 v[190:191], v[40:41], v[4:5]
	v_mul_f64 v[4:5], v[38:39], v[4:5]
	s_delay_alu instid0(VALU_DEP_2) | instskip(NEXT) | instid1(VALU_DEP_2)
	v_fma_f64 v[196:197], v[38:39], v[2:3], -v[190:191]
	v_fma_f64 v[198:199], v[40:41], v[2:3], v[4:5]
	scratch_load_b128 v[38:41], off, off offset:352
	ds_load_b128 v[2:5], v1 offset:944
	s_waitcnt vmcnt(10) lgkmcnt(1)
	v_mul_f64 v[194:195], v[182:183], v[8:9]
	v_mul_f64 v[8:9], v[184:185], v[8:9]
	ds_load_b128 v[190:193], v1 offset:960
	s_waitcnt vmcnt(9) lgkmcnt(1)
	v_mul_f64 v[200:201], v[2:3], v[12:13]
	v_mul_f64 v[12:13], v[4:5], v[12:13]
	v_fma_f64 v[184:185], v[184:185], v[6:7], v[194:195]
	v_fma_f64 v[182:183], v[182:183], v[6:7], -v[8:9]
	v_add_f64 v[194:195], v[196:197], 0
	v_add_f64 v[196:197], v[198:199], 0
	scratch_load_b128 v[6:9], off, off offset:368
	v_fma_f64 v[200:201], v[4:5], v[10:11], v[200:201]
	v_fma_f64 v[202:203], v[2:3], v[10:11], -v[12:13]
	scratch_load_b128 v[10:13], off, off offset:384
	ds_load_b128 v[2:5], v1 offset:976
	s_waitcnt vmcnt(10) lgkmcnt(1)
	v_mul_f64 v[198:199], v[190:191], v[16:17]
	v_mul_f64 v[16:17], v[192:193], v[16:17]
	v_add_f64 v[194:195], v[194:195], v[182:183]
	v_add_f64 v[196:197], v[196:197], v[184:185]
	s_waitcnt vmcnt(9) lgkmcnt(0)
	v_mul_f64 v[204:205], v[2:3], v[20:21]
	v_mul_f64 v[20:21], v[4:5], v[20:21]
	ds_load_b128 v[182:185], v1 offset:992
	v_fma_f64 v[192:193], v[192:193], v[14:15], v[198:199]
	v_fma_f64 v[190:191], v[190:191], v[14:15], -v[16:17]
	scratch_load_b128 v[14:17], off, off offset:400
	v_add_f64 v[194:195], v[194:195], v[202:203]
	v_add_f64 v[196:197], v[196:197], v[200:201]
	v_fma_f64 v[200:201], v[4:5], v[18:19], v[204:205]
	v_fma_f64 v[202:203], v[2:3], v[18:19], -v[20:21]
	scratch_load_b128 v[18:21], off, off offset:416
	ds_load_b128 v[2:5], v1 offset:1008
	s_waitcnt vmcnt(10) lgkmcnt(1)
	v_mul_f64 v[198:199], v[182:183], v[24:25]
	v_mul_f64 v[24:25], v[184:185], v[24:25]
	s_waitcnt vmcnt(9) lgkmcnt(0)
	v_mul_f64 v[204:205], v[2:3], v[28:29]
	v_mul_f64 v[28:29], v[4:5], v[28:29]
	v_add_f64 v[194:195], v[194:195], v[190:191]
	v_add_f64 v[196:197], v[196:197], v[192:193]
	ds_load_b128 v[190:193], v1 offset:1024
	v_fma_f64 v[184:185], v[184:185], v[22:23], v[198:199]
	v_fma_f64 v[182:183], v[182:183], v[22:23], -v[24:25]
	scratch_load_b128 v[22:25], off, off offset:432
	v_add_f64 v[194:195], v[194:195], v[202:203]
	v_add_f64 v[196:197], v[196:197], v[200:201]
	v_fma_f64 v[200:201], v[4:5], v[26:27], v[204:205]
	v_fma_f64 v[202:203], v[2:3], v[26:27], -v[28:29]
	scratch_load_b128 v[26:29], off, off offset:448
	ds_load_b128 v[2:5], v1 offset:1040
	s_waitcnt vmcnt(10) lgkmcnt(1)
	v_mul_f64 v[198:199], v[190:191], v[32:33]
	v_mul_f64 v[32:33], v[192:193], v[32:33]
	s_waitcnt vmcnt(9) lgkmcnt(0)
	v_mul_f64 v[204:205], v[2:3], v[36:37]
	v_mul_f64 v[36:37], v[4:5], v[36:37]
	v_add_f64 v[194:195], v[194:195], v[182:183]
	v_add_f64 v[196:197], v[196:197], v[184:185]
	ds_load_b128 v[182:185], v1 offset:1056
	v_fma_f64 v[192:193], v[192:193], v[30:31], v[198:199]
	v_fma_f64 v[190:191], v[190:191], v[30:31], -v[32:33]
	scratch_load_b128 v[30:33], off, off offset:464
	v_add_f64 v[194:195], v[194:195], v[202:203]
	v_add_f64 v[196:197], v[196:197], v[200:201]
	v_fma_f64 v[202:203], v[4:5], v[34:35], v[204:205]
	v_fma_f64 v[204:205], v[2:3], v[34:35], -v[36:37]
	scratch_load_b128 v[34:37], off, off offset:480
	ds_load_b128 v[2:5], v1 offset:1072
	s_waitcnt vmcnt(9) lgkmcnt(1)
	v_mul_f64 v[198:199], v[182:183], v[188:189]
	v_mul_f64 v[200:201], v[184:185], v[188:189]
	v_add_f64 v[194:195], v[194:195], v[190:191]
	v_add_f64 v[192:193], v[196:197], v[192:193]
	ds_load_b128 v[188:191], v1 offset:1088
	v_fma_f64 v[198:199], v[184:185], v[186:187], v[198:199]
	v_fma_f64 v[186:187], v[182:183], v[186:187], -v[200:201]
	scratch_load_b128 v[182:185], off, off offset:496
	s_waitcnt vmcnt(9) lgkmcnt(1)
	v_mul_f64 v[196:197], v[2:3], v[40:41]
	v_mul_f64 v[40:41], v[4:5], v[40:41]
	v_add_f64 v[194:195], v[194:195], v[204:205]
	v_add_f64 v[192:193], v[192:193], v[202:203]
	s_delay_alu instid0(VALU_DEP_4) | instskip(NEXT) | instid1(VALU_DEP_4)
	v_fma_f64 v[196:197], v[4:5], v[38:39], v[196:197]
	v_fma_f64 v[202:203], v[2:3], v[38:39], -v[40:41]
	scratch_load_b128 v[38:41], off, off offset:512
	ds_load_b128 v[2:5], v1 offset:1104
	s_waitcnt vmcnt(9) lgkmcnt(1)
	v_mul_f64 v[200:201], v[188:189], v[8:9]
	v_mul_f64 v[8:9], v[190:191], v[8:9]
	s_waitcnt vmcnt(8) lgkmcnt(0)
	v_mul_f64 v[204:205], v[2:3], v[12:13]
	v_mul_f64 v[12:13], v[4:5], v[12:13]
	v_add_f64 v[186:187], v[194:195], v[186:187]
	v_add_f64 v[198:199], v[192:193], v[198:199]
	ds_load_b128 v[192:195], v1 offset:1120
	v_fma_f64 v[190:191], v[190:191], v[6:7], v[200:201]
	v_fma_f64 v[188:189], v[188:189], v[6:7], -v[8:9]
	scratch_load_b128 v[6:9], off, off offset:528
	v_fma_f64 v[200:201], v[4:5], v[10:11], v[204:205]
	v_add_f64 v[186:187], v[186:187], v[202:203]
	v_add_f64 v[196:197], v[198:199], v[196:197]
	v_fma_f64 v[202:203], v[2:3], v[10:11], -v[12:13]
	scratch_load_b128 v[10:13], off, off offset:544
	ds_load_b128 v[2:5], v1 offset:1136
	s_waitcnt vmcnt(9) lgkmcnt(1)
	v_mul_f64 v[198:199], v[192:193], v[16:17]
	v_mul_f64 v[16:17], v[194:195], v[16:17]
	v_add_f64 v[204:205], v[186:187], v[188:189]
	v_add_f64 v[190:191], v[196:197], v[190:191]
	s_waitcnt vmcnt(8) lgkmcnt(0)
	v_mul_f64 v[196:197], v[2:3], v[20:21]
	v_mul_f64 v[20:21], v[4:5], v[20:21]
	ds_load_b128 v[186:189], v1 offset:1152
	v_fma_f64 v[194:195], v[194:195], v[14:15], v[198:199]
	v_fma_f64 v[192:193], v[192:193], v[14:15], -v[16:17]
	scratch_load_b128 v[14:17], off, off offset:560
	v_add_f64 v[198:199], v[204:205], v[202:203]
	v_add_f64 v[190:191], v[190:191], v[200:201]
	v_fma_f64 v[196:197], v[4:5], v[18:19], v[196:197]
	v_fma_f64 v[202:203], v[2:3], v[18:19], -v[20:21]
	scratch_load_b128 v[18:21], off, off offset:576
	ds_load_b128 v[2:5], v1 offset:1168
	s_waitcnt vmcnt(9) lgkmcnt(1)
	v_mul_f64 v[200:201], v[186:187], v[24:25]
	v_mul_f64 v[24:25], v[188:189], v[24:25]
	s_waitcnt vmcnt(8) lgkmcnt(0)
	v_mul_f64 v[204:205], v[2:3], v[28:29]
	v_mul_f64 v[28:29], v[4:5], v[28:29]
	v_add_f64 v[198:199], v[198:199], v[192:193]
	v_add_f64 v[194:195], v[190:191], v[194:195]
	ds_load_b128 v[190:193], v1 offset:1184
	v_fma_f64 v[188:189], v[188:189], v[22:23], v[200:201]
	v_fma_f64 v[186:187], v[186:187], v[22:23], -v[24:25]
	scratch_load_b128 v[22:25], off, off offset:592
	v_fma_f64 v[200:201], v[4:5], v[26:27], v[204:205]
	v_add_f64 v[198:199], v[198:199], v[202:203]
	v_add_f64 v[194:195], v[194:195], v[196:197]
	v_fma_f64 v[202:203], v[2:3], v[26:27], -v[28:29]
	scratch_load_b128 v[26:29], off, off offset:608
	ds_load_b128 v[2:5], v1 offset:1200
	s_waitcnt vmcnt(9) lgkmcnt(1)
	v_mul_f64 v[196:197], v[190:191], v[32:33]
	v_mul_f64 v[32:33], v[192:193], v[32:33]
	s_waitcnt vmcnt(8) lgkmcnt(0)
	v_mul_f64 v[204:205], v[2:3], v[36:37]
	v_mul_f64 v[36:37], v[4:5], v[36:37]
	v_add_f64 v[198:199], v[198:199], v[186:187]
	v_add_f64 v[194:195], v[194:195], v[188:189]
	ds_load_b128 v[186:189], v1 offset:1216
	v_fma_f64 v[192:193], v[192:193], v[30:31], v[196:197]
	v_fma_f64 v[190:191], v[190:191], v[30:31], -v[32:33]
	scratch_load_b128 v[30:33], off, off offset:624
	v_add_f64 v[196:197], v[198:199], v[202:203]
	v_add_f64 v[194:195], v[194:195], v[200:201]
	v_fma_f64 v[200:201], v[4:5], v[34:35], v[204:205]
	v_fma_f64 v[202:203], v[2:3], v[34:35], -v[36:37]
	scratch_load_b128 v[34:37], off, off offset:640
	ds_load_b128 v[2:5], v1 offset:1232
	s_waitcnt vmcnt(9) lgkmcnt(1)
	v_mul_f64 v[198:199], v[186:187], v[184:185]
	v_mul_f64 v[184:185], v[188:189], v[184:185]
	s_waitcnt vmcnt(8) lgkmcnt(0)
	v_mul_f64 v[204:205], v[2:3], v[40:41]
	v_mul_f64 v[40:41], v[4:5], v[40:41]
	v_add_f64 v[196:197], v[196:197], v[190:191]
	v_add_f64 v[194:195], v[194:195], v[192:193]
	ds_load_b128 v[190:193], v1 offset:1248
	v_fma_f64 v[188:189], v[188:189], v[182:183], v[198:199]
	v_fma_f64 v[186:187], v[186:187], v[182:183], -v[184:185]
	scratch_load_b128 v[182:185], off, off offset:656
	v_add_f64 v[196:197], v[196:197], v[202:203]
	v_add_f64 v[194:195], v[194:195], v[200:201]
	v_fma_f64 v[200:201], v[4:5], v[38:39], v[204:205]
	;; [unrolled: 18-line block ×3, first 2 shown]
	v_fma_f64 v[202:203], v[2:3], v[10:11], -v[12:13]
	scratch_load_b128 v[10:13], off, off offset:704
	ds_load_b128 v[2:5], v1 offset:1296
	s_waitcnt vmcnt(9) lgkmcnt(1)
	v_mul_f64 v[198:199], v[186:187], v[16:17]
	v_mul_f64 v[16:17], v[188:189], v[16:17]
	s_waitcnt vmcnt(8) lgkmcnt(0)
	v_mul_f64 v[204:205], v[2:3], v[20:21]
	v_mul_f64 v[20:21], v[4:5], v[20:21]
	v_add_f64 v[196:197], v[196:197], v[190:191]
	v_add_f64 v[194:195], v[194:195], v[192:193]
	ds_load_b128 v[190:193], v1 offset:1312
	v_fma_f64 v[188:189], v[188:189], v[14:15], v[198:199]
	v_fma_f64 v[14:15], v[186:187], v[14:15], -v[16:17]
	v_add_f64 v[16:17], v[196:197], v[202:203]
	v_add_f64 v[186:187], v[194:195], v[200:201]
	s_waitcnt vmcnt(7) lgkmcnt(0)
	v_mul_f64 v[194:195], v[190:191], v[24:25]
	v_mul_f64 v[24:25], v[192:193], v[24:25]
	v_fma_f64 v[196:197], v[4:5], v[18:19], v[204:205]
	v_fma_f64 v[18:19], v[2:3], v[18:19], -v[20:21]
	v_add_f64 v[20:21], v[16:17], v[14:15]
	v_add_f64 v[186:187], v[186:187], v[188:189]
	ds_load_b128 v[2:5], v1 offset:1328
	ds_load_b128 v[14:17], v1 offset:1344
	v_fma_f64 v[192:193], v[192:193], v[22:23], v[194:195]
	v_fma_f64 v[22:23], v[190:191], v[22:23], -v[24:25]
	s_waitcnt vmcnt(6) lgkmcnt(1)
	v_mul_f64 v[188:189], v[2:3], v[28:29]
	v_mul_f64 v[28:29], v[4:5], v[28:29]
	s_waitcnt vmcnt(5) lgkmcnt(0)
	v_mul_f64 v[24:25], v[14:15], v[32:33]
	v_mul_f64 v[32:33], v[16:17], v[32:33]
	v_add_f64 v[18:19], v[20:21], v[18:19]
	v_add_f64 v[20:21], v[186:187], v[196:197]
	v_fma_f64 v[186:187], v[4:5], v[26:27], v[188:189]
	v_fma_f64 v[26:27], v[2:3], v[26:27], -v[28:29]
	v_fma_f64 v[16:17], v[16:17], v[30:31], v[24:25]
	v_fma_f64 v[14:15], v[14:15], v[30:31], -v[32:33]
	v_add_f64 v[22:23], v[18:19], v[22:23]
	v_add_f64 v[28:29], v[20:21], v[192:193]
	ds_load_b128 v[2:5], v1 offset:1360
	ds_load_b128 v[18:21], v1 offset:1376
	s_waitcnt vmcnt(4) lgkmcnt(1)
	v_mul_f64 v[188:189], v[2:3], v[36:37]
	v_mul_f64 v[36:37], v[4:5], v[36:37]
	v_add_f64 v[22:23], v[22:23], v[26:27]
	v_add_f64 v[24:25], v[28:29], v[186:187]
	s_waitcnt vmcnt(3) lgkmcnt(0)
	v_mul_f64 v[26:27], v[18:19], v[184:185]
	v_mul_f64 v[28:29], v[20:21], v[184:185]
	v_fma_f64 v[30:31], v[4:5], v[34:35], v[188:189]
	v_fma_f64 v[32:33], v[2:3], v[34:35], -v[36:37]
	v_add_f64 v[22:23], v[22:23], v[14:15]
	v_add_f64 v[24:25], v[24:25], v[16:17]
	ds_load_b128 v[2:5], v1 offset:1392
	ds_load_b128 v[14:17], v1 offset:1408
	v_fma_f64 v[20:21], v[20:21], v[182:183], v[26:27]
	v_fma_f64 v[18:19], v[18:19], v[182:183], -v[28:29]
	s_waitcnt vmcnt(2) lgkmcnt(1)
	v_mul_f64 v[34:35], v[2:3], v[40:41]
	v_mul_f64 v[36:37], v[4:5], v[40:41]
	s_waitcnt vmcnt(1) lgkmcnt(0)
	v_mul_f64 v[26:27], v[14:15], v[8:9]
	v_mul_f64 v[8:9], v[16:17], v[8:9]
	v_add_f64 v[22:23], v[22:23], v[32:33]
	v_add_f64 v[24:25], v[24:25], v[30:31]
	v_fma_f64 v[28:29], v[4:5], v[38:39], v[34:35]
	v_fma_f64 v[30:31], v[2:3], v[38:39], -v[36:37]
	ds_load_b128 v[2:5], v1 offset:1424
	v_fma_f64 v[16:17], v[16:17], v[6:7], v[26:27]
	v_fma_f64 v[6:7], v[14:15], v[6:7], -v[8:9]
	v_add_f64 v[18:19], v[22:23], v[18:19]
	v_add_f64 v[20:21], v[24:25], v[20:21]
	s_waitcnt vmcnt(0) lgkmcnt(0)
	v_mul_f64 v[22:23], v[2:3], v[12:13]
	v_mul_f64 v[12:13], v[4:5], v[12:13]
	s_delay_alu instid0(VALU_DEP_4) | instskip(NEXT) | instid1(VALU_DEP_4)
	v_add_f64 v[8:9], v[18:19], v[30:31]
	v_add_f64 v[14:15], v[20:21], v[28:29]
	s_delay_alu instid0(VALU_DEP_4) | instskip(NEXT) | instid1(VALU_DEP_4)
	v_fma_f64 v[4:5], v[4:5], v[10:11], v[22:23]
	v_fma_f64 v[2:3], v[2:3], v[10:11], -v[12:13]
	s_delay_alu instid0(VALU_DEP_4) | instskip(NEXT) | instid1(VALU_DEP_4)
	v_add_f64 v[6:7], v[8:9], v[6:7]
	v_add_f64 v[8:9], v[14:15], v[16:17]
	s_delay_alu instid0(VALU_DEP_2) | instskip(NEXT) | instid1(VALU_DEP_2)
	v_add_f64 v[2:3], v[6:7], v[2:3]
	v_add_f64 v[4:5], v[8:9], v[4:5]
	s_delay_alu instid0(VALU_DEP_2) | instskip(NEXT) | instid1(VALU_DEP_2)
	v_add_f64 v[2:3], v[42:43], -v[2:3]
	v_add_f64 v[4:5], v[44:45], -v[4:5]
	scratch_store_b128 off, v[2:5], off offset:176
	v_cmpx_lt_u32_e32 10, v136
	s_cbranch_execz .LBB108_263
; %bb.262:
	scratch_load_b128 v[5:8], v171, off
	v_mov_b32_e32 v2, v1
	v_mov_b32_e32 v3, v1
	;; [unrolled: 1-line block ×3, first 2 shown]
	scratch_store_b128 off, v[1:4], off offset:160
	s_waitcnt vmcnt(0)
	ds_store_b128 v181, v[5:8]
.LBB108_263:
	s_or_b32 exec_lo, exec_lo, s2
	s_waitcnt lgkmcnt(0)
	s_waitcnt_vscnt null, 0x0
	s_barrier
	buffer_gl0_inv
	s_clause 0x8
	scratch_load_b128 v[2:5], off, off offset:176
	scratch_load_b128 v[6:9], off, off offset:192
	;; [unrolled: 1-line block ×9, first 2 shown]
	ds_load_b128 v[42:45], v1 offset:896
	ds_load_b128 v[38:41], v1 offset:912
	s_clause 0x1
	scratch_load_b128 v[182:185], off, off offset:160
	scratch_load_b128 v[186:189], off, off offset:320
	s_mov_b32 s2, exec_lo
	s_waitcnt vmcnt(10) lgkmcnt(1)
	v_mul_f64 v[190:191], v[44:45], v[4:5]
	v_mul_f64 v[4:5], v[42:43], v[4:5]
	s_waitcnt vmcnt(9) lgkmcnt(0)
	v_mul_f64 v[194:195], v[38:39], v[8:9]
	v_mul_f64 v[8:9], v[40:41], v[8:9]
	s_delay_alu instid0(VALU_DEP_4) | instskip(NEXT) | instid1(VALU_DEP_4)
	v_fma_f64 v[196:197], v[42:43], v[2:3], -v[190:191]
	v_fma_f64 v[198:199], v[44:45], v[2:3], v[4:5]
	ds_load_b128 v[2:5], v1 offset:928
	ds_load_b128 v[190:193], v1 offset:944
	scratch_load_b128 v[42:45], off, off offset:336
	v_fma_f64 v[40:41], v[40:41], v[6:7], v[194:195]
	v_fma_f64 v[38:39], v[38:39], v[6:7], -v[8:9]
	scratch_load_b128 v[6:9], off, off offset:352
	s_waitcnt vmcnt(10) lgkmcnt(1)
	v_mul_f64 v[200:201], v[2:3], v[12:13]
	v_mul_f64 v[12:13], v[4:5], v[12:13]
	v_add_f64 v[194:195], v[196:197], 0
	v_add_f64 v[196:197], v[198:199], 0
	s_waitcnt vmcnt(9) lgkmcnt(0)
	v_mul_f64 v[198:199], v[190:191], v[16:17]
	v_mul_f64 v[16:17], v[192:193], v[16:17]
	v_fma_f64 v[200:201], v[4:5], v[10:11], v[200:201]
	v_fma_f64 v[202:203], v[2:3], v[10:11], -v[12:13]
	ds_load_b128 v[2:5], v1 offset:960
	scratch_load_b128 v[10:13], off, off offset:368
	v_add_f64 v[194:195], v[194:195], v[38:39]
	v_add_f64 v[196:197], v[196:197], v[40:41]
	ds_load_b128 v[38:41], v1 offset:976
	v_fma_f64 v[192:193], v[192:193], v[14:15], v[198:199]
	v_fma_f64 v[190:191], v[190:191], v[14:15], -v[16:17]
	scratch_load_b128 v[14:17], off, off offset:384
	s_waitcnt vmcnt(10) lgkmcnt(1)
	v_mul_f64 v[204:205], v[2:3], v[20:21]
	v_mul_f64 v[20:21], v[4:5], v[20:21]
	s_waitcnt vmcnt(9) lgkmcnt(0)
	v_mul_f64 v[198:199], v[38:39], v[24:25]
	v_mul_f64 v[24:25], v[40:41], v[24:25]
	v_add_f64 v[194:195], v[194:195], v[202:203]
	v_add_f64 v[196:197], v[196:197], v[200:201]
	v_fma_f64 v[200:201], v[4:5], v[18:19], v[204:205]
	v_fma_f64 v[202:203], v[2:3], v[18:19], -v[20:21]
	ds_load_b128 v[2:5], v1 offset:992
	scratch_load_b128 v[18:21], off, off offset:400
	v_fma_f64 v[40:41], v[40:41], v[22:23], v[198:199]
	v_fma_f64 v[38:39], v[38:39], v[22:23], -v[24:25]
	scratch_load_b128 v[22:25], off, off offset:416
	v_add_f64 v[194:195], v[194:195], v[190:191]
	v_add_f64 v[196:197], v[196:197], v[192:193]
	ds_load_b128 v[190:193], v1 offset:1008
	s_waitcnt vmcnt(10) lgkmcnt(1)
	v_mul_f64 v[204:205], v[2:3], v[28:29]
	v_mul_f64 v[28:29], v[4:5], v[28:29]
	s_waitcnt vmcnt(9) lgkmcnt(0)
	v_mul_f64 v[198:199], v[190:191], v[32:33]
	v_mul_f64 v[32:33], v[192:193], v[32:33]
	v_add_f64 v[194:195], v[194:195], v[202:203]
	v_add_f64 v[196:197], v[196:197], v[200:201]
	v_fma_f64 v[200:201], v[4:5], v[26:27], v[204:205]
	v_fma_f64 v[202:203], v[2:3], v[26:27], -v[28:29]
	ds_load_b128 v[2:5], v1 offset:1024
	scratch_load_b128 v[26:29], off, off offset:432
	v_fma_f64 v[192:193], v[192:193], v[30:31], v[198:199]
	v_fma_f64 v[190:191], v[190:191], v[30:31], -v[32:33]
	scratch_load_b128 v[30:33], off, off offset:448
	v_add_f64 v[194:195], v[194:195], v[38:39]
	v_add_f64 v[196:197], v[196:197], v[40:41]
	ds_load_b128 v[38:41], v1 offset:1040
	s_waitcnt vmcnt(10) lgkmcnt(1)
	v_mul_f64 v[204:205], v[2:3], v[36:37]
	v_mul_f64 v[36:37], v[4:5], v[36:37]
	s_waitcnt vmcnt(8) lgkmcnt(0)
	v_mul_f64 v[198:199], v[38:39], v[188:189]
	v_add_f64 v[194:195], v[194:195], v[202:203]
	v_add_f64 v[196:197], v[196:197], v[200:201]
	v_mul_f64 v[200:201], v[40:41], v[188:189]
	v_fma_f64 v[202:203], v[4:5], v[34:35], v[204:205]
	v_fma_f64 v[204:205], v[2:3], v[34:35], -v[36:37]
	ds_load_b128 v[2:5], v1 offset:1056
	scratch_load_b128 v[34:37], off, off offset:464
	v_fma_f64 v[198:199], v[40:41], v[186:187], v[198:199]
	v_add_f64 v[194:195], v[194:195], v[190:191]
	v_add_f64 v[192:193], v[196:197], v[192:193]
	ds_load_b128 v[188:191], v1 offset:1072
	v_fma_f64 v[186:187], v[38:39], v[186:187], -v[200:201]
	scratch_load_b128 v[38:41], off, off offset:480
	s_waitcnt vmcnt(9) lgkmcnt(1)
	v_mul_f64 v[196:197], v[2:3], v[44:45]
	v_mul_f64 v[44:45], v[4:5], v[44:45]
	s_waitcnt vmcnt(8) lgkmcnt(0)
	v_mul_f64 v[200:201], v[188:189], v[8:9]
	v_mul_f64 v[8:9], v[190:191], v[8:9]
	v_add_f64 v[194:195], v[194:195], v[204:205]
	v_add_f64 v[192:193], v[192:193], v[202:203]
	v_fma_f64 v[196:197], v[4:5], v[42:43], v[196:197]
	v_fma_f64 v[202:203], v[2:3], v[42:43], -v[44:45]
	ds_load_b128 v[2:5], v1 offset:1088
	scratch_load_b128 v[42:45], off, off offset:496
	v_fma_f64 v[190:191], v[190:191], v[6:7], v[200:201]
	v_fma_f64 v[188:189], v[188:189], v[6:7], -v[8:9]
	scratch_load_b128 v[6:9], off, off offset:512
	v_add_f64 v[186:187], v[194:195], v[186:187]
	v_add_f64 v[198:199], v[192:193], v[198:199]
	ds_load_b128 v[192:195], v1 offset:1104
	s_waitcnt vmcnt(9) lgkmcnt(1)
	v_mul_f64 v[204:205], v[2:3], v[12:13]
	v_mul_f64 v[12:13], v[4:5], v[12:13]
	v_add_f64 v[186:187], v[186:187], v[202:203]
	v_add_f64 v[196:197], v[198:199], v[196:197]
	s_waitcnt vmcnt(8) lgkmcnt(0)
	v_mul_f64 v[198:199], v[192:193], v[16:17]
	v_mul_f64 v[16:17], v[194:195], v[16:17]
	v_fma_f64 v[200:201], v[4:5], v[10:11], v[204:205]
	v_fma_f64 v[202:203], v[2:3], v[10:11], -v[12:13]
	ds_load_b128 v[2:5], v1 offset:1120
	scratch_load_b128 v[10:13], off, off offset:528
	v_add_f64 v[204:205], v[186:187], v[188:189]
	v_add_f64 v[190:191], v[196:197], v[190:191]
	ds_load_b128 v[186:189], v1 offset:1136
	s_waitcnt vmcnt(8) lgkmcnt(1)
	v_mul_f64 v[196:197], v[2:3], v[20:21]
	v_mul_f64 v[20:21], v[4:5], v[20:21]
	v_fma_f64 v[194:195], v[194:195], v[14:15], v[198:199]
	v_fma_f64 v[192:193], v[192:193], v[14:15], -v[16:17]
	scratch_load_b128 v[14:17], off, off offset:544
	v_add_f64 v[198:199], v[204:205], v[202:203]
	v_add_f64 v[190:191], v[190:191], v[200:201]
	s_waitcnt vmcnt(8) lgkmcnt(0)
	v_mul_f64 v[200:201], v[186:187], v[24:25]
	v_mul_f64 v[24:25], v[188:189], v[24:25]
	v_fma_f64 v[196:197], v[4:5], v[18:19], v[196:197]
	v_fma_f64 v[202:203], v[2:3], v[18:19], -v[20:21]
	ds_load_b128 v[2:5], v1 offset:1152
	scratch_load_b128 v[18:21], off, off offset:560
	v_add_f64 v[198:199], v[198:199], v[192:193]
	v_add_f64 v[194:195], v[190:191], v[194:195]
	ds_load_b128 v[190:193], v1 offset:1168
	s_waitcnt vmcnt(8) lgkmcnt(1)
	v_mul_f64 v[204:205], v[2:3], v[28:29]
	v_mul_f64 v[28:29], v[4:5], v[28:29]
	v_fma_f64 v[188:189], v[188:189], v[22:23], v[200:201]
	v_fma_f64 v[186:187], v[186:187], v[22:23], -v[24:25]
	scratch_load_b128 v[22:25], off, off offset:576
	;; [unrolled: 18-line block ×4, first 2 shown]
	s_waitcnt vmcnt(8) lgkmcnt(0)
	v_mul_f64 v[198:199], v[190:191], v[8:9]
	v_mul_f64 v[8:9], v[192:193], v[8:9]
	v_add_f64 v[196:197], v[196:197], v[202:203]
	v_add_f64 v[194:195], v[194:195], v[200:201]
	v_fma_f64 v[200:201], v[4:5], v[42:43], v[204:205]
	v_fma_f64 v[202:203], v[2:3], v[42:43], -v[44:45]
	ds_load_b128 v[2:5], v1 offset:1248
	scratch_load_b128 v[42:45], off, off offset:656
	v_fma_f64 v[192:193], v[192:193], v[6:7], v[198:199]
	v_fma_f64 v[190:191], v[190:191], v[6:7], -v[8:9]
	scratch_load_b128 v[6:9], off, off offset:672
	v_add_f64 v[196:197], v[196:197], v[186:187]
	v_add_f64 v[194:195], v[194:195], v[188:189]
	ds_load_b128 v[186:189], v1 offset:1264
	s_waitcnt vmcnt(9) lgkmcnt(1)
	v_mul_f64 v[204:205], v[2:3], v[12:13]
	v_mul_f64 v[12:13], v[4:5], v[12:13]
	s_waitcnt vmcnt(8) lgkmcnt(0)
	v_mul_f64 v[198:199], v[186:187], v[16:17]
	v_mul_f64 v[16:17], v[188:189], v[16:17]
	v_add_f64 v[196:197], v[196:197], v[202:203]
	v_add_f64 v[194:195], v[194:195], v[200:201]
	v_fma_f64 v[200:201], v[4:5], v[10:11], v[204:205]
	v_fma_f64 v[202:203], v[2:3], v[10:11], -v[12:13]
	ds_load_b128 v[2:5], v1 offset:1280
	scratch_load_b128 v[10:13], off, off offset:688
	v_fma_f64 v[188:189], v[188:189], v[14:15], v[198:199]
	v_fma_f64 v[186:187], v[186:187], v[14:15], -v[16:17]
	scratch_load_b128 v[14:17], off, off offset:704
	v_add_f64 v[196:197], v[196:197], v[190:191]
	v_add_f64 v[194:195], v[194:195], v[192:193]
	ds_load_b128 v[190:193], v1 offset:1296
	s_waitcnt vmcnt(9) lgkmcnt(1)
	v_mul_f64 v[204:205], v[2:3], v[20:21]
	v_mul_f64 v[20:21], v[4:5], v[20:21]
	s_waitcnt vmcnt(8) lgkmcnt(0)
	v_mul_f64 v[198:199], v[190:191], v[24:25]
	v_mul_f64 v[24:25], v[192:193], v[24:25]
	v_add_f64 v[196:197], v[196:197], v[202:203]
	v_add_f64 v[194:195], v[194:195], v[200:201]
	v_fma_f64 v[200:201], v[4:5], v[18:19], v[204:205]
	v_fma_f64 v[202:203], v[2:3], v[18:19], -v[20:21]
	ds_load_b128 v[2:5], v1 offset:1312
	ds_load_b128 v[18:21], v1 offset:1328
	v_fma_f64 v[192:193], v[192:193], v[22:23], v[198:199]
	v_fma_f64 v[22:23], v[190:191], v[22:23], -v[24:25]
	v_add_f64 v[186:187], v[196:197], v[186:187]
	v_add_f64 v[188:189], v[194:195], v[188:189]
	s_waitcnt vmcnt(7) lgkmcnt(1)
	v_mul_f64 v[194:195], v[2:3], v[28:29]
	v_mul_f64 v[28:29], v[4:5], v[28:29]
	s_delay_alu instid0(VALU_DEP_4) | instskip(NEXT) | instid1(VALU_DEP_4)
	v_add_f64 v[24:25], v[186:187], v[202:203]
	v_add_f64 v[186:187], v[188:189], v[200:201]
	s_waitcnt vmcnt(6) lgkmcnt(0)
	v_mul_f64 v[188:189], v[18:19], v[32:33]
	v_mul_f64 v[32:33], v[20:21], v[32:33]
	v_fma_f64 v[190:191], v[4:5], v[26:27], v[194:195]
	v_fma_f64 v[26:27], v[2:3], v[26:27], -v[28:29]
	v_add_f64 v[28:29], v[24:25], v[22:23]
	v_add_f64 v[186:187], v[186:187], v[192:193]
	ds_load_b128 v[2:5], v1 offset:1344
	ds_load_b128 v[22:25], v1 offset:1360
	v_fma_f64 v[20:21], v[20:21], v[30:31], v[188:189]
	v_fma_f64 v[18:19], v[18:19], v[30:31], -v[32:33]
	s_waitcnt vmcnt(5) lgkmcnt(1)
	v_mul_f64 v[192:193], v[2:3], v[36:37]
	v_mul_f64 v[36:37], v[4:5], v[36:37]
	s_waitcnt vmcnt(4) lgkmcnt(0)
	v_mul_f64 v[30:31], v[22:23], v[40:41]
	v_mul_f64 v[32:33], v[24:25], v[40:41]
	v_add_f64 v[26:27], v[28:29], v[26:27]
	v_add_f64 v[28:29], v[186:187], v[190:191]
	v_fma_f64 v[40:41], v[4:5], v[34:35], v[192:193]
	v_fma_f64 v[34:35], v[2:3], v[34:35], -v[36:37]
	v_fma_f64 v[24:25], v[24:25], v[38:39], v[30:31]
	v_fma_f64 v[22:23], v[22:23], v[38:39], -v[32:33]
	v_add_f64 v[26:27], v[26:27], v[18:19]
	v_add_f64 v[28:29], v[28:29], v[20:21]
	ds_load_b128 v[2:5], v1 offset:1376
	ds_load_b128 v[18:21], v1 offset:1392
	s_waitcnt vmcnt(3) lgkmcnt(1)
	v_mul_f64 v[36:37], v[2:3], v[44:45]
	v_mul_f64 v[44:45], v[4:5], v[44:45]
	s_waitcnt vmcnt(2) lgkmcnt(0)
	v_mul_f64 v[30:31], v[18:19], v[8:9]
	v_mul_f64 v[8:9], v[20:21], v[8:9]
	v_add_f64 v[26:27], v[26:27], v[34:35]
	v_add_f64 v[28:29], v[28:29], v[40:41]
	v_fma_f64 v[32:33], v[4:5], v[42:43], v[36:37]
	v_fma_f64 v[34:35], v[2:3], v[42:43], -v[44:45]
	v_fma_f64 v[20:21], v[20:21], v[6:7], v[30:31]
	v_fma_f64 v[6:7], v[18:19], v[6:7], -v[8:9]
	v_add_f64 v[26:27], v[26:27], v[22:23]
	v_add_f64 v[28:29], v[28:29], v[24:25]
	ds_load_b128 v[2:5], v1 offset:1408
	ds_load_b128 v[22:25], v1 offset:1424
	s_waitcnt vmcnt(1) lgkmcnt(1)
	v_mul_f64 v[36:37], v[2:3], v[12:13]
	v_mul_f64 v[12:13], v[4:5], v[12:13]
	v_add_f64 v[8:9], v[26:27], v[34:35]
	v_add_f64 v[18:19], v[28:29], v[32:33]
	s_waitcnt vmcnt(0) lgkmcnt(0)
	v_mul_f64 v[26:27], v[22:23], v[16:17]
	v_mul_f64 v[16:17], v[24:25], v[16:17]
	v_fma_f64 v[4:5], v[4:5], v[10:11], v[36:37]
	v_fma_f64 v[1:2], v[2:3], v[10:11], -v[12:13]
	v_add_f64 v[6:7], v[8:9], v[6:7]
	v_add_f64 v[8:9], v[18:19], v[20:21]
	v_fma_f64 v[10:11], v[24:25], v[14:15], v[26:27]
	v_fma_f64 v[12:13], v[22:23], v[14:15], -v[16:17]
	s_delay_alu instid0(VALU_DEP_4) | instskip(NEXT) | instid1(VALU_DEP_4)
	v_add_f64 v[1:2], v[6:7], v[1:2]
	v_add_f64 v[3:4], v[8:9], v[4:5]
	s_delay_alu instid0(VALU_DEP_2) | instskip(NEXT) | instid1(VALU_DEP_2)
	v_add_f64 v[1:2], v[1:2], v[12:13]
	v_add_f64 v[3:4], v[3:4], v[10:11]
	s_delay_alu instid0(VALU_DEP_2) | instskip(NEXT) | instid1(VALU_DEP_2)
	v_add_f64 v[1:2], v[182:183], -v[1:2]
	v_add_f64 v[3:4], v[184:185], -v[3:4]
	scratch_store_b128 off, v[1:4], off offset:160
	v_cmpx_lt_u32_e32 9, v136
	s_cbranch_execz .LBB108_265
; %bb.264:
	scratch_load_b128 v[1:4], v172, off
	v_mov_b32_e32 v5, 0
	s_delay_alu instid0(VALU_DEP_1)
	v_mov_b32_e32 v6, v5
	v_mov_b32_e32 v7, v5
	;; [unrolled: 1-line block ×3, first 2 shown]
	scratch_store_b128 off, v[5:8], off offset:144
	s_waitcnt vmcnt(0)
	ds_store_b128 v181, v[1:4]
.LBB108_265:
	s_or_b32 exec_lo, exec_lo, s2
	s_waitcnt lgkmcnt(0)
	s_waitcnt_vscnt null, 0x0
	s_barrier
	buffer_gl0_inv
	s_clause 0x7
	scratch_load_b128 v[2:5], off, off offset:160
	scratch_load_b128 v[6:9], off, off offset:176
	;; [unrolled: 1-line block ×8, first 2 shown]
	v_mov_b32_e32 v1, 0
	s_mov_b32 s2, exec_lo
	ds_load_b128 v[38:41], v1 offset:880
	s_clause 0x1
	scratch_load_b128 v[34:37], off, off offset:288
	scratch_load_b128 v[42:45], off, off offset:144
	ds_load_b128 v[182:185], v1 offset:896
	scratch_load_b128 v[186:189], off, off offset:304
	s_waitcnt vmcnt(10) lgkmcnt(1)
	v_mul_f64 v[190:191], v[40:41], v[4:5]
	v_mul_f64 v[4:5], v[38:39], v[4:5]
	s_delay_alu instid0(VALU_DEP_2) | instskip(NEXT) | instid1(VALU_DEP_2)
	v_fma_f64 v[196:197], v[38:39], v[2:3], -v[190:191]
	v_fma_f64 v[198:199], v[40:41], v[2:3], v[4:5]
	scratch_load_b128 v[38:41], off, off offset:320
	ds_load_b128 v[2:5], v1 offset:912
	s_waitcnt vmcnt(10) lgkmcnt(1)
	v_mul_f64 v[194:195], v[182:183], v[8:9]
	v_mul_f64 v[8:9], v[184:185], v[8:9]
	ds_load_b128 v[190:193], v1 offset:928
	s_waitcnt vmcnt(9) lgkmcnt(1)
	v_mul_f64 v[200:201], v[2:3], v[12:13]
	v_mul_f64 v[12:13], v[4:5], v[12:13]
	v_fma_f64 v[184:185], v[184:185], v[6:7], v[194:195]
	v_fma_f64 v[182:183], v[182:183], v[6:7], -v[8:9]
	v_add_f64 v[194:195], v[196:197], 0
	v_add_f64 v[196:197], v[198:199], 0
	scratch_load_b128 v[6:9], off, off offset:336
	v_fma_f64 v[200:201], v[4:5], v[10:11], v[200:201]
	v_fma_f64 v[202:203], v[2:3], v[10:11], -v[12:13]
	scratch_load_b128 v[10:13], off, off offset:352
	ds_load_b128 v[2:5], v1 offset:944
	s_waitcnt vmcnt(10) lgkmcnt(1)
	v_mul_f64 v[198:199], v[190:191], v[16:17]
	v_mul_f64 v[16:17], v[192:193], v[16:17]
	v_add_f64 v[194:195], v[194:195], v[182:183]
	v_add_f64 v[196:197], v[196:197], v[184:185]
	s_waitcnt vmcnt(9) lgkmcnt(0)
	v_mul_f64 v[204:205], v[2:3], v[20:21]
	v_mul_f64 v[20:21], v[4:5], v[20:21]
	ds_load_b128 v[182:185], v1 offset:960
	v_fma_f64 v[192:193], v[192:193], v[14:15], v[198:199]
	v_fma_f64 v[190:191], v[190:191], v[14:15], -v[16:17]
	scratch_load_b128 v[14:17], off, off offset:368
	v_add_f64 v[194:195], v[194:195], v[202:203]
	v_add_f64 v[196:197], v[196:197], v[200:201]
	v_fma_f64 v[200:201], v[4:5], v[18:19], v[204:205]
	v_fma_f64 v[202:203], v[2:3], v[18:19], -v[20:21]
	scratch_load_b128 v[18:21], off, off offset:384
	ds_load_b128 v[2:5], v1 offset:976
	s_waitcnt vmcnt(10) lgkmcnt(1)
	v_mul_f64 v[198:199], v[182:183], v[24:25]
	v_mul_f64 v[24:25], v[184:185], v[24:25]
	s_waitcnt vmcnt(9) lgkmcnt(0)
	v_mul_f64 v[204:205], v[2:3], v[28:29]
	v_mul_f64 v[28:29], v[4:5], v[28:29]
	v_add_f64 v[194:195], v[194:195], v[190:191]
	v_add_f64 v[196:197], v[196:197], v[192:193]
	ds_load_b128 v[190:193], v1 offset:992
	v_fma_f64 v[184:185], v[184:185], v[22:23], v[198:199]
	v_fma_f64 v[182:183], v[182:183], v[22:23], -v[24:25]
	scratch_load_b128 v[22:25], off, off offset:400
	v_add_f64 v[194:195], v[194:195], v[202:203]
	v_add_f64 v[196:197], v[196:197], v[200:201]
	v_fma_f64 v[200:201], v[4:5], v[26:27], v[204:205]
	v_fma_f64 v[202:203], v[2:3], v[26:27], -v[28:29]
	scratch_load_b128 v[26:29], off, off offset:416
	ds_load_b128 v[2:5], v1 offset:1008
	s_waitcnt vmcnt(10) lgkmcnt(1)
	v_mul_f64 v[198:199], v[190:191], v[32:33]
	v_mul_f64 v[32:33], v[192:193], v[32:33]
	s_waitcnt vmcnt(9) lgkmcnt(0)
	v_mul_f64 v[204:205], v[2:3], v[36:37]
	v_mul_f64 v[36:37], v[4:5], v[36:37]
	v_add_f64 v[194:195], v[194:195], v[182:183]
	v_add_f64 v[196:197], v[196:197], v[184:185]
	ds_load_b128 v[182:185], v1 offset:1024
	v_fma_f64 v[192:193], v[192:193], v[30:31], v[198:199]
	v_fma_f64 v[190:191], v[190:191], v[30:31], -v[32:33]
	scratch_load_b128 v[30:33], off, off offset:432
	v_add_f64 v[194:195], v[194:195], v[202:203]
	v_add_f64 v[196:197], v[196:197], v[200:201]
	v_fma_f64 v[202:203], v[4:5], v[34:35], v[204:205]
	v_fma_f64 v[204:205], v[2:3], v[34:35], -v[36:37]
	scratch_load_b128 v[34:37], off, off offset:448
	ds_load_b128 v[2:5], v1 offset:1040
	s_waitcnt vmcnt(9) lgkmcnt(1)
	v_mul_f64 v[198:199], v[182:183], v[188:189]
	v_mul_f64 v[200:201], v[184:185], v[188:189]
	v_add_f64 v[194:195], v[194:195], v[190:191]
	v_add_f64 v[192:193], v[196:197], v[192:193]
	ds_load_b128 v[188:191], v1 offset:1056
	v_fma_f64 v[198:199], v[184:185], v[186:187], v[198:199]
	v_fma_f64 v[186:187], v[182:183], v[186:187], -v[200:201]
	scratch_load_b128 v[182:185], off, off offset:464
	s_waitcnt vmcnt(9) lgkmcnt(1)
	v_mul_f64 v[196:197], v[2:3], v[40:41]
	v_mul_f64 v[40:41], v[4:5], v[40:41]
	v_add_f64 v[194:195], v[194:195], v[204:205]
	v_add_f64 v[192:193], v[192:193], v[202:203]
	s_delay_alu instid0(VALU_DEP_4) | instskip(NEXT) | instid1(VALU_DEP_4)
	v_fma_f64 v[196:197], v[4:5], v[38:39], v[196:197]
	v_fma_f64 v[202:203], v[2:3], v[38:39], -v[40:41]
	scratch_load_b128 v[38:41], off, off offset:480
	ds_load_b128 v[2:5], v1 offset:1072
	s_waitcnt vmcnt(9) lgkmcnt(1)
	v_mul_f64 v[200:201], v[188:189], v[8:9]
	v_mul_f64 v[8:9], v[190:191], v[8:9]
	s_waitcnt vmcnt(8) lgkmcnt(0)
	v_mul_f64 v[204:205], v[2:3], v[12:13]
	v_mul_f64 v[12:13], v[4:5], v[12:13]
	v_add_f64 v[186:187], v[194:195], v[186:187]
	v_add_f64 v[198:199], v[192:193], v[198:199]
	ds_load_b128 v[192:195], v1 offset:1088
	v_fma_f64 v[190:191], v[190:191], v[6:7], v[200:201]
	v_fma_f64 v[188:189], v[188:189], v[6:7], -v[8:9]
	scratch_load_b128 v[6:9], off, off offset:496
	v_fma_f64 v[200:201], v[4:5], v[10:11], v[204:205]
	v_add_f64 v[186:187], v[186:187], v[202:203]
	v_add_f64 v[196:197], v[198:199], v[196:197]
	v_fma_f64 v[202:203], v[2:3], v[10:11], -v[12:13]
	scratch_load_b128 v[10:13], off, off offset:512
	ds_load_b128 v[2:5], v1 offset:1104
	s_waitcnt vmcnt(9) lgkmcnt(1)
	v_mul_f64 v[198:199], v[192:193], v[16:17]
	v_mul_f64 v[16:17], v[194:195], v[16:17]
	v_add_f64 v[204:205], v[186:187], v[188:189]
	v_add_f64 v[190:191], v[196:197], v[190:191]
	s_waitcnt vmcnt(8) lgkmcnt(0)
	v_mul_f64 v[196:197], v[2:3], v[20:21]
	v_mul_f64 v[20:21], v[4:5], v[20:21]
	ds_load_b128 v[186:189], v1 offset:1120
	v_fma_f64 v[194:195], v[194:195], v[14:15], v[198:199]
	v_fma_f64 v[192:193], v[192:193], v[14:15], -v[16:17]
	scratch_load_b128 v[14:17], off, off offset:528
	v_add_f64 v[198:199], v[204:205], v[202:203]
	v_add_f64 v[190:191], v[190:191], v[200:201]
	v_fma_f64 v[196:197], v[4:5], v[18:19], v[196:197]
	v_fma_f64 v[202:203], v[2:3], v[18:19], -v[20:21]
	scratch_load_b128 v[18:21], off, off offset:544
	ds_load_b128 v[2:5], v1 offset:1136
	s_waitcnt vmcnt(9) lgkmcnt(1)
	v_mul_f64 v[200:201], v[186:187], v[24:25]
	v_mul_f64 v[24:25], v[188:189], v[24:25]
	s_waitcnt vmcnt(8) lgkmcnt(0)
	v_mul_f64 v[204:205], v[2:3], v[28:29]
	v_mul_f64 v[28:29], v[4:5], v[28:29]
	v_add_f64 v[198:199], v[198:199], v[192:193]
	v_add_f64 v[194:195], v[190:191], v[194:195]
	ds_load_b128 v[190:193], v1 offset:1152
	v_fma_f64 v[188:189], v[188:189], v[22:23], v[200:201]
	v_fma_f64 v[186:187], v[186:187], v[22:23], -v[24:25]
	scratch_load_b128 v[22:25], off, off offset:560
	v_fma_f64 v[200:201], v[4:5], v[26:27], v[204:205]
	v_add_f64 v[198:199], v[198:199], v[202:203]
	v_add_f64 v[194:195], v[194:195], v[196:197]
	v_fma_f64 v[202:203], v[2:3], v[26:27], -v[28:29]
	scratch_load_b128 v[26:29], off, off offset:576
	ds_load_b128 v[2:5], v1 offset:1168
	s_waitcnt vmcnt(9) lgkmcnt(1)
	v_mul_f64 v[196:197], v[190:191], v[32:33]
	v_mul_f64 v[32:33], v[192:193], v[32:33]
	s_waitcnt vmcnt(8) lgkmcnt(0)
	v_mul_f64 v[204:205], v[2:3], v[36:37]
	v_mul_f64 v[36:37], v[4:5], v[36:37]
	v_add_f64 v[198:199], v[198:199], v[186:187]
	v_add_f64 v[194:195], v[194:195], v[188:189]
	ds_load_b128 v[186:189], v1 offset:1184
	v_fma_f64 v[192:193], v[192:193], v[30:31], v[196:197]
	v_fma_f64 v[190:191], v[190:191], v[30:31], -v[32:33]
	scratch_load_b128 v[30:33], off, off offset:592
	v_add_f64 v[196:197], v[198:199], v[202:203]
	v_add_f64 v[194:195], v[194:195], v[200:201]
	v_fma_f64 v[200:201], v[4:5], v[34:35], v[204:205]
	v_fma_f64 v[202:203], v[2:3], v[34:35], -v[36:37]
	scratch_load_b128 v[34:37], off, off offset:608
	ds_load_b128 v[2:5], v1 offset:1200
	s_waitcnt vmcnt(9) lgkmcnt(1)
	v_mul_f64 v[198:199], v[186:187], v[184:185]
	v_mul_f64 v[184:185], v[188:189], v[184:185]
	s_waitcnt vmcnt(8) lgkmcnt(0)
	v_mul_f64 v[204:205], v[2:3], v[40:41]
	v_mul_f64 v[40:41], v[4:5], v[40:41]
	v_add_f64 v[196:197], v[196:197], v[190:191]
	v_add_f64 v[194:195], v[194:195], v[192:193]
	ds_load_b128 v[190:193], v1 offset:1216
	v_fma_f64 v[188:189], v[188:189], v[182:183], v[198:199]
	v_fma_f64 v[186:187], v[186:187], v[182:183], -v[184:185]
	scratch_load_b128 v[182:185], off, off offset:624
	v_add_f64 v[196:197], v[196:197], v[202:203]
	v_add_f64 v[194:195], v[194:195], v[200:201]
	v_fma_f64 v[200:201], v[4:5], v[38:39], v[204:205]
	;; [unrolled: 18-line block ×4, first 2 shown]
	v_fma_f64 v[202:203], v[2:3], v[18:19], -v[20:21]
	scratch_load_b128 v[18:21], off, off offset:704
	ds_load_b128 v[2:5], v1 offset:1296
	s_waitcnt vmcnt(9) lgkmcnt(1)
	v_mul_f64 v[198:199], v[190:191], v[24:25]
	v_mul_f64 v[24:25], v[192:193], v[24:25]
	s_waitcnt vmcnt(8) lgkmcnt(0)
	v_mul_f64 v[204:205], v[2:3], v[28:29]
	v_mul_f64 v[28:29], v[4:5], v[28:29]
	v_add_f64 v[196:197], v[196:197], v[186:187]
	v_add_f64 v[194:195], v[194:195], v[188:189]
	ds_load_b128 v[186:189], v1 offset:1312
	v_fma_f64 v[192:193], v[192:193], v[22:23], v[198:199]
	v_fma_f64 v[22:23], v[190:191], v[22:23], -v[24:25]
	v_add_f64 v[24:25], v[196:197], v[202:203]
	v_add_f64 v[190:191], v[194:195], v[200:201]
	s_waitcnt vmcnt(7) lgkmcnt(0)
	v_mul_f64 v[194:195], v[186:187], v[32:33]
	v_mul_f64 v[32:33], v[188:189], v[32:33]
	v_fma_f64 v[196:197], v[4:5], v[26:27], v[204:205]
	v_fma_f64 v[26:27], v[2:3], v[26:27], -v[28:29]
	v_add_f64 v[28:29], v[24:25], v[22:23]
	v_add_f64 v[190:191], v[190:191], v[192:193]
	ds_load_b128 v[2:5], v1 offset:1328
	ds_load_b128 v[22:25], v1 offset:1344
	v_fma_f64 v[188:189], v[188:189], v[30:31], v[194:195]
	v_fma_f64 v[30:31], v[186:187], v[30:31], -v[32:33]
	s_waitcnt vmcnt(6) lgkmcnt(1)
	v_mul_f64 v[192:193], v[2:3], v[36:37]
	v_mul_f64 v[36:37], v[4:5], v[36:37]
	s_waitcnt vmcnt(5) lgkmcnt(0)
	v_mul_f64 v[32:33], v[22:23], v[184:185]
	v_mul_f64 v[184:185], v[24:25], v[184:185]
	v_add_f64 v[26:27], v[28:29], v[26:27]
	v_add_f64 v[28:29], v[190:191], v[196:197]
	v_fma_f64 v[186:187], v[4:5], v[34:35], v[192:193]
	v_fma_f64 v[34:35], v[2:3], v[34:35], -v[36:37]
	v_fma_f64 v[24:25], v[24:25], v[182:183], v[32:33]
	v_fma_f64 v[22:23], v[22:23], v[182:183], -v[184:185]
	v_add_f64 v[30:31], v[26:27], v[30:31]
	v_add_f64 v[36:37], v[28:29], v[188:189]
	ds_load_b128 v[2:5], v1 offset:1360
	ds_load_b128 v[26:29], v1 offset:1376
	s_waitcnt vmcnt(4) lgkmcnt(1)
	v_mul_f64 v[188:189], v[2:3], v[40:41]
	v_mul_f64 v[40:41], v[4:5], v[40:41]
	v_add_f64 v[30:31], v[30:31], v[34:35]
	v_add_f64 v[32:33], v[36:37], v[186:187]
	s_waitcnt vmcnt(3) lgkmcnt(0)
	v_mul_f64 v[34:35], v[26:27], v[8:9]
	v_mul_f64 v[8:9], v[28:29], v[8:9]
	v_fma_f64 v[36:37], v[4:5], v[38:39], v[188:189]
	v_fma_f64 v[38:39], v[2:3], v[38:39], -v[40:41]
	v_add_f64 v[30:31], v[30:31], v[22:23]
	v_add_f64 v[32:33], v[32:33], v[24:25]
	ds_load_b128 v[2:5], v1 offset:1392
	ds_load_b128 v[22:25], v1 offset:1408
	v_fma_f64 v[28:29], v[28:29], v[6:7], v[34:35]
	v_fma_f64 v[6:7], v[26:27], v[6:7], -v[8:9]
	s_waitcnt vmcnt(2) lgkmcnt(1)
	v_mul_f64 v[40:41], v[2:3], v[12:13]
	v_mul_f64 v[12:13], v[4:5], v[12:13]
	v_add_f64 v[8:9], v[30:31], v[38:39]
	v_add_f64 v[26:27], v[32:33], v[36:37]
	s_waitcnt vmcnt(1) lgkmcnt(0)
	v_mul_f64 v[30:31], v[22:23], v[16:17]
	v_mul_f64 v[16:17], v[24:25], v[16:17]
	v_fma_f64 v[32:33], v[4:5], v[10:11], v[40:41]
	v_fma_f64 v[10:11], v[2:3], v[10:11], -v[12:13]
	ds_load_b128 v[2:5], v1 offset:1424
	v_add_f64 v[6:7], v[8:9], v[6:7]
	v_add_f64 v[8:9], v[26:27], v[28:29]
	v_fma_f64 v[24:25], v[24:25], v[14:15], v[30:31]
	v_fma_f64 v[14:15], v[22:23], v[14:15], -v[16:17]
	s_waitcnt vmcnt(0) lgkmcnt(0)
	v_mul_f64 v[12:13], v[2:3], v[20:21]
	v_mul_f64 v[20:21], v[4:5], v[20:21]
	v_add_f64 v[6:7], v[6:7], v[10:11]
	v_add_f64 v[8:9], v[8:9], v[32:33]
	s_delay_alu instid0(VALU_DEP_4) | instskip(NEXT) | instid1(VALU_DEP_4)
	v_fma_f64 v[4:5], v[4:5], v[18:19], v[12:13]
	v_fma_f64 v[2:3], v[2:3], v[18:19], -v[20:21]
	s_delay_alu instid0(VALU_DEP_4) | instskip(NEXT) | instid1(VALU_DEP_4)
	v_add_f64 v[6:7], v[6:7], v[14:15]
	v_add_f64 v[8:9], v[8:9], v[24:25]
	s_delay_alu instid0(VALU_DEP_2) | instskip(NEXT) | instid1(VALU_DEP_2)
	v_add_f64 v[2:3], v[6:7], v[2:3]
	v_add_f64 v[4:5], v[8:9], v[4:5]
	s_delay_alu instid0(VALU_DEP_2) | instskip(NEXT) | instid1(VALU_DEP_2)
	v_add_f64 v[2:3], v[42:43], -v[2:3]
	v_add_f64 v[4:5], v[44:45], -v[4:5]
	scratch_store_b128 off, v[2:5], off offset:144
	v_cmpx_lt_u32_e32 8, v136
	s_cbranch_execz .LBB108_267
; %bb.266:
	scratch_load_b128 v[5:8], v173, off
	v_mov_b32_e32 v2, v1
	v_mov_b32_e32 v3, v1
	;; [unrolled: 1-line block ×3, first 2 shown]
	scratch_store_b128 off, v[1:4], off offset:128
	s_waitcnt vmcnt(0)
	ds_store_b128 v181, v[5:8]
.LBB108_267:
	s_or_b32 exec_lo, exec_lo, s2
	s_waitcnt lgkmcnt(0)
	s_waitcnt_vscnt null, 0x0
	s_barrier
	buffer_gl0_inv
	s_clause 0x8
	scratch_load_b128 v[2:5], off, off offset:144
	scratch_load_b128 v[6:9], off, off offset:160
	;; [unrolled: 1-line block ×9, first 2 shown]
	ds_load_b128 v[42:45], v1 offset:864
	ds_load_b128 v[38:41], v1 offset:880
	s_clause 0x1
	scratch_load_b128 v[182:185], off, off offset:128
	scratch_load_b128 v[186:189], off, off offset:288
	s_mov_b32 s2, exec_lo
	s_waitcnt vmcnt(10) lgkmcnt(1)
	v_mul_f64 v[190:191], v[44:45], v[4:5]
	v_mul_f64 v[4:5], v[42:43], v[4:5]
	s_waitcnt vmcnt(9) lgkmcnt(0)
	v_mul_f64 v[194:195], v[38:39], v[8:9]
	v_mul_f64 v[8:9], v[40:41], v[8:9]
	s_delay_alu instid0(VALU_DEP_4) | instskip(NEXT) | instid1(VALU_DEP_4)
	v_fma_f64 v[196:197], v[42:43], v[2:3], -v[190:191]
	v_fma_f64 v[198:199], v[44:45], v[2:3], v[4:5]
	ds_load_b128 v[2:5], v1 offset:896
	ds_load_b128 v[190:193], v1 offset:912
	scratch_load_b128 v[42:45], off, off offset:304
	v_fma_f64 v[40:41], v[40:41], v[6:7], v[194:195]
	v_fma_f64 v[38:39], v[38:39], v[6:7], -v[8:9]
	scratch_load_b128 v[6:9], off, off offset:320
	s_waitcnt vmcnt(10) lgkmcnt(1)
	v_mul_f64 v[200:201], v[2:3], v[12:13]
	v_mul_f64 v[12:13], v[4:5], v[12:13]
	v_add_f64 v[194:195], v[196:197], 0
	v_add_f64 v[196:197], v[198:199], 0
	s_waitcnt vmcnt(9) lgkmcnt(0)
	v_mul_f64 v[198:199], v[190:191], v[16:17]
	v_mul_f64 v[16:17], v[192:193], v[16:17]
	v_fma_f64 v[200:201], v[4:5], v[10:11], v[200:201]
	v_fma_f64 v[202:203], v[2:3], v[10:11], -v[12:13]
	ds_load_b128 v[2:5], v1 offset:928
	scratch_load_b128 v[10:13], off, off offset:336
	v_add_f64 v[194:195], v[194:195], v[38:39]
	v_add_f64 v[196:197], v[196:197], v[40:41]
	ds_load_b128 v[38:41], v1 offset:944
	v_fma_f64 v[192:193], v[192:193], v[14:15], v[198:199]
	v_fma_f64 v[190:191], v[190:191], v[14:15], -v[16:17]
	scratch_load_b128 v[14:17], off, off offset:352
	s_waitcnt vmcnt(10) lgkmcnt(1)
	v_mul_f64 v[204:205], v[2:3], v[20:21]
	v_mul_f64 v[20:21], v[4:5], v[20:21]
	s_waitcnt vmcnt(9) lgkmcnt(0)
	v_mul_f64 v[198:199], v[38:39], v[24:25]
	v_mul_f64 v[24:25], v[40:41], v[24:25]
	v_add_f64 v[194:195], v[194:195], v[202:203]
	v_add_f64 v[196:197], v[196:197], v[200:201]
	v_fma_f64 v[200:201], v[4:5], v[18:19], v[204:205]
	v_fma_f64 v[202:203], v[2:3], v[18:19], -v[20:21]
	ds_load_b128 v[2:5], v1 offset:960
	scratch_load_b128 v[18:21], off, off offset:368
	v_fma_f64 v[40:41], v[40:41], v[22:23], v[198:199]
	v_fma_f64 v[38:39], v[38:39], v[22:23], -v[24:25]
	scratch_load_b128 v[22:25], off, off offset:384
	v_add_f64 v[194:195], v[194:195], v[190:191]
	v_add_f64 v[196:197], v[196:197], v[192:193]
	ds_load_b128 v[190:193], v1 offset:976
	s_waitcnt vmcnt(10) lgkmcnt(1)
	v_mul_f64 v[204:205], v[2:3], v[28:29]
	v_mul_f64 v[28:29], v[4:5], v[28:29]
	s_waitcnt vmcnt(9) lgkmcnt(0)
	v_mul_f64 v[198:199], v[190:191], v[32:33]
	v_mul_f64 v[32:33], v[192:193], v[32:33]
	v_add_f64 v[194:195], v[194:195], v[202:203]
	v_add_f64 v[196:197], v[196:197], v[200:201]
	v_fma_f64 v[200:201], v[4:5], v[26:27], v[204:205]
	v_fma_f64 v[202:203], v[2:3], v[26:27], -v[28:29]
	ds_load_b128 v[2:5], v1 offset:992
	scratch_load_b128 v[26:29], off, off offset:400
	v_fma_f64 v[192:193], v[192:193], v[30:31], v[198:199]
	v_fma_f64 v[190:191], v[190:191], v[30:31], -v[32:33]
	scratch_load_b128 v[30:33], off, off offset:416
	v_add_f64 v[194:195], v[194:195], v[38:39]
	v_add_f64 v[196:197], v[196:197], v[40:41]
	ds_load_b128 v[38:41], v1 offset:1008
	s_waitcnt vmcnt(10) lgkmcnt(1)
	v_mul_f64 v[204:205], v[2:3], v[36:37]
	v_mul_f64 v[36:37], v[4:5], v[36:37]
	s_waitcnt vmcnt(8) lgkmcnt(0)
	v_mul_f64 v[198:199], v[38:39], v[188:189]
	v_add_f64 v[194:195], v[194:195], v[202:203]
	v_add_f64 v[196:197], v[196:197], v[200:201]
	v_mul_f64 v[200:201], v[40:41], v[188:189]
	v_fma_f64 v[202:203], v[4:5], v[34:35], v[204:205]
	v_fma_f64 v[204:205], v[2:3], v[34:35], -v[36:37]
	ds_load_b128 v[2:5], v1 offset:1024
	scratch_load_b128 v[34:37], off, off offset:432
	v_fma_f64 v[198:199], v[40:41], v[186:187], v[198:199]
	v_add_f64 v[194:195], v[194:195], v[190:191]
	v_add_f64 v[192:193], v[196:197], v[192:193]
	ds_load_b128 v[188:191], v1 offset:1040
	v_fma_f64 v[186:187], v[38:39], v[186:187], -v[200:201]
	scratch_load_b128 v[38:41], off, off offset:448
	s_waitcnt vmcnt(9) lgkmcnt(1)
	v_mul_f64 v[196:197], v[2:3], v[44:45]
	v_mul_f64 v[44:45], v[4:5], v[44:45]
	s_waitcnt vmcnt(8) lgkmcnt(0)
	v_mul_f64 v[200:201], v[188:189], v[8:9]
	v_mul_f64 v[8:9], v[190:191], v[8:9]
	v_add_f64 v[194:195], v[194:195], v[204:205]
	v_add_f64 v[192:193], v[192:193], v[202:203]
	v_fma_f64 v[196:197], v[4:5], v[42:43], v[196:197]
	v_fma_f64 v[202:203], v[2:3], v[42:43], -v[44:45]
	ds_load_b128 v[2:5], v1 offset:1056
	scratch_load_b128 v[42:45], off, off offset:464
	v_fma_f64 v[190:191], v[190:191], v[6:7], v[200:201]
	v_fma_f64 v[188:189], v[188:189], v[6:7], -v[8:9]
	scratch_load_b128 v[6:9], off, off offset:480
	v_add_f64 v[186:187], v[194:195], v[186:187]
	v_add_f64 v[198:199], v[192:193], v[198:199]
	ds_load_b128 v[192:195], v1 offset:1072
	s_waitcnt vmcnt(9) lgkmcnt(1)
	v_mul_f64 v[204:205], v[2:3], v[12:13]
	v_mul_f64 v[12:13], v[4:5], v[12:13]
	v_add_f64 v[186:187], v[186:187], v[202:203]
	v_add_f64 v[196:197], v[198:199], v[196:197]
	s_waitcnt vmcnt(8) lgkmcnt(0)
	v_mul_f64 v[198:199], v[192:193], v[16:17]
	v_mul_f64 v[16:17], v[194:195], v[16:17]
	v_fma_f64 v[200:201], v[4:5], v[10:11], v[204:205]
	v_fma_f64 v[202:203], v[2:3], v[10:11], -v[12:13]
	ds_load_b128 v[2:5], v1 offset:1088
	scratch_load_b128 v[10:13], off, off offset:496
	v_add_f64 v[204:205], v[186:187], v[188:189]
	v_add_f64 v[190:191], v[196:197], v[190:191]
	ds_load_b128 v[186:189], v1 offset:1104
	s_waitcnt vmcnt(8) lgkmcnt(1)
	v_mul_f64 v[196:197], v[2:3], v[20:21]
	v_mul_f64 v[20:21], v[4:5], v[20:21]
	v_fma_f64 v[194:195], v[194:195], v[14:15], v[198:199]
	v_fma_f64 v[192:193], v[192:193], v[14:15], -v[16:17]
	scratch_load_b128 v[14:17], off, off offset:512
	v_add_f64 v[198:199], v[204:205], v[202:203]
	v_add_f64 v[190:191], v[190:191], v[200:201]
	s_waitcnt vmcnt(8) lgkmcnt(0)
	v_mul_f64 v[200:201], v[186:187], v[24:25]
	v_mul_f64 v[24:25], v[188:189], v[24:25]
	v_fma_f64 v[196:197], v[4:5], v[18:19], v[196:197]
	v_fma_f64 v[202:203], v[2:3], v[18:19], -v[20:21]
	ds_load_b128 v[2:5], v1 offset:1120
	scratch_load_b128 v[18:21], off, off offset:528
	v_add_f64 v[198:199], v[198:199], v[192:193]
	v_add_f64 v[194:195], v[190:191], v[194:195]
	ds_load_b128 v[190:193], v1 offset:1136
	s_waitcnt vmcnt(8) lgkmcnt(1)
	v_mul_f64 v[204:205], v[2:3], v[28:29]
	v_mul_f64 v[28:29], v[4:5], v[28:29]
	v_fma_f64 v[188:189], v[188:189], v[22:23], v[200:201]
	v_fma_f64 v[186:187], v[186:187], v[22:23], -v[24:25]
	scratch_load_b128 v[22:25], off, off offset:544
	;; [unrolled: 18-line block ×4, first 2 shown]
	s_waitcnt vmcnt(8) lgkmcnt(0)
	v_mul_f64 v[198:199], v[190:191], v[8:9]
	v_mul_f64 v[8:9], v[192:193], v[8:9]
	v_add_f64 v[196:197], v[196:197], v[202:203]
	v_add_f64 v[194:195], v[194:195], v[200:201]
	v_fma_f64 v[200:201], v[4:5], v[42:43], v[204:205]
	v_fma_f64 v[202:203], v[2:3], v[42:43], -v[44:45]
	ds_load_b128 v[2:5], v1 offset:1216
	scratch_load_b128 v[42:45], off, off offset:624
	v_fma_f64 v[192:193], v[192:193], v[6:7], v[198:199]
	v_fma_f64 v[190:191], v[190:191], v[6:7], -v[8:9]
	scratch_load_b128 v[6:9], off, off offset:640
	v_add_f64 v[196:197], v[196:197], v[186:187]
	v_add_f64 v[194:195], v[194:195], v[188:189]
	ds_load_b128 v[186:189], v1 offset:1232
	s_waitcnt vmcnt(9) lgkmcnt(1)
	v_mul_f64 v[204:205], v[2:3], v[12:13]
	v_mul_f64 v[12:13], v[4:5], v[12:13]
	s_waitcnt vmcnt(8) lgkmcnt(0)
	v_mul_f64 v[198:199], v[186:187], v[16:17]
	v_mul_f64 v[16:17], v[188:189], v[16:17]
	v_add_f64 v[196:197], v[196:197], v[202:203]
	v_add_f64 v[194:195], v[194:195], v[200:201]
	v_fma_f64 v[200:201], v[4:5], v[10:11], v[204:205]
	v_fma_f64 v[202:203], v[2:3], v[10:11], -v[12:13]
	ds_load_b128 v[2:5], v1 offset:1248
	scratch_load_b128 v[10:13], off, off offset:656
	v_fma_f64 v[188:189], v[188:189], v[14:15], v[198:199]
	v_fma_f64 v[186:187], v[186:187], v[14:15], -v[16:17]
	scratch_load_b128 v[14:17], off, off offset:672
	v_add_f64 v[196:197], v[196:197], v[190:191]
	v_add_f64 v[194:195], v[194:195], v[192:193]
	ds_load_b128 v[190:193], v1 offset:1264
	s_waitcnt vmcnt(9) lgkmcnt(1)
	v_mul_f64 v[204:205], v[2:3], v[20:21]
	v_mul_f64 v[20:21], v[4:5], v[20:21]
	;; [unrolled: 18-line block ×3, first 2 shown]
	s_waitcnt vmcnt(8) lgkmcnt(0)
	v_mul_f64 v[198:199], v[186:187], v[32:33]
	v_mul_f64 v[32:33], v[188:189], v[32:33]
	v_add_f64 v[196:197], v[196:197], v[202:203]
	v_add_f64 v[194:195], v[194:195], v[200:201]
	v_fma_f64 v[200:201], v[4:5], v[26:27], v[204:205]
	v_fma_f64 v[202:203], v[2:3], v[26:27], -v[28:29]
	ds_load_b128 v[2:5], v1 offset:1312
	ds_load_b128 v[26:29], v1 offset:1328
	v_fma_f64 v[188:189], v[188:189], v[30:31], v[198:199]
	v_fma_f64 v[30:31], v[186:187], v[30:31], -v[32:33]
	v_add_f64 v[190:191], v[196:197], v[190:191]
	v_add_f64 v[192:193], v[194:195], v[192:193]
	s_waitcnt vmcnt(7) lgkmcnt(1)
	v_mul_f64 v[194:195], v[2:3], v[36:37]
	v_mul_f64 v[36:37], v[4:5], v[36:37]
	s_delay_alu instid0(VALU_DEP_4) | instskip(NEXT) | instid1(VALU_DEP_4)
	v_add_f64 v[32:33], v[190:191], v[202:203]
	v_add_f64 v[186:187], v[192:193], v[200:201]
	s_waitcnt vmcnt(6) lgkmcnt(0)
	v_mul_f64 v[190:191], v[26:27], v[40:41]
	v_mul_f64 v[40:41], v[28:29], v[40:41]
	v_fma_f64 v[192:193], v[4:5], v[34:35], v[194:195]
	v_fma_f64 v[34:35], v[2:3], v[34:35], -v[36:37]
	v_add_f64 v[36:37], v[32:33], v[30:31]
	v_add_f64 v[186:187], v[186:187], v[188:189]
	ds_load_b128 v[2:5], v1 offset:1344
	ds_load_b128 v[30:33], v1 offset:1360
	v_fma_f64 v[28:29], v[28:29], v[38:39], v[190:191]
	v_fma_f64 v[26:27], v[26:27], v[38:39], -v[40:41]
	s_waitcnt vmcnt(5) lgkmcnt(1)
	v_mul_f64 v[188:189], v[2:3], v[44:45]
	v_mul_f64 v[44:45], v[4:5], v[44:45]
	s_waitcnt vmcnt(4) lgkmcnt(0)
	v_mul_f64 v[38:39], v[30:31], v[8:9]
	v_mul_f64 v[8:9], v[32:33], v[8:9]
	v_add_f64 v[34:35], v[36:37], v[34:35]
	v_add_f64 v[36:37], v[186:187], v[192:193]
	v_fma_f64 v[40:41], v[4:5], v[42:43], v[188:189]
	v_fma_f64 v[42:43], v[2:3], v[42:43], -v[44:45]
	v_fma_f64 v[32:33], v[32:33], v[6:7], v[38:39]
	v_fma_f64 v[6:7], v[30:31], v[6:7], -v[8:9]
	v_add_f64 v[34:35], v[34:35], v[26:27]
	v_add_f64 v[36:37], v[36:37], v[28:29]
	ds_load_b128 v[2:5], v1 offset:1376
	ds_load_b128 v[26:29], v1 offset:1392
	s_waitcnt vmcnt(3) lgkmcnt(1)
	v_mul_f64 v[44:45], v[2:3], v[12:13]
	v_mul_f64 v[12:13], v[4:5], v[12:13]
	v_add_f64 v[8:9], v[34:35], v[42:43]
	v_add_f64 v[30:31], v[36:37], v[40:41]
	s_waitcnt vmcnt(2) lgkmcnt(0)
	v_mul_f64 v[34:35], v[26:27], v[16:17]
	v_mul_f64 v[16:17], v[28:29], v[16:17]
	v_fma_f64 v[36:37], v[4:5], v[10:11], v[44:45]
	v_fma_f64 v[10:11], v[2:3], v[10:11], -v[12:13]
	v_add_f64 v[12:13], v[8:9], v[6:7]
	v_add_f64 v[30:31], v[30:31], v[32:33]
	ds_load_b128 v[2:5], v1 offset:1408
	ds_load_b128 v[6:9], v1 offset:1424
	v_fma_f64 v[28:29], v[28:29], v[14:15], v[34:35]
	v_fma_f64 v[14:15], v[26:27], v[14:15], -v[16:17]
	s_waitcnt vmcnt(1) lgkmcnt(1)
	v_mul_f64 v[32:33], v[2:3], v[20:21]
	v_mul_f64 v[20:21], v[4:5], v[20:21]
	s_waitcnt vmcnt(0) lgkmcnt(0)
	v_mul_f64 v[16:17], v[6:7], v[24:25]
	v_mul_f64 v[24:25], v[8:9], v[24:25]
	v_add_f64 v[10:11], v[12:13], v[10:11]
	v_add_f64 v[12:13], v[30:31], v[36:37]
	v_fma_f64 v[4:5], v[4:5], v[18:19], v[32:33]
	v_fma_f64 v[1:2], v[2:3], v[18:19], -v[20:21]
	v_fma_f64 v[8:9], v[8:9], v[22:23], v[16:17]
	v_fma_f64 v[6:7], v[6:7], v[22:23], -v[24:25]
	v_add_f64 v[10:11], v[10:11], v[14:15]
	v_add_f64 v[12:13], v[12:13], v[28:29]
	s_delay_alu instid0(VALU_DEP_2) | instskip(NEXT) | instid1(VALU_DEP_2)
	v_add_f64 v[1:2], v[10:11], v[1:2]
	v_add_f64 v[3:4], v[12:13], v[4:5]
	s_delay_alu instid0(VALU_DEP_2) | instskip(NEXT) | instid1(VALU_DEP_2)
	;; [unrolled: 3-line block ×3, first 2 shown]
	v_add_f64 v[1:2], v[182:183], -v[1:2]
	v_add_f64 v[3:4], v[184:185], -v[3:4]
	scratch_store_b128 off, v[1:4], off offset:128
	v_cmpx_lt_u32_e32 7, v136
	s_cbranch_execz .LBB108_269
; %bb.268:
	scratch_load_b128 v[1:4], v174, off
	v_mov_b32_e32 v5, 0
	s_delay_alu instid0(VALU_DEP_1)
	v_mov_b32_e32 v6, v5
	v_mov_b32_e32 v7, v5
	;; [unrolled: 1-line block ×3, first 2 shown]
	scratch_store_b128 off, v[5:8], off offset:112
	s_waitcnt vmcnt(0)
	ds_store_b128 v181, v[1:4]
.LBB108_269:
	s_or_b32 exec_lo, exec_lo, s2
	s_waitcnt lgkmcnt(0)
	s_waitcnt_vscnt null, 0x0
	s_barrier
	buffer_gl0_inv
	s_clause 0x7
	scratch_load_b128 v[2:5], off, off offset:128
	scratch_load_b128 v[6:9], off, off offset:144
	;; [unrolled: 1-line block ×8, first 2 shown]
	v_mov_b32_e32 v1, 0
	s_mov_b32 s2, exec_lo
	ds_load_b128 v[38:41], v1 offset:848
	s_clause 0x1
	scratch_load_b128 v[34:37], off, off offset:256
	scratch_load_b128 v[42:45], off, off offset:112
	ds_load_b128 v[182:185], v1 offset:864
	scratch_load_b128 v[186:189], off, off offset:272
	s_waitcnt vmcnt(10) lgkmcnt(1)
	v_mul_f64 v[190:191], v[40:41], v[4:5]
	v_mul_f64 v[4:5], v[38:39], v[4:5]
	s_delay_alu instid0(VALU_DEP_2) | instskip(NEXT) | instid1(VALU_DEP_2)
	v_fma_f64 v[196:197], v[38:39], v[2:3], -v[190:191]
	v_fma_f64 v[198:199], v[40:41], v[2:3], v[4:5]
	scratch_load_b128 v[38:41], off, off offset:288
	ds_load_b128 v[2:5], v1 offset:880
	s_waitcnt vmcnt(10) lgkmcnt(1)
	v_mul_f64 v[194:195], v[182:183], v[8:9]
	v_mul_f64 v[8:9], v[184:185], v[8:9]
	ds_load_b128 v[190:193], v1 offset:896
	s_waitcnt vmcnt(9) lgkmcnt(1)
	v_mul_f64 v[200:201], v[2:3], v[12:13]
	v_mul_f64 v[12:13], v[4:5], v[12:13]
	v_fma_f64 v[184:185], v[184:185], v[6:7], v[194:195]
	v_fma_f64 v[182:183], v[182:183], v[6:7], -v[8:9]
	v_add_f64 v[194:195], v[196:197], 0
	v_add_f64 v[196:197], v[198:199], 0
	scratch_load_b128 v[6:9], off, off offset:304
	v_fma_f64 v[200:201], v[4:5], v[10:11], v[200:201]
	v_fma_f64 v[202:203], v[2:3], v[10:11], -v[12:13]
	scratch_load_b128 v[10:13], off, off offset:320
	ds_load_b128 v[2:5], v1 offset:912
	s_waitcnt vmcnt(10) lgkmcnt(1)
	v_mul_f64 v[198:199], v[190:191], v[16:17]
	v_mul_f64 v[16:17], v[192:193], v[16:17]
	v_add_f64 v[194:195], v[194:195], v[182:183]
	v_add_f64 v[196:197], v[196:197], v[184:185]
	s_waitcnt vmcnt(9) lgkmcnt(0)
	v_mul_f64 v[204:205], v[2:3], v[20:21]
	v_mul_f64 v[20:21], v[4:5], v[20:21]
	ds_load_b128 v[182:185], v1 offset:928
	v_fma_f64 v[192:193], v[192:193], v[14:15], v[198:199]
	v_fma_f64 v[190:191], v[190:191], v[14:15], -v[16:17]
	scratch_load_b128 v[14:17], off, off offset:336
	v_add_f64 v[194:195], v[194:195], v[202:203]
	v_add_f64 v[196:197], v[196:197], v[200:201]
	v_fma_f64 v[200:201], v[4:5], v[18:19], v[204:205]
	v_fma_f64 v[202:203], v[2:3], v[18:19], -v[20:21]
	scratch_load_b128 v[18:21], off, off offset:352
	ds_load_b128 v[2:5], v1 offset:944
	s_waitcnt vmcnt(10) lgkmcnt(1)
	v_mul_f64 v[198:199], v[182:183], v[24:25]
	v_mul_f64 v[24:25], v[184:185], v[24:25]
	s_waitcnt vmcnt(9) lgkmcnt(0)
	v_mul_f64 v[204:205], v[2:3], v[28:29]
	v_mul_f64 v[28:29], v[4:5], v[28:29]
	v_add_f64 v[194:195], v[194:195], v[190:191]
	v_add_f64 v[196:197], v[196:197], v[192:193]
	ds_load_b128 v[190:193], v1 offset:960
	v_fma_f64 v[184:185], v[184:185], v[22:23], v[198:199]
	v_fma_f64 v[182:183], v[182:183], v[22:23], -v[24:25]
	scratch_load_b128 v[22:25], off, off offset:368
	v_add_f64 v[194:195], v[194:195], v[202:203]
	v_add_f64 v[196:197], v[196:197], v[200:201]
	v_fma_f64 v[200:201], v[4:5], v[26:27], v[204:205]
	v_fma_f64 v[202:203], v[2:3], v[26:27], -v[28:29]
	scratch_load_b128 v[26:29], off, off offset:384
	ds_load_b128 v[2:5], v1 offset:976
	s_waitcnt vmcnt(10) lgkmcnt(1)
	v_mul_f64 v[198:199], v[190:191], v[32:33]
	v_mul_f64 v[32:33], v[192:193], v[32:33]
	s_waitcnt vmcnt(9) lgkmcnt(0)
	v_mul_f64 v[204:205], v[2:3], v[36:37]
	v_mul_f64 v[36:37], v[4:5], v[36:37]
	v_add_f64 v[194:195], v[194:195], v[182:183]
	v_add_f64 v[196:197], v[196:197], v[184:185]
	ds_load_b128 v[182:185], v1 offset:992
	v_fma_f64 v[192:193], v[192:193], v[30:31], v[198:199]
	v_fma_f64 v[190:191], v[190:191], v[30:31], -v[32:33]
	scratch_load_b128 v[30:33], off, off offset:400
	v_add_f64 v[194:195], v[194:195], v[202:203]
	v_add_f64 v[196:197], v[196:197], v[200:201]
	v_fma_f64 v[202:203], v[4:5], v[34:35], v[204:205]
	v_fma_f64 v[204:205], v[2:3], v[34:35], -v[36:37]
	scratch_load_b128 v[34:37], off, off offset:416
	ds_load_b128 v[2:5], v1 offset:1008
	s_waitcnt vmcnt(9) lgkmcnt(1)
	v_mul_f64 v[198:199], v[182:183], v[188:189]
	v_mul_f64 v[200:201], v[184:185], v[188:189]
	v_add_f64 v[194:195], v[194:195], v[190:191]
	v_add_f64 v[192:193], v[196:197], v[192:193]
	ds_load_b128 v[188:191], v1 offset:1024
	v_fma_f64 v[198:199], v[184:185], v[186:187], v[198:199]
	v_fma_f64 v[186:187], v[182:183], v[186:187], -v[200:201]
	scratch_load_b128 v[182:185], off, off offset:432
	s_waitcnt vmcnt(9) lgkmcnt(1)
	v_mul_f64 v[196:197], v[2:3], v[40:41]
	v_mul_f64 v[40:41], v[4:5], v[40:41]
	v_add_f64 v[194:195], v[194:195], v[204:205]
	v_add_f64 v[192:193], v[192:193], v[202:203]
	s_delay_alu instid0(VALU_DEP_4) | instskip(NEXT) | instid1(VALU_DEP_4)
	v_fma_f64 v[196:197], v[4:5], v[38:39], v[196:197]
	v_fma_f64 v[202:203], v[2:3], v[38:39], -v[40:41]
	scratch_load_b128 v[38:41], off, off offset:448
	ds_load_b128 v[2:5], v1 offset:1040
	s_waitcnt vmcnt(9) lgkmcnt(1)
	v_mul_f64 v[200:201], v[188:189], v[8:9]
	v_mul_f64 v[8:9], v[190:191], v[8:9]
	s_waitcnt vmcnt(8) lgkmcnt(0)
	v_mul_f64 v[204:205], v[2:3], v[12:13]
	v_mul_f64 v[12:13], v[4:5], v[12:13]
	v_add_f64 v[186:187], v[194:195], v[186:187]
	v_add_f64 v[198:199], v[192:193], v[198:199]
	ds_load_b128 v[192:195], v1 offset:1056
	v_fma_f64 v[190:191], v[190:191], v[6:7], v[200:201]
	v_fma_f64 v[188:189], v[188:189], v[6:7], -v[8:9]
	scratch_load_b128 v[6:9], off, off offset:464
	v_fma_f64 v[200:201], v[4:5], v[10:11], v[204:205]
	v_add_f64 v[186:187], v[186:187], v[202:203]
	v_add_f64 v[196:197], v[198:199], v[196:197]
	v_fma_f64 v[202:203], v[2:3], v[10:11], -v[12:13]
	scratch_load_b128 v[10:13], off, off offset:480
	ds_load_b128 v[2:5], v1 offset:1072
	s_waitcnt vmcnt(9) lgkmcnt(1)
	v_mul_f64 v[198:199], v[192:193], v[16:17]
	v_mul_f64 v[16:17], v[194:195], v[16:17]
	v_add_f64 v[204:205], v[186:187], v[188:189]
	v_add_f64 v[190:191], v[196:197], v[190:191]
	s_waitcnt vmcnt(8) lgkmcnt(0)
	v_mul_f64 v[196:197], v[2:3], v[20:21]
	v_mul_f64 v[20:21], v[4:5], v[20:21]
	ds_load_b128 v[186:189], v1 offset:1088
	v_fma_f64 v[194:195], v[194:195], v[14:15], v[198:199]
	v_fma_f64 v[192:193], v[192:193], v[14:15], -v[16:17]
	scratch_load_b128 v[14:17], off, off offset:496
	v_add_f64 v[198:199], v[204:205], v[202:203]
	v_add_f64 v[190:191], v[190:191], v[200:201]
	v_fma_f64 v[196:197], v[4:5], v[18:19], v[196:197]
	v_fma_f64 v[202:203], v[2:3], v[18:19], -v[20:21]
	scratch_load_b128 v[18:21], off, off offset:512
	ds_load_b128 v[2:5], v1 offset:1104
	s_waitcnt vmcnt(9) lgkmcnt(1)
	v_mul_f64 v[200:201], v[186:187], v[24:25]
	v_mul_f64 v[24:25], v[188:189], v[24:25]
	s_waitcnt vmcnt(8) lgkmcnt(0)
	v_mul_f64 v[204:205], v[2:3], v[28:29]
	v_mul_f64 v[28:29], v[4:5], v[28:29]
	v_add_f64 v[198:199], v[198:199], v[192:193]
	v_add_f64 v[194:195], v[190:191], v[194:195]
	ds_load_b128 v[190:193], v1 offset:1120
	v_fma_f64 v[188:189], v[188:189], v[22:23], v[200:201]
	v_fma_f64 v[186:187], v[186:187], v[22:23], -v[24:25]
	scratch_load_b128 v[22:25], off, off offset:528
	v_fma_f64 v[200:201], v[4:5], v[26:27], v[204:205]
	v_add_f64 v[198:199], v[198:199], v[202:203]
	v_add_f64 v[194:195], v[194:195], v[196:197]
	v_fma_f64 v[202:203], v[2:3], v[26:27], -v[28:29]
	scratch_load_b128 v[26:29], off, off offset:544
	ds_load_b128 v[2:5], v1 offset:1136
	s_waitcnt vmcnt(9) lgkmcnt(1)
	v_mul_f64 v[196:197], v[190:191], v[32:33]
	v_mul_f64 v[32:33], v[192:193], v[32:33]
	s_waitcnt vmcnt(8) lgkmcnt(0)
	v_mul_f64 v[204:205], v[2:3], v[36:37]
	v_mul_f64 v[36:37], v[4:5], v[36:37]
	v_add_f64 v[198:199], v[198:199], v[186:187]
	v_add_f64 v[194:195], v[194:195], v[188:189]
	ds_load_b128 v[186:189], v1 offset:1152
	v_fma_f64 v[192:193], v[192:193], v[30:31], v[196:197]
	v_fma_f64 v[190:191], v[190:191], v[30:31], -v[32:33]
	scratch_load_b128 v[30:33], off, off offset:560
	v_add_f64 v[196:197], v[198:199], v[202:203]
	v_add_f64 v[194:195], v[194:195], v[200:201]
	v_fma_f64 v[200:201], v[4:5], v[34:35], v[204:205]
	v_fma_f64 v[202:203], v[2:3], v[34:35], -v[36:37]
	scratch_load_b128 v[34:37], off, off offset:576
	ds_load_b128 v[2:5], v1 offset:1168
	s_waitcnt vmcnt(9) lgkmcnt(1)
	v_mul_f64 v[198:199], v[186:187], v[184:185]
	v_mul_f64 v[184:185], v[188:189], v[184:185]
	s_waitcnt vmcnt(8) lgkmcnt(0)
	v_mul_f64 v[204:205], v[2:3], v[40:41]
	v_mul_f64 v[40:41], v[4:5], v[40:41]
	v_add_f64 v[196:197], v[196:197], v[190:191]
	v_add_f64 v[194:195], v[194:195], v[192:193]
	ds_load_b128 v[190:193], v1 offset:1184
	v_fma_f64 v[188:189], v[188:189], v[182:183], v[198:199]
	v_fma_f64 v[186:187], v[186:187], v[182:183], -v[184:185]
	scratch_load_b128 v[182:185], off, off offset:592
	v_add_f64 v[196:197], v[196:197], v[202:203]
	v_add_f64 v[194:195], v[194:195], v[200:201]
	v_fma_f64 v[200:201], v[4:5], v[38:39], v[204:205]
	;; [unrolled: 18-line block ×5, first 2 shown]
	v_fma_f64 v[202:203], v[2:3], v[26:27], -v[28:29]
	scratch_load_b128 v[26:29], off, off offset:704
	ds_load_b128 v[2:5], v1 offset:1296
	s_waitcnt vmcnt(9) lgkmcnt(1)
	v_mul_f64 v[198:199], v[186:187], v[32:33]
	v_mul_f64 v[32:33], v[188:189], v[32:33]
	s_waitcnt vmcnt(8) lgkmcnt(0)
	v_mul_f64 v[204:205], v[2:3], v[36:37]
	v_mul_f64 v[36:37], v[4:5], v[36:37]
	v_add_f64 v[196:197], v[196:197], v[190:191]
	v_add_f64 v[194:195], v[194:195], v[192:193]
	ds_load_b128 v[190:193], v1 offset:1312
	v_fma_f64 v[188:189], v[188:189], v[30:31], v[198:199]
	v_fma_f64 v[30:31], v[186:187], v[30:31], -v[32:33]
	v_add_f64 v[32:33], v[196:197], v[202:203]
	v_add_f64 v[186:187], v[194:195], v[200:201]
	s_waitcnt vmcnt(7) lgkmcnt(0)
	v_mul_f64 v[194:195], v[190:191], v[184:185]
	v_mul_f64 v[184:185], v[192:193], v[184:185]
	v_fma_f64 v[196:197], v[4:5], v[34:35], v[204:205]
	v_fma_f64 v[34:35], v[2:3], v[34:35], -v[36:37]
	v_add_f64 v[36:37], v[32:33], v[30:31]
	v_add_f64 v[186:187], v[186:187], v[188:189]
	ds_load_b128 v[2:5], v1 offset:1328
	ds_load_b128 v[30:33], v1 offset:1344
	v_fma_f64 v[192:193], v[192:193], v[182:183], v[194:195]
	v_fma_f64 v[182:183], v[190:191], v[182:183], -v[184:185]
	s_waitcnt vmcnt(6) lgkmcnt(1)
	v_mul_f64 v[188:189], v[2:3], v[40:41]
	v_mul_f64 v[40:41], v[4:5], v[40:41]
	s_waitcnt vmcnt(5) lgkmcnt(0)
	v_mul_f64 v[184:185], v[30:31], v[8:9]
	v_mul_f64 v[8:9], v[32:33], v[8:9]
	v_add_f64 v[34:35], v[36:37], v[34:35]
	v_add_f64 v[36:37], v[186:187], v[196:197]
	v_fma_f64 v[186:187], v[4:5], v[38:39], v[188:189]
	v_fma_f64 v[38:39], v[2:3], v[38:39], -v[40:41]
	v_fma_f64 v[32:33], v[32:33], v[6:7], v[184:185]
	v_fma_f64 v[6:7], v[30:31], v[6:7], -v[8:9]
	v_add_f64 v[40:41], v[34:35], v[182:183]
	v_add_f64 v[182:183], v[36:37], v[192:193]
	ds_load_b128 v[2:5], v1 offset:1360
	ds_load_b128 v[34:37], v1 offset:1376
	s_waitcnt vmcnt(4) lgkmcnt(1)
	v_mul_f64 v[188:189], v[2:3], v[12:13]
	v_mul_f64 v[12:13], v[4:5], v[12:13]
	v_add_f64 v[8:9], v[40:41], v[38:39]
	v_add_f64 v[30:31], v[182:183], v[186:187]
	s_waitcnt vmcnt(3) lgkmcnt(0)
	v_mul_f64 v[38:39], v[34:35], v[16:17]
	v_mul_f64 v[16:17], v[36:37], v[16:17]
	v_fma_f64 v[40:41], v[4:5], v[10:11], v[188:189]
	v_fma_f64 v[10:11], v[2:3], v[10:11], -v[12:13]
	v_add_f64 v[12:13], v[8:9], v[6:7]
	v_add_f64 v[30:31], v[30:31], v[32:33]
	ds_load_b128 v[2:5], v1 offset:1392
	ds_load_b128 v[6:9], v1 offset:1408
	v_fma_f64 v[36:37], v[36:37], v[14:15], v[38:39]
	v_fma_f64 v[14:15], v[34:35], v[14:15], -v[16:17]
	s_waitcnt vmcnt(2) lgkmcnt(1)
	v_mul_f64 v[32:33], v[2:3], v[20:21]
	v_mul_f64 v[20:21], v[4:5], v[20:21]
	s_waitcnt vmcnt(1) lgkmcnt(0)
	v_mul_f64 v[16:17], v[6:7], v[24:25]
	v_mul_f64 v[24:25], v[8:9], v[24:25]
	v_add_f64 v[10:11], v[12:13], v[10:11]
	v_add_f64 v[12:13], v[30:31], v[40:41]
	v_fma_f64 v[30:31], v[4:5], v[18:19], v[32:33]
	v_fma_f64 v[18:19], v[2:3], v[18:19], -v[20:21]
	ds_load_b128 v[2:5], v1 offset:1424
	v_fma_f64 v[8:9], v[8:9], v[22:23], v[16:17]
	v_fma_f64 v[6:7], v[6:7], v[22:23], -v[24:25]
	v_add_f64 v[10:11], v[10:11], v[14:15]
	v_add_f64 v[12:13], v[12:13], v[36:37]
	s_waitcnt vmcnt(0) lgkmcnt(0)
	v_mul_f64 v[14:15], v[2:3], v[28:29]
	v_mul_f64 v[20:21], v[4:5], v[28:29]
	s_delay_alu instid0(VALU_DEP_4) | instskip(NEXT) | instid1(VALU_DEP_4)
	v_add_f64 v[10:11], v[10:11], v[18:19]
	v_add_f64 v[12:13], v[12:13], v[30:31]
	s_delay_alu instid0(VALU_DEP_4) | instskip(NEXT) | instid1(VALU_DEP_4)
	v_fma_f64 v[4:5], v[4:5], v[26:27], v[14:15]
	v_fma_f64 v[2:3], v[2:3], v[26:27], -v[20:21]
	s_delay_alu instid0(VALU_DEP_4) | instskip(NEXT) | instid1(VALU_DEP_4)
	v_add_f64 v[6:7], v[10:11], v[6:7]
	v_add_f64 v[8:9], v[12:13], v[8:9]
	s_delay_alu instid0(VALU_DEP_2) | instskip(NEXT) | instid1(VALU_DEP_2)
	v_add_f64 v[2:3], v[6:7], v[2:3]
	v_add_f64 v[4:5], v[8:9], v[4:5]
	s_delay_alu instid0(VALU_DEP_2) | instskip(NEXT) | instid1(VALU_DEP_2)
	v_add_f64 v[2:3], v[42:43], -v[2:3]
	v_add_f64 v[4:5], v[44:45], -v[4:5]
	scratch_store_b128 off, v[2:5], off offset:112
	v_cmpx_lt_u32_e32 6, v136
	s_cbranch_execz .LBB108_271
; %bb.270:
	scratch_load_b128 v[5:8], v175, off
	v_mov_b32_e32 v2, v1
	v_mov_b32_e32 v3, v1
	;; [unrolled: 1-line block ×3, first 2 shown]
	scratch_store_b128 off, v[1:4], off offset:96
	s_waitcnt vmcnt(0)
	ds_store_b128 v181, v[5:8]
.LBB108_271:
	s_or_b32 exec_lo, exec_lo, s2
	s_waitcnt lgkmcnt(0)
	s_waitcnt_vscnt null, 0x0
	s_barrier
	buffer_gl0_inv
	s_clause 0x8
	scratch_load_b128 v[2:5], off, off offset:112
	scratch_load_b128 v[6:9], off, off offset:128
	;; [unrolled: 1-line block ×9, first 2 shown]
	ds_load_b128 v[42:45], v1 offset:832
	ds_load_b128 v[38:41], v1 offset:848
	s_clause 0x1
	scratch_load_b128 v[182:185], off, off offset:96
	scratch_load_b128 v[186:189], off, off offset:256
	s_mov_b32 s2, exec_lo
	s_waitcnt vmcnt(10) lgkmcnt(1)
	v_mul_f64 v[190:191], v[44:45], v[4:5]
	v_mul_f64 v[4:5], v[42:43], v[4:5]
	s_waitcnt vmcnt(9) lgkmcnt(0)
	v_mul_f64 v[194:195], v[38:39], v[8:9]
	v_mul_f64 v[8:9], v[40:41], v[8:9]
	s_delay_alu instid0(VALU_DEP_4) | instskip(NEXT) | instid1(VALU_DEP_4)
	v_fma_f64 v[196:197], v[42:43], v[2:3], -v[190:191]
	v_fma_f64 v[198:199], v[44:45], v[2:3], v[4:5]
	ds_load_b128 v[2:5], v1 offset:864
	ds_load_b128 v[190:193], v1 offset:880
	scratch_load_b128 v[42:45], off, off offset:272
	v_fma_f64 v[40:41], v[40:41], v[6:7], v[194:195]
	v_fma_f64 v[38:39], v[38:39], v[6:7], -v[8:9]
	scratch_load_b128 v[6:9], off, off offset:288
	s_waitcnt vmcnt(10) lgkmcnt(1)
	v_mul_f64 v[200:201], v[2:3], v[12:13]
	v_mul_f64 v[12:13], v[4:5], v[12:13]
	v_add_f64 v[194:195], v[196:197], 0
	v_add_f64 v[196:197], v[198:199], 0
	s_waitcnt vmcnt(9) lgkmcnt(0)
	v_mul_f64 v[198:199], v[190:191], v[16:17]
	v_mul_f64 v[16:17], v[192:193], v[16:17]
	v_fma_f64 v[200:201], v[4:5], v[10:11], v[200:201]
	v_fma_f64 v[202:203], v[2:3], v[10:11], -v[12:13]
	ds_load_b128 v[2:5], v1 offset:896
	scratch_load_b128 v[10:13], off, off offset:304
	v_add_f64 v[194:195], v[194:195], v[38:39]
	v_add_f64 v[196:197], v[196:197], v[40:41]
	ds_load_b128 v[38:41], v1 offset:912
	v_fma_f64 v[192:193], v[192:193], v[14:15], v[198:199]
	v_fma_f64 v[190:191], v[190:191], v[14:15], -v[16:17]
	scratch_load_b128 v[14:17], off, off offset:320
	s_waitcnt vmcnt(10) lgkmcnt(1)
	v_mul_f64 v[204:205], v[2:3], v[20:21]
	v_mul_f64 v[20:21], v[4:5], v[20:21]
	s_waitcnt vmcnt(9) lgkmcnt(0)
	v_mul_f64 v[198:199], v[38:39], v[24:25]
	v_mul_f64 v[24:25], v[40:41], v[24:25]
	v_add_f64 v[194:195], v[194:195], v[202:203]
	v_add_f64 v[196:197], v[196:197], v[200:201]
	v_fma_f64 v[200:201], v[4:5], v[18:19], v[204:205]
	v_fma_f64 v[202:203], v[2:3], v[18:19], -v[20:21]
	ds_load_b128 v[2:5], v1 offset:928
	scratch_load_b128 v[18:21], off, off offset:336
	v_fma_f64 v[40:41], v[40:41], v[22:23], v[198:199]
	v_fma_f64 v[38:39], v[38:39], v[22:23], -v[24:25]
	scratch_load_b128 v[22:25], off, off offset:352
	v_add_f64 v[194:195], v[194:195], v[190:191]
	v_add_f64 v[196:197], v[196:197], v[192:193]
	ds_load_b128 v[190:193], v1 offset:944
	s_waitcnt vmcnt(10) lgkmcnt(1)
	v_mul_f64 v[204:205], v[2:3], v[28:29]
	v_mul_f64 v[28:29], v[4:5], v[28:29]
	s_waitcnt vmcnt(9) lgkmcnt(0)
	v_mul_f64 v[198:199], v[190:191], v[32:33]
	v_mul_f64 v[32:33], v[192:193], v[32:33]
	v_add_f64 v[194:195], v[194:195], v[202:203]
	v_add_f64 v[196:197], v[196:197], v[200:201]
	v_fma_f64 v[200:201], v[4:5], v[26:27], v[204:205]
	v_fma_f64 v[202:203], v[2:3], v[26:27], -v[28:29]
	ds_load_b128 v[2:5], v1 offset:960
	scratch_load_b128 v[26:29], off, off offset:368
	v_fma_f64 v[192:193], v[192:193], v[30:31], v[198:199]
	v_fma_f64 v[190:191], v[190:191], v[30:31], -v[32:33]
	scratch_load_b128 v[30:33], off, off offset:384
	v_add_f64 v[194:195], v[194:195], v[38:39]
	v_add_f64 v[196:197], v[196:197], v[40:41]
	ds_load_b128 v[38:41], v1 offset:976
	s_waitcnt vmcnt(10) lgkmcnt(1)
	v_mul_f64 v[204:205], v[2:3], v[36:37]
	v_mul_f64 v[36:37], v[4:5], v[36:37]
	s_waitcnt vmcnt(8) lgkmcnt(0)
	v_mul_f64 v[198:199], v[38:39], v[188:189]
	v_add_f64 v[194:195], v[194:195], v[202:203]
	v_add_f64 v[196:197], v[196:197], v[200:201]
	v_mul_f64 v[200:201], v[40:41], v[188:189]
	v_fma_f64 v[202:203], v[4:5], v[34:35], v[204:205]
	v_fma_f64 v[204:205], v[2:3], v[34:35], -v[36:37]
	ds_load_b128 v[2:5], v1 offset:992
	scratch_load_b128 v[34:37], off, off offset:400
	v_fma_f64 v[198:199], v[40:41], v[186:187], v[198:199]
	v_add_f64 v[194:195], v[194:195], v[190:191]
	v_add_f64 v[192:193], v[196:197], v[192:193]
	ds_load_b128 v[188:191], v1 offset:1008
	v_fma_f64 v[186:187], v[38:39], v[186:187], -v[200:201]
	scratch_load_b128 v[38:41], off, off offset:416
	s_waitcnt vmcnt(9) lgkmcnt(1)
	v_mul_f64 v[196:197], v[2:3], v[44:45]
	v_mul_f64 v[44:45], v[4:5], v[44:45]
	s_waitcnt vmcnt(8) lgkmcnt(0)
	v_mul_f64 v[200:201], v[188:189], v[8:9]
	v_mul_f64 v[8:9], v[190:191], v[8:9]
	v_add_f64 v[194:195], v[194:195], v[204:205]
	v_add_f64 v[192:193], v[192:193], v[202:203]
	v_fma_f64 v[196:197], v[4:5], v[42:43], v[196:197]
	v_fma_f64 v[202:203], v[2:3], v[42:43], -v[44:45]
	ds_load_b128 v[2:5], v1 offset:1024
	scratch_load_b128 v[42:45], off, off offset:432
	v_fma_f64 v[190:191], v[190:191], v[6:7], v[200:201]
	v_fma_f64 v[188:189], v[188:189], v[6:7], -v[8:9]
	scratch_load_b128 v[6:9], off, off offset:448
	v_add_f64 v[186:187], v[194:195], v[186:187]
	v_add_f64 v[198:199], v[192:193], v[198:199]
	ds_load_b128 v[192:195], v1 offset:1040
	s_waitcnt vmcnt(9) lgkmcnt(1)
	v_mul_f64 v[204:205], v[2:3], v[12:13]
	v_mul_f64 v[12:13], v[4:5], v[12:13]
	v_add_f64 v[186:187], v[186:187], v[202:203]
	v_add_f64 v[196:197], v[198:199], v[196:197]
	s_waitcnt vmcnt(8) lgkmcnt(0)
	v_mul_f64 v[198:199], v[192:193], v[16:17]
	v_mul_f64 v[16:17], v[194:195], v[16:17]
	v_fma_f64 v[200:201], v[4:5], v[10:11], v[204:205]
	v_fma_f64 v[202:203], v[2:3], v[10:11], -v[12:13]
	ds_load_b128 v[2:5], v1 offset:1056
	scratch_load_b128 v[10:13], off, off offset:464
	v_add_f64 v[204:205], v[186:187], v[188:189]
	v_add_f64 v[190:191], v[196:197], v[190:191]
	ds_load_b128 v[186:189], v1 offset:1072
	s_waitcnt vmcnt(8) lgkmcnt(1)
	v_mul_f64 v[196:197], v[2:3], v[20:21]
	v_mul_f64 v[20:21], v[4:5], v[20:21]
	v_fma_f64 v[194:195], v[194:195], v[14:15], v[198:199]
	v_fma_f64 v[192:193], v[192:193], v[14:15], -v[16:17]
	scratch_load_b128 v[14:17], off, off offset:480
	v_add_f64 v[198:199], v[204:205], v[202:203]
	v_add_f64 v[190:191], v[190:191], v[200:201]
	s_waitcnt vmcnt(8) lgkmcnt(0)
	v_mul_f64 v[200:201], v[186:187], v[24:25]
	v_mul_f64 v[24:25], v[188:189], v[24:25]
	v_fma_f64 v[196:197], v[4:5], v[18:19], v[196:197]
	v_fma_f64 v[202:203], v[2:3], v[18:19], -v[20:21]
	ds_load_b128 v[2:5], v1 offset:1088
	scratch_load_b128 v[18:21], off, off offset:496
	v_add_f64 v[198:199], v[198:199], v[192:193]
	v_add_f64 v[194:195], v[190:191], v[194:195]
	ds_load_b128 v[190:193], v1 offset:1104
	s_waitcnt vmcnt(8) lgkmcnt(1)
	v_mul_f64 v[204:205], v[2:3], v[28:29]
	v_mul_f64 v[28:29], v[4:5], v[28:29]
	v_fma_f64 v[188:189], v[188:189], v[22:23], v[200:201]
	v_fma_f64 v[186:187], v[186:187], v[22:23], -v[24:25]
	scratch_load_b128 v[22:25], off, off offset:512
	;; [unrolled: 18-line block ×4, first 2 shown]
	s_waitcnt vmcnt(8) lgkmcnt(0)
	v_mul_f64 v[198:199], v[190:191], v[8:9]
	v_mul_f64 v[8:9], v[192:193], v[8:9]
	v_add_f64 v[196:197], v[196:197], v[202:203]
	v_add_f64 v[194:195], v[194:195], v[200:201]
	v_fma_f64 v[200:201], v[4:5], v[42:43], v[204:205]
	v_fma_f64 v[202:203], v[2:3], v[42:43], -v[44:45]
	ds_load_b128 v[2:5], v1 offset:1184
	scratch_load_b128 v[42:45], off, off offset:592
	v_fma_f64 v[192:193], v[192:193], v[6:7], v[198:199]
	v_fma_f64 v[190:191], v[190:191], v[6:7], -v[8:9]
	scratch_load_b128 v[6:9], off, off offset:608
	v_add_f64 v[196:197], v[196:197], v[186:187]
	v_add_f64 v[194:195], v[194:195], v[188:189]
	ds_load_b128 v[186:189], v1 offset:1200
	s_waitcnt vmcnt(9) lgkmcnt(1)
	v_mul_f64 v[204:205], v[2:3], v[12:13]
	v_mul_f64 v[12:13], v[4:5], v[12:13]
	s_waitcnt vmcnt(8) lgkmcnt(0)
	v_mul_f64 v[198:199], v[186:187], v[16:17]
	v_mul_f64 v[16:17], v[188:189], v[16:17]
	v_add_f64 v[196:197], v[196:197], v[202:203]
	v_add_f64 v[194:195], v[194:195], v[200:201]
	v_fma_f64 v[200:201], v[4:5], v[10:11], v[204:205]
	v_fma_f64 v[202:203], v[2:3], v[10:11], -v[12:13]
	ds_load_b128 v[2:5], v1 offset:1216
	scratch_load_b128 v[10:13], off, off offset:624
	v_fma_f64 v[188:189], v[188:189], v[14:15], v[198:199]
	v_fma_f64 v[186:187], v[186:187], v[14:15], -v[16:17]
	scratch_load_b128 v[14:17], off, off offset:640
	v_add_f64 v[196:197], v[196:197], v[190:191]
	v_add_f64 v[194:195], v[194:195], v[192:193]
	ds_load_b128 v[190:193], v1 offset:1232
	s_waitcnt vmcnt(9) lgkmcnt(1)
	v_mul_f64 v[204:205], v[2:3], v[20:21]
	v_mul_f64 v[20:21], v[4:5], v[20:21]
	;; [unrolled: 18-line block ×4, first 2 shown]
	s_waitcnt vmcnt(8) lgkmcnt(0)
	v_mul_f64 v[198:199], v[190:191], v[40:41]
	v_mul_f64 v[40:41], v[192:193], v[40:41]
	v_add_f64 v[196:197], v[196:197], v[202:203]
	v_add_f64 v[194:195], v[194:195], v[200:201]
	v_fma_f64 v[200:201], v[4:5], v[34:35], v[204:205]
	v_fma_f64 v[202:203], v[2:3], v[34:35], -v[36:37]
	ds_load_b128 v[2:5], v1 offset:1312
	ds_load_b128 v[34:37], v1 offset:1328
	v_fma_f64 v[192:193], v[192:193], v[38:39], v[198:199]
	v_fma_f64 v[38:39], v[190:191], v[38:39], -v[40:41]
	v_add_f64 v[186:187], v[196:197], v[186:187]
	v_add_f64 v[188:189], v[194:195], v[188:189]
	s_waitcnt vmcnt(7) lgkmcnt(1)
	v_mul_f64 v[194:195], v[2:3], v[44:45]
	v_mul_f64 v[44:45], v[4:5], v[44:45]
	s_delay_alu instid0(VALU_DEP_4) | instskip(NEXT) | instid1(VALU_DEP_4)
	v_add_f64 v[40:41], v[186:187], v[202:203]
	v_add_f64 v[186:187], v[188:189], v[200:201]
	s_waitcnt vmcnt(6) lgkmcnt(0)
	v_mul_f64 v[188:189], v[34:35], v[8:9]
	v_mul_f64 v[8:9], v[36:37], v[8:9]
	v_fma_f64 v[190:191], v[4:5], v[42:43], v[194:195]
	v_fma_f64 v[42:43], v[2:3], v[42:43], -v[44:45]
	v_add_f64 v[44:45], v[40:41], v[38:39]
	v_add_f64 v[186:187], v[186:187], v[192:193]
	ds_load_b128 v[2:5], v1 offset:1344
	ds_load_b128 v[38:41], v1 offset:1360
	v_fma_f64 v[36:37], v[36:37], v[6:7], v[188:189]
	v_fma_f64 v[6:7], v[34:35], v[6:7], -v[8:9]
	s_waitcnt vmcnt(5) lgkmcnt(1)
	v_mul_f64 v[192:193], v[2:3], v[12:13]
	v_mul_f64 v[12:13], v[4:5], v[12:13]
	v_add_f64 v[8:9], v[44:45], v[42:43]
	v_add_f64 v[34:35], v[186:187], v[190:191]
	s_waitcnt vmcnt(4) lgkmcnt(0)
	v_mul_f64 v[42:43], v[38:39], v[16:17]
	v_mul_f64 v[16:17], v[40:41], v[16:17]
	v_fma_f64 v[44:45], v[4:5], v[10:11], v[192:193]
	v_fma_f64 v[10:11], v[2:3], v[10:11], -v[12:13]
	v_add_f64 v[12:13], v[8:9], v[6:7]
	v_add_f64 v[34:35], v[34:35], v[36:37]
	ds_load_b128 v[2:5], v1 offset:1376
	ds_load_b128 v[6:9], v1 offset:1392
	v_fma_f64 v[40:41], v[40:41], v[14:15], v[42:43]
	v_fma_f64 v[14:15], v[38:39], v[14:15], -v[16:17]
	s_waitcnt vmcnt(3) lgkmcnt(1)
	v_mul_f64 v[36:37], v[2:3], v[20:21]
	v_mul_f64 v[20:21], v[4:5], v[20:21]
	s_waitcnt vmcnt(2) lgkmcnt(0)
	v_mul_f64 v[16:17], v[6:7], v[24:25]
	v_mul_f64 v[24:25], v[8:9], v[24:25]
	v_add_f64 v[10:11], v[12:13], v[10:11]
	v_add_f64 v[12:13], v[34:35], v[44:45]
	v_fma_f64 v[34:35], v[4:5], v[18:19], v[36:37]
	v_fma_f64 v[18:19], v[2:3], v[18:19], -v[20:21]
	v_fma_f64 v[8:9], v[8:9], v[22:23], v[16:17]
	v_fma_f64 v[6:7], v[6:7], v[22:23], -v[24:25]
	v_add_f64 v[14:15], v[10:11], v[14:15]
	v_add_f64 v[20:21], v[12:13], v[40:41]
	ds_load_b128 v[2:5], v1 offset:1408
	ds_load_b128 v[10:13], v1 offset:1424
	s_waitcnt vmcnt(1) lgkmcnt(1)
	v_mul_f64 v[36:37], v[2:3], v[28:29]
	v_mul_f64 v[28:29], v[4:5], v[28:29]
	v_add_f64 v[14:15], v[14:15], v[18:19]
	v_add_f64 v[16:17], v[20:21], v[34:35]
	s_waitcnt vmcnt(0) lgkmcnt(0)
	v_mul_f64 v[18:19], v[10:11], v[32:33]
	v_mul_f64 v[20:21], v[12:13], v[32:33]
	v_fma_f64 v[4:5], v[4:5], v[26:27], v[36:37]
	v_fma_f64 v[1:2], v[2:3], v[26:27], -v[28:29]
	v_add_f64 v[6:7], v[14:15], v[6:7]
	v_add_f64 v[8:9], v[16:17], v[8:9]
	v_fma_f64 v[12:13], v[12:13], v[30:31], v[18:19]
	v_fma_f64 v[10:11], v[10:11], v[30:31], -v[20:21]
	s_delay_alu instid0(VALU_DEP_4) | instskip(NEXT) | instid1(VALU_DEP_4)
	v_add_f64 v[1:2], v[6:7], v[1:2]
	v_add_f64 v[3:4], v[8:9], v[4:5]
	s_delay_alu instid0(VALU_DEP_2) | instskip(NEXT) | instid1(VALU_DEP_2)
	v_add_f64 v[1:2], v[1:2], v[10:11]
	v_add_f64 v[3:4], v[3:4], v[12:13]
	s_delay_alu instid0(VALU_DEP_2) | instskip(NEXT) | instid1(VALU_DEP_2)
	v_add_f64 v[1:2], v[182:183], -v[1:2]
	v_add_f64 v[3:4], v[184:185], -v[3:4]
	scratch_store_b128 off, v[1:4], off offset:96
	v_cmpx_lt_u32_e32 5, v136
	s_cbranch_execz .LBB108_273
; %bb.272:
	scratch_load_b128 v[1:4], v176, off
	v_mov_b32_e32 v5, 0
	s_delay_alu instid0(VALU_DEP_1)
	v_mov_b32_e32 v6, v5
	v_mov_b32_e32 v7, v5
	;; [unrolled: 1-line block ×3, first 2 shown]
	scratch_store_b128 off, v[5:8], off offset:80
	s_waitcnt vmcnt(0)
	ds_store_b128 v181, v[1:4]
.LBB108_273:
	s_or_b32 exec_lo, exec_lo, s2
	s_waitcnt lgkmcnt(0)
	s_waitcnt_vscnt null, 0x0
	s_barrier
	buffer_gl0_inv
	s_clause 0x7
	scratch_load_b128 v[2:5], off, off offset:96
	scratch_load_b128 v[6:9], off, off offset:112
	;; [unrolled: 1-line block ×8, first 2 shown]
	v_mov_b32_e32 v1, 0
	s_mov_b32 s2, exec_lo
	ds_load_b128 v[38:41], v1 offset:816
	s_clause 0x1
	scratch_load_b128 v[34:37], off, off offset:224
	scratch_load_b128 v[42:45], off, off offset:80
	ds_load_b128 v[182:185], v1 offset:832
	scratch_load_b128 v[186:189], off, off offset:240
	s_waitcnt vmcnt(10) lgkmcnt(1)
	v_mul_f64 v[190:191], v[40:41], v[4:5]
	v_mul_f64 v[4:5], v[38:39], v[4:5]
	s_delay_alu instid0(VALU_DEP_2) | instskip(NEXT) | instid1(VALU_DEP_2)
	v_fma_f64 v[196:197], v[38:39], v[2:3], -v[190:191]
	v_fma_f64 v[198:199], v[40:41], v[2:3], v[4:5]
	scratch_load_b128 v[38:41], off, off offset:256
	ds_load_b128 v[2:5], v1 offset:848
	s_waitcnt vmcnt(10) lgkmcnt(1)
	v_mul_f64 v[194:195], v[182:183], v[8:9]
	v_mul_f64 v[8:9], v[184:185], v[8:9]
	ds_load_b128 v[190:193], v1 offset:864
	s_waitcnt vmcnt(9) lgkmcnt(1)
	v_mul_f64 v[200:201], v[2:3], v[12:13]
	v_mul_f64 v[12:13], v[4:5], v[12:13]
	v_fma_f64 v[184:185], v[184:185], v[6:7], v[194:195]
	v_fma_f64 v[182:183], v[182:183], v[6:7], -v[8:9]
	v_add_f64 v[194:195], v[196:197], 0
	v_add_f64 v[196:197], v[198:199], 0
	scratch_load_b128 v[6:9], off, off offset:272
	v_fma_f64 v[200:201], v[4:5], v[10:11], v[200:201]
	v_fma_f64 v[202:203], v[2:3], v[10:11], -v[12:13]
	scratch_load_b128 v[10:13], off, off offset:288
	ds_load_b128 v[2:5], v1 offset:880
	s_waitcnt vmcnt(10) lgkmcnt(1)
	v_mul_f64 v[198:199], v[190:191], v[16:17]
	v_mul_f64 v[16:17], v[192:193], v[16:17]
	v_add_f64 v[194:195], v[194:195], v[182:183]
	v_add_f64 v[196:197], v[196:197], v[184:185]
	s_waitcnt vmcnt(9) lgkmcnt(0)
	v_mul_f64 v[204:205], v[2:3], v[20:21]
	v_mul_f64 v[20:21], v[4:5], v[20:21]
	ds_load_b128 v[182:185], v1 offset:896
	v_fma_f64 v[192:193], v[192:193], v[14:15], v[198:199]
	v_fma_f64 v[190:191], v[190:191], v[14:15], -v[16:17]
	scratch_load_b128 v[14:17], off, off offset:304
	v_add_f64 v[194:195], v[194:195], v[202:203]
	v_add_f64 v[196:197], v[196:197], v[200:201]
	v_fma_f64 v[200:201], v[4:5], v[18:19], v[204:205]
	v_fma_f64 v[202:203], v[2:3], v[18:19], -v[20:21]
	scratch_load_b128 v[18:21], off, off offset:320
	ds_load_b128 v[2:5], v1 offset:912
	s_waitcnt vmcnt(10) lgkmcnt(1)
	v_mul_f64 v[198:199], v[182:183], v[24:25]
	v_mul_f64 v[24:25], v[184:185], v[24:25]
	s_waitcnt vmcnt(9) lgkmcnt(0)
	v_mul_f64 v[204:205], v[2:3], v[28:29]
	v_mul_f64 v[28:29], v[4:5], v[28:29]
	v_add_f64 v[194:195], v[194:195], v[190:191]
	v_add_f64 v[196:197], v[196:197], v[192:193]
	ds_load_b128 v[190:193], v1 offset:928
	v_fma_f64 v[184:185], v[184:185], v[22:23], v[198:199]
	v_fma_f64 v[182:183], v[182:183], v[22:23], -v[24:25]
	scratch_load_b128 v[22:25], off, off offset:336
	v_add_f64 v[194:195], v[194:195], v[202:203]
	v_add_f64 v[196:197], v[196:197], v[200:201]
	v_fma_f64 v[200:201], v[4:5], v[26:27], v[204:205]
	v_fma_f64 v[202:203], v[2:3], v[26:27], -v[28:29]
	scratch_load_b128 v[26:29], off, off offset:352
	ds_load_b128 v[2:5], v1 offset:944
	s_waitcnt vmcnt(10) lgkmcnt(1)
	v_mul_f64 v[198:199], v[190:191], v[32:33]
	v_mul_f64 v[32:33], v[192:193], v[32:33]
	s_waitcnt vmcnt(9) lgkmcnt(0)
	v_mul_f64 v[204:205], v[2:3], v[36:37]
	v_mul_f64 v[36:37], v[4:5], v[36:37]
	v_add_f64 v[194:195], v[194:195], v[182:183]
	v_add_f64 v[196:197], v[196:197], v[184:185]
	ds_load_b128 v[182:185], v1 offset:960
	v_fma_f64 v[192:193], v[192:193], v[30:31], v[198:199]
	v_fma_f64 v[190:191], v[190:191], v[30:31], -v[32:33]
	scratch_load_b128 v[30:33], off, off offset:368
	v_add_f64 v[194:195], v[194:195], v[202:203]
	v_add_f64 v[196:197], v[196:197], v[200:201]
	v_fma_f64 v[202:203], v[4:5], v[34:35], v[204:205]
	v_fma_f64 v[204:205], v[2:3], v[34:35], -v[36:37]
	scratch_load_b128 v[34:37], off, off offset:384
	ds_load_b128 v[2:5], v1 offset:976
	s_waitcnt vmcnt(9) lgkmcnt(1)
	v_mul_f64 v[198:199], v[182:183], v[188:189]
	v_mul_f64 v[200:201], v[184:185], v[188:189]
	v_add_f64 v[194:195], v[194:195], v[190:191]
	v_add_f64 v[192:193], v[196:197], v[192:193]
	ds_load_b128 v[188:191], v1 offset:992
	v_fma_f64 v[198:199], v[184:185], v[186:187], v[198:199]
	v_fma_f64 v[186:187], v[182:183], v[186:187], -v[200:201]
	scratch_load_b128 v[182:185], off, off offset:400
	s_waitcnt vmcnt(9) lgkmcnt(1)
	v_mul_f64 v[196:197], v[2:3], v[40:41]
	v_mul_f64 v[40:41], v[4:5], v[40:41]
	v_add_f64 v[194:195], v[194:195], v[204:205]
	v_add_f64 v[192:193], v[192:193], v[202:203]
	s_delay_alu instid0(VALU_DEP_4) | instskip(NEXT) | instid1(VALU_DEP_4)
	v_fma_f64 v[196:197], v[4:5], v[38:39], v[196:197]
	v_fma_f64 v[202:203], v[2:3], v[38:39], -v[40:41]
	scratch_load_b128 v[38:41], off, off offset:416
	ds_load_b128 v[2:5], v1 offset:1008
	s_waitcnt vmcnt(9) lgkmcnt(1)
	v_mul_f64 v[200:201], v[188:189], v[8:9]
	v_mul_f64 v[8:9], v[190:191], v[8:9]
	s_waitcnt vmcnt(8) lgkmcnt(0)
	v_mul_f64 v[204:205], v[2:3], v[12:13]
	v_mul_f64 v[12:13], v[4:5], v[12:13]
	v_add_f64 v[186:187], v[194:195], v[186:187]
	v_add_f64 v[198:199], v[192:193], v[198:199]
	ds_load_b128 v[192:195], v1 offset:1024
	v_fma_f64 v[190:191], v[190:191], v[6:7], v[200:201]
	v_fma_f64 v[188:189], v[188:189], v[6:7], -v[8:9]
	scratch_load_b128 v[6:9], off, off offset:432
	v_fma_f64 v[200:201], v[4:5], v[10:11], v[204:205]
	v_add_f64 v[186:187], v[186:187], v[202:203]
	v_add_f64 v[196:197], v[198:199], v[196:197]
	v_fma_f64 v[202:203], v[2:3], v[10:11], -v[12:13]
	scratch_load_b128 v[10:13], off, off offset:448
	ds_load_b128 v[2:5], v1 offset:1040
	s_waitcnt vmcnt(9) lgkmcnt(1)
	v_mul_f64 v[198:199], v[192:193], v[16:17]
	v_mul_f64 v[16:17], v[194:195], v[16:17]
	v_add_f64 v[204:205], v[186:187], v[188:189]
	v_add_f64 v[190:191], v[196:197], v[190:191]
	s_waitcnt vmcnt(8) lgkmcnt(0)
	v_mul_f64 v[196:197], v[2:3], v[20:21]
	v_mul_f64 v[20:21], v[4:5], v[20:21]
	ds_load_b128 v[186:189], v1 offset:1056
	v_fma_f64 v[194:195], v[194:195], v[14:15], v[198:199]
	v_fma_f64 v[192:193], v[192:193], v[14:15], -v[16:17]
	scratch_load_b128 v[14:17], off, off offset:464
	v_add_f64 v[198:199], v[204:205], v[202:203]
	v_add_f64 v[190:191], v[190:191], v[200:201]
	v_fma_f64 v[196:197], v[4:5], v[18:19], v[196:197]
	v_fma_f64 v[202:203], v[2:3], v[18:19], -v[20:21]
	scratch_load_b128 v[18:21], off, off offset:480
	ds_load_b128 v[2:5], v1 offset:1072
	s_waitcnt vmcnt(9) lgkmcnt(1)
	v_mul_f64 v[200:201], v[186:187], v[24:25]
	v_mul_f64 v[24:25], v[188:189], v[24:25]
	s_waitcnt vmcnt(8) lgkmcnt(0)
	v_mul_f64 v[204:205], v[2:3], v[28:29]
	v_mul_f64 v[28:29], v[4:5], v[28:29]
	v_add_f64 v[198:199], v[198:199], v[192:193]
	v_add_f64 v[194:195], v[190:191], v[194:195]
	ds_load_b128 v[190:193], v1 offset:1088
	v_fma_f64 v[188:189], v[188:189], v[22:23], v[200:201]
	v_fma_f64 v[186:187], v[186:187], v[22:23], -v[24:25]
	scratch_load_b128 v[22:25], off, off offset:496
	v_fma_f64 v[200:201], v[4:5], v[26:27], v[204:205]
	v_add_f64 v[198:199], v[198:199], v[202:203]
	v_add_f64 v[194:195], v[194:195], v[196:197]
	v_fma_f64 v[202:203], v[2:3], v[26:27], -v[28:29]
	scratch_load_b128 v[26:29], off, off offset:512
	ds_load_b128 v[2:5], v1 offset:1104
	s_waitcnt vmcnt(9) lgkmcnt(1)
	v_mul_f64 v[196:197], v[190:191], v[32:33]
	v_mul_f64 v[32:33], v[192:193], v[32:33]
	s_waitcnt vmcnt(8) lgkmcnt(0)
	v_mul_f64 v[204:205], v[2:3], v[36:37]
	v_mul_f64 v[36:37], v[4:5], v[36:37]
	v_add_f64 v[198:199], v[198:199], v[186:187]
	v_add_f64 v[194:195], v[194:195], v[188:189]
	ds_load_b128 v[186:189], v1 offset:1120
	v_fma_f64 v[192:193], v[192:193], v[30:31], v[196:197]
	v_fma_f64 v[190:191], v[190:191], v[30:31], -v[32:33]
	scratch_load_b128 v[30:33], off, off offset:528
	v_add_f64 v[196:197], v[198:199], v[202:203]
	v_add_f64 v[194:195], v[194:195], v[200:201]
	v_fma_f64 v[200:201], v[4:5], v[34:35], v[204:205]
	v_fma_f64 v[202:203], v[2:3], v[34:35], -v[36:37]
	scratch_load_b128 v[34:37], off, off offset:544
	ds_load_b128 v[2:5], v1 offset:1136
	s_waitcnt vmcnt(9) lgkmcnt(1)
	v_mul_f64 v[198:199], v[186:187], v[184:185]
	v_mul_f64 v[184:185], v[188:189], v[184:185]
	s_waitcnt vmcnt(8) lgkmcnt(0)
	v_mul_f64 v[204:205], v[2:3], v[40:41]
	v_mul_f64 v[40:41], v[4:5], v[40:41]
	v_add_f64 v[196:197], v[196:197], v[190:191]
	v_add_f64 v[194:195], v[194:195], v[192:193]
	ds_load_b128 v[190:193], v1 offset:1152
	v_fma_f64 v[188:189], v[188:189], v[182:183], v[198:199]
	v_fma_f64 v[186:187], v[186:187], v[182:183], -v[184:185]
	scratch_load_b128 v[182:185], off, off offset:560
	v_add_f64 v[196:197], v[196:197], v[202:203]
	v_add_f64 v[194:195], v[194:195], v[200:201]
	v_fma_f64 v[200:201], v[4:5], v[38:39], v[204:205]
	;; [unrolled: 18-line block ×6, first 2 shown]
	v_fma_f64 v[204:205], v[2:3], v[34:35], -v[36:37]
	scratch_load_b128 v[34:37], off, off offset:704
	ds_load_b128 v[2:5], v1 offset:1296
	s_waitcnt vmcnt(9) lgkmcnt(1)
	v_mul_f64 v[198:199], v[190:191], v[184:185]
	v_mul_f64 v[200:201], v[192:193], v[184:185]
	v_add_f64 v[196:197], v[196:197], v[186:187]
	v_add_f64 v[188:189], v[194:195], v[188:189]
	s_waitcnt vmcnt(8) lgkmcnt(0)
	v_mul_f64 v[194:195], v[2:3], v[40:41]
	v_mul_f64 v[40:41], v[4:5], v[40:41]
	ds_load_b128 v[184:187], v1 offset:1312
	v_fma_f64 v[192:193], v[192:193], v[182:183], v[198:199]
	v_fma_f64 v[182:183], v[190:191], v[182:183], -v[200:201]
	v_add_f64 v[190:191], v[196:197], v[204:205]
	v_add_f64 v[188:189], v[188:189], v[202:203]
	s_waitcnt vmcnt(7) lgkmcnt(0)
	v_mul_f64 v[196:197], v[184:185], v[8:9]
	v_mul_f64 v[8:9], v[186:187], v[8:9]
	v_fma_f64 v[194:195], v[4:5], v[38:39], v[194:195]
	v_fma_f64 v[198:199], v[2:3], v[38:39], -v[40:41]
	ds_load_b128 v[2:5], v1 offset:1328
	ds_load_b128 v[38:41], v1 offset:1344
	v_add_f64 v[182:183], v[190:191], v[182:183]
	v_add_f64 v[188:189], v[188:189], v[192:193]
	s_waitcnt vmcnt(6) lgkmcnt(1)
	v_mul_f64 v[190:191], v[2:3], v[12:13]
	v_mul_f64 v[12:13], v[4:5], v[12:13]
	v_fma_f64 v[186:187], v[186:187], v[6:7], v[196:197]
	v_fma_f64 v[6:7], v[184:185], v[6:7], -v[8:9]
	s_waitcnt vmcnt(5) lgkmcnt(0)
	v_mul_f64 v[184:185], v[38:39], v[16:17]
	v_mul_f64 v[16:17], v[40:41], v[16:17]
	v_add_f64 v[8:9], v[182:183], v[198:199]
	v_add_f64 v[182:183], v[188:189], v[194:195]
	v_fma_f64 v[188:189], v[4:5], v[10:11], v[190:191]
	v_fma_f64 v[10:11], v[2:3], v[10:11], -v[12:13]
	v_fma_f64 v[40:41], v[40:41], v[14:15], v[184:185]
	v_fma_f64 v[14:15], v[38:39], v[14:15], -v[16:17]
	v_add_f64 v[12:13], v[8:9], v[6:7]
	v_add_f64 v[182:183], v[182:183], v[186:187]
	ds_load_b128 v[2:5], v1 offset:1360
	ds_load_b128 v[6:9], v1 offset:1376
	s_waitcnt vmcnt(4) lgkmcnt(1)
	v_mul_f64 v[186:187], v[2:3], v[20:21]
	v_mul_f64 v[20:21], v[4:5], v[20:21]
	s_waitcnt vmcnt(3) lgkmcnt(0)
	v_mul_f64 v[16:17], v[6:7], v[24:25]
	v_mul_f64 v[24:25], v[8:9], v[24:25]
	v_add_f64 v[10:11], v[12:13], v[10:11]
	v_add_f64 v[12:13], v[182:183], v[188:189]
	v_fma_f64 v[38:39], v[4:5], v[18:19], v[186:187]
	v_fma_f64 v[18:19], v[2:3], v[18:19], -v[20:21]
	v_fma_f64 v[8:9], v[8:9], v[22:23], v[16:17]
	v_fma_f64 v[6:7], v[6:7], v[22:23], -v[24:25]
	v_add_f64 v[14:15], v[10:11], v[14:15]
	v_add_f64 v[20:21], v[12:13], v[40:41]
	ds_load_b128 v[2:5], v1 offset:1392
	ds_load_b128 v[10:13], v1 offset:1408
	s_waitcnt vmcnt(2) lgkmcnt(1)
	v_mul_f64 v[40:41], v[2:3], v[28:29]
	v_mul_f64 v[28:29], v[4:5], v[28:29]
	v_add_f64 v[14:15], v[14:15], v[18:19]
	v_add_f64 v[16:17], v[20:21], v[38:39]
	s_waitcnt vmcnt(1) lgkmcnt(0)
	v_mul_f64 v[18:19], v[10:11], v[32:33]
	v_mul_f64 v[20:21], v[12:13], v[32:33]
	v_fma_f64 v[22:23], v[4:5], v[26:27], v[40:41]
	v_fma_f64 v[24:25], v[2:3], v[26:27], -v[28:29]
	ds_load_b128 v[2:5], v1 offset:1424
	v_add_f64 v[6:7], v[14:15], v[6:7]
	v_add_f64 v[8:9], v[16:17], v[8:9]
	v_fma_f64 v[12:13], v[12:13], v[30:31], v[18:19]
	v_fma_f64 v[10:11], v[10:11], v[30:31], -v[20:21]
	s_waitcnt vmcnt(0) lgkmcnt(0)
	v_mul_f64 v[14:15], v[2:3], v[36:37]
	v_mul_f64 v[16:17], v[4:5], v[36:37]
	v_add_f64 v[6:7], v[6:7], v[24:25]
	v_add_f64 v[8:9], v[8:9], v[22:23]
	s_delay_alu instid0(VALU_DEP_4) | instskip(NEXT) | instid1(VALU_DEP_4)
	v_fma_f64 v[4:5], v[4:5], v[34:35], v[14:15]
	v_fma_f64 v[2:3], v[2:3], v[34:35], -v[16:17]
	s_delay_alu instid0(VALU_DEP_4) | instskip(NEXT) | instid1(VALU_DEP_4)
	v_add_f64 v[6:7], v[6:7], v[10:11]
	v_add_f64 v[8:9], v[8:9], v[12:13]
	s_delay_alu instid0(VALU_DEP_2) | instskip(NEXT) | instid1(VALU_DEP_2)
	v_add_f64 v[2:3], v[6:7], v[2:3]
	v_add_f64 v[4:5], v[8:9], v[4:5]
	s_delay_alu instid0(VALU_DEP_2) | instskip(NEXT) | instid1(VALU_DEP_2)
	v_add_f64 v[2:3], v[42:43], -v[2:3]
	v_add_f64 v[4:5], v[44:45], -v[4:5]
	scratch_store_b128 off, v[2:5], off offset:80
	v_cmpx_lt_u32_e32 4, v136
	s_cbranch_execz .LBB108_275
; %bb.274:
	scratch_load_b128 v[5:8], v177, off
	v_mov_b32_e32 v2, v1
	v_mov_b32_e32 v3, v1
	;; [unrolled: 1-line block ×3, first 2 shown]
	scratch_store_b128 off, v[1:4], off offset:64
	s_waitcnt vmcnt(0)
	ds_store_b128 v181, v[5:8]
.LBB108_275:
	s_or_b32 exec_lo, exec_lo, s2
	s_waitcnt lgkmcnt(0)
	s_waitcnt_vscnt null, 0x0
	s_barrier
	buffer_gl0_inv
	s_clause 0x8
	scratch_load_b128 v[2:5], off, off offset:80
	scratch_load_b128 v[6:9], off, off offset:96
	;; [unrolled: 1-line block ×9, first 2 shown]
	ds_load_b128 v[42:45], v1 offset:800
	ds_load_b128 v[38:41], v1 offset:816
	s_clause 0x1
	scratch_load_b128 v[182:185], off, off offset:64
	scratch_load_b128 v[186:189], off, off offset:224
	s_mov_b32 s2, exec_lo
	s_waitcnt vmcnt(10) lgkmcnt(1)
	v_mul_f64 v[190:191], v[44:45], v[4:5]
	v_mul_f64 v[4:5], v[42:43], v[4:5]
	s_waitcnt vmcnt(9) lgkmcnt(0)
	v_mul_f64 v[194:195], v[38:39], v[8:9]
	v_mul_f64 v[8:9], v[40:41], v[8:9]
	s_delay_alu instid0(VALU_DEP_4) | instskip(NEXT) | instid1(VALU_DEP_4)
	v_fma_f64 v[196:197], v[42:43], v[2:3], -v[190:191]
	v_fma_f64 v[198:199], v[44:45], v[2:3], v[4:5]
	ds_load_b128 v[2:5], v1 offset:832
	ds_load_b128 v[190:193], v1 offset:848
	scratch_load_b128 v[42:45], off, off offset:240
	v_fma_f64 v[40:41], v[40:41], v[6:7], v[194:195]
	v_fma_f64 v[38:39], v[38:39], v[6:7], -v[8:9]
	scratch_load_b128 v[6:9], off, off offset:256
	s_waitcnt vmcnt(10) lgkmcnt(1)
	v_mul_f64 v[200:201], v[2:3], v[12:13]
	v_mul_f64 v[12:13], v[4:5], v[12:13]
	v_add_f64 v[194:195], v[196:197], 0
	v_add_f64 v[196:197], v[198:199], 0
	s_waitcnt vmcnt(9) lgkmcnt(0)
	v_mul_f64 v[198:199], v[190:191], v[16:17]
	v_mul_f64 v[16:17], v[192:193], v[16:17]
	v_fma_f64 v[200:201], v[4:5], v[10:11], v[200:201]
	v_fma_f64 v[202:203], v[2:3], v[10:11], -v[12:13]
	ds_load_b128 v[2:5], v1 offset:864
	scratch_load_b128 v[10:13], off, off offset:272
	v_add_f64 v[194:195], v[194:195], v[38:39]
	v_add_f64 v[196:197], v[196:197], v[40:41]
	ds_load_b128 v[38:41], v1 offset:880
	v_fma_f64 v[192:193], v[192:193], v[14:15], v[198:199]
	v_fma_f64 v[190:191], v[190:191], v[14:15], -v[16:17]
	scratch_load_b128 v[14:17], off, off offset:288
	s_waitcnt vmcnt(10) lgkmcnt(1)
	v_mul_f64 v[204:205], v[2:3], v[20:21]
	v_mul_f64 v[20:21], v[4:5], v[20:21]
	s_waitcnt vmcnt(9) lgkmcnt(0)
	v_mul_f64 v[198:199], v[38:39], v[24:25]
	v_mul_f64 v[24:25], v[40:41], v[24:25]
	v_add_f64 v[194:195], v[194:195], v[202:203]
	v_add_f64 v[196:197], v[196:197], v[200:201]
	v_fma_f64 v[200:201], v[4:5], v[18:19], v[204:205]
	v_fma_f64 v[202:203], v[2:3], v[18:19], -v[20:21]
	ds_load_b128 v[2:5], v1 offset:896
	scratch_load_b128 v[18:21], off, off offset:304
	v_fma_f64 v[40:41], v[40:41], v[22:23], v[198:199]
	v_fma_f64 v[38:39], v[38:39], v[22:23], -v[24:25]
	scratch_load_b128 v[22:25], off, off offset:320
	v_add_f64 v[194:195], v[194:195], v[190:191]
	v_add_f64 v[196:197], v[196:197], v[192:193]
	ds_load_b128 v[190:193], v1 offset:912
	s_waitcnt vmcnt(10) lgkmcnt(1)
	v_mul_f64 v[204:205], v[2:3], v[28:29]
	v_mul_f64 v[28:29], v[4:5], v[28:29]
	s_waitcnt vmcnt(9) lgkmcnt(0)
	v_mul_f64 v[198:199], v[190:191], v[32:33]
	v_mul_f64 v[32:33], v[192:193], v[32:33]
	v_add_f64 v[194:195], v[194:195], v[202:203]
	v_add_f64 v[196:197], v[196:197], v[200:201]
	v_fma_f64 v[200:201], v[4:5], v[26:27], v[204:205]
	v_fma_f64 v[202:203], v[2:3], v[26:27], -v[28:29]
	ds_load_b128 v[2:5], v1 offset:928
	scratch_load_b128 v[26:29], off, off offset:336
	v_fma_f64 v[192:193], v[192:193], v[30:31], v[198:199]
	v_fma_f64 v[190:191], v[190:191], v[30:31], -v[32:33]
	scratch_load_b128 v[30:33], off, off offset:352
	v_add_f64 v[194:195], v[194:195], v[38:39]
	v_add_f64 v[196:197], v[196:197], v[40:41]
	ds_load_b128 v[38:41], v1 offset:944
	s_waitcnt vmcnt(10) lgkmcnt(1)
	v_mul_f64 v[204:205], v[2:3], v[36:37]
	v_mul_f64 v[36:37], v[4:5], v[36:37]
	s_waitcnt vmcnt(8) lgkmcnt(0)
	v_mul_f64 v[198:199], v[38:39], v[188:189]
	v_add_f64 v[194:195], v[194:195], v[202:203]
	v_add_f64 v[196:197], v[196:197], v[200:201]
	v_mul_f64 v[200:201], v[40:41], v[188:189]
	v_fma_f64 v[202:203], v[4:5], v[34:35], v[204:205]
	v_fma_f64 v[204:205], v[2:3], v[34:35], -v[36:37]
	ds_load_b128 v[2:5], v1 offset:960
	scratch_load_b128 v[34:37], off, off offset:368
	v_fma_f64 v[198:199], v[40:41], v[186:187], v[198:199]
	v_add_f64 v[194:195], v[194:195], v[190:191]
	v_add_f64 v[192:193], v[196:197], v[192:193]
	ds_load_b128 v[188:191], v1 offset:976
	v_fma_f64 v[186:187], v[38:39], v[186:187], -v[200:201]
	scratch_load_b128 v[38:41], off, off offset:384
	s_waitcnt vmcnt(9) lgkmcnt(1)
	v_mul_f64 v[196:197], v[2:3], v[44:45]
	v_mul_f64 v[44:45], v[4:5], v[44:45]
	s_waitcnt vmcnt(8) lgkmcnt(0)
	v_mul_f64 v[200:201], v[188:189], v[8:9]
	v_mul_f64 v[8:9], v[190:191], v[8:9]
	v_add_f64 v[194:195], v[194:195], v[204:205]
	v_add_f64 v[192:193], v[192:193], v[202:203]
	v_fma_f64 v[196:197], v[4:5], v[42:43], v[196:197]
	v_fma_f64 v[202:203], v[2:3], v[42:43], -v[44:45]
	ds_load_b128 v[2:5], v1 offset:992
	scratch_load_b128 v[42:45], off, off offset:400
	v_fma_f64 v[190:191], v[190:191], v[6:7], v[200:201]
	v_fma_f64 v[188:189], v[188:189], v[6:7], -v[8:9]
	scratch_load_b128 v[6:9], off, off offset:416
	v_add_f64 v[186:187], v[194:195], v[186:187]
	v_add_f64 v[198:199], v[192:193], v[198:199]
	ds_load_b128 v[192:195], v1 offset:1008
	s_waitcnt vmcnt(9) lgkmcnt(1)
	v_mul_f64 v[204:205], v[2:3], v[12:13]
	v_mul_f64 v[12:13], v[4:5], v[12:13]
	v_add_f64 v[186:187], v[186:187], v[202:203]
	v_add_f64 v[196:197], v[198:199], v[196:197]
	s_waitcnt vmcnt(8) lgkmcnt(0)
	v_mul_f64 v[198:199], v[192:193], v[16:17]
	v_mul_f64 v[16:17], v[194:195], v[16:17]
	v_fma_f64 v[200:201], v[4:5], v[10:11], v[204:205]
	v_fma_f64 v[202:203], v[2:3], v[10:11], -v[12:13]
	ds_load_b128 v[2:5], v1 offset:1024
	scratch_load_b128 v[10:13], off, off offset:432
	v_add_f64 v[204:205], v[186:187], v[188:189]
	v_add_f64 v[190:191], v[196:197], v[190:191]
	ds_load_b128 v[186:189], v1 offset:1040
	s_waitcnt vmcnt(8) lgkmcnt(1)
	v_mul_f64 v[196:197], v[2:3], v[20:21]
	v_mul_f64 v[20:21], v[4:5], v[20:21]
	v_fma_f64 v[194:195], v[194:195], v[14:15], v[198:199]
	v_fma_f64 v[192:193], v[192:193], v[14:15], -v[16:17]
	scratch_load_b128 v[14:17], off, off offset:448
	v_add_f64 v[198:199], v[204:205], v[202:203]
	v_add_f64 v[190:191], v[190:191], v[200:201]
	s_waitcnt vmcnt(8) lgkmcnt(0)
	v_mul_f64 v[200:201], v[186:187], v[24:25]
	v_mul_f64 v[24:25], v[188:189], v[24:25]
	v_fma_f64 v[196:197], v[4:5], v[18:19], v[196:197]
	v_fma_f64 v[202:203], v[2:3], v[18:19], -v[20:21]
	ds_load_b128 v[2:5], v1 offset:1056
	scratch_load_b128 v[18:21], off, off offset:464
	v_add_f64 v[198:199], v[198:199], v[192:193]
	v_add_f64 v[194:195], v[190:191], v[194:195]
	ds_load_b128 v[190:193], v1 offset:1072
	s_waitcnt vmcnt(8) lgkmcnt(1)
	v_mul_f64 v[204:205], v[2:3], v[28:29]
	v_mul_f64 v[28:29], v[4:5], v[28:29]
	v_fma_f64 v[188:189], v[188:189], v[22:23], v[200:201]
	v_fma_f64 v[186:187], v[186:187], v[22:23], -v[24:25]
	scratch_load_b128 v[22:25], off, off offset:480
	;; [unrolled: 18-line block ×4, first 2 shown]
	s_waitcnt vmcnt(8) lgkmcnt(0)
	v_mul_f64 v[198:199], v[190:191], v[8:9]
	v_mul_f64 v[8:9], v[192:193], v[8:9]
	v_add_f64 v[196:197], v[196:197], v[202:203]
	v_add_f64 v[194:195], v[194:195], v[200:201]
	v_fma_f64 v[200:201], v[4:5], v[42:43], v[204:205]
	v_fma_f64 v[202:203], v[2:3], v[42:43], -v[44:45]
	ds_load_b128 v[2:5], v1 offset:1152
	scratch_load_b128 v[42:45], off, off offset:560
	v_fma_f64 v[192:193], v[192:193], v[6:7], v[198:199]
	v_fma_f64 v[190:191], v[190:191], v[6:7], -v[8:9]
	scratch_load_b128 v[6:9], off, off offset:576
	v_add_f64 v[196:197], v[196:197], v[186:187]
	v_add_f64 v[194:195], v[194:195], v[188:189]
	ds_load_b128 v[186:189], v1 offset:1168
	s_waitcnt vmcnt(9) lgkmcnt(1)
	v_mul_f64 v[204:205], v[2:3], v[12:13]
	v_mul_f64 v[12:13], v[4:5], v[12:13]
	s_waitcnt vmcnt(8) lgkmcnt(0)
	v_mul_f64 v[198:199], v[186:187], v[16:17]
	v_mul_f64 v[16:17], v[188:189], v[16:17]
	v_add_f64 v[196:197], v[196:197], v[202:203]
	v_add_f64 v[194:195], v[194:195], v[200:201]
	v_fma_f64 v[200:201], v[4:5], v[10:11], v[204:205]
	v_fma_f64 v[202:203], v[2:3], v[10:11], -v[12:13]
	ds_load_b128 v[2:5], v1 offset:1184
	scratch_load_b128 v[10:13], off, off offset:592
	v_fma_f64 v[188:189], v[188:189], v[14:15], v[198:199]
	v_fma_f64 v[186:187], v[186:187], v[14:15], -v[16:17]
	scratch_load_b128 v[14:17], off, off offset:608
	v_add_f64 v[196:197], v[196:197], v[190:191]
	v_add_f64 v[194:195], v[194:195], v[192:193]
	ds_load_b128 v[190:193], v1 offset:1200
	s_waitcnt vmcnt(9) lgkmcnt(1)
	v_mul_f64 v[204:205], v[2:3], v[20:21]
	v_mul_f64 v[20:21], v[4:5], v[20:21]
	;; [unrolled: 18-line block ×5, first 2 shown]
	s_waitcnt vmcnt(8) lgkmcnt(0)
	v_mul_f64 v[198:199], v[186:187], v[8:9]
	v_mul_f64 v[8:9], v[188:189], v[8:9]
	v_add_f64 v[196:197], v[196:197], v[202:203]
	v_add_f64 v[194:195], v[194:195], v[200:201]
	v_fma_f64 v[200:201], v[4:5], v[42:43], v[204:205]
	v_fma_f64 v[202:203], v[2:3], v[42:43], -v[44:45]
	ds_load_b128 v[2:5], v1 offset:1312
	ds_load_b128 v[42:45], v1 offset:1328
	v_fma_f64 v[188:189], v[188:189], v[6:7], v[198:199]
	v_fma_f64 v[6:7], v[186:187], v[6:7], -v[8:9]
	v_add_f64 v[190:191], v[196:197], v[190:191]
	v_add_f64 v[192:193], v[194:195], v[192:193]
	s_waitcnt vmcnt(7) lgkmcnt(1)
	v_mul_f64 v[194:195], v[2:3], v[12:13]
	v_mul_f64 v[12:13], v[4:5], v[12:13]
	s_delay_alu instid0(VALU_DEP_4) | instskip(NEXT) | instid1(VALU_DEP_4)
	v_add_f64 v[8:9], v[190:191], v[202:203]
	v_add_f64 v[186:187], v[192:193], v[200:201]
	s_waitcnt vmcnt(6) lgkmcnt(0)
	v_mul_f64 v[190:191], v[42:43], v[16:17]
	v_mul_f64 v[16:17], v[44:45], v[16:17]
	v_fma_f64 v[192:193], v[4:5], v[10:11], v[194:195]
	v_fma_f64 v[10:11], v[2:3], v[10:11], -v[12:13]
	v_add_f64 v[12:13], v[8:9], v[6:7]
	v_add_f64 v[186:187], v[186:187], v[188:189]
	ds_load_b128 v[2:5], v1 offset:1344
	ds_load_b128 v[6:9], v1 offset:1360
	v_fma_f64 v[44:45], v[44:45], v[14:15], v[190:191]
	v_fma_f64 v[14:15], v[42:43], v[14:15], -v[16:17]
	s_waitcnt vmcnt(5) lgkmcnt(1)
	v_mul_f64 v[188:189], v[2:3], v[20:21]
	v_mul_f64 v[20:21], v[4:5], v[20:21]
	s_waitcnt vmcnt(4) lgkmcnt(0)
	v_mul_f64 v[16:17], v[6:7], v[24:25]
	v_mul_f64 v[24:25], v[8:9], v[24:25]
	v_add_f64 v[10:11], v[12:13], v[10:11]
	v_add_f64 v[12:13], v[186:187], v[192:193]
	v_fma_f64 v[42:43], v[4:5], v[18:19], v[188:189]
	v_fma_f64 v[18:19], v[2:3], v[18:19], -v[20:21]
	v_fma_f64 v[8:9], v[8:9], v[22:23], v[16:17]
	v_fma_f64 v[6:7], v[6:7], v[22:23], -v[24:25]
	v_add_f64 v[14:15], v[10:11], v[14:15]
	v_add_f64 v[20:21], v[12:13], v[44:45]
	ds_load_b128 v[2:5], v1 offset:1376
	ds_load_b128 v[10:13], v1 offset:1392
	s_waitcnt vmcnt(3) lgkmcnt(1)
	v_mul_f64 v[44:45], v[2:3], v[28:29]
	v_mul_f64 v[28:29], v[4:5], v[28:29]
	v_add_f64 v[14:15], v[14:15], v[18:19]
	v_add_f64 v[16:17], v[20:21], v[42:43]
	s_waitcnt vmcnt(2) lgkmcnt(0)
	v_mul_f64 v[18:19], v[10:11], v[32:33]
	v_mul_f64 v[20:21], v[12:13], v[32:33]
	v_fma_f64 v[22:23], v[4:5], v[26:27], v[44:45]
	v_fma_f64 v[24:25], v[2:3], v[26:27], -v[28:29]
	v_add_f64 v[14:15], v[14:15], v[6:7]
	v_add_f64 v[16:17], v[16:17], v[8:9]
	ds_load_b128 v[2:5], v1 offset:1408
	ds_load_b128 v[6:9], v1 offset:1424
	v_fma_f64 v[12:13], v[12:13], v[30:31], v[18:19]
	v_fma_f64 v[10:11], v[10:11], v[30:31], -v[20:21]
	s_waitcnt vmcnt(1) lgkmcnt(1)
	v_mul_f64 v[26:27], v[2:3], v[36:37]
	v_mul_f64 v[28:29], v[4:5], v[36:37]
	s_waitcnt vmcnt(0) lgkmcnt(0)
	v_mul_f64 v[18:19], v[6:7], v[40:41]
	v_mul_f64 v[20:21], v[8:9], v[40:41]
	v_add_f64 v[14:15], v[14:15], v[24:25]
	v_add_f64 v[16:17], v[16:17], v[22:23]
	v_fma_f64 v[4:5], v[4:5], v[34:35], v[26:27]
	v_fma_f64 v[1:2], v[2:3], v[34:35], -v[28:29]
	v_fma_f64 v[8:9], v[8:9], v[38:39], v[18:19]
	v_fma_f64 v[6:7], v[6:7], v[38:39], -v[20:21]
	v_add_f64 v[10:11], v[14:15], v[10:11]
	v_add_f64 v[12:13], v[16:17], v[12:13]
	s_delay_alu instid0(VALU_DEP_2) | instskip(NEXT) | instid1(VALU_DEP_2)
	v_add_f64 v[1:2], v[10:11], v[1:2]
	v_add_f64 v[3:4], v[12:13], v[4:5]
	s_delay_alu instid0(VALU_DEP_2) | instskip(NEXT) | instid1(VALU_DEP_2)
	;; [unrolled: 3-line block ×3, first 2 shown]
	v_add_f64 v[1:2], v[182:183], -v[1:2]
	v_add_f64 v[3:4], v[184:185], -v[3:4]
	scratch_store_b128 off, v[1:4], off offset:64
	v_cmpx_lt_u32_e32 3, v136
	s_cbranch_execz .LBB108_277
; %bb.276:
	scratch_load_b128 v[1:4], v178, off
	v_mov_b32_e32 v5, 0
	s_delay_alu instid0(VALU_DEP_1)
	v_mov_b32_e32 v6, v5
	v_mov_b32_e32 v7, v5
	;; [unrolled: 1-line block ×3, first 2 shown]
	scratch_store_b128 off, v[5:8], off offset:48
	s_waitcnt vmcnt(0)
	ds_store_b128 v181, v[1:4]
.LBB108_277:
	s_or_b32 exec_lo, exec_lo, s2
	s_waitcnt lgkmcnt(0)
	s_waitcnt_vscnt null, 0x0
	s_barrier
	buffer_gl0_inv
	s_clause 0x7
	scratch_load_b128 v[2:5], off, off offset:64
	scratch_load_b128 v[6:9], off, off offset:80
	;; [unrolled: 1-line block ×8, first 2 shown]
	v_mov_b32_e32 v1, 0
	s_mov_b32 s2, exec_lo
	ds_load_b128 v[38:41], v1 offset:784
	s_clause 0x1
	scratch_load_b128 v[34:37], off, off offset:192
	scratch_load_b128 v[42:45], off, off offset:48
	ds_load_b128 v[182:185], v1 offset:800
	scratch_load_b128 v[186:189], off, off offset:208
	s_waitcnt vmcnt(10) lgkmcnt(1)
	v_mul_f64 v[190:191], v[40:41], v[4:5]
	v_mul_f64 v[4:5], v[38:39], v[4:5]
	s_delay_alu instid0(VALU_DEP_2) | instskip(NEXT) | instid1(VALU_DEP_2)
	v_fma_f64 v[196:197], v[38:39], v[2:3], -v[190:191]
	v_fma_f64 v[198:199], v[40:41], v[2:3], v[4:5]
	scratch_load_b128 v[38:41], off, off offset:224
	ds_load_b128 v[2:5], v1 offset:816
	s_waitcnt vmcnt(10) lgkmcnt(1)
	v_mul_f64 v[194:195], v[182:183], v[8:9]
	v_mul_f64 v[8:9], v[184:185], v[8:9]
	ds_load_b128 v[190:193], v1 offset:832
	s_waitcnt vmcnt(9) lgkmcnt(1)
	v_mul_f64 v[200:201], v[2:3], v[12:13]
	v_mul_f64 v[12:13], v[4:5], v[12:13]
	v_fma_f64 v[184:185], v[184:185], v[6:7], v[194:195]
	v_fma_f64 v[182:183], v[182:183], v[6:7], -v[8:9]
	v_add_f64 v[194:195], v[196:197], 0
	v_add_f64 v[196:197], v[198:199], 0
	scratch_load_b128 v[6:9], off, off offset:240
	v_fma_f64 v[200:201], v[4:5], v[10:11], v[200:201]
	v_fma_f64 v[202:203], v[2:3], v[10:11], -v[12:13]
	scratch_load_b128 v[10:13], off, off offset:256
	ds_load_b128 v[2:5], v1 offset:848
	s_waitcnt vmcnt(10) lgkmcnt(1)
	v_mul_f64 v[198:199], v[190:191], v[16:17]
	v_mul_f64 v[16:17], v[192:193], v[16:17]
	v_add_f64 v[194:195], v[194:195], v[182:183]
	v_add_f64 v[196:197], v[196:197], v[184:185]
	s_waitcnt vmcnt(9) lgkmcnt(0)
	v_mul_f64 v[204:205], v[2:3], v[20:21]
	v_mul_f64 v[20:21], v[4:5], v[20:21]
	ds_load_b128 v[182:185], v1 offset:864
	v_fma_f64 v[192:193], v[192:193], v[14:15], v[198:199]
	v_fma_f64 v[190:191], v[190:191], v[14:15], -v[16:17]
	scratch_load_b128 v[14:17], off, off offset:272
	v_add_f64 v[194:195], v[194:195], v[202:203]
	v_add_f64 v[196:197], v[196:197], v[200:201]
	v_fma_f64 v[200:201], v[4:5], v[18:19], v[204:205]
	v_fma_f64 v[202:203], v[2:3], v[18:19], -v[20:21]
	scratch_load_b128 v[18:21], off, off offset:288
	ds_load_b128 v[2:5], v1 offset:880
	s_waitcnt vmcnt(10) lgkmcnt(1)
	v_mul_f64 v[198:199], v[182:183], v[24:25]
	v_mul_f64 v[24:25], v[184:185], v[24:25]
	s_waitcnt vmcnt(9) lgkmcnt(0)
	v_mul_f64 v[204:205], v[2:3], v[28:29]
	v_mul_f64 v[28:29], v[4:5], v[28:29]
	v_add_f64 v[194:195], v[194:195], v[190:191]
	v_add_f64 v[196:197], v[196:197], v[192:193]
	ds_load_b128 v[190:193], v1 offset:896
	v_fma_f64 v[184:185], v[184:185], v[22:23], v[198:199]
	v_fma_f64 v[182:183], v[182:183], v[22:23], -v[24:25]
	scratch_load_b128 v[22:25], off, off offset:304
	v_add_f64 v[194:195], v[194:195], v[202:203]
	v_add_f64 v[196:197], v[196:197], v[200:201]
	v_fma_f64 v[200:201], v[4:5], v[26:27], v[204:205]
	v_fma_f64 v[202:203], v[2:3], v[26:27], -v[28:29]
	scratch_load_b128 v[26:29], off, off offset:320
	ds_load_b128 v[2:5], v1 offset:912
	s_waitcnt vmcnt(10) lgkmcnt(1)
	v_mul_f64 v[198:199], v[190:191], v[32:33]
	v_mul_f64 v[32:33], v[192:193], v[32:33]
	s_waitcnt vmcnt(9) lgkmcnt(0)
	v_mul_f64 v[204:205], v[2:3], v[36:37]
	v_mul_f64 v[36:37], v[4:5], v[36:37]
	v_add_f64 v[194:195], v[194:195], v[182:183]
	v_add_f64 v[196:197], v[196:197], v[184:185]
	ds_load_b128 v[182:185], v1 offset:928
	v_fma_f64 v[192:193], v[192:193], v[30:31], v[198:199]
	v_fma_f64 v[190:191], v[190:191], v[30:31], -v[32:33]
	scratch_load_b128 v[30:33], off, off offset:336
	v_add_f64 v[194:195], v[194:195], v[202:203]
	v_add_f64 v[196:197], v[196:197], v[200:201]
	v_fma_f64 v[202:203], v[4:5], v[34:35], v[204:205]
	v_fma_f64 v[204:205], v[2:3], v[34:35], -v[36:37]
	scratch_load_b128 v[34:37], off, off offset:352
	ds_load_b128 v[2:5], v1 offset:944
	s_waitcnt vmcnt(9) lgkmcnt(1)
	v_mul_f64 v[198:199], v[182:183], v[188:189]
	v_mul_f64 v[200:201], v[184:185], v[188:189]
	v_add_f64 v[194:195], v[194:195], v[190:191]
	v_add_f64 v[192:193], v[196:197], v[192:193]
	ds_load_b128 v[188:191], v1 offset:960
	v_fma_f64 v[198:199], v[184:185], v[186:187], v[198:199]
	v_fma_f64 v[186:187], v[182:183], v[186:187], -v[200:201]
	scratch_load_b128 v[182:185], off, off offset:368
	s_waitcnt vmcnt(9) lgkmcnt(1)
	v_mul_f64 v[196:197], v[2:3], v[40:41]
	v_mul_f64 v[40:41], v[4:5], v[40:41]
	v_add_f64 v[194:195], v[194:195], v[204:205]
	v_add_f64 v[192:193], v[192:193], v[202:203]
	s_delay_alu instid0(VALU_DEP_4) | instskip(NEXT) | instid1(VALU_DEP_4)
	v_fma_f64 v[196:197], v[4:5], v[38:39], v[196:197]
	v_fma_f64 v[202:203], v[2:3], v[38:39], -v[40:41]
	scratch_load_b128 v[38:41], off, off offset:384
	ds_load_b128 v[2:5], v1 offset:976
	s_waitcnt vmcnt(9) lgkmcnt(1)
	v_mul_f64 v[200:201], v[188:189], v[8:9]
	v_mul_f64 v[8:9], v[190:191], v[8:9]
	s_waitcnt vmcnt(8) lgkmcnt(0)
	v_mul_f64 v[204:205], v[2:3], v[12:13]
	v_mul_f64 v[12:13], v[4:5], v[12:13]
	v_add_f64 v[186:187], v[194:195], v[186:187]
	v_add_f64 v[198:199], v[192:193], v[198:199]
	ds_load_b128 v[192:195], v1 offset:992
	v_fma_f64 v[190:191], v[190:191], v[6:7], v[200:201]
	v_fma_f64 v[188:189], v[188:189], v[6:7], -v[8:9]
	scratch_load_b128 v[6:9], off, off offset:400
	v_fma_f64 v[200:201], v[4:5], v[10:11], v[204:205]
	v_add_f64 v[186:187], v[186:187], v[202:203]
	v_add_f64 v[196:197], v[198:199], v[196:197]
	v_fma_f64 v[202:203], v[2:3], v[10:11], -v[12:13]
	scratch_load_b128 v[10:13], off, off offset:416
	ds_load_b128 v[2:5], v1 offset:1008
	s_waitcnt vmcnt(9) lgkmcnt(1)
	v_mul_f64 v[198:199], v[192:193], v[16:17]
	v_mul_f64 v[16:17], v[194:195], v[16:17]
	v_add_f64 v[204:205], v[186:187], v[188:189]
	v_add_f64 v[190:191], v[196:197], v[190:191]
	s_waitcnt vmcnt(8) lgkmcnt(0)
	v_mul_f64 v[196:197], v[2:3], v[20:21]
	v_mul_f64 v[20:21], v[4:5], v[20:21]
	ds_load_b128 v[186:189], v1 offset:1024
	v_fma_f64 v[194:195], v[194:195], v[14:15], v[198:199]
	v_fma_f64 v[192:193], v[192:193], v[14:15], -v[16:17]
	scratch_load_b128 v[14:17], off, off offset:432
	v_add_f64 v[198:199], v[204:205], v[202:203]
	v_add_f64 v[190:191], v[190:191], v[200:201]
	v_fma_f64 v[196:197], v[4:5], v[18:19], v[196:197]
	v_fma_f64 v[202:203], v[2:3], v[18:19], -v[20:21]
	scratch_load_b128 v[18:21], off, off offset:448
	ds_load_b128 v[2:5], v1 offset:1040
	s_waitcnt vmcnt(9) lgkmcnt(1)
	v_mul_f64 v[200:201], v[186:187], v[24:25]
	v_mul_f64 v[24:25], v[188:189], v[24:25]
	s_waitcnt vmcnt(8) lgkmcnt(0)
	v_mul_f64 v[204:205], v[2:3], v[28:29]
	v_mul_f64 v[28:29], v[4:5], v[28:29]
	v_add_f64 v[198:199], v[198:199], v[192:193]
	v_add_f64 v[194:195], v[190:191], v[194:195]
	ds_load_b128 v[190:193], v1 offset:1056
	v_fma_f64 v[188:189], v[188:189], v[22:23], v[200:201]
	v_fma_f64 v[186:187], v[186:187], v[22:23], -v[24:25]
	scratch_load_b128 v[22:25], off, off offset:464
	v_fma_f64 v[200:201], v[4:5], v[26:27], v[204:205]
	v_add_f64 v[198:199], v[198:199], v[202:203]
	v_add_f64 v[194:195], v[194:195], v[196:197]
	v_fma_f64 v[202:203], v[2:3], v[26:27], -v[28:29]
	scratch_load_b128 v[26:29], off, off offset:480
	ds_load_b128 v[2:5], v1 offset:1072
	s_waitcnt vmcnt(9) lgkmcnt(1)
	v_mul_f64 v[196:197], v[190:191], v[32:33]
	v_mul_f64 v[32:33], v[192:193], v[32:33]
	s_waitcnt vmcnt(8) lgkmcnt(0)
	v_mul_f64 v[204:205], v[2:3], v[36:37]
	v_mul_f64 v[36:37], v[4:5], v[36:37]
	v_add_f64 v[198:199], v[198:199], v[186:187]
	v_add_f64 v[194:195], v[194:195], v[188:189]
	ds_load_b128 v[186:189], v1 offset:1088
	v_fma_f64 v[192:193], v[192:193], v[30:31], v[196:197]
	v_fma_f64 v[190:191], v[190:191], v[30:31], -v[32:33]
	scratch_load_b128 v[30:33], off, off offset:496
	v_add_f64 v[196:197], v[198:199], v[202:203]
	v_add_f64 v[194:195], v[194:195], v[200:201]
	v_fma_f64 v[200:201], v[4:5], v[34:35], v[204:205]
	v_fma_f64 v[202:203], v[2:3], v[34:35], -v[36:37]
	scratch_load_b128 v[34:37], off, off offset:512
	ds_load_b128 v[2:5], v1 offset:1104
	s_waitcnt vmcnt(9) lgkmcnt(1)
	v_mul_f64 v[198:199], v[186:187], v[184:185]
	v_mul_f64 v[184:185], v[188:189], v[184:185]
	s_waitcnt vmcnt(8) lgkmcnt(0)
	v_mul_f64 v[204:205], v[2:3], v[40:41]
	v_mul_f64 v[40:41], v[4:5], v[40:41]
	v_add_f64 v[196:197], v[196:197], v[190:191]
	v_add_f64 v[194:195], v[194:195], v[192:193]
	ds_load_b128 v[190:193], v1 offset:1120
	v_fma_f64 v[188:189], v[188:189], v[182:183], v[198:199]
	v_fma_f64 v[186:187], v[186:187], v[182:183], -v[184:185]
	scratch_load_b128 v[182:185], off, off offset:528
	v_add_f64 v[196:197], v[196:197], v[202:203]
	v_add_f64 v[194:195], v[194:195], v[200:201]
	v_fma_f64 v[200:201], v[4:5], v[38:39], v[204:205]
	;; [unrolled: 18-line block ×6, first 2 shown]
	v_fma_f64 v[204:205], v[2:3], v[34:35], -v[36:37]
	scratch_load_b128 v[34:37], off, off offset:672
	ds_load_b128 v[2:5], v1 offset:1264
	s_waitcnt vmcnt(9) lgkmcnt(1)
	v_mul_f64 v[198:199], v[190:191], v[184:185]
	v_mul_f64 v[200:201], v[192:193], v[184:185]
	v_add_f64 v[196:197], v[196:197], v[186:187]
	v_add_f64 v[188:189], v[194:195], v[188:189]
	s_waitcnt vmcnt(8) lgkmcnt(0)
	v_mul_f64 v[194:195], v[2:3], v[40:41]
	v_mul_f64 v[40:41], v[4:5], v[40:41]
	ds_load_b128 v[184:187], v1 offset:1280
	v_fma_f64 v[192:193], v[192:193], v[182:183], v[198:199]
	v_fma_f64 v[182:183], v[190:191], v[182:183], -v[200:201]
	v_add_f64 v[196:197], v[196:197], v[204:205]
	v_add_f64 v[198:199], v[188:189], v[202:203]
	scratch_load_b128 v[188:191], off, off offset:688
	v_fma_f64 v[202:203], v[4:5], v[38:39], v[194:195]
	v_fma_f64 v[204:205], v[2:3], v[38:39], -v[40:41]
	scratch_load_b128 v[38:41], off, off offset:704
	ds_load_b128 v[2:5], v1 offset:1296
	s_waitcnt vmcnt(9) lgkmcnt(1)
	v_mul_f64 v[200:201], v[184:185], v[8:9]
	v_mul_f64 v[8:9], v[186:187], v[8:9]
	v_add_f64 v[182:183], v[196:197], v[182:183]
	v_add_f64 v[196:197], v[198:199], v[192:193]
	s_waitcnt vmcnt(8) lgkmcnt(0)
	v_mul_f64 v[198:199], v[2:3], v[12:13]
	v_mul_f64 v[12:13], v[4:5], v[12:13]
	ds_load_b128 v[192:195], v1 offset:1312
	v_fma_f64 v[186:187], v[186:187], v[6:7], v[200:201]
	v_fma_f64 v[6:7], v[184:185], v[6:7], -v[8:9]
	s_waitcnt vmcnt(7) lgkmcnt(0)
	v_mul_f64 v[184:185], v[192:193], v[16:17]
	v_mul_f64 v[16:17], v[194:195], v[16:17]
	v_add_f64 v[8:9], v[182:183], v[204:205]
	v_add_f64 v[182:183], v[196:197], v[202:203]
	v_fma_f64 v[196:197], v[4:5], v[10:11], v[198:199]
	v_fma_f64 v[10:11], v[2:3], v[10:11], -v[12:13]
	v_fma_f64 v[184:185], v[194:195], v[14:15], v[184:185]
	v_fma_f64 v[14:15], v[192:193], v[14:15], -v[16:17]
	v_add_f64 v[12:13], v[8:9], v[6:7]
	v_add_f64 v[182:183], v[182:183], v[186:187]
	ds_load_b128 v[2:5], v1 offset:1328
	ds_load_b128 v[6:9], v1 offset:1344
	s_waitcnt vmcnt(6) lgkmcnt(1)
	v_mul_f64 v[186:187], v[2:3], v[20:21]
	v_mul_f64 v[20:21], v[4:5], v[20:21]
	s_waitcnt vmcnt(5) lgkmcnt(0)
	v_mul_f64 v[16:17], v[6:7], v[24:25]
	v_mul_f64 v[24:25], v[8:9], v[24:25]
	v_add_f64 v[10:11], v[12:13], v[10:11]
	v_add_f64 v[12:13], v[182:183], v[196:197]
	v_fma_f64 v[182:183], v[4:5], v[18:19], v[186:187]
	v_fma_f64 v[18:19], v[2:3], v[18:19], -v[20:21]
	v_fma_f64 v[8:9], v[8:9], v[22:23], v[16:17]
	v_fma_f64 v[6:7], v[6:7], v[22:23], -v[24:25]
	v_add_f64 v[14:15], v[10:11], v[14:15]
	v_add_f64 v[20:21], v[12:13], v[184:185]
	ds_load_b128 v[2:5], v1 offset:1360
	ds_load_b128 v[10:13], v1 offset:1376
	s_waitcnt vmcnt(4) lgkmcnt(1)
	v_mul_f64 v[184:185], v[2:3], v[28:29]
	v_mul_f64 v[28:29], v[4:5], v[28:29]
	v_add_f64 v[14:15], v[14:15], v[18:19]
	v_add_f64 v[16:17], v[20:21], v[182:183]
	s_waitcnt vmcnt(3) lgkmcnt(0)
	v_mul_f64 v[18:19], v[10:11], v[32:33]
	v_mul_f64 v[20:21], v[12:13], v[32:33]
	v_fma_f64 v[22:23], v[4:5], v[26:27], v[184:185]
	v_fma_f64 v[24:25], v[2:3], v[26:27], -v[28:29]
	v_add_f64 v[14:15], v[14:15], v[6:7]
	v_add_f64 v[16:17], v[16:17], v[8:9]
	ds_load_b128 v[2:5], v1 offset:1392
	ds_load_b128 v[6:9], v1 offset:1408
	v_fma_f64 v[12:13], v[12:13], v[30:31], v[18:19]
	v_fma_f64 v[10:11], v[10:11], v[30:31], -v[20:21]
	s_waitcnt vmcnt(2) lgkmcnt(1)
	v_mul_f64 v[26:27], v[2:3], v[36:37]
	v_mul_f64 v[28:29], v[4:5], v[36:37]
	v_add_f64 v[14:15], v[14:15], v[24:25]
	v_add_f64 v[16:17], v[16:17], v[22:23]
	s_waitcnt vmcnt(1) lgkmcnt(0)
	v_mul_f64 v[18:19], v[6:7], v[190:191]
	v_mul_f64 v[20:21], v[8:9], v[190:191]
	v_fma_f64 v[22:23], v[4:5], v[34:35], v[26:27]
	v_fma_f64 v[24:25], v[2:3], v[34:35], -v[28:29]
	ds_load_b128 v[2:5], v1 offset:1424
	v_add_f64 v[10:11], v[14:15], v[10:11]
	v_add_f64 v[12:13], v[16:17], v[12:13]
	s_waitcnt vmcnt(0) lgkmcnt(0)
	v_mul_f64 v[14:15], v[2:3], v[40:41]
	v_mul_f64 v[16:17], v[4:5], v[40:41]
	v_fma_f64 v[8:9], v[8:9], v[188:189], v[18:19]
	v_fma_f64 v[6:7], v[6:7], v[188:189], -v[20:21]
	v_add_f64 v[10:11], v[10:11], v[24:25]
	v_add_f64 v[12:13], v[12:13], v[22:23]
	v_fma_f64 v[4:5], v[4:5], v[38:39], v[14:15]
	v_fma_f64 v[2:3], v[2:3], v[38:39], -v[16:17]
	s_delay_alu instid0(VALU_DEP_4) | instskip(NEXT) | instid1(VALU_DEP_4)
	v_add_f64 v[6:7], v[10:11], v[6:7]
	v_add_f64 v[8:9], v[12:13], v[8:9]
	s_delay_alu instid0(VALU_DEP_2) | instskip(NEXT) | instid1(VALU_DEP_2)
	v_add_f64 v[2:3], v[6:7], v[2:3]
	v_add_f64 v[4:5], v[8:9], v[4:5]
	s_delay_alu instid0(VALU_DEP_2) | instskip(NEXT) | instid1(VALU_DEP_2)
	v_add_f64 v[2:3], v[42:43], -v[2:3]
	v_add_f64 v[4:5], v[44:45], -v[4:5]
	scratch_store_b128 off, v[2:5], off offset:48
	v_cmpx_lt_u32_e32 2, v136
	s_cbranch_execz .LBB108_279
; %bb.278:
	scratch_load_b128 v[5:8], v179, off
	v_mov_b32_e32 v2, v1
	v_mov_b32_e32 v3, v1
	v_mov_b32_e32 v4, v1
	scratch_store_b128 off, v[1:4], off offset:32
	s_waitcnt vmcnt(0)
	ds_store_b128 v181, v[5:8]
.LBB108_279:
	s_or_b32 exec_lo, exec_lo, s2
	s_waitcnt lgkmcnt(0)
	s_waitcnt_vscnt null, 0x0
	s_barrier
	buffer_gl0_inv
	s_clause 0x8
	scratch_load_b128 v[2:5], off, off offset:48
	scratch_load_b128 v[6:9], off, off offset:64
	;; [unrolled: 1-line block ×9, first 2 shown]
	ds_load_b128 v[42:45], v1 offset:768
	ds_load_b128 v[38:41], v1 offset:784
	s_clause 0x1
	scratch_load_b128 v[182:185], off, off offset:32
	scratch_load_b128 v[186:189], off, off offset:192
	s_mov_b32 s2, exec_lo
	s_waitcnt vmcnt(10) lgkmcnt(1)
	v_mul_f64 v[190:191], v[44:45], v[4:5]
	v_mul_f64 v[4:5], v[42:43], v[4:5]
	s_waitcnt vmcnt(9) lgkmcnt(0)
	v_mul_f64 v[194:195], v[38:39], v[8:9]
	v_mul_f64 v[8:9], v[40:41], v[8:9]
	s_delay_alu instid0(VALU_DEP_4) | instskip(NEXT) | instid1(VALU_DEP_4)
	v_fma_f64 v[196:197], v[42:43], v[2:3], -v[190:191]
	v_fma_f64 v[198:199], v[44:45], v[2:3], v[4:5]
	ds_load_b128 v[2:5], v1 offset:800
	ds_load_b128 v[190:193], v1 offset:816
	scratch_load_b128 v[42:45], off, off offset:208
	v_fma_f64 v[40:41], v[40:41], v[6:7], v[194:195]
	v_fma_f64 v[38:39], v[38:39], v[6:7], -v[8:9]
	scratch_load_b128 v[6:9], off, off offset:224
	s_waitcnt vmcnt(10) lgkmcnt(1)
	v_mul_f64 v[200:201], v[2:3], v[12:13]
	v_mul_f64 v[12:13], v[4:5], v[12:13]
	v_add_f64 v[194:195], v[196:197], 0
	v_add_f64 v[196:197], v[198:199], 0
	s_waitcnt vmcnt(9) lgkmcnt(0)
	v_mul_f64 v[198:199], v[190:191], v[16:17]
	v_mul_f64 v[16:17], v[192:193], v[16:17]
	v_fma_f64 v[200:201], v[4:5], v[10:11], v[200:201]
	v_fma_f64 v[202:203], v[2:3], v[10:11], -v[12:13]
	ds_load_b128 v[2:5], v1 offset:832
	scratch_load_b128 v[10:13], off, off offset:240
	v_add_f64 v[194:195], v[194:195], v[38:39]
	v_add_f64 v[196:197], v[196:197], v[40:41]
	ds_load_b128 v[38:41], v1 offset:848
	v_fma_f64 v[192:193], v[192:193], v[14:15], v[198:199]
	v_fma_f64 v[190:191], v[190:191], v[14:15], -v[16:17]
	scratch_load_b128 v[14:17], off, off offset:256
	s_waitcnt vmcnt(10) lgkmcnt(1)
	v_mul_f64 v[204:205], v[2:3], v[20:21]
	v_mul_f64 v[20:21], v[4:5], v[20:21]
	s_waitcnt vmcnt(9) lgkmcnt(0)
	v_mul_f64 v[198:199], v[38:39], v[24:25]
	v_mul_f64 v[24:25], v[40:41], v[24:25]
	v_add_f64 v[194:195], v[194:195], v[202:203]
	v_add_f64 v[196:197], v[196:197], v[200:201]
	v_fma_f64 v[200:201], v[4:5], v[18:19], v[204:205]
	v_fma_f64 v[202:203], v[2:3], v[18:19], -v[20:21]
	ds_load_b128 v[2:5], v1 offset:864
	scratch_load_b128 v[18:21], off, off offset:272
	v_fma_f64 v[40:41], v[40:41], v[22:23], v[198:199]
	v_fma_f64 v[38:39], v[38:39], v[22:23], -v[24:25]
	scratch_load_b128 v[22:25], off, off offset:288
	v_add_f64 v[194:195], v[194:195], v[190:191]
	v_add_f64 v[196:197], v[196:197], v[192:193]
	ds_load_b128 v[190:193], v1 offset:880
	s_waitcnt vmcnt(10) lgkmcnt(1)
	v_mul_f64 v[204:205], v[2:3], v[28:29]
	v_mul_f64 v[28:29], v[4:5], v[28:29]
	s_waitcnt vmcnt(9) lgkmcnt(0)
	v_mul_f64 v[198:199], v[190:191], v[32:33]
	v_mul_f64 v[32:33], v[192:193], v[32:33]
	v_add_f64 v[194:195], v[194:195], v[202:203]
	v_add_f64 v[196:197], v[196:197], v[200:201]
	v_fma_f64 v[200:201], v[4:5], v[26:27], v[204:205]
	v_fma_f64 v[202:203], v[2:3], v[26:27], -v[28:29]
	ds_load_b128 v[2:5], v1 offset:896
	scratch_load_b128 v[26:29], off, off offset:304
	v_fma_f64 v[192:193], v[192:193], v[30:31], v[198:199]
	v_fma_f64 v[190:191], v[190:191], v[30:31], -v[32:33]
	scratch_load_b128 v[30:33], off, off offset:320
	v_add_f64 v[194:195], v[194:195], v[38:39]
	v_add_f64 v[196:197], v[196:197], v[40:41]
	ds_load_b128 v[38:41], v1 offset:912
	s_waitcnt vmcnt(10) lgkmcnt(1)
	v_mul_f64 v[204:205], v[2:3], v[36:37]
	v_mul_f64 v[36:37], v[4:5], v[36:37]
	s_waitcnt vmcnt(8) lgkmcnt(0)
	v_mul_f64 v[198:199], v[38:39], v[188:189]
	v_add_f64 v[194:195], v[194:195], v[202:203]
	v_add_f64 v[196:197], v[196:197], v[200:201]
	v_mul_f64 v[200:201], v[40:41], v[188:189]
	v_fma_f64 v[202:203], v[4:5], v[34:35], v[204:205]
	v_fma_f64 v[204:205], v[2:3], v[34:35], -v[36:37]
	ds_load_b128 v[2:5], v1 offset:928
	scratch_load_b128 v[34:37], off, off offset:336
	v_fma_f64 v[198:199], v[40:41], v[186:187], v[198:199]
	v_add_f64 v[194:195], v[194:195], v[190:191]
	v_add_f64 v[192:193], v[196:197], v[192:193]
	ds_load_b128 v[188:191], v1 offset:944
	v_fma_f64 v[186:187], v[38:39], v[186:187], -v[200:201]
	scratch_load_b128 v[38:41], off, off offset:352
	s_waitcnt vmcnt(9) lgkmcnt(1)
	v_mul_f64 v[196:197], v[2:3], v[44:45]
	v_mul_f64 v[44:45], v[4:5], v[44:45]
	s_waitcnt vmcnt(8) lgkmcnt(0)
	v_mul_f64 v[200:201], v[188:189], v[8:9]
	v_mul_f64 v[8:9], v[190:191], v[8:9]
	v_add_f64 v[194:195], v[194:195], v[204:205]
	v_add_f64 v[192:193], v[192:193], v[202:203]
	v_fma_f64 v[196:197], v[4:5], v[42:43], v[196:197]
	v_fma_f64 v[202:203], v[2:3], v[42:43], -v[44:45]
	ds_load_b128 v[2:5], v1 offset:960
	scratch_load_b128 v[42:45], off, off offset:368
	v_fma_f64 v[190:191], v[190:191], v[6:7], v[200:201]
	v_fma_f64 v[188:189], v[188:189], v[6:7], -v[8:9]
	scratch_load_b128 v[6:9], off, off offset:384
	v_add_f64 v[186:187], v[194:195], v[186:187]
	v_add_f64 v[198:199], v[192:193], v[198:199]
	ds_load_b128 v[192:195], v1 offset:976
	s_waitcnt vmcnt(9) lgkmcnt(1)
	v_mul_f64 v[204:205], v[2:3], v[12:13]
	v_mul_f64 v[12:13], v[4:5], v[12:13]
	v_add_f64 v[186:187], v[186:187], v[202:203]
	v_add_f64 v[196:197], v[198:199], v[196:197]
	s_waitcnt vmcnt(8) lgkmcnt(0)
	v_mul_f64 v[198:199], v[192:193], v[16:17]
	v_mul_f64 v[16:17], v[194:195], v[16:17]
	v_fma_f64 v[200:201], v[4:5], v[10:11], v[204:205]
	v_fma_f64 v[202:203], v[2:3], v[10:11], -v[12:13]
	ds_load_b128 v[2:5], v1 offset:992
	scratch_load_b128 v[10:13], off, off offset:400
	v_add_f64 v[204:205], v[186:187], v[188:189]
	v_add_f64 v[190:191], v[196:197], v[190:191]
	ds_load_b128 v[186:189], v1 offset:1008
	s_waitcnt vmcnt(8) lgkmcnt(1)
	v_mul_f64 v[196:197], v[2:3], v[20:21]
	v_mul_f64 v[20:21], v[4:5], v[20:21]
	v_fma_f64 v[194:195], v[194:195], v[14:15], v[198:199]
	v_fma_f64 v[192:193], v[192:193], v[14:15], -v[16:17]
	scratch_load_b128 v[14:17], off, off offset:416
	v_add_f64 v[198:199], v[204:205], v[202:203]
	v_add_f64 v[190:191], v[190:191], v[200:201]
	s_waitcnt vmcnt(8) lgkmcnt(0)
	v_mul_f64 v[200:201], v[186:187], v[24:25]
	v_mul_f64 v[24:25], v[188:189], v[24:25]
	v_fma_f64 v[196:197], v[4:5], v[18:19], v[196:197]
	v_fma_f64 v[202:203], v[2:3], v[18:19], -v[20:21]
	ds_load_b128 v[2:5], v1 offset:1024
	scratch_load_b128 v[18:21], off, off offset:432
	v_add_f64 v[198:199], v[198:199], v[192:193]
	v_add_f64 v[194:195], v[190:191], v[194:195]
	ds_load_b128 v[190:193], v1 offset:1040
	s_waitcnt vmcnt(8) lgkmcnt(1)
	v_mul_f64 v[204:205], v[2:3], v[28:29]
	v_mul_f64 v[28:29], v[4:5], v[28:29]
	v_fma_f64 v[188:189], v[188:189], v[22:23], v[200:201]
	v_fma_f64 v[186:187], v[186:187], v[22:23], -v[24:25]
	scratch_load_b128 v[22:25], off, off offset:448
	;; [unrolled: 18-line block ×4, first 2 shown]
	s_waitcnt vmcnt(8) lgkmcnt(0)
	v_mul_f64 v[198:199], v[190:191], v[8:9]
	v_mul_f64 v[8:9], v[192:193], v[8:9]
	v_add_f64 v[196:197], v[196:197], v[202:203]
	v_add_f64 v[194:195], v[194:195], v[200:201]
	v_fma_f64 v[200:201], v[4:5], v[42:43], v[204:205]
	v_fma_f64 v[202:203], v[2:3], v[42:43], -v[44:45]
	ds_load_b128 v[2:5], v1 offset:1120
	scratch_load_b128 v[42:45], off, off offset:528
	v_fma_f64 v[192:193], v[192:193], v[6:7], v[198:199]
	v_fma_f64 v[190:191], v[190:191], v[6:7], -v[8:9]
	scratch_load_b128 v[6:9], off, off offset:544
	v_add_f64 v[196:197], v[196:197], v[186:187]
	v_add_f64 v[194:195], v[194:195], v[188:189]
	ds_load_b128 v[186:189], v1 offset:1136
	s_waitcnt vmcnt(9) lgkmcnt(1)
	v_mul_f64 v[204:205], v[2:3], v[12:13]
	v_mul_f64 v[12:13], v[4:5], v[12:13]
	s_waitcnt vmcnt(8) lgkmcnt(0)
	v_mul_f64 v[198:199], v[186:187], v[16:17]
	v_mul_f64 v[16:17], v[188:189], v[16:17]
	v_add_f64 v[196:197], v[196:197], v[202:203]
	v_add_f64 v[194:195], v[194:195], v[200:201]
	v_fma_f64 v[200:201], v[4:5], v[10:11], v[204:205]
	v_fma_f64 v[202:203], v[2:3], v[10:11], -v[12:13]
	ds_load_b128 v[2:5], v1 offset:1152
	scratch_load_b128 v[10:13], off, off offset:560
	v_fma_f64 v[188:189], v[188:189], v[14:15], v[198:199]
	v_fma_f64 v[186:187], v[186:187], v[14:15], -v[16:17]
	scratch_load_b128 v[14:17], off, off offset:576
	v_add_f64 v[196:197], v[196:197], v[190:191]
	v_add_f64 v[194:195], v[194:195], v[192:193]
	ds_load_b128 v[190:193], v1 offset:1168
	s_waitcnt vmcnt(9) lgkmcnt(1)
	v_mul_f64 v[204:205], v[2:3], v[20:21]
	v_mul_f64 v[20:21], v[4:5], v[20:21]
	;; [unrolled: 18-line block ×6, first 2 shown]
	s_waitcnt vmcnt(8) lgkmcnt(0)
	v_mul_f64 v[198:199], v[190:191], v[16:17]
	v_mul_f64 v[16:17], v[192:193], v[16:17]
	v_add_f64 v[196:197], v[196:197], v[202:203]
	v_add_f64 v[194:195], v[194:195], v[200:201]
	v_fma_f64 v[200:201], v[4:5], v[10:11], v[204:205]
	v_fma_f64 v[202:203], v[2:3], v[10:11], -v[12:13]
	ds_load_b128 v[2:5], v1 offset:1312
	ds_load_b128 v[10:13], v1 offset:1328
	v_fma_f64 v[192:193], v[192:193], v[14:15], v[198:199]
	v_fma_f64 v[14:15], v[190:191], v[14:15], -v[16:17]
	v_add_f64 v[186:187], v[196:197], v[186:187]
	v_add_f64 v[188:189], v[194:195], v[188:189]
	s_waitcnt vmcnt(7) lgkmcnt(1)
	v_mul_f64 v[194:195], v[2:3], v[20:21]
	v_mul_f64 v[20:21], v[4:5], v[20:21]
	s_delay_alu instid0(VALU_DEP_4) | instskip(NEXT) | instid1(VALU_DEP_4)
	v_add_f64 v[16:17], v[186:187], v[202:203]
	v_add_f64 v[186:187], v[188:189], v[200:201]
	s_waitcnt vmcnt(6) lgkmcnt(0)
	v_mul_f64 v[188:189], v[10:11], v[24:25]
	v_mul_f64 v[24:25], v[12:13], v[24:25]
	v_fma_f64 v[190:191], v[4:5], v[18:19], v[194:195]
	v_fma_f64 v[18:19], v[2:3], v[18:19], -v[20:21]
	v_add_f64 v[20:21], v[16:17], v[14:15]
	v_add_f64 v[186:187], v[186:187], v[192:193]
	ds_load_b128 v[2:5], v1 offset:1344
	ds_load_b128 v[14:17], v1 offset:1360
	v_fma_f64 v[12:13], v[12:13], v[22:23], v[188:189]
	v_fma_f64 v[10:11], v[10:11], v[22:23], -v[24:25]
	s_waitcnt vmcnt(5) lgkmcnt(1)
	v_mul_f64 v[192:193], v[2:3], v[28:29]
	v_mul_f64 v[28:29], v[4:5], v[28:29]
	s_waitcnt vmcnt(4) lgkmcnt(0)
	v_mul_f64 v[22:23], v[14:15], v[32:33]
	v_mul_f64 v[24:25], v[16:17], v[32:33]
	v_add_f64 v[18:19], v[20:21], v[18:19]
	v_add_f64 v[20:21], v[186:187], v[190:191]
	v_fma_f64 v[32:33], v[4:5], v[26:27], v[192:193]
	v_fma_f64 v[26:27], v[2:3], v[26:27], -v[28:29]
	v_fma_f64 v[16:17], v[16:17], v[30:31], v[22:23]
	v_fma_f64 v[14:15], v[14:15], v[30:31], -v[24:25]
	v_add_f64 v[18:19], v[18:19], v[10:11]
	v_add_f64 v[20:21], v[20:21], v[12:13]
	ds_load_b128 v[2:5], v1 offset:1376
	ds_load_b128 v[10:13], v1 offset:1392
	s_waitcnt vmcnt(3) lgkmcnt(1)
	v_mul_f64 v[28:29], v[2:3], v[36:37]
	v_mul_f64 v[36:37], v[4:5], v[36:37]
	s_waitcnt vmcnt(2) lgkmcnt(0)
	v_mul_f64 v[22:23], v[10:11], v[40:41]
	v_mul_f64 v[24:25], v[12:13], v[40:41]
	v_add_f64 v[18:19], v[18:19], v[26:27]
	v_add_f64 v[20:21], v[20:21], v[32:33]
	v_fma_f64 v[26:27], v[4:5], v[34:35], v[28:29]
	v_fma_f64 v[28:29], v[2:3], v[34:35], -v[36:37]
	v_fma_f64 v[12:13], v[12:13], v[38:39], v[22:23]
	v_fma_f64 v[10:11], v[10:11], v[38:39], -v[24:25]
	v_add_f64 v[18:19], v[18:19], v[14:15]
	v_add_f64 v[20:21], v[20:21], v[16:17]
	ds_load_b128 v[2:5], v1 offset:1408
	ds_load_b128 v[14:17], v1 offset:1424
	s_waitcnt vmcnt(1) lgkmcnt(1)
	v_mul_f64 v[30:31], v[2:3], v[44:45]
	v_mul_f64 v[32:33], v[4:5], v[44:45]
	s_waitcnt vmcnt(0) lgkmcnt(0)
	v_mul_f64 v[22:23], v[14:15], v[8:9]
	v_mul_f64 v[8:9], v[16:17], v[8:9]
	v_add_f64 v[18:19], v[18:19], v[28:29]
	v_add_f64 v[20:21], v[20:21], v[26:27]
	v_fma_f64 v[4:5], v[4:5], v[42:43], v[30:31]
	v_fma_f64 v[1:2], v[2:3], v[42:43], -v[32:33]
	v_fma_f64 v[16:17], v[16:17], v[6:7], v[22:23]
	v_fma_f64 v[6:7], v[14:15], v[6:7], -v[8:9]
	v_add_f64 v[10:11], v[18:19], v[10:11]
	v_add_f64 v[12:13], v[20:21], v[12:13]
	s_delay_alu instid0(VALU_DEP_2) | instskip(NEXT) | instid1(VALU_DEP_2)
	v_add_f64 v[1:2], v[10:11], v[1:2]
	v_add_f64 v[3:4], v[12:13], v[4:5]
	s_delay_alu instid0(VALU_DEP_2) | instskip(NEXT) | instid1(VALU_DEP_2)
	;; [unrolled: 3-line block ×3, first 2 shown]
	v_add_f64 v[1:2], v[182:183], -v[1:2]
	v_add_f64 v[3:4], v[184:185], -v[3:4]
	scratch_store_b128 off, v[1:4], off offset:32
	v_cmpx_lt_u32_e32 1, v136
	s_cbranch_execz .LBB108_281
; %bb.280:
	scratch_load_b128 v[1:4], v180, off
	v_mov_b32_e32 v5, 0
	s_delay_alu instid0(VALU_DEP_1)
	v_mov_b32_e32 v6, v5
	v_mov_b32_e32 v7, v5
	;; [unrolled: 1-line block ×3, first 2 shown]
	scratch_store_b128 off, v[5:8], off offset:16
	s_waitcnt vmcnt(0)
	ds_store_b128 v181, v[1:4]
.LBB108_281:
	s_or_b32 exec_lo, exec_lo, s2
	s_waitcnt lgkmcnt(0)
	s_waitcnt_vscnt null, 0x0
	s_barrier
	buffer_gl0_inv
	s_clause 0x7
	scratch_load_b128 v[2:5], off, off offset:32
	scratch_load_b128 v[6:9], off, off offset:48
	;; [unrolled: 1-line block ×8, first 2 shown]
	v_mov_b32_e32 v1, 0
	s_mov_b32 s2, exec_lo
	ds_load_b128 v[38:41], v1 offset:752
	s_clause 0x1
	scratch_load_b128 v[34:37], off, off offset:160
	scratch_load_b128 v[42:45], off, off offset:16
	ds_load_b128 v[182:185], v1 offset:768
	scratch_load_b128 v[186:189], off, off offset:176
	s_waitcnt vmcnt(10) lgkmcnt(1)
	v_mul_f64 v[190:191], v[40:41], v[4:5]
	v_mul_f64 v[4:5], v[38:39], v[4:5]
	s_delay_alu instid0(VALU_DEP_2) | instskip(NEXT) | instid1(VALU_DEP_2)
	v_fma_f64 v[196:197], v[38:39], v[2:3], -v[190:191]
	v_fma_f64 v[198:199], v[40:41], v[2:3], v[4:5]
	scratch_load_b128 v[38:41], off, off offset:192
	ds_load_b128 v[2:5], v1 offset:784
	s_waitcnt vmcnt(10) lgkmcnt(1)
	v_mul_f64 v[194:195], v[182:183], v[8:9]
	v_mul_f64 v[8:9], v[184:185], v[8:9]
	ds_load_b128 v[190:193], v1 offset:800
	s_waitcnt vmcnt(9) lgkmcnt(1)
	v_mul_f64 v[200:201], v[2:3], v[12:13]
	v_mul_f64 v[12:13], v[4:5], v[12:13]
	v_fma_f64 v[184:185], v[184:185], v[6:7], v[194:195]
	v_fma_f64 v[182:183], v[182:183], v[6:7], -v[8:9]
	v_add_f64 v[194:195], v[196:197], 0
	v_add_f64 v[196:197], v[198:199], 0
	scratch_load_b128 v[6:9], off, off offset:208
	v_fma_f64 v[200:201], v[4:5], v[10:11], v[200:201]
	v_fma_f64 v[202:203], v[2:3], v[10:11], -v[12:13]
	scratch_load_b128 v[10:13], off, off offset:224
	ds_load_b128 v[2:5], v1 offset:816
	s_waitcnt vmcnt(10) lgkmcnt(1)
	v_mul_f64 v[198:199], v[190:191], v[16:17]
	v_mul_f64 v[16:17], v[192:193], v[16:17]
	v_add_f64 v[194:195], v[194:195], v[182:183]
	v_add_f64 v[196:197], v[196:197], v[184:185]
	s_waitcnt vmcnt(9) lgkmcnt(0)
	v_mul_f64 v[204:205], v[2:3], v[20:21]
	v_mul_f64 v[20:21], v[4:5], v[20:21]
	ds_load_b128 v[182:185], v1 offset:832
	v_fma_f64 v[192:193], v[192:193], v[14:15], v[198:199]
	v_fma_f64 v[190:191], v[190:191], v[14:15], -v[16:17]
	scratch_load_b128 v[14:17], off, off offset:240
	v_add_f64 v[194:195], v[194:195], v[202:203]
	v_add_f64 v[196:197], v[196:197], v[200:201]
	v_fma_f64 v[200:201], v[4:5], v[18:19], v[204:205]
	v_fma_f64 v[202:203], v[2:3], v[18:19], -v[20:21]
	scratch_load_b128 v[18:21], off, off offset:256
	ds_load_b128 v[2:5], v1 offset:848
	s_waitcnt vmcnt(10) lgkmcnt(1)
	v_mul_f64 v[198:199], v[182:183], v[24:25]
	v_mul_f64 v[24:25], v[184:185], v[24:25]
	s_waitcnt vmcnt(9) lgkmcnt(0)
	v_mul_f64 v[204:205], v[2:3], v[28:29]
	v_mul_f64 v[28:29], v[4:5], v[28:29]
	v_add_f64 v[194:195], v[194:195], v[190:191]
	v_add_f64 v[196:197], v[196:197], v[192:193]
	ds_load_b128 v[190:193], v1 offset:864
	v_fma_f64 v[184:185], v[184:185], v[22:23], v[198:199]
	v_fma_f64 v[182:183], v[182:183], v[22:23], -v[24:25]
	scratch_load_b128 v[22:25], off, off offset:272
	v_add_f64 v[194:195], v[194:195], v[202:203]
	v_add_f64 v[196:197], v[196:197], v[200:201]
	v_fma_f64 v[200:201], v[4:5], v[26:27], v[204:205]
	v_fma_f64 v[202:203], v[2:3], v[26:27], -v[28:29]
	scratch_load_b128 v[26:29], off, off offset:288
	ds_load_b128 v[2:5], v1 offset:880
	s_waitcnt vmcnt(10) lgkmcnt(1)
	v_mul_f64 v[198:199], v[190:191], v[32:33]
	v_mul_f64 v[32:33], v[192:193], v[32:33]
	s_waitcnt vmcnt(9) lgkmcnt(0)
	v_mul_f64 v[204:205], v[2:3], v[36:37]
	v_mul_f64 v[36:37], v[4:5], v[36:37]
	v_add_f64 v[194:195], v[194:195], v[182:183]
	v_add_f64 v[196:197], v[196:197], v[184:185]
	ds_load_b128 v[182:185], v1 offset:896
	v_fma_f64 v[192:193], v[192:193], v[30:31], v[198:199]
	v_fma_f64 v[190:191], v[190:191], v[30:31], -v[32:33]
	scratch_load_b128 v[30:33], off, off offset:304
	v_add_f64 v[194:195], v[194:195], v[202:203]
	v_add_f64 v[196:197], v[196:197], v[200:201]
	v_fma_f64 v[202:203], v[4:5], v[34:35], v[204:205]
	v_fma_f64 v[204:205], v[2:3], v[34:35], -v[36:37]
	scratch_load_b128 v[34:37], off, off offset:320
	ds_load_b128 v[2:5], v1 offset:912
	s_waitcnt vmcnt(9) lgkmcnt(1)
	v_mul_f64 v[198:199], v[182:183], v[188:189]
	v_mul_f64 v[200:201], v[184:185], v[188:189]
	v_add_f64 v[194:195], v[194:195], v[190:191]
	v_add_f64 v[192:193], v[196:197], v[192:193]
	ds_load_b128 v[188:191], v1 offset:928
	v_fma_f64 v[198:199], v[184:185], v[186:187], v[198:199]
	v_fma_f64 v[186:187], v[182:183], v[186:187], -v[200:201]
	scratch_load_b128 v[182:185], off, off offset:336
	s_waitcnt vmcnt(9) lgkmcnt(1)
	v_mul_f64 v[196:197], v[2:3], v[40:41]
	v_mul_f64 v[40:41], v[4:5], v[40:41]
	v_add_f64 v[194:195], v[194:195], v[204:205]
	v_add_f64 v[192:193], v[192:193], v[202:203]
	s_delay_alu instid0(VALU_DEP_4) | instskip(NEXT) | instid1(VALU_DEP_4)
	v_fma_f64 v[196:197], v[4:5], v[38:39], v[196:197]
	v_fma_f64 v[202:203], v[2:3], v[38:39], -v[40:41]
	scratch_load_b128 v[38:41], off, off offset:352
	ds_load_b128 v[2:5], v1 offset:944
	s_waitcnt vmcnt(9) lgkmcnt(1)
	v_mul_f64 v[200:201], v[188:189], v[8:9]
	v_mul_f64 v[8:9], v[190:191], v[8:9]
	s_waitcnt vmcnt(8) lgkmcnt(0)
	v_mul_f64 v[204:205], v[2:3], v[12:13]
	v_mul_f64 v[12:13], v[4:5], v[12:13]
	v_add_f64 v[186:187], v[194:195], v[186:187]
	v_add_f64 v[198:199], v[192:193], v[198:199]
	ds_load_b128 v[192:195], v1 offset:960
	v_fma_f64 v[190:191], v[190:191], v[6:7], v[200:201]
	v_fma_f64 v[188:189], v[188:189], v[6:7], -v[8:9]
	scratch_load_b128 v[6:9], off, off offset:368
	v_fma_f64 v[200:201], v[4:5], v[10:11], v[204:205]
	v_add_f64 v[186:187], v[186:187], v[202:203]
	v_add_f64 v[196:197], v[198:199], v[196:197]
	v_fma_f64 v[202:203], v[2:3], v[10:11], -v[12:13]
	scratch_load_b128 v[10:13], off, off offset:384
	ds_load_b128 v[2:5], v1 offset:976
	s_waitcnt vmcnt(9) lgkmcnt(1)
	v_mul_f64 v[198:199], v[192:193], v[16:17]
	v_mul_f64 v[16:17], v[194:195], v[16:17]
	v_add_f64 v[204:205], v[186:187], v[188:189]
	v_add_f64 v[190:191], v[196:197], v[190:191]
	s_waitcnt vmcnt(8) lgkmcnt(0)
	v_mul_f64 v[196:197], v[2:3], v[20:21]
	v_mul_f64 v[20:21], v[4:5], v[20:21]
	ds_load_b128 v[186:189], v1 offset:992
	v_fma_f64 v[194:195], v[194:195], v[14:15], v[198:199]
	v_fma_f64 v[192:193], v[192:193], v[14:15], -v[16:17]
	scratch_load_b128 v[14:17], off, off offset:400
	v_add_f64 v[198:199], v[204:205], v[202:203]
	v_add_f64 v[190:191], v[190:191], v[200:201]
	v_fma_f64 v[196:197], v[4:5], v[18:19], v[196:197]
	v_fma_f64 v[202:203], v[2:3], v[18:19], -v[20:21]
	scratch_load_b128 v[18:21], off, off offset:416
	ds_load_b128 v[2:5], v1 offset:1008
	s_waitcnt vmcnt(9) lgkmcnt(1)
	v_mul_f64 v[200:201], v[186:187], v[24:25]
	v_mul_f64 v[24:25], v[188:189], v[24:25]
	s_waitcnt vmcnt(8) lgkmcnt(0)
	v_mul_f64 v[204:205], v[2:3], v[28:29]
	v_mul_f64 v[28:29], v[4:5], v[28:29]
	v_add_f64 v[198:199], v[198:199], v[192:193]
	v_add_f64 v[194:195], v[190:191], v[194:195]
	ds_load_b128 v[190:193], v1 offset:1024
	v_fma_f64 v[188:189], v[188:189], v[22:23], v[200:201]
	v_fma_f64 v[186:187], v[186:187], v[22:23], -v[24:25]
	scratch_load_b128 v[22:25], off, off offset:432
	v_fma_f64 v[200:201], v[4:5], v[26:27], v[204:205]
	v_add_f64 v[198:199], v[198:199], v[202:203]
	v_add_f64 v[194:195], v[194:195], v[196:197]
	v_fma_f64 v[202:203], v[2:3], v[26:27], -v[28:29]
	scratch_load_b128 v[26:29], off, off offset:448
	ds_load_b128 v[2:5], v1 offset:1040
	s_waitcnt vmcnt(9) lgkmcnt(1)
	v_mul_f64 v[196:197], v[190:191], v[32:33]
	v_mul_f64 v[32:33], v[192:193], v[32:33]
	s_waitcnt vmcnt(8) lgkmcnt(0)
	v_mul_f64 v[204:205], v[2:3], v[36:37]
	v_mul_f64 v[36:37], v[4:5], v[36:37]
	v_add_f64 v[198:199], v[198:199], v[186:187]
	v_add_f64 v[194:195], v[194:195], v[188:189]
	ds_load_b128 v[186:189], v1 offset:1056
	v_fma_f64 v[192:193], v[192:193], v[30:31], v[196:197]
	v_fma_f64 v[190:191], v[190:191], v[30:31], -v[32:33]
	scratch_load_b128 v[30:33], off, off offset:464
	v_add_f64 v[196:197], v[198:199], v[202:203]
	v_add_f64 v[194:195], v[194:195], v[200:201]
	v_fma_f64 v[200:201], v[4:5], v[34:35], v[204:205]
	v_fma_f64 v[202:203], v[2:3], v[34:35], -v[36:37]
	scratch_load_b128 v[34:37], off, off offset:480
	ds_load_b128 v[2:5], v1 offset:1072
	s_waitcnt vmcnt(9) lgkmcnt(1)
	v_mul_f64 v[198:199], v[186:187], v[184:185]
	v_mul_f64 v[184:185], v[188:189], v[184:185]
	s_waitcnt vmcnt(8) lgkmcnt(0)
	v_mul_f64 v[204:205], v[2:3], v[40:41]
	v_mul_f64 v[40:41], v[4:5], v[40:41]
	v_add_f64 v[196:197], v[196:197], v[190:191]
	v_add_f64 v[194:195], v[194:195], v[192:193]
	ds_load_b128 v[190:193], v1 offset:1088
	v_fma_f64 v[188:189], v[188:189], v[182:183], v[198:199]
	v_fma_f64 v[186:187], v[186:187], v[182:183], -v[184:185]
	scratch_load_b128 v[182:185], off, off offset:496
	v_add_f64 v[196:197], v[196:197], v[202:203]
	v_add_f64 v[194:195], v[194:195], v[200:201]
	v_fma_f64 v[200:201], v[4:5], v[38:39], v[204:205]
	;; [unrolled: 18-line block ×6, first 2 shown]
	v_fma_f64 v[204:205], v[2:3], v[34:35], -v[36:37]
	scratch_load_b128 v[34:37], off, off offset:640
	ds_load_b128 v[2:5], v1 offset:1232
	s_waitcnt vmcnt(9) lgkmcnt(1)
	v_mul_f64 v[198:199], v[190:191], v[184:185]
	v_mul_f64 v[200:201], v[192:193], v[184:185]
	v_add_f64 v[196:197], v[196:197], v[186:187]
	v_add_f64 v[188:189], v[194:195], v[188:189]
	s_waitcnt vmcnt(8) lgkmcnt(0)
	v_mul_f64 v[194:195], v[2:3], v[40:41]
	v_mul_f64 v[40:41], v[4:5], v[40:41]
	ds_load_b128 v[184:187], v1 offset:1248
	v_fma_f64 v[192:193], v[192:193], v[182:183], v[198:199]
	v_fma_f64 v[182:183], v[190:191], v[182:183], -v[200:201]
	v_add_f64 v[196:197], v[196:197], v[204:205]
	v_add_f64 v[198:199], v[188:189], v[202:203]
	scratch_load_b128 v[188:191], off, off offset:656
	v_fma_f64 v[202:203], v[4:5], v[38:39], v[194:195]
	v_fma_f64 v[204:205], v[2:3], v[38:39], -v[40:41]
	scratch_load_b128 v[38:41], off, off offset:672
	ds_load_b128 v[2:5], v1 offset:1264
	s_waitcnt vmcnt(9) lgkmcnt(1)
	v_mul_f64 v[200:201], v[184:185], v[8:9]
	v_mul_f64 v[8:9], v[186:187], v[8:9]
	v_add_f64 v[182:183], v[196:197], v[182:183]
	v_add_f64 v[196:197], v[198:199], v[192:193]
	s_waitcnt vmcnt(8) lgkmcnt(0)
	v_mul_f64 v[198:199], v[2:3], v[12:13]
	v_mul_f64 v[12:13], v[4:5], v[12:13]
	ds_load_b128 v[192:195], v1 offset:1280
	v_fma_f64 v[186:187], v[186:187], v[6:7], v[200:201]
	v_fma_f64 v[184:185], v[184:185], v[6:7], -v[8:9]
	scratch_load_b128 v[6:9], off, off offset:688
	v_add_f64 v[182:183], v[182:183], v[204:205]
	v_add_f64 v[196:197], v[196:197], v[202:203]
	v_fma_f64 v[198:199], v[4:5], v[10:11], v[198:199]
	v_fma_f64 v[202:203], v[2:3], v[10:11], -v[12:13]
	scratch_load_b128 v[10:13], off, off offset:704
	ds_load_b128 v[2:5], v1 offset:1296
	s_waitcnt vmcnt(9) lgkmcnt(1)
	v_mul_f64 v[200:201], v[192:193], v[16:17]
	v_mul_f64 v[16:17], v[194:195], v[16:17]
	v_add_f64 v[204:205], v[182:183], v[184:185]
	v_add_f64 v[186:187], v[196:197], v[186:187]
	s_waitcnt vmcnt(8) lgkmcnt(0)
	v_mul_f64 v[196:197], v[2:3], v[20:21]
	v_mul_f64 v[20:21], v[4:5], v[20:21]
	ds_load_b128 v[182:185], v1 offset:1312
	v_fma_f64 v[194:195], v[194:195], v[14:15], v[200:201]
	v_fma_f64 v[14:15], v[192:193], v[14:15], -v[16:17]
	s_waitcnt vmcnt(7) lgkmcnt(0)
	v_mul_f64 v[192:193], v[182:183], v[24:25]
	v_mul_f64 v[24:25], v[184:185], v[24:25]
	v_add_f64 v[16:17], v[204:205], v[202:203]
	v_add_f64 v[186:187], v[186:187], v[198:199]
	v_fma_f64 v[196:197], v[4:5], v[18:19], v[196:197]
	v_fma_f64 v[18:19], v[2:3], v[18:19], -v[20:21]
	v_fma_f64 v[184:185], v[184:185], v[22:23], v[192:193]
	v_fma_f64 v[22:23], v[182:183], v[22:23], -v[24:25]
	v_add_f64 v[20:21], v[16:17], v[14:15]
	v_add_f64 v[186:187], v[186:187], v[194:195]
	ds_load_b128 v[2:5], v1 offset:1328
	ds_load_b128 v[14:17], v1 offset:1344
	s_waitcnt vmcnt(6) lgkmcnt(1)
	v_mul_f64 v[194:195], v[2:3], v[28:29]
	v_mul_f64 v[28:29], v[4:5], v[28:29]
	s_waitcnt vmcnt(5) lgkmcnt(0)
	v_mul_f64 v[24:25], v[14:15], v[32:33]
	v_mul_f64 v[32:33], v[16:17], v[32:33]
	v_add_f64 v[18:19], v[20:21], v[18:19]
	v_add_f64 v[20:21], v[186:187], v[196:197]
	v_fma_f64 v[182:183], v[4:5], v[26:27], v[194:195]
	v_fma_f64 v[26:27], v[2:3], v[26:27], -v[28:29]
	v_fma_f64 v[16:17], v[16:17], v[30:31], v[24:25]
	v_fma_f64 v[14:15], v[14:15], v[30:31], -v[32:33]
	v_add_f64 v[22:23], v[18:19], v[22:23]
	v_add_f64 v[28:29], v[20:21], v[184:185]
	ds_load_b128 v[2:5], v1 offset:1360
	ds_load_b128 v[18:21], v1 offset:1376
	s_waitcnt vmcnt(4) lgkmcnt(1)
	v_mul_f64 v[184:185], v[2:3], v[36:37]
	v_mul_f64 v[36:37], v[4:5], v[36:37]
	v_add_f64 v[22:23], v[22:23], v[26:27]
	v_add_f64 v[24:25], v[28:29], v[182:183]
	s_waitcnt vmcnt(3) lgkmcnt(0)
	v_mul_f64 v[26:27], v[18:19], v[190:191]
	v_mul_f64 v[28:29], v[20:21], v[190:191]
	v_fma_f64 v[30:31], v[4:5], v[34:35], v[184:185]
	v_fma_f64 v[32:33], v[2:3], v[34:35], -v[36:37]
	v_add_f64 v[22:23], v[22:23], v[14:15]
	v_add_f64 v[24:25], v[24:25], v[16:17]
	ds_load_b128 v[2:5], v1 offset:1392
	ds_load_b128 v[14:17], v1 offset:1408
	v_fma_f64 v[20:21], v[20:21], v[188:189], v[26:27]
	v_fma_f64 v[18:19], v[18:19], v[188:189], -v[28:29]
	s_waitcnt vmcnt(2) lgkmcnt(1)
	v_mul_f64 v[34:35], v[2:3], v[40:41]
	v_mul_f64 v[36:37], v[4:5], v[40:41]
	s_waitcnt vmcnt(1) lgkmcnt(0)
	v_mul_f64 v[26:27], v[14:15], v[8:9]
	v_mul_f64 v[8:9], v[16:17], v[8:9]
	v_add_f64 v[22:23], v[22:23], v[32:33]
	v_add_f64 v[24:25], v[24:25], v[30:31]
	v_fma_f64 v[28:29], v[4:5], v[38:39], v[34:35]
	v_fma_f64 v[30:31], v[2:3], v[38:39], -v[36:37]
	ds_load_b128 v[2:5], v1 offset:1424
	v_fma_f64 v[16:17], v[16:17], v[6:7], v[26:27]
	v_fma_f64 v[6:7], v[14:15], v[6:7], -v[8:9]
	v_add_f64 v[18:19], v[22:23], v[18:19]
	v_add_f64 v[20:21], v[24:25], v[20:21]
	s_waitcnt vmcnt(0) lgkmcnt(0)
	v_mul_f64 v[22:23], v[2:3], v[12:13]
	v_mul_f64 v[12:13], v[4:5], v[12:13]
	s_delay_alu instid0(VALU_DEP_4) | instskip(NEXT) | instid1(VALU_DEP_4)
	v_add_f64 v[8:9], v[18:19], v[30:31]
	v_add_f64 v[14:15], v[20:21], v[28:29]
	s_delay_alu instid0(VALU_DEP_4) | instskip(NEXT) | instid1(VALU_DEP_4)
	v_fma_f64 v[4:5], v[4:5], v[10:11], v[22:23]
	v_fma_f64 v[2:3], v[2:3], v[10:11], -v[12:13]
	s_delay_alu instid0(VALU_DEP_4) | instskip(NEXT) | instid1(VALU_DEP_4)
	v_add_f64 v[6:7], v[8:9], v[6:7]
	v_add_f64 v[8:9], v[14:15], v[16:17]
	s_delay_alu instid0(VALU_DEP_2) | instskip(NEXT) | instid1(VALU_DEP_2)
	v_add_f64 v[2:3], v[6:7], v[2:3]
	v_add_f64 v[4:5], v[8:9], v[4:5]
	s_delay_alu instid0(VALU_DEP_2) | instskip(NEXT) | instid1(VALU_DEP_2)
	v_add_f64 v[2:3], v[42:43], -v[2:3]
	v_add_f64 v[4:5], v[44:45], -v[4:5]
	scratch_store_b128 off, v[2:5], off offset:16
	v_cmpx_ne_u32_e32 0, v136
	s_cbranch_execz .LBB108_283
; %bb.282:
	scratch_load_b128 v[5:8], off, off
	v_mov_b32_e32 v2, v1
	v_mov_b32_e32 v3, v1
	;; [unrolled: 1-line block ×3, first 2 shown]
	scratch_store_b128 off, v[1:4], off
	s_waitcnt vmcnt(0)
	ds_store_b128 v181, v[5:8]
.LBB108_283:
	s_or_b32 exec_lo, exec_lo, s2
	s_waitcnt lgkmcnt(0)
	s_waitcnt_vscnt null, 0x0
	s_barrier
	buffer_gl0_inv
	s_clause 0x8
	scratch_load_b128 v[2:5], off, off offset:16
	scratch_load_b128 v[6:9], off, off offset:32
	;; [unrolled: 1-line block ×9, first 2 shown]
	ds_load_b128 v[42:45], v1 offset:736
	ds_load_b128 v[38:41], v1 offset:752
	s_clause 0x1
	scratch_load_b128 v[181:184], off, off
	scratch_load_b128 v[185:188], off, off offset:160
	s_and_b32 vcc_lo, exec_lo, s14
	s_waitcnt vmcnt(10) lgkmcnt(1)
	v_mul_f64 v[189:190], v[44:45], v[4:5]
	v_mul_f64 v[4:5], v[42:43], v[4:5]
	s_waitcnt vmcnt(9) lgkmcnt(0)
	v_mul_f64 v[193:194], v[38:39], v[8:9]
	v_mul_f64 v[8:9], v[40:41], v[8:9]
	s_delay_alu instid0(VALU_DEP_4) | instskip(NEXT) | instid1(VALU_DEP_4)
	v_fma_f64 v[195:196], v[42:43], v[2:3], -v[189:190]
	v_fma_f64 v[197:198], v[44:45], v[2:3], v[4:5]
	ds_load_b128 v[2:5], v1 offset:768
	ds_load_b128 v[189:192], v1 offset:784
	scratch_load_b128 v[42:45], off, off offset:176
	v_fma_f64 v[40:41], v[40:41], v[6:7], v[193:194]
	v_fma_f64 v[38:39], v[38:39], v[6:7], -v[8:9]
	scratch_load_b128 v[6:9], off, off offset:192
	s_waitcnt vmcnt(10) lgkmcnt(1)
	v_mul_f64 v[199:200], v[2:3], v[12:13]
	v_mul_f64 v[12:13], v[4:5], v[12:13]
	v_add_f64 v[193:194], v[195:196], 0
	v_add_f64 v[195:196], v[197:198], 0
	s_waitcnt vmcnt(9) lgkmcnt(0)
	v_mul_f64 v[197:198], v[189:190], v[16:17]
	v_mul_f64 v[16:17], v[191:192], v[16:17]
	v_fma_f64 v[199:200], v[4:5], v[10:11], v[199:200]
	v_fma_f64 v[201:202], v[2:3], v[10:11], -v[12:13]
	ds_load_b128 v[2:5], v1 offset:800
	scratch_load_b128 v[10:13], off, off offset:208
	v_add_f64 v[193:194], v[193:194], v[38:39]
	v_add_f64 v[195:196], v[195:196], v[40:41]
	ds_load_b128 v[38:41], v1 offset:816
	v_fma_f64 v[191:192], v[191:192], v[14:15], v[197:198]
	v_fma_f64 v[189:190], v[189:190], v[14:15], -v[16:17]
	scratch_load_b128 v[14:17], off, off offset:224
	s_waitcnt vmcnt(10) lgkmcnt(1)
	v_mul_f64 v[203:204], v[2:3], v[20:21]
	v_mul_f64 v[20:21], v[4:5], v[20:21]
	s_waitcnt vmcnt(9) lgkmcnt(0)
	v_mul_f64 v[197:198], v[38:39], v[24:25]
	v_mul_f64 v[24:25], v[40:41], v[24:25]
	v_add_f64 v[193:194], v[193:194], v[201:202]
	v_add_f64 v[195:196], v[195:196], v[199:200]
	v_fma_f64 v[199:200], v[4:5], v[18:19], v[203:204]
	v_fma_f64 v[201:202], v[2:3], v[18:19], -v[20:21]
	ds_load_b128 v[2:5], v1 offset:832
	scratch_load_b128 v[18:21], off, off offset:240
	v_fma_f64 v[40:41], v[40:41], v[22:23], v[197:198]
	v_fma_f64 v[38:39], v[38:39], v[22:23], -v[24:25]
	scratch_load_b128 v[22:25], off, off offset:256
	v_add_f64 v[193:194], v[193:194], v[189:190]
	v_add_f64 v[195:196], v[195:196], v[191:192]
	ds_load_b128 v[189:192], v1 offset:848
	s_waitcnt vmcnt(10) lgkmcnt(1)
	v_mul_f64 v[203:204], v[2:3], v[28:29]
	v_mul_f64 v[28:29], v[4:5], v[28:29]
	s_waitcnt vmcnt(9) lgkmcnt(0)
	v_mul_f64 v[197:198], v[189:190], v[32:33]
	v_mul_f64 v[32:33], v[191:192], v[32:33]
	v_add_f64 v[193:194], v[193:194], v[201:202]
	v_add_f64 v[195:196], v[195:196], v[199:200]
	v_fma_f64 v[199:200], v[4:5], v[26:27], v[203:204]
	v_fma_f64 v[201:202], v[2:3], v[26:27], -v[28:29]
	ds_load_b128 v[2:5], v1 offset:864
	scratch_load_b128 v[26:29], off, off offset:272
	v_fma_f64 v[191:192], v[191:192], v[30:31], v[197:198]
	v_fma_f64 v[189:190], v[189:190], v[30:31], -v[32:33]
	scratch_load_b128 v[30:33], off, off offset:288
	v_add_f64 v[193:194], v[193:194], v[38:39]
	v_add_f64 v[195:196], v[195:196], v[40:41]
	ds_load_b128 v[38:41], v1 offset:880
	s_waitcnt vmcnt(10) lgkmcnt(1)
	v_mul_f64 v[203:204], v[2:3], v[36:37]
	v_mul_f64 v[36:37], v[4:5], v[36:37]
	s_waitcnt vmcnt(8) lgkmcnt(0)
	v_mul_f64 v[197:198], v[38:39], v[187:188]
	v_add_f64 v[193:194], v[193:194], v[201:202]
	v_add_f64 v[195:196], v[195:196], v[199:200]
	v_mul_f64 v[199:200], v[40:41], v[187:188]
	v_fma_f64 v[201:202], v[4:5], v[34:35], v[203:204]
	v_fma_f64 v[203:204], v[2:3], v[34:35], -v[36:37]
	ds_load_b128 v[2:5], v1 offset:896
	scratch_load_b128 v[34:37], off, off offset:304
	v_fma_f64 v[197:198], v[40:41], v[185:186], v[197:198]
	v_add_f64 v[193:194], v[193:194], v[189:190]
	v_add_f64 v[191:192], v[195:196], v[191:192]
	ds_load_b128 v[187:190], v1 offset:912
	v_fma_f64 v[185:186], v[38:39], v[185:186], -v[199:200]
	scratch_load_b128 v[38:41], off, off offset:320
	s_waitcnt vmcnt(9) lgkmcnt(1)
	v_mul_f64 v[195:196], v[2:3], v[44:45]
	v_mul_f64 v[44:45], v[4:5], v[44:45]
	s_waitcnt vmcnt(8) lgkmcnt(0)
	v_mul_f64 v[199:200], v[187:188], v[8:9]
	v_mul_f64 v[8:9], v[189:190], v[8:9]
	v_add_f64 v[193:194], v[193:194], v[203:204]
	v_add_f64 v[191:192], v[191:192], v[201:202]
	v_fma_f64 v[195:196], v[4:5], v[42:43], v[195:196]
	v_fma_f64 v[201:202], v[2:3], v[42:43], -v[44:45]
	ds_load_b128 v[2:5], v1 offset:928
	scratch_load_b128 v[42:45], off, off offset:336
	v_fma_f64 v[189:190], v[189:190], v[6:7], v[199:200]
	v_fma_f64 v[187:188], v[187:188], v[6:7], -v[8:9]
	scratch_load_b128 v[6:9], off, off offset:352
	v_add_f64 v[185:186], v[193:194], v[185:186]
	v_add_f64 v[197:198], v[191:192], v[197:198]
	ds_load_b128 v[191:194], v1 offset:944
	s_waitcnt vmcnt(9) lgkmcnt(1)
	v_mul_f64 v[203:204], v[2:3], v[12:13]
	v_mul_f64 v[12:13], v[4:5], v[12:13]
	v_add_f64 v[185:186], v[185:186], v[201:202]
	v_add_f64 v[195:196], v[197:198], v[195:196]
	s_waitcnt vmcnt(8) lgkmcnt(0)
	v_mul_f64 v[197:198], v[191:192], v[16:17]
	v_mul_f64 v[16:17], v[193:194], v[16:17]
	v_fma_f64 v[199:200], v[4:5], v[10:11], v[203:204]
	v_fma_f64 v[201:202], v[2:3], v[10:11], -v[12:13]
	ds_load_b128 v[2:5], v1 offset:960
	scratch_load_b128 v[10:13], off, off offset:368
	v_add_f64 v[203:204], v[185:186], v[187:188]
	v_add_f64 v[189:190], v[195:196], v[189:190]
	ds_load_b128 v[185:188], v1 offset:976
	s_waitcnt vmcnt(8) lgkmcnt(1)
	v_mul_f64 v[195:196], v[2:3], v[20:21]
	v_mul_f64 v[20:21], v[4:5], v[20:21]
	v_fma_f64 v[193:194], v[193:194], v[14:15], v[197:198]
	v_fma_f64 v[191:192], v[191:192], v[14:15], -v[16:17]
	scratch_load_b128 v[14:17], off, off offset:384
	v_add_f64 v[197:198], v[203:204], v[201:202]
	v_add_f64 v[189:190], v[189:190], v[199:200]
	s_waitcnt vmcnt(8) lgkmcnt(0)
	v_mul_f64 v[199:200], v[185:186], v[24:25]
	v_mul_f64 v[24:25], v[187:188], v[24:25]
	v_fma_f64 v[195:196], v[4:5], v[18:19], v[195:196]
	v_fma_f64 v[201:202], v[2:3], v[18:19], -v[20:21]
	ds_load_b128 v[2:5], v1 offset:992
	scratch_load_b128 v[18:21], off, off offset:400
	v_add_f64 v[197:198], v[197:198], v[191:192]
	v_add_f64 v[193:194], v[189:190], v[193:194]
	ds_load_b128 v[189:192], v1 offset:1008
	s_waitcnt vmcnt(8) lgkmcnt(1)
	v_mul_f64 v[203:204], v[2:3], v[28:29]
	v_mul_f64 v[28:29], v[4:5], v[28:29]
	v_fma_f64 v[187:188], v[187:188], v[22:23], v[199:200]
	v_fma_f64 v[185:186], v[185:186], v[22:23], -v[24:25]
	scratch_load_b128 v[22:25], off, off offset:416
	;; [unrolled: 18-line block ×4, first 2 shown]
	s_waitcnt vmcnt(8) lgkmcnt(0)
	v_mul_f64 v[197:198], v[189:190], v[8:9]
	v_mul_f64 v[8:9], v[191:192], v[8:9]
	v_add_f64 v[195:196], v[195:196], v[201:202]
	v_add_f64 v[193:194], v[193:194], v[199:200]
	v_fma_f64 v[199:200], v[4:5], v[42:43], v[203:204]
	v_fma_f64 v[201:202], v[2:3], v[42:43], -v[44:45]
	ds_load_b128 v[2:5], v1 offset:1088
	scratch_load_b128 v[42:45], off, off offset:496
	v_fma_f64 v[191:192], v[191:192], v[6:7], v[197:198]
	v_fma_f64 v[189:190], v[189:190], v[6:7], -v[8:9]
	scratch_load_b128 v[6:9], off, off offset:512
	v_add_f64 v[195:196], v[195:196], v[185:186]
	v_add_f64 v[193:194], v[193:194], v[187:188]
	ds_load_b128 v[185:188], v1 offset:1104
	s_waitcnt vmcnt(9) lgkmcnt(1)
	v_mul_f64 v[203:204], v[2:3], v[12:13]
	v_mul_f64 v[12:13], v[4:5], v[12:13]
	s_waitcnt vmcnt(8) lgkmcnt(0)
	v_mul_f64 v[197:198], v[185:186], v[16:17]
	v_mul_f64 v[16:17], v[187:188], v[16:17]
	v_add_f64 v[195:196], v[195:196], v[201:202]
	v_add_f64 v[193:194], v[193:194], v[199:200]
	v_fma_f64 v[199:200], v[4:5], v[10:11], v[203:204]
	v_fma_f64 v[201:202], v[2:3], v[10:11], -v[12:13]
	ds_load_b128 v[2:5], v1 offset:1120
	scratch_load_b128 v[10:13], off, off offset:528
	v_fma_f64 v[187:188], v[187:188], v[14:15], v[197:198]
	v_fma_f64 v[185:186], v[185:186], v[14:15], -v[16:17]
	scratch_load_b128 v[14:17], off, off offset:544
	v_add_f64 v[195:196], v[195:196], v[189:190]
	v_add_f64 v[193:194], v[193:194], v[191:192]
	ds_load_b128 v[189:192], v1 offset:1136
	s_waitcnt vmcnt(9) lgkmcnt(1)
	v_mul_f64 v[203:204], v[2:3], v[20:21]
	v_mul_f64 v[20:21], v[4:5], v[20:21]
	;; [unrolled: 18-line block ×7, first 2 shown]
	s_waitcnt vmcnt(8) lgkmcnt(0)
	v_mul_f64 v[197:198], v[185:186], v[24:25]
	v_mul_f64 v[24:25], v[187:188], v[24:25]
	v_add_f64 v[195:196], v[195:196], v[201:202]
	v_add_f64 v[193:194], v[193:194], v[199:200]
	v_fma_f64 v[199:200], v[4:5], v[18:19], v[203:204]
	v_fma_f64 v[201:202], v[2:3], v[18:19], -v[20:21]
	ds_load_b128 v[2:5], v1 offset:1312
	ds_load_b128 v[18:21], v1 offset:1328
	v_fma_f64 v[187:188], v[187:188], v[22:23], v[197:198]
	v_fma_f64 v[22:23], v[185:186], v[22:23], -v[24:25]
	v_add_f64 v[189:190], v[195:196], v[189:190]
	v_add_f64 v[191:192], v[193:194], v[191:192]
	s_waitcnt vmcnt(7) lgkmcnt(1)
	v_mul_f64 v[193:194], v[2:3], v[28:29]
	v_mul_f64 v[28:29], v[4:5], v[28:29]
	s_delay_alu instid0(VALU_DEP_4) | instskip(NEXT) | instid1(VALU_DEP_4)
	v_add_f64 v[24:25], v[189:190], v[201:202]
	v_add_f64 v[185:186], v[191:192], v[199:200]
	s_waitcnt vmcnt(6) lgkmcnt(0)
	v_mul_f64 v[189:190], v[18:19], v[32:33]
	v_mul_f64 v[32:33], v[20:21], v[32:33]
	v_fma_f64 v[191:192], v[4:5], v[26:27], v[193:194]
	v_fma_f64 v[26:27], v[2:3], v[26:27], -v[28:29]
	v_add_f64 v[28:29], v[24:25], v[22:23]
	v_add_f64 v[185:186], v[185:186], v[187:188]
	ds_load_b128 v[2:5], v1 offset:1344
	ds_load_b128 v[22:25], v1 offset:1360
	v_fma_f64 v[20:21], v[20:21], v[30:31], v[189:190]
	v_fma_f64 v[18:19], v[18:19], v[30:31], -v[32:33]
	s_waitcnt vmcnt(5) lgkmcnt(1)
	v_mul_f64 v[187:188], v[2:3], v[36:37]
	v_mul_f64 v[36:37], v[4:5], v[36:37]
	s_waitcnt vmcnt(4) lgkmcnt(0)
	v_mul_f64 v[30:31], v[22:23], v[40:41]
	v_mul_f64 v[32:33], v[24:25], v[40:41]
	v_add_f64 v[26:27], v[28:29], v[26:27]
	v_add_f64 v[28:29], v[185:186], v[191:192]
	v_fma_f64 v[40:41], v[4:5], v[34:35], v[187:188]
	v_fma_f64 v[34:35], v[2:3], v[34:35], -v[36:37]
	v_fma_f64 v[24:25], v[24:25], v[38:39], v[30:31]
	v_fma_f64 v[22:23], v[22:23], v[38:39], -v[32:33]
	v_add_f64 v[26:27], v[26:27], v[18:19]
	v_add_f64 v[28:29], v[28:29], v[20:21]
	ds_load_b128 v[2:5], v1 offset:1376
	ds_load_b128 v[18:21], v1 offset:1392
	s_waitcnt vmcnt(3) lgkmcnt(1)
	v_mul_f64 v[36:37], v[2:3], v[44:45]
	v_mul_f64 v[44:45], v[4:5], v[44:45]
	s_waitcnt vmcnt(2) lgkmcnt(0)
	v_mul_f64 v[30:31], v[18:19], v[8:9]
	v_mul_f64 v[8:9], v[20:21], v[8:9]
	v_add_f64 v[26:27], v[26:27], v[34:35]
	v_add_f64 v[28:29], v[28:29], v[40:41]
	v_fma_f64 v[32:33], v[4:5], v[42:43], v[36:37]
	v_fma_f64 v[34:35], v[2:3], v[42:43], -v[44:45]
	v_fma_f64 v[20:21], v[20:21], v[6:7], v[30:31]
	v_fma_f64 v[6:7], v[18:19], v[6:7], -v[8:9]
	v_add_f64 v[26:27], v[26:27], v[22:23]
	v_add_f64 v[28:29], v[28:29], v[24:25]
	ds_load_b128 v[2:5], v1 offset:1408
	ds_load_b128 v[22:25], v1 offset:1424
	s_waitcnt vmcnt(1) lgkmcnt(1)
	v_mul_f64 v[36:37], v[2:3], v[12:13]
	v_mul_f64 v[12:13], v[4:5], v[12:13]
	v_add_f64 v[8:9], v[26:27], v[34:35]
	v_add_f64 v[18:19], v[28:29], v[32:33]
	s_waitcnt vmcnt(0) lgkmcnt(0)
	v_mul_f64 v[26:27], v[22:23], v[16:17]
	v_mul_f64 v[16:17], v[24:25], v[16:17]
	v_fma_f64 v[4:5], v[4:5], v[10:11], v[36:37]
	v_fma_f64 v[1:2], v[2:3], v[10:11], -v[12:13]
	v_add_f64 v[6:7], v[8:9], v[6:7]
	v_add_f64 v[8:9], v[18:19], v[20:21]
	v_fma_f64 v[10:11], v[24:25], v[14:15], v[26:27]
	v_fma_f64 v[12:13], v[22:23], v[14:15], -v[16:17]
	s_delay_alu instid0(VALU_DEP_4) | instskip(NEXT) | instid1(VALU_DEP_4)
	v_add_f64 v[1:2], v[6:7], v[1:2]
	v_add_f64 v[3:4], v[8:9], v[4:5]
	s_delay_alu instid0(VALU_DEP_2) | instskip(NEXT) | instid1(VALU_DEP_2)
	v_add_f64 v[1:2], v[1:2], v[12:13]
	v_add_f64 v[3:4], v[3:4], v[10:11]
	s_delay_alu instid0(VALU_DEP_2) | instskip(NEXT) | instid1(VALU_DEP_2)
	v_add_f64 v[1:2], v[181:182], -v[1:2]
	v_add_f64 v[3:4], v[183:184], -v[3:4]
	scratch_store_b128 off, v[1:4], off
	s_cbranch_vccz .LBB108_373
; %bb.284:
	v_dual_mov_b32 v1, s8 :: v_dual_mov_b32 v2, s9
	s_load_b64 s[0:1], s[0:1], 0x4
	flat_load_b32 v1, v[1:2] offset:172
	v_bfe_u32 v2, v0, 10, 10
	v_bfe_u32 v0, v0, 20, 10
	s_waitcnt lgkmcnt(0)
	s_lshr_b32 s0, s0, 16
	s_delay_alu instid0(VALU_DEP_2) | instskip(SKIP_1) | instid1(SALU_CYCLE_1)
	v_mul_u32_u24_e32 v2, s1, v2
	s_mul_i32 s0, s0, s1
	v_mul_u32_u24_e32 v3, s0, v136
	s_mov_b32 s0, exec_lo
	s_delay_alu instid0(VALU_DEP_1) | instskip(NEXT) | instid1(VALU_DEP_1)
	v_add3_u32 v0, v3, v2, v0
	v_lshl_add_u32 v0, v0, 4, 0x5a8
	s_waitcnt vmcnt(0)
	v_cmpx_ne_u32_e32 44, v1
	s_cbranch_execz .LBB108_286
; %bb.285:
	v_lshl_add_u32 v9, v1, 4, 0
	s_clause 0x1
	scratch_load_b128 v[1:4], v141, off
	scratch_load_b128 v[5:8], v9, off offset:-16
	s_waitcnt vmcnt(1)
	ds_store_2addr_b64 v0, v[1:2], v[3:4] offset1:1
	s_waitcnt vmcnt(0)
	s_clause 0x1
	scratch_store_b128 v141, v[5:8], off
	scratch_store_b128 v9, v[1:4], off offset:-16
.LBB108_286:
	s_or_b32 exec_lo, exec_lo, s0
	v_dual_mov_b32 v1, s8 :: v_dual_mov_b32 v2, s9
	s_mov_b32 s0, exec_lo
	flat_load_b32 v1, v[1:2] offset:168
	s_waitcnt vmcnt(0) lgkmcnt(0)
	v_cmpx_ne_u32_e32 43, v1
	s_cbranch_execz .LBB108_288
; %bb.287:
	v_lshl_add_u32 v9, v1, 4, 0
	s_clause 0x1
	scratch_load_b128 v[1:4], v143, off
	scratch_load_b128 v[5:8], v9, off offset:-16
	s_waitcnt vmcnt(1)
	ds_store_2addr_b64 v0, v[1:2], v[3:4] offset1:1
	s_waitcnt vmcnt(0)
	s_clause 0x1
	scratch_store_b128 v143, v[5:8], off
	scratch_store_b128 v9, v[1:4], off offset:-16
.LBB108_288:
	s_or_b32 exec_lo, exec_lo, s0
	v_dual_mov_b32 v1, s8 :: v_dual_mov_b32 v2, s9
	s_mov_b32 s0, exec_lo
	flat_load_b32 v1, v[1:2] offset:164
	s_waitcnt vmcnt(0) lgkmcnt(0)
	;; [unrolled: 19-line block ×42, first 2 shown]
	v_cmpx_ne_u32_e32 2, v1
	s_cbranch_execz .LBB108_370
; %bb.369:
	v_lshl_add_u32 v9, v1, 4, 0
	s_clause 0x1
	scratch_load_b128 v[1:4], v180, off
	scratch_load_b128 v[5:8], v9, off offset:-16
	s_waitcnt vmcnt(1)
	ds_store_2addr_b64 v0, v[1:2], v[3:4] offset1:1
	s_waitcnt vmcnt(0)
	s_clause 0x1
	scratch_store_b128 v180, v[5:8], off
	scratch_store_b128 v9, v[1:4], off offset:-16
.LBB108_370:
	s_or_b32 exec_lo, exec_lo, s0
	v_dual_mov_b32 v1, s8 :: v_dual_mov_b32 v2, s9
	s_mov_b32 s0, exec_lo
	flat_load_b32 v1, v[1:2]
	s_waitcnt vmcnt(0) lgkmcnt(0)
	v_cmpx_ne_u32_e32 1, v1
	s_cbranch_execz .LBB108_372
; %bb.371:
	v_lshl_add_u32 v9, v1, 4, 0
	scratch_load_b128 v[1:4], off, off
	scratch_load_b128 v[5:8], v9, off offset:-16
	s_waitcnt vmcnt(1)
	ds_store_2addr_b64 v0, v[1:2], v[3:4] offset1:1
	s_waitcnt vmcnt(0)
	scratch_store_b128 off, v[5:8], off
	scratch_store_b128 v9, v[1:4], off offset:-16
.LBB108_372:
	s_or_b32 exec_lo, exec_lo, s0
.LBB108_373:
	scratch_load_b128 v[0:3], off, off
	s_clause 0x17
	scratch_load_b128 v[4:7], v180, off
	scratch_load_b128 v[8:11], v179, off
	;; [unrolled: 1-line block ×24, first 2 shown]
	s_waitcnt vmcnt(24)
	global_store_b128 v[46:47], v[0:3], off
	s_clause 0x1
	scratch_load_b128 v[0:3], v151, off
	scratch_load_b128 v[44:47], v150, off
	s_waitcnt vmcnt(25)
	global_store_b128 v[48:49], v[4:7], off
	s_clause 0x1
	scratch_load_b128 v[4:7], v147, off
	scratch_load_b128 v[222:225], v146, off
	;; [unrolled: 5-line block ×10, first 2 shown]
	s_waitcnt vmcnt(34)
	global_store_b128 v[66:67], v[40:43], off
	s_waitcnt vmcnt(33)
	global_store_b128 v[68:69], v[170:173], off
	;; [unrolled: 2-line block ×35, first 2 shown]
	s_endpgm
	.section	.rodata,"a",@progbits
	.p2align	6, 0x0
	.amdhsa_kernel _ZN9rocsolver6v33100L18getri_kernel_smallILi45E19rocblas_complex_numIdEPKPS3_EEvT1_iilPiilS8_bb
		.amdhsa_group_segment_fixed_size 2472
		.amdhsa_private_segment_fixed_size 736
		.amdhsa_kernarg_size 60
		.amdhsa_user_sgpr_count 15
		.amdhsa_user_sgpr_dispatch_ptr 1
		.amdhsa_user_sgpr_queue_ptr 0
		.amdhsa_user_sgpr_kernarg_segment_ptr 1
		.amdhsa_user_sgpr_dispatch_id 0
		.amdhsa_user_sgpr_private_segment_size 0
		.amdhsa_wavefront_size32 1
		.amdhsa_uses_dynamic_stack 0
		.amdhsa_enable_private_segment 1
		.amdhsa_system_sgpr_workgroup_id_x 1
		.amdhsa_system_sgpr_workgroup_id_y 0
		.amdhsa_system_sgpr_workgroup_id_z 0
		.amdhsa_system_sgpr_workgroup_info 0
		.amdhsa_system_vgpr_workitem_id 2
		.amdhsa_next_free_vgpr 241
		.amdhsa_next_free_sgpr 51
		.amdhsa_reserve_vcc 1
		.amdhsa_float_round_mode_32 0
		.amdhsa_float_round_mode_16_64 0
		.amdhsa_float_denorm_mode_32 3
		.amdhsa_float_denorm_mode_16_64 3
		.amdhsa_dx10_clamp 1
		.amdhsa_ieee_mode 1
		.amdhsa_fp16_overflow 0
		.amdhsa_workgroup_processor_mode 1
		.amdhsa_memory_ordered 1
		.amdhsa_forward_progress 0
		.amdhsa_shared_vgpr_count 0
		.amdhsa_exception_fp_ieee_invalid_op 0
		.amdhsa_exception_fp_denorm_src 0
		.amdhsa_exception_fp_ieee_div_zero 0
		.amdhsa_exception_fp_ieee_overflow 0
		.amdhsa_exception_fp_ieee_underflow 0
		.amdhsa_exception_fp_ieee_inexact 0
		.amdhsa_exception_int_div_zero 0
	.end_amdhsa_kernel
	.section	.text._ZN9rocsolver6v33100L18getri_kernel_smallILi45E19rocblas_complex_numIdEPKPS3_EEvT1_iilPiilS8_bb,"axG",@progbits,_ZN9rocsolver6v33100L18getri_kernel_smallILi45E19rocblas_complex_numIdEPKPS3_EEvT1_iilPiilS8_bb,comdat
.Lfunc_end108:
	.size	_ZN9rocsolver6v33100L18getri_kernel_smallILi45E19rocblas_complex_numIdEPKPS3_EEvT1_iilPiilS8_bb, .Lfunc_end108-_ZN9rocsolver6v33100L18getri_kernel_smallILi45E19rocblas_complex_numIdEPKPS3_EEvT1_iilPiilS8_bb
                                        ; -- End function
	.section	.AMDGPU.csdata,"",@progbits
; Kernel info:
; codeLenInByte = 95312
; NumSgprs: 53
; NumVgprs: 241
; ScratchSize: 736
; MemoryBound: 0
; FloatMode: 240
; IeeeMode: 1
; LDSByteSize: 2472 bytes/workgroup (compile time only)
; SGPRBlocks: 6
; VGPRBlocks: 30
; NumSGPRsForWavesPerEU: 53
; NumVGPRsForWavesPerEU: 241
; Occupancy: 5
; WaveLimiterHint : 1
; COMPUTE_PGM_RSRC2:SCRATCH_EN: 1
; COMPUTE_PGM_RSRC2:USER_SGPR: 15
; COMPUTE_PGM_RSRC2:TRAP_HANDLER: 0
; COMPUTE_PGM_RSRC2:TGID_X_EN: 1
; COMPUTE_PGM_RSRC2:TGID_Y_EN: 0
; COMPUTE_PGM_RSRC2:TGID_Z_EN: 0
; COMPUTE_PGM_RSRC2:TIDIG_COMP_CNT: 2
	.section	.text._ZN9rocsolver6v33100L18getri_kernel_smallILi46E19rocblas_complex_numIdEPKPS3_EEvT1_iilPiilS8_bb,"axG",@progbits,_ZN9rocsolver6v33100L18getri_kernel_smallILi46E19rocblas_complex_numIdEPKPS3_EEvT1_iilPiilS8_bb,comdat
	.globl	_ZN9rocsolver6v33100L18getri_kernel_smallILi46E19rocblas_complex_numIdEPKPS3_EEvT1_iilPiilS8_bb ; -- Begin function _ZN9rocsolver6v33100L18getri_kernel_smallILi46E19rocblas_complex_numIdEPKPS3_EEvT1_iilPiilS8_bb
	.p2align	8
	.type	_ZN9rocsolver6v33100L18getri_kernel_smallILi46E19rocblas_complex_numIdEPKPS3_EEvT1_iilPiilS8_bb,@function
_ZN9rocsolver6v33100L18getri_kernel_smallILi46E19rocblas_complex_numIdEPKPS3_EEvT1_iilPiilS8_bb: ; @_ZN9rocsolver6v33100L18getri_kernel_smallILi46E19rocblas_complex_numIdEPKPS3_EEvT1_iilPiilS8_bb
; %bb.0:
	v_and_b32_e32 v138, 0x3ff, v0
	s_mov_b32 s4, exec_lo
	s_delay_alu instid0(VALU_DEP_1)
	v_cmpx_gt_u32_e32 46, v138
	s_cbranch_execz .LBB109_198
; %bb.1:
	s_mov_b32 s10, s15
	s_clause 0x2
	s_load_b32 s15, s[2:3], 0x38
	s_load_b64 s[8:9], s[2:3], 0x0
	s_load_b128 s[4:7], s[2:3], 0x28
	s_waitcnt lgkmcnt(0)
	s_bitcmp1_b32 s15, 8
	s_cselect_b32 s14, -1, 0
	s_ashr_i32 s11, s10, 31
	s_delay_alu instid0(SALU_CYCLE_1) | instskip(NEXT) | instid1(SALU_CYCLE_1)
	s_lshl_b64 s[12:13], s[10:11], 3
	s_add_u32 s8, s8, s12
	s_addc_u32 s9, s9, s13
	s_load_b64 s[12:13], s[8:9], 0x0
	s_bfe_u32 s8, s15, 0x10008
	s_delay_alu instid0(SALU_CYCLE_1)
	s_cmp_eq_u32 s8, 0
                                        ; implicit-def: $sgpr8_sgpr9
	s_cbranch_scc1 .LBB109_3
; %bb.2:
	s_clause 0x1
	s_load_b32 s8, s[2:3], 0x20
	s_load_b64 s[16:17], s[2:3], 0x18
	s_mul_i32 s5, s10, s5
	s_mul_hi_u32 s9, s10, s4
	s_mul_i32 s18, s11, s4
	s_add_i32 s5, s9, s5
	s_mul_i32 s4, s10, s4
	s_add_i32 s5, s5, s18
	s_delay_alu instid0(SALU_CYCLE_1)
	s_lshl_b64 s[4:5], s[4:5], 2
	s_waitcnt lgkmcnt(0)
	s_ashr_i32 s9, s8, 31
	s_add_u32 s16, s16, s4
	s_addc_u32 s17, s17, s5
	s_lshl_b64 s[4:5], s[8:9], 2
	s_delay_alu instid0(SALU_CYCLE_1)
	s_add_u32 s8, s16, s4
	s_addc_u32 s9, s17, s5
.LBB109_3:
	s_load_b64 s[2:3], s[2:3], 0x8
	v_lshlrev_b32_e32 v13, 4, v138
	s_movk_i32 s18, 0xd0
	s_movk_i32 s19, 0xe0
	s_movk_i32 s20, 0xf0
	s_movk_i32 s21, 0x100
	s_movk_i32 s22, 0x110
	s_movk_i32 s23, 0x120
	s_movk_i32 s24, 0x130
	s_movk_i32 s25, 0x140
	s_movk_i32 s26, 0x150
	s_movk_i32 s27, 0x160
	s_movk_i32 s28, 0x170
	s_movk_i32 s29, 0x180
	s_movk_i32 s30, 0x190
	s_movk_i32 s31, 0x1a0
	s_movk_i32 s33, 0x1b0
	s_movk_i32 s34, 0x1c0
	s_movk_i32 s35, 0x1d0
	s_movk_i32 s36, 0x1e0
	s_waitcnt lgkmcnt(0)
	v_add3_u32 v1, s3, s3, v138
	s_ashr_i32 s5, s2, 31
	s_mov_b32 s4, s2
	s_mov_b32 s16, s3
	s_lshl_b64 s[4:5], s[4:5], 4
	v_add_nc_u32_e32 v7, s3, v1
	v_ashrrev_i32_e32 v2, 31, v1
	s_add_u32 s4, s12, s4
	s_addc_u32 s5, s13, s5
	v_add_co_u32 v46, s2, s4, v13
	s_ashr_i32 s17, s3, 31
	v_add_co_ci_u32_e64 v47, null, s5, 0, s2
	v_add_nc_u32_e32 v11, s3, v7
	v_lshlrev_b64 v[1:2], 4, v[1:2]
	s_lshl_b64 s[12:13], s[16:17], 4
	v_ashrrev_i32_e32 v8, 31, v7
	v_add_co_u32 v50, vcc_lo, v46, s12
	v_add_co_ci_u32_e32 v51, vcc_lo, s13, v47, vcc_lo
	v_add_nc_u32_e32 v18, s3, v11
	v_add_co_u32 v48, vcc_lo, s4, v1
	v_ashrrev_i32_e32 v12, 31, v11
	v_add_co_ci_u32_e32 v49, vcc_lo, s5, v2, vcc_lo
	v_lshlrev_b64 v[1:2], 4, v[7:8]
	v_add_nc_u32_e32 v26, s3, v18
	s_delay_alu instid0(VALU_DEP_4)
	v_lshlrev_b64 v[11:12], 4, v[11:12]
	v_ashrrev_i32_e32 v19, 31, v18
	s_clause 0x2
	global_load_b128 v[3:6], v13, s[4:5]
	global_load_b128 v[7:10], v[50:51], off
	global_load_b128 v[14:17], v[48:49], off
	v_add_co_u32 v54, vcc_lo, s4, v1
	v_add_nc_u32_e32 v1, s3, v26
	v_add_co_ci_u32_e32 v55, vcc_lo, s5, v2, vcc_lo
	v_add_co_u32 v52, vcc_lo, s4, v11
	v_add_co_ci_u32_e32 v53, vcc_lo, s5, v12, vcc_lo
	v_lshlrev_b64 v[11:12], 4, v[18:19]
	v_add_nc_u32_e32 v34, s3, v1
	v_ashrrev_i32_e32 v27, 31, v26
	v_ashrrev_i32_e32 v2, 31, v1
	s_clause 0x1
	global_load_b128 v[18:21], v[54:55], off
	global_load_b128 v[22:25], v[52:53], off
	s_movk_i32 s2, 0x50
	v_add_co_u32 v58, vcc_lo, s4, v11
	v_add_nc_u32_e32 v11, s3, v34
	v_lshlrev_b64 v[26:27], 4, v[26:27]
	v_lshlrev_b64 v[1:2], 4, v[1:2]
	v_add_co_ci_u32_e32 v59, vcc_lo, s5, v12, vcc_lo
	s_delay_alu instid0(VALU_DEP_4)
	v_add_nc_u32_e32 v42, s3, v11
	v_ashrrev_i32_e32 v35, 31, v34
	v_add_co_u32 v56, vcc_lo, s4, v26
	v_add_co_ci_u32_e32 v57, vcc_lo, s5, v27, vcc_lo
	v_ashrrev_i32_e32 v12, 31, v11
	v_add_co_u32 v62, vcc_lo, s4, v1
	v_add_nc_u32_e32 v1, s3, v42
	v_lshlrev_b64 v[34:35], 4, v[34:35]
	v_ashrrev_i32_e32 v43, 31, v42
	v_lshlrev_b64 v[11:12], 4, v[11:12]
	v_add_co_ci_u32_e32 v63, vcc_lo, s5, v2, vcc_lo
	v_add_nc_u32_e32 v68, s3, v1
	v_add_co_u32 v60, vcc_lo, s4, v34
	v_lshlrev_b64 v[42:43], 4, v[42:43]
	v_ashrrev_i32_e32 v2, 31, v1
	v_add_co_ci_u32_e32 v61, vcc_lo, s5, v35, vcc_lo
	v_add_co_u32 v66, vcc_lo, s4, v11
	v_ashrrev_i32_e32 v69, 31, v68
	v_add_co_ci_u32_e32 v67, vcc_lo, s5, v12, vcc_lo
	v_add_nc_u32_e32 v11, s3, v68
	v_lshlrev_b64 v[1:2], 4, v[1:2]
	v_add_co_u32 v64, vcc_lo, s4, v42
	v_add_co_ci_u32_e32 v65, vcc_lo, s5, v43, vcc_lo
	v_lshlrev_b64 v[70:71], 4, v[68:69]
	s_clause 0x1
	global_load_b128 v[26:29], v[58:59], off
	global_load_b128 v[30:33], v[56:57], off
	v_add_nc_u32_e32 v72, s3, v11
	s_clause 0x1
	global_load_b128 v[34:37], v[62:63], off
	global_load_b128 v[38:41], v[60:61], off
	v_add_co_u32 v68, vcc_lo, s4, v1
	s_clause 0x1
	global_load_b128 v[42:45], v[66:67], off
	global_load_b128 v[126:129], v[64:65], off
	v_add_co_ci_u32_e32 v69, vcc_lo, s5, v2, vcc_lo
	v_ashrrev_i32_e32 v12, 31, v11
	v_add_co_u32 v70, vcc_lo, s4, v70
	v_add_nc_u32_e32 v1, s3, v72
	v_add_co_ci_u32_e32 v71, vcc_lo, s5, v71, vcc_lo
	v_ashrrev_i32_e32 v73, 31, v72
	v_lshlrev_b64 v[11:12], 4, v[11:12]
	s_clause 0x1
	global_load_b128 v[130:133], v[68:69], off
	global_load_b128 v[134:137], v[70:71], off
	v_ashrrev_i32_e32 v2, 31, v1
	v_add_nc_u32_e32 v80, s3, v1
	v_lshlrev_b64 v[74:75], 4, v[72:73]
	s_movk_i32 s12, 0x90
	v_add_co_u32 v72, vcc_lo, s4, v11
	v_lshlrev_b64 v[1:2], 4, v[1:2]
	v_add_co_ci_u32_e32 v73, vcc_lo, s5, v12, vcc_lo
	s_delay_alu instid0(VALU_DEP_4) | instskip(SKIP_1) | instid1(VALU_DEP_4)
	v_add_co_u32 v74, vcc_lo, s4, v74
	v_add_co_ci_u32_e32 v75, vcc_lo, s5, v75, vcc_lo
	v_add_co_u32 v76, vcc_lo, s4, v1
	v_add_co_ci_u32_e32 v77, vcc_lo, s5, v2, vcc_lo
	s_clause 0x2
	global_load_b128 v[139:142], v[72:73], off
	global_load_b128 v[143:146], v[74:75], off
	;; [unrolled: 1-line block ×3, first 2 shown]
	v_ashrrev_i32_e32 v81, 31, v80
	v_add_nc_u32_e32 v1, s3, v80
	s_movk_i32 s13, 0xa0
	s_movk_i32 s16, 0xb0
	s_movk_i32 s17, 0xc0
	v_lshlrev_b64 v[11:12], 4, v[80:81]
	v_ashrrev_i32_e32 v2, 31, v1
	s_movk_i32 s37, 0x1f0
	s_movk_i32 s38, 0x200
	;; [unrolled: 1-line block ×4, first 2 shown]
	v_add_co_u32 v78, vcc_lo, s4, v11
	v_add_nc_u32_e32 v11, s3, v1
	v_add_co_ci_u32_e32 v79, vcc_lo, s5, v12, vcc_lo
	v_lshlrev_b64 v[1:2], 4, v[1:2]
	s_movk_i32 s41, 0x230
	s_delay_alu instid0(VALU_DEP_3)
	v_add_nc_u32_e32 v82, s3, v11
	v_ashrrev_i32_e32 v12, 31, v11
	global_load_b128 v[151:154], v[78:79], off
	s_movk_i32 s42, 0x240
	v_add_co_u32 v80, vcc_lo, s4, v1
	v_add_nc_u32_e32 v84, s3, v82
	v_lshlrev_b64 v[11:12], 4, v[11:12]
	v_ashrrev_i32_e32 v83, 31, v82
	v_add_co_ci_u32_e32 v81, vcc_lo, s5, v2, vcc_lo
	s_delay_alu instid0(VALU_DEP_4) | instskip(SKIP_1) | instid1(VALU_DEP_4)
	v_add_nc_u32_e32 v86, s3, v84
	v_ashrrev_i32_e32 v85, 31, v84
	v_lshlrev_b64 v[1:2], 4, v[82:83]
	v_add_co_u32 v82, vcc_lo, s4, v11
	s_delay_alu instid0(VALU_DEP_4) | instskip(SKIP_3) | instid1(VALU_DEP_4)
	v_add_nc_u32_e32 v88, s3, v86
	v_add_co_ci_u32_e32 v83, vcc_lo, s5, v12, vcc_lo
	v_lshlrev_b64 v[11:12], 4, v[84:85]
	v_ashrrev_i32_e32 v87, 31, v86
	v_add_nc_u32_e32 v90, s3, v88
	v_add_co_u32 v84, vcc_lo, s4, v1
	v_ashrrev_i32_e32 v89, 31, v88
	v_add_co_ci_u32_e32 v85, vcc_lo, s5, v2, vcc_lo
	s_delay_alu instid0(VALU_DEP_4) | instskip(SKIP_3) | instid1(VALU_DEP_4)
	v_add_nc_u32_e32 v92, s3, v90
	v_lshlrev_b64 v[1:2], 4, v[86:87]
	v_add_co_u32 v86, vcc_lo, s4, v11
	v_add_co_ci_u32_e32 v87, vcc_lo, s5, v12, vcc_lo
	v_add_nc_u32_e32 v94, s3, v92
	v_lshlrev_b64 v[11:12], 4, v[88:89]
	v_ashrrev_i32_e32 v91, 31, v90
	v_add_co_u32 v88, vcc_lo, s4, v1
	s_delay_alu instid0(VALU_DEP_4) | instskip(SKIP_3) | instid1(VALU_DEP_4)
	v_add_nc_u32_e32 v96, s3, v94
	v_ashrrev_i32_e32 v93, 31, v92
	v_add_co_ci_u32_e32 v89, vcc_lo, s5, v2, vcc_lo
	v_lshlrev_b64 v[1:2], 4, v[90:91]
	v_add_nc_u32_e32 v98, s3, v96
	v_add_co_u32 v90, vcc_lo, s4, v11
	v_add_co_ci_u32_e32 v91, vcc_lo, s5, v12, vcc_lo
	s_delay_alu instid0(VALU_DEP_3) | instskip(SKIP_3) | instid1(VALU_DEP_4)
	v_add_nc_u32_e32 v100, s3, v98
	v_lshlrev_b64 v[11:12], 4, v[92:93]
	v_ashrrev_i32_e32 v95, 31, v94
	v_add_co_u32 v92, vcc_lo, s4, v1
	v_add_nc_u32_e32 v104, s3, v100
	v_ashrrev_i32_e32 v97, 31, v96
	v_add_co_ci_u32_e32 v93, vcc_lo, s5, v2, vcc_lo
	v_lshlrev_b64 v[1:2], 4, v[94:95]
	s_delay_alu instid0(VALU_DEP_4) | instskip(SKIP_2) | instid1(VALU_DEP_3)
	v_add_nc_u32_e32 v106, s3, v104
	v_add_co_u32 v94, vcc_lo, s4, v11
	v_add_co_ci_u32_e32 v95, vcc_lo, s5, v12, vcc_lo
	v_add_nc_u32_e32 v108, s3, v106
	v_lshlrev_b64 v[11:12], 4, v[96:97]
	v_ashrrev_i32_e32 v99, 31, v98
	v_add_co_u32 v96, vcc_lo, s4, v1
	s_delay_alu instid0(VALU_DEP_4) | instskip(SKIP_3) | instid1(VALU_DEP_4)
	v_add_nc_u32_e32 v110, s3, v108
	v_ashrrev_i32_e32 v101, 31, v100
	v_add_co_ci_u32_e32 v97, vcc_lo, s5, v2, vcc_lo
	v_lshlrev_b64 v[1:2], 4, v[98:99]
	v_add_nc_u32_e32 v112, s3, v110
	v_add_co_u32 v98, vcc_lo, s4, v11
	v_add_co_ci_u32_e32 v99, vcc_lo, s5, v12, vcc_lo
	s_delay_alu instid0(VALU_DEP_3)
	v_add_nc_u32_e32 v114, s3, v112
	v_lshlrev_b64 v[11:12], 4, v[100:101]
	v_ashrrev_i32_e32 v105, 31, v104
	v_ashrrev_i32_e32 v107, 31, v106
	;; [unrolled: 1-line block ×3, first 2 shown]
	v_add_nc_u32_e32 v116, s3, v114
	v_ashrrev_i32_e32 v111, 31, v110
	v_lshlrev_b64 v[176:177], 4, v[104:105]
	v_ashrrev_i32_e32 v113, 31, v112
	v_ashrrev_i32_e32 v115, 31, v114
	v_add_nc_u32_e32 v118, s3, v116
	v_lshlrev_b64 v[178:179], 4, v[110:111]
	v_ashrrev_i32_e32 v117, 31, v116
	s_clause 0x3
	global_load_b128 v[155:158], v[80:81], off
	global_load_b128 v[159:162], v[82:83], off
	global_load_b128 v[163:166], v[84:85], off
	global_load_b128 v[184:187], v[86:87], off
	v_add_nc_u32_e32 v120, s3, v118
	v_ashrrev_i32_e32 v119, 31, v118
	s_clause 0x5
	global_load_b128 v[188:191], v[88:89], off
	global_load_b128 v[192:195], v[90:91], off
	;; [unrolled: 1-line block ×6, first 2 shown]
	v_add_nc_u32_e32 v122, s3, v120
	v_ashrrev_i32_e32 v121, 31, v120
	s_movk_i32 s43, 0x250
	s_movk_i32 s44, 0x260
	s_movk_i32 s45, 0x270
	v_add_nc_u32_e32 v124, s3, v122
	v_ashrrev_i32_e32 v123, 31, v122
	s_movk_i32 s46, 0x280
	s_movk_i32 s47, 0x290
	s_movk_i32 s48, 0x2a0
	;; [unrolled: 5-line block ×3, first 2 shown]
	v_add_nc_u32_e32 v169, s3, v167
	v_ashrrev_i32_e32 v168, 31, v167
	v_add_nc_u32_e64 v183, 0, 16
	v_add_nc_u32_e64 v182, 0, 32
	;; [unrolled: 1-line block ×3, first 2 shown]
	v_add_nc_u32_e32 v171, s3, v169
	v_lshlrev_b64 v[167:168], 4, v[167:168]
	v_ashrrev_i32_e32 v170, 31, v169
	v_add_nc_u32_e64 v180, 0, 64
	s_bitcmp0_b32 s15, 0
	v_add_nc_u32_e32 v173, s3, v171
	v_ashrrev_i32_e32 v172, 31, v171
	v_lshlrev_b64 v[169:170], 4, v[169:170]
	s_delay_alu instid0(VALU_DEP_3) | instskip(SKIP_1) | instid1(VALU_DEP_2)
	v_add_nc_u32_e32 v175, s3, v173
	v_ashrrev_i32_e32 v174, 31, v173
	v_add_nc_u32_e32 v102, s3, v175
	s_movk_i32 s3, 0x60
	s_delay_alu instid0(VALU_DEP_1) | instskip(NEXT) | instid1(VALU_DEP_1)
	v_ashrrev_i32_e32 v103, 31, v102
	v_lshlrev_b64 v[100:101], 4, v[102:103]
	v_add_co_u32 v102, vcc_lo, s4, v1
	v_add_co_ci_u32_e32 v103, vcc_lo, s5, v2, vcc_lo
	s_delay_alu instid0(VALU_DEP_3) | instskip(NEXT) | instid1(VALU_DEP_4)
	v_add_co_u32 v100, vcc_lo, s4, v100
	v_add_co_ci_u32_e32 v101, vcc_lo, s5, v101, vcc_lo
	v_add_co_u32 v104, vcc_lo, s4, v11
	v_add_co_ci_u32_e32 v105, vcc_lo, s5, v12, vcc_lo
	v_lshlrev_b64 v[11:12], 4, v[106:107]
	v_add_co_u32 v106, vcc_lo, s4, v176
	v_add_co_ci_u32_e32 v107, vcc_lo, s5, v177, vcc_lo
	v_lshlrev_b64 v[176:177], 4, v[108:109]
	s_delay_alu instid0(VALU_DEP_4)
	v_add_co_u32 v108, vcc_lo, s4, v11
	v_add_co_ci_u32_e32 v109, vcc_lo, s5, v12, vcc_lo
	global_load_b128 v[212:215], v[100:101], off
	v_add_co_u32 v110, vcc_lo, s4, v176
	v_add_co_ci_u32_e32 v111, vcc_lo, s5, v177, vcc_lo
	v_lshlrev_b64 v[176:177], 4, v[112:113]
	v_add_co_u32 v112, vcc_lo, s4, v178
	v_add_co_ci_u32_e32 v113, vcc_lo, s5, v179, vcc_lo
	v_lshlrev_b64 v[178:179], 4, v[114:115]
	s_delay_alu instid0(VALU_DEP_4) | instskip(SKIP_2) | instid1(VALU_DEP_4)
	v_add_co_u32 v114, vcc_lo, s4, v176
	v_add_co_ci_u32_e32 v115, vcc_lo, s5, v177, vcc_lo
	v_lshlrev_b64 v[176:177], 4, v[116:117]
	v_add_co_u32 v116, vcc_lo, s4, v178
	v_add_co_ci_u32_e32 v117, vcc_lo, s5, v179, vcc_lo
	v_lshlrev_b64 v[178:179], 4, v[118:119]
	s_delay_alu instid0(VALU_DEP_4) | instskip(SKIP_2) | instid1(VALU_DEP_4)
	;; [unrolled: 7-line block ×3, first 2 shown]
	v_add_co_u32 v122, vcc_lo, s4, v176
	v_add_co_ci_u32_e32 v123, vcc_lo, s5, v177, vcc_lo
	v_lshlrev_b64 v[176:177], 4, v[124:125]
	v_add_co_u32 v124, vcc_lo, s4, v178
	v_add_co_ci_u32_e32 v125, vcc_lo, s5, v179, vcc_lo
	v_add_nc_u32_e64 v179, s2, 0
	s_waitcnt vmcnt(27)
	scratch_store_b128 off, v[3:6], off
	s_clause 0x1
	global_load_b128 v[1:4], v[102:103], off
	global_load_b128 v[216:219], v[104:105], off
	s_waitcnt vmcnt(28)
	scratch_store_b128 off, v[7:10], off offset:16
	s_waitcnt vmcnt(27)
	scratch_store_b128 off, v[14:17], off offset:32
	s_clause 0x1
	global_load_b128 v[5:8], v[106:107], off
	global_load_b128 v[9:12], v[108:109], off
	s_waitcnt vmcnt(28)
	scratch_store_b128 off, v[18:21], off offset:48
	s_waitcnt vmcnt(27)
	scratch_store_b128 off, v[22:25], off offset:64
	;; [unrolled: 7-line block ×5, first 2 shown]
	v_add_co_u32 v126, vcc_lo, s4, v176
	v_add_co_ci_u32_e32 v127, vcc_lo, s5, v177, vcc_lo
	v_add_co_u32 v128, vcc_lo, s4, v167
	v_add_co_ci_u32_e32 v129, vcc_lo, s5, v168, vcc_lo
	v_lshlrev_b64 v[167:168], 4, v[171:172]
	v_ashrrev_i32_e32 v176, 31, v175
	s_clause 0x1
	global_load_b128 v[38:41], v[122:123], off
	global_load_b128 v[42:45], v[124:125], off
	s_waitcnt vmcnt(28)
	scratch_store_b128 off, v[130:133], off offset:176
	s_waitcnt vmcnt(27)
	scratch_store_b128 off, v[134:137], off offset:192
	v_add_co_u32 v130, vcc_lo, s4, v169
	v_lshlrev_b64 v[134:135], 4, v[173:174]
	v_add_co_ci_u32_e32 v131, vcc_lo, s5, v170, vcc_lo
	v_add_co_u32 v132, vcc_lo, s4, v167
	v_lshlrev_b64 v[136:137], 4, v[175:176]
	v_add_co_ci_u32_e32 v133, vcc_lo, s5, v168, vcc_lo
	v_add_co_u32 v134, vcc_lo, s4, v134
	v_add_co_ci_u32_e32 v135, vcc_lo, s5, v135, vcc_lo
	s_delay_alu instid0(VALU_DEP_4)
	v_add_co_u32 v136, vcc_lo, s4, v136
	v_add_co_ci_u32_e32 v137, vcc_lo, s5, v137, vcc_lo
	s_clause 0x1
	global_load_b128 v[220:223], v[126:127], off
	global_load_b128 v[224:227], v[128:129], off
	s_waitcnt vmcnt(28)
	scratch_store_b128 off, v[139:142], off offset:208
	s_waitcnt vmcnt(27)
	scratch_store_b128 off, v[143:146], off offset:224
	s_clause 0x3
	global_load_b128 v[228:231], v[130:131], off
	global_load_b128 v[232:235], v[132:133], off
	;; [unrolled: 1-line block ×4, first 2 shown]
	s_movk_i32 s4, 0x70
	s_movk_i32 s5, 0x80
	s_waitcnt vmcnt(30)
	scratch_store_b128 off, v[147:150], off offset:240
	v_add_nc_u32_e64 v178, s3, 0
	v_add_nc_u32_e64 v177, s4, 0
	;; [unrolled: 1-line block ×12, first 2 shown]
	s_waitcnt vmcnt(29)
	scratch_store_b128 off, v[151:154], off offset:256
	v_add_nc_u32_e64 v153, s34, 0
	v_add_nc_u32_e64 v152, s35, 0
	;; [unrolled: 1-line block ×16, first 2 shown]
	s_mov_b32 s3, -1
	s_waitcnt vmcnt(28)
	scratch_store_b128 off, v[155:158], off offset:272
	s_waitcnt vmcnt(27)
	scratch_store_b128 off, v[159:162], off offset:288
	s_waitcnt vmcnt(26)
	scratch_store_b128 off, v[163:166], off offset:304
	s_waitcnt vmcnt(25)
	scratch_store_b128 off, v[184:187], off offset:320
	v_add_nc_u32_e64 v166, s23, 0
	v_add_nc_u32_e64 v165, s24, 0
	;; [unrolled: 1-line block ×12, first 2 shown]
	s_waitcnt vmcnt(24)
	scratch_store_b128 off, v[188:191], off offset:336
	s_waitcnt vmcnt(23)
	scratch_store_b128 off, v[192:195], off offset:352
	;; [unrolled: 2-line block ×23, first 2 shown]
	s_waitcnt vmcnt(0)
	s_clause 0x1
	scratch_store_b128 off, v[240:243], off offset:704
	scratch_store_b128 off, v[212:215], off offset:720
	s_cbranch_scc1 .LBB109_196
; %bb.4:
	v_cmp_eq_u32_e64 s2, 0, v138
	s_delay_alu instid0(VALU_DEP_1)
	s_and_saveexec_b32 s3, s2
	s_cbranch_execz .LBB109_6
; %bb.5:
	v_mov_b32_e32 v1, 0
	ds_store_b32 v1, v1 offset:1472
.LBB109_6:
	s_or_b32 exec_lo, exec_lo, s3
	s_waitcnt lgkmcnt(0)
	s_waitcnt_vscnt null, 0x0
	s_barrier
	buffer_gl0_inv
	scratch_load_b128 v[1:4], v13, off
	s_waitcnt vmcnt(0)
	v_cmp_eq_f64_e32 vcc_lo, 0, v[1:2]
	v_cmp_eq_f64_e64 s3, 0, v[3:4]
	s_delay_alu instid0(VALU_DEP_1) | instskip(NEXT) | instid1(SALU_CYCLE_1)
	s_and_b32 s3, vcc_lo, s3
	s_and_saveexec_b32 s4, s3
	s_cbranch_execz .LBB109_10
; %bb.7:
	v_mov_b32_e32 v1, 0
	s_mov_b32 s5, 0
	ds_load_b32 v2, v1 offset:1472
	s_waitcnt lgkmcnt(0)
	v_readfirstlane_b32 s3, v2
	v_add_nc_u32_e32 v2, 1, v138
	s_delay_alu instid0(VALU_DEP_2) | instskip(NEXT) | instid1(VALU_DEP_1)
	s_cmp_eq_u32 s3, 0
	v_cmp_gt_i32_e32 vcc_lo, s3, v2
	s_cselect_b32 s12, -1, 0
	s_delay_alu instid0(SALU_CYCLE_1) | instskip(NEXT) | instid1(SALU_CYCLE_1)
	s_or_b32 s12, s12, vcc_lo
	s_and_b32 exec_lo, exec_lo, s12
	s_cbranch_execz .LBB109_10
; %bb.8:
	v_mov_b32_e32 v3, s3
.LBB109_9:                              ; =>This Inner Loop Header: Depth=1
	ds_cmpstore_rtn_b32 v3, v1, v2, v3 offset:1472
	s_waitcnt lgkmcnt(0)
	v_cmp_ne_u32_e32 vcc_lo, 0, v3
	v_cmp_le_i32_e64 s3, v3, v2
	s_delay_alu instid0(VALU_DEP_1) | instskip(NEXT) | instid1(SALU_CYCLE_1)
	s_and_b32 s3, vcc_lo, s3
	s_and_b32 s3, exec_lo, s3
	s_delay_alu instid0(SALU_CYCLE_1) | instskip(NEXT) | instid1(SALU_CYCLE_1)
	s_or_b32 s5, s3, s5
	s_and_not1_b32 exec_lo, exec_lo, s5
	s_cbranch_execnz .LBB109_9
.LBB109_10:
	s_or_b32 exec_lo, exec_lo, s4
	v_mov_b32_e32 v1, 0
	s_barrier
	buffer_gl0_inv
	ds_load_b32 v2, v1 offset:1472
	s_and_saveexec_b32 s3, s2
	s_cbranch_execz .LBB109_12
; %bb.11:
	s_lshl_b64 s[4:5], s[10:11], 2
	s_delay_alu instid0(SALU_CYCLE_1)
	s_add_u32 s4, s6, s4
	s_addc_u32 s5, s7, s5
	s_waitcnt lgkmcnt(0)
	global_store_b32 v1, v2, s[4:5]
.LBB109_12:
	s_or_b32 exec_lo, exec_lo, s3
	s_waitcnt lgkmcnt(0)
	v_cmp_ne_u32_e32 vcc_lo, 0, v2
	s_mov_b32 s3, 0
	s_cbranch_vccnz .LBB109_196
; %bb.13:
	v_add_nc_u32_e32 v14, 0, v13
                                        ; implicit-def: $vgpr9_vgpr10
	scratch_load_b128 v[1:4], v14, off
	s_waitcnt vmcnt(0)
	v_mov_b32_e32 v5, v1
	v_cmp_gt_f64_e32 vcc_lo, 0, v[1:2]
	v_xor_b32_e32 v6, 0x80000000, v2
	v_xor_b32_e32 v7, 0x80000000, v4
	s_delay_alu instid0(VALU_DEP_2) | instskip(SKIP_1) | instid1(VALU_DEP_3)
	v_cndmask_b32_e32 v6, v2, v6, vcc_lo
	v_cmp_gt_f64_e32 vcc_lo, 0, v[3:4]
	v_dual_cndmask_b32 v8, v4, v7 :: v_dual_mov_b32 v7, v3
	s_delay_alu instid0(VALU_DEP_1) | instskip(SKIP_1) | instid1(SALU_CYCLE_1)
	v_cmp_ngt_f64_e32 vcc_lo, v[5:6], v[7:8]
                                        ; implicit-def: $vgpr5_vgpr6
	s_and_saveexec_b32 s3, vcc_lo
	s_xor_b32 s3, exec_lo, s3
	s_cbranch_execz .LBB109_15
; %bb.14:
	v_div_scale_f64 v[5:6], null, v[3:4], v[3:4], v[1:2]
	v_div_scale_f64 v[11:12], vcc_lo, v[1:2], v[3:4], v[1:2]
	s_delay_alu instid0(VALU_DEP_2) | instskip(SKIP_2) | instid1(VALU_DEP_1)
	v_rcp_f64_e32 v[7:8], v[5:6]
	s_waitcnt_depctr 0xfff
	v_fma_f64 v[9:10], -v[5:6], v[7:8], 1.0
	v_fma_f64 v[7:8], v[7:8], v[9:10], v[7:8]
	s_delay_alu instid0(VALU_DEP_1) | instskip(NEXT) | instid1(VALU_DEP_1)
	v_fma_f64 v[9:10], -v[5:6], v[7:8], 1.0
	v_fma_f64 v[7:8], v[7:8], v[9:10], v[7:8]
	s_delay_alu instid0(VALU_DEP_1) | instskip(NEXT) | instid1(VALU_DEP_1)
	v_mul_f64 v[9:10], v[11:12], v[7:8]
	v_fma_f64 v[5:6], -v[5:6], v[9:10], v[11:12]
	s_delay_alu instid0(VALU_DEP_1) | instskip(NEXT) | instid1(VALU_DEP_1)
	v_div_fmas_f64 v[5:6], v[5:6], v[7:8], v[9:10]
	v_div_fixup_f64 v[5:6], v[5:6], v[3:4], v[1:2]
	s_delay_alu instid0(VALU_DEP_1) | instskip(NEXT) | instid1(VALU_DEP_1)
	v_fma_f64 v[1:2], v[1:2], v[5:6], v[3:4]
	v_div_scale_f64 v[3:4], null, v[1:2], v[1:2], 1.0
	v_div_scale_f64 v[11:12], vcc_lo, 1.0, v[1:2], 1.0
	s_delay_alu instid0(VALU_DEP_2) | instskip(SKIP_2) | instid1(VALU_DEP_1)
	v_rcp_f64_e32 v[7:8], v[3:4]
	s_waitcnt_depctr 0xfff
	v_fma_f64 v[9:10], -v[3:4], v[7:8], 1.0
	v_fma_f64 v[7:8], v[7:8], v[9:10], v[7:8]
	s_delay_alu instid0(VALU_DEP_1) | instskip(NEXT) | instid1(VALU_DEP_1)
	v_fma_f64 v[9:10], -v[3:4], v[7:8], 1.0
	v_fma_f64 v[7:8], v[7:8], v[9:10], v[7:8]
	s_delay_alu instid0(VALU_DEP_1) | instskip(NEXT) | instid1(VALU_DEP_1)
	v_mul_f64 v[9:10], v[11:12], v[7:8]
	v_fma_f64 v[3:4], -v[3:4], v[9:10], v[11:12]
	s_delay_alu instid0(VALU_DEP_1) | instskip(NEXT) | instid1(VALU_DEP_1)
	v_div_fmas_f64 v[3:4], v[3:4], v[7:8], v[9:10]
	v_div_fixup_f64 v[7:8], v[3:4], v[1:2], 1.0
                                        ; implicit-def: $vgpr1_vgpr2
	s_delay_alu instid0(VALU_DEP_1) | instskip(SKIP_1) | instid1(VALU_DEP_2)
	v_mul_f64 v[5:6], v[5:6], v[7:8]
	v_xor_b32_e32 v8, 0x80000000, v8
	v_xor_b32_e32 v10, 0x80000000, v6
	s_delay_alu instid0(VALU_DEP_3)
	v_mov_b32_e32 v9, v5
.LBB109_15:
	s_and_not1_saveexec_b32 s3, s3
	s_cbranch_execz .LBB109_17
; %bb.16:
	v_div_scale_f64 v[5:6], null, v[1:2], v[1:2], v[3:4]
	v_div_scale_f64 v[11:12], vcc_lo, v[3:4], v[1:2], v[3:4]
	s_delay_alu instid0(VALU_DEP_2) | instskip(SKIP_2) | instid1(VALU_DEP_1)
	v_rcp_f64_e32 v[7:8], v[5:6]
	s_waitcnt_depctr 0xfff
	v_fma_f64 v[9:10], -v[5:6], v[7:8], 1.0
	v_fma_f64 v[7:8], v[7:8], v[9:10], v[7:8]
	s_delay_alu instid0(VALU_DEP_1) | instskip(NEXT) | instid1(VALU_DEP_1)
	v_fma_f64 v[9:10], -v[5:6], v[7:8], 1.0
	v_fma_f64 v[7:8], v[7:8], v[9:10], v[7:8]
	s_delay_alu instid0(VALU_DEP_1) | instskip(NEXT) | instid1(VALU_DEP_1)
	v_mul_f64 v[9:10], v[11:12], v[7:8]
	v_fma_f64 v[5:6], -v[5:6], v[9:10], v[11:12]
	s_delay_alu instid0(VALU_DEP_1) | instskip(NEXT) | instid1(VALU_DEP_1)
	v_div_fmas_f64 v[5:6], v[5:6], v[7:8], v[9:10]
	v_div_fixup_f64 v[7:8], v[5:6], v[1:2], v[3:4]
	s_delay_alu instid0(VALU_DEP_1) | instskip(NEXT) | instid1(VALU_DEP_1)
	v_fma_f64 v[1:2], v[3:4], v[7:8], v[1:2]
	v_div_scale_f64 v[3:4], null, v[1:2], v[1:2], 1.0
	s_delay_alu instid0(VALU_DEP_1) | instskip(SKIP_2) | instid1(VALU_DEP_1)
	v_rcp_f64_e32 v[5:6], v[3:4]
	s_waitcnt_depctr 0xfff
	v_fma_f64 v[9:10], -v[3:4], v[5:6], 1.0
	v_fma_f64 v[5:6], v[5:6], v[9:10], v[5:6]
	s_delay_alu instid0(VALU_DEP_1) | instskip(NEXT) | instid1(VALU_DEP_1)
	v_fma_f64 v[9:10], -v[3:4], v[5:6], 1.0
	v_fma_f64 v[5:6], v[5:6], v[9:10], v[5:6]
	v_div_scale_f64 v[9:10], vcc_lo, 1.0, v[1:2], 1.0
	s_delay_alu instid0(VALU_DEP_1) | instskip(NEXT) | instid1(VALU_DEP_1)
	v_mul_f64 v[11:12], v[9:10], v[5:6]
	v_fma_f64 v[3:4], -v[3:4], v[11:12], v[9:10]
	s_delay_alu instid0(VALU_DEP_1) | instskip(NEXT) | instid1(VALU_DEP_1)
	v_div_fmas_f64 v[3:4], v[3:4], v[5:6], v[11:12]
	v_div_fixup_f64 v[5:6], v[3:4], v[1:2], 1.0
	s_delay_alu instid0(VALU_DEP_1)
	v_mul_f64 v[7:8], v[7:8], -v[5:6]
	v_xor_b32_e32 v10, 0x80000000, v6
	v_mov_b32_e32 v9, v5
.LBB109_17:
	s_or_b32 exec_lo, exec_lo, s3
	scratch_store_b128 v14, v[5:8], off
	scratch_load_b128 v[1:4], v183, off
	v_xor_b32_e32 v12, 0x80000000, v8
	v_mov_b32_e32 v11, v7
	v_add_nc_u32_e32 v5, 0x2e0, v13
	ds_store_b128 v13, v[9:12]
	s_waitcnt vmcnt(0)
	ds_store_b128 v13, v[1:4] offset:736
	s_waitcnt lgkmcnt(0)
	s_waitcnt_vscnt null, 0x0
	s_barrier
	buffer_gl0_inv
	s_and_saveexec_b32 s3, s2
	s_cbranch_execz .LBB109_19
; %bb.18:
	scratch_load_b128 v[1:4], v14, off
	ds_load_b128 v[6:9], v5
	v_mov_b32_e32 v10, 0
	ds_load_b128 v[15:18], v10 offset:16
	s_waitcnt vmcnt(0) lgkmcnt(1)
	v_mul_f64 v[10:11], v[6:7], v[3:4]
	v_mul_f64 v[3:4], v[8:9], v[3:4]
	s_delay_alu instid0(VALU_DEP_2) | instskip(NEXT) | instid1(VALU_DEP_2)
	v_fma_f64 v[8:9], v[8:9], v[1:2], v[10:11]
	v_fma_f64 v[1:2], v[6:7], v[1:2], -v[3:4]
	s_delay_alu instid0(VALU_DEP_2) | instskip(NEXT) | instid1(VALU_DEP_2)
	v_add_f64 v[3:4], v[8:9], 0
	v_add_f64 v[1:2], v[1:2], 0
	s_waitcnt lgkmcnt(0)
	s_delay_alu instid0(VALU_DEP_2) | instskip(NEXT) | instid1(VALU_DEP_2)
	v_mul_f64 v[6:7], v[3:4], v[17:18]
	v_mul_f64 v[8:9], v[1:2], v[17:18]
	s_delay_alu instid0(VALU_DEP_2) | instskip(NEXT) | instid1(VALU_DEP_2)
	v_fma_f64 v[1:2], v[1:2], v[15:16], -v[6:7]
	v_fma_f64 v[3:4], v[3:4], v[15:16], v[8:9]
	scratch_store_b128 off, v[1:4], off offset:16
.LBB109_19:
	s_or_b32 exec_lo, exec_lo, s3
	s_waitcnt_vscnt null, 0x0
	s_barrier
	buffer_gl0_inv
	scratch_load_b128 v[1:4], v182, off
	s_mov_b32 s3, exec_lo
	s_waitcnt vmcnt(0)
	ds_store_b128 v5, v[1:4]
	s_waitcnt lgkmcnt(0)
	s_barrier
	buffer_gl0_inv
	v_cmpx_gt_u32_e32 2, v138
	s_cbranch_execz .LBB109_23
; %bb.20:
	scratch_load_b128 v[1:4], v14, off
	ds_load_b128 v[6:9], v5
	s_waitcnt vmcnt(0) lgkmcnt(0)
	v_mul_f64 v[10:11], v[8:9], v[3:4]
	v_mul_f64 v[3:4], v[6:7], v[3:4]
	s_delay_alu instid0(VALU_DEP_2) | instskip(NEXT) | instid1(VALU_DEP_2)
	v_fma_f64 v[6:7], v[6:7], v[1:2], -v[10:11]
	v_fma_f64 v[3:4], v[8:9], v[1:2], v[3:4]
	s_delay_alu instid0(VALU_DEP_2) | instskip(NEXT) | instid1(VALU_DEP_2)
	v_add_f64 v[1:2], v[6:7], 0
	v_add_f64 v[3:4], v[3:4], 0
	s_and_saveexec_b32 s4, s2
	s_cbranch_execz .LBB109_22
; %bb.21:
	scratch_load_b128 v[6:9], off, off offset:16
	v_mov_b32_e32 v10, 0
	ds_load_b128 v[15:18], v10 offset:752
	s_waitcnt vmcnt(0) lgkmcnt(0)
	v_mul_f64 v[10:11], v[15:16], v[8:9]
	v_mul_f64 v[8:9], v[17:18], v[8:9]
	s_delay_alu instid0(VALU_DEP_2) | instskip(NEXT) | instid1(VALU_DEP_2)
	v_fma_f64 v[10:11], v[17:18], v[6:7], v[10:11]
	v_fma_f64 v[6:7], v[15:16], v[6:7], -v[8:9]
	s_delay_alu instid0(VALU_DEP_2) | instskip(NEXT) | instid1(VALU_DEP_2)
	v_add_f64 v[3:4], v[3:4], v[10:11]
	v_add_f64 v[1:2], v[1:2], v[6:7]
.LBB109_22:
	s_or_b32 exec_lo, exec_lo, s4
	v_mov_b32_e32 v6, 0
	ds_load_b128 v[6:9], v6 offset:32
	s_waitcnt lgkmcnt(0)
	v_mul_f64 v[10:11], v[3:4], v[8:9]
	v_mul_f64 v[8:9], v[1:2], v[8:9]
	s_delay_alu instid0(VALU_DEP_2) | instskip(NEXT) | instid1(VALU_DEP_2)
	v_fma_f64 v[1:2], v[1:2], v[6:7], -v[10:11]
	v_fma_f64 v[3:4], v[3:4], v[6:7], v[8:9]
	scratch_store_b128 off, v[1:4], off offset:32
.LBB109_23:
	s_or_b32 exec_lo, exec_lo, s3
	s_waitcnt_vscnt null, 0x0
	s_barrier
	buffer_gl0_inv
	scratch_load_b128 v[1:4], v181, off
	v_add_nc_u32_e32 v6, -1, v138
	s_mov_b32 s2, exec_lo
	s_waitcnt vmcnt(0)
	ds_store_b128 v5, v[1:4]
	s_waitcnt lgkmcnt(0)
	s_barrier
	buffer_gl0_inv
	v_cmpx_gt_u32_e32 3, v138
	s_cbranch_execz .LBB109_27
; %bb.24:
	v_dual_mov_b32 v1, 0 :: v_dual_add_nc_u32 v8, 0x2e0, v13
	v_dual_mov_b32 v2, 0 :: v_dual_add_nc_u32 v7, -1, v138
	v_or_b32_e32 v9, 8, v14
	s_mov_b32 s3, 0
	s_delay_alu instid0(VALU_DEP_2)
	v_dual_mov_b32 v4, v2 :: v_dual_mov_b32 v3, v1
	.p2align	6
.LBB109_25:                             ; =>This Inner Loop Header: Depth=1
	scratch_load_b128 v[15:18], v9, off offset:-8
	ds_load_b128 v[19:22], v8
	v_add_nc_u32_e32 v7, 1, v7
	v_add_nc_u32_e32 v8, 16, v8
	;; [unrolled: 1-line block ×3, first 2 shown]
	s_delay_alu instid0(VALU_DEP_3) | instskip(SKIP_4) | instid1(VALU_DEP_2)
	v_cmp_lt_u32_e32 vcc_lo, 1, v7
	s_or_b32 s3, vcc_lo, s3
	s_waitcnt vmcnt(0) lgkmcnt(0)
	v_mul_f64 v[10:11], v[21:22], v[17:18]
	v_mul_f64 v[17:18], v[19:20], v[17:18]
	v_fma_f64 v[10:11], v[19:20], v[15:16], -v[10:11]
	s_delay_alu instid0(VALU_DEP_2) | instskip(NEXT) | instid1(VALU_DEP_2)
	v_fma_f64 v[15:16], v[21:22], v[15:16], v[17:18]
	v_add_f64 v[3:4], v[3:4], v[10:11]
	s_delay_alu instid0(VALU_DEP_2)
	v_add_f64 v[1:2], v[1:2], v[15:16]
	s_and_not1_b32 exec_lo, exec_lo, s3
	s_cbranch_execnz .LBB109_25
; %bb.26:
	s_or_b32 exec_lo, exec_lo, s3
	v_mov_b32_e32 v7, 0
	ds_load_b128 v[7:10], v7 offset:48
	s_waitcnt lgkmcnt(0)
	v_mul_f64 v[11:12], v[1:2], v[9:10]
	v_mul_f64 v[15:16], v[3:4], v[9:10]
	s_delay_alu instid0(VALU_DEP_2) | instskip(NEXT) | instid1(VALU_DEP_2)
	v_fma_f64 v[9:10], v[3:4], v[7:8], -v[11:12]
	v_fma_f64 v[11:12], v[1:2], v[7:8], v[15:16]
	scratch_store_b128 off, v[9:12], off offset:48
.LBB109_27:
	s_or_b32 exec_lo, exec_lo, s2
	s_waitcnt_vscnt null, 0x0
	s_barrier
	buffer_gl0_inv
	scratch_load_b128 v[1:4], v180, off
	s_mov_b32 s2, exec_lo
	s_waitcnt vmcnt(0)
	ds_store_b128 v5, v[1:4]
	s_waitcnt lgkmcnt(0)
	s_barrier
	buffer_gl0_inv
	v_cmpx_gt_u32_e32 4, v138
	s_cbranch_execz .LBB109_31
; %bb.28:
	v_dual_mov_b32 v1, 0 :: v_dual_add_nc_u32 v8, 0x2e0, v13
	v_dual_mov_b32 v2, 0 :: v_dual_add_nc_u32 v7, -1, v138
	v_or_b32_e32 v9, 8, v14
	s_mov_b32 s3, 0
	s_delay_alu instid0(VALU_DEP_2)
	v_dual_mov_b32 v4, v2 :: v_dual_mov_b32 v3, v1
	.p2align	6
.LBB109_29:                             ; =>This Inner Loop Header: Depth=1
	scratch_load_b128 v[15:18], v9, off offset:-8
	ds_load_b128 v[19:22], v8
	v_add_nc_u32_e32 v7, 1, v7
	v_add_nc_u32_e32 v8, 16, v8
	;; [unrolled: 1-line block ×3, first 2 shown]
	s_delay_alu instid0(VALU_DEP_3) | instskip(SKIP_4) | instid1(VALU_DEP_2)
	v_cmp_lt_u32_e32 vcc_lo, 2, v7
	s_or_b32 s3, vcc_lo, s3
	s_waitcnt vmcnt(0) lgkmcnt(0)
	v_mul_f64 v[10:11], v[21:22], v[17:18]
	v_mul_f64 v[17:18], v[19:20], v[17:18]
	v_fma_f64 v[10:11], v[19:20], v[15:16], -v[10:11]
	s_delay_alu instid0(VALU_DEP_2) | instskip(NEXT) | instid1(VALU_DEP_2)
	v_fma_f64 v[15:16], v[21:22], v[15:16], v[17:18]
	v_add_f64 v[3:4], v[3:4], v[10:11]
	s_delay_alu instid0(VALU_DEP_2)
	v_add_f64 v[1:2], v[1:2], v[15:16]
	s_and_not1_b32 exec_lo, exec_lo, s3
	s_cbranch_execnz .LBB109_29
; %bb.30:
	s_or_b32 exec_lo, exec_lo, s3
	v_mov_b32_e32 v7, 0
	ds_load_b128 v[7:10], v7 offset:64
	s_waitcnt lgkmcnt(0)
	v_mul_f64 v[11:12], v[1:2], v[9:10]
	v_mul_f64 v[15:16], v[3:4], v[9:10]
	s_delay_alu instid0(VALU_DEP_2) | instskip(NEXT) | instid1(VALU_DEP_2)
	v_fma_f64 v[9:10], v[3:4], v[7:8], -v[11:12]
	v_fma_f64 v[11:12], v[1:2], v[7:8], v[15:16]
	scratch_store_b128 off, v[9:12], off offset:64
.LBB109_31:
	s_or_b32 exec_lo, exec_lo, s2
	s_waitcnt_vscnt null, 0x0
	s_barrier
	buffer_gl0_inv
	scratch_load_b128 v[1:4], v179, off
	s_mov_b32 s2, exec_lo
	s_waitcnt vmcnt(0)
	ds_store_b128 v5, v[1:4]
	s_waitcnt lgkmcnt(0)
	s_barrier
	buffer_gl0_inv
	v_cmpx_gt_u32_e32 5, v138
	s_cbranch_execz .LBB109_35
; %bb.32:
	v_dual_mov_b32 v1, 0 :: v_dual_add_nc_u32 v8, 0x2e0, v13
	v_dual_mov_b32 v2, 0 :: v_dual_add_nc_u32 v7, -1, v138
	v_or_b32_e32 v9, 8, v14
	s_mov_b32 s3, 0
	s_delay_alu instid0(VALU_DEP_2)
	v_dual_mov_b32 v4, v2 :: v_dual_mov_b32 v3, v1
	.p2align	6
.LBB109_33:                             ; =>This Inner Loop Header: Depth=1
	scratch_load_b128 v[15:18], v9, off offset:-8
	ds_load_b128 v[19:22], v8
	v_add_nc_u32_e32 v7, 1, v7
	v_add_nc_u32_e32 v8, 16, v8
	;; [unrolled: 1-line block ×3, first 2 shown]
	s_delay_alu instid0(VALU_DEP_3) | instskip(SKIP_4) | instid1(VALU_DEP_2)
	v_cmp_lt_u32_e32 vcc_lo, 3, v7
	s_or_b32 s3, vcc_lo, s3
	s_waitcnt vmcnt(0) lgkmcnt(0)
	v_mul_f64 v[10:11], v[21:22], v[17:18]
	v_mul_f64 v[17:18], v[19:20], v[17:18]
	v_fma_f64 v[10:11], v[19:20], v[15:16], -v[10:11]
	s_delay_alu instid0(VALU_DEP_2) | instskip(NEXT) | instid1(VALU_DEP_2)
	v_fma_f64 v[15:16], v[21:22], v[15:16], v[17:18]
	v_add_f64 v[3:4], v[3:4], v[10:11]
	s_delay_alu instid0(VALU_DEP_2)
	v_add_f64 v[1:2], v[1:2], v[15:16]
	s_and_not1_b32 exec_lo, exec_lo, s3
	s_cbranch_execnz .LBB109_33
; %bb.34:
	s_or_b32 exec_lo, exec_lo, s3
	v_mov_b32_e32 v7, 0
	ds_load_b128 v[7:10], v7 offset:80
	s_waitcnt lgkmcnt(0)
	v_mul_f64 v[11:12], v[1:2], v[9:10]
	v_mul_f64 v[15:16], v[3:4], v[9:10]
	s_delay_alu instid0(VALU_DEP_2) | instskip(NEXT) | instid1(VALU_DEP_2)
	v_fma_f64 v[9:10], v[3:4], v[7:8], -v[11:12]
	v_fma_f64 v[11:12], v[1:2], v[7:8], v[15:16]
	scratch_store_b128 off, v[9:12], off offset:80
.LBB109_35:
	s_or_b32 exec_lo, exec_lo, s2
	s_waitcnt_vscnt null, 0x0
	s_barrier
	buffer_gl0_inv
	scratch_load_b128 v[1:4], v178, off
	s_mov_b32 s2, exec_lo
	s_waitcnt vmcnt(0)
	ds_store_b128 v5, v[1:4]
	s_waitcnt lgkmcnt(0)
	s_barrier
	buffer_gl0_inv
	v_cmpx_gt_u32_e32 6, v138
	s_cbranch_execz .LBB109_39
; %bb.36:
	v_dual_mov_b32 v1, 0 :: v_dual_add_nc_u32 v8, 0x2e0, v13
	v_dual_mov_b32 v2, 0 :: v_dual_add_nc_u32 v7, -1, v138
	v_or_b32_e32 v9, 8, v14
	s_mov_b32 s3, 0
	s_delay_alu instid0(VALU_DEP_2)
	v_dual_mov_b32 v4, v2 :: v_dual_mov_b32 v3, v1
	.p2align	6
.LBB109_37:                             ; =>This Inner Loop Header: Depth=1
	scratch_load_b128 v[15:18], v9, off offset:-8
	ds_load_b128 v[19:22], v8
	v_add_nc_u32_e32 v7, 1, v7
	v_add_nc_u32_e32 v8, 16, v8
	;; [unrolled: 1-line block ×3, first 2 shown]
	s_delay_alu instid0(VALU_DEP_3) | instskip(SKIP_4) | instid1(VALU_DEP_2)
	v_cmp_lt_u32_e32 vcc_lo, 4, v7
	s_or_b32 s3, vcc_lo, s3
	s_waitcnt vmcnt(0) lgkmcnt(0)
	v_mul_f64 v[10:11], v[21:22], v[17:18]
	v_mul_f64 v[17:18], v[19:20], v[17:18]
	v_fma_f64 v[10:11], v[19:20], v[15:16], -v[10:11]
	s_delay_alu instid0(VALU_DEP_2) | instskip(NEXT) | instid1(VALU_DEP_2)
	v_fma_f64 v[15:16], v[21:22], v[15:16], v[17:18]
	v_add_f64 v[3:4], v[3:4], v[10:11]
	s_delay_alu instid0(VALU_DEP_2)
	v_add_f64 v[1:2], v[1:2], v[15:16]
	s_and_not1_b32 exec_lo, exec_lo, s3
	s_cbranch_execnz .LBB109_37
; %bb.38:
	s_or_b32 exec_lo, exec_lo, s3
	v_mov_b32_e32 v7, 0
	ds_load_b128 v[7:10], v7 offset:96
	s_waitcnt lgkmcnt(0)
	v_mul_f64 v[11:12], v[1:2], v[9:10]
	v_mul_f64 v[15:16], v[3:4], v[9:10]
	s_delay_alu instid0(VALU_DEP_2) | instskip(NEXT) | instid1(VALU_DEP_2)
	v_fma_f64 v[9:10], v[3:4], v[7:8], -v[11:12]
	v_fma_f64 v[11:12], v[1:2], v[7:8], v[15:16]
	scratch_store_b128 off, v[9:12], off offset:96
.LBB109_39:
	s_or_b32 exec_lo, exec_lo, s2
	s_waitcnt_vscnt null, 0x0
	s_barrier
	buffer_gl0_inv
	scratch_load_b128 v[1:4], v177, off
	s_mov_b32 s2, exec_lo
	s_waitcnt vmcnt(0)
	ds_store_b128 v5, v[1:4]
	s_waitcnt lgkmcnt(0)
	s_barrier
	buffer_gl0_inv
	v_cmpx_gt_u32_e32 7, v138
	s_cbranch_execz .LBB109_43
; %bb.40:
	v_dual_mov_b32 v1, 0 :: v_dual_add_nc_u32 v8, 0x2e0, v13
	v_dual_mov_b32 v2, 0 :: v_dual_add_nc_u32 v7, -1, v138
	v_or_b32_e32 v9, 8, v14
	s_mov_b32 s3, 0
	s_delay_alu instid0(VALU_DEP_2)
	v_dual_mov_b32 v4, v2 :: v_dual_mov_b32 v3, v1
	.p2align	6
.LBB109_41:                             ; =>This Inner Loop Header: Depth=1
	scratch_load_b128 v[15:18], v9, off offset:-8
	ds_load_b128 v[19:22], v8
	v_add_nc_u32_e32 v7, 1, v7
	v_add_nc_u32_e32 v8, 16, v8
	;; [unrolled: 1-line block ×3, first 2 shown]
	s_delay_alu instid0(VALU_DEP_3) | instskip(SKIP_4) | instid1(VALU_DEP_2)
	v_cmp_lt_u32_e32 vcc_lo, 5, v7
	s_or_b32 s3, vcc_lo, s3
	s_waitcnt vmcnt(0) lgkmcnt(0)
	v_mul_f64 v[10:11], v[21:22], v[17:18]
	v_mul_f64 v[17:18], v[19:20], v[17:18]
	v_fma_f64 v[10:11], v[19:20], v[15:16], -v[10:11]
	s_delay_alu instid0(VALU_DEP_2) | instskip(NEXT) | instid1(VALU_DEP_2)
	v_fma_f64 v[15:16], v[21:22], v[15:16], v[17:18]
	v_add_f64 v[3:4], v[3:4], v[10:11]
	s_delay_alu instid0(VALU_DEP_2)
	v_add_f64 v[1:2], v[1:2], v[15:16]
	s_and_not1_b32 exec_lo, exec_lo, s3
	s_cbranch_execnz .LBB109_41
; %bb.42:
	s_or_b32 exec_lo, exec_lo, s3
	v_mov_b32_e32 v7, 0
	ds_load_b128 v[7:10], v7 offset:112
	s_waitcnt lgkmcnt(0)
	v_mul_f64 v[11:12], v[1:2], v[9:10]
	v_mul_f64 v[15:16], v[3:4], v[9:10]
	s_delay_alu instid0(VALU_DEP_2) | instskip(NEXT) | instid1(VALU_DEP_2)
	v_fma_f64 v[9:10], v[3:4], v[7:8], -v[11:12]
	v_fma_f64 v[11:12], v[1:2], v[7:8], v[15:16]
	scratch_store_b128 off, v[9:12], off offset:112
.LBB109_43:
	s_or_b32 exec_lo, exec_lo, s2
	s_waitcnt_vscnt null, 0x0
	s_barrier
	buffer_gl0_inv
	scratch_load_b128 v[1:4], v176, off
	s_mov_b32 s2, exec_lo
	s_waitcnt vmcnt(0)
	ds_store_b128 v5, v[1:4]
	s_waitcnt lgkmcnt(0)
	s_barrier
	buffer_gl0_inv
	v_cmpx_gt_u32_e32 8, v138
	s_cbranch_execz .LBB109_47
; %bb.44:
	v_dual_mov_b32 v1, 0 :: v_dual_add_nc_u32 v8, 0x2e0, v13
	v_dual_mov_b32 v2, 0 :: v_dual_add_nc_u32 v7, -1, v138
	v_or_b32_e32 v9, 8, v14
	s_mov_b32 s3, 0
	s_delay_alu instid0(VALU_DEP_2)
	v_dual_mov_b32 v4, v2 :: v_dual_mov_b32 v3, v1
	.p2align	6
.LBB109_45:                             ; =>This Inner Loop Header: Depth=1
	scratch_load_b128 v[15:18], v9, off offset:-8
	ds_load_b128 v[19:22], v8
	v_add_nc_u32_e32 v7, 1, v7
	v_add_nc_u32_e32 v8, 16, v8
	;; [unrolled: 1-line block ×3, first 2 shown]
	s_delay_alu instid0(VALU_DEP_3) | instskip(SKIP_4) | instid1(VALU_DEP_2)
	v_cmp_lt_u32_e32 vcc_lo, 6, v7
	s_or_b32 s3, vcc_lo, s3
	s_waitcnt vmcnt(0) lgkmcnt(0)
	v_mul_f64 v[10:11], v[21:22], v[17:18]
	v_mul_f64 v[17:18], v[19:20], v[17:18]
	v_fma_f64 v[10:11], v[19:20], v[15:16], -v[10:11]
	s_delay_alu instid0(VALU_DEP_2) | instskip(NEXT) | instid1(VALU_DEP_2)
	v_fma_f64 v[15:16], v[21:22], v[15:16], v[17:18]
	v_add_f64 v[3:4], v[3:4], v[10:11]
	s_delay_alu instid0(VALU_DEP_2)
	v_add_f64 v[1:2], v[1:2], v[15:16]
	s_and_not1_b32 exec_lo, exec_lo, s3
	s_cbranch_execnz .LBB109_45
; %bb.46:
	s_or_b32 exec_lo, exec_lo, s3
	v_mov_b32_e32 v7, 0
	ds_load_b128 v[7:10], v7 offset:128
	s_waitcnt lgkmcnt(0)
	v_mul_f64 v[11:12], v[1:2], v[9:10]
	v_mul_f64 v[15:16], v[3:4], v[9:10]
	s_delay_alu instid0(VALU_DEP_2) | instskip(NEXT) | instid1(VALU_DEP_2)
	v_fma_f64 v[9:10], v[3:4], v[7:8], -v[11:12]
	v_fma_f64 v[11:12], v[1:2], v[7:8], v[15:16]
	scratch_store_b128 off, v[9:12], off offset:128
.LBB109_47:
	s_or_b32 exec_lo, exec_lo, s2
	s_waitcnt_vscnt null, 0x0
	s_barrier
	buffer_gl0_inv
	scratch_load_b128 v[1:4], v175, off
	s_mov_b32 s2, exec_lo
	s_waitcnt vmcnt(0)
	ds_store_b128 v5, v[1:4]
	s_waitcnt lgkmcnt(0)
	s_barrier
	buffer_gl0_inv
	v_cmpx_gt_u32_e32 9, v138
	s_cbranch_execz .LBB109_51
; %bb.48:
	v_dual_mov_b32 v1, 0 :: v_dual_add_nc_u32 v8, 0x2e0, v13
	v_dual_mov_b32 v2, 0 :: v_dual_add_nc_u32 v7, -1, v138
	v_or_b32_e32 v9, 8, v14
	s_mov_b32 s3, 0
	s_delay_alu instid0(VALU_DEP_2)
	v_dual_mov_b32 v4, v2 :: v_dual_mov_b32 v3, v1
	.p2align	6
.LBB109_49:                             ; =>This Inner Loop Header: Depth=1
	scratch_load_b128 v[15:18], v9, off offset:-8
	ds_load_b128 v[19:22], v8
	v_add_nc_u32_e32 v7, 1, v7
	v_add_nc_u32_e32 v8, 16, v8
	;; [unrolled: 1-line block ×3, first 2 shown]
	s_delay_alu instid0(VALU_DEP_3) | instskip(SKIP_4) | instid1(VALU_DEP_2)
	v_cmp_lt_u32_e32 vcc_lo, 7, v7
	s_or_b32 s3, vcc_lo, s3
	s_waitcnt vmcnt(0) lgkmcnt(0)
	v_mul_f64 v[10:11], v[21:22], v[17:18]
	v_mul_f64 v[17:18], v[19:20], v[17:18]
	v_fma_f64 v[10:11], v[19:20], v[15:16], -v[10:11]
	s_delay_alu instid0(VALU_DEP_2) | instskip(NEXT) | instid1(VALU_DEP_2)
	v_fma_f64 v[15:16], v[21:22], v[15:16], v[17:18]
	v_add_f64 v[3:4], v[3:4], v[10:11]
	s_delay_alu instid0(VALU_DEP_2)
	v_add_f64 v[1:2], v[1:2], v[15:16]
	s_and_not1_b32 exec_lo, exec_lo, s3
	s_cbranch_execnz .LBB109_49
; %bb.50:
	s_or_b32 exec_lo, exec_lo, s3
	v_mov_b32_e32 v7, 0
	ds_load_b128 v[7:10], v7 offset:144
	s_waitcnt lgkmcnt(0)
	v_mul_f64 v[11:12], v[1:2], v[9:10]
	v_mul_f64 v[15:16], v[3:4], v[9:10]
	s_delay_alu instid0(VALU_DEP_2) | instskip(NEXT) | instid1(VALU_DEP_2)
	v_fma_f64 v[9:10], v[3:4], v[7:8], -v[11:12]
	v_fma_f64 v[11:12], v[1:2], v[7:8], v[15:16]
	scratch_store_b128 off, v[9:12], off offset:144
.LBB109_51:
	s_or_b32 exec_lo, exec_lo, s2
	s_waitcnt_vscnt null, 0x0
	s_barrier
	buffer_gl0_inv
	scratch_load_b128 v[1:4], v174, off
	s_mov_b32 s2, exec_lo
	s_waitcnt vmcnt(0)
	ds_store_b128 v5, v[1:4]
	s_waitcnt lgkmcnt(0)
	s_barrier
	buffer_gl0_inv
	v_cmpx_gt_u32_e32 10, v138
	s_cbranch_execz .LBB109_55
; %bb.52:
	v_dual_mov_b32 v1, 0 :: v_dual_add_nc_u32 v8, 0x2e0, v13
	v_dual_mov_b32 v2, 0 :: v_dual_add_nc_u32 v7, -1, v138
	v_or_b32_e32 v9, 8, v14
	s_mov_b32 s3, 0
	s_delay_alu instid0(VALU_DEP_2)
	v_dual_mov_b32 v4, v2 :: v_dual_mov_b32 v3, v1
	.p2align	6
.LBB109_53:                             ; =>This Inner Loop Header: Depth=1
	scratch_load_b128 v[15:18], v9, off offset:-8
	ds_load_b128 v[19:22], v8
	v_add_nc_u32_e32 v7, 1, v7
	v_add_nc_u32_e32 v8, 16, v8
	;; [unrolled: 1-line block ×3, first 2 shown]
	s_delay_alu instid0(VALU_DEP_3) | instskip(SKIP_4) | instid1(VALU_DEP_2)
	v_cmp_lt_u32_e32 vcc_lo, 8, v7
	s_or_b32 s3, vcc_lo, s3
	s_waitcnt vmcnt(0) lgkmcnt(0)
	v_mul_f64 v[10:11], v[21:22], v[17:18]
	v_mul_f64 v[17:18], v[19:20], v[17:18]
	v_fma_f64 v[10:11], v[19:20], v[15:16], -v[10:11]
	s_delay_alu instid0(VALU_DEP_2) | instskip(NEXT) | instid1(VALU_DEP_2)
	v_fma_f64 v[15:16], v[21:22], v[15:16], v[17:18]
	v_add_f64 v[3:4], v[3:4], v[10:11]
	s_delay_alu instid0(VALU_DEP_2)
	v_add_f64 v[1:2], v[1:2], v[15:16]
	s_and_not1_b32 exec_lo, exec_lo, s3
	s_cbranch_execnz .LBB109_53
; %bb.54:
	s_or_b32 exec_lo, exec_lo, s3
	v_mov_b32_e32 v7, 0
	ds_load_b128 v[7:10], v7 offset:160
	s_waitcnt lgkmcnt(0)
	v_mul_f64 v[11:12], v[1:2], v[9:10]
	v_mul_f64 v[15:16], v[3:4], v[9:10]
	s_delay_alu instid0(VALU_DEP_2) | instskip(NEXT) | instid1(VALU_DEP_2)
	v_fma_f64 v[9:10], v[3:4], v[7:8], -v[11:12]
	v_fma_f64 v[11:12], v[1:2], v[7:8], v[15:16]
	scratch_store_b128 off, v[9:12], off offset:160
.LBB109_55:
	s_or_b32 exec_lo, exec_lo, s2
	s_waitcnt_vscnt null, 0x0
	s_barrier
	buffer_gl0_inv
	scratch_load_b128 v[1:4], v173, off
	s_mov_b32 s2, exec_lo
	s_waitcnt vmcnt(0)
	ds_store_b128 v5, v[1:4]
	s_waitcnt lgkmcnt(0)
	s_barrier
	buffer_gl0_inv
	v_cmpx_gt_u32_e32 11, v138
	s_cbranch_execz .LBB109_59
; %bb.56:
	v_dual_mov_b32 v1, 0 :: v_dual_add_nc_u32 v8, 0x2e0, v13
	v_dual_mov_b32 v2, 0 :: v_dual_add_nc_u32 v7, -1, v138
	v_or_b32_e32 v9, 8, v14
	s_mov_b32 s3, 0
	s_delay_alu instid0(VALU_DEP_2)
	v_dual_mov_b32 v4, v2 :: v_dual_mov_b32 v3, v1
	.p2align	6
.LBB109_57:                             ; =>This Inner Loop Header: Depth=1
	scratch_load_b128 v[15:18], v9, off offset:-8
	ds_load_b128 v[19:22], v8
	v_add_nc_u32_e32 v7, 1, v7
	v_add_nc_u32_e32 v8, 16, v8
	;; [unrolled: 1-line block ×3, first 2 shown]
	s_delay_alu instid0(VALU_DEP_3) | instskip(SKIP_4) | instid1(VALU_DEP_2)
	v_cmp_lt_u32_e32 vcc_lo, 9, v7
	s_or_b32 s3, vcc_lo, s3
	s_waitcnt vmcnt(0) lgkmcnt(0)
	v_mul_f64 v[10:11], v[21:22], v[17:18]
	v_mul_f64 v[17:18], v[19:20], v[17:18]
	v_fma_f64 v[10:11], v[19:20], v[15:16], -v[10:11]
	s_delay_alu instid0(VALU_DEP_2) | instskip(NEXT) | instid1(VALU_DEP_2)
	v_fma_f64 v[15:16], v[21:22], v[15:16], v[17:18]
	v_add_f64 v[3:4], v[3:4], v[10:11]
	s_delay_alu instid0(VALU_DEP_2)
	v_add_f64 v[1:2], v[1:2], v[15:16]
	s_and_not1_b32 exec_lo, exec_lo, s3
	s_cbranch_execnz .LBB109_57
; %bb.58:
	s_or_b32 exec_lo, exec_lo, s3
	v_mov_b32_e32 v7, 0
	ds_load_b128 v[7:10], v7 offset:176
	s_waitcnt lgkmcnt(0)
	v_mul_f64 v[11:12], v[1:2], v[9:10]
	v_mul_f64 v[15:16], v[3:4], v[9:10]
	s_delay_alu instid0(VALU_DEP_2) | instskip(NEXT) | instid1(VALU_DEP_2)
	v_fma_f64 v[9:10], v[3:4], v[7:8], -v[11:12]
	v_fma_f64 v[11:12], v[1:2], v[7:8], v[15:16]
	scratch_store_b128 off, v[9:12], off offset:176
.LBB109_59:
	s_or_b32 exec_lo, exec_lo, s2
	s_waitcnt_vscnt null, 0x0
	s_barrier
	buffer_gl0_inv
	scratch_load_b128 v[1:4], v172, off
	s_mov_b32 s2, exec_lo
	s_waitcnt vmcnt(0)
	ds_store_b128 v5, v[1:4]
	s_waitcnt lgkmcnt(0)
	s_barrier
	buffer_gl0_inv
	v_cmpx_gt_u32_e32 12, v138
	s_cbranch_execz .LBB109_63
; %bb.60:
	v_dual_mov_b32 v1, 0 :: v_dual_add_nc_u32 v8, 0x2e0, v13
	v_dual_mov_b32 v2, 0 :: v_dual_add_nc_u32 v7, -1, v138
	v_or_b32_e32 v9, 8, v14
	s_mov_b32 s3, 0
	s_delay_alu instid0(VALU_DEP_2)
	v_dual_mov_b32 v4, v2 :: v_dual_mov_b32 v3, v1
	.p2align	6
.LBB109_61:                             ; =>This Inner Loop Header: Depth=1
	scratch_load_b128 v[15:18], v9, off offset:-8
	ds_load_b128 v[19:22], v8
	v_add_nc_u32_e32 v7, 1, v7
	v_add_nc_u32_e32 v8, 16, v8
	;; [unrolled: 1-line block ×3, first 2 shown]
	s_delay_alu instid0(VALU_DEP_3) | instskip(SKIP_4) | instid1(VALU_DEP_2)
	v_cmp_lt_u32_e32 vcc_lo, 10, v7
	s_or_b32 s3, vcc_lo, s3
	s_waitcnt vmcnt(0) lgkmcnt(0)
	v_mul_f64 v[10:11], v[21:22], v[17:18]
	v_mul_f64 v[17:18], v[19:20], v[17:18]
	v_fma_f64 v[10:11], v[19:20], v[15:16], -v[10:11]
	s_delay_alu instid0(VALU_DEP_2) | instskip(NEXT) | instid1(VALU_DEP_2)
	v_fma_f64 v[15:16], v[21:22], v[15:16], v[17:18]
	v_add_f64 v[3:4], v[3:4], v[10:11]
	s_delay_alu instid0(VALU_DEP_2)
	v_add_f64 v[1:2], v[1:2], v[15:16]
	s_and_not1_b32 exec_lo, exec_lo, s3
	s_cbranch_execnz .LBB109_61
; %bb.62:
	s_or_b32 exec_lo, exec_lo, s3
	v_mov_b32_e32 v7, 0
	ds_load_b128 v[7:10], v7 offset:192
	s_waitcnt lgkmcnt(0)
	v_mul_f64 v[11:12], v[1:2], v[9:10]
	v_mul_f64 v[15:16], v[3:4], v[9:10]
	s_delay_alu instid0(VALU_DEP_2) | instskip(NEXT) | instid1(VALU_DEP_2)
	v_fma_f64 v[9:10], v[3:4], v[7:8], -v[11:12]
	v_fma_f64 v[11:12], v[1:2], v[7:8], v[15:16]
	scratch_store_b128 off, v[9:12], off offset:192
.LBB109_63:
	s_or_b32 exec_lo, exec_lo, s2
	s_waitcnt_vscnt null, 0x0
	s_barrier
	buffer_gl0_inv
	scratch_load_b128 v[1:4], v171, off
	s_mov_b32 s2, exec_lo
	s_waitcnt vmcnt(0)
	ds_store_b128 v5, v[1:4]
	s_waitcnt lgkmcnt(0)
	s_barrier
	buffer_gl0_inv
	v_cmpx_gt_u32_e32 13, v138
	s_cbranch_execz .LBB109_67
; %bb.64:
	v_dual_mov_b32 v1, 0 :: v_dual_add_nc_u32 v8, 0x2e0, v13
	v_dual_mov_b32 v2, 0 :: v_dual_add_nc_u32 v7, -1, v138
	v_or_b32_e32 v9, 8, v14
	s_mov_b32 s3, 0
	s_delay_alu instid0(VALU_DEP_2)
	v_dual_mov_b32 v4, v2 :: v_dual_mov_b32 v3, v1
	.p2align	6
.LBB109_65:                             ; =>This Inner Loop Header: Depth=1
	scratch_load_b128 v[15:18], v9, off offset:-8
	ds_load_b128 v[19:22], v8
	v_add_nc_u32_e32 v7, 1, v7
	v_add_nc_u32_e32 v8, 16, v8
	;; [unrolled: 1-line block ×3, first 2 shown]
	s_delay_alu instid0(VALU_DEP_3) | instskip(SKIP_4) | instid1(VALU_DEP_2)
	v_cmp_lt_u32_e32 vcc_lo, 11, v7
	s_or_b32 s3, vcc_lo, s3
	s_waitcnt vmcnt(0) lgkmcnt(0)
	v_mul_f64 v[10:11], v[21:22], v[17:18]
	v_mul_f64 v[17:18], v[19:20], v[17:18]
	v_fma_f64 v[10:11], v[19:20], v[15:16], -v[10:11]
	s_delay_alu instid0(VALU_DEP_2) | instskip(NEXT) | instid1(VALU_DEP_2)
	v_fma_f64 v[15:16], v[21:22], v[15:16], v[17:18]
	v_add_f64 v[3:4], v[3:4], v[10:11]
	s_delay_alu instid0(VALU_DEP_2)
	v_add_f64 v[1:2], v[1:2], v[15:16]
	s_and_not1_b32 exec_lo, exec_lo, s3
	s_cbranch_execnz .LBB109_65
; %bb.66:
	s_or_b32 exec_lo, exec_lo, s3
	v_mov_b32_e32 v7, 0
	ds_load_b128 v[7:10], v7 offset:208
	s_waitcnt lgkmcnt(0)
	v_mul_f64 v[11:12], v[1:2], v[9:10]
	v_mul_f64 v[15:16], v[3:4], v[9:10]
	s_delay_alu instid0(VALU_DEP_2) | instskip(NEXT) | instid1(VALU_DEP_2)
	v_fma_f64 v[9:10], v[3:4], v[7:8], -v[11:12]
	v_fma_f64 v[11:12], v[1:2], v[7:8], v[15:16]
	scratch_store_b128 off, v[9:12], off offset:208
.LBB109_67:
	s_or_b32 exec_lo, exec_lo, s2
	s_waitcnt_vscnt null, 0x0
	s_barrier
	buffer_gl0_inv
	scratch_load_b128 v[1:4], v170, off
	s_mov_b32 s2, exec_lo
	s_waitcnt vmcnt(0)
	ds_store_b128 v5, v[1:4]
	s_waitcnt lgkmcnt(0)
	s_barrier
	buffer_gl0_inv
	v_cmpx_gt_u32_e32 14, v138
	s_cbranch_execz .LBB109_71
; %bb.68:
	v_dual_mov_b32 v1, 0 :: v_dual_add_nc_u32 v8, 0x2e0, v13
	v_dual_mov_b32 v2, 0 :: v_dual_add_nc_u32 v7, -1, v138
	v_or_b32_e32 v9, 8, v14
	s_mov_b32 s3, 0
	s_delay_alu instid0(VALU_DEP_2)
	v_dual_mov_b32 v4, v2 :: v_dual_mov_b32 v3, v1
	.p2align	6
.LBB109_69:                             ; =>This Inner Loop Header: Depth=1
	scratch_load_b128 v[15:18], v9, off offset:-8
	ds_load_b128 v[19:22], v8
	v_add_nc_u32_e32 v7, 1, v7
	v_add_nc_u32_e32 v8, 16, v8
	;; [unrolled: 1-line block ×3, first 2 shown]
	s_delay_alu instid0(VALU_DEP_3) | instskip(SKIP_4) | instid1(VALU_DEP_2)
	v_cmp_lt_u32_e32 vcc_lo, 12, v7
	s_or_b32 s3, vcc_lo, s3
	s_waitcnt vmcnt(0) lgkmcnt(0)
	v_mul_f64 v[10:11], v[21:22], v[17:18]
	v_mul_f64 v[17:18], v[19:20], v[17:18]
	v_fma_f64 v[10:11], v[19:20], v[15:16], -v[10:11]
	s_delay_alu instid0(VALU_DEP_2) | instskip(NEXT) | instid1(VALU_DEP_2)
	v_fma_f64 v[15:16], v[21:22], v[15:16], v[17:18]
	v_add_f64 v[3:4], v[3:4], v[10:11]
	s_delay_alu instid0(VALU_DEP_2)
	v_add_f64 v[1:2], v[1:2], v[15:16]
	s_and_not1_b32 exec_lo, exec_lo, s3
	s_cbranch_execnz .LBB109_69
; %bb.70:
	s_or_b32 exec_lo, exec_lo, s3
	v_mov_b32_e32 v7, 0
	ds_load_b128 v[7:10], v7 offset:224
	s_waitcnt lgkmcnt(0)
	v_mul_f64 v[11:12], v[1:2], v[9:10]
	v_mul_f64 v[15:16], v[3:4], v[9:10]
	s_delay_alu instid0(VALU_DEP_2) | instskip(NEXT) | instid1(VALU_DEP_2)
	v_fma_f64 v[9:10], v[3:4], v[7:8], -v[11:12]
	v_fma_f64 v[11:12], v[1:2], v[7:8], v[15:16]
	scratch_store_b128 off, v[9:12], off offset:224
.LBB109_71:
	s_or_b32 exec_lo, exec_lo, s2
	s_waitcnt_vscnt null, 0x0
	s_barrier
	buffer_gl0_inv
	scratch_load_b128 v[1:4], v169, off
	s_mov_b32 s2, exec_lo
	s_waitcnt vmcnt(0)
	ds_store_b128 v5, v[1:4]
	s_waitcnt lgkmcnt(0)
	s_barrier
	buffer_gl0_inv
	v_cmpx_gt_u32_e32 15, v138
	s_cbranch_execz .LBB109_75
; %bb.72:
	v_dual_mov_b32 v1, 0 :: v_dual_add_nc_u32 v8, 0x2e0, v13
	v_dual_mov_b32 v2, 0 :: v_dual_add_nc_u32 v7, -1, v138
	v_or_b32_e32 v9, 8, v14
	s_mov_b32 s3, 0
	s_delay_alu instid0(VALU_DEP_2)
	v_dual_mov_b32 v4, v2 :: v_dual_mov_b32 v3, v1
	.p2align	6
.LBB109_73:                             ; =>This Inner Loop Header: Depth=1
	scratch_load_b128 v[15:18], v9, off offset:-8
	ds_load_b128 v[19:22], v8
	v_add_nc_u32_e32 v7, 1, v7
	v_add_nc_u32_e32 v8, 16, v8
	;; [unrolled: 1-line block ×3, first 2 shown]
	s_delay_alu instid0(VALU_DEP_3) | instskip(SKIP_4) | instid1(VALU_DEP_2)
	v_cmp_lt_u32_e32 vcc_lo, 13, v7
	s_or_b32 s3, vcc_lo, s3
	s_waitcnt vmcnt(0) lgkmcnt(0)
	v_mul_f64 v[10:11], v[21:22], v[17:18]
	v_mul_f64 v[17:18], v[19:20], v[17:18]
	v_fma_f64 v[10:11], v[19:20], v[15:16], -v[10:11]
	s_delay_alu instid0(VALU_DEP_2) | instskip(NEXT) | instid1(VALU_DEP_2)
	v_fma_f64 v[15:16], v[21:22], v[15:16], v[17:18]
	v_add_f64 v[3:4], v[3:4], v[10:11]
	s_delay_alu instid0(VALU_DEP_2)
	v_add_f64 v[1:2], v[1:2], v[15:16]
	s_and_not1_b32 exec_lo, exec_lo, s3
	s_cbranch_execnz .LBB109_73
; %bb.74:
	s_or_b32 exec_lo, exec_lo, s3
	v_mov_b32_e32 v7, 0
	ds_load_b128 v[7:10], v7 offset:240
	s_waitcnt lgkmcnt(0)
	v_mul_f64 v[11:12], v[1:2], v[9:10]
	v_mul_f64 v[15:16], v[3:4], v[9:10]
	s_delay_alu instid0(VALU_DEP_2) | instskip(NEXT) | instid1(VALU_DEP_2)
	v_fma_f64 v[9:10], v[3:4], v[7:8], -v[11:12]
	v_fma_f64 v[11:12], v[1:2], v[7:8], v[15:16]
	scratch_store_b128 off, v[9:12], off offset:240
.LBB109_75:
	s_or_b32 exec_lo, exec_lo, s2
	s_waitcnt_vscnt null, 0x0
	s_barrier
	buffer_gl0_inv
	scratch_load_b128 v[1:4], v168, off
	s_mov_b32 s2, exec_lo
	s_waitcnt vmcnt(0)
	ds_store_b128 v5, v[1:4]
	s_waitcnt lgkmcnt(0)
	s_barrier
	buffer_gl0_inv
	v_cmpx_gt_u32_e32 16, v138
	s_cbranch_execz .LBB109_79
; %bb.76:
	v_dual_mov_b32 v1, 0 :: v_dual_add_nc_u32 v8, 0x2e0, v13
	v_dual_mov_b32 v2, 0 :: v_dual_add_nc_u32 v7, -1, v138
	v_or_b32_e32 v9, 8, v14
	s_mov_b32 s3, 0
	s_delay_alu instid0(VALU_DEP_2)
	v_dual_mov_b32 v4, v2 :: v_dual_mov_b32 v3, v1
	.p2align	6
.LBB109_77:                             ; =>This Inner Loop Header: Depth=1
	scratch_load_b128 v[15:18], v9, off offset:-8
	ds_load_b128 v[19:22], v8
	v_add_nc_u32_e32 v7, 1, v7
	v_add_nc_u32_e32 v8, 16, v8
	;; [unrolled: 1-line block ×3, first 2 shown]
	s_delay_alu instid0(VALU_DEP_3) | instskip(SKIP_4) | instid1(VALU_DEP_2)
	v_cmp_lt_u32_e32 vcc_lo, 14, v7
	s_or_b32 s3, vcc_lo, s3
	s_waitcnt vmcnt(0) lgkmcnt(0)
	v_mul_f64 v[10:11], v[21:22], v[17:18]
	v_mul_f64 v[17:18], v[19:20], v[17:18]
	v_fma_f64 v[10:11], v[19:20], v[15:16], -v[10:11]
	s_delay_alu instid0(VALU_DEP_2) | instskip(NEXT) | instid1(VALU_DEP_2)
	v_fma_f64 v[15:16], v[21:22], v[15:16], v[17:18]
	v_add_f64 v[3:4], v[3:4], v[10:11]
	s_delay_alu instid0(VALU_DEP_2)
	v_add_f64 v[1:2], v[1:2], v[15:16]
	s_and_not1_b32 exec_lo, exec_lo, s3
	s_cbranch_execnz .LBB109_77
; %bb.78:
	s_or_b32 exec_lo, exec_lo, s3
	v_mov_b32_e32 v7, 0
	ds_load_b128 v[7:10], v7 offset:256
	s_waitcnt lgkmcnt(0)
	v_mul_f64 v[11:12], v[1:2], v[9:10]
	v_mul_f64 v[15:16], v[3:4], v[9:10]
	s_delay_alu instid0(VALU_DEP_2) | instskip(NEXT) | instid1(VALU_DEP_2)
	v_fma_f64 v[9:10], v[3:4], v[7:8], -v[11:12]
	v_fma_f64 v[11:12], v[1:2], v[7:8], v[15:16]
	scratch_store_b128 off, v[9:12], off offset:256
.LBB109_79:
	s_or_b32 exec_lo, exec_lo, s2
	s_waitcnt_vscnt null, 0x0
	s_barrier
	buffer_gl0_inv
	scratch_load_b128 v[1:4], v167, off
	s_mov_b32 s2, exec_lo
	s_waitcnt vmcnt(0)
	ds_store_b128 v5, v[1:4]
	s_waitcnt lgkmcnt(0)
	s_barrier
	buffer_gl0_inv
	v_cmpx_gt_u32_e32 17, v138
	s_cbranch_execz .LBB109_83
; %bb.80:
	v_dual_mov_b32 v1, 0 :: v_dual_add_nc_u32 v8, 0x2e0, v13
	v_dual_mov_b32 v2, 0 :: v_dual_add_nc_u32 v7, -1, v138
	v_or_b32_e32 v9, 8, v14
	s_mov_b32 s3, 0
	s_delay_alu instid0(VALU_DEP_2)
	v_dual_mov_b32 v4, v2 :: v_dual_mov_b32 v3, v1
	.p2align	6
.LBB109_81:                             ; =>This Inner Loop Header: Depth=1
	scratch_load_b128 v[15:18], v9, off offset:-8
	ds_load_b128 v[19:22], v8
	v_add_nc_u32_e32 v7, 1, v7
	v_add_nc_u32_e32 v8, 16, v8
	;; [unrolled: 1-line block ×3, first 2 shown]
	s_delay_alu instid0(VALU_DEP_3) | instskip(SKIP_4) | instid1(VALU_DEP_2)
	v_cmp_lt_u32_e32 vcc_lo, 15, v7
	s_or_b32 s3, vcc_lo, s3
	s_waitcnt vmcnt(0) lgkmcnt(0)
	v_mul_f64 v[10:11], v[21:22], v[17:18]
	v_mul_f64 v[17:18], v[19:20], v[17:18]
	v_fma_f64 v[10:11], v[19:20], v[15:16], -v[10:11]
	s_delay_alu instid0(VALU_DEP_2) | instskip(NEXT) | instid1(VALU_DEP_2)
	v_fma_f64 v[15:16], v[21:22], v[15:16], v[17:18]
	v_add_f64 v[3:4], v[3:4], v[10:11]
	s_delay_alu instid0(VALU_DEP_2)
	v_add_f64 v[1:2], v[1:2], v[15:16]
	s_and_not1_b32 exec_lo, exec_lo, s3
	s_cbranch_execnz .LBB109_81
; %bb.82:
	s_or_b32 exec_lo, exec_lo, s3
	v_mov_b32_e32 v7, 0
	ds_load_b128 v[7:10], v7 offset:272
	s_waitcnt lgkmcnt(0)
	v_mul_f64 v[11:12], v[1:2], v[9:10]
	v_mul_f64 v[15:16], v[3:4], v[9:10]
	s_delay_alu instid0(VALU_DEP_2) | instskip(NEXT) | instid1(VALU_DEP_2)
	v_fma_f64 v[9:10], v[3:4], v[7:8], -v[11:12]
	v_fma_f64 v[11:12], v[1:2], v[7:8], v[15:16]
	scratch_store_b128 off, v[9:12], off offset:272
.LBB109_83:
	s_or_b32 exec_lo, exec_lo, s2
	s_waitcnt_vscnt null, 0x0
	s_barrier
	buffer_gl0_inv
	scratch_load_b128 v[1:4], v166, off
	s_mov_b32 s2, exec_lo
	s_waitcnt vmcnt(0)
	ds_store_b128 v5, v[1:4]
	s_waitcnt lgkmcnt(0)
	s_barrier
	buffer_gl0_inv
	v_cmpx_gt_u32_e32 18, v138
	s_cbranch_execz .LBB109_87
; %bb.84:
	v_dual_mov_b32 v1, 0 :: v_dual_add_nc_u32 v8, 0x2e0, v13
	v_dual_mov_b32 v2, 0 :: v_dual_add_nc_u32 v7, -1, v138
	v_or_b32_e32 v9, 8, v14
	s_mov_b32 s3, 0
	s_delay_alu instid0(VALU_DEP_2)
	v_dual_mov_b32 v4, v2 :: v_dual_mov_b32 v3, v1
	.p2align	6
.LBB109_85:                             ; =>This Inner Loop Header: Depth=1
	scratch_load_b128 v[15:18], v9, off offset:-8
	ds_load_b128 v[19:22], v8
	v_add_nc_u32_e32 v7, 1, v7
	v_add_nc_u32_e32 v8, 16, v8
	;; [unrolled: 1-line block ×3, first 2 shown]
	s_delay_alu instid0(VALU_DEP_3) | instskip(SKIP_4) | instid1(VALU_DEP_2)
	v_cmp_lt_u32_e32 vcc_lo, 16, v7
	s_or_b32 s3, vcc_lo, s3
	s_waitcnt vmcnt(0) lgkmcnt(0)
	v_mul_f64 v[10:11], v[21:22], v[17:18]
	v_mul_f64 v[17:18], v[19:20], v[17:18]
	v_fma_f64 v[10:11], v[19:20], v[15:16], -v[10:11]
	s_delay_alu instid0(VALU_DEP_2) | instskip(NEXT) | instid1(VALU_DEP_2)
	v_fma_f64 v[15:16], v[21:22], v[15:16], v[17:18]
	v_add_f64 v[3:4], v[3:4], v[10:11]
	s_delay_alu instid0(VALU_DEP_2)
	v_add_f64 v[1:2], v[1:2], v[15:16]
	s_and_not1_b32 exec_lo, exec_lo, s3
	s_cbranch_execnz .LBB109_85
; %bb.86:
	s_or_b32 exec_lo, exec_lo, s3
	v_mov_b32_e32 v7, 0
	ds_load_b128 v[7:10], v7 offset:288
	s_waitcnt lgkmcnt(0)
	v_mul_f64 v[11:12], v[1:2], v[9:10]
	v_mul_f64 v[15:16], v[3:4], v[9:10]
	s_delay_alu instid0(VALU_DEP_2) | instskip(NEXT) | instid1(VALU_DEP_2)
	v_fma_f64 v[9:10], v[3:4], v[7:8], -v[11:12]
	v_fma_f64 v[11:12], v[1:2], v[7:8], v[15:16]
	scratch_store_b128 off, v[9:12], off offset:288
.LBB109_87:
	s_or_b32 exec_lo, exec_lo, s2
	s_waitcnt_vscnt null, 0x0
	s_barrier
	buffer_gl0_inv
	scratch_load_b128 v[1:4], v165, off
	s_mov_b32 s2, exec_lo
	s_waitcnt vmcnt(0)
	ds_store_b128 v5, v[1:4]
	s_waitcnt lgkmcnt(0)
	s_barrier
	buffer_gl0_inv
	v_cmpx_gt_u32_e32 19, v138
	s_cbranch_execz .LBB109_91
; %bb.88:
	v_dual_mov_b32 v1, 0 :: v_dual_add_nc_u32 v8, 0x2e0, v13
	v_dual_mov_b32 v2, 0 :: v_dual_add_nc_u32 v7, -1, v138
	v_or_b32_e32 v9, 8, v14
	s_mov_b32 s3, 0
	s_delay_alu instid0(VALU_DEP_2)
	v_dual_mov_b32 v4, v2 :: v_dual_mov_b32 v3, v1
	.p2align	6
.LBB109_89:                             ; =>This Inner Loop Header: Depth=1
	scratch_load_b128 v[15:18], v9, off offset:-8
	ds_load_b128 v[19:22], v8
	v_add_nc_u32_e32 v7, 1, v7
	v_add_nc_u32_e32 v8, 16, v8
	;; [unrolled: 1-line block ×3, first 2 shown]
	s_delay_alu instid0(VALU_DEP_3) | instskip(SKIP_4) | instid1(VALU_DEP_2)
	v_cmp_lt_u32_e32 vcc_lo, 17, v7
	s_or_b32 s3, vcc_lo, s3
	s_waitcnt vmcnt(0) lgkmcnt(0)
	v_mul_f64 v[10:11], v[21:22], v[17:18]
	v_mul_f64 v[17:18], v[19:20], v[17:18]
	v_fma_f64 v[10:11], v[19:20], v[15:16], -v[10:11]
	s_delay_alu instid0(VALU_DEP_2) | instskip(NEXT) | instid1(VALU_DEP_2)
	v_fma_f64 v[15:16], v[21:22], v[15:16], v[17:18]
	v_add_f64 v[3:4], v[3:4], v[10:11]
	s_delay_alu instid0(VALU_DEP_2)
	v_add_f64 v[1:2], v[1:2], v[15:16]
	s_and_not1_b32 exec_lo, exec_lo, s3
	s_cbranch_execnz .LBB109_89
; %bb.90:
	s_or_b32 exec_lo, exec_lo, s3
	v_mov_b32_e32 v7, 0
	ds_load_b128 v[7:10], v7 offset:304
	s_waitcnt lgkmcnt(0)
	v_mul_f64 v[11:12], v[1:2], v[9:10]
	v_mul_f64 v[15:16], v[3:4], v[9:10]
	s_delay_alu instid0(VALU_DEP_2) | instskip(NEXT) | instid1(VALU_DEP_2)
	v_fma_f64 v[9:10], v[3:4], v[7:8], -v[11:12]
	v_fma_f64 v[11:12], v[1:2], v[7:8], v[15:16]
	scratch_store_b128 off, v[9:12], off offset:304
.LBB109_91:
	s_or_b32 exec_lo, exec_lo, s2
	s_waitcnt_vscnt null, 0x0
	s_barrier
	buffer_gl0_inv
	scratch_load_b128 v[1:4], v164, off
	s_mov_b32 s2, exec_lo
	s_waitcnt vmcnt(0)
	ds_store_b128 v5, v[1:4]
	s_waitcnt lgkmcnt(0)
	s_barrier
	buffer_gl0_inv
	v_cmpx_gt_u32_e32 20, v138
	s_cbranch_execz .LBB109_95
; %bb.92:
	v_dual_mov_b32 v1, 0 :: v_dual_add_nc_u32 v8, 0x2e0, v13
	v_dual_mov_b32 v2, 0 :: v_dual_add_nc_u32 v7, -1, v138
	v_or_b32_e32 v9, 8, v14
	s_mov_b32 s3, 0
	s_delay_alu instid0(VALU_DEP_2)
	v_dual_mov_b32 v4, v2 :: v_dual_mov_b32 v3, v1
	.p2align	6
.LBB109_93:                             ; =>This Inner Loop Header: Depth=1
	scratch_load_b128 v[15:18], v9, off offset:-8
	ds_load_b128 v[19:22], v8
	v_add_nc_u32_e32 v7, 1, v7
	v_add_nc_u32_e32 v8, 16, v8
	;; [unrolled: 1-line block ×3, first 2 shown]
	s_delay_alu instid0(VALU_DEP_3) | instskip(SKIP_4) | instid1(VALU_DEP_2)
	v_cmp_lt_u32_e32 vcc_lo, 18, v7
	s_or_b32 s3, vcc_lo, s3
	s_waitcnt vmcnt(0) lgkmcnt(0)
	v_mul_f64 v[10:11], v[21:22], v[17:18]
	v_mul_f64 v[17:18], v[19:20], v[17:18]
	v_fma_f64 v[10:11], v[19:20], v[15:16], -v[10:11]
	s_delay_alu instid0(VALU_DEP_2) | instskip(NEXT) | instid1(VALU_DEP_2)
	v_fma_f64 v[15:16], v[21:22], v[15:16], v[17:18]
	v_add_f64 v[3:4], v[3:4], v[10:11]
	s_delay_alu instid0(VALU_DEP_2)
	v_add_f64 v[1:2], v[1:2], v[15:16]
	s_and_not1_b32 exec_lo, exec_lo, s3
	s_cbranch_execnz .LBB109_93
; %bb.94:
	s_or_b32 exec_lo, exec_lo, s3
	v_mov_b32_e32 v7, 0
	ds_load_b128 v[7:10], v7 offset:320
	s_waitcnt lgkmcnt(0)
	v_mul_f64 v[11:12], v[1:2], v[9:10]
	v_mul_f64 v[15:16], v[3:4], v[9:10]
	s_delay_alu instid0(VALU_DEP_2) | instskip(NEXT) | instid1(VALU_DEP_2)
	v_fma_f64 v[9:10], v[3:4], v[7:8], -v[11:12]
	v_fma_f64 v[11:12], v[1:2], v[7:8], v[15:16]
	scratch_store_b128 off, v[9:12], off offset:320
.LBB109_95:
	s_or_b32 exec_lo, exec_lo, s2
	s_waitcnt_vscnt null, 0x0
	s_barrier
	buffer_gl0_inv
	scratch_load_b128 v[1:4], v163, off
	s_mov_b32 s2, exec_lo
	s_waitcnt vmcnt(0)
	ds_store_b128 v5, v[1:4]
	s_waitcnt lgkmcnt(0)
	s_barrier
	buffer_gl0_inv
	v_cmpx_gt_u32_e32 21, v138
	s_cbranch_execz .LBB109_99
; %bb.96:
	v_dual_mov_b32 v1, 0 :: v_dual_add_nc_u32 v8, 0x2e0, v13
	v_dual_mov_b32 v2, 0 :: v_dual_add_nc_u32 v7, -1, v138
	v_or_b32_e32 v9, 8, v14
	s_mov_b32 s3, 0
	s_delay_alu instid0(VALU_DEP_2)
	v_dual_mov_b32 v4, v2 :: v_dual_mov_b32 v3, v1
	.p2align	6
.LBB109_97:                             ; =>This Inner Loop Header: Depth=1
	scratch_load_b128 v[15:18], v9, off offset:-8
	ds_load_b128 v[19:22], v8
	v_add_nc_u32_e32 v7, 1, v7
	v_add_nc_u32_e32 v8, 16, v8
	;; [unrolled: 1-line block ×3, first 2 shown]
	s_delay_alu instid0(VALU_DEP_3) | instskip(SKIP_4) | instid1(VALU_DEP_2)
	v_cmp_lt_u32_e32 vcc_lo, 19, v7
	s_or_b32 s3, vcc_lo, s3
	s_waitcnt vmcnt(0) lgkmcnt(0)
	v_mul_f64 v[10:11], v[21:22], v[17:18]
	v_mul_f64 v[17:18], v[19:20], v[17:18]
	v_fma_f64 v[10:11], v[19:20], v[15:16], -v[10:11]
	s_delay_alu instid0(VALU_DEP_2) | instskip(NEXT) | instid1(VALU_DEP_2)
	v_fma_f64 v[15:16], v[21:22], v[15:16], v[17:18]
	v_add_f64 v[3:4], v[3:4], v[10:11]
	s_delay_alu instid0(VALU_DEP_2)
	v_add_f64 v[1:2], v[1:2], v[15:16]
	s_and_not1_b32 exec_lo, exec_lo, s3
	s_cbranch_execnz .LBB109_97
; %bb.98:
	s_or_b32 exec_lo, exec_lo, s3
	v_mov_b32_e32 v7, 0
	ds_load_b128 v[7:10], v7 offset:336
	s_waitcnt lgkmcnt(0)
	v_mul_f64 v[11:12], v[1:2], v[9:10]
	v_mul_f64 v[15:16], v[3:4], v[9:10]
	s_delay_alu instid0(VALU_DEP_2) | instskip(NEXT) | instid1(VALU_DEP_2)
	v_fma_f64 v[9:10], v[3:4], v[7:8], -v[11:12]
	v_fma_f64 v[11:12], v[1:2], v[7:8], v[15:16]
	scratch_store_b128 off, v[9:12], off offset:336
.LBB109_99:
	s_or_b32 exec_lo, exec_lo, s2
	s_waitcnt_vscnt null, 0x0
	s_barrier
	buffer_gl0_inv
	scratch_load_b128 v[1:4], v162, off
	s_mov_b32 s2, exec_lo
	s_waitcnt vmcnt(0)
	ds_store_b128 v5, v[1:4]
	s_waitcnt lgkmcnt(0)
	s_barrier
	buffer_gl0_inv
	v_cmpx_gt_u32_e32 22, v138
	s_cbranch_execz .LBB109_103
; %bb.100:
	v_dual_mov_b32 v1, 0 :: v_dual_add_nc_u32 v8, 0x2e0, v13
	v_dual_mov_b32 v2, 0 :: v_dual_add_nc_u32 v7, -1, v138
	v_or_b32_e32 v9, 8, v14
	s_mov_b32 s3, 0
	s_delay_alu instid0(VALU_DEP_2)
	v_dual_mov_b32 v4, v2 :: v_dual_mov_b32 v3, v1
	.p2align	6
.LBB109_101:                            ; =>This Inner Loop Header: Depth=1
	scratch_load_b128 v[15:18], v9, off offset:-8
	ds_load_b128 v[19:22], v8
	v_add_nc_u32_e32 v7, 1, v7
	v_add_nc_u32_e32 v8, 16, v8
	;; [unrolled: 1-line block ×3, first 2 shown]
	s_delay_alu instid0(VALU_DEP_3) | instskip(SKIP_4) | instid1(VALU_DEP_2)
	v_cmp_lt_u32_e32 vcc_lo, 20, v7
	s_or_b32 s3, vcc_lo, s3
	s_waitcnt vmcnt(0) lgkmcnt(0)
	v_mul_f64 v[10:11], v[21:22], v[17:18]
	v_mul_f64 v[17:18], v[19:20], v[17:18]
	v_fma_f64 v[10:11], v[19:20], v[15:16], -v[10:11]
	s_delay_alu instid0(VALU_DEP_2) | instskip(NEXT) | instid1(VALU_DEP_2)
	v_fma_f64 v[15:16], v[21:22], v[15:16], v[17:18]
	v_add_f64 v[3:4], v[3:4], v[10:11]
	s_delay_alu instid0(VALU_DEP_2)
	v_add_f64 v[1:2], v[1:2], v[15:16]
	s_and_not1_b32 exec_lo, exec_lo, s3
	s_cbranch_execnz .LBB109_101
; %bb.102:
	s_or_b32 exec_lo, exec_lo, s3
	v_mov_b32_e32 v7, 0
	ds_load_b128 v[7:10], v7 offset:352
	s_waitcnt lgkmcnt(0)
	v_mul_f64 v[11:12], v[1:2], v[9:10]
	v_mul_f64 v[15:16], v[3:4], v[9:10]
	s_delay_alu instid0(VALU_DEP_2) | instskip(NEXT) | instid1(VALU_DEP_2)
	v_fma_f64 v[9:10], v[3:4], v[7:8], -v[11:12]
	v_fma_f64 v[11:12], v[1:2], v[7:8], v[15:16]
	scratch_store_b128 off, v[9:12], off offset:352
.LBB109_103:
	s_or_b32 exec_lo, exec_lo, s2
	s_waitcnt_vscnt null, 0x0
	s_barrier
	buffer_gl0_inv
	scratch_load_b128 v[1:4], v161, off
	s_mov_b32 s2, exec_lo
	s_waitcnt vmcnt(0)
	ds_store_b128 v5, v[1:4]
	s_waitcnt lgkmcnt(0)
	s_barrier
	buffer_gl0_inv
	v_cmpx_gt_u32_e32 23, v138
	s_cbranch_execz .LBB109_107
; %bb.104:
	v_dual_mov_b32 v1, 0 :: v_dual_add_nc_u32 v8, 0x2e0, v13
	v_dual_mov_b32 v2, 0 :: v_dual_add_nc_u32 v7, -1, v138
	v_or_b32_e32 v9, 8, v14
	s_mov_b32 s3, 0
	s_delay_alu instid0(VALU_DEP_2)
	v_dual_mov_b32 v4, v2 :: v_dual_mov_b32 v3, v1
	.p2align	6
.LBB109_105:                            ; =>This Inner Loop Header: Depth=1
	scratch_load_b128 v[15:18], v9, off offset:-8
	ds_load_b128 v[19:22], v8
	v_add_nc_u32_e32 v7, 1, v7
	v_add_nc_u32_e32 v8, 16, v8
	;; [unrolled: 1-line block ×3, first 2 shown]
	s_delay_alu instid0(VALU_DEP_3) | instskip(SKIP_4) | instid1(VALU_DEP_2)
	v_cmp_lt_u32_e32 vcc_lo, 21, v7
	s_or_b32 s3, vcc_lo, s3
	s_waitcnt vmcnt(0) lgkmcnt(0)
	v_mul_f64 v[10:11], v[21:22], v[17:18]
	v_mul_f64 v[17:18], v[19:20], v[17:18]
	v_fma_f64 v[10:11], v[19:20], v[15:16], -v[10:11]
	s_delay_alu instid0(VALU_DEP_2) | instskip(NEXT) | instid1(VALU_DEP_2)
	v_fma_f64 v[15:16], v[21:22], v[15:16], v[17:18]
	v_add_f64 v[3:4], v[3:4], v[10:11]
	s_delay_alu instid0(VALU_DEP_2)
	v_add_f64 v[1:2], v[1:2], v[15:16]
	s_and_not1_b32 exec_lo, exec_lo, s3
	s_cbranch_execnz .LBB109_105
; %bb.106:
	s_or_b32 exec_lo, exec_lo, s3
	v_mov_b32_e32 v7, 0
	ds_load_b128 v[7:10], v7 offset:368
	s_waitcnt lgkmcnt(0)
	v_mul_f64 v[11:12], v[1:2], v[9:10]
	v_mul_f64 v[15:16], v[3:4], v[9:10]
	s_delay_alu instid0(VALU_DEP_2) | instskip(NEXT) | instid1(VALU_DEP_2)
	v_fma_f64 v[9:10], v[3:4], v[7:8], -v[11:12]
	v_fma_f64 v[11:12], v[1:2], v[7:8], v[15:16]
	scratch_store_b128 off, v[9:12], off offset:368
.LBB109_107:
	s_or_b32 exec_lo, exec_lo, s2
	s_waitcnt_vscnt null, 0x0
	s_barrier
	buffer_gl0_inv
	scratch_load_b128 v[1:4], v160, off
	s_mov_b32 s2, exec_lo
	s_waitcnt vmcnt(0)
	ds_store_b128 v5, v[1:4]
	s_waitcnt lgkmcnt(0)
	s_barrier
	buffer_gl0_inv
	v_cmpx_gt_u32_e32 24, v138
	s_cbranch_execz .LBB109_111
; %bb.108:
	v_dual_mov_b32 v1, 0 :: v_dual_add_nc_u32 v8, 0x2e0, v13
	v_dual_mov_b32 v2, 0 :: v_dual_add_nc_u32 v7, -1, v138
	v_or_b32_e32 v9, 8, v14
	s_mov_b32 s3, 0
	s_delay_alu instid0(VALU_DEP_2)
	v_dual_mov_b32 v4, v2 :: v_dual_mov_b32 v3, v1
	.p2align	6
.LBB109_109:                            ; =>This Inner Loop Header: Depth=1
	scratch_load_b128 v[15:18], v9, off offset:-8
	ds_load_b128 v[19:22], v8
	v_add_nc_u32_e32 v7, 1, v7
	v_add_nc_u32_e32 v8, 16, v8
	;; [unrolled: 1-line block ×3, first 2 shown]
	s_delay_alu instid0(VALU_DEP_3) | instskip(SKIP_4) | instid1(VALU_DEP_2)
	v_cmp_lt_u32_e32 vcc_lo, 22, v7
	s_or_b32 s3, vcc_lo, s3
	s_waitcnt vmcnt(0) lgkmcnt(0)
	v_mul_f64 v[10:11], v[21:22], v[17:18]
	v_mul_f64 v[17:18], v[19:20], v[17:18]
	v_fma_f64 v[10:11], v[19:20], v[15:16], -v[10:11]
	s_delay_alu instid0(VALU_DEP_2) | instskip(NEXT) | instid1(VALU_DEP_2)
	v_fma_f64 v[15:16], v[21:22], v[15:16], v[17:18]
	v_add_f64 v[3:4], v[3:4], v[10:11]
	s_delay_alu instid0(VALU_DEP_2)
	v_add_f64 v[1:2], v[1:2], v[15:16]
	s_and_not1_b32 exec_lo, exec_lo, s3
	s_cbranch_execnz .LBB109_109
; %bb.110:
	s_or_b32 exec_lo, exec_lo, s3
	v_mov_b32_e32 v7, 0
	ds_load_b128 v[7:10], v7 offset:384
	s_waitcnt lgkmcnt(0)
	v_mul_f64 v[11:12], v[1:2], v[9:10]
	v_mul_f64 v[15:16], v[3:4], v[9:10]
	s_delay_alu instid0(VALU_DEP_2) | instskip(NEXT) | instid1(VALU_DEP_2)
	v_fma_f64 v[9:10], v[3:4], v[7:8], -v[11:12]
	v_fma_f64 v[11:12], v[1:2], v[7:8], v[15:16]
	scratch_store_b128 off, v[9:12], off offset:384
.LBB109_111:
	s_or_b32 exec_lo, exec_lo, s2
	s_waitcnt_vscnt null, 0x0
	s_barrier
	buffer_gl0_inv
	scratch_load_b128 v[1:4], v159, off
	s_mov_b32 s2, exec_lo
	s_waitcnt vmcnt(0)
	ds_store_b128 v5, v[1:4]
	s_waitcnt lgkmcnt(0)
	s_barrier
	buffer_gl0_inv
	v_cmpx_gt_u32_e32 25, v138
	s_cbranch_execz .LBB109_115
; %bb.112:
	v_dual_mov_b32 v1, 0 :: v_dual_add_nc_u32 v8, 0x2e0, v13
	v_dual_mov_b32 v2, 0 :: v_dual_add_nc_u32 v7, -1, v138
	v_or_b32_e32 v9, 8, v14
	s_mov_b32 s3, 0
	s_delay_alu instid0(VALU_DEP_2)
	v_dual_mov_b32 v4, v2 :: v_dual_mov_b32 v3, v1
	.p2align	6
.LBB109_113:                            ; =>This Inner Loop Header: Depth=1
	scratch_load_b128 v[15:18], v9, off offset:-8
	ds_load_b128 v[19:22], v8
	v_add_nc_u32_e32 v7, 1, v7
	v_add_nc_u32_e32 v8, 16, v8
	;; [unrolled: 1-line block ×3, first 2 shown]
	s_delay_alu instid0(VALU_DEP_3) | instskip(SKIP_4) | instid1(VALU_DEP_2)
	v_cmp_lt_u32_e32 vcc_lo, 23, v7
	s_or_b32 s3, vcc_lo, s3
	s_waitcnt vmcnt(0) lgkmcnt(0)
	v_mul_f64 v[10:11], v[21:22], v[17:18]
	v_mul_f64 v[17:18], v[19:20], v[17:18]
	v_fma_f64 v[10:11], v[19:20], v[15:16], -v[10:11]
	s_delay_alu instid0(VALU_DEP_2) | instskip(NEXT) | instid1(VALU_DEP_2)
	v_fma_f64 v[15:16], v[21:22], v[15:16], v[17:18]
	v_add_f64 v[3:4], v[3:4], v[10:11]
	s_delay_alu instid0(VALU_DEP_2)
	v_add_f64 v[1:2], v[1:2], v[15:16]
	s_and_not1_b32 exec_lo, exec_lo, s3
	s_cbranch_execnz .LBB109_113
; %bb.114:
	s_or_b32 exec_lo, exec_lo, s3
	v_mov_b32_e32 v7, 0
	ds_load_b128 v[7:10], v7 offset:400
	s_waitcnt lgkmcnt(0)
	v_mul_f64 v[11:12], v[1:2], v[9:10]
	v_mul_f64 v[15:16], v[3:4], v[9:10]
	s_delay_alu instid0(VALU_DEP_2) | instskip(NEXT) | instid1(VALU_DEP_2)
	v_fma_f64 v[9:10], v[3:4], v[7:8], -v[11:12]
	v_fma_f64 v[11:12], v[1:2], v[7:8], v[15:16]
	scratch_store_b128 off, v[9:12], off offset:400
.LBB109_115:
	s_or_b32 exec_lo, exec_lo, s2
	s_waitcnt_vscnt null, 0x0
	s_barrier
	buffer_gl0_inv
	scratch_load_b128 v[1:4], v157, off
	s_mov_b32 s2, exec_lo
	s_waitcnt vmcnt(0)
	ds_store_b128 v5, v[1:4]
	s_waitcnt lgkmcnt(0)
	s_barrier
	buffer_gl0_inv
	v_cmpx_gt_u32_e32 26, v138
	s_cbranch_execz .LBB109_119
; %bb.116:
	v_dual_mov_b32 v1, 0 :: v_dual_add_nc_u32 v8, 0x2e0, v13
	v_dual_mov_b32 v2, 0 :: v_dual_add_nc_u32 v7, -1, v138
	v_or_b32_e32 v9, 8, v14
	s_mov_b32 s3, 0
	s_delay_alu instid0(VALU_DEP_2)
	v_dual_mov_b32 v4, v2 :: v_dual_mov_b32 v3, v1
	.p2align	6
.LBB109_117:                            ; =>This Inner Loop Header: Depth=1
	scratch_load_b128 v[15:18], v9, off offset:-8
	ds_load_b128 v[19:22], v8
	v_add_nc_u32_e32 v7, 1, v7
	v_add_nc_u32_e32 v8, 16, v8
	;; [unrolled: 1-line block ×3, first 2 shown]
	s_delay_alu instid0(VALU_DEP_3) | instskip(SKIP_4) | instid1(VALU_DEP_2)
	v_cmp_lt_u32_e32 vcc_lo, 24, v7
	s_or_b32 s3, vcc_lo, s3
	s_waitcnt vmcnt(0) lgkmcnt(0)
	v_mul_f64 v[10:11], v[21:22], v[17:18]
	v_mul_f64 v[17:18], v[19:20], v[17:18]
	v_fma_f64 v[10:11], v[19:20], v[15:16], -v[10:11]
	s_delay_alu instid0(VALU_DEP_2) | instskip(NEXT) | instid1(VALU_DEP_2)
	v_fma_f64 v[15:16], v[21:22], v[15:16], v[17:18]
	v_add_f64 v[3:4], v[3:4], v[10:11]
	s_delay_alu instid0(VALU_DEP_2)
	v_add_f64 v[1:2], v[1:2], v[15:16]
	s_and_not1_b32 exec_lo, exec_lo, s3
	s_cbranch_execnz .LBB109_117
; %bb.118:
	s_or_b32 exec_lo, exec_lo, s3
	v_mov_b32_e32 v7, 0
	ds_load_b128 v[7:10], v7 offset:416
	s_waitcnt lgkmcnt(0)
	v_mul_f64 v[11:12], v[1:2], v[9:10]
	v_mul_f64 v[15:16], v[3:4], v[9:10]
	s_delay_alu instid0(VALU_DEP_2) | instskip(NEXT) | instid1(VALU_DEP_2)
	v_fma_f64 v[9:10], v[3:4], v[7:8], -v[11:12]
	v_fma_f64 v[11:12], v[1:2], v[7:8], v[15:16]
	scratch_store_b128 off, v[9:12], off offset:416
.LBB109_119:
	s_or_b32 exec_lo, exec_lo, s2
	s_waitcnt_vscnt null, 0x0
	s_barrier
	buffer_gl0_inv
	scratch_load_b128 v[1:4], v156, off
	s_mov_b32 s2, exec_lo
	s_waitcnt vmcnt(0)
	ds_store_b128 v5, v[1:4]
	s_waitcnt lgkmcnt(0)
	s_barrier
	buffer_gl0_inv
	v_cmpx_gt_u32_e32 27, v138
	s_cbranch_execz .LBB109_123
; %bb.120:
	v_dual_mov_b32 v1, 0 :: v_dual_add_nc_u32 v8, 0x2e0, v13
	v_dual_mov_b32 v2, 0 :: v_dual_add_nc_u32 v7, -1, v138
	v_or_b32_e32 v9, 8, v14
	s_mov_b32 s3, 0
	s_delay_alu instid0(VALU_DEP_2)
	v_dual_mov_b32 v4, v2 :: v_dual_mov_b32 v3, v1
	.p2align	6
.LBB109_121:                            ; =>This Inner Loop Header: Depth=1
	scratch_load_b128 v[15:18], v9, off offset:-8
	ds_load_b128 v[19:22], v8
	v_add_nc_u32_e32 v7, 1, v7
	v_add_nc_u32_e32 v8, 16, v8
	;; [unrolled: 1-line block ×3, first 2 shown]
	s_delay_alu instid0(VALU_DEP_3) | instskip(SKIP_4) | instid1(VALU_DEP_2)
	v_cmp_lt_u32_e32 vcc_lo, 25, v7
	s_or_b32 s3, vcc_lo, s3
	s_waitcnt vmcnt(0) lgkmcnt(0)
	v_mul_f64 v[10:11], v[21:22], v[17:18]
	v_mul_f64 v[17:18], v[19:20], v[17:18]
	v_fma_f64 v[10:11], v[19:20], v[15:16], -v[10:11]
	s_delay_alu instid0(VALU_DEP_2) | instskip(NEXT) | instid1(VALU_DEP_2)
	v_fma_f64 v[15:16], v[21:22], v[15:16], v[17:18]
	v_add_f64 v[3:4], v[3:4], v[10:11]
	s_delay_alu instid0(VALU_DEP_2)
	v_add_f64 v[1:2], v[1:2], v[15:16]
	s_and_not1_b32 exec_lo, exec_lo, s3
	s_cbranch_execnz .LBB109_121
; %bb.122:
	s_or_b32 exec_lo, exec_lo, s3
	v_mov_b32_e32 v7, 0
	ds_load_b128 v[7:10], v7 offset:432
	s_waitcnt lgkmcnt(0)
	v_mul_f64 v[11:12], v[1:2], v[9:10]
	v_mul_f64 v[15:16], v[3:4], v[9:10]
	s_delay_alu instid0(VALU_DEP_2) | instskip(NEXT) | instid1(VALU_DEP_2)
	v_fma_f64 v[9:10], v[3:4], v[7:8], -v[11:12]
	v_fma_f64 v[11:12], v[1:2], v[7:8], v[15:16]
	scratch_store_b128 off, v[9:12], off offset:432
.LBB109_123:
	s_or_b32 exec_lo, exec_lo, s2
	s_waitcnt_vscnt null, 0x0
	s_barrier
	buffer_gl0_inv
	scratch_load_b128 v[1:4], v153, off
	s_mov_b32 s2, exec_lo
	s_waitcnt vmcnt(0)
	ds_store_b128 v5, v[1:4]
	s_waitcnt lgkmcnt(0)
	s_barrier
	buffer_gl0_inv
	v_cmpx_gt_u32_e32 28, v138
	s_cbranch_execz .LBB109_127
; %bb.124:
	v_dual_mov_b32 v1, 0 :: v_dual_add_nc_u32 v8, 0x2e0, v13
	v_dual_mov_b32 v2, 0 :: v_dual_add_nc_u32 v7, -1, v138
	v_or_b32_e32 v9, 8, v14
	s_mov_b32 s3, 0
	s_delay_alu instid0(VALU_DEP_2)
	v_dual_mov_b32 v4, v2 :: v_dual_mov_b32 v3, v1
	.p2align	6
.LBB109_125:                            ; =>This Inner Loop Header: Depth=1
	scratch_load_b128 v[15:18], v9, off offset:-8
	ds_load_b128 v[19:22], v8
	v_add_nc_u32_e32 v7, 1, v7
	v_add_nc_u32_e32 v8, 16, v8
	;; [unrolled: 1-line block ×3, first 2 shown]
	s_delay_alu instid0(VALU_DEP_3) | instskip(SKIP_4) | instid1(VALU_DEP_2)
	v_cmp_lt_u32_e32 vcc_lo, 26, v7
	s_or_b32 s3, vcc_lo, s3
	s_waitcnt vmcnt(0) lgkmcnt(0)
	v_mul_f64 v[10:11], v[21:22], v[17:18]
	v_mul_f64 v[17:18], v[19:20], v[17:18]
	v_fma_f64 v[10:11], v[19:20], v[15:16], -v[10:11]
	s_delay_alu instid0(VALU_DEP_2) | instskip(NEXT) | instid1(VALU_DEP_2)
	v_fma_f64 v[15:16], v[21:22], v[15:16], v[17:18]
	v_add_f64 v[3:4], v[3:4], v[10:11]
	s_delay_alu instid0(VALU_DEP_2)
	v_add_f64 v[1:2], v[1:2], v[15:16]
	s_and_not1_b32 exec_lo, exec_lo, s3
	s_cbranch_execnz .LBB109_125
; %bb.126:
	s_or_b32 exec_lo, exec_lo, s3
	v_mov_b32_e32 v7, 0
	ds_load_b128 v[7:10], v7 offset:448
	s_waitcnt lgkmcnt(0)
	v_mul_f64 v[11:12], v[1:2], v[9:10]
	v_mul_f64 v[15:16], v[3:4], v[9:10]
	s_delay_alu instid0(VALU_DEP_2) | instskip(NEXT) | instid1(VALU_DEP_2)
	v_fma_f64 v[9:10], v[3:4], v[7:8], -v[11:12]
	v_fma_f64 v[11:12], v[1:2], v[7:8], v[15:16]
	scratch_store_b128 off, v[9:12], off offset:448
.LBB109_127:
	s_or_b32 exec_lo, exec_lo, s2
	s_waitcnt_vscnt null, 0x0
	s_barrier
	buffer_gl0_inv
	scratch_load_b128 v[1:4], v152, off
	s_mov_b32 s2, exec_lo
	s_waitcnt vmcnt(0)
	ds_store_b128 v5, v[1:4]
	s_waitcnt lgkmcnt(0)
	s_barrier
	buffer_gl0_inv
	v_cmpx_gt_u32_e32 29, v138
	s_cbranch_execz .LBB109_131
; %bb.128:
	v_dual_mov_b32 v1, 0 :: v_dual_add_nc_u32 v8, 0x2e0, v13
	v_dual_mov_b32 v2, 0 :: v_dual_add_nc_u32 v7, -1, v138
	v_or_b32_e32 v9, 8, v14
	s_mov_b32 s3, 0
	s_delay_alu instid0(VALU_DEP_2)
	v_dual_mov_b32 v4, v2 :: v_dual_mov_b32 v3, v1
	.p2align	6
.LBB109_129:                            ; =>This Inner Loop Header: Depth=1
	scratch_load_b128 v[15:18], v9, off offset:-8
	ds_load_b128 v[19:22], v8
	v_add_nc_u32_e32 v7, 1, v7
	v_add_nc_u32_e32 v8, 16, v8
	;; [unrolled: 1-line block ×3, first 2 shown]
	s_delay_alu instid0(VALU_DEP_3) | instskip(SKIP_4) | instid1(VALU_DEP_2)
	v_cmp_lt_u32_e32 vcc_lo, 27, v7
	s_or_b32 s3, vcc_lo, s3
	s_waitcnt vmcnt(0) lgkmcnt(0)
	v_mul_f64 v[10:11], v[21:22], v[17:18]
	v_mul_f64 v[17:18], v[19:20], v[17:18]
	v_fma_f64 v[10:11], v[19:20], v[15:16], -v[10:11]
	s_delay_alu instid0(VALU_DEP_2) | instskip(NEXT) | instid1(VALU_DEP_2)
	v_fma_f64 v[15:16], v[21:22], v[15:16], v[17:18]
	v_add_f64 v[3:4], v[3:4], v[10:11]
	s_delay_alu instid0(VALU_DEP_2)
	v_add_f64 v[1:2], v[1:2], v[15:16]
	s_and_not1_b32 exec_lo, exec_lo, s3
	s_cbranch_execnz .LBB109_129
; %bb.130:
	s_or_b32 exec_lo, exec_lo, s3
	v_mov_b32_e32 v7, 0
	ds_load_b128 v[7:10], v7 offset:464
	s_waitcnt lgkmcnt(0)
	v_mul_f64 v[11:12], v[1:2], v[9:10]
	v_mul_f64 v[15:16], v[3:4], v[9:10]
	s_delay_alu instid0(VALU_DEP_2) | instskip(NEXT) | instid1(VALU_DEP_2)
	v_fma_f64 v[9:10], v[3:4], v[7:8], -v[11:12]
	v_fma_f64 v[11:12], v[1:2], v[7:8], v[15:16]
	scratch_store_b128 off, v[9:12], off offset:464
.LBB109_131:
	s_or_b32 exec_lo, exec_lo, s2
	s_waitcnt_vscnt null, 0x0
	s_barrier
	buffer_gl0_inv
	scratch_load_b128 v[1:4], v149, off
	s_mov_b32 s2, exec_lo
	s_waitcnt vmcnt(0)
	ds_store_b128 v5, v[1:4]
	s_waitcnt lgkmcnt(0)
	s_barrier
	buffer_gl0_inv
	v_cmpx_gt_u32_e32 30, v138
	s_cbranch_execz .LBB109_135
; %bb.132:
	v_dual_mov_b32 v1, 0 :: v_dual_add_nc_u32 v8, 0x2e0, v13
	v_dual_mov_b32 v2, 0 :: v_dual_add_nc_u32 v7, -1, v138
	v_or_b32_e32 v9, 8, v14
	s_mov_b32 s3, 0
	s_delay_alu instid0(VALU_DEP_2)
	v_dual_mov_b32 v4, v2 :: v_dual_mov_b32 v3, v1
	.p2align	6
.LBB109_133:                            ; =>This Inner Loop Header: Depth=1
	scratch_load_b128 v[15:18], v9, off offset:-8
	ds_load_b128 v[19:22], v8
	v_add_nc_u32_e32 v7, 1, v7
	v_add_nc_u32_e32 v8, 16, v8
	;; [unrolled: 1-line block ×3, first 2 shown]
	s_delay_alu instid0(VALU_DEP_3) | instskip(SKIP_4) | instid1(VALU_DEP_2)
	v_cmp_lt_u32_e32 vcc_lo, 28, v7
	s_or_b32 s3, vcc_lo, s3
	s_waitcnt vmcnt(0) lgkmcnt(0)
	v_mul_f64 v[10:11], v[21:22], v[17:18]
	v_mul_f64 v[17:18], v[19:20], v[17:18]
	v_fma_f64 v[10:11], v[19:20], v[15:16], -v[10:11]
	s_delay_alu instid0(VALU_DEP_2) | instskip(NEXT) | instid1(VALU_DEP_2)
	v_fma_f64 v[15:16], v[21:22], v[15:16], v[17:18]
	v_add_f64 v[3:4], v[3:4], v[10:11]
	s_delay_alu instid0(VALU_DEP_2)
	v_add_f64 v[1:2], v[1:2], v[15:16]
	s_and_not1_b32 exec_lo, exec_lo, s3
	s_cbranch_execnz .LBB109_133
; %bb.134:
	s_or_b32 exec_lo, exec_lo, s3
	v_mov_b32_e32 v7, 0
	ds_load_b128 v[7:10], v7 offset:480
	s_waitcnt lgkmcnt(0)
	v_mul_f64 v[11:12], v[1:2], v[9:10]
	v_mul_f64 v[15:16], v[3:4], v[9:10]
	s_delay_alu instid0(VALU_DEP_2) | instskip(NEXT) | instid1(VALU_DEP_2)
	v_fma_f64 v[9:10], v[3:4], v[7:8], -v[11:12]
	v_fma_f64 v[11:12], v[1:2], v[7:8], v[15:16]
	scratch_store_b128 off, v[9:12], off offset:480
.LBB109_135:
	s_or_b32 exec_lo, exec_lo, s2
	s_waitcnt_vscnt null, 0x0
	s_barrier
	buffer_gl0_inv
	scratch_load_b128 v[1:4], v148, off
	s_mov_b32 s2, exec_lo
	s_waitcnt vmcnt(0)
	ds_store_b128 v5, v[1:4]
	s_waitcnt lgkmcnt(0)
	s_barrier
	buffer_gl0_inv
	v_cmpx_gt_u32_e32 31, v138
	s_cbranch_execz .LBB109_139
; %bb.136:
	v_dual_mov_b32 v1, 0 :: v_dual_add_nc_u32 v8, 0x2e0, v13
	v_dual_mov_b32 v2, 0 :: v_dual_add_nc_u32 v7, -1, v138
	v_or_b32_e32 v9, 8, v14
	s_mov_b32 s3, 0
	s_delay_alu instid0(VALU_DEP_2)
	v_dual_mov_b32 v4, v2 :: v_dual_mov_b32 v3, v1
	.p2align	6
.LBB109_137:                            ; =>This Inner Loop Header: Depth=1
	scratch_load_b128 v[15:18], v9, off offset:-8
	ds_load_b128 v[19:22], v8
	v_add_nc_u32_e32 v7, 1, v7
	v_add_nc_u32_e32 v8, 16, v8
	;; [unrolled: 1-line block ×3, first 2 shown]
	s_delay_alu instid0(VALU_DEP_3) | instskip(SKIP_4) | instid1(VALU_DEP_2)
	v_cmp_lt_u32_e32 vcc_lo, 29, v7
	s_or_b32 s3, vcc_lo, s3
	s_waitcnt vmcnt(0) lgkmcnt(0)
	v_mul_f64 v[10:11], v[21:22], v[17:18]
	v_mul_f64 v[17:18], v[19:20], v[17:18]
	v_fma_f64 v[10:11], v[19:20], v[15:16], -v[10:11]
	s_delay_alu instid0(VALU_DEP_2) | instskip(NEXT) | instid1(VALU_DEP_2)
	v_fma_f64 v[15:16], v[21:22], v[15:16], v[17:18]
	v_add_f64 v[3:4], v[3:4], v[10:11]
	s_delay_alu instid0(VALU_DEP_2)
	v_add_f64 v[1:2], v[1:2], v[15:16]
	s_and_not1_b32 exec_lo, exec_lo, s3
	s_cbranch_execnz .LBB109_137
; %bb.138:
	s_or_b32 exec_lo, exec_lo, s3
	v_mov_b32_e32 v7, 0
	ds_load_b128 v[7:10], v7 offset:496
	s_waitcnt lgkmcnt(0)
	v_mul_f64 v[11:12], v[1:2], v[9:10]
	v_mul_f64 v[15:16], v[3:4], v[9:10]
	s_delay_alu instid0(VALU_DEP_2) | instskip(NEXT) | instid1(VALU_DEP_2)
	v_fma_f64 v[9:10], v[3:4], v[7:8], -v[11:12]
	v_fma_f64 v[11:12], v[1:2], v[7:8], v[15:16]
	scratch_store_b128 off, v[9:12], off offset:496
.LBB109_139:
	s_or_b32 exec_lo, exec_lo, s2
	s_waitcnt_vscnt null, 0x0
	s_barrier
	buffer_gl0_inv
	scratch_load_b128 v[1:4], v146, off
	s_mov_b32 s2, exec_lo
	s_waitcnt vmcnt(0)
	ds_store_b128 v5, v[1:4]
	s_waitcnt lgkmcnt(0)
	s_barrier
	buffer_gl0_inv
	v_cmpx_gt_u32_e32 32, v138
	s_cbranch_execz .LBB109_143
; %bb.140:
	v_dual_mov_b32 v1, 0 :: v_dual_add_nc_u32 v8, 0x2e0, v13
	v_dual_mov_b32 v2, 0 :: v_dual_add_nc_u32 v7, -1, v138
	v_or_b32_e32 v9, 8, v14
	s_mov_b32 s3, 0
	s_delay_alu instid0(VALU_DEP_2)
	v_dual_mov_b32 v4, v2 :: v_dual_mov_b32 v3, v1
	.p2align	6
.LBB109_141:                            ; =>This Inner Loop Header: Depth=1
	scratch_load_b128 v[15:18], v9, off offset:-8
	ds_load_b128 v[19:22], v8
	v_add_nc_u32_e32 v7, 1, v7
	v_add_nc_u32_e32 v8, 16, v8
	;; [unrolled: 1-line block ×3, first 2 shown]
	s_delay_alu instid0(VALU_DEP_3) | instskip(SKIP_4) | instid1(VALU_DEP_2)
	v_cmp_lt_u32_e32 vcc_lo, 30, v7
	s_or_b32 s3, vcc_lo, s3
	s_waitcnt vmcnt(0) lgkmcnt(0)
	v_mul_f64 v[10:11], v[21:22], v[17:18]
	v_mul_f64 v[17:18], v[19:20], v[17:18]
	v_fma_f64 v[10:11], v[19:20], v[15:16], -v[10:11]
	s_delay_alu instid0(VALU_DEP_2) | instskip(NEXT) | instid1(VALU_DEP_2)
	v_fma_f64 v[15:16], v[21:22], v[15:16], v[17:18]
	v_add_f64 v[3:4], v[3:4], v[10:11]
	s_delay_alu instid0(VALU_DEP_2)
	v_add_f64 v[1:2], v[1:2], v[15:16]
	s_and_not1_b32 exec_lo, exec_lo, s3
	s_cbranch_execnz .LBB109_141
; %bb.142:
	s_or_b32 exec_lo, exec_lo, s3
	v_mov_b32_e32 v7, 0
	ds_load_b128 v[7:10], v7 offset:512
	s_waitcnt lgkmcnt(0)
	v_mul_f64 v[11:12], v[1:2], v[9:10]
	v_mul_f64 v[15:16], v[3:4], v[9:10]
	s_delay_alu instid0(VALU_DEP_2) | instskip(NEXT) | instid1(VALU_DEP_2)
	v_fma_f64 v[9:10], v[3:4], v[7:8], -v[11:12]
	v_fma_f64 v[11:12], v[1:2], v[7:8], v[15:16]
	scratch_store_b128 off, v[9:12], off offset:512
.LBB109_143:
	s_or_b32 exec_lo, exec_lo, s2
	s_waitcnt_vscnt null, 0x0
	s_barrier
	buffer_gl0_inv
	scratch_load_b128 v[1:4], v144, off
	s_mov_b32 s2, exec_lo
	s_waitcnt vmcnt(0)
	ds_store_b128 v5, v[1:4]
	s_waitcnt lgkmcnt(0)
	s_barrier
	buffer_gl0_inv
	v_cmpx_gt_u32_e32 33, v138
	s_cbranch_execz .LBB109_147
; %bb.144:
	v_dual_mov_b32 v1, 0 :: v_dual_add_nc_u32 v8, 0x2e0, v13
	v_dual_mov_b32 v2, 0 :: v_dual_add_nc_u32 v7, -1, v138
	v_or_b32_e32 v9, 8, v14
	s_mov_b32 s3, 0
	s_delay_alu instid0(VALU_DEP_2)
	v_dual_mov_b32 v4, v2 :: v_dual_mov_b32 v3, v1
	.p2align	6
.LBB109_145:                            ; =>This Inner Loop Header: Depth=1
	scratch_load_b128 v[15:18], v9, off offset:-8
	ds_load_b128 v[19:22], v8
	v_add_nc_u32_e32 v7, 1, v7
	v_add_nc_u32_e32 v8, 16, v8
	v_add_nc_u32_e32 v9, 16, v9
	s_delay_alu instid0(VALU_DEP_3) | instskip(SKIP_4) | instid1(VALU_DEP_2)
	v_cmp_lt_u32_e32 vcc_lo, 31, v7
	s_or_b32 s3, vcc_lo, s3
	s_waitcnt vmcnt(0) lgkmcnt(0)
	v_mul_f64 v[10:11], v[21:22], v[17:18]
	v_mul_f64 v[17:18], v[19:20], v[17:18]
	v_fma_f64 v[10:11], v[19:20], v[15:16], -v[10:11]
	s_delay_alu instid0(VALU_DEP_2) | instskip(NEXT) | instid1(VALU_DEP_2)
	v_fma_f64 v[15:16], v[21:22], v[15:16], v[17:18]
	v_add_f64 v[3:4], v[3:4], v[10:11]
	s_delay_alu instid0(VALU_DEP_2)
	v_add_f64 v[1:2], v[1:2], v[15:16]
	s_and_not1_b32 exec_lo, exec_lo, s3
	s_cbranch_execnz .LBB109_145
; %bb.146:
	s_or_b32 exec_lo, exec_lo, s3
	v_mov_b32_e32 v7, 0
	ds_load_b128 v[7:10], v7 offset:528
	s_waitcnt lgkmcnt(0)
	v_mul_f64 v[11:12], v[1:2], v[9:10]
	v_mul_f64 v[15:16], v[3:4], v[9:10]
	s_delay_alu instid0(VALU_DEP_2) | instskip(NEXT) | instid1(VALU_DEP_2)
	v_fma_f64 v[9:10], v[3:4], v[7:8], -v[11:12]
	v_fma_f64 v[11:12], v[1:2], v[7:8], v[15:16]
	scratch_store_b128 off, v[9:12], off offset:528
.LBB109_147:
	s_or_b32 exec_lo, exec_lo, s2
	s_waitcnt_vscnt null, 0x0
	s_barrier
	buffer_gl0_inv
	scratch_load_b128 v[1:4], v143, off
	s_mov_b32 s2, exec_lo
	s_waitcnt vmcnt(0)
	ds_store_b128 v5, v[1:4]
	s_waitcnt lgkmcnt(0)
	s_barrier
	buffer_gl0_inv
	v_cmpx_gt_u32_e32 34, v138
	s_cbranch_execz .LBB109_151
; %bb.148:
	v_dual_mov_b32 v1, 0 :: v_dual_add_nc_u32 v8, 0x2e0, v13
	v_dual_mov_b32 v2, 0 :: v_dual_add_nc_u32 v7, -1, v138
	v_or_b32_e32 v9, 8, v14
	s_mov_b32 s3, 0
	s_delay_alu instid0(VALU_DEP_2)
	v_dual_mov_b32 v4, v2 :: v_dual_mov_b32 v3, v1
	.p2align	6
.LBB109_149:                            ; =>This Inner Loop Header: Depth=1
	scratch_load_b128 v[15:18], v9, off offset:-8
	ds_load_b128 v[19:22], v8
	v_add_nc_u32_e32 v7, 1, v7
	v_add_nc_u32_e32 v8, 16, v8
	;; [unrolled: 1-line block ×3, first 2 shown]
	s_delay_alu instid0(VALU_DEP_3) | instskip(SKIP_4) | instid1(VALU_DEP_2)
	v_cmp_lt_u32_e32 vcc_lo, 32, v7
	s_or_b32 s3, vcc_lo, s3
	s_waitcnt vmcnt(0) lgkmcnt(0)
	v_mul_f64 v[10:11], v[21:22], v[17:18]
	v_mul_f64 v[17:18], v[19:20], v[17:18]
	v_fma_f64 v[10:11], v[19:20], v[15:16], -v[10:11]
	s_delay_alu instid0(VALU_DEP_2) | instskip(NEXT) | instid1(VALU_DEP_2)
	v_fma_f64 v[15:16], v[21:22], v[15:16], v[17:18]
	v_add_f64 v[3:4], v[3:4], v[10:11]
	s_delay_alu instid0(VALU_DEP_2)
	v_add_f64 v[1:2], v[1:2], v[15:16]
	s_and_not1_b32 exec_lo, exec_lo, s3
	s_cbranch_execnz .LBB109_149
; %bb.150:
	s_or_b32 exec_lo, exec_lo, s3
	v_mov_b32_e32 v7, 0
	ds_load_b128 v[7:10], v7 offset:544
	s_waitcnt lgkmcnt(0)
	v_mul_f64 v[11:12], v[1:2], v[9:10]
	v_mul_f64 v[15:16], v[3:4], v[9:10]
	s_delay_alu instid0(VALU_DEP_2) | instskip(NEXT) | instid1(VALU_DEP_2)
	v_fma_f64 v[9:10], v[3:4], v[7:8], -v[11:12]
	v_fma_f64 v[11:12], v[1:2], v[7:8], v[15:16]
	scratch_store_b128 off, v[9:12], off offset:544
.LBB109_151:
	s_or_b32 exec_lo, exec_lo, s2
	s_waitcnt_vscnt null, 0x0
	s_barrier
	buffer_gl0_inv
	scratch_load_b128 v[1:4], v142, off
	s_mov_b32 s2, exec_lo
	s_waitcnt vmcnt(0)
	ds_store_b128 v5, v[1:4]
	s_waitcnt lgkmcnt(0)
	s_barrier
	buffer_gl0_inv
	v_cmpx_gt_u32_e32 35, v138
	s_cbranch_execz .LBB109_155
; %bb.152:
	v_dual_mov_b32 v1, 0 :: v_dual_add_nc_u32 v8, 0x2e0, v13
	v_dual_mov_b32 v2, 0 :: v_dual_add_nc_u32 v7, -1, v138
	v_or_b32_e32 v9, 8, v14
	s_mov_b32 s3, 0
	s_delay_alu instid0(VALU_DEP_2)
	v_dual_mov_b32 v4, v2 :: v_dual_mov_b32 v3, v1
	.p2align	6
.LBB109_153:                            ; =>This Inner Loop Header: Depth=1
	scratch_load_b128 v[15:18], v9, off offset:-8
	ds_load_b128 v[19:22], v8
	v_add_nc_u32_e32 v7, 1, v7
	v_add_nc_u32_e32 v8, 16, v8
	;; [unrolled: 1-line block ×3, first 2 shown]
	s_delay_alu instid0(VALU_DEP_3) | instskip(SKIP_4) | instid1(VALU_DEP_2)
	v_cmp_lt_u32_e32 vcc_lo, 33, v7
	s_or_b32 s3, vcc_lo, s3
	s_waitcnt vmcnt(0) lgkmcnt(0)
	v_mul_f64 v[10:11], v[21:22], v[17:18]
	v_mul_f64 v[17:18], v[19:20], v[17:18]
	v_fma_f64 v[10:11], v[19:20], v[15:16], -v[10:11]
	s_delay_alu instid0(VALU_DEP_2) | instskip(NEXT) | instid1(VALU_DEP_2)
	v_fma_f64 v[15:16], v[21:22], v[15:16], v[17:18]
	v_add_f64 v[3:4], v[3:4], v[10:11]
	s_delay_alu instid0(VALU_DEP_2)
	v_add_f64 v[1:2], v[1:2], v[15:16]
	s_and_not1_b32 exec_lo, exec_lo, s3
	s_cbranch_execnz .LBB109_153
; %bb.154:
	s_or_b32 exec_lo, exec_lo, s3
	v_mov_b32_e32 v7, 0
	ds_load_b128 v[7:10], v7 offset:560
	s_waitcnt lgkmcnt(0)
	v_mul_f64 v[11:12], v[1:2], v[9:10]
	v_mul_f64 v[15:16], v[3:4], v[9:10]
	s_delay_alu instid0(VALU_DEP_2) | instskip(NEXT) | instid1(VALU_DEP_2)
	v_fma_f64 v[9:10], v[3:4], v[7:8], -v[11:12]
	v_fma_f64 v[11:12], v[1:2], v[7:8], v[15:16]
	scratch_store_b128 off, v[9:12], off offset:560
.LBB109_155:
	s_or_b32 exec_lo, exec_lo, s2
	s_waitcnt_vscnt null, 0x0
	s_barrier
	buffer_gl0_inv
	scratch_load_b128 v[1:4], v141, off
	s_mov_b32 s2, exec_lo
	s_waitcnt vmcnt(0)
	ds_store_b128 v5, v[1:4]
	s_waitcnt lgkmcnt(0)
	s_barrier
	buffer_gl0_inv
	v_cmpx_gt_u32_e32 36, v138
	s_cbranch_execz .LBB109_159
; %bb.156:
	v_dual_mov_b32 v1, 0 :: v_dual_add_nc_u32 v8, 0x2e0, v13
	v_dual_mov_b32 v2, 0 :: v_dual_add_nc_u32 v7, -1, v138
	v_or_b32_e32 v9, 8, v14
	s_mov_b32 s3, 0
	s_delay_alu instid0(VALU_DEP_2)
	v_dual_mov_b32 v4, v2 :: v_dual_mov_b32 v3, v1
	.p2align	6
.LBB109_157:                            ; =>This Inner Loop Header: Depth=1
	scratch_load_b128 v[15:18], v9, off offset:-8
	ds_load_b128 v[19:22], v8
	v_add_nc_u32_e32 v7, 1, v7
	v_add_nc_u32_e32 v8, 16, v8
	;; [unrolled: 1-line block ×3, first 2 shown]
	s_delay_alu instid0(VALU_DEP_3) | instskip(SKIP_4) | instid1(VALU_DEP_2)
	v_cmp_lt_u32_e32 vcc_lo, 34, v7
	s_or_b32 s3, vcc_lo, s3
	s_waitcnt vmcnt(0) lgkmcnt(0)
	v_mul_f64 v[10:11], v[21:22], v[17:18]
	v_mul_f64 v[17:18], v[19:20], v[17:18]
	v_fma_f64 v[10:11], v[19:20], v[15:16], -v[10:11]
	s_delay_alu instid0(VALU_DEP_2) | instskip(NEXT) | instid1(VALU_DEP_2)
	v_fma_f64 v[15:16], v[21:22], v[15:16], v[17:18]
	v_add_f64 v[3:4], v[3:4], v[10:11]
	s_delay_alu instid0(VALU_DEP_2)
	v_add_f64 v[1:2], v[1:2], v[15:16]
	s_and_not1_b32 exec_lo, exec_lo, s3
	s_cbranch_execnz .LBB109_157
; %bb.158:
	s_or_b32 exec_lo, exec_lo, s3
	v_mov_b32_e32 v7, 0
	ds_load_b128 v[7:10], v7 offset:576
	s_waitcnt lgkmcnt(0)
	v_mul_f64 v[11:12], v[1:2], v[9:10]
	v_mul_f64 v[15:16], v[3:4], v[9:10]
	s_delay_alu instid0(VALU_DEP_2) | instskip(NEXT) | instid1(VALU_DEP_2)
	v_fma_f64 v[9:10], v[3:4], v[7:8], -v[11:12]
	v_fma_f64 v[11:12], v[1:2], v[7:8], v[15:16]
	scratch_store_b128 off, v[9:12], off offset:576
.LBB109_159:
	s_or_b32 exec_lo, exec_lo, s2
	s_waitcnt_vscnt null, 0x0
	s_barrier
	buffer_gl0_inv
	scratch_load_b128 v[1:4], v140, off
	s_mov_b32 s2, exec_lo
	s_waitcnt vmcnt(0)
	ds_store_b128 v5, v[1:4]
	s_waitcnt lgkmcnt(0)
	s_barrier
	buffer_gl0_inv
	v_cmpx_gt_u32_e32 37, v138
	s_cbranch_execz .LBB109_163
; %bb.160:
	v_dual_mov_b32 v1, 0 :: v_dual_add_nc_u32 v8, 0x2e0, v13
	v_dual_mov_b32 v2, 0 :: v_dual_add_nc_u32 v7, -1, v138
	v_or_b32_e32 v9, 8, v14
	s_mov_b32 s3, 0
	s_delay_alu instid0(VALU_DEP_2)
	v_dual_mov_b32 v4, v2 :: v_dual_mov_b32 v3, v1
	.p2align	6
.LBB109_161:                            ; =>This Inner Loop Header: Depth=1
	scratch_load_b128 v[15:18], v9, off offset:-8
	ds_load_b128 v[19:22], v8
	v_add_nc_u32_e32 v7, 1, v7
	v_add_nc_u32_e32 v8, 16, v8
	;; [unrolled: 1-line block ×3, first 2 shown]
	s_delay_alu instid0(VALU_DEP_3) | instskip(SKIP_4) | instid1(VALU_DEP_2)
	v_cmp_lt_u32_e32 vcc_lo, 35, v7
	s_or_b32 s3, vcc_lo, s3
	s_waitcnt vmcnt(0) lgkmcnt(0)
	v_mul_f64 v[10:11], v[21:22], v[17:18]
	v_mul_f64 v[17:18], v[19:20], v[17:18]
	v_fma_f64 v[10:11], v[19:20], v[15:16], -v[10:11]
	s_delay_alu instid0(VALU_DEP_2) | instskip(NEXT) | instid1(VALU_DEP_2)
	v_fma_f64 v[15:16], v[21:22], v[15:16], v[17:18]
	v_add_f64 v[3:4], v[3:4], v[10:11]
	s_delay_alu instid0(VALU_DEP_2)
	v_add_f64 v[1:2], v[1:2], v[15:16]
	s_and_not1_b32 exec_lo, exec_lo, s3
	s_cbranch_execnz .LBB109_161
; %bb.162:
	s_or_b32 exec_lo, exec_lo, s3
	v_mov_b32_e32 v7, 0
	ds_load_b128 v[7:10], v7 offset:592
	s_waitcnt lgkmcnt(0)
	v_mul_f64 v[11:12], v[1:2], v[9:10]
	v_mul_f64 v[15:16], v[3:4], v[9:10]
	s_delay_alu instid0(VALU_DEP_2) | instskip(NEXT) | instid1(VALU_DEP_2)
	v_fma_f64 v[9:10], v[3:4], v[7:8], -v[11:12]
	v_fma_f64 v[11:12], v[1:2], v[7:8], v[15:16]
	scratch_store_b128 off, v[9:12], off offset:592
.LBB109_163:
	s_or_b32 exec_lo, exec_lo, s2
	s_waitcnt_vscnt null, 0x0
	s_barrier
	buffer_gl0_inv
	scratch_load_b128 v[1:4], v139, off
	s_mov_b32 s2, exec_lo
	s_waitcnt vmcnt(0)
	ds_store_b128 v5, v[1:4]
	s_waitcnt lgkmcnt(0)
	s_barrier
	buffer_gl0_inv
	v_cmpx_gt_u32_e32 38, v138
	s_cbranch_execz .LBB109_167
; %bb.164:
	v_dual_mov_b32 v1, 0 :: v_dual_add_nc_u32 v8, 0x2e0, v13
	v_dual_mov_b32 v2, 0 :: v_dual_add_nc_u32 v7, -1, v138
	v_or_b32_e32 v9, 8, v14
	s_mov_b32 s3, 0
	s_delay_alu instid0(VALU_DEP_2)
	v_dual_mov_b32 v4, v2 :: v_dual_mov_b32 v3, v1
	.p2align	6
.LBB109_165:                            ; =>This Inner Loop Header: Depth=1
	scratch_load_b128 v[15:18], v9, off offset:-8
	ds_load_b128 v[19:22], v8
	v_add_nc_u32_e32 v7, 1, v7
	v_add_nc_u32_e32 v8, 16, v8
	;; [unrolled: 1-line block ×3, first 2 shown]
	s_delay_alu instid0(VALU_DEP_3) | instskip(SKIP_4) | instid1(VALU_DEP_2)
	v_cmp_lt_u32_e32 vcc_lo, 36, v7
	s_or_b32 s3, vcc_lo, s3
	s_waitcnt vmcnt(0) lgkmcnt(0)
	v_mul_f64 v[10:11], v[21:22], v[17:18]
	v_mul_f64 v[17:18], v[19:20], v[17:18]
	v_fma_f64 v[10:11], v[19:20], v[15:16], -v[10:11]
	s_delay_alu instid0(VALU_DEP_2) | instskip(NEXT) | instid1(VALU_DEP_2)
	v_fma_f64 v[15:16], v[21:22], v[15:16], v[17:18]
	v_add_f64 v[3:4], v[3:4], v[10:11]
	s_delay_alu instid0(VALU_DEP_2)
	v_add_f64 v[1:2], v[1:2], v[15:16]
	s_and_not1_b32 exec_lo, exec_lo, s3
	s_cbranch_execnz .LBB109_165
; %bb.166:
	s_or_b32 exec_lo, exec_lo, s3
	v_mov_b32_e32 v7, 0
	ds_load_b128 v[7:10], v7 offset:608
	s_waitcnt lgkmcnt(0)
	v_mul_f64 v[11:12], v[1:2], v[9:10]
	v_mul_f64 v[15:16], v[3:4], v[9:10]
	s_delay_alu instid0(VALU_DEP_2) | instskip(NEXT) | instid1(VALU_DEP_2)
	v_fma_f64 v[9:10], v[3:4], v[7:8], -v[11:12]
	v_fma_f64 v[11:12], v[1:2], v[7:8], v[15:16]
	scratch_store_b128 off, v[9:12], off offset:608
.LBB109_167:
	s_or_b32 exec_lo, exec_lo, s2
	s_waitcnt_vscnt null, 0x0
	s_barrier
	buffer_gl0_inv
	scratch_load_b128 v[1:4], v158, off
	s_mov_b32 s2, exec_lo
	s_waitcnt vmcnt(0)
	ds_store_b128 v5, v[1:4]
	s_waitcnt lgkmcnt(0)
	s_barrier
	buffer_gl0_inv
	v_cmpx_gt_u32_e32 39, v138
	s_cbranch_execz .LBB109_171
; %bb.168:
	v_dual_mov_b32 v1, 0 :: v_dual_add_nc_u32 v8, 0x2e0, v13
	v_dual_mov_b32 v2, 0 :: v_dual_add_nc_u32 v7, -1, v138
	v_or_b32_e32 v9, 8, v14
	s_mov_b32 s3, 0
	s_delay_alu instid0(VALU_DEP_2)
	v_dual_mov_b32 v4, v2 :: v_dual_mov_b32 v3, v1
	.p2align	6
.LBB109_169:                            ; =>This Inner Loop Header: Depth=1
	scratch_load_b128 v[15:18], v9, off offset:-8
	ds_load_b128 v[19:22], v8
	v_add_nc_u32_e32 v7, 1, v7
	v_add_nc_u32_e32 v8, 16, v8
	;; [unrolled: 1-line block ×3, first 2 shown]
	s_delay_alu instid0(VALU_DEP_3) | instskip(SKIP_4) | instid1(VALU_DEP_2)
	v_cmp_lt_u32_e32 vcc_lo, 37, v7
	s_or_b32 s3, vcc_lo, s3
	s_waitcnt vmcnt(0) lgkmcnt(0)
	v_mul_f64 v[10:11], v[21:22], v[17:18]
	v_mul_f64 v[17:18], v[19:20], v[17:18]
	v_fma_f64 v[10:11], v[19:20], v[15:16], -v[10:11]
	s_delay_alu instid0(VALU_DEP_2) | instskip(NEXT) | instid1(VALU_DEP_2)
	v_fma_f64 v[15:16], v[21:22], v[15:16], v[17:18]
	v_add_f64 v[3:4], v[3:4], v[10:11]
	s_delay_alu instid0(VALU_DEP_2)
	v_add_f64 v[1:2], v[1:2], v[15:16]
	s_and_not1_b32 exec_lo, exec_lo, s3
	s_cbranch_execnz .LBB109_169
; %bb.170:
	s_or_b32 exec_lo, exec_lo, s3
	v_mov_b32_e32 v7, 0
	ds_load_b128 v[7:10], v7 offset:624
	s_waitcnt lgkmcnt(0)
	v_mul_f64 v[11:12], v[1:2], v[9:10]
	v_mul_f64 v[15:16], v[3:4], v[9:10]
	s_delay_alu instid0(VALU_DEP_2) | instskip(NEXT) | instid1(VALU_DEP_2)
	v_fma_f64 v[9:10], v[3:4], v[7:8], -v[11:12]
	v_fma_f64 v[11:12], v[1:2], v[7:8], v[15:16]
	scratch_store_b128 off, v[9:12], off offset:624
.LBB109_171:
	s_or_b32 exec_lo, exec_lo, s2
	s_waitcnt_vscnt null, 0x0
	s_barrier
	buffer_gl0_inv
	scratch_load_b128 v[1:4], v155, off
	s_mov_b32 s2, exec_lo
	s_waitcnt vmcnt(0)
	ds_store_b128 v5, v[1:4]
	s_waitcnt lgkmcnt(0)
	s_barrier
	buffer_gl0_inv
	v_cmpx_gt_u32_e32 40, v138
	s_cbranch_execz .LBB109_175
; %bb.172:
	v_dual_mov_b32 v1, 0 :: v_dual_add_nc_u32 v8, 0x2e0, v13
	v_dual_mov_b32 v2, 0 :: v_dual_add_nc_u32 v7, -1, v138
	v_or_b32_e32 v9, 8, v14
	s_mov_b32 s3, 0
	s_delay_alu instid0(VALU_DEP_2)
	v_dual_mov_b32 v4, v2 :: v_dual_mov_b32 v3, v1
	.p2align	6
.LBB109_173:                            ; =>This Inner Loop Header: Depth=1
	scratch_load_b128 v[15:18], v9, off offset:-8
	ds_load_b128 v[19:22], v8
	v_add_nc_u32_e32 v7, 1, v7
	v_add_nc_u32_e32 v8, 16, v8
	;; [unrolled: 1-line block ×3, first 2 shown]
	s_delay_alu instid0(VALU_DEP_3) | instskip(SKIP_4) | instid1(VALU_DEP_2)
	v_cmp_lt_u32_e32 vcc_lo, 38, v7
	s_or_b32 s3, vcc_lo, s3
	s_waitcnt vmcnt(0) lgkmcnt(0)
	v_mul_f64 v[10:11], v[21:22], v[17:18]
	v_mul_f64 v[17:18], v[19:20], v[17:18]
	v_fma_f64 v[10:11], v[19:20], v[15:16], -v[10:11]
	s_delay_alu instid0(VALU_DEP_2) | instskip(NEXT) | instid1(VALU_DEP_2)
	v_fma_f64 v[15:16], v[21:22], v[15:16], v[17:18]
	v_add_f64 v[3:4], v[3:4], v[10:11]
	s_delay_alu instid0(VALU_DEP_2)
	v_add_f64 v[1:2], v[1:2], v[15:16]
	s_and_not1_b32 exec_lo, exec_lo, s3
	s_cbranch_execnz .LBB109_173
; %bb.174:
	s_or_b32 exec_lo, exec_lo, s3
	v_mov_b32_e32 v7, 0
	ds_load_b128 v[7:10], v7 offset:640
	s_waitcnt lgkmcnt(0)
	v_mul_f64 v[11:12], v[1:2], v[9:10]
	v_mul_f64 v[15:16], v[3:4], v[9:10]
	s_delay_alu instid0(VALU_DEP_2) | instskip(NEXT) | instid1(VALU_DEP_2)
	v_fma_f64 v[9:10], v[3:4], v[7:8], -v[11:12]
	v_fma_f64 v[11:12], v[1:2], v[7:8], v[15:16]
	scratch_store_b128 off, v[9:12], off offset:640
.LBB109_175:
	s_or_b32 exec_lo, exec_lo, s2
	s_waitcnt_vscnt null, 0x0
	s_barrier
	buffer_gl0_inv
	scratch_load_b128 v[1:4], v154, off
	s_mov_b32 s2, exec_lo
	s_waitcnt vmcnt(0)
	ds_store_b128 v5, v[1:4]
	s_waitcnt lgkmcnt(0)
	s_barrier
	buffer_gl0_inv
	v_cmpx_gt_u32_e32 41, v138
	s_cbranch_execz .LBB109_179
; %bb.176:
	v_dual_mov_b32 v1, 0 :: v_dual_add_nc_u32 v8, 0x2e0, v13
	v_dual_mov_b32 v2, 0 :: v_dual_add_nc_u32 v7, -1, v138
	v_or_b32_e32 v9, 8, v14
	s_mov_b32 s3, 0
	s_delay_alu instid0(VALU_DEP_2)
	v_dual_mov_b32 v4, v2 :: v_dual_mov_b32 v3, v1
	.p2align	6
.LBB109_177:                            ; =>This Inner Loop Header: Depth=1
	scratch_load_b128 v[15:18], v9, off offset:-8
	ds_load_b128 v[19:22], v8
	v_add_nc_u32_e32 v7, 1, v7
	v_add_nc_u32_e32 v8, 16, v8
	;; [unrolled: 1-line block ×3, first 2 shown]
	s_delay_alu instid0(VALU_DEP_3) | instskip(SKIP_4) | instid1(VALU_DEP_2)
	v_cmp_lt_u32_e32 vcc_lo, 39, v7
	s_or_b32 s3, vcc_lo, s3
	s_waitcnt vmcnt(0) lgkmcnt(0)
	v_mul_f64 v[10:11], v[21:22], v[17:18]
	v_mul_f64 v[17:18], v[19:20], v[17:18]
	v_fma_f64 v[10:11], v[19:20], v[15:16], -v[10:11]
	s_delay_alu instid0(VALU_DEP_2) | instskip(NEXT) | instid1(VALU_DEP_2)
	v_fma_f64 v[15:16], v[21:22], v[15:16], v[17:18]
	v_add_f64 v[3:4], v[3:4], v[10:11]
	s_delay_alu instid0(VALU_DEP_2)
	v_add_f64 v[1:2], v[1:2], v[15:16]
	s_and_not1_b32 exec_lo, exec_lo, s3
	s_cbranch_execnz .LBB109_177
; %bb.178:
	s_or_b32 exec_lo, exec_lo, s3
	v_mov_b32_e32 v7, 0
	ds_load_b128 v[7:10], v7 offset:656
	s_waitcnt lgkmcnt(0)
	v_mul_f64 v[11:12], v[1:2], v[9:10]
	v_mul_f64 v[15:16], v[3:4], v[9:10]
	s_delay_alu instid0(VALU_DEP_2) | instskip(NEXT) | instid1(VALU_DEP_2)
	v_fma_f64 v[9:10], v[3:4], v[7:8], -v[11:12]
	v_fma_f64 v[11:12], v[1:2], v[7:8], v[15:16]
	scratch_store_b128 off, v[9:12], off offset:656
.LBB109_179:
	s_or_b32 exec_lo, exec_lo, s2
	s_waitcnt_vscnt null, 0x0
	s_barrier
	buffer_gl0_inv
	scratch_load_b128 v[1:4], v151, off
	s_mov_b32 s2, exec_lo
	s_waitcnt vmcnt(0)
	ds_store_b128 v5, v[1:4]
	s_waitcnt lgkmcnt(0)
	s_barrier
	buffer_gl0_inv
	v_cmpx_gt_u32_e32 42, v138
	s_cbranch_execz .LBB109_183
; %bb.180:
	v_dual_mov_b32 v1, 0 :: v_dual_add_nc_u32 v8, 0x2e0, v13
	v_dual_mov_b32 v2, 0 :: v_dual_add_nc_u32 v7, -1, v138
	v_or_b32_e32 v9, 8, v14
	s_mov_b32 s3, 0
	s_delay_alu instid0(VALU_DEP_2)
	v_dual_mov_b32 v4, v2 :: v_dual_mov_b32 v3, v1
	.p2align	6
.LBB109_181:                            ; =>This Inner Loop Header: Depth=1
	scratch_load_b128 v[15:18], v9, off offset:-8
	ds_load_b128 v[19:22], v8
	v_add_nc_u32_e32 v7, 1, v7
	v_add_nc_u32_e32 v8, 16, v8
	;; [unrolled: 1-line block ×3, first 2 shown]
	s_delay_alu instid0(VALU_DEP_3) | instskip(SKIP_4) | instid1(VALU_DEP_2)
	v_cmp_lt_u32_e32 vcc_lo, 40, v7
	s_or_b32 s3, vcc_lo, s3
	s_waitcnt vmcnt(0) lgkmcnt(0)
	v_mul_f64 v[10:11], v[21:22], v[17:18]
	v_mul_f64 v[17:18], v[19:20], v[17:18]
	v_fma_f64 v[10:11], v[19:20], v[15:16], -v[10:11]
	s_delay_alu instid0(VALU_DEP_2) | instskip(NEXT) | instid1(VALU_DEP_2)
	v_fma_f64 v[15:16], v[21:22], v[15:16], v[17:18]
	v_add_f64 v[3:4], v[3:4], v[10:11]
	s_delay_alu instid0(VALU_DEP_2)
	v_add_f64 v[1:2], v[1:2], v[15:16]
	s_and_not1_b32 exec_lo, exec_lo, s3
	s_cbranch_execnz .LBB109_181
; %bb.182:
	s_or_b32 exec_lo, exec_lo, s3
	v_mov_b32_e32 v7, 0
	ds_load_b128 v[7:10], v7 offset:672
	s_waitcnt lgkmcnt(0)
	v_mul_f64 v[11:12], v[1:2], v[9:10]
	v_mul_f64 v[15:16], v[3:4], v[9:10]
	s_delay_alu instid0(VALU_DEP_2) | instskip(NEXT) | instid1(VALU_DEP_2)
	v_fma_f64 v[9:10], v[3:4], v[7:8], -v[11:12]
	v_fma_f64 v[11:12], v[1:2], v[7:8], v[15:16]
	scratch_store_b128 off, v[9:12], off offset:672
.LBB109_183:
	s_or_b32 exec_lo, exec_lo, s2
	s_waitcnt_vscnt null, 0x0
	s_barrier
	buffer_gl0_inv
	scratch_load_b128 v[1:4], v150, off
	s_mov_b32 s2, exec_lo
	s_waitcnt vmcnt(0)
	ds_store_b128 v5, v[1:4]
	s_waitcnt lgkmcnt(0)
	s_barrier
	buffer_gl0_inv
	v_cmpx_gt_u32_e32 43, v138
	s_cbranch_execz .LBB109_187
; %bb.184:
	v_dual_mov_b32 v1, 0 :: v_dual_add_nc_u32 v8, 0x2e0, v13
	v_dual_mov_b32 v2, 0 :: v_dual_add_nc_u32 v7, -1, v138
	v_or_b32_e32 v9, 8, v14
	s_mov_b32 s3, 0
	s_delay_alu instid0(VALU_DEP_2)
	v_dual_mov_b32 v4, v2 :: v_dual_mov_b32 v3, v1
	.p2align	6
.LBB109_185:                            ; =>This Inner Loop Header: Depth=1
	scratch_load_b128 v[15:18], v9, off offset:-8
	ds_load_b128 v[19:22], v8
	v_add_nc_u32_e32 v7, 1, v7
	v_add_nc_u32_e32 v8, 16, v8
	v_add_nc_u32_e32 v9, 16, v9
	s_delay_alu instid0(VALU_DEP_3) | instskip(SKIP_4) | instid1(VALU_DEP_2)
	v_cmp_lt_u32_e32 vcc_lo, 41, v7
	s_or_b32 s3, vcc_lo, s3
	s_waitcnt vmcnt(0) lgkmcnt(0)
	v_mul_f64 v[10:11], v[21:22], v[17:18]
	v_mul_f64 v[17:18], v[19:20], v[17:18]
	v_fma_f64 v[10:11], v[19:20], v[15:16], -v[10:11]
	s_delay_alu instid0(VALU_DEP_2) | instskip(NEXT) | instid1(VALU_DEP_2)
	v_fma_f64 v[15:16], v[21:22], v[15:16], v[17:18]
	v_add_f64 v[3:4], v[3:4], v[10:11]
	s_delay_alu instid0(VALU_DEP_2)
	v_add_f64 v[1:2], v[1:2], v[15:16]
	s_and_not1_b32 exec_lo, exec_lo, s3
	s_cbranch_execnz .LBB109_185
; %bb.186:
	s_or_b32 exec_lo, exec_lo, s3
	v_mov_b32_e32 v7, 0
	ds_load_b128 v[7:10], v7 offset:688
	s_waitcnt lgkmcnt(0)
	v_mul_f64 v[11:12], v[1:2], v[9:10]
	v_mul_f64 v[15:16], v[3:4], v[9:10]
	s_delay_alu instid0(VALU_DEP_2) | instskip(NEXT) | instid1(VALU_DEP_2)
	v_fma_f64 v[9:10], v[3:4], v[7:8], -v[11:12]
	v_fma_f64 v[11:12], v[1:2], v[7:8], v[15:16]
	scratch_store_b128 off, v[9:12], off offset:688
.LBB109_187:
	s_or_b32 exec_lo, exec_lo, s2
	s_waitcnt_vscnt null, 0x0
	s_barrier
	buffer_gl0_inv
	scratch_load_b128 v[1:4], v147, off
	s_mov_b32 s2, exec_lo
	s_waitcnt vmcnt(0)
	ds_store_b128 v5, v[1:4]
	s_waitcnt lgkmcnt(0)
	s_barrier
	buffer_gl0_inv
	v_cmpx_gt_u32_e32 44, v138
	s_cbranch_execz .LBB109_191
; %bb.188:
	v_dual_mov_b32 v1, 0 :: v_dual_add_nc_u32 v8, 0x2e0, v13
	v_dual_mov_b32 v2, 0 :: v_dual_add_nc_u32 v7, -1, v138
	v_or_b32_e32 v9, 8, v14
	s_mov_b32 s3, 0
	s_delay_alu instid0(VALU_DEP_2)
	v_dual_mov_b32 v4, v2 :: v_dual_mov_b32 v3, v1
	.p2align	6
.LBB109_189:                            ; =>This Inner Loop Header: Depth=1
	scratch_load_b128 v[10:13], v9, off offset:-8
	ds_load_b128 v[15:18], v8
	v_add_nc_u32_e32 v7, 1, v7
	v_add_nc_u32_e32 v8, 16, v8
	;; [unrolled: 1-line block ×3, first 2 shown]
	s_delay_alu instid0(VALU_DEP_3) | instskip(SKIP_4) | instid1(VALU_DEP_2)
	v_cmp_lt_u32_e32 vcc_lo, 42, v7
	s_or_b32 s3, vcc_lo, s3
	s_waitcnt vmcnt(0) lgkmcnt(0)
	v_mul_f64 v[19:20], v[17:18], v[12:13]
	v_mul_f64 v[12:13], v[15:16], v[12:13]
	v_fma_f64 v[15:16], v[15:16], v[10:11], -v[19:20]
	s_delay_alu instid0(VALU_DEP_2) | instskip(NEXT) | instid1(VALU_DEP_2)
	v_fma_f64 v[10:11], v[17:18], v[10:11], v[12:13]
	v_add_f64 v[3:4], v[3:4], v[15:16]
	s_delay_alu instid0(VALU_DEP_2)
	v_add_f64 v[1:2], v[1:2], v[10:11]
	s_and_not1_b32 exec_lo, exec_lo, s3
	s_cbranch_execnz .LBB109_189
; %bb.190:
	s_or_b32 exec_lo, exec_lo, s3
	v_mov_b32_e32 v7, 0
	ds_load_b128 v[7:10], v7 offset:704
	s_waitcnt lgkmcnt(0)
	v_mul_f64 v[11:12], v[1:2], v[9:10]
	v_mul_f64 v[15:16], v[3:4], v[9:10]
	s_delay_alu instid0(VALU_DEP_2) | instskip(NEXT) | instid1(VALU_DEP_2)
	v_fma_f64 v[9:10], v[3:4], v[7:8], -v[11:12]
	v_fma_f64 v[11:12], v[1:2], v[7:8], v[15:16]
	scratch_store_b128 off, v[9:12], off offset:704
.LBB109_191:
	s_or_b32 exec_lo, exec_lo, s2
	s_waitcnt_vscnt null, 0x0
	s_barrier
	buffer_gl0_inv
	scratch_load_b128 v[1:4], v145, off
	s_mov_b32 s2, exec_lo
	s_waitcnt vmcnt(0)
	ds_store_b128 v5, v[1:4]
	s_waitcnt lgkmcnt(0)
	s_barrier
	buffer_gl0_inv
	v_cmpx_ne_u32_e32 45, v138
	s_cbranch_execz .LBB109_195
; %bb.192:
	v_mov_b32_e32 v1, 0
	v_mov_b32_e32 v2, 0
	v_or_b32_e32 v7, 8, v14
	s_mov_b32 s3, 0
	s_delay_alu instid0(VALU_DEP_2)
	v_dual_mov_b32 v4, v2 :: v_dual_mov_b32 v3, v1
	.p2align	6
.LBB109_193:                            ; =>This Inner Loop Header: Depth=1
	scratch_load_b128 v[8:11], v7, off offset:-8
	ds_load_b128 v[12:15], v5
	v_add_nc_u32_e32 v6, 1, v6
	v_add_nc_u32_e32 v5, 16, v5
	;; [unrolled: 1-line block ×3, first 2 shown]
	s_delay_alu instid0(VALU_DEP_3) | instskip(SKIP_4) | instid1(VALU_DEP_2)
	v_cmp_lt_u32_e32 vcc_lo, 43, v6
	s_or_b32 s3, vcc_lo, s3
	s_waitcnt vmcnt(0) lgkmcnt(0)
	v_mul_f64 v[16:17], v[14:15], v[10:11]
	v_mul_f64 v[10:11], v[12:13], v[10:11]
	v_fma_f64 v[12:13], v[12:13], v[8:9], -v[16:17]
	s_delay_alu instid0(VALU_DEP_2) | instskip(NEXT) | instid1(VALU_DEP_2)
	v_fma_f64 v[8:9], v[14:15], v[8:9], v[10:11]
	v_add_f64 v[3:4], v[3:4], v[12:13]
	s_delay_alu instid0(VALU_DEP_2)
	v_add_f64 v[1:2], v[1:2], v[8:9]
	s_and_not1_b32 exec_lo, exec_lo, s3
	s_cbranch_execnz .LBB109_193
; %bb.194:
	s_or_b32 exec_lo, exec_lo, s3
	v_mov_b32_e32 v5, 0
	ds_load_b128 v[5:8], v5 offset:720
	s_waitcnt lgkmcnt(0)
	v_mul_f64 v[9:10], v[1:2], v[7:8]
	v_mul_f64 v[7:8], v[3:4], v[7:8]
	s_delay_alu instid0(VALU_DEP_2) | instskip(NEXT) | instid1(VALU_DEP_2)
	v_fma_f64 v[3:4], v[3:4], v[5:6], -v[9:10]
	v_fma_f64 v[5:6], v[1:2], v[5:6], v[7:8]
	scratch_store_b128 off, v[3:6], off offset:720
.LBB109_195:
	s_or_b32 exec_lo, exec_lo, s2
	s_mov_b32 s3, -1
	s_waitcnt_vscnt null, 0x0
	s_barrier
	buffer_gl0_inv
.LBB109_196:
	s_and_b32 vcc_lo, exec_lo, s3
	s_cbranch_vccz .LBB109_198
; %bb.197:
	s_lshl_b64 s[2:3], s[10:11], 2
	v_mov_b32_e32 v1, 0
	s_add_u32 s2, s6, s2
	s_addc_u32 s3, s7, s3
	global_load_b32 v1, v1, s[2:3]
	s_waitcnt vmcnt(0)
	v_cmp_ne_u32_e32 vcc_lo, 0, v1
	s_cbranch_vccz .LBB109_199
.LBB109_198:
	s_endpgm
.LBB109_199:
	v_lshl_add_u32 v184, v138, 4, 0x2e0
	s_mov_b32 s2, exec_lo
	v_cmpx_eq_u32_e32 45, v138
	s_cbranch_execz .LBB109_201
; %bb.200:
	scratch_load_b128 v[1:4], v147, off
	v_mov_b32_e32 v5, 0
	s_delay_alu instid0(VALU_DEP_1)
	v_mov_b32_e32 v6, v5
	v_mov_b32_e32 v7, v5
	;; [unrolled: 1-line block ×3, first 2 shown]
	scratch_store_b128 off, v[5:8], off offset:704
	s_waitcnt vmcnt(0)
	ds_store_b128 v184, v[1:4]
.LBB109_201:
	s_or_b32 exec_lo, exec_lo, s2
	s_waitcnt lgkmcnt(0)
	s_waitcnt_vscnt null, 0x0
	s_barrier
	buffer_gl0_inv
	s_clause 0x1
	scratch_load_b128 v[2:5], off, off offset:720
	scratch_load_b128 v[6:9], off, off offset:704
	v_mov_b32_e32 v1, 0
	s_mov_b32 s2, exec_lo
	ds_load_b128 v[10:13], v1 offset:1456
	s_waitcnt vmcnt(1) lgkmcnt(0)
	v_mul_f64 v[14:15], v[12:13], v[4:5]
	v_mul_f64 v[4:5], v[10:11], v[4:5]
	s_delay_alu instid0(VALU_DEP_2) | instskip(NEXT) | instid1(VALU_DEP_2)
	v_fma_f64 v[10:11], v[10:11], v[2:3], -v[14:15]
	v_fma_f64 v[2:3], v[12:13], v[2:3], v[4:5]
	s_delay_alu instid0(VALU_DEP_2) | instskip(NEXT) | instid1(VALU_DEP_2)
	v_add_f64 v[4:5], v[10:11], 0
	v_add_f64 v[10:11], v[2:3], 0
	s_waitcnt vmcnt(0)
	s_delay_alu instid0(VALU_DEP_2) | instskip(NEXT) | instid1(VALU_DEP_2)
	v_add_f64 v[2:3], v[6:7], -v[4:5]
	v_add_f64 v[4:5], v[8:9], -v[10:11]
	scratch_store_b128 off, v[2:5], off offset:704
	v_cmpx_lt_u32_e32 43, v138
	s_cbranch_execz .LBB109_203
; %bb.202:
	scratch_load_b128 v[5:8], v150, off
	v_mov_b32_e32 v2, v1
	v_mov_b32_e32 v3, v1
	;; [unrolled: 1-line block ×3, first 2 shown]
	scratch_store_b128 off, v[1:4], off offset:688
	s_waitcnt vmcnt(0)
	ds_store_b128 v184, v[5:8]
.LBB109_203:
	s_or_b32 exec_lo, exec_lo, s2
	s_waitcnt lgkmcnt(0)
	s_waitcnt_vscnt null, 0x0
	s_barrier
	buffer_gl0_inv
	s_clause 0x2
	scratch_load_b128 v[2:5], off, off offset:704
	scratch_load_b128 v[6:9], off, off offset:720
	;; [unrolled: 1-line block ×3, first 2 shown]
	ds_load_b128 v[14:17], v1 offset:1440
	ds_load_b128 v[18:21], v1 offset:1456
	s_mov_b32 s2, exec_lo
	s_waitcnt vmcnt(2) lgkmcnt(1)
	v_mul_f64 v[22:23], v[16:17], v[4:5]
	v_mul_f64 v[4:5], v[14:15], v[4:5]
	s_waitcnt vmcnt(1) lgkmcnt(0)
	v_mul_f64 v[24:25], v[18:19], v[8:9]
	v_mul_f64 v[8:9], v[20:21], v[8:9]
	s_delay_alu instid0(VALU_DEP_4) | instskip(NEXT) | instid1(VALU_DEP_4)
	v_fma_f64 v[14:15], v[14:15], v[2:3], -v[22:23]
	v_fma_f64 v[1:2], v[16:17], v[2:3], v[4:5]
	s_delay_alu instid0(VALU_DEP_4) | instskip(NEXT) | instid1(VALU_DEP_4)
	v_fma_f64 v[3:4], v[20:21], v[6:7], v[24:25]
	v_fma_f64 v[5:6], v[18:19], v[6:7], -v[8:9]
	s_delay_alu instid0(VALU_DEP_4) | instskip(NEXT) | instid1(VALU_DEP_4)
	v_add_f64 v[7:8], v[14:15], 0
	v_add_f64 v[1:2], v[1:2], 0
	s_delay_alu instid0(VALU_DEP_2) | instskip(NEXT) | instid1(VALU_DEP_2)
	v_add_f64 v[5:6], v[7:8], v[5:6]
	v_add_f64 v[3:4], v[1:2], v[3:4]
	s_waitcnt vmcnt(0)
	s_delay_alu instid0(VALU_DEP_2) | instskip(NEXT) | instid1(VALU_DEP_2)
	v_add_f64 v[1:2], v[10:11], -v[5:6]
	v_add_f64 v[3:4], v[12:13], -v[3:4]
	scratch_store_b128 off, v[1:4], off offset:688
	v_cmpx_lt_u32_e32 42, v138
	s_cbranch_execz .LBB109_205
; %bb.204:
	scratch_load_b128 v[1:4], v151, off
	v_mov_b32_e32 v5, 0
	s_delay_alu instid0(VALU_DEP_1)
	v_mov_b32_e32 v6, v5
	v_mov_b32_e32 v7, v5
	;; [unrolled: 1-line block ×3, first 2 shown]
	scratch_store_b128 off, v[5:8], off offset:672
	s_waitcnt vmcnt(0)
	ds_store_b128 v184, v[1:4]
.LBB109_205:
	s_or_b32 exec_lo, exec_lo, s2
	s_waitcnt lgkmcnt(0)
	s_waitcnt_vscnt null, 0x0
	s_barrier
	buffer_gl0_inv
	s_clause 0x3
	scratch_load_b128 v[2:5], off, off offset:688
	scratch_load_b128 v[6:9], off, off offset:704
	;; [unrolled: 1-line block ×4, first 2 shown]
	v_mov_b32_e32 v1, 0
	ds_load_b128 v[18:21], v1 offset:1424
	ds_load_b128 v[22:25], v1 offset:1440
	s_mov_b32 s2, exec_lo
	s_waitcnt vmcnt(3) lgkmcnt(1)
	v_mul_f64 v[26:27], v[20:21], v[4:5]
	v_mul_f64 v[4:5], v[18:19], v[4:5]
	s_waitcnt vmcnt(2) lgkmcnt(0)
	v_mul_f64 v[28:29], v[22:23], v[8:9]
	v_mul_f64 v[8:9], v[24:25], v[8:9]
	s_delay_alu instid0(VALU_DEP_4) | instskip(NEXT) | instid1(VALU_DEP_4)
	v_fma_f64 v[18:19], v[18:19], v[2:3], -v[26:27]
	v_fma_f64 v[20:21], v[20:21], v[2:3], v[4:5]
	ds_load_b128 v[2:5], v1 offset:1456
	v_fma_f64 v[24:25], v[24:25], v[6:7], v[28:29]
	v_fma_f64 v[6:7], v[22:23], v[6:7], -v[8:9]
	s_waitcnt vmcnt(1) lgkmcnt(0)
	v_mul_f64 v[26:27], v[2:3], v[12:13]
	v_mul_f64 v[12:13], v[4:5], v[12:13]
	v_add_f64 v[8:9], v[18:19], 0
	v_add_f64 v[18:19], v[20:21], 0
	s_delay_alu instid0(VALU_DEP_4) | instskip(NEXT) | instid1(VALU_DEP_4)
	v_fma_f64 v[4:5], v[4:5], v[10:11], v[26:27]
	v_fma_f64 v[2:3], v[2:3], v[10:11], -v[12:13]
	s_delay_alu instid0(VALU_DEP_4) | instskip(NEXT) | instid1(VALU_DEP_4)
	v_add_f64 v[6:7], v[8:9], v[6:7]
	v_add_f64 v[8:9], v[18:19], v[24:25]
	s_delay_alu instid0(VALU_DEP_2) | instskip(NEXT) | instid1(VALU_DEP_2)
	v_add_f64 v[2:3], v[6:7], v[2:3]
	v_add_f64 v[4:5], v[8:9], v[4:5]
	s_waitcnt vmcnt(0)
	s_delay_alu instid0(VALU_DEP_2) | instskip(NEXT) | instid1(VALU_DEP_2)
	v_add_f64 v[2:3], v[14:15], -v[2:3]
	v_add_f64 v[4:5], v[16:17], -v[4:5]
	scratch_store_b128 off, v[2:5], off offset:672
	v_cmpx_lt_u32_e32 41, v138
	s_cbranch_execz .LBB109_207
; %bb.206:
	scratch_load_b128 v[5:8], v154, off
	v_mov_b32_e32 v2, v1
	v_mov_b32_e32 v3, v1
	;; [unrolled: 1-line block ×3, first 2 shown]
	scratch_store_b128 off, v[1:4], off offset:656
	s_waitcnt vmcnt(0)
	ds_store_b128 v184, v[5:8]
.LBB109_207:
	s_or_b32 exec_lo, exec_lo, s2
	s_waitcnt lgkmcnt(0)
	s_waitcnt_vscnt null, 0x0
	s_barrier
	buffer_gl0_inv
	s_clause 0x4
	scratch_load_b128 v[2:5], off, off offset:672
	scratch_load_b128 v[6:9], off, off offset:688
	;; [unrolled: 1-line block ×5, first 2 shown]
	ds_load_b128 v[22:25], v1 offset:1408
	ds_load_b128 v[26:29], v1 offset:1424
	s_mov_b32 s2, exec_lo
	s_waitcnt vmcnt(4) lgkmcnt(1)
	v_mul_f64 v[30:31], v[24:25], v[4:5]
	v_mul_f64 v[4:5], v[22:23], v[4:5]
	s_waitcnt vmcnt(3) lgkmcnt(0)
	v_mul_f64 v[32:33], v[26:27], v[8:9]
	v_mul_f64 v[8:9], v[28:29], v[8:9]
	s_delay_alu instid0(VALU_DEP_4) | instskip(NEXT) | instid1(VALU_DEP_4)
	v_fma_f64 v[30:31], v[22:23], v[2:3], -v[30:31]
	v_fma_f64 v[34:35], v[24:25], v[2:3], v[4:5]
	ds_load_b128 v[2:5], v1 offset:1440
	ds_load_b128 v[22:25], v1 offset:1456
	v_fma_f64 v[28:29], v[28:29], v[6:7], v[32:33]
	v_fma_f64 v[6:7], v[26:27], v[6:7], -v[8:9]
	s_waitcnt vmcnt(2) lgkmcnt(1)
	v_mul_f64 v[36:37], v[2:3], v[12:13]
	v_mul_f64 v[12:13], v[4:5], v[12:13]
	v_add_f64 v[8:9], v[30:31], 0
	v_add_f64 v[26:27], v[34:35], 0
	s_waitcnt vmcnt(1) lgkmcnt(0)
	v_mul_f64 v[30:31], v[22:23], v[16:17]
	v_mul_f64 v[16:17], v[24:25], v[16:17]
	v_fma_f64 v[4:5], v[4:5], v[10:11], v[36:37]
	v_fma_f64 v[1:2], v[2:3], v[10:11], -v[12:13]
	v_add_f64 v[6:7], v[8:9], v[6:7]
	v_add_f64 v[8:9], v[26:27], v[28:29]
	v_fma_f64 v[10:11], v[24:25], v[14:15], v[30:31]
	v_fma_f64 v[12:13], v[22:23], v[14:15], -v[16:17]
	s_delay_alu instid0(VALU_DEP_4) | instskip(NEXT) | instid1(VALU_DEP_4)
	v_add_f64 v[1:2], v[6:7], v[1:2]
	v_add_f64 v[3:4], v[8:9], v[4:5]
	s_delay_alu instid0(VALU_DEP_2) | instskip(NEXT) | instid1(VALU_DEP_2)
	v_add_f64 v[1:2], v[1:2], v[12:13]
	v_add_f64 v[3:4], v[3:4], v[10:11]
	s_waitcnt vmcnt(0)
	s_delay_alu instid0(VALU_DEP_2) | instskip(NEXT) | instid1(VALU_DEP_2)
	v_add_f64 v[1:2], v[18:19], -v[1:2]
	v_add_f64 v[3:4], v[20:21], -v[3:4]
	scratch_store_b128 off, v[1:4], off offset:656
	v_cmpx_lt_u32_e32 40, v138
	s_cbranch_execz .LBB109_209
; %bb.208:
	scratch_load_b128 v[1:4], v155, off
	v_mov_b32_e32 v5, 0
	s_delay_alu instid0(VALU_DEP_1)
	v_mov_b32_e32 v6, v5
	v_mov_b32_e32 v7, v5
	;; [unrolled: 1-line block ×3, first 2 shown]
	scratch_store_b128 off, v[5:8], off offset:640
	s_waitcnt vmcnt(0)
	ds_store_b128 v184, v[1:4]
.LBB109_209:
	s_or_b32 exec_lo, exec_lo, s2
	s_waitcnt lgkmcnt(0)
	s_waitcnt_vscnt null, 0x0
	s_barrier
	buffer_gl0_inv
	s_clause 0x5
	scratch_load_b128 v[2:5], off, off offset:656
	scratch_load_b128 v[6:9], off, off offset:672
	;; [unrolled: 1-line block ×6, first 2 shown]
	v_mov_b32_e32 v1, 0
	ds_load_b128 v[26:29], v1 offset:1392
	ds_load_b128 v[30:33], v1 offset:1408
	s_mov_b32 s2, exec_lo
	s_waitcnt vmcnt(5) lgkmcnt(1)
	v_mul_f64 v[34:35], v[28:29], v[4:5]
	v_mul_f64 v[4:5], v[26:27], v[4:5]
	s_waitcnt vmcnt(4) lgkmcnt(0)
	v_mul_f64 v[36:37], v[30:31], v[8:9]
	v_mul_f64 v[8:9], v[32:33], v[8:9]
	s_delay_alu instid0(VALU_DEP_4) | instskip(NEXT) | instid1(VALU_DEP_4)
	v_fma_f64 v[34:35], v[26:27], v[2:3], -v[34:35]
	v_fma_f64 v[38:39], v[28:29], v[2:3], v[4:5]
	ds_load_b128 v[2:5], v1 offset:1424
	ds_load_b128 v[26:29], v1 offset:1440
	v_fma_f64 v[32:33], v[32:33], v[6:7], v[36:37]
	v_fma_f64 v[6:7], v[30:31], v[6:7], -v[8:9]
	s_waitcnt vmcnt(3) lgkmcnt(1)
	v_mul_f64 v[40:41], v[2:3], v[12:13]
	v_mul_f64 v[12:13], v[4:5], v[12:13]
	v_add_f64 v[8:9], v[34:35], 0
	v_add_f64 v[30:31], v[38:39], 0
	s_waitcnt vmcnt(2) lgkmcnt(0)
	v_mul_f64 v[34:35], v[26:27], v[16:17]
	v_mul_f64 v[16:17], v[28:29], v[16:17]
	v_fma_f64 v[36:37], v[4:5], v[10:11], v[40:41]
	v_fma_f64 v[10:11], v[2:3], v[10:11], -v[12:13]
	ds_load_b128 v[2:5], v1 offset:1456
	v_add_f64 v[6:7], v[8:9], v[6:7]
	v_add_f64 v[8:9], v[30:31], v[32:33]
	v_fma_f64 v[28:29], v[28:29], v[14:15], v[34:35]
	v_fma_f64 v[14:15], v[26:27], v[14:15], -v[16:17]
	s_waitcnt vmcnt(1) lgkmcnt(0)
	v_mul_f64 v[12:13], v[2:3], v[20:21]
	v_mul_f64 v[20:21], v[4:5], v[20:21]
	v_add_f64 v[6:7], v[6:7], v[10:11]
	v_add_f64 v[8:9], v[8:9], v[36:37]
	s_delay_alu instid0(VALU_DEP_4) | instskip(NEXT) | instid1(VALU_DEP_4)
	v_fma_f64 v[4:5], v[4:5], v[18:19], v[12:13]
	v_fma_f64 v[2:3], v[2:3], v[18:19], -v[20:21]
	s_delay_alu instid0(VALU_DEP_4) | instskip(NEXT) | instid1(VALU_DEP_4)
	v_add_f64 v[6:7], v[6:7], v[14:15]
	v_add_f64 v[8:9], v[8:9], v[28:29]
	s_delay_alu instid0(VALU_DEP_2) | instskip(NEXT) | instid1(VALU_DEP_2)
	v_add_f64 v[2:3], v[6:7], v[2:3]
	v_add_f64 v[4:5], v[8:9], v[4:5]
	s_waitcnt vmcnt(0)
	s_delay_alu instid0(VALU_DEP_2) | instskip(NEXT) | instid1(VALU_DEP_2)
	v_add_f64 v[2:3], v[22:23], -v[2:3]
	v_add_f64 v[4:5], v[24:25], -v[4:5]
	scratch_store_b128 off, v[2:5], off offset:640
	v_cmpx_lt_u32_e32 39, v138
	s_cbranch_execz .LBB109_211
; %bb.210:
	scratch_load_b128 v[5:8], v158, off
	v_mov_b32_e32 v2, v1
	v_mov_b32_e32 v3, v1
	;; [unrolled: 1-line block ×3, first 2 shown]
	scratch_store_b128 off, v[1:4], off offset:624
	s_waitcnt vmcnt(0)
	ds_store_b128 v184, v[5:8]
.LBB109_211:
	s_or_b32 exec_lo, exec_lo, s2
	s_waitcnt lgkmcnt(0)
	s_waitcnt_vscnt null, 0x0
	s_barrier
	buffer_gl0_inv
	s_clause 0x5
	scratch_load_b128 v[2:5], off, off offset:640
	scratch_load_b128 v[6:9], off, off offset:656
	;; [unrolled: 1-line block ×6, first 2 shown]
	ds_load_b128 v[26:29], v1 offset:1376
	ds_load_b128 v[34:37], v1 offset:1392
	scratch_load_b128 v[30:33], off, off offset:624
	s_mov_b32 s2, exec_lo
	s_waitcnt vmcnt(6) lgkmcnt(1)
	v_mul_f64 v[38:39], v[28:29], v[4:5]
	v_mul_f64 v[4:5], v[26:27], v[4:5]
	s_waitcnt vmcnt(5) lgkmcnt(0)
	v_mul_f64 v[40:41], v[34:35], v[8:9]
	v_mul_f64 v[8:9], v[36:37], v[8:9]
	s_delay_alu instid0(VALU_DEP_4) | instskip(NEXT) | instid1(VALU_DEP_4)
	v_fma_f64 v[38:39], v[26:27], v[2:3], -v[38:39]
	v_fma_f64 v[42:43], v[28:29], v[2:3], v[4:5]
	ds_load_b128 v[2:5], v1 offset:1408
	ds_load_b128 v[26:29], v1 offset:1424
	v_fma_f64 v[36:37], v[36:37], v[6:7], v[40:41]
	v_fma_f64 v[6:7], v[34:35], v[6:7], -v[8:9]
	s_waitcnt vmcnt(4) lgkmcnt(1)
	v_mul_f64 v[44:45], v[2:3], v[12:13]
	v_mul_f64 v[12:13], v[4:5], v[12:13]
	v_add_f64 v[8:9], v[38:39], 0
	v_add_f64 v[34:35], v[42:43], 0
	s_waitcnt vmcnt(3) lgkmcnt(0)
	v_mul_f64 v[38:39], v[26:27], v[16:17]
	v_mul_f64 v[16:17], v[28:29], v[16:17]
	v_fma_f64 v[40:41], v[4:5], v[10:11], v[44:45]
	v_fma_f64 v[10:11], v[2:3], v[10:11], -v[12:13]
	v_add_f64 v[12:13], v[8:9], v[6:7]
	v_add_f64 v[34:35], v[34:35], v[36:37]
	ds_load_b128 v[2:5], v1 offset:1440
	ds_load_b128 v[6:9], v1 offset:1456
	v_fma_f64 v[28:29], v[28:29], v[14:15], v[38:39]
	v_fma_f64 v[14:15], v[26:27], v[14:15], -v[16:17]
	s_waitcnt vmcnt(2) lgkmcnt(1)
	v_mul_f64 v[36:37], v[2:3], v[20:21]
	v_mul_f64 v[20:21], v[4:5], v[20:21]
	s_waitcnt vmcnt(1) lgkmcnt(0)
	v_mul_f64 v[16:17], v[6:7], v[24:25]
	v_mul_f64 v[24:25], v[8:9], v[24:25]
	v_add_f64 v[10:11], v[12:13], v[10:11]
	v_add_f64 v[12:13], v[34:35], v[40:41]
	v_fma_f64 v[4:5], v[4:5], v[18:19], v[36:37]
	v_fma_f64 v[1:2], v[2:3], v[18:19], -v[20:21]
	v_fma_f64 v[8:9], v[8:9], v[22:23], v[16:17]
	v_fma_f64 v[6:7], v[6:7], v[22:23], -v[24:25]
	v_add_f64 v[10:11], v[10:11], v[14:15]
	v_add_f64 v[12:13], v[12:13], v[28:29]
	s_delay_alu instid0(VALU_DEP_2) | instskip(NEXT) | instid1(VALU_DEP_2)
	v_add_f64 v[1:2], v[10:11], v[1:2]
	v_add_f64 v[3:4], v[12:13], v[4:5]
	s_delay_alu instid0(VALU_DEP_2) | instskip(NEXT) | instid1(VALU_DEP_2)
	v_add_f64 v[1:2], v[1:2], v[6:7]
	v_add_f64 v[3:4], v[3:4], v[8:9]
	s_waitcnt vmcnt(0)
	s_delay_alu instid0(VALU_DEP_2) | instskip(NEXT) | instid1(VALU_DEP_2)
	v_add_f64 v[1:2], v[30:31], -v[1:2]
	v_add_f64 v[3:4], v[32:33], -v[3:4]
	scratch_store_b128 off, v[1:4], off offset:624
	v_cmpx_lt_u32_e32 38, v138
	s_cbranch_execz .LBB109_213
; %bb.212:
	scratch_load_b128 v[1:4], v139, off
	v_mov_b32_e32 v5, 0
	s_delay_alu instid0(VALU_DEP_1)
	v_mov_b32_e32 v6, v5
	v_mov_b32_e32 v7, v5
	;; [unrolled: 1-line block ×3, first 2 shown]
	scratch_store_b128 off, v[5:8], off offset:608
	s_waitcnt vmcnt(0)
	ds_store_b128 v184, v[1:4]
.LBB109_213:
	s_or_b32 exec_lo, exec_lo, s2
	s_waitcnt lgkmcnt(0)
	s_waitcnt_vscnt null, 0x0
	s_barrier
	buffer_gl0_inv
	s_clause 0x6
	scratch_load_b128 v[2:5], off, off offset:624
	scratch_load_b128 v[6:9], off, off offset:640
	;; [unrolled: 1-line block ×7, first 2 shown]
	v_mov_b32_e32 v1, 0
	scratch_load_b128 v[34:37], off, off offset:608
	s_mov_b32 s2, exec_lo
	ds_load_b128 v[30:33], v1 offset:1360
	ds_load_b128 v[38:41], v1 offset:1376
	s_waitcnt vmcnt(7) lgkmcnt(1)
	v_mul_f64 v[42:43], v[32:33], v[4:5]
	v_mul_f64 v[4:5], v[30:31], v[4:5]
	s_waitcnt vmcnt(6) lgkmcnt(0)
	v_mul_f64 v[44:45], v[38:39], v[8:9]
	v_mul_f64 v[8:9], v[40:41], v[8:9]
	s_delay_alu instid0(VALU_DEP_4) | instskip(NEXT) | instid1(VALU_DEP_4)
	v_fma_f64 v[42:43], v[30:31], v[2:3], -v[42:43]
	v_fma_f64 v[185:186], v[32:33], v[2:3], v[4:5]
	ds_load_b128 v[2:5], v1 offset:1392
	ds_load_b128 v[30:33], v1 offset:1408
	v_fma_f64 v[40:41], v[40:41], v[6:7], v[44:45]
	v_fma_f64 v[6:7], v[38:39], v[6:7], -v[8:9]
	s_waitcnt vmcnt(5) lgkmcnt(1)
	v_mul_f64 v[187:188], v[2:3], v[12:13]
	v_mul_f64 v[12:13], v[4:5], v[12:13]
	v_add_f64 v[8:9], v[42:43], 0
	v_add_f64 v[38:39], v[185:186], 0
	s_waitcnt vmcnt(4) lgkmcnt(0)
	v_mul_f64 v[42:43], v[30:31], v[16:17]
	v_mul_f64 v[16:17], v[32:33], v[16:17]
	v_fma_f64 v[44:45], v[4:5], v[10:11], v[187:188]
	v_fma_f64 v[10:11], v[2:3], v[10:11], -v[12:13]
	v_add_f64 v[12:13], v[8:9], v[6:7]
	v_add_f64 v[38:39], v[38:39], v[40:41]
	ds_load_b128 v[2:5], v1 offset:1424
	ds_load_b128 v[6:9], v1 offset:1440
	v_fma_f64 v[32:33], v[32:33], v[14:15], v[42:43]
	v_fma_f64 v[14:15], v[30:31], v[14:15], -v[16:17]
	s_waitcnt vmcnt(3) lgkmcnt(1)
	v_mul_f64 v[40:41], v[2:3], v[20:21]
	v_mul_f64 v[20:21], v[4:5], v[20:21]
	s_waitcnt vmcnt(2) lgkmcnt(0)
	v_mul_f64 v[16:17], v[6:7], v[24:25]
	v_mul_f64 v[24:25], v[8:9], v[24:25]
	v_add_f64 v[10:11], v[12:13], v[10:11]
	v_add_f64 v[12:13], v[38:39], v[44:45]
	v_fma_f64 v[30:31], v[4:5], v[18:19], v[40:41]
	v_fma_f64 v[18:19], v[2:3], v[18:19], -v[20:21]
	ds_load_b128 v[2:5], v1 offset:1456
	v_fma_f64 v[8:9], v[8:9], v[22:23], v[16:17]
	v_fma_f64 v[6:7], v[6:7], v[22:23], -v[24:25]
	v_add_f64 v[10:11], v[10:11], v[14:15]
	v_add_f64 v[12:13], v[12:13], v[32:33]
	s_waitcnt vmcnt(1) lgkmcnt(0)
	v_mul_f64 v[14:15], v[2:3], v[28:29]
	v_mul_f64 v[20:21], v[4:5], v[28:29]
	s_delay_alu instid0(VALU_DEP_4) | instskip(NEXT) | instid1(VALU_DEP_4)
	v_add_f64 v[10:11], v[10:11], v[18:19]
	v_add_f64 v[12:13], v[12:13], v[30:31]
	s_delay_alu instid0(VALU_DEP_4) | instskip(NEXT) | instid1(VALU_DEP_4)
	v_fma_f64 v[4:5], v[4:5], v[26:27], v[14:15]
	v_fma_f64 v[2:3], v[2:3], v[26:27], -v[20:21]
	s_delay_alu instid0(VALU_DEP_4) | instskip(NEXT) | instid1(VALU_DEP_4)
	v_add_f64 v[6:7], v[10:11], v[6:7]
	v_add_f64 v[8:9], v[12:13], v[8:9]
	s_delay_alu instid0(VALU_DEP_2) | instskip(NEXT) | instid1(VALU_DEP_2)
	v_add_f64 v[2:3], v[6:7], v[2:3]
	v_add_f64 v[4:5], v[8:9], v[4:5]
	s_waitcnt vmcnt(0)
	s_delay_alu instid0(VALU_DEP_2) | instskip(NEXT) | instid1(VALU_DEP_2)
	v_add_f64 v[2:3], v[34:35], -v[2:3]
	v_add_f64 v[4:5], v[36:37], -v[4:5]
	scratch_store_b128 off, v[2:5], off offset:608
	v_cmpx_lt_u32_e32 37, v138
	s_cbranch_execz .LBB109_215
; %bb.214:
	scratch_load_b128 v[5:8], v140, off
	v_mov_b32_e32 v2, v1
	v_mov_b32_e32 v3, v1
	;; [unrolled: 1-line block ×3, first 2 shown]
	scratch_store_b128 off, v[1:4], off offset:592
	s_waitcnt vmcnt(0)
	ds_store_b128 v184, v[5:8]
.LBB109_215:
	s_or_b32 exec_lo, exec_lo, s2
	s_waitcnt lgkmcnt(0)
	s_waitcnt_vscnt null, 0x0
	s_barrier
	buffer_gl0_inv
	s_clause 0x7
	scratch_load_b128 v[2:5], off, off offset:608
	scratch_load_b128 v[6:9], off, off offset:624
	scratch_load_b128 v[10:13], off, off offset:640
	scratch_load_b128 v[14:17], off, off offset:656
	scratch_load_b128 v[18:21], off, off offset:672
	scratch_load_b128 v[22:25], off, off offset:688
	scratch_load_b128 v[26:29], off, off offset:704
	scratch_load_b128 v[30:33], off, off offset:720
	ds_load_b128 v[34:37], v1 offset:1344
	ds_load_b128 v[38:41], v1 offset:1360
	s_mov_b32 s2, exec_lo
	s_waitcnt vmcnt(7) lgkmcnt(1)
	v_mul_f64 v[42:43], v[36:37], v[4:5]
	v_mul_f64 v[4:5], v[34:35], v[4:5]
	s_waitcnt vmcnt(6) lgkmcnt(0)
	v_mul_f64 v[44:45], v[38:39], v[8:9]
	v_mul_f64 v[8:9], v[40:41], v[8:9]
	s_delay_alu instid0(VALU_DEP_4) | instskip(NEXT) | instid1(VALU_DEP_4)
	v_fma_f64 v[42:43], v[34:35], v[2:3], -v[42:43]
	v_fma_f64 v[185:186], v[36:37], v[2:3], v[4:5]
	ds_load_b128 v[2:5], v1 offset:1376
	scratch_load_b128 v[34:37], off, off offset:592
	v_fma_f64 v[40:41], v[40:41], v[6:7], v[44:45]
	v_fma_f64 v[38:39], v[38:39], v[6:7], -v[8:9]
	ds_load_b128 v[6:9], v1 offset:1392
	s_waitcnt vmcnt(6) lgkmcnt(1)
	v_mul_f64 v[187:188], v[2:3], v[12:13]
	v_mul_f64 v[12:13], v[4:5], v[12:13]
	v_add_f64 v[42:43], v[42:43], 0
	v_add_f64 v[44:45], v[185:186], 0
	s_waitcnt vmcnt(5) lgkmcnt(0)
	v_mul_f64 v[185:186], v[6:7], v[16:17]
	v_mul_f64 v[16:17], v[8:9], v[16:17]
	v_fma_f64 v[187:188], v[4:5], v[10:11], v[187:188]
	v_fma_f64 v[10:11], v[2:3], v[10:11], -v[12:13]
	ds_load_b128 v[2:5], v1 offset:1408
	v_add_f64 v[12:13], v[42:43], v[38:39]
	v_add_f64 v[38:39], v[44:45], v[40:41]
	v_fma_f64 v[42:43], v[8:9], v[14:15], v[185:186]
	v_fma_f64 v[14:15], v[6:7], v[14:15], -v[16:17]
	ds_load_b128 v[6:9], v1 offset:1424
	s_waitcnt vmcnt(4) lgkmcnt(1)
	v_mul_f64 v[40:41], v[2:3], v[20:21]
	v_mul_f64 v[20:21], v[4:5], v[20:21]
	s_waitcnt vmcnt(3) lgkmcnt(0)
	v_mul_f64 v[16:17], v[6:7], v[24:25]
	v_mul_f64 v[24:25], v[8:9], v[24:25]
	v_add_f64 v[10:11], v[12:13], v[10:11]
	v_add_f64 v[12:13], v[38:39], v[187:188]
	v_fma_f64 v[38:39], v[4:5], v[18:19], v[40:41]
	v_fma_f64 v[18:19], v[2:3], v[18:19], -v[20:21]
	ds_load_b128 v[2:5], v1 offset:1440
	v_fma_f64 v[16:17], v[8:9], v[22:23], v[16:17]
	v_fma_f64 v[22:23], v[6:7], v[22:23], -v[24:25]
	ds_load_b128 v[6:9], v1 offset:1456
	s_waitcnt vmcnt(2) lgkmcnt(1)
	v_mul_f64 v[20:21], v[4:5], v[28:29]
	v_add_f64 v[10:11], v[10:11], v[14:15]
	v_add_f64 v[12:13], v[12:13], v[42:43]
	v_mul_f64 v[14:15], v[2:3], v[28:29]
	s_waitcnt vmcnt(1) lgkmcnt(0)
	v_mul_f64 v[24:25], v[8:9], v[32:33]
	v_fma_f64 v[1:2], v[2:3], v[26:27], -v[20:21]
	v_add_f64 v[10:11], v[10:11], v[18:19]
	v_add_f64 v[12:13], v[12:13], v[38:39]
	v_mul_f64 v[18:19], v[6:7], v[32:33]
	v_fma_f64 v[4:5], v[4:5], v[26:27], v[14:15]
	v_fma_f64 v[6:7], v[6:7], v[30:31], -v[24:25]
	v_add_f64 v[10:11], v[10:11], v[22:23]
	v_add_f64 v[12:13], v[12:13], v[16:17]
	v_fma_f64 v[8:9], v[8:9], v[30:31], v[18:19]
	s_delay_alu instid0(VALU_DEP_3) | instskip(NEXT) | instid1(VALU_DEP_3)
	v_add_f64 v[1:2], v[10:11], v[1:2]
	v_add_f64 v[3:4], v[12:13], v[4:5]
	s_delay_alu instid0(VALU_DEP_2) | instskip(NEXT) | instid1(VALU_DEP_2)
	v_add_f64 v[1:2], v[1:2], v[6:7]
	v_add_f64 v[3:4], v[3:4], v[8:9]
	s_waitcnt vmcnt(0)
	s_delay_alu instid0(VALU_DEP_2) | instskip(NEXT) | instid1(VALU_DEP_2)
	v_add_f64 v[1:2], v[34:35], -v[1:2]
	v_add_f64 v[3:4], v[36:37], -v[3:4]
	scratch_store_b128 off, v[1:4], off offset:592
	v_cmpx_lt_u32_e32 36, v138
	s_cbranch_execz .LBB109_217
; %bb.216:
	scratch_load_b128 v[1:4], v141, off
	v_mov_b32_e32 v5, 0
	s_delay_alu instid0(VALU_DEP_1)
	v_mov_b32_e32 v6, v5
	v_mov_b32_e32 v7, v5
	;; [unrolled: 1-line block ×3, first 2 shown]
	scratch_store_b128 off, v[5:8], off offset:576
	s_waitcnt vmcnt(0)
	ds_store_b128 v184, v[1:4]
.LBB109_217:
	s_or_b32 exec_lo, exec_lo, s2
	s_waitcnt lgkmcnt(0)
	s_waitcnt_vscnt null, 0x0
	s_barrier
	buffer_gl0_inv
	s_clause 0x7
	scratch_load_b128 v[2:5], off, off offset:592
	scratch_load_b128 v[6:9], off, off offset:608
	;; [unrolled: 1-line block ×8, first 2 shown]
	v_mov_b32_e32 v1, 0
	scratch_load_b128 v[38:41], off, off offset:720
	s_mov_b32 s2, exec_lo
	ds_load_b128 v[34:37], v1 offset:1328
	ds_load_b128 v[42:45], v1 offset:1344
	s_waitcnt vmcnt(8) lgkmcnt(1)
	v_mul_f64 v[185:186], v[36:37], v[4:5]
	v_mul_f64 v[4:5], v[34:35], v[4:5]
	s_waitcnt vmcnt(7) lgkmcnt(0)
	v_mul_f64 v[187:188], v[42:43], v[8:9]
	v_mul_f64 v[8:9], v[44:45], v[8:9]
	s_delay_alu instid0(VALU_DEP_4) | instskip(NEXT) | instid1(VALU_DEP_4)
	v_fma_f64 v[34:35], v[34:35], v[2:3], -v[185:186]
	v_fma_f64 v[36:37], v[36:37], v[2:3], v[4:5]
	ds_load_b128 v[2:5], v1 offset:1360
	v_fma_f64 v[44:45], v[44:45], v[6:7], v[187:188]
	v_fma_f64 v[42:43], v[42:43], v[6:7], -v[8:9]
	ds_load_b128 v[6:9], v1 offset:1376
	s_waitcnt vmcnt(6) lgkmcnt(1)
	v_mul_f64 v[185:186], v[2:3], v[12:13]
	v_mul_f64 v[12:13], v[4:5], v[12:13]
	s_waitcnt vmcnt(5) lgkmcnt(0)
	v_mul_f64 v[191:192], v[6:7], v[16:17]
	v_mul_f64 v[16:17], v[8:9], v[16:17]
	v_add_f64 v[187:188], v[34:35], 0
	v_add_f64 v[189:190], v[36:37], 0
	scratch_load_b128 v[34:37], off, off offset:576
	v_fma_f64 v[185:186], v[4:5], v[10:11], v[185:186]
	v_fma_f64 v[10:11], v[2:3], v[10:11], -v[12:13]
	ds_load_b128 v[2:5], v1 offset:1392
	v_add_f64 v[12:13], v[187:188], v[42:43]
	v_add_f64 v[42:43], v[189:190], v[44:45]
	v_fma_f64 v[187:188], v[8:9], v[14:15], v[191:192]
	v_fma_f64 v[14:15], v[6:7], v[14:15], -v[16:17]
	ds_load_b128 v[6:9], v1 offset:1408
	s_waitcnt vmcnt(5) lgkmcnt(1)
	v_mul_f64 v[44:45], v[2:3], v[20:21]
	v_mul_f64 v[20:21], v[4:5], v[20:21]
	s_waitcnt vmcnt(4) lgkmcnt(0)
	v_mul_f64 v[16:17], v[6:7], v[24:25]
	v_mul_f64 v[24:25], v[8:9], v[24:25]
	v_add_f64 v[10:11], v[12:13], v[10:11]
	v_add_f64 v[12:13], v[42:43], v[185:186]
	v_fma_f64 v[42:43], v[4:5], v[18:19], v[44:45]
	v_fma_f64 v[18:19], v[2:3], v[18:19], -v[20:21]
	ds_load_b128 v[2:5], v1 offset:1424
	v_fma_f64 v[16:17], v[8:9], v[22:23], v[16:17]
	v_fma_f64 v[22:23], v[6:7], v[22:23], -v[24:25]
	ds_load_b128 v[6:9], v1 offset:1440
	s_waitcnt vmcnt(3) lgkmcnt(1)
	v_mul_f64 v[20:21], v[4:5], v[28:29]
	v_add_f64 v[10:11], v[10:11], v[14:15]
	v_add_f64 v[12:13], v[12:13], v[187:188]
	v_mul_f64 v[14:15], v[2:3], v[28:29]
	s_waitcnt vmcnt(2) lgkmcnt(0)
	v_mul_f64 v[24:25], v[8:9], v[32:33]
	v_fma_f64 v[20:21], v[2:3], v[26:27], -v[20:21]
	v_add_f64 v[10:11], v[10:11], v[18:19]
	v_add_f64 v[12:13], v[12:13], v[42:43]
	v_mul_f64 v[18:19], v[6:7], v[32:33]
	v_fma_f64 v[14:15], v[4:5], v[26:27], v[14:15]
	ds_load_b128 v[2:5], v1 offset:1456
	v_fma_f64 v[6:7], v[6:7], v[30:31], -v[24:25]
	v_add_f64 v[10:11], v[10:11], v[22:23]
	v_add_f64 v[12:13], v[12:13], v[16:17]
	s_waitcnt vmcnt(1) lgkmcnt(0)
	v_mul_f64 v[16:17], v[2:3], v[40:41]
	v_mul_f64 v[22:23], v[4:5], v[40:41]
	v_fma_f64 v[8:9], v[8:9], v[30:31], v[18:19]
	v_add_f64 v[10:11], v[10:11], v[20:21]
	v_add_f64 v[12:13], v[12:13], v[14:15]
	v_fma_f64 v[4:5], v[4:5], v[38:39], v[16:17]
	v_fma_f64 v[2:3], v[2:3], v[38:39], -v[22:23]
	s_delay_alu instid0(VALU_DEP_4) | instskip(NEXT) | instid1(VALU_DEP_4)
	v_add_f64 v[6:7], v[10:11], v[6:7]
	v_add_f64 v[8:9], v[12:13], v[8:9]
	s_delay_alu instid0(VALU_DEP_2) | instskip(NEXT) | instid1(VALU_DEP_2)
	v_add_f64 v[2:3], v[6:7], v[2:3]
	v_add_f64 v[4:5], v[8:9], v[4:5]
	s_waitcnt vmcnt(0)
	s_delay_alu instid0(VALU_DEP_2) | instskip(NEXT) | instid1(VALU_DEP_2)
	v_add_f64 v[2:3], v[34:35], -v[2:3]
	v_add_f64 v[4:5], v[36:37], -v[4:5]
	scratch_store_b128 off, v[2:5], off offset:576
	v_cmpx_lt_u32_e32 35, v138
	s_cbranch_execz .LBB109_219
; %bb.218:
	scratch_load_b128 v[5:8], v142, off
	v_mov_b32_e32 v2, v1
	v_mov_b32_e32 v3, v1
	;; [unrolled: 1-line block ×3, first 2 shown]
	scratch_store_b128 off, v[1:4], off offset:560
	s_waitcnt vmcnt(0)
	ds_store_b128 v184, v[5:8]
.LBB109_219:
	s_or_b32 exec_lo, exec_lo, s2
	s_waitcnt lgkmcnt(0)
	s_waitcnt_vscnt null, 0x0
	s_barrier
	buffer_gl0_inv
	s_clause 0x8
	scratch_load_b128 v[2:5], off, off offset:576
	scratch_load_b128 v[6:9], off, off offset:592
	;; [unrolled: 1-line block ×9, first 2 shown]
	ds_load_b128 v[38:41], v1 offset:1312
	ds_load_b128 v[42:45], v1 offset:1328
	s_clause 0x1
	scratch_load_b128 v[185:188], off, off offset:560
	scratch_load_b128 v[189:192], off, off offset:720
	s_mov_b32 s2, exec_lo
	s_waitcnt vmcnt(10) lgkmcnt(1)
	v_mul_f64 v[193:194], v[40:41], v[4:5]
	v_mul_f64 v[4:5], v[38:39], v[4:5]
	s_waitcnt vmcnt(9) lgkmcnt(0)
	v_mul_f64 v[195:196], v[42:43], v[8:9]
	v_mul_f64 v[8:9], v[44:45], v[8:9]
	s_delay_alu instid0(VALU_DEP_4) | instskip(NEXT) | instid1(VALU_DEP_4)
	v_fma_f64 v[193:194], v[38:39], v[2:3], -v[193:194]
	v_fma_f64 v[197:198], v[40:41], v[2:3], v[4:5]
	ds_load_b128 v[2:5], v1 offset:1344
	ds_load_b128 v[38:41], v1 offset:1360
	v_fma_f64 v[44:45], v[44:45], v[6:7], v[195:196]
	v_fma_f64 v[6:7], v[42:43], v[6:7], -v[8:9]
	s_waitcnt vmcnt(8) lgkmcnt(1)
	v_mul_f64 v[199:200], v[2:3], v[12:13]
	v_mul_f64 v[12:13], v[4:5], v[12:13]
	v_add_f64 v[8:9], v[193:194], 0
	v_add_f64 v[42:43], v[197:198], 0
	s_waitcnt vmcnt(7) lgkmcnt(0)
	v_mul_f64 v[193:194], v[38:39], v[16:17]
	v_mul_f64 v[16:17], v[40:41], v[16:17]
	v_fma_f64 v[195:196], v[4:5], v[10:11], v[199:200]
	v_fma_f64 v[10:11], v[2:3], v[10:11], -v[12:13]
	v_add_f64 v[12:13], v[8:9], v[6:7]
	v_add_f64 v[42:43], v[42:43], v[44:45]
	ds_load_b128 v[2:5], v1 offset:1376
	ds_load_b128 v[6:9], v1 offset:1392
	v_fma_f64 v[40:41], v[40:41], v[14:15], v[193:194]
	v_fma_f64 v[14:15], v[38:39], v[14:15], -v[16:17]
	s_waitcnt vmcnt(6) lgkmcnt(1)
	v_mul_f64 v[44:45], v[2:3], v[20:21]
	v_mul_f64 v[20:21], v[4:5], v[20:21]
	s_waitcnt vmcnt(5) lgkmcnt(0)
	v_mul_f64 v[16:17], v[6:7], v[24:25]
	v_mul_f64 v[24:25], v[8:9], v[24:25]
	v_add_f64 v[10:11], v[12:13], v[10:11]
	v_add_f64 v[12:13], v[42:43], v[195:196]
	v_fma_f64 v[38:39], v[4:5], v[18:19], v[44:45]
	v_fma_f64 v[18:19], v[2:3], v[18:19], -v[20:21]
	v_fma_f64 v[8:9], v[8:9], v[22:23], v[16:17]
	v_fma_f64 v[6:7], v[6:7], v[22:23], -v[24:25]
	v_add_f64 v[14:15], v[10:11], v[14:15]
	v_add_f64 v[20:21], v[12:13], v[40:41]
	ds_load_b128 v[2:5], v1 offset:1408
	ds_load_b128 v[10:13], v1 offset:1424
	s_waitcnt vmcnt(4) lgkmcnt(1)
	v_mul_f64 v[40:41], v[2:3], v[28:29]
	v_mul_f64 v[28:29], v[4:5], v[28:29]
	v_add_f64 v[14:15], v[14:15], v[18:19]
	v_add_f64 v[16:17], v[20:21], v[38:39]
	s_waitcnt vmcnt(3) lgkmcnt(0)
	v_mul_f64 v[18:19], v[10:11], v[32:33]
	v_mul_f64 v[20:21], v[12:13], v[32:33]
	v_fma_f64 v[22:23], v[4:5], v[26:27], v[40:41]
	v_fma_f64 v[24:25], v[2:3], v[26:27], -v[28:29]
	v_add_f64 v[14:15], v[14:15], v[6:7]
	v_add_f64 v[16:17], v[16:17], v[8:9]
	ds_load_b128 v[2:5], v1 offset:1440
	ds_load_b128 v[6:9], v1 offset:1456
	v_fma_f64 v[12:13], v[12:13], v[30:31], v[18:19]
	v_fma_f64 v[10:11], v[10:11], v[30:31], -v[20:21]
	s_waitcnt vmcnt(2) lgkmcnt(1)
	v_mul_f64 v[26:27], v[2:3], v[36:37]
	v_mul_f64 v[28:29], v[4:5], v[36:37]
	s_waitcnt vmcnt(0) lgkmcnt(0)
	v_mul_f64 v[18:19], v[6:7], v[191:192]
	v_mul_f64 v[20:21], v[8:9], v[191:192]
	v_add_f64 v[14:15], v[14:15], v[24:25]
	v_add_f64 v[16:17], v[16:17], v[22:23]
	v_fma_f64 v[4:5], v[4:5], v[34:35], v[26:27]
	v_fma_f64 v[1:2], v[2:3], v[34:35], -v[28:29]
	v_fma_f64 v[8:9], v[8:9], v[189:190], v[18:19]
	v_fma_f64 v[6:7], v[6:7], v[189:190], -v[20:21]
	v_add_f64 v[10:11], v[14:15], v[10:11]
	v_add_f64 v[12:13], v[16:17], v[12:13]
	s_delay_alu instid0(VALU_DEP_2) | instskip(NEXT) | instid1(VALU_DEP_2)
	v_add_f64 v[1:2], v[10:11], v[1:2]
	v_add_f64 v[3:4], v[12:13], v[4:5]
	s_delay_alu instid0(VALU_DEP_2) | instskip(NEXT) | instid1(VALU_DEP_2)
	;; [unrolled: 3-line block ×3, first 2 shown]
	v_add_f64 v[1:2], v[185:186], -v[1:2]
	v_add_f64 v[3:4], v[187:188], -v[3:4]
	scratch_store_b128 off, v[1:4], off offset:560
	v_cmpx_lt_u32_e32 34, v138
	s_cbranch_execz .LBB109_221
; %bb.220:
	scratch_load_b128 v[1:4], v143, off
	v_mov_b32_e32 v5, 0
	s_delay_alu instid0(VALU_DEP_1)
	v_mov_b32_e32 v6, v5
	v_mov_b32_e32 v7, v5
	;; [unrolled: 1-line block ×3, first 2 shown]
	scratch_store_b128 off, v[5:8], off offset:544
	s_waitcnt vmcnt(0)
	ds_store_b128 v184, v[1:4]
.LBB109_221:
	s_or_b32 exec_lo, exec_lo, s2
	s_waitcnt lgkmcnt(0)
	s_waitcnt_vscnt null, 0x0
	s_barrier
	buffer_gl0_inv
	s_clause 0x7
	scratch_load_b128 v[2:5], off, off offset:560
	scratch_load_b128 v[6:9], off, off offset:576
	scratch_load_b128 v[10:13], off, off offset:592
	scratch_load_b128 v[14:17], off, off offset:608
	scratch_load_b128 v[18:21], off, off offset:624
	scratch_load_b128 v[22:25], off, off offset:640
	scratch_load_b128 v[26:29], off, off offset:656
	scratch_load_b128 v[30:33], off, off offset:672
	v_mov_b32_e32 v1, 0
	s_mov_b32 s2, exec_lo
	ds_load_b128 v[34:37], v1 offset:1296
	s_clause 0x1
	scratch_load_b128 v[38:41], off, off offset:688
	scratch_load_b128 v[42:45], off, off offset:544
	ds_load_b128 v[185:188], v1 offset:1312
	scratch_load_b128 v[189:192], off, off offset:704
	s_waitcnt vmcnt(10) lgkmcnt(1)
	v_mul_f64 v[193:194], v[36:37], v[4:5]
	v_mul_f64 v[4:5], v[34:35], v[4:5]
	s_delay_alu instid0(VALU_DEP_2) | instskip(NEXT) | instid1(VALU_DEP_2)
	v_fma_f64 v[199:200], v[34:35], v[2:3], -v[193:194]
	v_fma_f64 v[201:202], v[36:37], v[2:3], v[4:5]
	scratch_load_b128 v[34:37], off, off offset:720
	ds_load_b128 v[2:5], v1 offset:1328
	s_waitcnt vmcnt(10) lgkmcnt(1)
	v_mul_f64 v[197:198], v[185:186], v[8:9]
	v_mul_f64 v[8:9], v[187:188], v[8:9]
	ds_load_b128 v[193:196], v1 offset:1344
	s_waitcnt vmcnt(9) lgkmcnt(1)
	v_mul_f64 v[203:204], v[2:3], v[12:13]
	v_mul_f64 v[12:13], v[4:5], v[12:13]
	v_fma_f64 v[187:188], v[187:188], v[6:7], v[197:198]
	v_fma_f64 v[6:7], v[185:186], v[6:7], -v[8:9]
	v_add_f64 v[8:9], v[199:200], 0
	v_add_f64 v[185:186], v[201:202], 0
	s_waitcnt vmcnt(8) lgkmcnt(0)
	v_mul_f64 v[197:198], v[193:194], v[16:17]
	v_mul_f64 v[16:17], v[195:196], v[16:17]
	v_fma_f64 v[199:200], v[4:5], v[10:11], v[203:204]
	v_fma_f64 v[10:11], v[2:3], v[10:11], -v[12:13]
	v_add_f64 v[12:13], v[8:9], v[6:7]
	v_add_f64 v[185:186], v[185:186], v[187:188]
	ds_load_b128 v[2:5], v1 offset:1360
	ds_load_b128 v[6:9], v1 offset:1376
	v_fma_f64 v[195:196], v[195:196], v[14:15], v[197:198]
	v_fma_f64 v[14:15], v[193:194], v[14:15], -v[16:17]
	s_waitcnt vmcnt(7) lgkmcnt(1)
	v_mul_f64 v[187:188], v[2:3], v[20:21]
	v_mul_f64 v[20:21], v[4:5], v[20:21]
	s_waitcnt vmcnt(6) lgkmcnt(0)
	v_mul_f64 v[16:17], v[6:7], v[24:25]
	v_mul_f64 v[24:25], v[8:9], v[24:25]
	v_add_f64 v[10:11], v[12:13], v[10:11]
	v_add_f64 v[12:13], v[185:186], v[199:200]
	v_fma_f64 v[185:186], v[4:5], v[18:19], v[187:188]
	v_fma_f64 v[18:19], v[2:3], v[18:19], -v[20:21]
	v_fma_f64 v[8:9], v[8:9], v[22:23], v[16:17]
	v_fma_f64 v[6:7], v[6:7], v[22:23], -v[24:25]
	v_add_f64 v[14:15], v[10:11], v[14:15]
	v_add_f64 v[20:21], v[12:13], v[195:196]
	ds_load_b128 v[2:5], v1 offset:1392
	ds_load_b128 v[10:13], v1 offset:1408
	s_waitcnt vmcnt(5) lgkmcnt(1)
	v_mul_f64 v[187:188], v[2:3], v[28:29]
	v_mul_f64 v[28:29], v[4:5], v[28:29]
	v_add_f64 v[14:15], v[14:15], v[18:19]
	v_add_f64 v[16:17], v[20:21], v[185:186]
	s_waitcnt vmcnt(4) lgkmcnt(0)
	v_mul_f64 v[18:19], v[10:11], v[32:33]
	v_mul_f64 v[20:21], v[12:13], v[32:33]
	v_fma_f64 v[22:23], v[4:5], v[26:27], v[187:188]
	v_fma_f64 v[24:25], v[2:3], v[26:27], -v[28:29]
	v_add_f64 v[14:15], v[14:15], v[6:7]
	v_add_f64 v[16:17], v[16:17], v[8:9]
	ds_load_b128 v[2:5], v1 offset:1424
	ds_load_b128 v[6:9], v1 offset:1440
	v_fma_f64 v[12:13], v[12:13], v[30:31], v[18:19]
	v_fma_f64 v[10:11], v[10:11], v[30:31], -v[20:21]
	s_waitcnt vmcnt(3) lgkmcnt(1)
	v_mul_f64 v[26:27], v[2:3], v[40:41]
	v_mul_f64 v[28:29], v[4:5], v[40:41]
	s_waitcnt vmcnt(1) lgkmcnt(0)
	v_mul_f64 v[18:19], v[6:7], v[191:192]
	v_mul_f64 v[20:21], v[8:9], v[191:192]
	v_add_f64 v[14:15], v[14:15], v[24:25]
	v_add_f64 v[16:17], v[16:17], v[22:23]
	v_fma_f64 v[22:23], v[4:5], v[38:39], v[26:27]
	v_fma_f64 v[24:25], v[2:3], v[38:39], -v[28:29]
	ds_load_b128 v[2:5], v1 offset:1456
	v_fma_f64 v[8:9], v[8:9], v[189:190], v[18:19]
	v_fma_f64 v[6:7], v[6:7], v[189:190], -v[20:21]
	v_add_f64 v[10:11], v[14:15], v[10:11]
	v_add_f64 v[12:13], v[16:17], v[12:13]
	s_waitcnt vmcnt(0) lgkmcnt(0)
	v_mul_f64 v[14:15], v[2:3], v[36:37]
	v_mul_f64 v[16:17], v[4:5], v[36:37]
	s_delay_alu instid0(VALU_DEP_4) | instskip(NEXT) | instid1(VALU_DEP_4)
	v_add_f64 v[10:11], v[10:11], v[24:25]
	v_add_f64 v[12:13], v[12:13], v[22:23]
	s_delay_alu instid0(VALU_DEP_4) | instskip(NEXT) | instid1(VALU_DEP_4)
	v_fma_f64 v[4:5], v[4:5], v[34:35], v[14:15]
	v_fma_f64 v[2:3], v[2:3], v[34:35], -v[16:17]
	s_delay_alu instid0(VALU_DEP_4) | instskip(NEXT) | instid1(VALU_DEP_4)
	v_add_f64 v[6:7], v[10:11], v[6:7]
	v_add_f64 v[8:9], v[12:13], v[8:9]
	s_delay_alu instid0(VALU_DEP_2) | instskip(NEXT) | instid1(VALU_DEP_2)
	v_add_f64 v[2:3], v[6:7], v[2:3]
	v_add_f64 v[4:5], v[8:9], v[4:5]
	s_delay_alu instid0(VALU_DEP_2) | instskip(NEXT) | instid1(VALU_DEP_2)
	v_add_f64 v[2:3], v[42:43], -v[2:3]
	v_add_f64 v[4:5], v[44:45], -v[4:5]
	scratch_store_b128 off, v[2:5], off offset:544
	v_cmpx_lt_u32_e32 33, v138
	s_cbranch_execz .LBB109_223
; %bb.222:
	scratch_load_b128 v[5:8], v144, off
	v_mov_b32_e32 v2, v1
	v_mov_b32_e32 v3, v1
	;; [unrolled: 1-line block ×3, first 2 shown]
	scratch_store_b128 off, v[1:4], off offset:528
	s_waitcnt vmcnt(0)
	ds_store_b128 v184, v[5:8]
.LBB109_223:
	s_or_b32 exec_lo, exec_lo, s2
	s_waitcnt lgkmcnt(0)
	s_waitcnt_vscnt null, 0x0
	s_barrier
	buffer_gl0_inv
	s_clause 0x8
	scratch_load_b128 v[2:5], off, off offset:544
	scratch_load_b128 v[6:9], off, off offset:560
	;; [unrolled: 1-line block ×9, first 2 shown]
	ds_load_b128 v[38:41], v1 offset:1280
	ds_load_b128 v[42:45], v1 offset:1296
	s_clause 0x1
	scratch_load_b128 v[185:188], off, off offset:528
	scratch_load_b128 v[189:192], off, off offset:688
	s_mov_b32 s2, exec_lo
	s_waitcnt vmcnt(10) lgkmcnt(1)
	v_mul_f64 v[193:194], v[40:41], v[4:5]
	v_mul_f64 v[4:5], v[38:39], v[4:5]
	s_waitcnt vmcnt(9) lgkmcnt(0)
	v_mul_f64 v[197:198], v[42:43], v[8:9]
	v_mul_f64 v[8:9], v[44:45], v[8:9]
	s_delay_alu instid0(VALU_DEP_4) | instskip(NEXT) | instid1(VALU_DEP_4)
	v_fma_f64 v[199:200], v[38:39], v[2:3], -v[193:194]
	v_fma_f64 v[201:202], v[40:41], v[2:3], v[4:5]
	ds_load_b128 v[2:5], v1 offset:1312
	ds_load_b128 v[193:196], v1 offset:1328
	scratch_load_b128 v[38:41], off, off offset:704
	v_fma_f64 v[44:45], v[44:45], v[6:7], v[197:198]
	v_fma_f64 v[42:43], v[42:43], v[6:7], -v[8:9]
	scratch_load_b128 v[6:9], off, off offset:720
	s_waitcnt vmcnt(10) lgkmcnt(1)
	v_mul_f64 v[203:204], v[2:3], v[12:13]
	v_mul_f64 v[12:13], v[4:5], v[12:13]
	v_add_f64 v[197:198], v[199:200], 0
	v_add_f64 v[199:200], v[201:202], 0
	s_waitcnt vmcnt(9) lgkmcnt(0)
	v_mul_f64 v[201:202], v[193:194], v[16:17]
	v_mul_f64 v[16:17], v[195:196], v[16:17]
	v_fma_f64 v[203:204], v[4:5], v[10:11], v[203:204]
	v_fma_f64 v[205:206], v[2:3], v[10:11], -v[12:13]
	ds_load_b128 v[2:5], v1 offset:1344
	ds_load_b128 v[10:13], v1 offset:1360
	v_add_f64 v[42:43], v[197:198], v[42:43]
	v_add_f64 v[44:45], v[199:200], v[44:45]
	v_fma_f64 v[195:196], v[195:196], v[14:15], v[201:202]
	v_fma_f64 v[14:15], v[193:194], v[14:15], -v[16:17]
	s_waitcnt vmcnt(8) lgkmcnt(1)
	v_mul_f64 v[197:198], v[2:3], v[20:21]
	v_mul_f64 v[20:21], v[4:5], v[20:21]
	v_add_f64 v[16:17], v[42:43], v[205:206]
	v_add_f64 v[42:43], v[44:45], v[203:204]
	s_waitcnt vmcnt(7) lgkmcnt(0)
	v_mul_f64 v[44:45], v[10:11], v[24:25]
	v_mul_f64 v[24:25], v[12:13], v[24:25]
	v_fma_f64 v[193:194], v[4:5], v[18:19], v[197:198]
	v_fma_f64 v[18:19], v[2:3], v[18:19], -v[20:21]
	v_add_f64 v[20:21], v[16:17], v[14:15]
	v_add_f64 v[42:43], v[42:43], v[195:196]
	ds_load_b128 v[2:5], v1 offset:1376
	ds_load_b128 v[14:17], v1 offset:1392
	v_fma_f64 v[12:13], v[12:13], v[22:23], v[44:45]
	v_fma_f64 v[10:11], v[10:11], v[22:23], -v[24:25]
	s_waitcnt vmcnt(6) lgkmcnt(1)
	v_mul_f64 v[195:196], v[2:3], v[28:29]
	v_mul_f64 v[28:29], v[4:5], v[28:29]
	s_waitcnt vmcnt(5) lgkmcnt(0)
	v_mul_f64 v[22:23], v[14:15], v[32:33]
	v_mul_f64 v[24:25], v[16:17], v[32:33]
	v_add_f64 v[18:19], v[20:21], v[18:19]
	v_add_f64 v[20:21], v[42:43], v[193:194]
	v_fma_f64 v[32:33], v[4:5], v[26:27], v[195:196]
	v_fma_f64 v[26:27], v[2:3], v[26:27], -v[28:29]
	v_fma_f64 v[16:17], v[16:17], v[30:31], v[22:23]
	v_fma_f64 v[14:15], v[14:15], v[30:31], -v[24:25]
	v_add_f64 v[18:19], v[18:19], v[10:11]
	v_add_f64 v[20:21], v[20:21], v[12:13]
	ds_load_b128 v[2:5], v1 offset:1408
	ds_load_b128 v[10:13], v1 offset:1424
	s_waitcnt vmcnt(4) lgkmcnt(1)
	v_mul_f64 v[28:29], v[2:3], v[36:37]
	v_mul_f64 v[36:37], v[4:5], v[36:37]
	s_waitcnt vmcnt(2) lgkmcnt(0)
	v_mul_f64 v[22:23], v[10:11], v[191:192]
	v_mul_f64 v[24:25], v[12:13], v[191:192]
	v_add_f64 v[18:19], v[18:19], v[26:27]
	v_add_f64 v[20:21], v[20:21], v[32:33]
	v_fma_f64 v[26:27], v[4:5], v[34:35], v[28:29]
	v_fma_f64 v[28:29], v[2:3], v[34:35], -v[36:37]
	v_fma_f64 v[12:13], v[12:13], v[189:190], v[22:23]
	v_fma_f64 v[10:11], v[10:11], v[189:190], -v[24:25]
	v_add_f64 v[18:19], v[18:19], v[14:15]
	v_add_f64 v[20:21], v[20:21], v[16:17]
	ds_load_b128 v[2:5], v1 offset:1440
	ds_load_b128 v[14:17], v1 offset:1456
	s_waitcnt vmcnt(1) lgkmcnt(1)
	v_mul_f64 v[30:31], v[2:3], v[40:41]
	v_mul_f64 v[32:33], v[4:5], v[40:41]
	s_waitcnt vmcnt(0) lgkmcnt(0)
	v_mul_f64 v[22:23], v[14:15], v[8:9]
	v_mul_f64 v[8:9], v[16:17], v[8:9]
	v_add_f64 v[18:19], v[18:19], v[28:29]
	v_add_f64 v[20:21], v[20:21], v[26:27]
	v_fma_f64 v[4:5], v[4:5], v[38:39], v[30:31]
	v_fma_f64 v[1:2], v[2:3], v[38:39], -v[32:33]
	v_fma_f64 v[16:17], v[16:17], v[6:7], v[22:23]
	v_fma_f64 v[6:7], v[14:15], v[6:7], -v[8:9]
	v_add_f64 v[10:11], v[18:19], v[10:11]
	v_add_f64 v[12:13], v[20:21], v[12:13]
	s_delay_alu instid0(VALU_DEP_2) | instskip(NEXT) | instid1(VALU_DEP_2)
	v_add_f64 v[1:2], v[10:11], v[1:2]
	v_add_f64 v[3:4], v[12:13], v[4:5]
	s_delay_alu instid0(VALU_DEP_2) | instskip(NEXT) | instid1(VALU_DEP_2)
	;; [unrolled: 3-line block ×3, first 2 shown]
	v_add_f64 v[1:2], v[185:186], -v[1:2]
	v_add_f64 v[3:4], v[187:188], -v[3:4]
	scratch_store_b128 off, v[1:4], off offset:528
	v_cmpx_lt_u32_e32 32, v138
	s_cbranch_execz .LBB109_225
; %bb.224:
	scratch_load_b128 v[1:4], v146, off
	v_mov_b32_e32 v5, 0
	s_delay_alu instid0(VALU_DEP_1)
	v_mov_b32_e32 v6, v5
	v_mov_b32_e32 v7, v5
	v_mov_b32_e32 v8, v5
	scratch_store_b128 off, v[5:8], off offset:512
	s_waitcnt vmcnt(0)
	ds_store_b128 v184, v[1:4]
.LBB109_225:
	s_or_b32 exec_lo, exec_lo, s2
	s_waitcnt lgkmcnt(0)
	s_waitcnt_vscnt null, 0x0
	s_barrier
	buffer_gl0_inv
	s_clause 0x7
	scratch_load_b128 v[2:5], off, off offset:528
	scratch_load_b128 v[6:9], off, off offset:544
	scratch_load_b128 v[10:13], off, off offset:560
	scratch_load_b128 v[14:17], off, off offset:576
	scratch_load_b128 v[18:21], off, off offset:592
	scratch_load_b128 v[22:25], off, off offset:608
	scratch_load_b128 v[26:29], off, off offset:624
	scratch_load_b128 v[30:33], off, off offset:640
	v_mov_b32_e32 v1, 0
	s_mov_b32 s2, exec_lo
	ds_load_b128 v[34:37], v1 offset:1264
	s_clause 0x1
	scratch_load_b128 v[38:41], off, off offset:656
	scratch_load_b128 v[42:45], off, off offset:512
	ds_load_b128 v[185:188], v1 offset:1280
	scratch_load_b128 v[189:192], off, off offset:672
	s_waitcnt vmcnt(10) lgkmcnt(1)
	v_mul_f64 v[193:194], v[36:37], v[4:5]
	v_mul_f64 v[4:5], v[34:35], v[4:5]
	s_delay_alu instid0(VALU_DEP_2) | instskip(NEXT) | instid1(VALU_DEP_2)
	v_fma_f64 v[199:200], v[34:35], v[2:3], -v[193:194]
	v_fma_f64 v[201:202], v[36:37], v[2:3], v[4:5]
	scratch_load_b128 v[34:37], off, off offset:688
	ds_load_b128 v[2:5], v1 offset:1296
	s_waitcnt vmcnt(10) lgkmcnt(1)
	v_mul_f64 v[197:198], v[185:186], v[8:9]
	v_mul_f64 v[8:9], v[187:188], v[8:9]
	ds_load_b128 v[193:196], v1 offset:1312
	s_waitcnt vmcnt(9) lgkmcnt(1)
	v_mul_f64 v[203:204], v[2:3], v[12:13]
	v_mul_f64 v[12:13], v[4:5], v[12:13]
	v_fma_f64 v[187:188], v[187:188], v[6:7], v[197:198]
	v_fma_f64 v[185:186], v[185:186], v[6:7], -v[8:9]
	v_add_f64 v[197:198], v[199:200], 0
	v_add_f64 v[199:200], v[201:202], 0
	scratch_load_b128 v[6:9], off, off offset:704
	v_fma_f64 v[203:204], v[4:5], v[10:11], v[203:204]
	v_fma_f64 v[205:206], v[2:3], v[10:11], -v[12:13]
	scratch_load_b128 v[10:13], off, off offset:720
	ds_load_b128 v[2:5], v1 offset:1328
	s_waitcnt vmcnt(10) lgkmcnt(1)
	v_mul_f64 v[201:202], v[193:194], v[16:17]
	v_mul_f64 v[16:17], v[195:196], v[16:17]
	v_add_f64 v[197:198], v[197:198], v[185:186]
	v_add_f64 v[199:200], v[199:200], v[187:188]
	s_waitcnt vmcnt(9) lgkmcnt(0)
	v_mul_f64 v[207:208], v[2:3], v[20:21]
	v_mul_f64 v[20:21], v[4:5], v[20:21]
	ds_load_b128 v[185:188], v1 offset:1344
	v_fma_f64 v[195:196], v[195:196], v[14:15], v[201:202]
	v_fma_f64 v[14:15], v[193:194], v[14:15], -v[16:17]
	v_add_f64 v[16:17], v[197:198], v[205:206]
	v_add_f64 v[193:194], v[199:200], v[203:204]
	s_waitcnt vmcnt(8) lgkmcnt(0)
	v_mul_f64 v[197:198], v[185:186], v[24:25]
	v_mul_f64 v[24:25], v[187:188], v[24:25]
	v_fma_f64 v[199:200], v[4:5], v[18:19], v[207:208]
	v_fma_f64 v[18:19], v[2:3], v[18:19], -v[20:21]
	v_add_f64 v[20:21], v[16:17], v[14:15]
	v_add_f64 v[193:194], v[193:194], v[195:196]
	ds_load_b128 v[2:5], v1 offset:1360
	ds_load_b128 v[14:17], v1 offset:1376
	v_fma_f64 v[187:188], v[187:188], v[22:23], v[197:198]
	v_fma_f64 v[22:23], v[185:186], v[22:23], -v[24:25]
	s_waitcnt vmcnt(7) lgkmcnt(1)
	v_mul_f64 v[195:196], v[2:3], v[28:29]
	v_mul_f64 v[28:29], v[4:5], v[28:29]
	s_waitcnt vmcnt(6) lgkmcnt(0)
	v_mul_f64 v[24:25], v[14:15], v[32:33]
	v_mul_f64 v[32:33], v[16:17], v[32:33]
	v_add_f64 v[18:19], v[20:21], v[18:19]
	v_add_f64 v[20:21], v[193:194], v[199:200]
	v_fma_f64 v[185:186], v[4:5], v[26:27], v[195:196]
	v_fma_f64 v[26:27], v[2:3], v[26:27], -v[28:29]
	v_fma_f64 v[16:17], v[16:17], v[30:31], v[24:25]
	v_fma_f64 v[14:15], v[14:15], v[30:31], -v[32:33]
	v_add_f64 v[22:23], v[18:19], v[22:23]
	v_add_f64 v[28:29], v[20:21], v[187:188]
	ds_load_b128 v[2:5], v1 offset:1392
	ds_load_b128 v[18:21], v1 offset:1408
	s_waitcnt vmcnt(5) lgkmcnt(1)
	v_mul_f64 v[187:188], v[2:3], v[40:41]
	v_mul_f64 v[40:41], v[4:5], v[40:41]
	v_add_f64 v[22:23], v[22:23], v[26:27]
	v_add_f64 v[24:25], v[28:29], v[185:186]
	s_waitcnt vmcnt(3) lgkmcnt(0)
	v_mul_f64 v[26:27], v[18:19], v[191:192]
	v_mul_f64 v[28:29], v[20:21], v[191:192]
	v_fma_f64 v[30:31], v[4:5], v[38:39], v[187:188]
	v_fma_f64 v[32:33], v[2:3], v[38:39], -v[40:41]
	v_add_f64 v[22:23], v[22:23], v[14:15]
	v_add_f64 v[24:25], v[24:25], v[16:17]
	ds_load_b128 v[2:5], v1 offset:1424
	ds_load_b128 v[14:17], v1 offset:1440
	v_fma_f64 v[20:21], v[20:21], v[189:190], v[26:27]
	v_fma_f64 v[18:19], v[18:19], v[189:190], -v[28:29]
	s_waitcnt vmcnt(2) lgkmcnt(1)
	v_mul_f64 v[38:39], v[2:3], v[36:37]
	v_mul_f64 v[36:37], v[4:5], v[36:37]
	v_add_f64 v[22:23], v[22:23], v[32:33]
	v_add_f64 v[24:25], v[24:25], v[30:31]
	s_waitcnt vmcnt(1) lgkmcnt(0)
	v_mul_f64 v[26:27], v[14:15], v[8:9]
	v_mul_f64 v[8:9], v[16:17], v[8:9]
	v_fma_f64 v[28:29], v[4:5], v[34:35], v[38:39]
	v_fma_f64 v[30:31], v[2:3], v[34:35], -v[36:37]
	ds_load_b128 v[2:5], v1 offset:1456
	v_add_f64 v[18:19], v[22:23], v[18:19]
	v_add_f64 v[20:21], v[24:25], v[20:21]
	s_waitcnt vmcnt(0) lgkmcnt(0)
	v_mul_f64 v[22:23], v[2:3], v[12:13]
	v_mul_f64 v[12:13], v[4:5], v[12:13]
	v_fma_f64 v[16:17], v[16:17], v[6:7], v[26:27]
	v_fma_f64 v[6:7], v[14:15], v[6:7], -v[8:9]
	v_add_f64 v[8:9], v[18:19], v[30:31]
	v_add_f64 v[14:15], v[20:21], v[28:29]
	v_fma_f64 v[4:5], v[4:5], v[10:11], v[22:23]
	v_fma_f64 v[2:3], v[2:3], v[10:11], -v[12:13]
	s_delay_alu instid0(VALU_DEP_4) | instskip(NEXT) | instid1(VALU_DEP_4)
	v_add_f64 v[6:7], v[8:9], v[6:7]
	v_add_f64 v[8:9], v[14:15], v[16:17]
	s_delay_alu instid0(VALU_DEP_2) | instskip(NEXT) | instid1(VALU_DEP_2)
	v_add_f64 v[2:3], v[6:7], v[2:3]
	v_add_f64 v[4:5], v[8:9], v[4:5]
	s_delay_alu instid0(VALU_DEP_2) | instskip(NEXT) | instid1(VALU_DEP_2)
	v_add_f64 v[2:3], v[42:43], -v[2:3]
	v_add_f64 v[4:5], v[44:45], -v[4:5]
	scratch_store_b128 off, v[2:5], off offset:512
	v_cmpx_lt_u32_e32 31, v138
	s_cbranch_execz .LBB109_227
; %bb.226:
	scratch_load_b128 v[5:8], v148, off
	v_mov_b32_e32 v2, v1
	v_mov_b32_e32 v3, v1
	;; [unrolled: 1-line block ×3, first 2 shown]
	scratch_store_b128 off, v[1:4], off offset:496
	s_waitcnt vmcnt(0)
	ds_store_b128 v184, v[5:8]
.LBB109_227:
	s_or_b32 exec_lo, exec_lo, s2
	s_waitcnt lgkmcnt(0)
	s_waitcnt_vscnt null, 0x0
	s_barrier
	buffer_gl0_inv
	s_clause 0x8
	scratch_load_b128 v[2:5], off, off offset:512
	scratch_load_b128 v[6:9], off, off offset:528
	;; [unrolled: 1-line block ×9, first 2 shown]
	ds_load_b128 v[38:41], v1 offset:1248
	ds_load_b128 v[42:45], v1 offset:1264
	s_clause 0x1
	scratch_load_b128 v[185:188], off, off offset:496
	scratch_load_b128 v[189:192], off, off offset:656
	s_mov_b32 s2, exec_lo
	s_waitcnt vmcnt(10) lgkmcnt(1)
	v_mul_f64 v[193:194], v[40:41], v[4:5]
	v_mul_f64 v[4:5], v[38:39], v[4:5]
	s_waitcnt vmcnt(9) lgkmcnt(0)
	v_mul_f64 v[197:198], v[42:43], v[8:9]
	v_mul_f64 v[8:9], v[44:45], v[8:9]
	s_delay_alu instid0(VALU_DEP_4) | instskip(NEXT) | instid1(VALU_DEP_4)
	v_fma_f64 v[199:200], v[38:39], v[2:3], -v[193:194]
	v_fma_f64 v[201:202], v[40:41], v[2:3], v[4:5]
	ds_load_b128 v[2:5], v1 offset:1280
	ds_load_b128 v[193:196], v1 offset:1296
	scratch_load_b128 v[38:41], off, off offset:672
	v_fma_f64 v[44:45], v[44:45], v[6:7], v[197:198]
	v_fma_f64 v[42:43], v[42:43], v[6:7], -v[8:9]
	scratch_load_b128 v[6:9], off, off offset:688
	s_waitcnt vmcnt(10) lgkmcnt(1)
	v_mul_f64 v[203:204], v[2:3], v[12:13]
	v_mul_f64 v[12:13], v[4:5], v[12:13]
	v_add_f64 v[197:198], v[199:200], 0
	v_add_f64 v[199:200], v[201:202], 0
	s_waitcnt vmcnt(9) lgkmcnt(0)
	v_mul_f64 v[201:202], v[193:194], v[16:17]
	v_mul_f64 v[16:17], v[195:196], v[16:17]
	v_fma_f64 v[203:204], v[4:5], v[10:11], v[203:204]
	v_fma_f64 v[205:206], v[2:3], v[10:11], -v[12:13]
	ds_load_b128 v[2:5], v1 offset:1312
	scratch_load_b128 v[10:13], off, off offset:704
	v_add_f64 v[197:198], v[197:198], v[42:43]
	v_add_f64 v[199:200], v[199:200], v[44:45]
	ds_load_b128 v[42:45], v1 offset:1328
	v_fma_f64 v[195:196], v[195:196], v[14:15], v[201:202]
	v_fma_f64 v[193:194], v[193:194], v[14:15], -v[16:17]
	scratch_load_b128 v[14:17], off, off offset:720
	s_waitcnt vmcnt(10) lgkmcnt(1)
	v_mul_f64 v[207:208], v[2:3], v[20:21]
	v_mul_f64 v[20:21], v[4:5], v[20:21]
	s_waitcnt vmcnt(9) lgkmcnt(0)
	v_mul_f64 v[201:202], v[42:43], v[24:25]
	v_mul_f64 v[24:25], v[44:45], v[24:25]
	v_add_f64 v[197:198], v[197:198], v[205:206]
	v_add_f64 v[199:200], v[199:200], v[203:204]
	v_fma_f64 v[203:204], v[4:5], v[18:19], v[207:208]
	v_fma_f64 v[205:206], v[2:3], v[18:19], -v[20:21]
	ds_load_b128 v[2:5], v1 offset:1344
	ds_load_b128 v[18:21], v1 offset:1360
	v_fma_f64 v[44:45], v[44:45], v[22:23], v[201:202]
	v_fma_f64 v[22:23], v[42:43], v[22:23], -v[24:25]
	v_add_f64 v[193:194], v[197:198], v[193:194]
	v_add_f64 v[195:196], v[199:200], v[195:196]
	s_waitcnt vmcnt(8) lgkmcnt(1)
	v_mul_f64 v[197:198], v[2:3], v[28:29]
	v_mul_f64 v[28:29], v[4:5], v[28:29]
	s_delay_alu instid0(VALU_DEP_4) | instskip(NEXT) | instid1(VALU_DEP_4)
	v_add_f64 v[24:25], v[193:194], v[205:206]
	v_add_f64 v[42:43], v[195:196], v[203:204]
	s_waitcnt vmcnt(7) lgkmcnt(0)
	v_mul_f64 v[193:194], v[18:19], v[32:33]
	v_mul_f64 v[32:33], v[20:21], v[32:33]
	v_fma_f64 v[195:196], v[4:5], v[26:27], v[197:198]
	v_fma_f64 v[26:27], v[2:3], v[26:27], -v[28:29]
	v_add_f64 v[28:29], v[24:25], v[22:23]
	v_add_f64 v[42:43], v[42:43], v[44:45]
	ds_load_b128 v[2:5], v1 offset:1376
	ds_load_b128 v[22:25], v1 offset:1392
	v_fma_f64 v[20:21], v[20:21], v[30:31], v[193:194]
	v_fma_f64 v[18:19], v[18:19], v[30:31], -v[32:33]
	s_waitcnt vmcnt(6) lgkmcnt(1)
	v_mul_f64 v[44:45], v[2:3], v[36:37]
	v_mul_f64 v[36:37], v[4:5], v[36:37]
	s_waitcnt vmcnt(4) lgkmcnt(0)
	v_mul_f64 v[30:31], v[22:23], v[191:192]
	v_mul_f64 v[32:33], v[24:25], v[191:192]
	v_add_f64 v[26:27], v[28:29], v[26:27]
	v_add_f64 v[28:29], v[42:43], v[195:196]
	v_fma_f64 v[42:43], v[4:5], v[34:35], v[44:45]
	v_fma_f64 v[34:35], v[2:3], v[34:35], -v[36:37]
	v_fma_f64 v[24:25], v[24:25], v[189:190], v[30:31]
	v_fma_f64 v[22:23], v[22:23], v[189:190], -v[32:33]
	v_add_f64 v[26:27], v[26:27], v[18:19]
	v_add_f64 v[28:29], v[28:29], v[20:21]
	ds_load_b128 v[2:5], v1 offset:1408
	ds_load_b128 v[18:21], v1 offset:1424
	s_waitcnt vmcnt(3) lgkmcnt(1)
	v_mul_f64 v[36:37], v[2:3], v[40:41]
	v_mul_f64 v[40:41], v[4:5], v[40:41]
	s_waitcnt vmcnt(2) lgkmcnt(0)
	v_mul_f64 v[30:31], v[18:19], v[8:9]
	v_mul_f64 v[8:9], v[20:21], v[8:9]
	v_add_f64 v[26:27], v[26:27], v[34:35]
	v_add_f64 v[28:29], v[28:29], v[42:43]
	v_fma_f64 v[32:33], v[4:5], v[38:39], v[36:37]
	v_fma_f64 v[34:35], v[2:3], v[38:39], -v[40:41]
	v_fma_f64 v[20:21], v[20:21], v[6:7], v[30:31]
	v_fma_f64 v[6:7], v[18:19], v[6:7], -v[8:9]
	v_add_f64 v[26:27], v[26:27], v[22:23]
	v_add_f64 v[28:29], v[28:29], v[24:25]
	ds_load_b128 v[2:5], v1 offset:1440
	ds_load_b128 v[22:25], v1 offset:1456
	s_waitcnt vmcnt(1) lgkmcnt(1)
	v_mul_f64 v[36:37], v[2:3], v[12:13]
	v_mul_f64 v[12:13], v[4:5], v[12:13]
	v_add_f64 v[8:9], v[26:27], v[34:35]
	v_add_f64 v[18:19], v[28:29], v[32:33]
	s_waitcnt vmcnt(0) lgkmcnt(0)
	v_mul_f64 v[26:27], v[22:23], v[16:17]
	v_mul_f64 v[16:17], v[24:25], v[16:17]
	v_fma_f64 v[4:5], v[4:5], v[10:11], v[36:37]
	v_fma_f64 v[1:2], v[2:3], v[10:11], -v[12:13]
	v_add_f64 v[6:7], v[8:9], v[6:7]
	v_add_f64 v[8:9], v[18:19], v[20:21]
	v_fma_f64 v[10:11], v[24:25], v[14:15], v[26:27]
	v_fma_f64 v[12:13], v[22:23], v[14:15], -v[16:17]
	s_delay_alu instid0(VALU_DEP_4) | instskip(NEXT) | instid1(VALU_DEP_4)
	v_add_f64 v[1:2], v[6:7], v[1:2]
	v_add_f64 v[3:4], v[8:9], v[4:5]
	s_delay_alu instid0(VALU_DEP_2) | instskip(NEXT) | instid1(VALU_DEP_2)
	v_add_f64 v[1:2], v[1:2], v[12:13]
	v_add_f64 v[3:4], v[3:4], v[10:11]
	s_delay_alu instid0(VALU_DEP_2) | instskip(NEXT) | instid1(VALU_DEP_2)
	v_add_f64 v[1:2], v[185:186], -v[1:2]
	v_add_f64 v[3:4], v[187:188], -v[3:4]
	scratch_store_b128 off, v[1:4], off offset:496
	v_cmpx_lt_u32_e32 30, v138
	s_cbranch_execz .LBB109_229
; %bb.228:
	scratch_load_b128 v[1:4], v149, off
	v_mov_b32_e32 v5, 0
	s_delay_alu instid0(VALU_DEP_1)
	v_mov_b32_e32 v6, v5
	v_mov_b32_e32 v7, v5
	;; [unrolled: 1-line block ×3, first 2 shown]
	scratch_store_b128 off, v[5:8], off offset:480
	s_waitcnt vmcnt(0)
	ds_store_b128 v184, v[1:4]
.LBB109_229:
	s_or_b32 exec_lo, exec_lo, s2
	s_waitcnt lgkmcnt(0)
	s_waitcnt_vscnt null, 0x0
	s_barrier
	buffer_gl0_inv
	s_clause 0x7
	scratch_load_b128 v[2:5], off, off offset:496
	scratch_load_b128 v[6:9], off, off offset:512
	;; [unrolled: 1-line block ×8, first 2 shown]
	v_mov_b32_e32 v1, 0
	s_mov_b32 s2, exec_lo
	ds_load_b128 v[34:37], v1 offset:1232
	s_clause 0x1
	scratch_load_b128 v[38:41], off, off offset:624
	scratch_load_b128 v[42:45], off, off offset:480
	ds_load_b128 v[185:188], v1 offset:1248
	scratch_load_b128 v[189:192], off, off offset:640
	s_waitcnt vmcnt(10) lgkmcnt(1)
	v_mul_f64 v[193:194], v[36:37], v[4:5]
	v_mul_f64 v[4:5], v[34:35], v[4:5]
	s_delay_alu instid0(VALU_DEP_2) | instskip(NEXT) | instid1(VALU_DEP_2)
	v_fma_f64 v[199:200], v[34:35], v[2:3], -v[193:194]
	v_fma_f64 v[201:202], v[36:37], v[2:3], v[4:5]
	scratch_load_b128 v[34:37], off, off offset:656
	ds_load_b128 v[2:5], v1 offset:1264
	s_waitcnt vmcnt(10) lgkmcnt(1)
	v_mul_f64 v[197:198], v[185:186], v[8:9]
	v_mul_f64 v[8:9], v[187:188], v[8:9]
	ds_load_b128 v[193:196], v1 offset:1280
	s_waitcnt vmcnt(9) lgkmcnt(1)
	v_mul_f64 v[203:204], v[2:3], v[12:13]
	v_mul_f64 v[12:13], v[4:5], v[12:13]
	v_fma_f64 v[187:188], v[187:188], v[6:7], v[197:198]
	v_fma_f64 v[185:186], v[185:186], v[6:7], -v[8:9]
	v_add_f64 v[197:198], v[199:200], 0
	v_add_f64 v[199:200], v[201:202], 0
	scratch_load_b128 v[6:9], off, off offset:672
	v_fma_f64 v[203:204], v[4:5], v[10:11], v[203:204]
	v_fma_f64 v[205:206], v[2:3], v[10:11], -v[12:13]
	scratch_load_b128 v[10:13], off, off offset:688
	ds_load_b128 v[2:5], v1 offset:1296
	s_waitcnt vmcnt(10) lgkmcnt(1)
	v_mul_f64 v[201:202], v[193:194], v[16:17]
	v_mul_f64 v[16:17], v[195:196], v[16:17]
	v_add_f64 v[197:198], v[197:198], v[185:186]
	v_add_f64 v[199:200], v[199:200], v[187:188]
	s_waitcnt vmcnt(9) lgkmcnt(0)
	v_mul_f64 v[207:208], v[2:3], v[20:21]
	v_mul_f64 v[20:21], v[4:5], v[20:21]
	ds_load_b128 v[185:188], v1 offset:1312
	v_fma_f64 v[195:196], v[195:196], v[14:15], v[201:202]
	v_fma_f64 v[193:194], v[193:194], v[14:15], -v[16:17]
	scratch_load_b128 v[14:17], off, off offset:704
	v_add_f64 v[197:198], v[197:198], v[205:206]
	v_add_f64 v[199:200], v[199:200], v[203:204]
	v_fma_f64 v[203:204], v[4:5], v[18:19], v[207:208]
	v_fma_f64 v[205:206], v[2:3], v[18:19], -v[20:21]
	scratch_load_b128 v[18:21], off, off offset:720
	ds_load_b128 v[2:5], v1 offset:1328
	s_waitcnt vmcnt(10) lgkmcnt(1)
	v_mul_f64 v[201:202], v[185:186], v[24:25]
	v_mul_f64 v[24:25], v[187:188], v[24:25]
	s_waitcnt vmcnt(9) lgkmcnt(0)
	v_mul_f64 v[207:208], v[2:3], v[28:29]
	v_mul_f64 v[28:29], v[4:5], v[28:29]
	v_add_f64 v[197:198], v[197:198], v[193:194]
	v_add_f64 v[199:200], v[199:200], v[195:196]
	ds_load_b128 v[193:196], v1 offset:1344
	v_fma_f64 v[187:188], v[187:188], v[22:23], v[201:202]
	v_fma_f64 v[22:23], v[185:186], v[22:23], -v[24:25]
	v_add_f64 v[24:25], v[197:198], v[205:206]
	v_add_f64 v[185:186], v[199:200], v[203:204]
	s_waitcnt vmcnt(8) lgkmcnt(0)
	v_mul_f64 v[197:198], v[193:194], v[32:33]
	v_mul_f64 v[32:33], v[195:196], v[32:33]
	v_fma_f64 v[199:200], v[4:5], v[26:27], v[207:208]
	v_fma_f64 v[26:27], v[2:3], v[26:27], -v[28:29]
	v_add_f64 v[28:29], v[24:25], v[22:23]
	v_add_f64 v[185:186], v[185:186], v[187:188]
	ds_load_b128 v[2:5], v1 offset:1360
	ds_load_b128 v[22:25], v1 offset:1376
	v_fma_f64 v[195:196], v[195:196], v[30:31], v[197:198]
	v_fma_f64 v[30:31], v[193:194], v[30:31], -v[32:33]
	s_waitcnt vmcnt(7) lgkmcnt(1)
	v_mul_f64 v[187:188], v[2:3], v[40:41]
	v_mul_f64 v[40:41], v[4:5], v[40:41]
	s_waitcnt vmcnt(5) lgkmcnt(0)
	v_mul_f64 v[32:33], v[22:23], v[191:192]
	v_add_f64 v[26:27], v[28:29], v[26:27]
	v_add_f64 v[28:29], v[185:186], v[199:200]
	v_mul_f64 v[185:186], v[24:25], v[191:192]
	v_fma_f64 v[187:188], v[4:5], v[38:39], v[187:188]
	v_fma_f64 v[38:39], v[2:3], v[38:39], -v[40:41]
	v_fma_f64 v[24:25], v[24:25], v[189:190], v[32:33]
	v_add_f64 v[30:31], v[26:27], v[30:31]
	v_add_f64 v[40:41], v[28:29], v[195:196]
	ds_load_b128 v[2:5], v1 offset:1392
	ds_load_b128 v[26:29], v1 offset:1408
	v_fma_f64 v[22:23], v[22:23], v[189:190], -v[185:186]
	s_waitcnt vmcnt(4) lgkmcnt(1)
	v_mul_f64 v[191:192], v[2:3], v[36:37]
	v_mul_f64 v[36:37], v[4:5], v[36:37]
	v_add_f64 v[30:31], v[30:31], v[38:39]
	v_add_f64 v[32:33], v[40:41], v[187:188]
	s_waitcnt vmcnt(3) lgkmcnt(0)
	v_mul_f64 v[38:39], v[26:27], v[8:9]
	v_mul_f64 v[8:9], v[28:29], v[8:9]
	v_fma_f64 v[40:41], v[4:5], v[34:35], v[191:192]
	v_fma_f64 v[34:35], v[2:3], v[34:35], -v[36:37]
	v_add_f64 v[30:31], v[30:31], v[22:23]
	v_add_f64 v[32:33], v[32:33], v[24:25]
	ds_load_b128 v[2:5], v1 offset:1424
	ds_load_b128 v[22:25], v1 offset:1440
	v_fma_f64 v[28:29], v[28:29], v[6:7], v[38:39]
	v_fma_f64 v[6:7], v[26:27], v[6:7], -v[8:9]
	s_waitcnt vmcnt(2) lgkmcnt(1)
	v_mul_f64 v[36:37], v[2:3], v[12:13]
	v_mul_f64 v[12:13], v[4:5], v[12:13]
	v_add_f64 v[8:9], v[30:31], v[34:35]
	v_add_f64 v[26:27], v[32:33], v[40:41]
	s_waitcnt vmcnt(1) lgkmcnt(0)
	v_mul_f64 v[30:31], v[22:23], v[16:17]
	v_mul_f64 v[16:17], v[24:25], v[16:17]
	v_fma_f64 v[32:33], v[4:5], v[10:11], v[36:37]
	v_fma_f64 v[10:11], v[2:3], v[10:11], -v[12:13]
	ds_load_b128 v[2:5], v1 offset:1456
	v_add_f64 v[6:7], v[8:9], v[6:7]
	v_add_f64 v[8:9], v[26:27], v[28:29]
	v_fma_f64 v[24:25], v[24:25], v[14:15], v[30:31]
	v_fma_f64 v[14:15], v[22:23], v[14:15], -v[16:17]
	s_waitcnt vmcnt(0) lgkmcnt(0)
	v_mul_f64 v[12:13], v[2:3], v[20:21]
	v_mul_f64 v[20:21], v[4:5], v[20:21]
	v_add_f64 v[6:7], v[6:7], v[10:11]
	v_add_f64 v[8:9], v[8:9], v[32:33]
	s_delay_alu instid0(VALU_DEP_4) | instskip(NEXT) | instid1(VALU_DEP_4)
	v_fma_f64 v[4:5], v[4:5], v[18:19], v[12:13]
	v_fma_f64 v[2:3], v[2:3], v[18:19], -v[20:21]
	s_delay_alu instid0(VALU_DEP_4) | instskip(NEXT) | instid1(VALU_DEP_4)
	v_add_f64 v[6:7], v[6:7], v[14:15]
	v_add_f64 v[8:9], v[8:9], v[24:25]
	s_delay_alu instid0(VALU_DEP_2) | instskip(NEXT) | instid1(VALU_DEP_2)
	v_add_f64 v[2:3], v[6:7], v[2:3]
	v_add_f64 v[4:5], v[8:9], v[4:5]
	s_delay_alu instid0(VALU_DEP_2) | instskip(NEXT) | instid1(VALU_DEP_2)
	v_add_f64 v[2:3], v[42:43], -v[2:3]
	v_add_f64 v[4:5], v[44:45], -v[4:5]
	scratch_store_b128 off, v[2:5], off offset:480
	v_cmpx_lt_u32_e32 29, v138
	s_cbranch_execz .LBB109_231
; %bb.230:
	scratch_load_b128 v[5:8], v152, off
	v_mov_b32_e32 v2, v1
	v_mov_b32_e32 v3, v1
	;; [unrolled: 1-line block ×3, first 2 shown]
	scratch_store_b128 off, v[1:4], off offset:464
	s_waitcnt vmcnt(0)
	ds_store_b128 v184, v[5:8]
.LBB109_231:
	s_or_b32 exec_lo, exec_lo, s2
	s_waitcnt lgkmcnt(0)
	s_waitcnt_vscnt null, 0x0
	s_barrier
	buffer_gl0_inv
	s_clause 0x8
	scratch_load_b128 v[2:5], off, off offset:480
	scratch_load_b128 v[6:9], off, off offset:496
	;; [unrolled: 1-line block ×9, first 2 shown]
	ds_load_b128 v[38:41], v1 offset:1216
	ds_load_b128 v[42:45], v1 offset:1232
	s_clause 0x1
	scratch_load_b128 v[185:188], off, off offset:464
	scratch_load_b128 v[189:192], off, off offset:624
	s_mov_b32 s2, exec_lo
	s_waitcnt vmcnt(10) lgkmcnt(1)
	v_mul_f64 v[193:194], v[40:41], v[4:5]
	v_mul_f64 v[4:5], v[38:39], v[4:5]
	s_waitcnt vmcnt(9) lgkmcnt(0)
	v_mul_f64 v[197:198], v[42:43], v[8:9]
	v_mul_f64 v[8:9], v[44:45], v[8:9]
	s_delay_alu instid0(VALU_DEP_4) | instskip(NEXT) | instid1(VALU_DEP_4)
	v_fma_f64 v[199:200], v[38:39], v[2:3], -v[193:194]
	v_fma_f64 v[201:202], v[40:41], v[2:3], v[4:5]
	ds_load_b128 v[2:5], v1 offset:1248
	ds_load_b128 v[193:196], v1 offset:1264
	scratch_load_b128 v[38:41], off, off offset:640
	v_fma_f64 v[44:45], v[44:45], v[6:7], v[197:198]
	v_fma_f64 v[42:43], v[42:43], v[6:7], -v[8:9]
	scratch_load_b128 v[6:9], off, off offset:656
	s_waitcnt vmcnt(10) lgkmcnt(1)
	v_mul_f64 v[203:204], v[2:3], v[12:13]
	v_mul_f64 v[12:13], v[4:5], v[12:13]
	v_add_f64 v[197:198], v[199:200], 0
	v_add_f64 v[199:200], v[201:202], 0
	s_waitcnt vmcnt(9) lgkmcnt(0)
	v_mul_f64 v[201:202], v[193:194], v[16:17]
	v_mul_f64 v[16:17], v[195:196], v[16:17]
	v_fma_f64 v[203:204], v[4:5], v[10:11], v[203:204]
	v_fma_f64 v[205:206], v[2:3], v[10:11], -v[12:13]
	ds_load_b128 v[2:5], v1 offset:1280
	scratch_load_b128 v[10:13], off, off offset:672
	v_add_f64 v[197:198], v[197:198], v[42:43]
	v_add_f64 v[199:200], v[199:200], v[44:45]
	ds_load_b128 v[42:45], v1 offset:1296
	v_fma_f64 v[195:196], v[195:196], v[14:15], v[201:202]
	v_fma_f64 v[193:194], v[193:194], v[14:15], -v[16:17]
	scratch_load_b128 v[14:17], off, off offset:688
	s_waitcnt vmcnt(10) lgkmcnt(1)
	v_mul_f64 v[207:208], v[2:3], v[20:21]
	v_mul_f64 v[20:21], v[4:5], v[20:21]
	s_waitcnt vmcnt(9) lgkmcnt(0)
	v_mul_f64 v[201:202], v[42:43], v[24:25]
	v_mul_f64 v[24:25], v[44:45], v[24:25]
	v_add_f64 v[197:198], v[197:198], v[205:206]
	v_add_f64 v[199:200], v[199:200], v[203:204]
	v_fma_f64 v[203:204], v[4:5], v[18:19], v[207:208]
	v_fma_f64 v[205:206], v[2:3], v[18:19], -v[20:21]
	ds_load_b128 v[2:5], v1 offset:1312
	scratch_load_b128 v[18:21], off, off offset:704
	v_fma_f64 v[44:45], v[44:45], v[22:23], v[201:202]
	v_fma_f64 v[42:43], v[42:43], v[22:23], -v[24:25]
	scratch_load_b128 v[22:25], off, off offset:720
	v_add_f64 v[197:198], v[197:198], v[193:194]
	v_add_f64 v[199:200], v[199:200], v[195:196]
	ds_load_b128 v[193:196], v1 offset:1328
	s_waitcnt vmcnt(10) lgkmcnt(1)
	v_mul_f64 v[207:208], v[2:3], v[28:29]
	v_mul_f64 v[28:29], v[4:5], v[28:29]
	s_waitcnt vmcnt(9) lgkmcnt(0)
	v_mul_f64 v[201:202], v[193:194], v[32:33]
	v_mul_f64 v[32:33], v[195:196], v[32:33]
	v_add_f64 v[197:198], v[197:198], v[205:206]
	v_add_f64 v[199:200], v[199:200], v[203:204]
	v_fma_f64 v[203:204], v[4:5], v[26:27], v[207:208]
	v_fma_f64 v[205:206], v[2:3], v[26:27], -v[28:29]
	ds_load_b128 v[2:5], v1 offset:1344
	ds_load_b128 v[26:29], v1 offset:1360
	v_fma_f64 v[195:196], v[195:196], v[30:31], v[201:202]
	v_fma_f64 v[30:31], v[193:194], v[30:31], -v[32:33]
	v_add_f64 v[42:43], v[197:198], v[42:43]
	v_add_f64 v[44:45], v[199:200], v[44:45]
	s_waitcnt vmcnt(8) lgkmcnt(1)
	v_mul_f64 v[197:198], v[2:3], v[36:37]
	v_mul_f64 v[36:37], v[4:5], v[36:37]
	s_delay_alu instid0(VALU_DEP_4) | instskip(NEXT) | instid1(VALU_DEP_4)
	v_add_f64 v[32:33], v[42:43], v[205:206]
	v_add_f64 v[42:43], v[44:45], v[203:204]
	s_waitcnt vmcnt(6) lgkmcnt(0)
	v_mul_f64 v[44:45], v[26:27], v[191:192]
	v_mul_f64 v[191:192], v[28:29], v[191:192]
	v_fma_f64 v[193:194], v[4:5], v[34:35], v[197:198]
	v_fma_f64 v[34:35], v[2:3], v[34:35], -v[36:37]
	v_add_f64 v[36:37], v[32:33], v[30:31]
	v_add_f64 v[42:43], v[42:43], v[195:196]
	ds_load_b128 v[2:5], v1 offset:1376
	ds_load_b128 v[30:33], v1 offset:1392
	v_fma_f64 v[28:29], v[28:29], v[189:190], v[44:45]
	v_fma_f64 v[26:27], v[26:27], v[189:190], -v[191:192]
	s_waitcnt vmcnt(5) lgkmcnt(1)
	v_mul_f64 v[195:196], v[2:3], v[40:41]
	v_mul_f64 v[40:41], v[4:5], v[40:41]
	v_add_f64 v[34:35], v[36:37], v[34:35]
	v_add_f64 v[36:37], v[42:43], v[193:194]
	s_waitcnt vmcnt(4) lgkmcnt(0)
	v_mul_f64 v[42:43], v[30:31], v[8:9]
	v_mul_f64 v[8:9], v[32:33], v[8:9]
	v_fma_f64 v[44:45], v[4:5], v[38:39], v[195:196]
	v_fma_f64 v[38:39], v[2:3], v[38:39], -v[40:41]
	v_add_f64 v[34:35], v[34:35], v[26:27]
	v_add_f64 v[36:37], v[36:37], v[28:29]
	ds_load_b128 v[2:5], v1 offset:1408
	ds_load_b128 v[26:29], v1 offset:1424
	v_fma_f64 v[32:33], v[32:33], v[6:7], v[42:43]
	v_fma_f64 v[6:7], v[30:31], v[6:7], -v[8:9]
	s_waitcnt vmcnt(3) lgkmcnt(1)
	v_mul_f64 v[40:41], v[2:3], v[12:13]
	v_mul_f64 v[12:13], v[4:5], v[12:13]
	;; [unrolled: 16-line block ×3, first 2 shown]
	s_waitcnt vmcnt(0) lgkmcnt(0)
	v_mul_f64 v[16:17], v[6:7], v[24:25]
	v_mul_f64 v[24:25], v[8:9], v[24:25]
	v_add_f64 v[10:11], v[12:13], v[10:11]
	v_add_f64 v[12:13], v[30:31], v[36:37]
	v_fma_f64 v[4:5], v[4:5], v[18:19], v[32:33]
	v_fma_f64 v[1:2], v[2:3], v[18:19], -v[20:21]
	v_fma_f64 v[8:9], v[8:9], v[22:23], v[16:17]
	v_fma_f64 v[6:7], v[6:7], v[22:23], -v[24:25]
	v_add_f64 v[10:11], v[10:11], v[14:15]
	v_add_f64 v[12:13], v[12:13], v[28:29]
	s_delay_alu instid0(VALU_DEP_2) | instskip(NEXT) | instid1(VALU_DEP_2)
	v_add_f64 v[1:2], v[10:11], v[1:2]
	v_add_f64 v[3:4], v[12:13], v[4:5]
	s_delay_alu instid0(VALU_DEP_2) | instskip(NEXT) | instid1(VALU_DEP_2)
	;; [unrolled: 3-line block ×3, first 2 shown]
	v_add_f64 v[1:2], v[185:186], -v[1:2]
	v_add_f64 v[3:4], v[187:188], -v[3:4]
	scratch_store_b128 off, v[1:4], off offset:464
	v_cmpx_lt_u32_e32 28, v138
	s_cbranch_execz .LBB109_233
; %bb.232:
	scratch_load_b128 v[1:4], v153, off
	v_mov_b32_e32 v5, 0
	s_delay_alu instid0(VALU_DEP_1)
	v_mov_b32_e32 v6, v5
	v_mov_b32_e32 v7, v5
	;; [unrolled: 1-line block ×3, first 2 shown]
	scratch_store_b128 off, v[5:8], off offset:448
	s_waitcnt vmcnt(0)
	ds_store_b128 v184, v[1:4]
.LBB109_233:
	s_or_b32 exec_lo, exec_lo, s2
	s_waitcnt lgkmcnt(0)
	s_waitcnt_vscnt null, 0x0
	s_barrier
	buffer_gl0_inv
	s_clause 0x7
	scratch_load_b128 v[2:5], off, off offset:464
	scratch_load_b128 v[6:9], off, off offset:480
	;; [unrolled: 1-line block ×8, first 2 shown]
	v_mov_b32_e32 v1, 0
	s_mov_b32 s2, exec_lo
	ds_load_b128 v[34:37], v1 offset:1200
	s_clause 0x1
	scratch_load_b128 v[38:41], off, off offset:592
	scratch_load_b128 v[42:45], off, off offset:448
	ds_load_b128 v[185:188], v1 offset:1216
	scratch_load_b128 v[189:192], off, off offset:608
	s_waitcnt vmcnt(10) lgkmcnt(1)
	v_mul_f64 v[193:194], v[36:37], v[4:5]
	v_mul_f64 v[4:5], v[34:35], v[4:5]
	s_delay_alu instid0(VALU_DEP_2) | instskip(NEXT) | instid1(VALU_DEP_2)
	v_fma_f64 v[199:200], v[34:35], v[2:3], -v[193:194]
	v_fma_f64 v[201:202], v[36:37], v[2:3], v[4:5]
	scratch_load_b128 v[34:37], off, off offset:624
	ds_load_b128 v[2:5], v1 offset:1232
	s_waitcnt vmcnt(10) lgkmcnt(1)
	v_mul_f64 v[197:198], v[185:186], v[8:9]
	v_mul_f64 v[8:9], v[187:188], v[8:9]
	ds_load_b128 v[193:196], v1 offset:1248
	s_waitcnt vmcnt(9) lgkmcnt(1)
	v_mul_f64 v[203:204], v[2:3], v[12:13]
	v_mul_f64 v[12:13], v[4:5], v[12:13]
	v_fma_f64 v[187:188], v[187:188], v[6:7], v[197:198]
	v_fma_f64 v[185:186], v[185:186], v[6:7], -v[8:9]
	v_add_f64 v[197:198], v[199:200], 0
	v_add_f64 v[199:200], v[201:202], 0
	scratch_load_b128 v[6:9], off, off offset:640
	v_fma_f64 v[203:204], v[4:5], v[10:11], v[203:204]
	v_fma_f64 v[205:206], v[2:3], v[10:11], -v[12:13]
	scratch_load_b128 v[10:13], off, off offset:656
	ds_load_b128 v[2:5], v1 offset:1264
	s_waitcnt vmcnt(10) lgkmcnt(1)
	v_mul_f64 v[201:202], v[193:194], v[16:17]
	v_mul_f64 v[16:17], v[195:196], v[16:17]
	v_add_f64 v[197:198], v[197:198], v[185:186]
	v_add_f64 v[199:200], v[199:200], v[187:188]
	s_waitcnt vmcnt(9) lgkmcnt(0)
	v_mul_f64 v[207:208], v[2:3], v[20:21]
	v_mul_f64 v[20:21], v[4:5], v[20:21]
	ds_load_b128 v[185:188], v1 offset:1280
	v_fma_f64 v[195:196], v[195:196], v[14:15], v[201:202]
	v_fma_f64 v[193:194], v[193:194], v[14:15], -v[16:17]
	scratch_load_b128 v[14:17], off, off offset:672
	v_add_f64 v[197:198], v[197:198], v[205:206]
	v_add_f64 v[199:200], v[199:200], v[203:204]
	v_fma_f64 v[203:204], v[4:5], v[18:19], v[207:208]
	v_fma_f64 v[205:206], v[2:3], v[18:19], -v[20:21]
	scratch_load_b128 v[18:21], off, off offset:688
	ds_load_b128 v[2:5], v1 offset:1296
	s_waitcnt vmcnt(10) lgkmcnt(1)
	v_mul_f64 v[201:202], v[185:186], v[24:25]
	v_mul_f64 v[24:25], v[187:188], v[24:25]
	s_waitcnt vmcnt(9) lgkmcnt(0)
	v_mul_f64 v[207:208], v[2:3], v[28:29]
	v_mul_f64 v[28:29], v[4:5], v[28:29]
	v_add_f64 v[197:198], v[197:198], v[193:194]
	v_add_f64 v[199:200], v[199:200], v[195:196]
	ds_load_b128 v[193:196], v1 offset:1312
	v_fma_f64 v[187:188], v[187:188], v[22:23], v[201:202]
	v_fma_f64 v[185:186], v[185:186], v[22:23], -v[24:25]
	scratch_load_b128 v[22:25], off, off offset:704
	v_add_f64 v[197:198], v[197:198], v[205:206]
	v_add_f64 v[199:200], v[199:200], v[203:204]
	v_fma_f64 v[203:204], v[4:5], v[26:27], v[207:208]
	v_fma_f64 v[205:206], v[2:3], v[26:27], -v[28:29]
	scratch_load_b128 v[26:29], off, off offset:720
	ds_load_b128 v[2:5], v1 offset:1328
	s_waitcnt vmcnt(10) lgkmcnt(1)
	v_mul_f64 v[201:202], v[193:194], v[32:33]
	v_mul_f64 v[32:33], v[195:196], v[32:33]
	s_waitcnt vmcnt(9) lgkmcnt(0)
	v_mul_f64 v[207:208], v[2:3], v[40:41]
	v_mul_f64 v[40:41], v[4:5], v[40:41]
	v_add_f64 v[197:198], v[197:198], v[185:186]
	v_add_f64 v[199:200], v[199:200], v[187:188]
	ds_load_b128 v[185:188], v1 offset:1344
	v_fma_f64 v[195:196], v[195:196], v[30:31], v[201:202]
	v_fma_f64 v[30:31], v[193:194], v[30:31], -v[32:33]
	v_add_f64 v[32:33], v[197:198], v[205:206]
	v_add_f64 v[193:194], v[199:200], v[203:204]
	s_waitcnt vmcnt(7) lgkmcnt(0)
	v_mul_f64 v[197:198], v[185:186], v[191:192]
	v_mul_f64 v[191:192], v[187:188], v[191:192]
	v_fma_f64 v[199:200], v[4:5], v[38:39], v[207:208]
	v_fma_f64 v[38:39], v[2:3], v[38:39], -v[40:41]
	v_add_f64 v[40:41], v[32:33], v[30:31]
	v_add_f64 v[193:194], v[193:194], v[195:196]
	ds_load_b128 v[2:5], v1 offset:1360
	ds_load_b128 v[30:33], v1 offset:1376
	v_fma_f64 v[187:188], v[187:188], v[189:190], v[197:198]
	v_fma_f64 v[185:186], v[185:186], v[189:190], -v[191:192]
	s_waitcnt vmcnt(6) lgkmcnt(1)
	v_mul_f64 v[195:196], v[2:3], v[36:37]
	v_mul_f64 v[36:37], v[4:5], v[36:37]
	v_add_f64 v[38:39], v[40:41], v[38:39]
	v_add_f64 v[40:41], v[193:194], v[199:200]
	s_waitcnt vmcnt(5) lgkmcnt(0)
	v_mul_f64 v[189:190], v[30:31], v[8:9]
	v_mul_f64 v[8:9], v[32:33], v[8:9]
	v_fma_f64 v[191:192], v[4:5], v[34:35], v[195:196]
	v_fma_f64 v[193:194], v[2:3], v[34:35], -v[36:37]
	ds_load_b128 v[2:5], v1 offset:1392
	ds_load_b128 v[34:37], v1 offset:1408
	v_add_f64 v[38:39], v[38:39], v[185:186]
	v_add_f64 v[40:41], v[40:41], v[187:188]
	s_waitcnt vmcnt(4) lgkmcnt(1)
	v_mul_f64 v[185:186], v[2:3], v[12:13]
	v_mul_f64 v[12:13], v[4:5], v[12:13]
	v_fma_f64 v[32:33], v[32:33], v[6:7], v[189:190]
	v_fma_f64 v[6:7], v[30:31], v[6:7], -v[8:9]
	v_add_f64 v[8:9], v[38:39], v[193:194]
	v_add_f64 v[30:31], v[40:41], v[191:192]
	s_waitcnt vmcnt(3) lgkmcnt(0)
	v_mul_f64 v[38:39], v[34:35], v[16:17]
	v_mul_f64 v[16:17], v[36:37], v[16:17]
	v_fma_f64 v[40:41], v[4:5], v[10:11], v[185:186]
	v_fma_f64 v[10:11], v[2:3], v[10:11], -v[12:13]
	v_add_f64 v[12:13], v[8:9], v[6:7]
	v_add_f64 v[30:31], v[30:31], v[32:33]
	ds_load_b128 v[2:5], v1 offset:1424
	ds_load_b128 v[6:9], v1 offset:1440
	v_fma_f64 v[36:37], v[36:37], v[14:15], v[38:39]
	v_fma_f64 v[14:15], v[34:35], v[14:15], -v[16:17]
	s_waitcnt vmcnt(2) lgkmcnt(1)
	v_mul_f64 v[32:33], v[2:3], v[20:21]
	v_mul_f64 v[20:21], v[4:5], v[20:21]
	s_waitcnt vmcnt(1) lgkmcnt(0)
	v_mul_f64 v[16:17], v[6:7], v[24:25]
	v_mul_f64 v[24:25], v[8:9], v[24:25]
	v_add_f64 v[10:11], v[12:13], v[10:11]
	v_add_f64 v[12:13], v[30:31], v[40:41]
	v_fma_f64 v[30:31], v[4:5], v[18:19], v[32:33]
	v_fma_f64 v[18:19], v[2:3], v[18:19], -v[20:21]
	ds_load_b128 v[2:5], v1 offset:1456
	v_fma_f64 v[8:9], v[8:9], v[22:23], v[16:17]
	v_fma_f64 v[6:7], v[6:7], v[22:23], -v[24:25]
	v_add_f64 v[10:11], v[10:11], v[14:15]
	v_add_f64 v[12:13], v[12:13], v[36:37]
	s_waitcnt vmcnt(0) lgkmcnt(0)
	v_mul_f64 v[14:15], v[2:3], v[28:29]
	v_mul_f64 v[20:21], v[4:5], v[28:29]
	s_delay_alu instid0(VALU_DEP_4) | instskip(NEXT) | instid1(VALU_DEP_4)
	v_add_f64 v[10:11], v[10:11], v[18:19]
	v_add_f64 v[12:13], v[12:13], v[30:31]
	s_delay_alu instid0(VALU_DEP_4) | instskip(NEXT) | instid1(VALU_DEP_4)
	v_fma_f64 v[4:5], v[4:5], v[26:27], v[14:15]
	v_fma_f64 v[2:3], v[2:3], v[26:27], -v[20:21]
	s_delay_alu instid0(VALU_DEP_4) | instskip(NEXT) | instid1(VALU_DEP_4)
	v_add_f64 v[6:7], v[10:11], v[6:7]
	v_add_f64 v[8:9], v[12:13], v[8:9]
	s_delay_alu instid0(VALU_DEP_2) | instskip(NEXT) | instid1(VALU_DEP_2)
	v_add_f64 v[2:3], v[6:7], v[2:3]
	v_add_f64 v[4:5], v[8:9], v[4:5]
	s_delay_alu instid0(VALU_DEP_2) | instskip(NEXT) | instid1(VALU_DEP_2)
	v_add_f64 v[2:3], v[42:43], -v[2:3]
	v_add_f64 v[4:5], v[44:45], -v[4:5]
	scratch_store_b128 off, v[2:5], off offset:448
	v_cmpx_lt_u32_e32 27, v138
	s_cbranch_execz .LBB109_235
; %bb.234:
	scratch_load_b128 v[5:8], v156, off
	v_mov_b32_e32 v2, v1
	v_mov_b32_e32 v3, v1
	;; [unrolled: 1-line block ×3, first 2 shown]
	scratch_store_b128 off, v[1:4], off offset:432
	s_waitcnt vmcnt(0)
	ds_store_b128 v184, v[5:8]
.LBB109_235:
	s_or_b32 exec_lo, exec_lo, s2
	s_waitcnt lgkmcnt(0)
	s_waitcnt_vscnt null, 0x0
	s_barrier
	buffer_gl0_inv
	s_clause 0x8
	scratch_load_b128 v[2:5], off, off offset:448
	scratch_load_b128 v[6:9], off, off offset:464
	;; [unrolled: 1-line block ×9, first 2 shown]
	ds_load_b128 v[38:41], v1 offset:1184
	ds_load_b128 v[42:45], v1 offset:1200
	s_clause 0x1
	scratch_load_b128 v[185:188], off, off offset:432
	scratch_load_b128 v[189:192], off, off offset:592
	s_mov_b32 s2, exec_lo
	s_waitcnt vmcnt(10) lgkmcnt(1)
	v_mul_f64 v[193:194], v[40:41], v[4:5]
	v_mul_f64 v[4:5], v[38:39], v[4:5]
	s_waitcnt vmcnt(9) lgkmcnt(0)
	v_mul_f64 v[197:198], v[42:43], v[8:9]
	v_mul_f64 v[8:9], v[44:45], v[8:9]
	s_delay_alu instid0(VALU_DEP_4) | instskip(NEXT) | instid1(VALU_DEP_4)
	v_fma_f64 v[199:200], v[38:39], v[2:3], -v[193:194]
	v_fma_f64 v[201:202], v[40:41], v[2:3], v[4:5]
	ds_load_b128 v[2:5], v1 offset:1216
	ds_load_b128 v[193:196], v1 offset:1232
	scratch_load_b128 v[38:41], off, off offset:608
	v_fma_f64 v[44:45], v[44:45], v[6:7], v[197:198]
	v_fma_f64 v[42:43], v[42:43], v[6:7], -v[8:9]
	scratch_load_b128 v[6:9], off, off offset:624
	s_waitcnt vmcnt(10) lgkmcnt(1)
	v_mul_f64 v[203:204], v[2:3], v[12:13]
	v_mul_f64 v[12:13], v[4:5], v[12:13]
	v_add_f64 v[197:198], v[199:200], 0
	v_add_f64 v[199:200], v[201:202], 0
	s_waitcnt vmcnt(9) lgkmcnt(0)
	v_mul_f64 v[201:202], v[193:194], v[16:17]
	v_mul_f64 v[16:17], v[195:196], v[16:17]
	v_fma_f64 v[203:204], v[4:5], v[10:11], v[203:204]
	v_fma_f64 v[205:206], v[2:3], v[10:11], -v[12:13]
	ds_load_b128 v[2:5], v1 offset:1248
	scratch_load_b128 v[10:13], off, off offset:640
	v_add_f64 v[197:198], v[197:198], v[42:43]
	v_add_f64 v[199:200], v[199:200], v[44:45]
	ds_load_b128 v[42:45], v1 offset:1264
	v_fma_f64 v[195:196], v[195:196], v[14:15], v[201:202]
	v_fma_f64 v[193:194], v[193:194], v[14:15], -v[16:17]
	scratch_load_b128 v[14:17], off, off offset:656
	s_waitcnt vmcnt(10) lgkmcnt(1)
	v_mul_f64 v[207:208], v[2:3], v[20:21]
	v_mul_f64 v[20:21], v[4:5], v[20:21]
	s_waitcnt vmcnt(9) lgkmcnt(0)
	v_mul_f64 v[201:202], v[42:43], v[24:25]
	v_mul_f64 v[24:25], v[44:45], v[24:25]
	v_add_f64 v[197:198], v[197:198], v[205:206]
	v_add_f64 v[199:200], v[199:200], v[203:204]
	v_fma_f64 v[203:204], v[4:5], v[18:19], v[207:208]
	v_fma_f64 v[205:206], v[2:3], v[18:19], -v[20:21]
	ds_load_b128 v[2:5], v1 offset:1280
	scratch_load_b128 v[18:21], off, off offset:672
	v_fma_f64 v[44:45], v[44:45], v[22:23], v[201:202]
	v_fma_f64 v[42:43], v[42:43], v[22:23], -v[24:25]
	scratch_load_b128 v[22:25], off, off offset:688
	v_add_f64 v[197:198], v[197:198], v[193:194]
	v_add_f64 v[199:200], v[199:200], v[195:196]
	ds_load_b128 v[193:196], v1 offset:1296
	s_waitcnt vmcnt(10) lgkmcnt(1)
	v_mul_f64 v[207:208], v[2:3], v[28:29]
	v_mul_f64 v[28:29], v[4:5], v[28:29]
	s_waitcnt vmcnt(9) lgkmcnt(0)
	v_mul_f64 v[201:202], v[193:194], v[32:33]
	v_mul_f64 v[32:33], v[195:196], v[32:33]
	v_add_f64 v[197:198], v[197:198], v[205:206]
	v_add_f64 v[199:200], v[199:200], v[203:204]
	v_fma_f64 v[203:204], v[4:5], v[26:27], v[207:208]
	v_fma_f64 v[205:206], v[2:3], v[26:27], -v[28:29]
	ds_load_b128 v[2:5], v1 offset:1312
	scratch_load_b128 v[26:29], off, off offset:704
	v_fma_f64 v[195:196], v[195:196], v[30:31], v[201:202]
	v_fma_f64 v[193:194], v[193:194], v[30:31], -v[32:33]
	scratch_load_b128 v[30:33], off, off offset:720
	v_add_f64 v[197:198], v[197:198], v[42:43]
	v_add_f64 v[199:200], v[199:200], v[44:45]
	ds_load_b128 v[42:45], v1 offset:1328
	s_waitcnt vmcnt(10) lgkmcnt(1)
	v_mul_f64 v[207:208], v[2:3], v[36:37]
	v_mul_f64 v[36:37], v[4:5], v[36:37]
	s_waitcnt vmcnt(8) lgkmcnt(0)
	v_mul_f64 v[201:202], v[42:43], v[191:192]
	v_mul_f64 v[191:192], v[44:45], v[191:192]
	v_add_f64 v[197:198], v[197:198], v[205:206]
	v_add_f64 v[199:200], v[199:200], v[203:204]
	v_fma_f64 v[203:204], v[4:5], v[34:35], v[207:208]
	v_fma_f64 v[205:206], v[2:3], v[34:35], -v[36:37]
	ds_load_b128 v[2:5], v1 offset:1344
	ds_load_b128 v[34:37], v1 offset:1360
	v_fma_f64 v[44:45], v[44:45], v[189:190], v[201:202]
	v_fma_f64 v[42:43], v[42:43], v[189:190], -v[191:192]
	v_add_f64 v[193:194], v[197:198], v[193:194]
	v_add_f64 v[195:196], v[199:200], v[195:196]
	s_waitcnt vmcnt(7) lgkmcnt(1)
	v_mul_f64 v[197:198], v[2:3], v[40:41]
	v_mul_f64 v[40:41], v[4:5], v[40:41]
	s_delay_alu instid0(VALU_DEP_4) | instskip(NEXT) | instid1(VALU_DEP_4)
	v_add_f64 v[189:190], v[193:194], v[205:206]
	v_add_f64 v[191:192], v[195:196], v[203:204]
	s_waitcnt vmcnt(6) lgkmcnt(0)
	v_mul_f64 v[193:194], v[34:35], v[8:9]
	v_mul_f64 v[8:9], v[36:37], v[8:9]
	v_fma_f64 v[195:196], v[4:5], v[38:39], v[197:198]
	v_fma_f64 v[197:198], v[2:3], v[38:39], -v[40:41]
	ds_load_b128 v[2:5], v1 offset:1376
	ds_load_b128 v[38:41], v1 offset:1392
	v_add_f64 v[42:43], v[189:190], v[42:43]
	v_add_f64 v[44:45], v[191:192], v[44:45]
	v_fma_f64 v[36:37], v[36:37], v[6:7], v[193:194]
	s_waitcnt vmcnt(5) lgkmcnt(1)
	v_mul_f64 v[189:190], v[2:3], v[12:13]
	v_mul_f64 v[12:13], v[4:5], v[12:13]
	v_fma_f64 v[6:7], v[34:35], v[6:7], -v[8:9]
	v_add_f64 v[8:9], v[42:43], v[197:198]
	v_add_f64 v[34:35], v[44:45], v[195:196]
	s_waitcnt vmcnt(4) lgkmcnt(0)
	v_mul_f64 v[42:43], v[38:39], v[16:17]
	v_mul_f64 v[16:17], v[40:41], v[16:17]
	v_fma_f64 v[44:45], v[4:5], v[10:11], v[189:190]
	v_fma_f64 v[10:11], v[2:3], v[10:11], -v[12:13]
	v_add_f64 v[12:13], v[8:9], v[6:7]
	v_add_f64 v[34:35], v[34:35], v[36:37]
	ds_load_b128 v[2:5], v1 offset:1408
	ds_load_b128 v[6:9], v1 offset:1424
	v_fma_f64 v[40:41], v[40:41], v[14:15], v[42:43]
	v_fma_f64 v[14:15], v[38:39], v[14:15], -v[16:17]
	s_waitcnt vmcnt(3) lgkmcnt(1)
	v_mul_f64 v[36:37], v[2:3], v[20:21]
	v_mul_f64 v[20:21], v[4:5], v[20:21]
	s_waitcnt vmcnt(2) lgkmcnt(0)
	v_mul_f64 v[16:17], v[6:7], v[24:25]
	v_mul_f64 v[24:25], v[8:9], v[24:25]
	v_add_f64 v[10:11], v[12:13], v[10:11]
	v_add_f64 v[12:13], v[34:35], v[44:45]
	v_fma_f64 v[34:35], v[4:5], v[18:19], v[36:37]
	v_fma_f64 v[18:19], v[2:3], v[18:19], -v[20:21]
	v_fma_f64 v[8:9], v[8:9], v[22:23], v[16:17]
	v_fma_f64 v[6:7], v[6:7], v[22:23], -v[24:25]
	v_add_f64 v[14:15], v[10:11], v[14:15]
	v_add_f64 v[20:21], v[12:13], v[40:41]
	ds_load_b128 v[2:5], v1 offset:1440
	ds_load_b128 v[10:13], v1 offset:1456
	s_waitcnt vmcnt(1) lgkmcnt(1)
	v_mul_f64 v[36:37], v[2:3], v[28:29]
	v_mul_f64 v[28:29], v[4:5], v[28:29]
	v_add_f64 v[14:15], v[14:15], v[18:19]
	v_add_f64 v[16:17], v[20:21], v[34:35]
	s_waitcnt vmcnt(0) lgkmcnt(0)
	v_mul_f64 v[18:19], v[10:11], v[32:33]
	v_mul_f64 v[20:21], v[12:13], v[32:33]
	v_fma_f64 v[4:5], v[4:5], v[26:27], v[36:37]
	v_fma_f64 v[1:2], v[2:3], v[26:27], -v[28:29]
	v_add_f64 v[6:7], v[14:15], v[6:7]
	v_add_f64 v[8:9], v[16:17], v[8:9]
	v_fma_f64 v[12:13], v[12:13], v[30:31], v[18:19]
	v_fma_f64 v[10:11], v[10:11], v[30:31], -v[20:21]
	s_delay_alu instid0(VALU_DEP_4) | instskip(NEXT) | instid1(VALU_DEP_4)
	v_add_f64 v[1:2], v[6:7], v[1:2]
	v_add_f64 v[3:4], v[8:9], v[4:5]
	s_delay_alu instid0(VALU_DEP_2) | instskip(NEXT) | instid1(VALU_DEP_2)
	v_add_f64 v[1:2], v[1:2], v[10:11]
	v_add_f64 v[3:4], v[3:4], v[12:13]
	s_delay_alu instid0(VALU_DEP_2) | instskip(NEXT) | instid1(VALU_DEP_2)
	v_add_f64 v[1:2], v[185:186], -v[1:2]
	v_add_f64 v[3:4], v[187:188], -v[3:4]
	scratch_store_b128 off, v[1:4], off offset:432
	v_cmpx_lt_u32_e32 26, v138
	s_cbranch_execz .LBB109_237
; %bb.236:
	scratch_load_b128 v[1:4], v157, off
	v_mov_b32_e32 v5, 0
	s_delay_alu instid0(VALU_DEP_1)
	v_mov_b32_e32 v6, v5
	v_mov_b32_e32 v7, v5
	;; [unrolled: 1-line block ×3, first 2 shown]
	scratch_store_b128 off, v[5:8], off offset:416
	s_waitcnt vmcnt(0)
	ds_store_b128 v184, v[1:4]
.LBB109_237:
	s_or_b32 exec_lo, exec_lo, s2
	s_waitcnt lgkmcnt(0)
	s_waitcnt_vscnt null, 0x0
	s_barrier
	buffer_gl0_inv
	s_clause 0x7
	scratch_load_b128 v[2:5], off, off offset:432
	scratch_load_b128 v[6:9], off, off offset:448
	scratch_load_b128 v[10:13], off, off offset:464
	scratch_load_b128 v[14:17], off, off offset:480
	scratch_load_b128 v[18:21], off, off offset:496
	scratch_load_b128 v[22:25], off, off offset:512
	scratch_load_b128 v[26:29], off, off offset:528
	scratch_load_b128 v[30:33], off, off offset:544
	v_mov_b32_e32 v1, 0
	s_mov_b32 s2, exec_lo
	ds_load_b128 v[34:37], v1 offset:1168
	s_clause 0x1
	scratch_load_b128 v[38:41], off, off offset:560
	scratch_load_b128 v[42:45], off, off offset:416
	ds_load_b128 v[185:188], v1 offset:1184
	scratch_load_b128 v[189:192], off, off offset:576
	s_waitcnt vmcnt(10) lgkmcnt(1)
	v_mul_f64 v[193:194], v[36:37], v[4:5]
	v_mul_f64 v[4:5], v[34:35], v[4:5]
	s_delay_alu instid0(VALU_DEP_2) | instskip(NEXT) | instid1(VALU_DEP_2)
	v_fma_f64 v[199:200], v[34:35], v[2:3], -v[193:194]
	v_fma_f64 v[201:202], v[36:37], v[2:3], v[4:5]
	scratch_load_b128 v[34:37], off, off offset:592
	ds_load_b128 v[2:5], v1 offset:1200
	s_waitcnt vmcnt(10) lgkmcnt(1)
	v_mul_f64 v[197:198], v[185:186], v[8:9]
	v_mul_f64 v[8:9], v[187:188], v[8:9]
	ds_load_b128 v[193:196], v1 offset:1216
	s_waitcnt vmcnt(9) lgkmcnt(1)
	v_mul_f64 v[203:204], v[2:3], v[12:13]
	v_mul_f64 v[12:13], v[4:5], v[12:13]
	v_fma_f64 v[187:188], v[187:188], v[6:7], v[197:198]
	v_fma_f64 v[185:186], v[185:186], v[6:7], -v[8:9]
	v_add_f64 v[197:198], v[199:200], 0
	v_add_f64 v[199:200], v[201:202], 0
	scratch_load_b128 v[6:9], off, off offset:608
	v_fma_f64 v[203:204], v[4:5], v[10:11], v[203:204]
	v_fma_f64 v[205:206], v[2:3], v[10:11], -v[12:13]
	scratch_load_b128 v[10:13], off, off offset:624
	ds_load_b128 v[2:5], v1 offset:1232
	s_waitcnt vmcnt(10) lgkmcnt(1)
	v_mul_f64 v[201:202], v[193:194], v[16:17]
	v_mul_f64 v[16:17], v[195:196], v[16:17]
	v_add_f64 v[197:198], v[197:198], v[185:186]
	v_add_f64 v[199:200], v[199:200], v[187:188]
	s_waitcnt vmcnt(9) lgkmcnt(0)
	v_mul_f64 v[207:208], v[2:3], v[20:21]
	v_mul_f64 v[20:21], v[4:5], v[20:21]
	ds_load_b128 v[185:188], v1 offset:1248
	v_fma_f64 v[195:196], v[195:196], v[14:15], v[201:202]
	v_fma_f64 v[193:194], v[193:194], v[14:15], -v[16:17]
	scratch_load_b128 v[14:17], off, off offset:640
	v_add_f64 v[197:198], v[197:198], v[205:206]
	v_add_f64 v[199:200], v[199:200], v[203:204]
	v_fma_f64 v[203:204], v[4:5], v[18:19], v[207:208]
	v_fma_f64 v[205:206], v[2:3], v[18:19], -v[20:21]
	scratch_load_b128 v[18:21], off, off offset:656
	ds_load_b128 v[2:5], v1 offset:1264
	s_waitcnt vmcnt(10) lgkmcnt(1)
	v_mul_f64 v[201:202], v[185:186], v[24:25]
	v_mul_f64 v[24:25], v[187:188], v[24:25]
	s_waitcnt vmcnt(9) lgkmcnt(0)
	v_mul_f64 v[207:208], v[2:3], v[28:29]
	v_mul_f64 v[28:29], v[4:5], v[28:29]
	v_add_f64 v[197:198], v[197:198], v[193:194]
	v_add_f64 v[199:200], v[199:200], v[195:196]
	ds_load_b128 v[193:196], v1 offset:1280
	v_fma_f64 v[187:188], v[187:188], v[22:23], v[201:202]
	v_fma_f64 v[185:186], v[185:186], v[22:23], -v[24:25]
	scratch_load_b128 v[22:25], off, off offset:672
	v_add_f64 v[197:198], v[197:198], v[205:206]
	v_add_f64 v[199:200], v[199:200], v[203:204]
	v_fma_f64 v[203:204], v[4:5], v[26:27], v[207:208]
	v_fma_f64 v[205:206], v[2:3], v[26:27], -v[28:29]
	scratch_load_b128 v[26:29], off, off offset:688
	ds_load_b128 v[2:5], v1 offset:1296
	s_waitcnt vmcnt(10) lgkmcnt(1)
	v_mul_f64 v[201:202], v[193:194], v[32:33]
	v_mul_f64 v[32:33], v[195:196], v[32:33]
	s_waitcnt vmcnt(9) lgkmcnt(0)
	v_mul_f64 v[207:208], v[2:3], v[40:41]
	v_mul_f64 v[40:41], v[4:5], v[40:41]
	v_add_f64 v[197:198], v[197:198], v[185:186]
	v_add_f64 v[199:200], v[199:200], v[187:188]
	ds_load_b128 v[185:188], v1 offset:1312
	v_fma_f64 v[195:196], v[195:196], v[30:31], v[201:202]
	v_fma_f64 v[193:194], v[193:194], v[30:31], -v[32:33]
	scratch_load_b128 v[30:33], off, off offset:704
	v_add_f64 v[197:198], v[197:198], v[205:206]
	v_add_f64 v[199:200], v[199:200], v[203:204]
	v_fma_f64 v[205:206], v[4:5], v[38:39], v[207:208]
	v_fma_f64 v[207:208], v[2:3], v[38:39], -v[40:41]
	scratch_load_b128 v[38:41], off, off offset:720
	ds_load_b128 v[2:5], v1 offset:1328
	s_waitcnt vmcnt(9) lgkmcnt(1)
	v_mul_f64 v[201:202], v[185:186], v[191:192]
	v_mul_f64 v[203:204], v[187:188], v[191:192]
	v_add_f64 v[197:198], v[197:198], v[193:194]
	v_add_f64 v[195:196], v[199:200], v[195:196]
	ds_load_b128 v[191:194], v1 offset:1344
	v_fma_f64 v[187:188], v[187:188], v[189:190], v[201:202]
	v_fma_f64 v[185:186], v[185:186], v[189:190], -v[203:204]
	s_waitcnt vmcnt(8) lgkmcnt(1)
	v_mul_f64 v[199:200], v[2:3], v[36:37]
	v_mul_f64 v[36:37], v[4:5], v[36:37]
	v_add_f64 v[189:190], v[197:198], v[207:208]
	v_add_f64 v[195:196], v[195:196], v[205:206]
	s_delay_alu instid0(VALU_DEP_4) | instskip(NEXT) | instid1(VALU_DEP_4)
	v_fma_f64 v[199:200], v[4:5], v[34:35], v[199:200]
	v_fma_f64 v[201:202], v[2:3], v[34:35], -v[36:37]
	ds_load_b128 v[2:5], v1 offset:1360
	ds_load_b128 v[34:37], v1 offset:1376
	s_waitcnt vmcnt(7) lgkmcnt(2)
	v_mul_f64 v[197:198], v[191:192], v[8:9]
	v_mul_f64 v[8:9], v[193:194], v[8:9]
	v_add_f64 v[185:186], v[189:190], v[185:186]
	v_add_f64 v[187:188], v[195:196], v[187:188]
	s_waitcnt vmcnt(6) lgkmcnt(1)
	v_mul_f64 v[189:190], v[2:3], v[12:13]
	v_mul_f64 v[12:13], v[4:5], v[12:13]
	v_fma_f64 v[193:194], v[193:194], v[6:7], v[197:198]
	v_fma_f64 v[6:7], v[191:192], v[6:7], -v[8:9]
	v_add_f64 v[8:9], v[185:186], v[201:202]
	v_add_f64 v[185:186], v[187:188], v[199:200]
	s_waitcnt vmcnt(5) lgkmcnt(0)
	v_mul_f64 v[187:188], v[34:35], v[16:17]
	v_mul_f64 v[16:17], v[36:37], v[16:17]
	v_fma_f64 v[189:190], v[4:5], v[10:11], v[189:190]
	v_fma_f64 v[10:11], v[2:3], v[10:11], -v[12:13]
	v_add_f64 v[12:13], v[8:9], v[6:7]
	v_add_f64 v[185:186], v[185:186], v[193:194]
	ds_load_b128 v[2:5], v1 offset:1392
	ds_load_b128 v[6:9], v1 offset:1408
	v_fma_f64 v[36:37], v[36:37], v[14:15], v[187:188]
	v_fma_f64 v[14:15], v[34:35], v[14:15], -v[16:17]
	s_waitcnt vmcnt(4) lgkmcnt(1)
	v_mul_f64 v[191:192], v[2:3], v[20:21]
	v_mul_f64 v[20:21], v[4:5], v[20:21]
	s_waitcnt vmcnt(3) lgkmcnt(0)
	v_mul_f64 v[16:17], v[6:7], v[24:25]
	v_mul_f64 v[24:25], v[8:9], v[24:25]
	v_add_f64 v[10:11], v[12:13], v[10:11]
	v_add_f64 v[12:13], v[185:186], v[189:190]
	v_fma_f64 v[34:35], v[4:5], v[18:19], v[191:192]
	v_fma_f64 v[18:19], v[2:3], v[18:19], -v[20:21]
	v_fma_f64 v[8:9], v[8:9], v[22:23], v[16:17]
	v_fma_f64 v[6:7], v[6:7], v[22:23], -v[24:25]
	v_add_f64 v[14:15], v[10:11], v[14:15]
	v_add_f64 v[20:21], v[12:13], v[36:37]
	ds_load_b128 v[2:5], v1 offset:1424
	ds_load_b128 v[10:13], v1 offset:1440
	s_waitcnt vmcnt(2) lgkmcnt(1)
	v_mul_f64 v[36:37], v[2:3], v[28:29]
	v_mul_f64 v[28:29], v[4:5], v[28:29]
	v_add_f64 v[14:15], v[14:15], v[18:19]
	v_add_f64 v[16:17], v[20:21], v[34:35]
	s_waitcnt vmcnt(1) lgkmcnt(0)
	v_mul_f64 v[18:19], v[10:11], v[32:33]
	v_mul_f64 v[20:21], v[12:13], v[32:33]
	v_fma_f64 v[22:23], v[4:5], v[26:27], v[36:37]
	v_fma_f64 v[24:25], v[2:3], v[26:27], -v[28:29]
	ds_load_b128 v[2:5], v1 offset:1456
	v_add_f64 v[6:7], v[14:15], v[6:7]
	v_add_f64 v[8:9], v[16:17], v[8:9]
	v_fma_f64 v[12:13], v[12:13], v[30:31], v[18:19]
	v_fma_f64 v[10:11], v[10:11], v[30:31], -v[20:21]
	s_waitcnt vmcnt(0) lgkmcnt(0)
	v_mul_f64 v[14:15], v[2:3], v[40:41]
	v_mul_f64 v[16:17], v[4:5], v[40:41]
	v_add_f64 v[6:7], v[6:7], v[24:25]
	v_add_f64 v[8:9], v[8:9], v[22:23]
	s_delay_alu instid0(VALU_DEP_4) | instskip(NEXT) | instid1(VALU_DEP_4)
	v_fma_f64 v[4:5], v[4:5], v[38:39], v[14:15]
	v_fma_f64 v[2:3], v[2:3], v[38:39], -v[16:17]
	s_delay_alu instid0(VALU_DEP_4) | instskip(NEXT) | instid1(VALU_DEP_4)
	v_add_f64 v[6:7], v[6:7], v[10:11]
	v_add_f64 v[8:9], v[8:9], v[12:13]
	s_delay_alu instid0(VALU_DEP_2) | instskip(NEXT) | instid1(VALU_DEP_2)
	v_add_f64 v[2:3], v[6:7], v[2:3]
	v_add_f64 v[4:5], v[8:9], v[4:5]
	s_delay_alu instid0(VALU_DEP_2) | instskip(NEXT) | instid1(VALU_DEP_2)
	v_add_f64 v[2:3], v[42:43], -v[2:3]
	v_add_f64 v[4:5], v[44:45], -v[4:5]
	scratch_store_b128 off, v[2:5], off offset:416
	v_cmpx_lt_u32_e32 25, v138
	s_cbranch_execz .LBB109_239
; %bb.238:
	scratch_load_b128 v[5:8], v159, off
	v_mov_b32_e32 v2, v1
	v_mov_b32_e32 v3, v1
	;; [unrolled: 1-line block ×3, first 2 shown]
	scratch_store_b128 off, v[1:4], off offset:400
	s_waitcnt vmcnt(0)
	ds_store_b128 v184, v[5:8]
.LBB109_239:
	s_or_b32 exec_lo, exec_lo, s2
	s_waitcnt lgkmcnt(0)
	s_waitcnt_vscnt null, 0x0
	s_barrier
	buffer_gl0_inv
	s_clause 0x8
	scratch_load_b128 v[2:5], off, off offset:416
	scratch_load_b128 v[6:9], off, off offset:432
	;; [unrolled: 1-line block ×9, first 2 shown]
	ds_load_b128 v[38:41], v1 offset:1152
	ds_load_b128 v[42:45], v1 offset:1168
	s_clause 0x1
	scratch_load_b128 v[185:188], off, off offset:400
	scratch_load_b128 v[189:192], off, off offset:560
	s_mov_b32 s2, exec_lo
	s_waitcnt vmcnt(10) lgkmcnt(1)
	v_mul_f64 v[193:194], v[40:41], v[4:5]
	v_mul_f64 v[4:5], v[38:39], v[4:5]
	s_waitcnt vmcnt(9) lgkmcnt(0)
	v_mul_f64 v[197:198], v[42:43], v[8:9]
	v_mul_f64 v[8:9], v[44:45], v[8:9]
	s_delay_alu instid0(VALU_DEP_4) | instskip(NEXT) | instid1(VALU_DEP_4)
	v_fma_f64 v[199:200], v[38:39], v[2:3], -v[193:194]
	v_fma_f64 v[201:202], v[40:41], v[2:3], v[4:5]
	ds_load_b128 v[2:5], v1 offset:1184
	ds_load_b128 v[193:196], v1 offset:1200
	scratch_load_b128 v[38:41], off, off offset:576
	v_fma_f64 v[44:45], v[44:45], v[6:7], v[197:198]
	v_fma_f64 v[42:43], v[42:43], v[6:7], -v[8:9]
	scratch_load_b128 v[6:9], off, off offset:592
	s_waitcnt vmcnt(10) lgkmcnt(1)
	v_mul_f64 v[203:204], v[2:3], v[12:13]
	v_mul_f64 v[12:13], v[4:5], v[12:13]
	v_add_f64 v[197:198], v[199:200], 0
	v_add_f64 v[199:200], v[201:202], 0
	s_waitcnt vmcnt(9) lgkmcnt(0)
	v_mul_f64 v[201:202], v[193:194], v[16:17]
	v_mul_f64 v[16:17], v[195:196], v[16:17]
	v_fma_f64 v[203:204], v[4:5], v[10:11], v[203:204]
	v_fma_f64 v[205:206], v[2:3], v[10:11], -v[12:13]
	ds_load_b128 v[2:5], v1 offset:1216
	scratch_load_b128 v[10:13], off, off offset:608
	v_add_f64 v[197:198], v[197:198], v[42:43]
	v_add_f64 v[199:200], v[199:200], v[44:45]
	ds_load_b128 v[42:45], v1 offset:1232
	v_fma_f64 v[195:196], v[195:196], v[14:15], v[201:202]
	v_fma_f64 v[193:194], v[193:194], v[14:15], -v[16:17]
	scratch_load_b128 v[14:17], off, off offset:624
	s_waitcnt vmcnt(10) lgkmcnt(1)
	v_mul_f64 v[207:208], v[2:3], v[20:21]
	v_mul_f64 v[20:21], v[4:5], v[20:21]
	s_waitcnt vmcnt(9) lgkmcnt(0)
	v_mul_f64 v[201:202], v[42:43], v[24:25]
	v_mul_f64 v[24:25], v[44:45], v[24:25]
	v_add_f64 v[197:198], v[197:198], v[205:206]
	v_add_f64 v[199:200], v[199:200], v[203:204]
	v_fma_f64 v[203:204], v[4:5], v[18:19], v[207:208]
	v_fma_f64 v[205:206], v[2:3], v[18:19], -v[20:21]
	ds_load_b128 v[2:5], v1 offset:1248
	scratch_load_b128 v[18:21], off, off offset:640
	v_fma_f64 v[44:45], v[44:45], v[22:23], v[201:202]
	v_fma_f64 v[42:43], v[42:43], v[22:23], -v[24:25]
	scratch_load_b128 v[22:25], off, off offset:656
	v_add_f64 v[197:198], v[197:198], v[193:194]
	v_add_f64 v[199:200], v[199:200], v[195:196]
	ds_load_b128 v[193:196], v1 offset:1264
	s_waitcnt vmcnt(10) lgkmcnt(1)
	v_mul_f64 v[207:208], v[2:3], v[28:29]
	v_mul_f64 v[28:29], v[4:5], v[28:29]
	s_waitcnt vmcnt(9) lgkmcnt(0)
	v_mul_f64 v[201:202], v[193:194], v[32:33]
	v_mul_f64 v[32:33], v[195:196], v[32:33]
	v_add_f64 v[197:198], v[197:198], v[205:206]
	v_add_f64 v[199:200], v[199:200], v[203:204]
	v_fma_f64 v[203:204], v[4:5], v[26:27], v[207:208]
	v_fma_f64 v[205:206], v[2:3], v[26:27], -v[28:29]
	ds_load_b128 v[2:5], v1 offset:1280
	scratch_load_b128 v[26:29], off, off offset:672
	v_fma_f64 v[195:196], v[195:196], v[30:31], v[201:202]
	v_fma_f64 v[193:194], v[193:194], v[30:31], -v[32:33]
	scratch_load_b128 v[30:33], off, off offset:688
	v_add_f64 v[197:198], v[197:198], v[42:43]
	v_add_f64 v[199:200], v[199:200], v[44:45]
	ds_load_b128 v[42:45], v1 offset:1296
	s_waitcnt vmcnt(10) lgkmcnt(1)
	v_mul_f64 v[207:208], v[2:3], v[36:37]
	v_mul_f64 v[36:37], v[4:5], v[36:37]
	s_waitcnt vmcnt(8) lgkmcnt(0)
	v_mul_f64 v[201:202], v[42:43], v[191:192]
	v_add_f64 v[197:198], v[197:198], v[205:206]
	v_add_f64 v[199:200], v[199:200], v[203:204]
	v_mul_f64 v[203:204], v[44:45], v[191:192]
	v_fma_f64 v[205:206], v[4:5], v[34:35], v[207:208]
	v_fma_f64 v[207:208], v[2:3], v[34:35], -v[36:37]
	ds_load_b128 v[2:5], v1 offset:1312
	scratch_load_b128 v[34:37], off, off offset:704
	v_fma_f64 v[44:45], v[44:45], v[189:190], v[201:202]
	v_add_f64 v[197:198], v[197:198], v[193:194]
	v_add_f64 v[195:196], v[199:200], v[195:196]
	ds_load_b128 v[191:194], v1 offset:1328
	v_fma_f64 v[189:190], v[42:43], v[189:190], -v[203:204]
	s_waitcnt vmcnt(8) lgkmcnt(1)
	v_mul_f64 v[199:200], v[2:3], v[40:41]
	v_mul_f64 v[209:210], v[4:5], v[40:41]
	scratch_load_b128 v[40:43], off, off offset:720
	s_waitcnt vmcnt(8) lgkmcnt(0)
	v_mul_f64 v[201:202], v[191:192], v[8:9]
	v_mul_f64 v[8:9], v[193:194], v[8:9]
	v_add_f64 v[197:198], v[197:198], v[207:208]
	v_add_f64 v[195:196], v[195:196], v[205:206]
	v_fma_f64 v[199:200], v[4:5], v[38:39], v[199:200]
	v_fma_f64 v[38:39], v[2:3], v[38:39], -v[209:210]
	v_fma_f64 v[193:194], v[193:194], v[6:7], v[201:202]
	v_fma_f64 v[6:7], v[191:192], v[6:7], -v[8:9]
	v_add_f64 v[189:190], v[197:198], v[189:190]
	v_add_f64 v[44:45], v[195:196], v[44:45]
	ds_load_b128 v[2:5], v1 offset:1344
	ds_load_b128 v[195:198], v1 offset:1360
	s_waitcnt vmcnt(7) lgkmcnt(1)
	v_mul_f64 v[203:204], v[2:3], v[12:13]
	v_mul_f64 v[12:13], v[4:5], v[12:13]
	v_add_f64 v[8:9], v[189:190], v[38:39]
	v_add_f64 v[38:39], v[44:45], v[199:200]
	s_waitcnt vmcnt(6) lgkmcnt(0)
	v_mul_f64 v[44:45], v[195:196], v[16:17]
	v_mul_f64 v[16:17], v[197:198], v[16:17]
	v_fma_f64 v[189:190], v[4:5], v[10:11], v[203:204]
	v_fma_f64 v[10:11], v[2:3], v[10:11], -v[12:13]
	v_add_f64 v[12:13], v[8:9], v[6:7]
	v_add_f64 v[38:39], v[38:39], v[193:194]
	ds_load_b128 v[2:5], v1 offset:1376
	ds_load_b128 v[6:9], v1 offset:1392
	v_fma_f64 v[44:45], v[197:198], v[14:15], v[44:45]
	v_fma_f64 v[14:15], v[195:196], v[14:15], -v[16:17]
	s_waitcnt vmcnt(5) lgkmcnt(1)
	v_mul_f64 v[191:192], v[2:3], v[20:21]
	v_mul_f64 v[20:21], v[4:5], v[20:21]
	s_waitcnt vmcnt(4) lgkmcnt(0)
	v_mul_f64 v[16:17], v[6:7], v[24:25]
	v_mul_f64 v[24:25], v[8:9], v[24:25]
	v_add_f64 v[10:11], v[12:13], v[10:11]
	v_add_f64 v[12:13], v[38:39], v[189:190]
	v_fma_f64 v[38:39], v[4:5], v[18:19], v[191:192]
	v_fma_f64 v[18:19], v[2:3], v[18:19], -v[20:21]
	v_fma_f64 v[8:9], v[8:9], v[22:23], v[16:17]
	v_fma_f64 v[6:7], v[6:7], v[22:23], -v[24:25]
	v_add_f64 v[14:15], v[10:11], v[14:15]
	v_add_f64 v[20:21], v[12:13], v[44:45]
	ds_load_b128 v[2:5], v1 offset:1408
	ds_load_b128 v[10:13], v1 offset:1424
	s_waitcnt vmcnt(3) lgkmcnt(1)
	v_mul_f64 v[44:45], v[2:3], v[28:29]
	v_mul_f64 v[28:29], v[4:5], v[28:29]
	v_add_f64 v[14:15], v[14:15], v[18:19]
	v_add_f64 v[16:17], v[20:21], v[38:39]
	s_waitcnt vmcnt(2) lgkmcnt(0)
	v_mul_f64 v[18:19], v[10:11], v[32:33]
	v_mul_f64 v[20:21], v[12:13], v[32:33]
	v_fma_f64 v[22:23], v[4:5], v[26:27], v[44:45]
	v_fma_f64 v[24:25], v[2:3], v[26:27], -v[28:29]
	v_add_f64 v[14:15], v[14:15], v[6:7]
	v_add_f64 v[16:17], v[16:17], v[8:9]
	ds_load_b128 v[2:5], v1 offset:1440
	ds_load_b128 v[6:9], v1 offset:1456
	v_fma_f64 v[12:13], v[12:13], v[30:31], v[18:19]
	v_fma_f64 v[10:11], v[10:11], v[30:31], -v[20:21]
	s_waitcnt vmcnt(1) lgkmcnt(1)
	v_mul_f64 v[26:27], v[2:3], v[36:37]
	v_mul_f64 v[28:29], v[4:5], v[36:37]
	s_waitcnt vmcnt(0) lgkmcnt(0)
	v_mul_f64 v[18:19], v[6:7], v[42:43]
	v_add_f64 v[14:15], v[14:15], v[24:25]
	v_add_f64 v[16:17], v[16:17], v[22:23]
	v_mul_f64 v[20:21], v[8:9], v[42:43]
	v_fma_f64 v[4:5], v[4:5], v[34:35], v[26:27]
	v_fma_f64 v[1:2], v[2:3], v[34:35], -v[28:29]
	v_fma_f64 v[8:9], v[8:9], v[40:41], v[18:19]
	v_add_f64 v[10:11], v[14:15], v[10:11]
	v_add_f64 v[12:13], v[16:17], v[12:13]
	v_fma_f64 v[6:7], v[6:7], v[40:41], -v[20:21]
	s_delay_alu instid0(VALU_DEP_3) | instskip(NEXT) | instid1(VALU_DEP_3)
	v_add_f64 v[1:2], v[10:11], v[1:2]
	v_add_f64 v[3:4], v[12:13], v[4:5]
	s_delay_alu instid0(VALU_DEP_2) | instskip(NEXT) | instid1(VALU_DEP_2)
	v_add_f64 v[1:2], v[1:2], v[6:7]
	v_add_f64 v[3:4], v[3:4], v[8:9]
	s_delay_alu instid0(VALU_DEP_2) | instskip(NEXT) | instid1(VALU_DEP_2)
	v_add_f64 v[1:2], v[185:186], -v[1:2]
	v_add_f64 v[3:4], v[187:188], -v[3:4]
	scratch_store_b128 off, v[1:4], off offset:400
	v_cmpx_lt_u32_e32 24, v138
	s_cbranch_execz .LBB109_241
; %bb.240:
	scratch_load_b128 v[1:4], v160, off
	v_mov_b32_e32 v5, 0
	s_delay_alu instid0(VALU_DEP_1)
	v_mov_b32_e32 v6, v5
	v_mov_b32_e32 v7, v5
	;; [unrolled: 1-line block ×3, first 2 shown]
	scratch_store_b128 off, v[5:8], off offset:384
	s_waitcnt vmcnt(0)
	ds_store_b128 v184, v[1:4]
.LBB109_241:
	s_or_b32 exec_lo, exec_lo, s2
	s_waitcnt lgkmcnt(0)
	s_waitcnt_vscnt null, 0x0
	s_barrier
	buffer_gl0_inv
	s_clause 0x7
	scratch_load_b128 v[2:5], off, off offset:400
	scratch_load_b128 v[6:9], off, off offset:416
	scratch_load_b128 v[10:13], off, off offset:432
	scratch_load_b128 v[14:17], off, off offset:448
	scratch_load_b128 v[18:21], off, off offset:464
	scratch_load_b128 v[22:25], off, off offset:480
	scratch_load_b128 v[26:29], off, off offset:496
	scratch_load_b128 v[30:33], off, off offset:512
	v_mov_b32_e32 v1, 0
	s_mov_b32 s2, exec_lo
	ds_load_b128 v[34:37], v1 offset:1136
	s_clause 0x1
	scratch_load_b128 v[38:41], off, off offset:528
	scratch_load_b128 v[42:45], off, off offset:384
	ds_load_b128 v[185:188], v1 offset:1152
	scratch_load_b128 v[189:192], off, off offset:544
	s_waitcnt vmcnt(10) lgkmcnt(1)
	v_mul_f64 v[193:194], v[36:37], v[4:5]
	v_mul_f64 v[4:5], v[34:35], v[4:5]
	s_delay_alu instid0(VALU_DEP_2) | instskip(NEXT) | instid1(VALU_DEP_2)
	v_fma_f64 v[199:200], v[34:35], v[2:3], -v[193:194]
	v_fma_f64 v[201:202], v[36:37], v[2:3], v[4:5]
	scratch_load_b128 v[34:37], off, off offset:560
	ds_load_b128 v[2:5], v1 offset:1168
	s_waitcnt vmcnt(10) lgkmcnt(1)
	v_mul_f64 v[197:198], v[185:186], v[8:9]
	v_mul_f64 v[8:9], v[187:188], v[8:9]
	ds_load_b128 v[193:196], v1 offset:1184
	s_waitcnt vmcnt(9) lgkmcnt(1)
	v_mul_f64 v[203:204], v[2:3], v[12:13]
	v_mul_f64 v[12:13], v[4:5], v[12:13]
	v_fma_f64 v[187:188], v[187:188], v[6:7], v[197:198]
	v_fma_f64 v[185:186], v[185:186], v[6:7], -v[8:9]
	v_add_f64 v[197:198], v[199:200], 0
	v_add_f64 v[199:200], v[201:202], 0
	scratch_load_b128 v[6:9], off, off offset:576
	v_fma_f64 v[203:204], v[4:5], v[10:11], v[203:204]
	v_fma_f64 v[205:206], v[2:3], v[10:11], -v[12:13]
	scratch_load_b128 v[10:13], off, off offset:592
	ds_load_b128 v[2:5], v1 offset:1200
	s_waitcnt vmcnt(10) lgkmcnt(1)
	v_mul_f64 v[201:202], v[193:194], v[16:17]
	v_mul_f64 v[16:17], v[195:196], v[16:17]
	v_add_f64 v[197:198], v[197:198], v[185:186]
	v_add_f64 v[199:200], v[199:200], v[187:188]
	s_waitcnt vmcnt(9) lgkmcnt(0)
	v_mul_f64 v[207:208], v[2:3], v[20:21]
	v_mul_f64 v[20:21], v[4:5], v[20:21]
	ds_load_b128 v[185:188], v1 offset:1216
	v_fma_f64 v[195:196], v[195:196], v[14:15], v[201:202]
	v_fma_f64 v[193:194], v[193:194], v[14:15], -v[16:17]
	scratch_load_b128 v[14:17], off, off offset:608
	v_add_f64 v[197:198], v[197:198], v[205:206]
	v_add_f64 v[199:200], v[199:200], v[203:204]
	v_fma_f64 v[203:204], v[4:5], v[18:19], v[207:208]
	v_fma_f64 v[205:206], v[2:3], v[18:19], -v[20:21]
	scratch_load_b128 v[18:21], off, off offset:624
	ds_load_b128 v[2:5], v1 offset:1232
	s_waitcnt vmcnt(10) lgkmcnt(1)
	v_mul_f64 v[201:202], v[185:186], v[24:25]
	v_mul_f64 v[24:25], v[187:188], v[24:25]
	s_waitcnt vmcnt(9) lgkmcnt(0)
	v_mul_f64 v[207:208], v[2:3], v[28:29]
	v_mul_f64 v[28:29], v[4:5], v[28:29]
	v_add_f64 v[197:198], v[197:198], v[193:194]
	v_add_f64 v[199:200], v[199:200], v[195:196]
	ds_load_b128 v[193:196], v1 offset:1248
	v_fma_f64 v[187:188], v[187:188], v[22:23], v[201:202]
	v_fma_f64 v[185:186], v[185:186], v[22:23], -v[24:25]
	scratch_load_b128 v[22:25], off, off offset:640
	v_add_f64 v[197:198], v[197:198], v[205:206]
	v_add_f64 v[199:200], v[199:200], v[203:204]
	v_fma_f64 v[203:204], v[4:5], v[26:27], v[207:208]
	v_fma_f64 v[205:206], v[2:3], v[26:27], -v[28:29]
	scratch_load_b128 v[26:29], off, off offset:656
	ds_load_b128 v[2:5], v1 offset:1264
	s_waitcnt vmcnt(10) lgkmcnt(1)
	v_mul_f64 v[201:202], v[193:194], v[32:33]
	v_mul_f64 v[32:33], v[195:196], v[32:33]
	s_waitcnt vmcnt(9) lgkmcnt(0)
	v_mul_f64 v[207:208], v[2:3], v[40:41]
	v_mul_f64 v[40:41], v[4:5], v[40:41]
	v_add_f64 v[197:198], v[197:198], v[185:186]
	v_add_f64 v[199:200], v[199:200], v[187:188]
	ds_load_b128 v[185:188], v1 offset:1280
	v_fma_f64 v[195:196], v[195:196], v[30:31], v[201:202]
	v_fma_f64 v[193:194], v[193:194], v[30:31], -v[32:33]
	scratch_load_b128 v[30:33], off, off offset:672
	v_add_f64 v[197:198], v[197:198], v[205:206]
	v_add_f64 v[199:200], v[199:200], v[203:204]
	v_fma_f64 v[205:206], v[4:5], v[38:39], v[207:208]
	v_fma_f64 v[207:208], v[2:3], v[38:39], -v[40:41]
	scratch_load_b128 v[38:41], off, off offset:688
	ds_load_b128 v[2:5], v1 offset:1296
	s_waitcnt vmcnt(9) lgkmcnt(1)
	v_mul_f64 v[201:202], v[185:186], v[191:192]
	v_mul_f64 v[203:204], v[187:188], v[191:192]
	v_add_f64 v[197:198], v[197:198], v[193:194]
	v_add_f64 v[195:196], v[199:200], v[195:196]
	ds_load_b128 v[191:194], v1 offset:1312
	v_fma_f64 v[201:202], v[187:188], v[189:190], v[201:202]
	v_fma_f64 v[189:190], v[185:186], v[189:190], -v[203:204]
	scratch_load_b128 v[185:188], off, off offset:704
	s_waitcnt vmcnt(9) lgkmcnt(1)
	v_mul_f64 v[199:200], v[2:3], v[36:37]
	v_mul_f64 v[36:37], v[4:5], v[36:37]
	v_add_f64 v[197:198], v[197:198], v[207:208]
	v_add_f64 v[195:196], v[195:196], v[205:206]
	s_delay_alu instid0(VALU_DEP_4) | instskip(NEXT) | instid1(VALU_DEP_4)
	v_fma_f64 v[199:200], v[4:5], v[34:35], v[199:200]
	v_fma_f64 v[205:206], v[2:3], v[34:35], -v[36:37]
	scratch_load_b128 v[34:37], off, off offset:720
	ds_load_b128 v[2:5], v1 offset:1328
	s_waitcnt vmcnt(9) lgkmcnt(1)
	v_mul_f64 v[203:204], v[191:192], v[8:9]
	v_mul_f64 v[8:9], v[193:194], v[8:9]
	s_waitcnt vmcnt(8) lgkmcnt(0)
	v_mul_f64 v[207:208], v[2:3], v[12:13]
	v_mul_f64 v[12:13], v[4:5], v[12:13]
	v_add_f64 v[189:190], v[197:198], v[189:190]
	v_add_f64 v[201:202], v[195:196], v[201:202]
	ds_load_b128 v[195:198], v1 offset:1344
	v_fma_f64 v[193:194], v[193:194], v[6:7], v[203:204]
	v_fma_f64 v[6:7], v[191:192], v[6:7], -v[8:9]
	v_add_f64 v[8:9], v[189:190], v[205:206]
	v_add_f64 v[189:190], v[201:202], v[199:200]
	s_waitcnt vmcnt(7) lgkmcnt(0)
	v_mul_f64 v[191:192], v[195:196], v[16:17]
	v_mul_f64 v[16:17], v[197:198], v[16:17]
	v_fma_f64 v[199:200], v[4:5], v[10:11], v[207:208]
	v_fma_f64 v[10:11], v[2:3], v[10:11], -v[12:13]
	v_add_f64 v[12:13], v[8:9], v[6:7]
	v_add_f64 v[189:190], v[189:190], v[193:194]
	ds_load_b128 v[2:5], v1 offset:1360
	ds_load_b128 v[6:9], v1 offset:1376
	v_fma_f64 v[191:192], v[197:198], v[14:15], v[191:192]
	v_fma_f64 v[14:15], v[195:196], v[14:15], -v[16:17]
	s_waitcnt vmcnt(6) lgkmcnt(1)
	v_mul_f64 v[193:194], v[2:3], v[20:21]
	v_mul_f64 v[20:21], v[4:5], v[20:21]
	s_waitcnt vmcnt(5) lgkmcnt(0)
	v_mul_f64 v[16:17], v[6:7], v[24:25]
	v_mul_f64 v[24:25], v[8:9], v[24:25]
	v_add_f64 v[10:11], v[12:13], v[10:11]
	v_add_f64 v[12:13], v[189:190], v[199:200]
	v_fma_f64 v[189:190], v[4:5], v[18:19], v[193:194]
	v_fma_f64 v[18:19], v[2:3], v[18:19], -v[20:21]
	v_fma_f64 v[8:9], v[8:9], v[22:23], v[16:17]
	v_fma_f64 v[6:7], v[6:7], v[22:23], -v[24:25]
	v_add_f64 v[14:15], v[10:11], v[14:15]
	v_add_f64 v[20:21], v[12:13], v[191:192]
	ds_load_b128 v[2:5], v1 offset:1392
	ds_load_b128 v[10:13], v1 offset:1408
	s_waitcnt vmcnt(4) lgkmcnt(1)
	v_mul_f64 v[191:192], v[2:3], v[28:29]
	v_mul_f64 v[28:29], v[4:5], v[28:29]
	v_add_f64 v[14:15], v[14:15], v[18:19]
	v_add_f64 v[16:17], v[20:21], v[189:190]
	s_waitcnt vmcnt(3) lgkmcnt(0)
	v_mul_f64 v[18:19], v[10:11], v[32:33]
	v_mul_f64 v[20:21], v[12:13], v[32:33]
	v_fma_f64 v[22:23], v[4:5], v[26:27], v[191:192]
	v_fma_f64 v[24:25], v[2:3], v[26:27], -v[28:29]
	v_add_f64 v[14:15], v[14:15], v[6:7]
	v_add_f64 v[16:17], v[16:17], v[8:9]
	ds_load_b128 v[2:5], v1 offset:1424
	ds_load_b128 v[6:9], v1 offset:1440
	v_fma_f64 v[12:13], v[12:13], v[30:31], v[18:19]
	v_fma_f64 v[10:11], v[10:11], v[30:31], -v[20:21]
	s_waitcnt vmcnt(2) lgkmcnt(1)
	v_mul_f64 v[26:27], v[2:3], v[40:41]
	v_mul_f64 v[28:29], v[4:5], v[40:41]
	s_waitcnt vmcnt(1) lgkmcnt(0)
	v_mul_f64 v[18:19], v[6:7], v[187:188]
	v_mul_f64 v[20:21], v[8:9], v[187:188]
	v_add_f64 v[14:15], v[14:15], v[24:25]
	v_add_f64 v[16:17], v[16:17], v[22:23]
	v_fma_f64 v[22:23], v[4:5], v[38:39], v[26:27]
	v_fma_f64 v[24:25], v[2:3], v[38:39], -v[28:29]
	ds_load_b128 v[2:5], v1 offset:1456
	v_fma_f64 v[8:9], v[8:9], v[185:186], v[18:19]
	v_fma_f64 v[6:7], v[6:7], v[185:186], -v[20:21]
	v_add_f64 v[10:11], v[14:15], v[10:11]
	v_add_f64 v[12:13], v[16:17], v[12:13]
	s_waitcnt vmcnt(0) lgkmcnt(0)
	v_mul_f64 v[14:15], v[2:3], v[36:37]
	v_mul_f64 v[16:17], v[4:5], v[36:37]
	s_delay_alu instid0(VALU_DEP_4) | instskip(NEXT) | instid1(VALU_DEP_4)
	v_add_f64 v[10:11], v[10:11], v[24:25]
	v_add_f64 v[12:13], v[12:13], v[22:23]
	s_delay_alu instid0(VALU_DEP_4) | instskip(NEXT) | instid1(VALU_DEP_4)
	v_fma_f64 v[4:5], v[4:5], v[34:35], v[14:15]
	v_fma_f64 v[2:3], v[2:3], v[34:35], -v[16:17]
	s_delay_alu instid0(VALU_DEP_4) | instskip(NEXT) | instid1(VALU_DEP_4)
	v_add_f64 v[6:7], v[10:11], v[6:7]
	v_add_f64 v[8:9], v[12:13], v[8:9]
	s_delay_alu instid0(VALU_DEP_2) | instskip(NEXT) | instid1(VALU_DEP_2)
	v_add_f64 v[2:3], v[6:7], v[2:3]
	v_add_f64 v[4:5], v[8:9], v[4:5]
	s_delay_alu instid0(VALU_DEP_2) | instskip(NEXT) | instid1(VALU_DEP_2)
	v_add_f64 v[2:3], v[42:43], -v[2:3]
	v_add_f64 v[4:5], v[44:45], -v[4:5]
	scratch_store_b128 off, v[2:5], off offset:384
	v_cmpx_lt_u32_e32 23, v138
	s_cbranch_execz .LBB109_243
; %bb.242:
	scratch_load_b128 v[5:8], v161, off
	v_mov_b32_e32 v2, v1
	v_mov_b32_e32 v3, v1
	;; [unrolled: 1-line block ×3, first 2 shown]
	scratch_store_b128 off, v[1:4], off offset:368
	s_waitcnt vmcnt(0)
	ds_store_b128 v184, v[5:8]
.LBB109_243:
	s_or_b32 exec_lo, exec_lo, s2
	s_waitcnt lgkmcnt(0)
	s_waitcnt_vscnt null, 0x0
	s_barrier
	buffer_gl0_inv
	s_clause 0x8
	scratch_load_b128 v[2:5], off, off offset:384
	scratch_load_b128 v[6:9], off, off offset:400
	;; [unrolled: 1-line block ×9, first 2 shown]
	ds_load_b128 v[38:41], v1 offset:1120
	ds_load_b128 v[42:45], v1 offset:1136
	s_clause 0x1
	scratch_load_b128 v[185:188], off, off offset:368
	scratch_load_b128 v[189:192], off, off offset:528
	s_mov_b32 s2, exec_lo
	s_waitcnt vmcnt(10) lgkmcnt(1)
	v_mul_f64 v[193:194], v[40:41], v[4:5]
	v_mul_f64 v[4:5], v[38:39], v[4:5]
	s_waitcnt vmcnt(9) lgkmcnt(0)
	v_mul_f64 v[197:198], v[42:43], v[8:9]
	v_mul_f64 v[8:9], v[44:45], v[8:9]
	s_delay_alu instid0(VALU_DEP_4) | instskip(NEXT) | instid1(VALU_DEP_4)
	v_fma_f64 v[199:200], v[38:39], v[2:3], -v[193:194]
	v_fma_f64 v[201:202], v[40:41], v[2:3], v[4:5]
	ds_load_b128 v[2:5], v1 offset:1152
	ds_load_b128 v[193:196], v1 offset:1168
	scratch_load_b128 v[38:41], off, off offset:544
	v_fma_f64 v[44:45], v[44:45], v[6:7], v[197:198]
	v_fma_f64 v[42:43], v[42:43], v[6:7], -v[8:9]
	scratch_load_b128 v[6:9], off, off offset:560
	s_waitcnt vmcnt(10) lgkmcnt(1)
	v_mul_f64 v[203:204], v[2:3], v[12:13]
	v_mul_f64 v[12:13], v[4:5], v[12:13]
	v_add_f64 v[197:198], v[199:200], 0
	v_add_f64 v[199:200], v[201:202], 0
	s_waitcnt vmcnt(9) lgkmcnt(0)
	v_mul_f64 v[201:202], v[193:194], v[16:17]
	v_mul_f64 v[16:17], v[195:196], v[16:17]
	v_fma_f64 v[203:204], v[4:5], v[10:11], v[203:204]
	v_fma_f64 v[205:206], v[2:3], v[10:11], -v[12:13]
	ds_load_b128 v[2:5], v1 offset:1184
	scratch_load_b128 v[10:13], off, off offset:576
	v_add_f64 v[197:198], v[197:198], v[42:43]
	v_add_f64 v[199:200], v[199:200], v[44:45]
	ds_load_b128 v[42:45], v1 offset:1200
	v_fma_f64 v[195:196], v[195:196], v[14:15], v[201:202]
	v_fma_f64 v[193:194], v[193:194], v[14:15], -v[16:17]
	scratch_load_b128 v[14:17], off, off offset:592
	s_waitcnt vmcnt(10) lgkmcnt(1)
	v_mul_f64 v[207:208], v[2:3], v[20:21]
	v_mul_f64 v[20:21], v[4:5], v[20:21]
	s_waitcnt vmcnt(9) lgkmcnt(0)
	v_mul_f64 v[201:202], v[42:43], v[24:25]
	v_mul_f64 v[24:25], v[44:45], v[24:25]
	v_add_f64 v[197:198], v[197:198], v[205:206]
	v_add_f64 v[199:200], v[199:200], v[203:204]
	v_fma_f64 v[203:204], v[4:5], v[18:19], v[207:208]
	v_fma_f64 v[205:206], v[2:3], v[18:19], -v[20:21]
	ds_load_b128 v[2:5], v1 offset:1216
	scratch_load_b128 v[18:21], off, off offset:608
	v_fma_f64 v[44:45], v[44:45], v[22:23], v[201:202]
	v_fma_f64 v[42:43], v[42:43], v[22:23], -v[24:25]
	scratch_load_b128 v[22:25], off, off offset:624
	v_add_f64 v[197:198], v[197:198], v[193:194]
	v_add_f64 v[199:200], v[199:200], v[195:196]
	ds_load_b128 v[193:196], v1 offset:1232
	s_waitcnt vmcnt(10) lgkmcnt(1)
	v_mul_f64 v[207:208], v[2:3], v[28:29]
	v_mul_f64 v[28:29], v[4:5], v[28:29]
	s_waitcnt vmcnt(9) lgkmcnt(0)
	v_mul_f64 v[201:202], v[193:194], v[32:33]
	v_mul_f64 v[32:33], v[195:196], v[32:33]
	v_add_f64 v[197:198], v[197:198], v[205:206]
	v_add_f64 v[199:200], v[199:200], v[203:204]
	v_fma_f64 v[203:204], v[4:5], v[26:27], v[207:208]
	v_fma_f64 v[205:206], v[2:3], v[26:27], -v[28:29]
	ds_load_b128 v[2:5], v1 offset:1248
	scratch_load_b128 v[26:29], off, off offset:640
	v_fma_f64 v[195:196], v[195:196], v[30:31], v[201:202]
	v_fma_f64 v[193:194], v[193:194], v[30:31], -v[32:33]
	scratch_load_b128 v[30:33], off, off offset:656
	v_add_f64 v[197:198], v[197:198], v[42:43]
	v_add_f64 v[199:200], v[199:200], v[44:45]
	ds_load_b128 v[42:45], v1 offset:1264
	s_waitcnt vmcnt(10) lgkmcnt(1)
	v_mul_f64 v[207:208], v[2:3], v[36:37]
	v_mul_f64 v[36:37], v[4:5], v[36:37]
	s_waitcnt vmcnt(8) lgkmcnt(0)
	v_mul_f64 v[201:202], v[42:43], v[191:192]
	v_add_f64 v[197:198], v[197:198], v[205:206]
	v_add_f64 v[199:200], v[199:200], v[203:204]
	v_mul_f64 v[203:204], v[44:45], v[191:192]
	v_fma_f64 v[205:206], v[4:5], v[34:35], v[207:208]
	v_fma_f64 v[207:208], v[2:3], v[34:35], -v[36:37]
	ds_load_b128 v[2:5], v1 offset:1280
	scratch_load_b128 v[34:37], off, off offset:672
	v_fma_f64 v[44:45], v[44:45], v[189:190], v[201:202]
	v_add_f64 v[197:198], v[197:198], v[193:194]
	v_add_f64 v[195:196], v[199:200], v[195:196]
	ds_load_b128 v[191:194], v1 offset:1296
	v_fma_f64 v[189:190], v[42:43], v[189:190], -v[203:204]
	s_waitcnt vmcnt(8) lgkmcnt(1)
	v_mul_f64 v[199:200], v[2:3], v[40:41]
	v_mul_f64 v[209:210], v[4:5], v[40:41]
	scratch_load_b128 v[40:43], off, off offset:688
	s_waitcnt vmcnt(8) lgkmcnt(0)
	v_mul_f64 v[203:204], v[191:192], v[8:9]
	v_mul_f64 v[8:9], v[193:194], v[8:9]
	v_add_f64 v[197:198], v[197:198], v[207:208]
	v_add_f64 v[195:196], v[195:196], v[205:206]
	v_fma_f64 v[205:206], v[4:5], v[38:39], v[199:200]
	v_fma_f64 v[38:39], v[2:3], v[38:39], -v[209:210]
	ds_load_b128 v[2:5], v1 offset:1312
	ds_load_b128 v[199:202], v1 offset:1328
	v_fma_f64 v[193:194], v[193:194], v[6:7], v[203:204]
	v_fma_f64 v[191:192], v[191:192], v[6:7], -v[8:9]
	scratch_load_b128 v[6:9], off, off offset:720
	v_add_f64 v[189:190], v[197:198], v[189:190]
	v_add_f64 v[44:45], v[195:196], v[44:45]
	scratch_load_b128 v[195:198], off, off offset:704
	s_waitcnt vmcnt(9) lgkmcnt(1)
	v_mul_f64 v[207:208], v[2:3], v[12:13]
	v_mul_f64 v[12:13], v[4:5], v[12:13]
	v_add_f64 v[38:39], v[189:190], v[38:39]
	v_add_f64 v[44:45], v[44:45], v[205:206]
	s_waitcnt vmcnt(8) lgkmcnt(0)
	v_mul_f64 v[189:190], v[199:200], v[16:17]
	v_mul_f64 v[16:17], v[201:202], v[16:17]
	v_fma_f64 v[203:204], v[4:5], v[10:11], v[207:208]
	v_fma_f64 v[205:206], v[2:3], v[10:11], -v[12:13]
	ds_load_b128 v[2:5], v1 offset:1344
	ds_load_b128 v[10:13], v1 offset:1360
	v_add_f64 v[38:39], v[38:39], v[191:192]
	v_add_f64 v[44:45], v[44:45], v[193:194]
	s_waitcnt vmcnt(7) lgkmcnt(1)
	v_mul_f64 v[191:192], v[2:3], v[20:21]
	v_mul_f64 v[20:21], v[4:5], v[20:21]
	v_fma_f64 v[189:190], v[201:202], v[14:15], v[189:190]
	v_fma_f64 v[14:15], v[199:200], v[14:15], -v[16:17]
	v_add_f64 v[16:17], v[38:39], v[205:206]
	v_add_f64 v[38:39], v[44:45], v[203:204]
	s_waitcnt vmcnt(6) lgkmcnt(0)
	v_mul_f64 v[44:45], v[10:11], v[24:25]
	v_mul_f64 v[24:25], v[12:13], v[24:25]
	v_fma_f64 v[191:192], v[4:5], v[18:19], v[191:192]
	v_fma_f64 v[18:19], v[2:3], v[18:19], -v[20:21]
	v_add_f64 v[20:21], v[16:17], v[14:15]
	v_add_f64 v[38:39], v[38:39], v[189:190]
	ds_load_b128 v[2:5], v1 offset:1376
	ds_load_b128 v[14:17], v1 offset:1392
	v_fma_f64 v[12:13], v[12:13], v[22:23], v[44:45]
	v_fma_f64 v[10:11], v[10:11], v[22:23], -v[24:25]
	s_waitcnt vmcnt(5) lgkmcnt(1)
	v_mul_f64 v[189:190], v[2:3], v[28:29]
	v_mul_f64 v[28:29], v[4:5], v[28:29]
	s_waitcnt vmcnt(4) lgkmcnt(0)
	v_mul_f64 v[22:23], v[14:15], v[32:33]
	v_mul_f64 v[24:25], v[16:17], v[32:33]
	v_add_f64 v[18:19], v[20:21], v[18:19]
	v_add_f64 v[20:21], v[38:39], v[191:192]
	v_fma_f64 v[32:33], v[4:5], v[26:27], v[189:190]
	v_fma_f64 v[26:27], v[2:3], v[26:27], -v[28:29]
	v_fma_f64 v[16:17], v[16:17], v[30:31], v[22:23]
	v_fma_f64 v[14:15], v[14:15], v[30:31], -v[24:25]
	v_add_f64 v[18:19], v[18:19], v[10:11]
	v_add_f64 v[20:21], v[20:21], v[12:13]
	ds_load_b128 v[2:5], v1 offset:1408
	ds_load_b128 v[10:13], v1 offset:1424
	s_waitcnt vmcnt(3) lgkmcnt(1)
	v_mul_f64 v[28:29], v[2:3], v[36:37]
	v_mul_f64 v[36:37], v[4:5], v[36:37]
	s_waitcnt vmcnt(2) lgkmcnt(0)
	v_mul_f64 v[22:23], v[10:11], v[42:43]
	v_add_f64 v[18:19], v[18:19], v[26:27]
	v_add_f64 v[20:21], v[20:21], v[32:33]
	v_mul_f64 v[24:25], v[12:13], v[42:43]
	v_fma_f64 v[26:27], v[4:5], v[34:35], v[28:29]
	v_fma_f64 v[28:29], v[2:3], v[34:35], -v[36:37]
	v_fma_f64 v[12:13], v[12:13], v[40:41], v[22:23]
	v_add_f64 v[18:19], v[18:19], v[14:15]
	v_add_f64 v[20:21], v[20:21], v[16:17]
	ds_load_b128 v[2:5], v1 offset:1440
	ds_load_b128 v[14:17], v1 offset:1456
	v_fma_f64 v[10:11], v[10:11], v[40:41], -v[24:25]
	s_waitcnt vmcnt(0) lgkmcnt(1)
	v_mul_f64 v[30:31], v[2:3], v[197:198]
	v_mul_f64 v[32:33], v[4:5], v[197:198]
	s_waitcnt lgkmcnt(0)
	v_mul_f64 v[22:23], v[14:15], v[8:9]
	v_mul_f64 v[8:9], v[16:17], v[8:9]
	v_add_f64 v[18:19], v[18:19], v[28:29]
	v_add_f64 v[20:21], v[20:21], v[26:27]
	v_fma_f64 v[4:5], v[4:5], v[195:196], v[30:31]
	v_fma_f64 v[1:2], v[2:3], v[195:196], -v[32:33]
	v_fma_f64 v[16:17], v[16:17], v[6:7], v[22:23]
	v_fma_f64 v[6:7], v[14:15], v[6:7], -v[8:9]
	v_add_f64 v[10:11], v[18:19], v[10:11]
	v_add_f64 v[12:13], v[20:21], v[12:13]
	s_delay_alu instid0(VALU_DEP_2) | instskip(NEXT) | instid1(VALU_DEP_2)
	v_add_f64 v[1:2], v[10:11], v[1:2]
	v_add_f64 v[3:4], v[12:13], v[4:5]
	s_delay_alu instid0(VALU_DEP_2) | instskip(NEXT) | instid1(VALU_DEP_2)
	;; [unrolled: 3-line block ×3, first 2 shown]
	v_add_f64 v[1:2], v[185:186], -v[1:2]
	v_add_f64 v[3:4], v[187:188], -v[3:4]
	scratch_store_b128 off, v[1:4], off offset:368
	v_cmpx_lt_u32_e32 22, v138
	s_cbranch_execz .LBB109_245
; %bb.244:
	scratch_load_b128 v[1:4], v162, off
	v_mov_b32_e32 v5, 0
	s_delay_alu instid0(VALU_DEP_1)
	v_mov_b32_e32 v6, v5
	v_mov_b32_e32 v7, v5
	;; [unrolled: 1-line block ×3, first 2 shown]
	scratch_store_b128 off, v[5:8], off offset:352
	s_waitcnt vmcnt(0)
	ds_store_b128 v184, v[1:4]
.LBB109_245:
	s_or_b32 exec_lo, exec_lo, s2
	s_waitcnt lgkmcnt(0)
	s_waitcnt_vscnt null, 0x0
	s_barrier
	buffer_gl0_inv
	s_clause 0x7
	scratch_load_b128 v[2:5], off, off offset:368
	scratch_load_b128 v[6:9], off, off offset:384
	;; [unrolled: 1-line block ×8, first 2 shown]
	v_mov_b32_e32 v1, 0
	s_mov_b32 s2, exec_lo
	ds_load_b128 v[34:37], v1 offset:1104
	s_clause 0x1
	scratch_load_b128 v[38:41], off, off offset:496
	scratch_load_b128 v[42:45], off, off offset:352
	ds_load_b128 v[185:188], v1 offset:1120
	scratch_load_b128 v[189:192], off, off offset:512
	s_waitcnt vmcnt(10) lgkmcnt(1)
	v_mul_f64 v[193:194], v[36:37], v[4:5]
	v_mul_f64 v[4:5], v[34:35], v[4:5]
	s_delay_alu instid0(VALU_DEP_2) | instskip(NEXT) | instid1(VALU_DEP_2)
	v_fma_f64 v[199:200], v[34:35], v[2:3], -v[193:194]
	v_fma_f64 v[201:202], v[36:37], v[2:3], v[4:5]
	scratch_load_b128 v[34:37], off, off offset:528
	ds_load_b128 v[2:5], v1 offset:1136
	s_waitcnt vmcnt(10) lgkmcnt(1)
	v_mul_f64 v[197:198], v[185:186], v[8:9]
	v_mul_f64 v[8:9], v[187:188], v[8:9]
	ds_load_b128 v[193:196], v1 offset:1152
	s_waitcnt vmcnt(9) lgkmcnt(1)
	v_mul_f64 v[203:204], v[2:3], v[12:13]
	v_mul_f64 v[12:13], v[4:5], v[12:13]
	v_fma_f64 v[187:188], v[187:188], v[6:7], v[197:198]
	v_fma_f64 v[185:186], v[185:186], v[6:7], -v[8:9]
	v_add_f64 v[197:198], v[199:200], 0
	v_add_f64 v[199:200], v[201:202], 0
	scratch_load_b128 v[6:9], off, off offset:544
	v_fma_f64 v[203:204], v[4:5], v[10:11], v[203:204]
	v_fma_f64 v[205:206], v[2:3], v[10:11], -v[12:13]
	scratch_load_b128 v[10:13], off, off offset:560
	ds_load_b128 v[2:5], v1 offset:1168
	s_waitcnt vmcnt(10) lgkmcnt(1)
	v_mul_f64 v[201:202], v[193:194], v[16:17]
	v_mul_f64 v[16:17], v[195:196], v[16:17]
	v_add_f64 v[197:198], v[197:198], v[185:186]
	v_add_f64 v[199:200], v[199:200], v[187:188]
	s_waitcnt vmcnt(9) lgkmcnt(0)
	v_mul_f64 v[207:208], v[2:3], v[20:21]
	v_mul_f64 v[20:21], v[4:5], v[20:21]
	ds_load_b128 v[185:188], v1 offset:1184
	v_fma_f64 v[195:196], v[195:196], v[14:15], v[201:202]
	v_fma_f64 v[193:194], v[193:194], v[14:15], -v[16:17]
	scratch_load_b128 v[14:17], off, off offset:576
	v_add_f64 v[197:198], v[197:198], v[205:206]
	v_add_f64 v[199:200], v[199:200], v[203:204]
	v_fma_f64 v[203:204], v[4:5], v[18:19], v[207:208]
	v_fma_f64 v[205:206], v[2:3], v[18:19], -v[20:21]
	scratch_load_b128 v[18:21], off, off offset:592
	ds_load_b128 v[2:5], v1 offset:1200
	s_waitcnt vmcnt(10) lgkmcnt(1)
	v_mul_f64 v[201:202], v[185:186], v[24:25]
	v_mul_f64 v[24:25], v[187:188], v[24:25]
	s_waitcnt vmcnt(9) lgkmcnt(0)
	v_mul_f64 v[207:208], v[2:3], v[28:29]
	v_mul_f64 v[28:29], v[4:5], v[28:29]
	v_add_f64 v[197:198], v[197:198], v[193:194]
	v_add_f64 v[199:200], v[199:200], v[195:196]
	ds_load_b128 v[193:196], v1 offset:1216
	v_fma_f64 v[187:188], v[187:188], v[22:23], v[201:202]
	v_fma_f64 v[185:186], v[185:186], v[22:23], -v[24:25]
	scratch_load_b128 v[22:25], off, off offset:608
	v_add_f64 v[197:198], v[197:198], v[205:206]
	v_add_f64 v[199:200], v[199:200], v[203:204]
	v_fma_f64 v[203:204], v[4:5], v[26:27], v[207:208]
	v_fma_f64 v[205:206], v[2:3], v[26:27], -v[28:29]
	scratch_load_b128 v[26:29], off, off offset:624
	ds_load_b128 v[2:5], v1 offset:1232
	s_waitcnt vmcnt(10) lgkmcnt(1)
	v_mul_f64 v[201:202], v[193:194], v[32:33]
	v_mul_f64 v[32:33], v[195:196], v[32:33]
	s_waitcnt vmcnt(9) lgkmcnt(0)
	v_mul_f64 v[207:208], v[2:3], v[40:41]
	v_mul_f64 v[40:41], v[4:5], v[40:41]
	v_add_f64 v[197:198], v[197:198], v[185:186]
	v_add_f64 v[199:200], v[199:200], v[187:188]
	ds_load_b128 v[185:188], v1 offset:1248
	v_fma_f64 v[195:196], v[195:196], v[30:31], v[201:202]
	v_fma_f64 v[193:194], v[193:194], v[30:31], -v[32:33]
	scratch_load_b128 v[30:33], off, off offset:640
	v_add_f64 v[197:198], v[197:198], v[205:206]
	v_add_f64 v[199:200], v[199:200], v[203:204]
	v_fma_f64 v[205:206], v[4:5], v[38:39], v[207:208]
	v_fma_f64 v[207:208], v[2:3], v[38:39], -v[40:41]
	scratch_load_b128 v[38:41], off, off offset:656
	ds_load_b128 v[2:5], v1 offset:1264
	s_waitcnt vmcnt(9) lgkmcnt(1)
	v_mul_f64 v[201:202], v[185:186], v[191:192]
	v_mul_f64 v[203:204], v[187:188], v[191:192]
	v_add_f64 v[197:198], v[197:198], v[193:194]
	v_add_f64 v[195:196], v[199:200], v[195:196]
	ds_load_b128 v[191:194], v1 offset:1280
	v_fma_f64 v[201:202], v[187:188], v[189:190], v[201:202]
	v_fma_f64 v[189:190], v[185:186], v[189:190], -v[203:204]
	scratch_load_b128 v[185:188], off, off offset:672
	s_waitcnt vmcnt(9) lgkmcnt(1)
	v_mul_f64 v[199:200], v[2:3], v[36:37]
	v_mul_f64 v[36:37], v[4:5], v[36:37]
	v_add_f64 v[197:198], v[197:198], v[207:208]
	v_add_f64 v[195:196], v[195:196], v[205:206]
	s_delay_alu instid0(VALU_DEP_4) | instskip(NEXT) | instid1(VALU_DEP_4)
	v_fma_f64 v[199:200], v[4:5], v[34:35], v[199:200]
	v_fma_f64 v[205:206], v[2:3], v[34:35], -v[36:37]
	scratch_load_b128 v[34:37], off, off offset:688
	ds_load_b128 v[2:5], v1 offset:1296
	s_waitcnt vmcnt(9) lgkmcnt(1)
	v_mul_f64 v[203:204], v[191:192], v[8:9]
	v_mul_f64 v[8:9], v[193:194], v[8:9]
	s_waitcnt vmcnt(8) lgkmcnt(0)
	v_mul_f64 v[207:208], v[2:3], v[12:13]
	v_mul_f64 v[12:13], v[4:5], v[12:13]
	v_add_f64 v[189:190], v[197:198], v[189:190]
	v_add_f64 v[201:202], v[195:196], v[201:202]
	ds_load_b128 v[195:198], v1 offset:1312
	v_fma_f64 v[193:194], v[193:194], v[6:7], v[203:204]
	v_fma_f64 v[191:192], v[191:192], v[6:7], -v[8:9]
	scratch_load_b128 v[6:9], off, off offset:704
	v_fma_f64 v[203:204], v[4:5], v[10:11], v[207:208]
	v_add_f64 v[189:190], v[189:190], v[205:206]
	v_add_f64 v[199:200], v[201:202], v[199:200]
	v_fma_f64 v[205:206], v[2:3], v[10:11], -v[12:13]
	scratch_load_b128 v[10:13], off, off offset:720
	ds_load_b128 v[2:5], v1 offset:1328
	s_waitcnt vmcnt(9) lgkmcnt(1)
	v_mul_f64 v[201:202], v[195:196], v[16:17]
	v_mul_f64 v[16:17], v[197:198], v[16:17]
	v_add_f64 v[207:208], v[189:190], v[191:192]
	v_add_f64 v[193:194], v[199:200], v[193:194]
	s_waitcnt vmcnt(8) lgkmcnt(0)
	v_mul_f64 v[199:200], v[2:3], v[20:21]
	v_mul_f64 v[20:21], v[4:5], v[20:21]
	ds_load_b128 v[189:192], v1 offset:1344
	v_fma_f64 v[197:198], v[197:198], v[14:15], v[201:202]
	v_fma_f64 v[14:15], v[195:196], v[14:15], -v[16:17]
	s_waitcnt vmcnt(7) lgkmcnt(0)
	v_mul_f64 v[195:196], v[189:190], v[24:25]
	v_mul_f64 v[24:25], v[191:192], v[24:25]
	v_add_f64 v[16:17], v[207:208], v[205:206]
	v_add_f64 v[193:194], v[193:194], v[203:204]
	v_fma_f64 v[199:200], v[4:5], v[18:19], v[199:200]
	v_fma_f64 v[18:19], v[2:3], v[18:19], -v[20:21]
	v_fma_f64 v[191:192], v[191:192], v[22:23], v[195:196]
	v_fma_f64 v[22:23], v[189:190], v[22:23], -v[24:25]
	v_add_f64 v[20:21], v[16:17], v[14:15]
	v_add_f64 v[193:194], v[193:194], v[197:198]
	ds_load_b128 v[2:5], v1 offset:1360
	ds_load_b128 v[14:17], v1 offset:1376
	s_waitcnt vmcnt(6) lgkmcnt(1)
	v_mul_f64 v[197:198], v[2:3], v[28:29]
	v_mul_f64 v[28:29], v[4:5], v[28:29]
	s_waitcnt vmcnt(5) lgkmcnt(0)
	v_mul_f64 v[24:25], v[14:15], v[32:33]
	v_mul_f64 v[32:33], v[16:17], v[32:33]
	v_add_f64 v[18:19], v[20:21], v[18:19]
	v_add_f64 v[20:21], v[193:194], v[199:200]
	v_fma_f64 v[189:190], v[4:5], v[26:27], v[197:198]
	v_fma_f64 v[26:27], v[2:3], v[26:27], -v[28:29]
	v_fma_f64 v[16:17], v[16:17], v[30:31], v[24:25]
	v_fma_f64 v[14:15], v[14:15], v[30:31], -v[32:33]
	v_add_f64 v[22:23], v[18:19], v[22:23]
	v_add_f64 v[28:29], v[20:21], v[191:192]
	ds_load_b128 v[2:5], v1 offset:1392
	ds_load_b128 v[18:21], v1 offset:1408
	s_waitcnt vmcnt(4) lgkmcnt(1)
	v_mul_f64 v[191:192], v[2:3], v[40:41]
	v_mul_f64 v[40:41], v[4:5], v[40:41]
	v_add_f64 v[22:23], v[22:23], v[26:27]
	v_add_f64 v[24:25], v[28:29], v[189:190]
	s_waitcnt vmcnt(3) lgkmcnt(0)
	v_mul_f64 v[26:27], v[18:19], v[187:188]
	v_mul_f64 v[28:29], v[20:21], v[187:188]
	v_fma_f64 v[30:31], v[4:5], v[38:39], v[191:192]
	v_fma_f64 v[32:33], v[2:3], v[38:39], -v[40:41]
	v_add_f64 v[22:23], v[22:23], v[14:15]
	v_add_f64 v[24:25], v[24:25], v[16:17]
	ds_load_b128 v[2:5], v1 offset:1424
	ds_load_b128 v[14:17], v1 offset:1440
	v_fma_f64 v[20:21], v[20:21], v[185:186], v[26:27]
	v_fma_f64 v[18:19], v[18:19], v[185:186], -v[28:29]
	s_waitcnt vmcnt(2) lgkmcnt(1)
	v_mul_f64 v[38:39], v[2:3], v[36:37]
	v_mul_f64 v[36:37], v[4:5], v[36:37]
	s_waitcnt vmcnt(1) lgkmcnt(0)
	v_mul_f64 v[26:27], v[14:15], v[8:9]
	v_mul_f64 v[8:9], v[16:17], v[8:9]
	v_add_f64 v[22:23], v[22:23], v[32:33]
	v_add_f64 v[24:25], v[24:25], v[30:31]
	v_fma_f64 v[28:29], v[4:5], v[34:35], v[38:39]
	v_fma_f64 v[30:31], v[2:3], v[34:35], -v[36:37]
	ds_load_b128 v[2:5], v1 offset:1456
	v_fma_f64 v[16:17], v[16:17], v[6:7], v[26:27]
	v_fma_f64 v[6:7], v[14:15], v[6:7], -v[8:9]
	v_add_f64 v[18:19], v[22:23], v[18:19]
	v_add_f64 v[20:21], v[24:25], v[20:21]
	s_waitcnt vmcnt(0) lgkmcnt(0)
	v_mul_f64 v[22:23], v[2:3], v[12:13]
	v_mul_f64 v[12:13], v[4:5], v[12:13]
	s_delay_alu instid0(VALU_DEP_4) | instskip(NEXT) | instid1(VALU_DEP_4)
	v_add_f64 v[8:9], v[18:19], v[30:31]
	v_add_f64 v[14:15], v[20:21], v[28:29]
	s_delay_alu instid0(VALU_DEP_4) | instskip(NEXT) | instid1(VALU_DEP_4)
	v_fma_f64 v[4:5], v[4:5], v[10:11], v[22:23]
	v_fma_f64 v[2:3], v[2:3], v[10:11], -v[12:13]
	s_delay_alu instid0(VALU_DEP_4) | instskip(NEXT) | instid1(VALU_DEP_4)
	v_add_f64 v[6:7], v[8:9], v[6:7]
	v_add_f64 v[8:9], v[14:15], v[16:17]
	s_delay_alu instid0(VALU_DEP_2) | instskip(NEXT) | instid1(VALU_DEP_2)
	v_add_f64 v[2:3], v[6:7], v[2:3]
	v_add_f64 v[4:5], v[8:9], v[4:5]
	s_delay_alu instid0(VALU_DEP_2) | instskip(NEXT) | instid1(VALU_DEP_2)
	v_add_f64 v[2:3], v[42:43], -v[2:3]
	v_add_f64 v[4:5], v[44:45], -v[4:5]
	scratch_store_b128 off, v[2:5], off offset:352
	v_cmpx_lt_u32_e32 21, v138
	s_cbranch_execz .LBB109_247
; %bb.246:
	scratch_load_b128 v[5:8], v163, off
	v_mov_b32_e32 v2, v1
	v_mov_b32_e32 v3, v1
	;; [unrolled: 1-line block ×3, first 2 shown]
	scratch_store_b128 off, v[1:4], off offset:336
	s_waitcnt vmcnt(0)
	ds_store_b128 v184, v[5:8]
.LBB109_247:
	s_or_b32 exec_lo, exec_lo, s2
	s_waitcnt lgkmcnt(0)
	s_waitcnt_vscnt null, 0x0
	s_barrier
	buffer_gl0_inv
	s_clause 0x8
	scratch_load_b128 v[2:5], off, off offset:352
	scratch_load_b128 v[6:9], off, off offset:368
	;; [unrolled: 1-line block ×9, first 2 shown]
	ds_load_b128 v[38:41], v1 offset:1088
	ds_load_b128 v[42:45], v1 offset:1104
	s_clause 0x1
	scratch_load_b128 v[185:188], off, off offset:336
	scratch_load_b128 v[189:192], off, off offset:496
	s_mov_b32 s2, exec_lo
	s_waitcnt vmcnt(10) lgkmcnt(1)
	v_mul_f64 v[193:194], v[40:41], v[4:5]
	v_mul_f64 v[4:5], v[38:39], v[4:5]
	s_waitcnt vmcnt(9) lgkmcnt(0)
	v_mul_f64 v[197:198], v[42:43], v[8:9]
	v_mul_f64 v[8:9], v[44:45], v[8:9]
	s_delay_alu instid0(VALU_DEP_4) | instskip(NEXT) | instid1(VALU_DEP_4)
	v_fma_f64 v[199:200], v[38:39], v[2:3], -v[193:194]
	v_fma_f64 v[201:202], v[40:41], v[2:3], v[4:5]
	ds_load_b128 v[2:5], v1 offset:1120
	ds_load_b128 v[193:196], v1 offset:1136
	scratch_load_b128 v[38:41], off, off offset:512
	v_fma_f64 v[44:45], v[44:45], v[6:7], v[197:198]
	v_fma_f64 v[42:43], v[42:43], v[6:7], -v[8:9]
	scratch_load_b128 v[6:9], off, off offset:528
	s_waitcnt vmcnt(10) lgkmcnt(1)
	v_mul_f64 v[203:204], v[2:3], v[12:13]
	v_mul_f64 v[12:13], v[4:5], v[12:13]
	v_add_f64 v[197:198], v[199:200], 0
	v_add_f64 v[199:200], v[201:202], 0
	s_waitcnt vmcnt(9) lgkmcnt(0)
	v_mul_f64 v[201:202], v[193:194], v[16:17]
	v_mul_f64 v[16:17], v[195:196], v[16:17]
	v_fma_f64 v[203:204], v[4:5], v[10:11], v[203:204]
	v_fma_f64 v[205:206], v[2:3], v[10:11], -v[12:13]
	ds_load_b128 v[2:5], v1 offset:1152
	scratch_load_b128 v[10:13], off, off offset:544
	v_add_f64 v[197:198], v[197:198], v[42:43]
	v_add_f64 v[199:200], v[199:200], v[44:45]
	ds_load_b128 v[42:45], v1 offset:1168
	v_fma_f64 v[195:196], v[195:196], v[14:15], v[201:202]
	v_fma_f64 v[193:194], v[193:194], v[14:15], -v[16:17]
	scratch_load_b128 v[14:17], off, off offset:560
	s_waitcnt vmcnt(10) lgkmcnt(1)
	v_mul_f64 v[207:208], v[2:3], v[20:21]
	v_mul_f64 v[20:21], v[4:5], v[20:21]
	s_waitcnt vmcnt(9) lgkmcnt(0)
	v_mul_f64 v[201:202], v[42:43], v[24:25]
	v_mul_f64 v[24:25], v[44:45], v[24:25]
	v_add_f64 v[197:198], v[197:198], v[205:206]
	v_add_f64 v[199:200], v[199:200], v[203:204]
	v_fma_f64 v[203:204], v[4:5], v[18:19], v[207:208]
	v_fma_f64 v[205:206], v[2:3], v[18:19], -v[20:21]
	ds_load_b128 v[2:5], v1 offset:1184
	scratch_load_b128 v[18:21], off, off offset:576
	v_fma_f64 v[44:45], v[44:45], v[22:23], v[201:202]
	v_fma_f64 v[42:43], v[42:43], v[22:23], -v[24:25]
	scratch_load_b128 v[22:25], off, off offset:592
	v_add_f64 v[197:198], v[197:198], v[193:194]
	v_add_f64 v[199:200], v[199:200], v[195:196]
	ds_load_b128 v[193:196], v1 offset:1200
	s_waitcnt vmcnt(10) lgkmcnt(1)
	v_mul_f64 v[207:208], v[2:3], v[28:29]
	v_mul_f64 v[28:29], v[4:5], v[28:29]
	s_waitcnt vmcnt(9) lgkmcnt(0)
	v_mul_f64 v[201:202], v[193:194], v[32:33]
	v_mul_f64 v[32:33], v[195:196], v[32:33]
	v_add_f64 v[197:198], v[197:198], v[205:206]
	v_add_f64 v[199:200], v[199:200], v[203:204]
	v_fma_f64 v[203:204], v[4:5], v[26:27], v[207:208]
	v_fma_f64 v[205:206], v[2:3], v[26:27], -v[28:29]
	ds_load_b128 v[2:5], v1 offset:1216
	scratch_load_b128 v[26:29], off, off offset:608
	v_fma_f64 v[195:196], v[195:196], v[30:31], v[201:202]
	v_fma_f64 v[193:194], v[193:194], v[30:31], -v[32:33]
	scratch_load_b128 v[30:33], off, off offset:624
	v_add_f64 v[197:198], v[197:198], v[42:43]
	v_add_f64 v[199:200], v[199:200], v[44:45]
	ds_load_b128 v[42:45], v1 offset:1232
	s_waitcnt vmcnt(10) lgkmcnt(1)
	v_mul_f64 v[207:208], v[2:3], v[36:37]
	v_mul_f64 v[36:37], v[4:5], v[36:37]
	s_waitcnt vmcnt(8) lgkmcnt(0)
	v_mul_f64 v[201:202], v[42:43], v[191:192]
	v_add_f64 v[197:198], v[197:198], v[205:206]
	v_add_f64 v[199:200], v[199:200], v[203:204]
	v_mul_f64 v[203:204], v[44:45], v[191:192]
	v_fma_f64 v[205:206], v[4:5], v[34:35], v[207:208]
	v_fma_f64 v[207:208], v[2:3], v[34:35], -v[36:37]
	ds_load_b128 v[2:5], v1 offset:1248
	scratch_load_b128 v[34:37], off, off offset:640
	v_fma_f64 v[44:45], v[44:45], v[189:190], v[201:202]
	v_add_f64 v[197:198], v[197:198], v[193:194]
	v_add_f64 v[195:196], v[199:200], v[195:196]
	ds_load_b128 v[191:194], v1 offset:1264
	v_fma_f64 v[189:190], v[42:43], v[189:190], -v[203:204]
	s_waitcnt vmcnt(8) lgkmcnt(1)
	v_mul_f64 v[199:200], v[2:3], v[40:41]
	v_mul_f64 v[209:210], v[4:5], v[40:41]
	scratch_load_b128 v[40:43], off, off offset:656
	s_waitcnt vmcnt(8) lgkmcnt(0)
	v_mul_f64 v[203:204], v[191:192], v[8:9]
	v_mul_f64 v[8:9], v[193:194], v[8:9]
	v_add_f64 v[197:198], v[197:198], v[207:208]
	v_add_f64 v[195:196], v[195:196], v[205:206]
	v_fma_f64 v[205:206], v[4:5], v[38:39], v[199:200]
	v_fma_f64 v[38:39], v[2:3], v[38:39], -v[209:210]
	ds_load_b128 v[2:5], v1 offset:1280
	ds_load_b128 v[199:202], v1 offset:1296
	v_fma_f64 v[193:194], v[193:194], v[6:7], v[203:204]
	v_fma_f64 v[191:192], v[191:192], v[6:7], -v[8:9]
	scratch_load_b128 v[6:9], off, off offset:688
	v_add_f64 v[189:190], v[197:198], v[189:190]
	v_add_f64 v[44:45], v[195:196], v[44:45]
	scratch_load_b128 v[195:198], off, off offset:672
	s_waitcnt vmcnt(9) lgkmcnt(1)
	v_mul_f64 v[207:208], v[2:3], v[12:13]
	v_mul_f64 v[12:13], v[4:5], v[12:13]
	s_waitcnt vmcnt(8) lgkmcnt(0)
	v_mul_f64 v[203:204], v[199:200], v[16:17]
	v_mul_f64 v[16:17], v[201:202], v[16:17]
	v_add_f64 v[38:39], v[189:190], v[38:39]
	v_add_f64 v[44:45], v[44:45], v[205:206]
	v_fma_f64 v[205:206], v[4:5], v[10:11], v[207:208]
	v_fma_f64 v[207:208], v[2:3], v[10:11], -v[12:13]
	ds_load_b128 v[2:5], v1 offset:1312
	scratch_load_b128 v[10:13], off, off offset:704
	v_fma_f64 v[201:202], v[201:202], v[14:15], v[203:204]
	v_fma_f64 v[199:200], v[199:200], v[14:15], -v[16:17]
	scratch_load_b128 v[14:17], off, off offset:720
	v_add_f64 v[38:39], v[38:39], v[191:192]
	v_add_f64 v[44:45], v[44:45], v[193:194]
	ds_load_b128 v[189:192], v1 offset:1328
	s_waitcnt vmcnt(9) lgkmcnt(1)
	v_mul_f64 v[193:194], v[2:3], v[20:21]
	v_mul_f64 v[20:21], v[4:5], v[20:21]
	s_waitcnt vmcnt(8) lgkmcnt(0)
	v_mul_f64 v[203:204], v[189:190], v[24:25]
	v_mul_f64 v[24:25], v[191:192], v[24:25]
	v_add_f64 v[38:39], v[38:39], v[207:208]
	v_add_f64 v[44:45], v[44:45], v[205:206]
	v_fma_f64 v[193:194], v[4:5], v[18:19], v[193:194]
	v_fma_f64 v[205:206], v[2:3], v[18:19], -v[20:21]
	ds_load_b128 v[2:5], v1 offset:1344
	ds_load_b128 v[18:21], v1 offset:1360
	v_fma_f64 v[191:192], v[191:192], v[22:23], v[203:204]
	v_fma_f64 v[22:23], v[189:190], v[22:23], -v[24:25]
	v_add_f64 v[38:39], v[38:39], v[199:200]
	v_add_f64 v[44:45], v[44:45], v[201:202]
	s_waitcnt vmcnt(7) lgkmcnt(1)
	v_mul_f64 v[199:200], v[2:3], v[28:29]
	v_mul_f64 v[28:29], v[4:5], v[28:29]
	s_delay_alu instid0(VALU_DEP_4) | instskip(NEXT) | instid1(VALU_DEP_4)
	v_add_f64 v[24:25], v[38:39], v[205:206]
	v_add_f64 v[38:39], v[44:45], v[193:194]
	s_waitcnt vmcnt(6) lgkmcnt(0)
	v_mul_f64 v[44:45], v[18:19], v[32:33]
	v_mul_f64 v[32:33], v[20:21], v[32:33]
	v_fma_f64 v[189:190], v[4:5], v[26:27], v[199:200]
	v_fma_f64 v[26:27], v[2:3], v[26:27], -v[28:29]
	v_add_f64 v[28:29], v[24:25], v[22:23]
	v_add_f64 v[38:39], v[38:39], v[191:192]
	ds_load_b128 v[2:5], v1 offset:1376
	ds_load_b128 v[22:25], v1 offset:1392
	v_fma_f64 v[20:21], v[20:21], v[30:31], v[44:45]
	v_fma_f64 v[18:19], v[18:19], v[30:31], -v[32:33]
	s_waitcnt vmcnt(5) lgkmcnt(1)
	v_mul_f64 v[191:192], v[2:3], v[36:37]
	v_mul_f64 v[36:37], v[4:5], v[36:37]
	s_waitcnt vmcnt(4) lgkmcnt(0)
	v_mul_f64 v[30:31], v[22:23], v[42:43]
	v_add_f64 v[26:27], v[28:29], v[26:27]
	v_add_f64 v[28:29], v[38:39], v[189:190]
	v_mul_f64 v[32:33], v[24:25], v[42:43]
	v_fma_f64 v[38:39], v[4:5], v[34:35], v[191:192]
	v_fma_f64 v[34:35], v[2:3], v[34:35], -v[36:37]
	v_fma_f64 v[24:25], v[24:25], v[40:41], v[30:31]
	v_add_f64 v[26:27], v[26:27], v[18:19]
	v_add_f64 v[28:29], v[28:29], v[20:21]
	ds_load_b128 v[2:5], v1 offset:1408
	ds_load_b128 v[18:21], v1 offset:1424
	v_fma_f64 v[22:23], v[22:23], v[40:41], -v[32:33]
	s_waitcnt vmcnt(2) lgkmcnt(1)
	v_mul_f64 v[36:37], v[2:3], v[197:198]
	v_mul_f64 v[42:43], v[4:5], v[197:198]
	s_waitcnt lgkmcnt(0)
	v_mul_f64 v[30:31], v[18:19], v[8:9]
	v_mul_f64 v[8:9], v[20:21], v[8:9]
	v_add_f64 v[26:27], v[26:27], v[34:35]
	v_add_f64 v[28:29], v[28:29], v[38:39]
	v_fma_f64 v[32:33], v[4:5], v[195:196], v[36:37]
	v_fma_f64 v[34:35], v[2:3], v[195:196], -v[42:43]
	v_fma_f64 v[20:21], v[20:21], v[6:7], v[30:31]
	v_fma_f64 v[6:7], v[18:19], v[6:7], -v[8:9]
	v_add_f64 v[26:27], v[26:27], v[22:23]
	v_add_f64 v[28:29], v[28:29], v[24:25]
	ds_load_b128 v[2:5], v1 offset:1440
	ds_load_b128 v[22:25], v1 offset:1456
	s_waitcnt vmcnt(1) lgkmcnt(1)
	v_mul_f64 v[36:37], v[2:3], v[12:13]
	v_mul_f64 v[12:13], v[4:5], v[12:13]
	v_add_f64 v[8:9], v[26:27], v[34:35]
	v_add_f64 v[18:19], v[28:29], v[32:33]
	s_waitcnt vmcnt(0) lgkmcnt(0)
	v_mul_f64 v[26:27], v[22:23], v[16:17]
	v_mul_f64 v[16:17], v[24:25], v[16:17]
	v_fma_f64 v[4:5], v[4:5], v[10:11], v[36:37]
	v_fma_f64 v[1:2], v[2:3], v[10:11], -v[12:13]
	v_add_f64 v[6:7], v[8:9], v[6:7]
	v_add_f64 v[8:9], v[18:19], v[20:21]
	v_fma_f64 v[10:11], v[24:25], v[14:15], v[26:27]
	v_fma_f64 v[12:13], v[22:23], v[14:15], -v[16:17]
	s_delay_alu instid0(VALU_DEP_4) | instskip(NEXT) | instid1(VALU_DEP_4)
	v_add_f64 v[1:2], v[6:7], v[1:2]
	v_add_f64 v[3:4], v[8:9], v[4:5]
	s_delay_alu instid0(VALU_DEP_2) | instskip(NEXT) | instid1(VALU_DEP_2)
	v_add_f64 v[1:2], v[1:2], v[12:13]
	v_add_f64 v[3:4], v[3:4], v[10:11]
	s_delay_alu instid0(VALU_DEP_2) | instskip(NEXT) | instid1(VALU_DEP_2)
	v_add_f64 v[1:2], v[185:186], -v[1:2]
	v_add_f64 v[3:4], v[187:188], -v[3:4]
	scratch_store_b128 off, v[1:4], off offset:336
	v_cmpx_lt_u32_e32 20, v138
	s_cbranch_execz .LBB109_249
; %bb.248:
	scratch_load_b128 v[1:4], v164, off
	v_mov_b32_e32 v5, 0
	s_delay_alu instid0(VALU_DEP_1)
	v_mov_b32_e32 v6, v5
	v_mov_b32_e32 v7, v5
	;; [unrolled: 1-line block ×3, first 2 shown]
	scratch_store_b128 off, v[5:8], off offset:320
	s_waitcnt vmcnt(0)
	ds_store_b128 v184, v[1:4]
.LBB109_249:
	s_or_b32 exec_lo, exec_lo, s2
	s_waitcnt lgkmcnt(0)
	s_waitcnt_vscnt null, 0x0
	s_barrier
	buffer_gl0_inv
	s_clause 0x7
	scratch_load_b128 v[2:5], off, off offset:336
	scratch_load_b128 v[6:9], off, off offset:352
	;; [unrolled: 1-line block ×8, first 2 shown]
	v_mov_b32_e32 v1, 0
	s_mov_b32 s2, exec_lo
	ds_load_b128 v[34:37], v1 offset:1072
	s_clause 0x1
	scratch_load_b128 v[38:41], off, off offset:464
	scratch_load_b128 v[42:45], off, off offset:320
	ds_load_b128 v[185:188], v1 offset:1088
	scratch_load_b128 v[189:192], off, off offset:480
	s_waitcnt vmcnt(10) lgkmcnt(1)
	v_mul_f64 v[193:194], v[36:37], v[4:5]
	v_mul_f64 v[4:5], v[34:35], v[4:5]
	s_delay_alu instid0(VALU_DEP_2) | instskip(NEXT) | instid1(VALU_DEP_2)
	v_fma_f64 v[199:200], v[34:35], v[2:3], -v[193:194]
	v_fma_f64 v[201:202], v[36:37], v[2:3], v[4:5]
	scratch_load_b128 v[34:37], off, off offset:496
	ds_load_b128 v[2:5], v1 offset:1104
	s_waitcnt vmcnt(10) lgkmcnt(1)
	v_mul_f64 v[197:198], v[185:186], v[8:9]
	v_mul_f64 v[8:9], v[187:188], v[8:9]
	ds_load_b128 v[193:196], v1 offset:1120
	s_waitcnt vmcnt(9) lgkmcnt(1)
	v_mul_f64 v[203:204], v[2:3], v[12:13]
	v_mul_f64 v[12:13], v[4:5], v[12:13]
	v_fma_f64 v[187:188], v[187:188], v[6:7], v[197:198]
	v_fma_f64 v[185:186], v[185:186], v[6:7], -v[8:9]
	v_add_f64 v[197:198], v[199:200], 0
	v_add_f64 v[199:200], v[201:202], 0
	scratch_load_b128 v[6:9], off, off offset:512
	v_fma_f64 v[203:204], v[4:5], v[10:11], v[203:204]
	v_fma_f64 v[205:206], v[2:3], v[10:11], -v[12:13]
	scratch_load_b128 v[10:13], off, off offset:528
	ds_load_b128 v[2:5], v1 offset:1136
	s_waitcnt vmcnt(10) lgkmcnt(1)
	v_mul_f64 v[201:202], v[193:194], v[16:17]
	v_mul_f64 v[16:17], v[195:196], v[16:17]
	v_add_f64 v[197:198], v[197:198], v[185:186]
	v_add_f64 v[199:200], v[199:200], v[187:188]
	s_waitcnt vmcnt(9) lgkmcnt(0)
	v_mul_f64 v[207:208], v[2:3], v[20:21]
	v_mul_f64 v[20:21], v[4:5], v[20:21]
	ds_load_b128 v[185:188], v1 offset:1152
	v_fma_f64 v[195:196], v[195:196], v[14:15], v[201:202]
	v_fma_f64 v[193:194], v[193:194], v[14:15], -v[16:17]
	scratch_load_b128 v[14:17], off, off offset:544
	v_add_f64 v[197:198], v[197:198], v[205:206]
	v_add_f64 v[199:200], v[199:200], v[203:204]
	v_fma_f64 v[203:204], v[4:5], v[18:19], v[207:208]
	v_fma_f64 v[205:206], v[2:3], v[18:19], -v[20:21]
	scratch_load_b128 v[18:21], off, off offset:560
	ds_load_b128 v[2:5], v1 offset:1168
	s_waitcnt vmcnt(10) lgkmcnt(1)
	v_mul_f64 v[201:202], v[185:186], v[24:25]
	v_mul_f64 v[24:25], v[187:188], v[24:25]
	s_waitcnt vmcnt(9) lgkmcnt(0)
	v_mul_f64 v[207:208], v[2:3], v[28:29]
	v_mul_f64 v[28:29], v[4:5], v[28:29]
	v_add_f64 v[197:198], v[197:198], v[193:194]
	v_add_f64 v[199:200], v[199:200], v[195:196]
	ds_load_b128 v[193:196], v1 offset:1184
	v_fma_f64 v[187:188], v[187:188], v[22:23], v[201:202]
	v_fma_f64 v[185:186], v[185:186], v[22:23], -v[24:25]
	scratch_load_b128 v[22:25], off, off offset:576
	v_add_f64 v[197:198], v[197:198], v[205:206]
	v_add_f64 v[199:200], v[199:200], v[203:204]
	v_fma_f64 v[203:204], v[4:5], v[26:27], v[207:208]
	v_fma_f64 v[205:206], v[2:3], v[26:27], -v[28:29]
	scratch_load_b128 v[26:29], off, off offset:592
	ds_load_b128 v[2:5], v1 offset:1200
	s_waitcnt vmcnt(10) lgkmcnt(1)
	v_mul_f64 v[201:202], v[193:194], v[32:33]
	v_mul_f64 v[32:33], v[195:196], v[32:33]
	s_waitcnt vmcnt(9) lgkmcnt(0)
	v_mul_f64 v[207:208], v[2:3], v[40:41]
	v_mul_f64 v[40:41], v[4:5], v[40:41]
	v_add_f64 v[197:198], v[197:198], v[185:186]
	v_add_f64 v[199:200], v[199:200], v[187:188]
	ds_load_b128 v[185:188], v1 offset:1216
	v_fma_f64 v[195:196], v[195:196], v[30:31], v[201:202]
	v_fma_f64 v[193:194], v[193:194], v[30:31], -v[32:33]
	scratch_load_b128 v[30:33], off, off offset:608
	v_add_f64 v[197:198], v[197:198], v[205:206]
	v_add_f64 v[199:200], v[199:200], v[203:204]
	v_fma_f64 v[205:206], v[4:5], v[38:39], v[207:208]
	v_fma_f64 v[207:208], v[2:3], v[38:39], -v[40:41]
	scratch_load_b128 v[38:41], off, off offset:624
	ds_load_b128 v[2:5], v1 offset:1232
	s_waitcnt vmcnt(9) lgkmcnt(1)
	v_mul_f64 v[201:202], v[185:186], v[191:192]
	v_mul_f64 v[203:204], v[187:188], v[191:192]
	v_add_f64 v[197:198], v[197:198], v[193:194]
	v_add_f64 v[195:196], v[199:200], v[195:196]
	ds_load_b128 v[191:194], v1 offset:1248
	v_fma_f64 v[201:202], v[187:188], v[189:190], v[201:202]
	v_fma_f64 v[189:190], v[185:186], v[189:190], -v[203:204]
	scratch_load_b128 v[185:188], off, off offset:640
	s_waitcnt vmcnt(9) lgkmcnt(1)
	v_mul_f64 v[199:200], v[2:3], v[36:37]
	v_mul_f64 v[36:37], v[4:5], v[36:37]
	v_add_f64 v[197:198], v[197:198], v[207:208]
	v_add_f64 v[195:196], v[195:196], v[205:206]
	s_delay_alu instid0(VALU_DEP_4) | instskip(NEXT) | instid1(VALU_DEP_4)
	v_fma_f64 v[199:200], v[4:5], v[34:35], v[199:200]
	v_fma_f64 v[205:206], v[2:3], v[34:35], -v[36:37]
	scratch_load_b128 v[34:37], off, off offset:656
	ds_load_b128 v[2:5], v1 offset:1264
	s_waitcnt vmcnt(9) lgkmcnt(1)
	v_mul_f64 v[203:204], v[191:192], v[8:9]
	v_mul_f64 v[8:9], v[193:194], v[8:9]
	s_waitcnt vmcnt(8) lgkmcnt(0)
	v_mul_f64 v[207:208], v[2:3], v[12:13]
	v_mul_f64 v[12:13], v[4:5], v[12:13]
	v_add_f64 v[189:190], v[197:198], v[189:190]
	v_add_f64 v[201:202], v[195:196], v[201:202]
	ds_load_b128 v[195:198], v1 offset:1280
	v_fma_f64 v[193:194], v[193:194], v[6:7], v[203:204]
	v_fma_f64 v[191:192], v[191:192], v[6:7], -v[8:9]
	scratch_load_b128 v[6:9], off, off offset:672
	v_fma_f64 v[203:204], v[4:5], v[10:11], v[207:208]
	v_add_f64 v[189:190], v[189:190], v[205:206]
	v_add_f64 v[199:200], v[201:202], v[199:200]
	v_fma_f64 v[205:206], v[2:3], v[10:11], -v[12:13]
	scratch_load_b128 v[10:13], off, off offset:688
	ds_load_b128 v[2:5], v1 offset:1296
	s_waitcnt vmcnt(9) lgkmcnt(1)
	v_mul_f64 v[201:202], v[195:196], v[16:17]
	v_mul_f64 v[16:17], v[197:198], v[16:17]
	v_add_f64 v[207:208], v[189:190], v[191:192]
	v_add_f64 v[193:194], v[199:200], v[193:194]
	s_waitcnt vmcnt(8) lgkmcnt(0)
	v_mul_f64 v[199:200], v[2:3], v[20:21]
	v_mul_f64 v[20:21], v[4:5], v[20:21]
	ds_load_b128 v[189:192], v1 offset:1312
	v_fma_f64 v[197:198], v[197:198], v[14:15], v[201:202]
	v_fma_f64 v[195:196], v[195:196], v[14:15], -v[16:17]
	scratch_load_b128 v[14:17], off, off offset:704
	v_add_f64 v[201:202], v[207:208], v[205:206]
	v_add_f64 v[193:194], v[193:194], v[203:204]
	v_fma_f64 v[199:200], v[4:5], v[18:19], v[199:200]
	v_fma_f64 v[205:206], v[2:3], v[18:19], -v[20:21]
	scratch_load_b128 v[18:21], off, off offset:720
	ds_load_b128 v[2:5], v1 offset:1328
	s_waitcnt vmcnt(9) lgkmcnt(1)
	v_mul_f64 v[203:204], v[189:190], v[24:25]
	v_mul_f64 v[24:25], v[191:192], v[24:25]
	s_waitcnt vmcnt(8) lgkmcnt(0)
	v_mul_f64 v[207:208], v[2:3], v[28:29]
	v_mul_f64 v[28:29], v[4:5], v[28:29]
	v_add_f64 v[201:202], v[201:202], v[195:196]
	v_add_f64 v[197:198], v[193:194], v[197:198]
	ds_load_b128 v[193:196], v1 offset:1344
	v_fma_f64 v[191:192], v[191:192], v[22:23], v[203:204]
	v_fma_f64 v[22:23], v[189:190], v[22:23], -v[24:25]
	v_add_f64 v[24:25], v[201:202], v[205:206]
	v_add_f64 v[189:190], v[197:198], v[199:200]
	s_waitcnt vmcnt(7) lgkmcnt(0)
	v_mul_f64 v[197:198], v[193:194], v[32:33]
	v_mul_f64 v[32:33], v[195:196], v[32:33]
	v_fma_f64 v[199:200], v[4:5], v[26:27], v[207:208]
	v_fma_f64 v[26:27], v[2:3], v[26:27], -v[28:29]
	v_add_f64 v[28:29], v[24:25], v[22:23]
	v_add_f64 v[189:190], v[189:190], v[191:192]
	ds_load_b128 v[2:5], v1 offset:1360
	ds_load_b128 v[22:25], v1 offset:1376
	v_fma_f64 v[195:196], v[195:196], v[30:31], v[197:198]
	v_fma_f64 v[30:31], v[193:194], v[30:31], -v[32:33]
	s_waitcnt vmcnt(6) lgkmcnt(1)
	v_mul_f64 v[191:192], v[2:3], v[40:41]
	v_mul_f64 v[40:41], v[4:5], v[40:41]
	s_waitcnt vmcnt(5) lgkmcnt(0)
	v_mul_f64 v[32:33], v[22:23], v[187:188]
	v_mul_f64 v[187:188], v[24:25], v[187:188]
	v_add_f64 v[26:27], v[28:29], v[26:27]
	v_add_f64 v[28:29], v[189:190], v[199:200]
	v_fma_f64 v[189:190], v[4:5], v[38:39], v[191:192]
	v_fma_f64 v[38:39], v[2:3], v[38:39], -v[40:41]
	v_fma_f64 v[24:25], v[24:25], v[185:186], v[32:33]
	v_fma_f64 v[22:23], v[22:23], v[185:186], -v[187:188]
	v_add_f64 v[30:31], v[26:27], v[30:31]
	v_add_f64 v[40:41], v[28:29], v[195:196]
	ds_load_b128 v[2:5], v1 offset:1392
	ds_load_b128 v[26:29], v1 offset:1408
	s_waitcnt vmcnt(4) lgkmcnt(1)
	v_mul_f64 v[191:192], v[2:3], v[36:37]
	v_mul_f64 v[36:37], v[4:5], v[36:37]
	v_add_f64 v[30:31], v[30:31], v[38:39]
	v_add_f64 v[32:33], v[40:41], v[189:190]
	s_waitcnt vmcnt(3) lgkmcnt(0)
	v_mul_f64 v[38:39], v[26:27], v[8:9]
	v_mul_f64 v[8:9], v[28:29], v[8:9]
	v_fma_f64 v[40:41], v[4:5], v[34:35], v[191:192]
	v_fma_f64 v[34:35], v[2:3], v[34:35], -v[36:37]
	v_add_f64 v[30:31], v[30:31], v[22:23]
	v_add_f64 v[32:33], v[32:33], v[24:25]
	ds_load_b128 v[2:5], v1 offset:1424
	ds_load_b128 v[22:25], v1 offset:1440
	v_fma_f64 v[28:29], v[28:29], v[6:7], v[38:39]
	v_fma_f64 v[6:7], v[26:27], v[6:7], -v[8:9]
	s_waitcnt vmcnt(2) lgkmcnt(1)
	v_mul_f64 v[36:37], v[2:3], v[12:13]
	v_mul_f64 v[12:13], v[4:5], v[12:13]
	v_add_f64 v[8:9], v[30:31], v[34:35]
	v_add_f64 v[26:27], v[32:33], v[40:41]
	s_waitcnt vmcnt(1) lgkmcnt(0)
	v_mul_f64 v[30:31], v[22:23], v[16:17]
	v_mul_f64 v[16:17], v[24:25], v[16:17]
	v_fma_f64 v[32:33], v[4:5], v[10:11], v[36:37]
	v_fma_f64 v[10:11], v[2:3], v[10:11], -v[12:13]
	ds_load_b128 v[2:5], v1 offset:1456
	v_add_f64 v[6:7], v[8:9], v[6:7]
	v_add_f64 v[8:9], v[26:27], v[28:29]
	v_fma_f64 v[24:25], v[24:25], v[14:15], v[30:31]
	v_fma_f64 v[14:15], v[22:23], v[14:15], -v[16:17]
	s_waitcnt vmcnt(0) lgkmcnt(0)
	v_mul_f64 v[12:13], v[2:3], v[20:21]
	v_mul_f64 v[20:21], v[4:5], v[20:21]
	v_add_f64 v[6:7], v[6:7], v[10:11]
	v_add_f64 v[8:9], v[8:9], v[32:33]
	s_delay_alu instid0(VALU_DEP_4) | instskip(NEXT) | instid1(VALU_DEP_4)
	v_fma_f64 v[4:5], v[4:5], v[18:19], v[12:13]
	v_fma_f64 v[2:3], v[2:3], v[18:19], -v[20:21]
	s_delay_alu instid0(VALU_DEP_4) | instskip(NEXT) | instid1(VALU_DEP_4)
	v_add_f64 v[6:7], v[6:7], v[14:15]
	v_add_f64 v[8:9], v[8:9], v[24:25]
	s_delay_alu instid0(VALU_DEP_2) | instskip(NEXT) | instid1(VALU_DEP_2)
	v_add_f64 v[2:3], v[6:7], v[2:3]
	v_add_f64 v[4:5], v[8:9], v[4:5]
	s_delay_alu instid0(VALU_DEP_2) | instskip(NEXT) | instid1(VALU_DEP_2)
	v_add_f64 v[2:3], v[42:43], -v[2:3]
	v_add_f64 v[4:5], v[44:45], -v[4:5]
	scratch_store_b128 off, v[2:5], off offset:320
	v_cmpx_lt_u32_e32 19, v138
	s_cbranch_execz .LBB109_251
; %bb.250:
	scratch_load_b128 v[5:8], v165, off
	v_mov_b32_e32 v2, v1
	v_mov_b32_e32 v3, v1
	;; [unrolled: 1-line block ×3, first 2 shown]
	scratch_store_b128 off, v[1:4], off offset:304
	s_waitcnt vmcnt(0)
	ds_store_b128 v184, v[5:8]
.LBB109_251:
	s_or_b32 exec_lo, exec_lo, s2
	s_waitcnt lgkmcnt(0)
	s_waitcnt_vscnt null, 0x0
	s_barrier
	buffer_gl0_inv
	s_clause 0x8
	scratch_load_b128 v[2:5], off, off offset:320
	scratch_load_b128 v[6:9], off, off offset:336
	scratch_load_b128 v[10:13], off, off offset:352
	scratch_load_b128 v[14:17], off, off offset:368
	scratch_load_b128 v[18:21], off, off offset:384
	scratch_load_b128 v[22:25], off, off offset:400
	scratch_load_b128 v[26:29], off, off offset:416
	scratch_load_b128 v[30:33], off, off offset:432
	scratch_load_b128 v[34:37], off, off offset:448
	ds_load_b128 v[38:41], v1 offset:1056
	ds_load_b128 v[42:45], v1 offset:1072
	s_clause 0x1
	scratch_load_b128 v[185:188], off, off offset:304
	scratch_load_b128 v[189:192], off, off offset:464
	s_mov_b32 s2, exec_lo
	s_waitcnt vmcnt(10) lgkmcnt(1)
	v_mul_f64 v[193:194], v[40:41], v[4:5]
	v_mul_f64 v[4:5], v[38:39], v[4:5]
	s_waitcnt vmcnt(9) lgkmcnt(0)
	v_mul_f64 v[197:198], v[42:43], v[8:9]
	v_mul_f64 v[8:9], v[44:45], v[8:9]
	s_delay_alu instid0(VALU_DEP_4) | instskip(NEXT) | instid1(VALU_DEP_4)
	v_fma_f64 v[199:200], v[38:39], v[2:3], -v[193:194]
	v_fma_f64 v[201:202], v[40:41], v[2:3], v[4:5]
	ds_load_b128 v[2:5], v1 offset:1088
	ds_load_b128 v[193:196], v1 offset:1104
	scratch_load_b128 v[38:41], off, off offset:480
	v_fma_f64 v[44:45], v[44:45], v[6:7], v[197:198]
	v_fma_f64 v[42:43], v[42:43], v[6:7], -v[8:9]
	scratch_load_b128 v[6:9], off, off offset:496
	s_waitcnt vmcnt(10) lgkmcnt(1)
	v_mul_f64 v[203:204], v[2:3], v[12:13]
	v_mul_f64 v[12:13], v[4:5], v[12:13]
	v_add_f64 v[197:198], v[199:200], 0
	v_add_f64 v[199:200], v[201:202], 0
	s_waitcnt vmcnt(9) lgkmcnt(0)
	v_mul_f64 v[201:202], v[193:194], v[16:17]
	v_mul_f64 v[16:17], v[195:196], v[16:17]
	v_fma_f64 v[203:204], v[4:5], v[10:11], v[203:204]
	v_fma_f64 v[205:206], v[2:3], v[10:11], -v[12:13]
	ds_load_b128 v[2:5], v1 offset:1120
	scratch_load_b128 v[10:13], off, off offset:512
	v_add_f64 v[197:198], v[197:198], v[42:43]
	v_add_f64 v[199:200], v[199:200], v[44:45]
	ds_load_b128 v[42:45], v1 offset:1136
	v_fma_f64 v[195:196], v[195:196], v[14:15], v[201:202]
	v_fma_f64 v[193:194], v[193:194], v[14:15], -v[16:17]
	scratch_load_b128 v[14:17], off, off offset:528
	s_waitcnt vmcnt(10) lgkmcnt(1)
	v_mul_f64 v[207:208], v[2:3], v[20:21]
	v_mul_f64 v[20:21], v[4:5], v[20:21]
	s_waitcnt vmcnt(9) lgkmcnt(0)
	v_mul_f64 v[201:202], v[42:43], v[24:25]
	v_mul_f64 v[24:25], v[44:45], v[24:25]
	v_add_f64 v[197:198], v[197:198], v[205:206]
	v_add_f64 v[199:200], v[199:200], v[203:204]
	v_fma_f64 v[203:204], v[4:5], v[18:19], v[207:208]
	v_fma_f64 v[205:206], v[2:3], v[18:19], -v[20:21]
	ds_load_b128 v[2:5], v1 offset:1152
	scratch_load_b128 v[18:21], off, off offset:544
	v_fma_f64 v[44:45], v[44:45], v[22:23], v[201:202]
	v_fma_f64 v[42:43], v[42:43], v[22:23], -v[24:25]
	scratch_load_b128 v[22:25], off, off offset:560
	v_add_f64 v[197:198], v[197:198], v[193:194]
	v_add_f64 v[199:200], v[199:200], v[195:196]
	ds_load_b128 v[193:196], v1 offset:1168
	s_waitcnt vmcnt(10) lgkmcnt(1)
	v_mul_f64 v[207:208], v[2:3], v[28:29]
	v_mul_f64 v[28:29], v[4:5], v[28:29]
	s_waitcnt vmcnt(9) lgkmcnt(0)
	v_mul_f64 v[201:202], v[193:194], v[32:33]
	v_mul_f64 v[32:33], v[195:196], v[32:33]
	v_add_f64 v[197:198], v[197:198], v[205:206]
	v_add_f64 v[199:200], v[199:200], v[203:204]
	v_fma_f64 v[203:204], v[4:5], v[26:27], v[207:208]
	v_fma_f64 v[205:206], v[2:3], v[26:27], -v[28:29]
	ds_load_b128 v[2:5], v1 offset:1184
	scratch_load_b128 v[26:29], off, off offset:576
	v_fma_f64 v[195:196], v[195:196], v[30:31], v[201:202]
	v_fma_f64 v[193:194], v[193:194], v[30:31], -v[32:33]
	scratch_load_b128 v[30:33], off, off offset:592
	v_add_f64 v[197:198], v[197:198], v[42:43]
	v_add_f64 v[199:200], v[199:200], v[44:45]
	ds_load_b128 v[42:45], v1 offset:1200
	s_waitcnt vmcnt(10) lgkmcnt(1)
	v_mul_f64 v[207:208], v[2:3], v[36:37]
	v_mul_f64 v[36:37], v[4:5], v[36:37]
	s_waitcnt vmcnt(8) lgkmcnt(0)
	v_mul_f64 v[201:202], v[42:43], v[191:192]
	v_add_f64 v[197:198], v[197:198], v[205:206]
	v_add_f64 v[199:200], v[199:200], v[203:204]
	v_mul_f64 v[203:204], v[44:45], v[191:192]
	v_fma_f64 v[205:206], v[4:5], v[34:35], v[207:208]
	v_fma_f64 v[207:208], v[2:3], v[34:35], -v[36:37]
	ds_load_b128 v[2:5], v1 offset:1216
	scratch_load_b128 v[34:37], off, off offset:608
	v_fma_f64 v[44:45], v[44:45], v[189:190], v[201:202]
	v_add_f64 v[197:198], v[197:198], v[193:194]
	v_add_f64 v[195:196], v[199:200], v[195:196]
	ds_load_b128 v[191:194], v1 offset:1232
	v_fma_f64 v[189:190], v[42:43], v[189:190], -v[203:204]
	s_waitcnt vmcnt(8) lgkmcnt(1)
	v_mul_f64 v[199:200], v[2:3], v[40:41]
	v_mul_f64 v[209:210], v[4:5], v[40:41]
	scratch_load_b128 v[40:43], off, off offset:624
	s_waitcnt vmcnt(8) lgkmcnt(0)
	v_mul_f64 v[203:204], v[191:192], v[8:9]
	v_mul_f64 v[8:9], v[193:194], v[8:9]
	v_add_f64 v[197:198], v[197:198], v[207:208]
	v_add_f64 v[195:196], v[195:196], v[205:206]
	v_fma_f64 v[205:206], v[4:5], v[38:39], v[199:200]
	v_fma_f64 v[38:39], v[2:3], v[38:39], -v[209:210]
	ds_load_b128 v[2:5], v1 offset:1248
	ds_load_b128 v[199:202], v1 offset:1264
	v_fma_f64 v[193:194], v[193:194], v[6:7], v[203:204]
	v_fma_f64 v[191:192], v[191:192], v[6:7], -v[8:9]
	scratch_load_b128 v[6:9], off, off offset:656
	v_add_f64 v[189:190], v[197:198], v[189:190]
	v_add_f64 v[44:45], v[195:196], v[44:45]
	scratch_load_b128 v[195:198], off, off offset:640
	s_waitcnt vmcnt(9) lgkmcnt(1)
	v_mul_f64 v[207:208], v[2:3], v[12:13]
	v_mul_f64 v[12:13], v[4:5], v[12:13]
	s_waitcnt vmcnt(8) lgkmcnt(0)
	v_mul_f64 v[203:204], v[199:200], v[16:17]
	v_mul_f64 v[16:17], v[201:202], v[16:17]
	v_add_f64 v[38:39], v[189:190], v[38:39]
	v_add_f64 v[44:45], v[44:45], v[205:206]
	v_fma_f64 v[205:206], v[4:5], v[10:11], v[207:208]
	v_fma_f64 v[207:208], v[2:3], v[10:11], -v[12:13]
	ds_load_b128 v[2:5], v1 offset:1280
	scratch_load_b128 v[10:13], off, off offset:672
	v_fma_f64 v[201:202], v[201:202], v[14:15], v[203:204]
	v_fma_f64 v[199:200], v[199:200], v[14:15], -v[16:17]
	scratch_load_b128 v[14:17], off, off offset:688
	v_add_f64 v[38:39], v[38:39], v[191:192]
	v_add_f64 v[44:45], v[44:45], v[193:194]
	ds_load_b128 v[189:192], v1 offset:1296
	s_waitcnt vmcnt(9) lgkmcnt(1)
	v_mul_f64 v[193:194], v[2:3], v[20:21]
	v_mul_f64 v[20:21], v[4:5], v[20:21]
	s_waitcnt vmcnt(8) lgkmcnt(0)
	v_mul_f64 v[203:204], v[189:190], v[24:25]
	v_mul_f64 v[24:25], v[191:192], v[24:25]
	v_add_f64 v[38:39], v[38:39], v[207:208]
	v_add_f64 v[44:45], v[44:45], v[205:206]
	v_fma_f64 v[193:194], v[4:5], v[18:19], v[193:194]
	v_fma_f64 v[205:206], v[2:3], v[18:19], -v[20:21]
	ds_load_b128 v[2:5], v1 offset:1312
	scratch_load_b128 v[18:21], off, off offset:704
	v_fma_f64 v[191:192], v[191:192], v[22:23], v[203:204]
	v_fma_f64 v[189:190], v[189:190], v[22:23], -v[24:25]
	scratch_load_b128 v[22:25], off, off offset:720
	v_add_f64 v[38:39], v[38:39], v[199:200]
	v_add_f64 v[44:45], v[44:45], v[201:202]
	ds_load_b128 v[199:202], v1 offset:1328
	s_waitcnt vmcnt(9) lgkmcnt(1)
	v_mul_f64 v[207:208], v[2:3], v[28:29]
	v_mul_f64 v[28:29], v[4:5], v[28:29]
	v_add_f64 v[38:39], v[38:39], v[205:206]
	v_add_f64 v[44:45], v[44:45], v[193:194]
	s_waitcnt vmcnt(8) lgkmcnt(0)
	v_mul_f64 v[193:194], v[199:200], v[32:33]
	v_mul_f64 v[32:33], v[201:202], v[32:33]
	v_fma_f64 v[203:204], v[4:5], v[26:27], v[207:208]
	v_fma_f64 v[205:206], v[2:3], v[26:27], -v[28:29]
	ds_load_b128 v[2:5], v1 offset:1344
	ds_load_b128 v[26:29], v1 offset:1360
	v_add_f64 v[38:39], v[38:39], v[189:190]
	v_add_f64 v[44:45], v[44:45], v[191:192]
	s_waitcnt vmcnt(7) lgkmcnt(1)
	v_mul_f64 v[189:190], v[2:3], v[36:37]
	v_mul_f64 v[36:37], v[4:5], v[36:37]
	v_fma_f64 v[191:192], v[201:202], v[30:31], v[193:194]
	v_fma_f64 v[30:31], v[199:200], v[30:31], -v[32:33]
	v_add_f64 v[32:33], v[38:39], v[205:206]
	v_add_f64 v[38:39], v[44:45], v[203:204]
	s_waitcnt vmcnt(6) lgkmcnt(0)
	v_mul_f64 v[44:45], v[26:27], v[42:43]
	v_mul_f64 v[42:43], v[28:29], v[42:43]
	v_fma_f64 v[189:190], v[4:5], v[34:35], v[189:190]
	v_fma_f64 v[34:35], v[2:3], v[34:35], -v[36:37]
	v_add_f64 v[36:37], v[32:33], v[30:31]
	v_add_f64 v[38:39], v[38:39], v[191:192]
	ds_load_b128 v[2:5], v1 offset:1376
	ds_load_b128 v[30:33], v1 offset:1392
	v_fma_f64 v[28:29], v[28:29], v[40:41], v[44:45]
	v_fma_f64 v[26:27], v[26:27], v[40:41], -v[42:43]
	s_waitcnt vmcnt(4) lgkmcnt(1)
	v_mul_f64 v[191:192], v[2:3], v[197:198]
	v_mul_f64 v[193:194], v[4:5], v[197:198]
	v_add_f64 v[34:35], v[36:37], v[34:35]
	v_add_f64 v[36:37], v[38:39], v[189:190]
	s_waitcnt lgkmcnt(0)
	v_mul_f64 v[38:39], v[30:31], v[8:9]
	v_mul_f64 v[8:9], v[32:33], v[8:9]
	v_fma_f64 v[40:41], v[4:5], v[195:196], v[191:192]
	v_fma_f64 v[42:43], v[2:3], v[195:196], -v[193:194]
	v_add_f64 v[34:35], v[34:35], v[26:27]
	v_add_f64 v[36:37], v[36:37], v[28:29]
	ds_load_b128 v[2:5], v1 offset:1408
	ds_load_b128 v[26:29], v1 offset:1424
	v_fma_f64 v[32:33], v[32:33], v[6:7], v[38:39]
	v_fma_f64 v[6:7], v[30:31], v[6:7], -v[8:9]
	s_waitcnt vmcnt(3) lgkmcnt(1)
	v_mul_f64 v[44:45], v[2:3], v[12:13]
	v_mul_f64 v[12:13], v[4:5], v[12:13]
	v_add_f64 v[8:9], v[34:35], v[42:43]
	v_add_f64 v[30:31], v[36:37], v[40:41]
	s_waitcnt vmcnt(2) lgkmcnt(0)
	v_mul_f64 v[34:35], v[26:27], v[16:17]
	v_mul_f64 v[16:17], v[28:29], v[16:17]
	v_fma_f64 v[36:37], v[4:5], v[10:11], v[44:45]
	v_fma_f64 v[10:11], v[2:3], v[10:11], -v[12:13]
	v_add_f64 v[12:13], v[8:9], v[6:7]
	v_add_f64 v[30:31], v[30:31], v[32:33]
	ds_load_b128 v[2:5], v1 offset:1440
	ds_load_b128 v[6:9], v1 offset:1456
	v_fma_f64 v[28:29], v[28:29], v[14:15], v[34:35]
	v_fma_f64 v[14:15], v[26:27], v[14:15], -v[16:17]
	s_waitcnt vmcnt(1) lgkmcnt(1)
	v_mul_f64 v[32:33], v[2:3], v[20:21]
	v_mul_f64 v[20:21], v[4:5], v[20:21]
	s_waitcnt vmcnt(0) lgkmcnt(0)
	v_mul_f64 v[16:17], v[6:7], v[24:25]
	v_mul_f64 v[24:25], v[8:9], v[24:25]
	v_add_f64 v[10:11], v[12:13], v[10:11]
	v_add_f64 v[12:13], v[30:31], v[36:37]
	v_fma_f64 v[4:5], v[4:5], v[18:19], v[32:33]
	v_fma_f64 v[1:2], v[2:3], v[18:19], -v[20:21]
	v_fma_f64 v[8:9], v[8:9], v[22:23], v[16:17]
	v_fma_f64 v[6:7], v[6:7], v[22:23], -v[24:25]
	v_add_f64 v[10:11], v[10:11], v[14:15]
	v_add_f64 v[12:13], v[12:13], v[28:29]
	s_delay_alu instid0(VALU_DEP_2) | instskip(NEXT) | instid1(VALU_DEP_2)
	v_add_f64 v[1:2], v[10:11], v[1:2]
	v_add_f64 v[3:4], v[12:13], v[4:5]
	s_delay_alu instid0(VALU_DEP_2) | instskip(NEXT) | instid1(VALU_DEP_2)
	;; [unrolled: 3-line block ×3, first 2 shown]
	v_add_f64 v[1:2], v[185:186], -v[1:2]
	v_add_f64 v[3:4], v[187:188], -v[3:4]
	scratch_store_b128 off, v[1:4], off offset:304
	v_cmpx_lt_u32_e32 18, v138
	s_cbranch_execz .LBB109_253
; %bb.252:
	scratch_load_b128 v[1:4], v166, off
	v_mov_b32_e32 v5, 0
	s_delay_alu instid0(VALU_DEP_1)
	v_mov_b32_e32 v6, v5
	v_mov_b32_e32 v7, v5
	;; [unrolled: 1-line block ×3, first 2 shown]
	scratch_store_b128 off, v[5:8], off offset:288
	s_waitcnt vmcnt(0)
	ds_store_b128 v184, v[1:4]
.LBB109_253:
	s_or_b32 exec_lo, exec_lo, s2
	s_waitcnt lgkmcnt(0)
	s_waitcnt_vscnt null, 0x0
	s_barrier
	buffer_gl0_inv
	s_clause 0x7
	scratch_load_b128 v[2:5], off, off offset:304
	scratch_load_b128 v[6:9], off, off offset:320
	scratch_load_b128 v[10:13], off, off offset:336
	scratch_load_b128 v[14:17], off, off offset:352
	scratch_load_b128 v[18:21], off, off offset:368
	scratch_load_b128 v[22:25], off, off offset:384
	scratch_load_b128 v[26:29], off, off offset:400
	scratch_load_b128 v[30:33], off, off offset:416
	v_mov_b32_e32 v1, 0
	s_mov_b32 s2, exec_lo
	ds_load_b128 v[38:41], v1 offset:1040
	s_clause 0x1
	scratch_load_b128 v[34:37], off, off offset:432
	scratch_load_b128 v[42:45], off, off offset:288
	ds_load_b128 v[185:188], v1 offset:1056
	scratch_load_b128 v[189:192], off, off offset:448
	s_waitcnt vmcnt(10) lgkmcnt(1)
	v_mul_f64 v[193:194], v[40:41], v[4:5]
	v_mul_f64 v[4:5], v[38:39], v[4:5]
	s_delay_alu instid0(VALU_DEP_2) | instskip(NEXT) | instid1(VALU_DEP_2)
	v_fma_f64 v[199:200], v[38:39], v[2:3], -v[193:194]
	v_fma_f64 v[201:202], v[40:41], v[2:3], v[4:5]
	scratch_load_b128 v[38:41], off, off offset:464
	ds_load_b128 v[2:5], v1 offset:1072
	s_waitcnt vmcnt(10) lgkmcnt(1)
	v_mul_f64 v[197:198], v[185:186], v[8:9]
	v_mul_f64 v[8:9], v[187:188], v[8:9]
	ds_load_b128 v[193:196], v1 offset:1088
	s_waitcnt vmcnt(9) lgkmcnt(1)
	v_mul_f64 v[203:204], v[2:3], v[12:13]
	v_mul_f64 v[12:13], v[4:5], v[12:13]
	v_fma_f64 v[187:188], v[187:188], v[6:7], v[197:198]
	v_fma_f64 v[185:186], v[185:186], v[6:7], -v[8:9]
	v_add_f64 v[197:198], v[199:200], 0
	v_add_f64 v[199:200], v[201:202], 0
	scratch_load_b128 v[6:9], off, off offset:480
	v_fma_f64 v[203:204], v[4:5], v[10:11], v[203:204]
	v_fma_f64 v[205:206], v[2:3], v[10:11], -v[12:13]
	scratch_load_b128 v[10:13], off, off offset:496
	ds_load_b128 v[2:5], v1 offset:1104
	s_waitcnt vmcnt(10) lgkmcnt(1)
	v_mul_f64 v[201:202], v[193:194], v[16:17]
	v_mul_f64 v[16:17], v[195:196], v[16:17]
	v_add_f64 v[197:198], v[197:198], v[185:186]
	v_add_f64 v[199:200], v[199:200], v[187:188]
	s_waitcnt vmcnt(9) lgkmcnt(0)
	v_mul_f64 v[207:208], v[2:3], v[20:21]
	v_mul_f64 v[20:21], v[4:5], v[20:21]
	ds_load_b128 v[185:188], v1 offset:1120
	v_fma_f64 v[195:196], v[195:196], v[14:15], v[201:202]
	v_fma_f64 v[193:194], v[193:194], v[14:15], -v[16:17]
	scratch_load_b128 v[14:17], off, off offset:512
	v_add_f64 v[197:198], v[197:198], v[205:206]
	v_add_f64 v[199:200], v[199:200], v[203:204]
	v_fma_f64 v[203:204], v[4:5], v[18:19], v[207:208]
	v_fma_f64 v[205:206], v[2:3], v[18:19], -v[20:21]
	scratch_load_b128 v[18:21], off, off offset:528
	ds_load_b128 v[2:5], v1 offset:1136
	s_waitcnt vmcnt(10) lgkmcnt(1)
	v_mul_f64 v[201:202], v[185:186], v[24:25]
	v_mul_f64 v[24:25], v[187:188], v[24:25]
	s_waitcnt vmcnt(9) lgkmcnt(0)
	v_mul_f64 v[207:208], v[2:3], v[28:29]
	v_mul_f64 v[28:29], v[4:5], v[28:29]
	v_add_f64 v[197:198], v[197:198], v[193:194]
	v_add_f64 v[199:200], v[199:200], v[195:196]
	ds_load_b128 v[193:196], v1 offset:1152
	v_fma_f64 v[187:188], v[187:188], v[22:23], v[201:202]
	v_fma_f64 v[185:186], v[185:186], v[22:23], -v[24:25]
	scratch_load_b128 v[22:25], off, off offset:544
	v_add_f64 v[197:198], v[197:198], v[205:206]
	v_add_f64 v[199:200], v[199:200], v[203:204]
	v_fma_f64 v[203:204], v[4:5], v[26:27], v[207:208]
	v_fma_f64 v[205:206], v[2:3], v[26:27], -v[28:29]
	scratch_load_b128 v[26:29], off, off offset:560
	ds_load_b128 v[2:5], v1 offset:1168
	s_waitcnt vmcnt(10) lgkmcnt(1)
	v_mul_f64 v[201:202], v[193:194], v[32:33]
	v_mul_f64 v[32:33], v[195:196], v[32:33]
	s_waitcnt vmcnt(9) lgkmcnt(0)
	v_mul_f64 v[207:208], v[2:3], v[36:37]
	v_mul_f64 v[36:37], v[4:5], v[36:37]
	v_add_f64 v[197:198], v[197:198], v[185:186]
	v_add_f64 v[199:200], v[199:200], v[187:188]
	ds_load_b128 v[185:188], v1 offset:1184
	v_fma_f64 v[195:196], v[195:196], v[30:31], v[201:202]
	v_fma_f64 v[193:194], v[193:194], v[30:31], -v[32:33]
	scratch_load_b128 v[30:33], off, off offset:576
	v_add_f64 v[197:198], v[197:198], v[205:206]
	v_add_f64 v[199:200], v[199:200], v[203:204]
	v_fma_f64 v[205:206], v[4:5], v[34:35], v[207:208]
	v_fma_f64 v[207:208], v[2:3], v[34:35], -v[36:37]
	scratch_load_b128 v[34:37], off, off offset:592
	ds_load_b128 v[2:5], v1 offset:1200
	s_waitcnt vmcnt(9) lgkmcnt(1)
	v_mul_f64 v[201:202], v[185:186], v[191:192]
	v_mul_f64 v[203:204], v[187:188], v[191:192]
	v_add_f64 v[197:198], v[197:198], v[193:194]
	v_add_f64 v[195:196], v[199:200], v[195:196]
	ds_load_b128 v[191:194], v1 offset:1216
	v_fma_f64 v[201:202], v[187:188], v[189:190], v[201:202]
	v_fma_f64 v[189:190], v[185:186], v[189:190], -v[203:204]
	scratch_load_b128 v[185:188], off, off offset:608
	s_waitcnt vmcnt(9) lgkmcnt(1)
	v_mul_f64 v[199:200], v[2:3], v[40:41]
	v_mul_f64 v[40:41], v[4:5], v[40:41]
	v_add_f64 v[197:198], v[197:198], v[207:208]
	v_add_f64 v[195:196], v[195:196], v[205:206]
	s_delay_alu instid0(VALU_DEP_4) | instskip(NEXT) | instid1(VALU_DEP_4)
	v_fma_f64 v[199:200], v[4:5], v[38:39], v[199:200]
	v_fma_f64 v[205:206], v[2:3], v[38:39], -v[40:41]
	scratch_load_b128 v[38:41], off, off offset:624
	ds_load_b128 v[2:5], v1 offset:1232
	s_waitcnt vmcnt(9) lgkmcnt(1)
	v_mul_f64 v[203:204], v[191:192], v[8:9]
	v_mul_f64 v[8:9], v[193:194], v[8:9]
	s_waitcnt vmcnt(8) lgkmcnt(0)
	v_mul_f64 v[207:208], v[2:3], v[12:13]
	v_mul_f64 v[12:13], v[4:5], v[12:13]
	v_add_f64 v[189:190], v[197:198], v[189:190]
	v_add_f64 v[201:202], v[195:196], v[201:202]
	ds_load_b128 v[195:198], v1 offset:1248
	v_fma_f64 v[193:194], v[193:194], v[6:7], v[203:204]
	v_fma_f64 v[191:192], v[191:192], v[6:7], -v[8:9]
	scratch_load_b128 v[6:9], off, off offset:640
	v_fma_f64 v[203:204], v[4:5], v[10:11], v[207:208]
	v_add_f64 v[189:190], v[189:190], v[205:206]
	v_add_f64 v[199:200], v[201:202], v[199:200]
	v_fma_f64 v[205:206], v[2:3], v[10:11], -v[12:13]
	scratch_load_b128 v[10:13], off, off offset:656
	ds_load_b128 v[2:5], v1 offset:1264
	s_waitcnt vmcnt(9) lgkmcnt(1)
	v_mul_f64 v[201:202], v[195:196], v[16:17]
	v_mul_f64 v[16:17], v[197:198], v[16:17]
	v_add_f64 v[207:208], v[189:190], v[191:192]
	v_add_f64 v[193:194], v[199:200], v[193:194]
	s_waitcnt vmcnt(8) lgkmcnt(0)
	v_mul_f64 v[199:200], v[2:3], v[20:21]
	v_mul_f64 v[20:21], v[4:5], v[20:21]
	ds_load_b128 v[189:192], v1 offset:1280
	v_fma_f64 v[197:198], v[197:198], v[14:15], v[201:202]
	v_fma_f64 v[195:196], v[195:196], v[14:15], -v[16:17]
	scratch_load_b128 v[14:17], off, off offset:672
	v_add_f64 v[201:202], v[207:208], v[205:206]
	v_add_f64 v[193:194], v[193:194], v[203:204]
	v_fma_f64 v[199:200], v[4:5], v[18:19], v[199:200]
	v_fma_f64 v[205:206], v[2:3], v[18:19], -v[20:21]
	scratch_load_b128 v[18:21], off, off offset:688
	ds_load_b128 v[2:5], v1 offset:1296
	s_waitcnt vmcnt(9) lgkmcnt(1)
	v_mul_f64 v[203:204], v[189:190], v[24:25]
	v_mul_f64 v[24:25], v[191:192], v[24:25]
	s_waitcnt vmcnt(8) lgkmcnt(0)
	v_mul_f64 v[207:208], v[2:3], v[28:29]
	v_mul_f64 v[28:29], v[4:5], v[28:29]
	v_add_f64 v[201:202], v[201:202], v[195:196]
	v_add_f64 v[197:198], v[193:194], v[197:198]
	ds_load_b128 v[193:196], v1 offset:1312
	v_fma_f64 v[191:192], v[191:192], v[22:23], v[203:204]
	v_fma_f64 v[189:190], v[189:190], v[22:23], -v[24:25]
	scratch_load_b128 v[22:25], off, off offset:704
	v_fma_f64 v[203:204], v[4:5], v[26:27], v[207:208]
	v_add_f64 v[201:202], v[201:202], v[205:206]
	v_add_f64 v[197:198], v[197:198], v[199:200]
	v_fma_f64 v[205:206], v[2:3], v[26:27], -v[28:29]
	scratch_load_b128 v[26:29], off, off offset:720
	ds_load_b128 v[2:5], v1 offset:1328
	s_waitcnt vmcnt(9) lgkmcnt(1)
	v_mul_f64 v[199:200], v[193:194], v[32:33]
	v_mul_f64 v[32:33], v[195:196], v[32:33]
	s_waitcnt vmcnt(8) lgkmcnt(0)
	v_mul_f64 v[207:208], v[2:3], v[36:37]
	v_mul_f64 v[36:37], v[4:5], v[36:37]
	v_add_f64 v[201:202], v[201:202], v[189:190]
	v_add_f64 v[197:198], v[197:198], v[191:192]
	ds_load_b128 v[189:192], v1 offset:1344
	v_fma_f64 v[195:196], v[195:196], v[30:31], v[199:200]
	v_fma_f64 v[30:31], v[193:194], v[30:31], -v[32:33]
	v_fma_f64 v[199:200], v[4:5], v[34:35], v[207:208]
	v_fma_f64 v[34:35], v[2:3], v[34:35], -v[36:37]
	v_add_f64 v[32:33], v[201:202], v[205:206]
	v_add_f64 v[193:194], v[197:198], v[203:204]
	s_waitcnt vmcnt(7) lgkmcnt(0)
	v_mul_f64 v[197:198], v[189:190], v[187:188]
	v_mul_f64 v[187:188], v[191:192], v[187:188]
	s_delay_alu instid0(VALU_DEP_4) | instskip(NEXT) | instid1(VALU_DEP_4)
	v_add_f64 v[36:37], v[32:33], v[30:31]
	v_add_f64 v[193:194], v[193:194], v[195:196]
	ds_load_b128 v[2:5], v1 offset:1360
	ds_load_b128 v[30:33], v1 offset:1376
	v_fma_f64 v[191:192], v[191:192], v[185:186], v[197:198]
	v_fma_f64 v[185:186], v[189:190], v[185:186], -v[187:188]
	s_waitcnt vmcnt(6) lgkmcnt(1)
	v_mul_f64 v[195:196], v[2:3], v[40:41]
	v_mul_f64 v[40:41], v[4:5], v[40:41]
	s_waitcnt vmcnt(5) lgkmcnt(0)
	v_mul_f64 v[187:188], v[30:31], v[8:9]
	v_mul_f64 v[8:9], v[32:33], v[8:9]
	v_add_f64 v[34:35], v[36:37], v[34:35]
	v_add_f64 v[36:37], v[193:194], v[199:200]
	v_fma_f64 v[189:190], v[4:5], v[38:39], v[195:196]
	v_fma_f64 v[38:39], v[2:3], v[38:39], -v[40:41]
	v_fma_f64 v[32:33], v[32:33], v[6:7], v[187:188]
	v_fma_f64 v[6:7], v[30:31], v[6:7], -v[8:9]
	v_add_f64 v[40:41], v[34:35], v[185:186]
	v_add_f64 v[185:186], v[36:37], v[191:192]
	ds_load_b128 v[2:5], v1 offset:1392
	ds_load_b128 v[34:37], v1 offset:1408
	s_waitcnt vmcnt(4) lgkmcnt(1)
	v_mul_f64 v[191:192], v[2:3], v[12:13]
	v_mul_f64 v[12:13], v[4:5], v[12:13]
	v_add_f64 v[8:9], v[40:41], v[38:39]
	v_add_f64 v[30:31], v[185:186], v[189:190]
	s_waitcnt vmcnt(3) lgkmcnt(0)
	v_mul_f64 v[38:39], v[34:35], v[16:17]
	v_mul_f64 v[16:17], v[36:37], v[16:17]
	v_fma_f64 v[40:41], v[4:5], v[10:11], v[191:192]
	v_fma_f64 v[10:11], v[2:3], v[10:11], -v[12:13]
	v_add_f64 v[12:13], v[8:9], v[6:7]
	v_add_f64 v[30:31], v[30:31], v[32:33]
	ds_load_b128 v[2:5], v1 offset:1424
	ds_load_b128 v[6:9], v1 offset:1440
	v_fma_f64 v[36:37], v[36:37], v[14:15], v[38:39]
	v_fma_f64 v[14:15], v[34:35], v[14:15], -v[16:17]
	s_waitcnt vmcnt(2) lgkmcnt(1)
	v_mul_f64 v[32:33], v[2:3], v[20:21]
	v_mul_f64 v[20:21], v[4:5], v[20:21]
	s_waitcnt vmcnt(1) lgkmcnt(0)
	v_mul_f64 v[16:17], v[6:7], v[24:25]
	v_mul_f64 v[24:25], v[8:9], v[24:25]
	v_add_f64 v[10:11], v[12:13], v[10:11]
	v_add_f64 v[12:13], v[30:31], v[40:41]
	v_fma_f64 v[30:31], v[4:5], v[18:19], v[32:33]
	v_fma_f64 v[18:19], v[2:3], v[18:19], -v[20:21]
	ds_load_b128 v[2:5], v1 offset:1456
	v_fma_f64 v[8:9], v[8:9], v[22:23], v[16:17]
	v_fma_f64 v[6:7], v[6:7], v[22:23], -v[24:25]
	v_add_f64 v[10:11], v[10:11], v[14:15]
	v_add_f64 v[12:13], v[12:13], v[36:37]
	s_waitcnt vmcnt(0) lgkmcnt(0)
	v_mul_f64 v[14:15], v[2:3], v[28:29]
	v_mul_f64 v[20:21], v[4:5], v[28:29]
	s_delay_alu instid0(VALU_DEP_4) | instskip(NEXT) | instid1(VALU_DEP_4)
	v_add_f64 v[10:11], v[10:11], v[18:19]
	v_add_f64 v[12:13], v[12:13], v[30:31]
	s_delay_alu instid0(VALU_DEP_4) | instskip(NEXT) | instid1(VALU_DEP_4)
	v_fma_f64 v[4:5], v[4:5], v[26:27], v[14:15]
	v_fma_f64 v[2:3], v[2:3], v[26:27], -v[20:21]
	s_delay_alu instid0(VALU_DEP_4) | instskip(NEXT) | instid1(VALU_DEP_4)
	v_add_f64 v[6:7], v[10:11], v[6:7]
	v_add_f64 v[8:9], v[12:13], v[8:9]
	s_delay_alu instid0(VALU_DEP_2) | instskip(NEXT) | instid1(VALU_DEP_2)
	v_add_f64 v[2:3], v[6:7], v[2:3]
	v_add_f64 v[4:5], v[8:9], v[4:5]
	s_delay_alu instid0(VALU_DEP_2) | instskip(NEXT) | instid1(VALU_DEP_2)
	v_add_f64 v[2:3], v[42:43], -v[2:3]
	v_add_f64 v[4:5], v[44:45], -v[4:5]
	scratch_store_b128 off, v[2:5], off offset:288
	v_cmpx_lt_u32_e32 17, v138
	s_cbranch_execz .LBB109_255
; %bb.254:
	scratch_load_b128 v[5:8], v167, off
	v_mov_b32_e32 v2, v1
	v_mov_b32_e32 v3, v1
	;; [unrolled: 1-line block ×3, first 2 shown]
	scratch_store_b128 off, v[1:4], off offset:272
	s_waitcnt vmcnt(0)
	ds_store_b128 v184, v[5:8]
.LBB109_255:
	s_or_b32 exec_lo, exec_lo, s2
	s_waitcnt lgkmcnt(0)
	s_waitcnt_vscnt null, 0x0
	s_barrier
	buffer_gl0_inv
	s_clause 0x8
	scratch_load_b128 v[2:5], off, off offset:288
	scratch_load_b128 v[6:9], off, off offset:304
	;; [unrolled: 1-line block ×9, first 2 shown]
	ds_load_b128 v[42:45], v1 offset:1024
	ds_load_b128 v[38:41], v1 offset:1040
	s_clause 0x1
	scratch_load_b128 v[185:188], off, off offset:272
	scratch_load_b128 v[189:192], off, off offset:432
	s_mov_b32 s2, exec_lo
	s_waitcnt vmcnt(10) lgkmcnt(1)
	v_mul_f64 v[193:194], v[44:45], v[4:5]
	v_mul_f64 v[4:5], v[42:43], v[4:5]
	s_waitcnt vmcnt(9) lgkmcnt(0)
	v_mul_f64 v[197:198], v[38:39], v[8:9]
	v_mul_f64 v[8:9], v[40:41], v[8:9]
	s_delay_alu instid0(VALU_DEP_4) | instskip(NEXT) | instid1(VALU_DEP_4)
	v_fma_f64 v[199:200], v[42:43], v[2:3], -v[193:194]
	v_fma_f64 v[201:202], v[44:45], v[2:3], v[4:5]
	ds_load_b128 v[2:5], v1 offset:1056
	ds_load_b128 v[193:196], v1 offset:1072
	scratch_load_b128 v[42:45], off, off offset:448
	v_fma_f64 v[40:41], v[40:41], v[6:7], v[197:198]
	v_fma_f64 v[38:39], v[38:39], v[6:7], -v[8:9]
	scratch_load_b128 v[6:9], off, off offset:464
	s_waitcnt vmcnt(10) lgkmcnt(1)
	v_mul_f64 v[203:204], v[2:3], v[12:13]
	v_mul_f64 v[12:13], v[4:5], v[12:13]
	v_add_f64 v[197:198], v[199:200], 0
	v_add_f64 v[199:200], v[201:202], 0
	s_waitcnt vmcnt(9) lgkmcnt(0)
	v_mul_f64 v[201:202], v[193:194], v[16:17]
	v_mul_f64 v[16:17], v[195:196], v[16:17]
	v_fma_f64 v[203:204], v[4:5], v[10:11], v[203:204]
	v_fma_f64 v[205:206], v[2:3], v[10:11], -v[12:13]
	ds_load_b128 v[2:5], v1 offset:1088
	scratch_load_b128 v[10:13], off, off offset:480
	v_add_f64 v[197:198], v[197:198], v[38:39]
	v_add_f64 v[199:200], v[199:200], v[40:41]
	ds_load_b128 v[38:41], v1 offset:1104
	v_fma_f64 v[195:196], v[195:196], v[14:15], v[201:202]
	v_fma_f64 v[193:194], v[193:194], v[14:15], -v[16:17]
	scratch_load_b128 v[14:17], off, off offset:496
	s_waitcnt vmcnt(10) lgkmcnt(1)
	v_mul_f64 v[207:208], v[2:3], v[20:21]
	v_mul_f64 v[20:21], v[4:5], v[20:21]
	s_waitcnt vmcnt(9) lgkmcnt(0)
	v_mul_f64 v[201:202], v[38:39], v[24:25]
	v_mul_f64 v[24:25], v[40:41], v[24:25]
	v_add_f64 v[197:198], v[197:198], v[205:206]
	v_add_f64 v[199:200], v[199:200], v[203:204]
	v_fma_f64 v[203:204], v[4:5], v[18:19], v[207:208]
	v_fma_f64 v[205:206], v[2:3], v[18:19], -v[20:21]
	ds_load_b128 v[2:5], v1 offset:1120
	scratch_load_b128 v[18:21], off, off offset:512
	v_fma_f64 v[40:41], v[40:41], v[22:23], v[201:202]
	v_fma_f64 v[38:39], v[38:39], v[22:23], -v[24:25]
	scratch_load_b128 v[22:25], off, off offset:528
	v_add_f64 v[197:198], v[197:198], v[193:194]
	v_add_f64 v[199:200], v[199:200], v[195:196]
	ds_load_b128 v[193:196], v1 offset:1136
	s_waitcnt vmcnt(10) lgkmcnt(1)
	v_mul_f64 v[207:208], v[2:3], v[28:29]
	v_mul_f64 v[28:29], v[4:5], v[28:29]
	s_waitcnt vmcnt(9) lgkmcnt(0)
	v_mul_f64 v[201:202], v[193:194], v[32:33]
	v_mul_f64 v[32:33], v[195:196], v[32:33]
	v_add_f64 v[197:198], v[197:198], v[205:206]
	v_add_f64 v[199:200], v[199:200], v[203:204]
	v_fma_f64 v[203:204], v[4:5], v[26:27], v[207:208]
	v_fma_f64 v[205:206], v[2:3], v[26:27], -v[28:29]
	ds_load_b128 v[2:5], v1 offset:1152
	scratch_load_b128 v[26:29], off, off offset:544
	v_fma_f64 v[195:196], v[195:196], v[30:31], v[201:202]
	v_fma_f64 v[193:194], v[193:194], v[30:31], -v[32:33]
	scratch_load_b128 v[30:33], off, off offset:560
	v_add_f64 v[197:198], v[197:198], v[38:39]
	v_add_f64 v[199:200], v[199:200], v[40:41]
	ds_load_b128 v[38:41], v1 offset:1168
	s_waitcnt vmcnt(10) lgkmcnt(1)
	v_mul_f64 v[207:208], v[2:3], v[36:37]
	v_mul_f64 v[36:37], v[4:5], v[36:37]
	s_waitcnt vmcnt(8) lgkmcnt(0)
	v_mul_f64 v[201:202], v[38:39], v[191:192]
	v_add_f64 v[197:198], v[197:198], v[205:206]
	v_add_f64 v[199:200], v[199:200], v[203:204]
	v_mul_f64 v[203:204], v[40:41], v[191:192]
	v_fma_f64 v[205:206], v[4:5], v[34:35], v[207:208]
	v_fma_f64 v[207:208], v[2:3], v[34:35], -v[36:37]
	ds_load_b128 v[2:5], v1 offset:1184
	scratch_load_b128 v[34:37], off, off offset:576
	v_fma_f64 v[201:202], v[40:41], v[189:190], v[201:202]
	v_add_f64 v[197:198], v[197:198], v[193:194]
	v_add_f64 v[195:196], v[199:200], v[195:196]
	ds_load_b128 v[191:194], v1 offset:1200
	v_fma_f64 v[189:190], v[38:39], v[189:190], -v[203:204]
	scratch_load_b128 v[38:41], off, off offset:592
	s_waitcnt vmcnt(9) lgkmcnt(1)
	v_mul_f64 v[199:200], v[2:3], v[44:45]
	v_mul_f64 v[44:45], v[4:5], v[44:45]
	s_waitcnt vmcnt(8) lgkmcnt(0)
	v_mul_f64 v[203:204], v[191:192], v[8:9]
	v_mul_f64 v[8:9], v[193:194], v[8:9]
	v_add_f64 v[197:198], v[197:198], v[207:208]
	v_add_f64 v[195:196], v[195:196], v[205:206]
	v_fma_f64 v[199:200], v[4:5], v[42:43], v[199:200]
	v_fma_f64 v[205:206], v[2:3], v[42:43], -v[44:45]
	ds_load_b128 v[2:5], v1 offset:1216
	scratch_load_b128 v[42:45], off, off offset:608
	v_fma_f64 v[193:194], v[193:194], v[6:7], v[203:204]
	v_fma_f64 v[191:192], v[191:192], v[6:7], -v[8:9]
	scratch_load_b128 v[6:9], off, off offset:624
	v_add_f64 v[189:190], v[197:198], v[189:190]
	v_add_f64 v[201:202], v[195:196], v[201:202]
	ds_load_b128 v[195:198], v1 offset:1232
	s_waitcnt vmcnt(9) lgkmcnt(1)
	v_mul_f64 v[207:208], v[2:3], v[12:13]
	v_mul_f64 v[12:13], v[4:5], v[12:13]
	v_add_f64 v[189:190], v[189:190], v[205:206]
	v_add_f64 v[199:200], v[201:202], v[199:200]
	s_waitcnt vmcnt(8) lgkmcnt(0)
	v_mul_f64 v[201:202], v[195:196], v[16:17]
	v_mul_f64 v[16:17], v[197:198], v[16:17]
	v_fma_f64 v[203:204], v[4:5], v[10:11], v[207:208]
	v_fma_f64 v[205:206], v[2:3], v[10:11], -v[12:13]
	ds_load_b128 v[2:5], v1 offset:1248
	scratch_load_b128 v[10:13], off, off offset:640
	v_add_f64 v[207:208], v[189:190], v[191:192]
	v_add_f64 v[193:194], v[199:200], v[193:194]
	ds_load_b128 v[189:192], v1 offset:1264
	s_waitcnt vmcnt(8) lgkmcnt(1)
	v_mul_f64 v[199:200], v[2:3], v[20:21]
	v_mul_f64 v[20:21], v[4:5], v[20:21]
	v_fma_f64 v[197:198], v[197:198], v[14:15], v[201:202]
	v_fma_f64 v[195:196], v[195:196], v[14:15], -v[16:17]
	scratch_load_b128 v[14:17], off, off offset:656
	v_add_f64 v[201:202], v[207:208], v[205:206]
	v_add_f64 v[193:194], v[193:194], v[203:204]
	s_waitcnt vmcnt(8) lgkmcnt(0)
	v_mul_f64 v[203:204], v[189:190], v[24:25]
	v_mul_f64 v[24:25], v[191:192], v[24:25]
	v_fma_f64 v[199:200], v[4:5], v[18:19], v[199:200]
	v_fma_f64 v[205:206], v[2:3], v[18:19], -v[20:21]
	ds_load_b128 v[2:5], v1 offset:1280
	scratch_load_b128 v[18:21], off, off offset:672
	v_add_f64 v[201:202], v[201:202], v[195:196]
	v_add_f64 v[197:198], v[193:194], v[197:198]
	ds_load_b128 v[193:196], v1 offset:1296
	s_waitcnt vmcnt(8) lgkmcnt(1)
	v_mul_f64 v[207:208], v[2:3], v[28:29]
	v_mul_f64 v[28:29], v[4:5], v[28:29]
	v_fma_f64 v[191:192], v[191:192], v[22:23], v[203:204]
	v_fma_f64 v[189:190], v[189:190], v[22:23], -v[24:25]
	scratch_load_b128 v[22:25], off, off offset:688
	;; [unrolled: 18-line block ×3, first 2 shown]
	v_add_f64 v[199:200], v[201:202], v[205:206]
	v_add_f64 v[197:198], v[197:198], v[203:204]
	s_waitcnt vmcnt(8) lgkmcnt(0)
	v_mul_f64 v[201:202], v[189:190], v[40:41]
	v_mul_f64 v[40:41], v[191:192], v[40:41]
	v_fma_f64 v[203:204], v[4:5], v[34:35], v[207:208]
	v_fma_f64 v[205:206], v[2:3], v[34:35], -v[36:37]
	ds_load_b128 v[2:5], v1 offset:1344
	ds_load_b128 v[34:37], v1 offset:1360
	v_add_f64 v[193:194], v[199:200], v[193:194]
	v_add_f64 v[195:196], v[197:198], v[195:196]
	s_waitcnt vmcnt(7) lgkmcnt(1)
	v_mul_f64 v[197:198], v[2:3], v[44:45]
	v_mul_f64 v[44:45], v[4:5], v[44:45]
	v_fma_f64 v[191:192], v[191:192], v[38:39], v[201:202]
	v_fma_f64 v[38:39], v[189:190], v[38:39], -v[40:41]
	v_add_f64 v[40:41], v[193:194], v[205:206]
	v_add_f64 v[189:190], v[195:196], v[203:204]
	s_waitcnt vmcnt(6) lgkmcnt(0)
	v_mul_f64 v[193:194], v[34:35], v[8:9]
	v_mul_f64 v[8:9], v[36:37], v[8:9]
	v_fma_f64 v[195:196], v[4:5], v[42:43], v[197:198]
	v_fma_f64 v[42:43], v[2:3], v[42:43], -v[44:45]
	v_add_f64 v[44:45], v[40:41], v[38:39]
	v_add_f64 v[189:190], v[189:190], v[191:192]
	ds_load_b128 v[2:5], v1 offset:1376
	ds_load_b128 v[38:41], v1 offset:1392
	v_fma_f64 v[36:37], v[36:37], v[6:7], v[193:194]
	v_fma_f64 v[6:7], v[34:35], v[6:7], -v[8:9]
	s_waitcnt vmcnt(5) lgkmcnt(1)
	v_mul_f64 v[191:192], v[2:3], v[12:13]
	v_mul_f64 v[12:13], v[4:5], v[12:13]
	v_add_f64 v[8:9], v[44:45], v[42:43]
	v_add_f64 v[34:35], v[189:190], v[195:196]
	s_waitcnt vmcnt(4) lgkmcnt(0)
	v_mul_f64 v[42:43], v[38:39], v[16:17]
	v_mul_f64 v[16:17], v[40:41], v[16:17]
	v_fma_f64 v[44:45], v[4:5], v[10:11], v[191:192]
	v_fma_f64 v[10:11], v[2:3], v[10:11], -v[12:13]
	v_add_f64 v[12:13], v[8:9], v[6:7]
	v_add_f64 v[34:35], v[34:35], v[36:37]
	ds_load_b128 v[2:5], v1 offset:1408
	ds_load_b128 v[6:9], v1 offset:1424
	v_fma_f64 v[40:41], v[40:41], v[14:15], v[42:43]
	v_fma_f64 v[14:15], v[38:39], v[14:15], -v[16:17]
	s_waitcnt vmcnt(3) lgkmcnt(1)
	v_mul_f64 v[36:37], v[2:3], v[20:21]
	v_mul_f64 v[20:21], v[4:5], v[20:21]
	s_waitcnt vmcnt(2) lgkmcnt(0)
	v_mul_f64 v[16:17], v[6:7], v[24:25]
	v_mul_f64 v[24:25], v[8:9], v[24:25]
	v_add_f64 v[10:11], v[12:13], v[10:11]
	v_add_f64 v[12:13], v[34:35], v[44:45]
	v_fma_f64 v[34:35], v[4:5], v[18:19], v[36:37]
	v_fma_f64 v[18:19], v[2:3], v[18:19], -v[20:21]
	v_fma_f64 v[8:9], v[8:9], v[22:23], v[16:17]
	v_fma_f64 v[6:7], v[6:7], v[22:23], -v[24:25]
	v_add_f64 v[14:15], v[10:11], v[14:15]
	v_add_f64 v[20:21], v[12:13], v[40:41]
	ds_load_b128 v[2:5], v1 offset:1440
	ds_load_b128 v[10:13], v1 offset:1456
	s_waitcnt vmcnt(1) lgkmcnt(1)
	v_mul_f64 v[36:37], v[2:3], v[28:29]
	v_mul_f64 v[28:29], v[4:5], v[28:29]
	v_add_f64 v[14:15], v[14:15], v[18:19]
	v_add_f64 v[16:17], v[20:21], v[34:35]
	s_waitcnt vmcnt(0) lgkmcnt(0)
	v_mul_f64 v[18:19], v[10:11], v[32:33]
	v_mul_f64 v[20:21], v[12:13], v[32:33]
	v_fma_f64 v[4:5], v[4:5], v[26:27], v[36:37]
	v_fma_f64 v[1:2], v[2:3], v[26:27], -v[28:29]
	v_add_f64 v[6:7], v[14:15], v[6:7]
	v_add_f64 v[8:9], v[16:17], v[8:9]
	v_fma_f64 v[12:13], v[12:13], v[30:31], v[18:19]
	v_fma_f64 v[10:11], v[10:11], v[30:31], -v[20:21]
	s_delay_alu instid0(VALU_DEP_4) | instskip(NEXT) | instid1(VALU_DEP_4)
	v_add_f64 v[1:2], v[6:7], v[1:2]
	v_add_f64 v[3:4], v[8:9], v[4:5]
	s_delay_alu instid0(VALU_DEP_2) | instskip(NEXT) | instid1(VALU_DEP_2)
	v_add_f64 v[1:2], v[1:2], v[10:11]
	v_add_f64 v[3:4], v[3:4], v[12:13]
	s_delay_alu instid0(VALU_DEP_2) | instskip(NEXT) | instid1(VALU_DEP_2)
	v_add_f64 v[1:2], v[185:186], -v[1:2]
	v_add_f64 v[3:4], v[187:188], -v[3:4]
	scratch_store_b128 off, v[1:4], off offset:272
	v_cmpx_lt_u32_e32 16, v138
	s_cbranch_execz .LBB109_257
; %bb.256:
	scratch_load_b128 v[1:4], v168, off
	v_mov_b32_e32 v5, 0
	s_delay_alu instid0(VALU_DEP_1)
	v_mov_b32_e32 v6, v5
	v_mov_b32_e32 v7, v5
	;; [unrolled: 1-line block ×3, first 2 shown]
	scratch_store_b128 off, v[5:8], off offset:256
	s_waitcnt vmcnt(0)
	ds_store_b128 v184, v[1:4]
.LBB109_257:
	s_or_b32 exec_lo, exec_lo, s2
	s_waitcnt lgkmcnt(0)
	s_waitcnt_vscnt null, 0x0
	s_barrier
	buffer_gl0_inv
	s_clause 0x7
	scratch_load_b128 v[2:5], off, off offset:272
	scratch_load_b128 v[6:9], off, off offset:288
	;; [unrolled: 1-line block ×8, first 2 shown]
	v_mov_b32_e32 v1, 0
	s_mov_b32 s2, exec_lo
	ds_load_b128 v[38:41], v1 offset:1008
	s_clause 0x1
	scratch_load_b128 v[34:37], off, off offset:400
	scratch_load_b128 v[42:45], off, off offset:256
	ds_load_b128 v[185:188], v1 offset:1024
	scratch_load_b128 v[189:192], off, off offset:416
	s_waitcnt vmcnt(10) lgkmcnt(1)
	v_mul_f64 v[193:194], v[40:41], v[4:5]
	v_mul_f64 v[4:5], v[38:39], v[4:5]
	s_delay_alu instid0(VALU_DEP_2) | instskip(NEXT) | instid1(VALU_DEP_2)
	v_fma_f64 v[199:200], v[38:39], v[2:3], -v[193:194]
	v_fma_f64 v[201:202], v[40:41], v[2:3], v[4:5]
	scratch_load_b128 v[38:41], off, off offset:432
	ds_load_b128 v[2:5], v1 offset:1040
	s_waitcnt vmcnt(10) lgkmcnt(1)
	v_mul_f64 v[197:198], v[185:186], v[8:9]
	v_mul_f64 v[8:9], v[187:188], v[8:9]
	ds_load_b128 v[193:196], v1 offset:1056
	s_waitcnt vmcnt(9) lgkmcnt(1)
	v_mul_f64 v[203:204], v[2:3], v[12:13]
	v_mul_f64 v[12:13], v[4:5], v[12:13]
	v_fma_f64 v[187:188], v[187:188], v[6:7], v[197:198]
	v_fma_f64 v[185:186], v[185:186], v[6:7], -v[8:9]
	v_add_f64 v[197:198], v[199:200], 0
	v_add_f64 v[199:200], v[201:202], 0
	scratch_load_b128 v[6:9], off, off offset:448
	v_fma_f64 v[203:204], v[4:5], v[10:11], v[203:204]
	v_fma_f64 v[205:206], v[2:3], v[10:11], -v[12:13]
	scratch_load_b128 v[10:13], off, off offset:464
	ds_load_b128 v[2:5], v1 offset:1072
	s_waitcnt vmcnt(10) lgkmcnt(1)
	v_mul_f64 v[201:202], v[193:194], v[16:17]
	v_mul_f64 v[16:17], v[195:196], v[16:17]
	v_add_f64 v[197:198], v[197:198], v[185:186]
	v_add_f64 v[199:200], v[199:200], v[187:188]
	s_waitcnt vmcnt(9) lgkmcnt(0)
	v_mul_f64 v[207:208], v[2:3], v[20:21]
	v_mul_f64 v[20:21], v[4:5], v[20:21]
	ds_load_b128 v[185:188], v1 offset:1088
	v_fma_f64 v[195:196], v[195:196], v[14:15], v[201:202]
	v_fma_f64 v[193:194], v[193:194], v[14:15], -v[16:17]
	scratch_load_b128 v[14:17], off, off offset:480
	v_add_f64 v[197:198], v[197:198], v[205:206]
	v_add_f64 v[199:200], v[199:200], v[203:204]
	v_fma_f64 v[203:204], v[4:5], v[18:19], v[207:208]
	v_fma_f64 v[205:206], v[2:3], v[18:19], -v[20:21]
	scratch_load_b128 v[18:21], off, off offset:496
	ds_load_b128 v[2:5], v1 offset:1104
	s_waitcnt vmcnt(10) lgkmcnt(1)
	v_mul_f64 v[201:202], v[185:186], v[24:25]
	v_mul_f64 v[24:25], v[187:188], v[24:25]
	s_waitcnt vmcnt(9) lgkmcnt(0)
	v_mul_f64 v[207:208], v[2:3], v[28:29]
	v_mul_f64 v[28:29], v[4:5], v[28:29]
	v_add_f64 v[197:198], v[197:198], v[193:194]
	v_add_f64 v[199:200], v[199:200], v[195:196]
	ds_load_b128 v[193:196], v1 offset:1120
	v_fma_f64 v[187:188], v[187:188], v[22:23], v[201:202]
	v_fma_f64 v[185:186], v[185:186], v[22:23], -v[24:25]
	scratch_load_b128 v[22:25], off, off offset:512
	v_add_f64 v[197:198], v[197:198], v[205:206]
	v_add_f64 v[199:200], v[199:200], v[203:204]
	v_fma_f64 v[203:204], v[4:5], v[26:27], v[207:208]
	v_fma_f64 v[205:206], v[2:3], v[26:27], -v[28:29]
	scratch_load_b128 v[26:29], off, off offset:528
	ds_load_b128 v[2:5], v1 offset:1136
	s_waitcnt vmcnt(10) lgkmcnt(1)
	v_mul_f64 v[201:202], v[193:194], v[32:33]
	v_mul_f64 v[32:33], v[195:196], v[32:33]
	s_waitcnt vmcnt(9) lgkmcnt(0)
	v_mul_f64 v[207:208], v[2:3], v[36:37]
	v_mul_f64 v[36:37], v[4:5], v[36:37]
	v_add_f64 v[197:198], v[197:198], v[185:186]
	v_add_f64 v[199:200], v[199:200], v[187:188]
	ds_load_b128 v[185:188], v1 offset:1152
	v_fma_f64 v[195:196], v[195:196], v[30:31], v[201:202]
	v_fma_f64 v[193:194], v[193:194], v[30:31], -v[32:33]
	scratch_load_b128 v[30:33], off, off offset:544
	v_add_f64 v[197:198], v[197:198], v[205:206]
	v_add_f64 v[199:200], v[199:200], v[203:204]
	v_fma_f64 v[205:206], v[4:5], v[34:35], v[207:208]
	v_fma_f64 v[207:208], v[2:3], v[34:35], -v[36:37]
	scratch_load_b128 v[34:37], off, off offset:560
	ds_load_b128 v[2:5], v1 offset:1168
	s_waitcnt vmcnt(9) lgkmcnt(1)
	v_mul_f64 v[201:202], v[185:186], v[191:192]
	v_mul_f64 v[203:204], v[187:188], v[191:192]
	v_add_f64 v[197:198], v[197:198], v[193:194]
	v_add_f64 v[195:196], v[199:200], v[195:196]
	ds_load_b128 v[191:194], v1 offset:1184
	v_fma_f64 v[201:202], v[187:188], v[189:190], v[201:202]
	v_fma_f64 v[189:190], v[185:186], v[189:190], -v[203:204]
	scratch_load_b128 v[185:188], off, off offset:576
	s_waitcnt vmcnt(9) lgkmcnt(1)
	v_mul_f64 v[199:200], v[2:3], v[40:41]
	v_mul_f64 v[40:41], v[4:5], v[40:41]
	v_add_f64 v[197:198], v[197:198], v[207:208]
	v_add_f64 v[195:196], v[195:196], v[205:206]
	s_delay_alu instid0(VALU_DEP_4) | instskip(NEXT) | instid1(VALU_DEP_4)
	v_fma_f64 v[199:200], v[4:5], v[38:39], v[199:200]
	v_fma_f64 v[205:206], v[2:3], v[38:39], -v[40:41]
	scratch_load_b128 v[38:41], off, off offset:592
	ds_load_b128 v[2:5], v1 offset:1200
	s_waitcnt vmcnt(9) lgkmcnt(1)
	v_mul_f64 v[203:204], v[191:192], v[8:9]
	v_mul_f64 v[8:9], v[193:194], v[8:9]
	s_waitcnt vmcnt(8) lgkmcnt(0)
	v_mul_f64 v[207:208], v[2:3], v[12:13]
	v_mul_f64 v[12:13], v[4:5], v[12:13]
	v_add_f64 v[189:190], v[197:198], v[189:190]
	v_add_f64 v[201:202], v[195:196], v[201:202]
	ds_load_b128 v[195:198], v1 offset:1216
	v_fma_f64 v[193:194], v[193:194], v[6:7], v[203:204]
	v_fma_f64 v[191:192], v[191:192], v[6:7], -v[8:9]
	scratch_load_b128 v[6:9], off, off offset:608
	v_fma_f64 v[203:204], v[4:5], v[10:11], v[207:208]
	v_add_f64 v[189:190], v[189:190], v[205:206]
	v_add_f64 v[199:200], v[201:202], v[199:200]
	v_fma_f64 v[205:206], v[2:3], v[10:11], -v[12:13]
	scratch_load_b128 v[10:13], off, off offset:624
	ds_load_b128 v[2:5], v1 offset:1232
	s_waitcnt vmcnt(9) lgkmcnt(1)
	v_mul_f64 v[201:202], v[195:196], v[16:17]
	v_mul_f64 v[16:17], v[197:198], v[16:17]
	v_add_f64 v[207:208], v[189:190], v[191:192]
	v_add_f64 v[193:194], v[199:200], v[193:194]
	s_waitcnt vmcnt(8) lgkmcnt(0)
	v_mul_f64 v[199:200], v[2:3], v[20:21]
	v_mul_f64 v[20:21], v[4:5], v[20:21]
	ds_load_b128 v[189:192], v1 offset:1248
	v_fma_f64 v[197:198], v[197:198], v[14:15], v[201:202]
	v_fma_f64 v[195:196], v[195:196], v[14:15], -v[16:17]
	scratch_load_b128 v[14:17], off, off offset:640
	v_add_f64 v[201:202], v[207:208], v[205:206]
	v_add_f64 v[193:194], v[193:194], v[203:204]
	v_fma_f64 v[199:200], v[4:5], v[18:19], v[199:200]
	v_fma_f64 v[205:206], v[2:3], v[18:19], -v[20:21]
	scratch_load_b128 v[18:21], off, off offset:656
	ds_load_b128 v[2:5], v1 offset:1264
	s_waitcnt vmcnt(9) lgkmcnt(1)
	v_mul_f64 v[203:204], v[189:190], v[24:25]
	v_mul_f64 v[24:25], v[191:192], v[24:25]
	s_waitcnt vmcnt(8) lgkmcnt(0)
	v_mul_f64 v[207:208], v[2:3], v[28:29]
	v_mul_f64 v[28:29], v[4:5], v[28:29]
	v_add_f64 v[201:202], v[201:202], v[195:196]
	v_add_f64 v[197:198], v[193:194], v[197:198]
	ds_load_b128 v[193:196], v1 offset:1280
	v_fma_f64 v[191:192], v[191:192], v[22:23], v[203:204]
	v_fma_f64 v[189:190], v[189:190], v[22:23], -v[24:25]
	scratch_load_b128 v[22:25], off, off offset:672
	v_fma_f64 v[203:204], v[4:5], v[26:27], v[207:208]
	v_add_f64 v[201:202], v[201:202], v[205:206]
	v_add_f64 v[197:198], v[197:198], v[199:200]
	v_fma_f64 v[205:206], v[2:3], v[26:27], -v[28:29]
	scratch_load_b128 v[26:29], off, off offset:688
	ds_load_b128 v[2:5], v1 offset:1296
	s_waitcnt vmcnt(9) lgkmcnt(1)
	v_mul_f64 v[199:200], v[193:194], v[32:33]
	v_mul_f64 v[32:33], v[195:196], v[32:33]
	s_waitcnt vmcnt(8) lgkmcnt(0)
	v_mul_f64 v[207:208], v[2:3], v[36:37]
	v_mul_f64 v[36:37], v[4:5], v[36:37]
	v_add_f64 v[201:202], v[201:202], v[189:190]
	v_add_f64 v[197:198], v[197:198], v[191:192]
	ds_load_b128 v[189:192], v1 offset:1312
	v_fma_f64 v[195:196], v[195:196], v[30:31], v[199:200]
	v_fma_f64 v[193:194], v[193:194], v[30:31], -v[32:33]
	scratch_load_b128 v[30:33], off, off offset:704
	v_add_f64 v[199:200], v[201:202], v[205:206]
	v_add_f64 v[197:198], v[197:198], v[203:204]
	v_fma_f64 v[203:204], v[4:5], v[34:35], v[207:208]
	v_fma_f64 v[205:206], v[2:3], v[34:35], -v[36:37]
	scratch_load_b128 v[34:37], off, off offset:720
	ds_load_b128 v[2:5], v1 offset:1328
	s_waitcnt vmcnt(9) lgkmcnt(1)
	v_mul_f64 v[201:202], v[189:190], v[187:188]
	v_mul_f64 v[187:188], v[191:192], v[187:188]
	s_waitcnt vmcnt(8) lgkmcnt(0)
	v_mul_f64 v[207:208], v[2:3], v[40:41]
	v_mul_f64 v[40:41], v[4:5], v[40:41]
	v_add_f64 v[199:200], v[199:200], v[193:194]
	v_add_f64 v[197:198], v[197:198], v[195:196]
	ds_load_b128 v[193:196], v1 offset:1344
	v_fma_f64 v[191:192], v[191:192], v[185:186], v[201:202]
	v_fma_f64 v[185:186], v[189:190], v[185:186], -v[187:188]
	v_fma_f64 v[201:202], v[2:3], v[38:39], -v[40:41]
	v_add_f64 v[187:188], v[199:200], v[205:206]
	v_add_f64 v[189:190], v[197:198], v[203:204]
	s_waitcnt vmcnt(7) lgkmcnt(0)
	v_mul_f64 v[197:198], v[193:194], v[8:9]
	v_mul_f64 v[8:9], v[195:196], v[8:9]
	v_fma_f64 v[199:200], v[4:5], v[38:39], v[207:208]
	ds_load_b128 v[2:5], v1 offset:1360
	ds_load_b128 v[38:41], v1 offset:1376
	v_add_f64 v[185:186], v[187:188], v[185:186]
	v_add_f64 v[187:188], v[189:190], v[191:192]
	s_waitcnt vmcnt(6) lgkmcnt(1)
	v_mul_f64 v[189:190], v[2:3], v[12:13]
	v_mul_f64 v[12:13], v[4:5], v[12:13]
	v_fma_f64 v[191:192], v[195:196], v[6:7], v[197:198]
	v_fma_f64 v[6:7], v[193:194], v[6:7], -v[8:9]
	v_add_f64 v[8:9], v[185:186], v[201:202]
	v_add_f64 v[185:186], v[187:188], v[199:200]
	s_waitcnt vmcnt(5) lgkmcnt(0)
	v_mul_f64 v[187:188], v[38:39], v[16:17]
	v_mul_f64 v[16:17], v[40:41], v[16:17]
	v_fma_f64 v[189:190], v[4:5], v[10:11], v[189:190]
	v_fma_f64 v[10:11], v[2:3], v[10:11], -v[12:13]
	v_add_f64 v[12:13], v[8:9], v[6:7]
	v_add_f64 v[185:186], v[185:186], v[191:192]
	ds_load_b128 v[2:5], v1 offset:1392
	ds_load_b128 v[6:9], v1 offset:1408
	v_fma_f64 v[40:41], v[40:41], v[14:15], v[187:188]
	v_fma_f64 v[14:15], v[38:39], v[14:15], -v[16:17]
	s_waitcnt vmcnt(4) lgkmcnt(1)
	v_mul_f64 v[191:192], v[2:3], v[20:21]
	v_mul_f64 v[20:21], v[4:5], v[20:21]
	s_waitcnt vmcnt(3) lgkmcnt(0)
	v_mul_f64 v[16:17], v[6:7], v[24:25]
	v_mul_f64 v[24:25], v[8:9], v[24:25]
	v_add_f64 v[10:11], v[12:13], v[10:11]
	v_add_f64 v[12:13], v[185:186], v[189:190]
	v_fma_f64 v[38:39], v[4:5], v[18:19], v[191:192]
	v_fma_f64 v[18:19], v[2:3], v[18:19], -v[20:21]
	v_fma_f64 v[8:9], v[8:9], v[22:23], v[16:17]
	v_fma_f64 v[6:7], v[6:7], v[22:23], -v[24:25]
	v_add_f64 v[14:15], v[10:11], v[14:15]
	v_add_f64 v[20:21], v[12:13], v[40:41]
	ds_load_b128 v[2:5], v1 offset:1424
	ds_load_b128 v[10:13], v1 offset:1440
	s_waitcnt vmcnt(2) lgkmcnt(1)
	v_mul_f64 v[40:41], v[2:3], v[28:29]
	v_mul_f64 v[28:29], v[4:5], v[28:29]
	v_add_f64 v[14:15], v[14:15], v[18:19]
	v_add_f64 v[16:17], v[20:21], v[38:39]
	s_waitcnt vmcnt(1) lgkmcnt(0)
	v_mul_f64 v[18:19], v[10:11], v[32:33]
	v_mul_f64 v[20:21], v[12:13], v[32:33]
	v_fma_f64 v[22:23], v[4:5], v[26:27], v[40:41]
	v_fma_f64 v[24:25], v[2:3], v[26:27], -v[28:29]
	ds_load_b128 v[2:5], v1 offset:1456
	v_add_f64 v[6:7], v[14:15], v[6:7]
	v_add_f64 v[8:9], v[16:17], v[8:9]
	v_fma_f64 v[12:13], v[12:13], v[30:31], v[18:19]
	v_fma_f64 v[10:11], v[10:11], v[30:31], -v[20:21]
	s_waitcnt vmcnt(0) lgkmcnt(0)
	v_mul_f64 v[14:15], v[2:3], v[36:37]
	v_mul_f64 v[16:17], v[4:5], v[36:37]
	v_add_f64 v[6:7], v[6:7], v[24:25]
	v_add_f64 v[8:9], v[8:9], v[22:23]
	s_delay_alu instid0(VALU_DEP_4) | instskip(NEXT) | instid1(VALU_DEP_4)
	v_fma_f64 v[4:5], v[4:5], v[34:35], v[14:15]
	v_fma_f64 v[2:3], v[2:3], v[34:35], -v[16:17]
	s_delay_alu instid0(VALU_DEP_4) | instskip(NEXT) | instid1(VALU_DEP_4)
	v_add_f64 v[6:7], v[6:7], v[10:11]
	v_add_f64 v[8:9], v[8:9], v[12:13]
	s_delay_alu instid0(VALU_DEP_2) | instskip(NEXT) | instid1(VALU_DEP_2)
	v_add_f64 v[2:3], v[6:7], v[2:3]
	v_add_f64 v[4:5], v[8:9], v[4:5]
	s_delay_alu instid0(VALU_DEP_2) | instskip(NEXT) | instid1(VALU_DEP_2)
	v_add_f64 v[2:3], v[42:43], -v[2:3]
	v_add_f64 v[4:5], v[44:45], -v[4:5]
	scratch_store_b128 off, v[2:5], off offset:256
	v_cmpx_lt_u32_e32 15, v138
	s_cbranch_execz .LBB109_259
; %bb.258:
	scratch_load_b128 v[5:8], v169, off
	v_mov_b32_e32 v2, v1
	v_mov_b32_e32 v3, v1
	;; [unrolled: 1-line block ×3, first 2 shown]
	scratch_store_b128 off, v[1:4], off offset:240
	s_waitcnt vmcnt(0)
	ds_store_b128 v184, v[5:8]
.LBB109_259:
	s_or_b32 exec_lo, exec_lo, s2
	s_waitcnt lgkmcnt(0)
	s_waitcnt_vscnt null, 0x0
	s_barrier
	buffer_gl0_inv
	s_clause 0x8
	scratch_load_b128 v[2:5], off, off offset:256
	scratch_load_b128 v[6:9], off, off offset:272
	;; [unrolled: 1-line block ×9, first 2 shown]
	ds_load_b128 v[42:45], v1 offset:992
	ds_load_b128 v[38:41], v1 offset:1008
	s_clause 0x1
	scratch_load_b128 v[185:188], off, off offset:240
	scratch_load_b128 v[189:192], off, off offset:400
	s_mov_b32 s2, exec_lo
	s_waitcnt vmcnt(10) lgkmcnt(1)
	v_mul_f64 v[193:194], v[44:45], v[4:5]
	v_mul_f64 v[4:5], v[42:43], v[4:5]
	s_waitcnt vmcnt(9) lgkmcnt(0)
	v_mul_f64 v[197:198], v[38:39], v[8:9]
	v_mul_f64 v[8:9], v[40:41], v[8:9]
	s_delay_alu instid0(VALU_DEP_4) | instskip(NEXT) | instid1(VALU_DEP_4)
	v_fma_f64 v[199:200], v[42:43], v[2:3], -v[193:194]
	v_fma_f64 v[201:202], v[44:45], v[2:3], v[4:5]
	ds_load_b128 v[2:5], v1 offset:1024
	ds_load_b128 v[193:196], v1 offset:1040
	scratch_load_b128 v[42:45], off, off offset:416
	v_fma_f64 v[40:41], v[40:41], v[6:7], v[197:198]
	v_fma_f64 v[38:39], v[38:39], v[6:7], -v[8:9]
	scratch_load_b128 v[6:9], off, off offset:432
	s_waitcnt vmcnt(10) lgkmcnt(1)
	v_mul_f64 v[203:204], v[2:3], v[12:13]
	v_mul_f64 v[12:13], v[4:5], v[12:13]
	v_add_f64 v[197:198], v[199:200], 0
	v_add_f64 v[199:200], v[201:202], 0
	s_waitcnt vmcnt(9) lgkmcnt(0)
	v_mul_f64 v[201:202], v[193:194], v[16:17]
	v_mul_f64 v[16:17], v[195:196], v[16:17]
	v_fma_f64 v[203:204], v[4:5], v[10:11], v[203:204]
	v_fma_f64 v[205:206], v[2:3], v[10:11], -v[12:13]
	ds_load_b128 v[2:5], v1 offset:1056
	scratch_load_b128 v[10:13], off, off offset:448
	v_add_f64 v[197:198], v[197:198], v[38:39]
	v_add_f64 v[199:200], v[199:200], v[40:41]
	ds_load_b128 v[38:41], v1 offset:1072
	v_fma_f64 v[195:196], v[195:196], v[14:15], v[201:202]
	v_fma_f64 v[193:194], v[193:194], v[14:15], -v[16:17]
	scratch_load_b128 v[14:17], off, off offset:464
	s_waitcnt vmcnt(10) lgkmcnt(1)
	v_mul_f64 v[207:208], v[2:3], v[20:21]
	v_mul_f64 v[20:21], v[4:5], v[20:21]
	s_waitcnt vmcnt(9) lgkmcnt(0)
	v_mul_f64 v[201:202], v[38:39], v[24:25]
	v_mul_f64 v[24:25], v[40:41], v[24:25]
	v_add_f64 v[197:198], v[197:198], v[205:206]
	v_add_f64 v[199:200], v[199:200], v[203:204]
	v_fma_f64 v[203:204], v[4:5], v[18:19], v[207:208]
	v_fma_f64 v[205:206], v[2:3], v[18:19], -v[20:21]
	ds_load_b128 v[2:5], v1 offset:1088
	scratch_load_b128 v[18:21], off, off offset:480
	v_fma_f64 v[40:41], v[40:41], v[22:23], v[201:202]
	v_fma_f64 v[38:39], v[38:39], v[22:23], -v[24:25]
	scratch_load_b128 v[22:25], off, off offset:496
	v_add_f64 v[197:198], v[197:198], v[193:194]
	v_add_f64 v[199:200], v[199:200], v[195:196]
	ds_load_b128 v[193:196], v1 offset:1104
	s_waitcnt vmcnt(10) lgkmcnt(1)
	v_mul_f64 v[207:208], v[2:3], v[28:29]
	v_mul_f64 v[28:29], v[4:5], v[28:29]
	s_waitcnt vmcnt(9) lgkmcnt(0)
	v_mul_f64 v[201:202], v[193:194], v[32:33]
	v_mul_f64 v[32:33], v[195:196], v[32:33]
	v_add_f64 v[197:198], v[197:198], v[205:206]
	v_add_f64 v[199:200], v[199:200], v[203:204]
	v_fma_f64 v[203:204], v[4:5], v[26:27], v[207:208]
	v_fma_f64 v[205:206], v[2:3], v[26:27], -v[28:29]
	ds_load_b128 v[2:5], v1 offset:1120
	scratch_load_b128 v[26:29], off, off offset:512
	v_fma_f64 v[195:196], v[195:196], v[30:31], v[201:202]
	v_fma_f64 v[193:194], v[193:194], v[30:31], -v[32:33]
	scratch_load_b128 v[30:33], off, off offset:528
	v_add_f64 v[197:198], v[197:198], v[38:39]
	v_add_f64 v[199:200], v[199:200], v[40:41]
	ds_load_b128 v[38:41], v1 offset:1136
	s_waitcnt vmcnt(10) lgkmcnt(1)
	v_mul_f64 v[207:208], v[2:3], v[36:37]
	v_mul_f64 v[36:37], v[4:5], v[36:37]
	s_waitcnt vmcnt(8) lgkmcnt(0)
	v_mul_f64 v[201:202], v[38:39], v[191:192]
	v_add_f64 v[197:198], v[197:198], v[205:206]
	v_add_f64 v[199:200], v[199:200], v[203:204]
	v_mul_f64 v[203:204], v[40:41], v[191:192]
	v_fma_f64 v[205:206], v[4:5], v[34:35], v[207:208]
	v_fma_f64 v[207:208], v[2:3], v[34:35], -v[36:37]
	ds_load_b128 v[2:5], v1 offset:1152
	scratch_load_b128 v[34:37], off, off offset:544
	v_fma_f64 v[201:202], v[40:41], v[189:190], v[201:202]
	v_add_f64 v[197:198], v[197:198], v[193:194]
	v_add_f64 v[195:196], v[199:200], v[195:196]
	ds_load_b128 v[191:194], v1 offset:1168
	v_fma_f64 v[189:190], v[38:39], v[189:190], -v[203:204]
	scratch_load_b128 v[38:41], off, off offset:560
	s_waitcnt vmcnt(9) lgkmcnt(1)
	v_mul_f64 v[199:200], v[2:3], v[44:45]
	v_mul_f64 v[44:45], v[4:5], v[44:45]
	s_waitcnt vmcnt(8) lgkmcnt(0)
	v_mul_f64 v[203:204], v[191:192], v[8:9]
	v_mul_f64 v[8:9], v[193:194], v[8:9]
	v_add_f64 v[197:198], v[197:198], v[207:208]
	v_add_f64 v[195:196], v[195:196], v[205:206]
	v_fma_f64 v[199:200], v[4:5], v[42:43], v[199:200]
	v_fma_f64 v[205:206], v[2:3], v[42:43], -v[44:45]
	ds_load_b128 v[2:5], v1 offset:1184
	scratch_load_b128 v[42:45], off, off offset:576
	v_fma_f64 v[193:194], v[193:194], v[6:7], v[203:204]
	v_fma_f64 v[191:192], v[191:192], v[6:7], -v[8:9]
	scratch_load_b128 v[6:9], off, off offset:592
	v_add_f64 v[189:190], v[197:198], v[189:190]
	v_add_f64 v[201:202], v[195:196], v[201:202]
	ds_load_b128 v[195:198], v1 offset:1200
	s_waitcnt vmcnt(9) lgkmcnt(1)
	v_mul_f64 v[207:208], v[2:3], v[12:13]
	v_mul_f64 v[12:13], v[4:5], v[12:13]
	v_add_f64 v[189:190], v[189:190], v[205:206]
	v_add_f64 v[199:200], v[201:202], v[199:200]
	s_waitcnt vmcnt(8) lgkmcnt(0)
	v_mul_f64 v[201:202], v[195:196], v[16:17]
	v_mul_f64 v[16:17], v[197:198], v[16:17]
	v_fma_f64 v[203:204], v[4:5], v[10:11], v[207:208]
	v_fma_f64 v[205:206], v[2:3], v[10:11], -v[12:13]
	ds_load_b128 v[2:5], v1 offset:1216
	scratch_load_b128 v[10:13], off, off offset:608
	v_add_f64 v[207:208], v[189:190], v[191:192]
	v_add_f64 v[193:194], v[199:200], v[193:194]
	ds_load_b128 v[189:192], v1 offset:1232
	s_waitcnt vmcnt(8) lgkmcnt(1)
	v_mul_f64 v[199:200], v[2:3], v[20:21]
	v_mul_f64 v[20:21], v[4:5], v[20:21]
	v_fma_f64 v[197:198], v[197:198], v[14:15], v[201:202]
	v_fma_f64 v[195:196], v[195:196], v[14:15], -v[16:17]
	scratch_load_b128 v[14:17], off, off offset:624
	v_add_f64 v[201:202], v[207:208], v[205:206]
	v_add_f64 v[193:194], v[193:194], v[203:204]
	s_waitcnt vmcnt(8) lgkmcnt(0)
	v_mul_f64 v[203:204], v[189:190], v[24:25]
	v_mul_f64 v[24:25], v[191:192], v[24:25]
	v_fma_f64 v[199:200], v[4:5], v[18:19], v[199:200]
	v_fma_f64 v[205:206], v[2:3], v[18:19], -v[20:21]
	ds_load_b128 v[2:5], v1 offset:1248
	scratch_load_b128 v[18:21], off, off offset:640
	v_add_f64 v[201:202], v[201:202], v[195:196]
	v_add_f64 v[197:198], v[193:194], v[197:198]
	ds_load_b128 v[193:196], v1 offset:1264
	s_waitcnt vmcnt(8) lgkmcnt(1)
	v_mul_f64 v[207:208], v[2:3], v[28:29]
	v_mul_f64 v[28:29], v[4:5], v[28:29]
	v_fma_f64 v[191:192], v[191:192], v[22:23], v[203:204]
	v_fma_f64 v[189:190], v[189:190], v[22:23], -v[24:25]
	scratch_load_b128 v[22:25], off, off offset:656
	;; [unrolled: 18-line block ×4, first 2 shown]
	s_waitcnt vmcnt(8) lgkmcnt(0)
	v_mul_f64 v[201:202], v[193:194], v[8:9]
	v_mul_f64 v[8:9], v[195:196], v[8:9]
	v_add_f64 v[199:200], v[199:200], v[205:206]
	v_add_f64 v[197:198], v[197:198], v[203:204]
	v_fma_f64 v[203:204], v[4:5], v[42:43], v[207:208]
	v_fma_f64 v[205:206], v[2:3], v[42:43], -v[44:45]
	ds_load_b128 v[2:5], v1 offset:1344
	ds_load_b128 v[42:45], v1 offset:1360
	v_fma_f64 v[195:196], v[195:196], v[6:7], v[201:202]
	v_fma_f64 v[6:7], v[193:194], v[6:7], -v[8:9]
	v_add_f64 v[189:190], v[199:200], v[189:190]
	v_add_f64 v[191:192], v[197:198], v[191:192]
	s_waitcnt vmcnt(7) lgkmcnt(1)
	v_mul_f64 v[197:198], v[2:3], v[12:13]
	v_mul_f64 v[12:13], v[4:5], v[12:13]
	s_delay_alu instid0(VALU_DEP_4) | instskip(NEXT) | instid1(VALU_DEP_4)
	v_add_f64 v[8:9], v[189:190], v[205:206]
	v_add_f64 v[189:190], v[191:192], v[203:204]
	s_waitcnt vmcnt(6) lgkmcnt(0)
	v_mul_f64 v[191:192], v[42:43], v[16:17]
	v_mul_f64 v[16:17], v[44:45], v[16:17]
	v_fma_f64 v[193:194], v[4:5], v[10:11], v[197:198]
	v_fma_f64 v[10:11], v[2:3], v[10:11], -v[12:13]
	v_add_f64 v[12:13], v[8:9], v[6:7]
	v_add_f64 v[189:190], v[189:190], v[195:196]
	ds_load_b128 v[2:5], v1 offset:1376
	ds_load_b128 v[6:9], v1 offset:1392
	v_fma_f64 v[44:45], v[44:45], v[14:15], v[191:192]
	v_fma_f64 v[14:15], v[42:43], v[14:15], -v[16:17]
	s_waitcnt vmcnt(5) lgkmcnt(1)
	v_mul_f64 v[195:196], v[2:3], v[20:21]
	v_mul_f64 v[20:21], v[4:5], v[20:21]
	s_waitcnt vmcnt(4) lgkmcnt(0)
	v_mul_f64 v[16:17], v[6:7], v[24:25]
	v_mul_f64 v[24:25], v[8:9], v[24:25]
	v_add_f64 v[10:11], v[12:13], v[10:11]
	v_add_f64 v[12:13], v[189:190], v[193:194]
	v_fma_f64 v[42:43], v[4:5], v[18:19], v[195:196]
	v_fma_f64 v[18:19], v[2:3], v[18:19], -v[20:21]
	v_fma_f64 v[8:9], v[8:9], v[22:23], v[16:17]
	v_fma_f64 v[6:7], v[6:7], v[22:23], -v[24:25]
	v_add_f64 v[14:15], v[10:11], v[14:15]
	v_add_f64 v[20:21], v[12:13], v[44:45]
	ds_load_b128 v[2:5], v1 offset:1408
	ds_load_b128 v[10:13], v1 offset:1424
	s_waitcnt vmcnt(3) lgkmcnt(1)
	v_mul_f64 v[44:45], v[2:3], v[28:29]
	v_mul_f64 v[28:29], v[4:5], v[28:29]
	v_add_f64 v[14:15], v[14:15], v[18:19]
	v_add_f64 v[16:17], v[20:21], v[42:43]
	s_waitcnt vmcnt(2) lgkmcnt(0)
	v_mul_f64 v[18:19], v[10:11], v[32:33]
	v_mul_f64 v[20:21], v[12:13], v[32:33]
	v_fma_f64 v[22:23], v[4:5], v[26:27], v[44:45]
	v_fma_f64 v[24:25], v[2:3], v[26:27], -v[28:29]
	v_add_f64 v[14:15], v[14:15], v[6:7]
	v_add_f64 v[16:17], v[16:17], v[8:9]
	ds_load_b128 v[2:5], v1 offset:1440
	ds_load_b128 v[6:9], v1 offset:1456
	v_fma_f64 v[12:13], v[12:13], v[30:31], v[18:19]
	v_fma_f64 v[10:11], v[10:11], v[30:31], -v[20:21]
	s_waitcnt vmcnt(1) lgkmcnt(1)
	v_mul_f64 v[26:27], v[2:3], v[36:37]
	v_mul_f64 v[28:29], v[4:5], v[36:37]
	s_waitcnt vmcnt(0) lgkmcnt(0)
	v_mul_f64 v[18:19], v[6:7], v[40:41]
	v_mul_f64 v[20:21], v[8:9], v[40:41]
	v_add_f64 v[14:15], v[14:15], v[24:25]
	v_add_f64 v[16:17], v[16:17], v[22:23]
	v_fma_f64 v[4:5], v[4:5], v[34:35], v[26:27]
	v_fma_f64 v[1:2], v[2:3], v[34:35], -v[28:29]
	v_fma_f64 v[8:9], v[8:9], v[38:39], v[18:19]
	v_fma_f64 v[6:7], v[6:7], v[38:39], -v[20:21]
	v_add_f64 v[10:11], v[14:15], v[10:11]
	v_add_f64 v[12:13], v[16:17], v[12:13]
	s_delay_alu instid0(VALU_DEP_2) | instskip(NEXT) | instid1(VALU_DEP_2)
	v_add_f64 v[1:2], v[10:11], v[1:2]
	v_add_f64 v[3:4], v[12:13], v[4:5]
	s_delay_alu instid0(VALU_DEP_2) | instskip(NEXT) | instid1(VALU_DEP_2)
	;; [unrolled: 3-line block ×3, first 2 shown]
	v_add_f64 v[1:2], v[185:186], -v[1:2]
	v_add_f64 v[3:4], v[187:188], -v[3:4]
	scratch_store_b128 off, v[1:4], off offset:240
	v_cmpx_lt_u32_e32 14, v138
	s_cbranch_execz .LBB109_261
; %bb.260:
	scratch_load_b128 v[1:4], v170, off
	v_mov_b32_e32 v5, 0
	s_delay_alu instid0(VALU_DEP_1)
	v_mov_b32_e32 v6, v5
	v_mov_b32_e32 v7, v5
	;; [unrolled: 1-line block ×3, first 2 shown]
	scratch_store_b128 off, v[5:8], off offset:224
	s_waitcnt vmcnt(0)
	ds_store_b128 v184, v[1:4]
.LBB109_261:
	s_or_b32 exec_lo, exec_lo, s2
	s_waitcnt lgkmcnt(0)
	s_waitcnt_vscnt null, 0x0
	s_barrier
	buffer_gl0_inv
	s_clause 0x7
	scratch_load_b128 v[2:5], off, off offset:240
	scratch_load_b128 v[6:9], off, off offset:256
	;; [unrolled: 1-line block ×8, first 2 shown]
	v_mov_b32_e32 v1, 0
	s_mov_b32 s2, exec_lo
	ds_load_b128 v[38:41], v1 offset:976
	s_clause 0x1
	scratch_load_b128 v[34:37], off, off offset:368
	scratch_load_b128 v[42:45], off, off offset:224
	ds_load_b128 v[185:188], v1 offset:992
	scratch_load_b128 v[189:192], off, off offset:384
	s_waitcnt vmcnt(10) lgkmcnt(1)
	v_mul_f64 v[193:194], v[40:41], v[4:5]
	v_mul_f64 v[4:5], v[38:39], v[4:5]
	s_delay_alu instid0(VALU_DEP_2) | instskip(NEXT) | instid1(VALU_DEP_2)
	v_fma_f64 v[199:200], v[38:39], v[2:3], -v[193:194]
	v_fma_f64 v[201:202], v[40:41], v[2:3], v[4:5]
	scratch_load_b128 v[38:41], off, off offset:400
	ds_load_b128 v[2:5], v1 offset:1008
	s_waitcnt vmcnt(10) lgkmcnt(1)
	v_mul_f64 v[197:198], v[185:186], v[8:9]
	v_mul_f64 v[8:9], v[187:188], v[8:9]
	ds_load_b128 v[193:196], v1 offset:1024
	s_waitcnt vmcnt(9) lgkmcnt(1)
	v_mul_f64 v[203:204], v[2:3], v[12:13]
	v_mul_f64 v[12:13], v[4:5], v[12:13]
	v_fma_f64 v[187:188], v[187:188], v[6:7], v[197:198]
	v_fma_f64 v[185:186], v[185:186], v[6:7], -v[8:9]
	v_add_f64 v[197:198], v[199:200], 0
	v_add_f64 v[199:200], v[201:202], 0
	scratch_load_b128 v[6:9], off, off offset:416
	v_fma_f64 v[203:204], v[4:5], v[10:11], v[203:204]
	v_fma_f64 v[205:206], v[2:3], v[10:11], -v[12:13]
	scratch_load_b128 v[10:13], off, off offset:432
	ds_load_b128 v[2:5], v1 offset:1040
	s_waitcnt vmcnt(10) lgkmcnt(1)
	v_mul_f64 v[201:202], v[193:194], v[16:17]
	v_mul_f64 v[16:17], v[195:196], v[16:17]
	v_add_f64 v[197:198], v[197:198], v[185:186]
	v_add_f64 v[199:200], v[199:200], v[187:188]
	s_waitcnt vmcnt(9) lgkmcnt(0)
	v_mul_f64 v[207:208], v[2:3], v[20:21]
	v_mul_f64 v[20:21], v[4:5], v[20:21]
	ds_load_b128 v[185:188], v1 offset:1056
	v_fma_f64 v[195:196], v[195:196], v[14:15], v[201:202]
	v_fma_f64 v[193:194], v[193:194], v[14:15], -v[16:17]
	scratch_load_b128 v[14:17], off, off offset:448
	v_add_f64 v[197:198], v[197:198], v[205:206]
	v_add_f64 v[199:200], v[199:200], v[203:204]
	v_fma_f64 v[203:204], v[4:5], v[18:19], v[207:208]
	v_fma_f64 v[205:206], v[2:3], v[18:19], -v[20:21]
	scratch_load_b128 v[18:21], off, off offset:464
	ds_load_b128 v[2:5], v1 offset:1072
	s_waitcnt vmcnt(10) lgkmcnt(1)
	v_mul_f64 v[201:202], v[185:186], v[24:25]
	v_mul_f64 v[24:25], v[187:188], v[24:25]
	s_waitcnt vmcnt(9) lgkmcnt(0)
	v_mul_f64 v[207:208], v[2:3], v[28:29]
	v_mul_f64 v[28:29], v[4:5], v[28:29]
	v_add_f64 v[197:198], v[197:198], v[193:194]
	v_add_f64 v[199:200], v[199:200], v[195:196]
	ds_load_b128 v[193:196], v1 offset:1088
	v_fma_f64 v[187:188], v[187:188], v[22:23], v[201:202]
	v_fma_f64 v[185:186], v[185:186], v[22:23], -v[24:25]
	scratch_load_b128 v[22:25], off, off offset:480
	v_add_f64 v[197:198], v[197:198], v[205:206]
	v_add_f64 v[199:200], v[199:200], v[203:204]
	v_fma_f64 v[203:204], v[4:5], v[26:27], v[207:208]
	v_fma_f64 v[205:206], v[2:3], v[26:27], -v[28:29]
	scratch_load_b128 v[26:29], off, off offset:496
	ds_load_b128 v[2:5], v1 offset:1104
	s_waitcnt vmcnt(10) lgkmcnt(1)
	v_mul_f64 v[201:202], v[193:194], v[32:33]
	v_mul_f64 v[32:33], v[195:196], v[32:33]
	s_waitcnt vmcnt(9) lgkmcnt(0)
	v_mul_f64 v[207:208], v[2:3], v[36:37]
	v_mul_f64 v[36:37], v[4:5], v[36:37]
	v_add_f64 v[197:198], v[197:198], v[185:186]
	v_add_f64 v[199:200], v[199:200], v[187:188]
	ds_load_b128 v[185:188], v1 offset:1120
	v_fma_f64 v[195:196], v[195:196], v[30:31], v[201:202]
	v_fma_f64 v[193:194], v[193:194], v[30:31], -v[32:33]
	scratch_load_b128 v[30:33], off, off offset:512
	v_add_f64 v[197:198], v[197:198], v[205:206]
	v_add_f64 v[199:200], v[199:200], v[203:204]
	v_fma_f64 v[205:206], v[4:5], v[34:35], v[207:208]
	v_fma_f64 v[207:208], v[2:3], v[34:35], -v[36:37]
	scratch_load_b128 v[34:37], off, off offset:528
	ds_load_b128 v[2:5], v1 offset:1136
	s_waitcnt vmcnt(9) lgkmcnt(1)
	v_mul_f64 v[201:202], v[185:186], v[191:192]
	v_mul_f64 v[203:204], v[187:188], v[191:192]
	v_add_f64 v[197:198], v[197:198], v[193:194]
	v_add_f64 v[195:196], v[199:200], v[195:196]
	ds_load_b128 v[191:194], v1 offset:1152
	v_fma_f64 v[201:202], v[187:188], v[189:190], v[201:202]
	v_fma_f64 v[189:190], v[185:186], v[189:190], -v[203:204]
	scratch_load_b128 v[185:188], off, off offset:544
	s_waitcnt vmcnt(9) lgkmcnt(1)
	v_mul_f64 v[199:200], v[2:3], v[40:41]
	v_mul_f64 v[40:41], v[4:5], v[40:41]
	v_add_f64 v[197:198], v[197:198], v[207:208]
	v_add_f64 v[195:196], v[195:196], v[205:206]
	s_delay_alu instid0(VALU_DEP_4) | instskip(NEXT) | instid1(VALU_DEP_4)
	v_fma_f64 v[199:200], v[4:5], v[38:39], v[199:200]
	v_fma_f64 v[205:206], v[2:3], v[38:39], -v[40:41]
	scratch_load_b128 v[38:41], off, off offset:560
	ds_load_b128 v[2:5], v1 offset:1168
	s_waitcnt vmcnt(9) lgkmcnt(1)
	v_mul_f64 v[203:204], v[191:192], v[8:9]
	v_mul_f64 v[8:9], v[193:194], v[8:9]
	s_waitcnt vmcnt(8) lgkmcnt(0)
	v_mul_f64 v[207:208], v[2:3], v[12:13]
	v_mul_f64 v[12:13], v[4:5], v[12:13]
	v_add_f64 v[189:190], v[197:198], v[189:190]
	v_add_f64 v[201:202], v[195:196], v[201:202]
	ds_load_b128 v[195:198], v1 offset:1184
	v_fma_f64 v[193:194], v[193:194], v[6:7], v[203:204]
	v_fma_f64 v[191:192], v[191:192], v[6:7], -v[8:9]
	scratch_load_b128 v[6:9], off, off offset:576
	v_fma_f64 v[203:204], v[4:5], v[10:11], v[207:208]
	v_add_f64 v[189:190], v[189:190], v[205:206]
	v_add_f64 v[199:200], v[201:202], v[199:200]
	v_fma_f64 v[205:206], v[2:3], v[10:11], -v[12:13]
	scratch_load_b128 v[10:13], off, off offset:592
	ds_load_b128 v[2:5], v1 offset:1200
	s_waitcnt vmcnt(9) lgkmcnt(1)
	v_mul_f64 v[201:202], v[195:196], v[16:17]
	v_mul_f64 v[16:17], v[197:198], v[16:17]
	v_add_f64 v[207:208], v[189:190], v[191:192]
	v_add_f64 v[193:194], v[199:200], v[193:194]
	s_waitcnt vmcnt(8) lgkmcnt(0)
	v_mul_f64 v[199:200], v[2:3], v[20:21]
	v_mul_f64 v[20:21], v[4:5], v[20:21]
	ds_load_b128 v[189:192], v1 offset:1216
	v_fma_f64 v[197:198], v[197:198], v[14:15], v[201:202]
	v_fma_f64 v[195:196], v[195:196], v[14:15], -v[16:17]
	scratch_load_b128 v[14:17], off, off offset:608
	v_add_f64 v[201:202], v[207:208], v[205:206]
	v_add_f64 v[193:194], v[193:194], v[203:204]
	v_fma_f64 v[199:200], v[4:5], v[18:19], v[199:200]
	v_fma_f64 v[205:206], v[2:3], v[18:19], -v[20:21]
	scratch_load_b128 v[18:21], off, off offset:624
	ds_load_b128 v[2:5], v1 offset:1232
	s_waitcnt vmcnt(9) lgkmcnt(1)
	v_mul_f64 v[203:204], v[189:190], v[24:25]
	v_mul_f64 v[24:25], v[191:192], v[24:25]
	s_waitcnt vmcnt(8) lgkmcnt(0)
	v_mul_f64 v[207:208], v[2:3], v[28:29]
	v_mul_f64 v[28:29], v[4:5], v[28:29]
	v_add_f64 v[201:202], v[201:202], v[195:196]
	v_add_f64 v[197:198], v[193:194], v[197:198]
	ds_load_b128 v[193:196], v1 offset:1248
	v_fma_f64 v[191:192], v[191:192], v[22:23], v[203:204]
	v_fma_f64 v[189:190], v[189:190], v[22:23], -v[24:25]
	scratch_load_b128 v[22:25], off, off offset:640
	v_fma_f64 v[203:204], v[4:5], v[26:27], v[207:208]
	v_add_f64 v[201:202], v[201:202], v[205:206]
	v_add_f64 v[197:198], v[197:198], v[199:200]
	v_fma_f64 v[205:206], v[2:3], v[26:27], -v[28:29]
	scratch_load_b128 v[26:29], off, off offset:656
	ds_load_b128 v[2:5], v1 offset:1264
	s_waitcnt vmcnt(9) lgkmcnt(1)
	v_mul_f64 v[199:200], v[193:194], v[32:33]
	v_mul_f64 v[32:33], v[195:196], v[32:33]
	s_waitcnt vmcnt(8) lgkmcnt(0)
	v_mul_f64 v[207:208], v[2:3], v[36:37]
	v_mul_f64 v[36:37], v[4:5], v[36:37]
	v_add_f64 v[201:202], v[201:202], v[189:190]
	v_add_f64 v[197:198], v[197:198], v[191:192]
	ds_load_b128 v[189:192], v1 offset:1280
	v_fma_f64 v[195:196], v[195:196], v[30:31], v[199:200]
	v_fma_f64 v[193:194], v[193:194], v[30:31], -v[32:33]
	scratch_load_b128 v[30:33], off, off offset:672
	v_add_f64 v[199:200], v[201:202], v[205:206]
	v_add_f64 v[197:198], v[197:198], v[203:204]
	v_fma_f64 v[203:204], v[4:5], v[34:35], v[207:208]
	v_fma_f64 v[205:206], v[2:3], v[34:35], -v[36:37]
	scratch_load_b128 v[34:37], off, off offset:688
	ds_load_b128 v[2:5], v1 offset:1296
	s_waitcnt vmcnt(9) lgkmcnt(1)
	v_mul_f64 v[201:202], v[189:190], v[187:188]
	v_mul_f64 v[187:188], v[191:192], v[187:188]
	s_waitcnt vmcnt(8) lgkmcnt(0)
	v_mul_f64 v[207:208], v[2:3], v[40:41]
	v_mul_f64 v[40:41], v[4:5], v[40:41]
	v_add_f64 v[199:200], v[199:200], v[193:194]
	v_add_f64 v[197:198], v[197:198], v[195:196]
	ds_load_b128 v[193:196], v1 offset:1312
	v_fma_f64 v[191:192], v[191:192], v[185:186], v[201:202]
	v_fma_f64 v[189:190], v[189:190], v[185:186], -v[187:188]
	scratch_load_b128 v[185:188], off, off offset:704
	v_add_f64 v[199:200], v[199:200], v[205:206]
	v_add_f64 v[197:198], v[197:198], v[203:204]
	v_fma_f64 v[203:204], v[4:5], v[38:39], v[207:208]
	v_fma_f64 v[205:206], v[2:3], v[38:39], -v[40:41]
	scratch_load_b128 v[38:41], off, off offset:720
	ds_load_b128 v[2:5], v1 offset:1328
	s_waitcnt vmcnt(9) lgkmcnt(1)
	v_mul_f64 v[201:202], v[193:194], v[8:9]
	v_mul_f64 v[8:9], v[195:196], v[8:9]
	s_waitcnt vmcnt(8) lgkmcnt(0)
	v_mul_f64 v[207:208], v[2:3], v[12:13]
	v_mul_f64 v[12:13], v[4:5], v[12:13]
	v_add_f64 v[199:200], v[199:200], v[189:190]
	v_add_f64 v[197:198], v[197:198], v[191:192]
	ds_load_b128 v[189:192], v1 offset:1344
	v_fma_f64 v[195:196], v[195:196], v[6:7], v[201:202]
	v_fma_f64 v[6:7], v[193:194], v[6:7], -v[8:9]
	v_add_f64 v[8:9], v[199:200], v[205:206]
	v_add_f64 v[193:194], v[197:198], v[203:204]
	s_waitcnt vmcnt(7) lgkmcnt(0)
	v_mul_f64 v[197:198], v[189:190], v[16:17]
	v_mul_f64 v[16:17], v[191:192], v[16:17]
	v_fma_f64 v[199:200], v[4:5], v[10:11], v[207:208]
	v_fma_f64 v[10:11], v[2:3], v[10:11], -v[12:13]
	v_add_f64 v[12:13], v[8:9], v[6:7]
	v_add_f64 v[193:194], v[193:194], v[195:196]
	ds_load_b128 v[2:5], v1 offset:1360
	ds_load_b128 v[6:9], v1 offset:1376
	v_fma_f64 v[191:192], v[191:192], v[14:15], v[197:198]
	v_fma_f64 v[14:15], v[189:190], v[14:15], -v[16:17]
	s_waitcnt vmcnt(6) lgkmcnt(1)
	v_mul_f64 v[195:196], v[2:3], v[20:21]
	v_mul_f64 v[20:21], v[4:5], v[20:21]
	s_waitcnt vmcnt(5) lgkmcnt(0)
	v_mul_f64 v[16:17], v[6:7], v[24:25]
	v_mul_f64 v[24:25], v[8:9], v[24:25]
	v_add_f64 v[10:11], v[12:13], v[10:11]
	v_add_f64 v[12:13], v[193:194], v[199:200]
	v_fma_f64 v[189:190], v[4:5], v[18:19], v[195:196]
	v_fma_f64 v[18:19], v[2:3], v[18:19], -v[20:21]
	v_fma_f64 v[8:9], v[8:9], v[22:23], v[16:17]
	v_fma_f64 v[6:7], v[6:7], v[22:23], -v[24:25]
	v_add_f64 v[14:15], v[10:11], v[14:15]
	v_add_f64 v[20:21], v[12:13], v[191:192]
	ds_load_b128 v[2:5], v1 offset:1392
	ds_load_b128 v[10:13], v1 offset:1408
	s_waitcnt vmcnt(4) lgkmcnt(1)
	v_mul_f64 v[191:192], v[2:3], v[28:29]
	v_mul_f64 v[28:29], v[4:5], v[28:29]
	v_add_f64 v[14:15], v[14:15], v[18:19]
	v_add_f64 v[16:17], v[20:21], v[189:190]
	s_waitcnt vmcnt(3) lgkmcnt(0)
	v_mul_f64 v[18:19], v[10:11], v[32:33]
	v_mul_f64 v[20:21], v[12:13], v[32:33]
	v_fma_f64 v[22:23], v[4:5], v[26:27], v[191:192]
	v_fma_f64 v[24:25], v[2:3], v[26:27], -v[28:29]
	v_add_f64 v[14:15], v[14:15], v[6:7]
	v_add_f64 v[16:17], v[16:17], v[8:9]
	ds_load_b128 v[2:5], v1 offset:1424
	ds_load_b128 v[6:9], v1 offset:1440
	v_fma_f64 v[12:13], v[12:13], v[30:31], v[18:19]
	v_fma_f64 v[10:11], v[10:11], v[30:31], -v[20:21]
	s_waitcnt vmcnt(2) lgkmcnt(1)
	v_mul_f64 v[26:27], v[2:3], v[36:37]
	v_mul_f64 v[28:29], v[4:5], v[36:37]
	s_waitcnt vmcnt(1) lgkmcnt(0)
	v_mul_f64 v[18:19], v[6:7], v[187:188]
	v_mul_f64 v[20:21], v[8:9], v[187:188]
	v_add_f64 v[14:15], v[14:15], v[24:25]
	v_add_f64 v[16:17], v[16:17], v[22:23]
	v_fma_f64 v[22:23], v[4:5], v[34:35], v[26:27]
	v_fma_f64 v[24:25], v[2:3], v[34:35], -v[28:29]
	ds_load_b128 v[2:5], v1 offset:1456
	v_fma_f64 v[8:9], v[8:9], v[185:186], v[18:19]
	v_fma_f64 v[6:7], v[6:7], v[185:186], -v[20:21]
	v_add_f64 v[10:11], v[14:15], v[10:11]
	v_add_f64 v[12:13], v[16:17], v[12:13]
	s_waitcnt vmcnt(0) lgkmcnt(0)
	v_mul_f64 v[14:15], v[2:3], v[40:41]
	v_mul_f64 v[16:17], v[4:5], v[40:41]
	s_delay_alu instid0(VALU_DEP_4) | instskip(NEXT) | instid1(VALU_DEP_4)
	v_add_f64 v[10:11], v[10:11], v[24:25]
	v_add_f64 v[12:13], v[12:13], v[22:23]
	s_delay_alu instid0(VALU_DEP_4) | instskip(NEXT) | instid1(VALU_DEP_4)
	v_fma_f64 v[4:5], v[4:5], v[38:39], v[14:15]
	v_fma_f64 v[2:3], v[2:3], v[38:39], -v[16:17]
	s_delay_alu instid0(VALU_DEP_4) | instskip(NEXT) | instid1(VALU_DEP_4)
	v_add_f64 v[6:7], v[10:11], v[6:7]
	v_add_f64 v[8:9], v[12:13], v[8:9]
	s_delay_alu instid0(VALU_DEP_2) | instskip(NEXT) | instid1(VALU_DEP_2)
	v_add_f64 v[2:3], v[6:7], v[2:3]
	v_add_f64 v[4:5], v[8:9], v[4:5]
	s_delay_alu instid0(VALU_DEP_2) | instskip(NEXT) | instid1(VALU_DEP_2)
	v_add_f64 v[2:3], v[42:43], -v[2:3]
	v_add_f64 v[4:5], v[44:45], -v[4:5]
	scratch_store_b128 off, v[2:5], off offset:224
	v_cmpx_lt_u32_e32 13, v138
	s_cbranch_execz .LBB109_263
; %bb.262:
	scratch_load_b128 v[5:8], v171, off
	v_mov_b32_e32 v2, v1
	v_mov_b32_e32 v3, v1
	;; [unrolled: 1-line block ×3, first 2 shown]
	scratch_store_b128 off, v[1:4], off offset:208
	s_waitcnt vmcnt(0)
	ds_store_b128 v184, v[5:8]
.LBB109_263:
	s_or_b32 exec_lo, exec_lo, s2
	s_waitcnt lgkmcnt(0)
	s_waitcnt_vscnt null, 0x0
	s_barrier
	buffer_gl0_inv
	s_clause 0x8
	scratch_load_b128 v[2:5], off, off offset:224
	scratch_load_b128 v[6:9], off, off offset:240
	;; [unrolled: 1-line block ×9, first 2 shown]
	ds_load_b128 v[42:45], v1 offset:960
	ds_load_b128 v[38:41], v1 offset:976
	s_clause 0x1
	scratch_load_b128 v[185:188], off, off offset:208
	scratch_load_b128 v[189:192], off, off offset:368
	s_mov_b32 s2, exec_lo
	s_waitcnt vmcnt(10) lgkmcnt(1)
	v_mul_f64 v[193:194], v[44:45], v[4:5]
	v_mul_f64 v[4:5], v[42:43], v[4:5]
	s_waitcnt vmcnt(9) lgkmcnt(0)
	v_mul_f64 v[197:198], v[38:39], v[8:9]
	v_mul_f64 v[8:9], v[40:41], v[8:9]
	s_delay_alu instid0(VALU_DEP_4) | instskip(NEXT) | instid1(VALU_DEP_4)
	v_fma_f64 v[199:200], v[42:43], v[2:3], -v[193:194]
	v_fma_f64 v[201:202], v[44:45], v[2:3], v[4:5]
	ds_load_b128 v[2:5], v1 offset:992
	ds_load_b128 v[193:196], v1 offset:1008
	scratch_load_b128 v[42:45], off, off offset:384
	v_fma_f64 v[40:41], v[40:41], v[6:7], v[197:198]
	v_fma_f64 v[38:39], v[38:39], v[6:7], -v[8:9]
	scratch_load_b128 v[6:9], off, off offset:400
	s_waitcnt vmcnt(10) lgkmcnt(1)
	v_mul_f64 v[203:204], v[2:3], v[12:13]
	v_mul_f64 v[12:13], v[4:5], v[12:13]
	v_add_f64 v[197:198], v[199:200], 0
	v_add_f64 v[199:200], v[201:202], 0
	s_waitcnt vmcnt(9) lgkmcnt(0)
	v_mul_f64 v[201:202], v[193:194], v[16:17]
	v_mul_f64 v[16:17], v[195:196], v[16:17]
	v_fma_f64 v[203:204], v[4:5], v[10:11], v[203:204]
	v_fma_f64 v[205:206], v[2:3], v[10:11], -v[12:13]
	ds_load_b128 v[2:5], v1 offset:1024
	scratch_load_b128 v[10:13], off, off offset:416
	v_add_f64 v[197:198], v[197:198], v[38:39]
	v_add_f64 v[199:200], v[199:200], v[40:41]
	ds_load_b128 v[38:41], v1 offset:1040
	v_fma_f64 v[195:196], v[195:196], v[14:15], v[201:202]
	v_fma_f64 v[193:194], v[193:194], v[14:15], -v[16:17]
	scratch_load_b128 v[14:17], off, off offset:432
	s_waitcnt vmcnt(10) lgkmcnt(1)
	v_mul_f64 v[207:208], v[2:3], v[20:21]
	v_mul_f64 v[20:21], v[4:5], v[20:21]
	s_waitcnt vmcnt(9) lgkmcnt(0)
	v_mul_f64 v[201:202], v[38:39], v[24:25]
	v_mul_f64 v[24:25], v[40:41], v[24:25]
	v_add_f64 v[197:198], v[197:198], v[205:206]
	v_add_f64 v[199:200], v[199:200], v[203:204]
	v_fma_f64 v[203:204], v[4:5], v[18:19], v[207:208]
	v_fma_f64 v[205:206], v[2:3], v[18:19], -v[20:21]
	ds_load_b128 v[2:5], v1 offset:1056
	scratch_load_b128 v[18:21], off, off offset:448
	v_fma_f64 v[40:41], v[40:41], v[22:23], v[201:202]
	v_fma_f64 v[38:39], v[38:39], v[22:23], -v[24:25]
	scratch_load_b128 v[22:25], off, off offset:464
	v_add_f64 v[197:198], v[197:198], v[193:194]
	v_add_f64 v[199:200], v[199:200], v[195:196]
	ds_load_b128 v[193:196], v1 offset:1072
	s_waitcnt vmcnt(10) lgkmcnt(1)
	v_mul_f64 v[207:208], v[2:3], v[28:29]
	v_mul_f64 v[28:29], v[4:5], v[28:29]
	s_waitcnt vmcnt(9) lgkmcnt(0)
	v_mul_f64 v[201:202], v[193:194], v[32:33]
	v_mul_f64 v[32:33], v[195:196], v[32:33]
	v_add_f64 v[197:198], v[197:198], v[205:206]
	v_add_f64 v[199:200], v[199:200], v[203:204]
	v_fma_f64 v[203:204], v[4:5], v[26:27], v[207:208]
	v_fma_f64 v[205:206], v[2:3], v[26:27], -v[28:29]
	ds_load_b128 v[2:5], v1 offset:1088
	scratch_load_b128 v[26:29], off, off offset:480
	v_fma_f64 v[195:196], v[195:196], v[30:31], v[201:202]
	v_fma_f64 v[193:194], v[193:194], v[30:31], -v[32:33]
	scratch_load_b128 v[30:33], off, off offset:496
	v_add_f64 v[197:198], v[197:198], v[38:39]
	v_add_f64 v[199:200], v[199:200], v[40:41]
	ds_load_b128 v[38:41], v1 offset:1104
	s_waitcnt vmcnt(10) lgkmcnt(1)
	v_mul_f64 v[207:208], v[2:3], v[36:37]
	v_mul_f64 v[36:37], v[4:5], v[36:37]
	s_waitcnt vmcnt(8) lgkmcnt(0)
	v_mul_f64 v[201:202], v[38:39], v[191:192]
	v_add_f64 v[197:198], v[197:198], v[205:206]
	v_add_f64 v[199:200], v[199:200], v[203:204]
	v_mul_f64 v[203:204], v[40:41], v[191:192]
	v_fma_f64 v[205:206], v[4:5], v[34:35], v[207:208]
	v_fma_f64 v[207:208], v[2:3], v[34:35], -v[36:37]
	ds_load_b128 v[2:5], v1 offset:1120
	scratch_load_b128 v[34:37], off, off offset:512
	v_fma_f64 v[201:202], v[40:41], v[189:190], v[201:202]
	v_add_f64 v[197:198], v[197:198], v[193:194]
	v_add_f64 v[195:196], v[199:200], v[195:196]
	ds_load_b128 v[191:194], v1 offset:1136
	v_fma_f64 v[189:190], v[38:39], v[189:190], -v[203:204]
	scratch_load_b128 v[38:41], off, off offset:528
	s_waitcnt vmcnt(9) lgkmcnt(1)
	v_mul_f64 v[199:200], v[2:3], v[44:45]
	v_mul_f64 v[44:45], v[4:5], v[44:45]
	s_waitcnt vmcnt(8) lgkmcnt(0)
	v_mul_f64 v[203:204], v[191:192], v[8:9]
	v_mul_f64 v[8:9], v[193:194], v[8:9]
	v_add_f64 v[197:198], v[197:198], v[207:208]
	v_add_f64 v[195:196], v[195:196], v[205:206]
	v_fma_f64 v[199:200], v[4:5], v[42:43], v[199:200]
	v_fma_f64 v[205:206], v[2:3], v[42:43], -v[44:45]
	ds_load_b128 v[2:5], v1 offset:1152
	scratch_load_b128 v[42:45], off, off offset:544
	v_fma_f64 v[193:194], v[193:194], v[6:7], v[203:204]
	v_fma_f64 v[191:192], v[191:192], v[6:7], -v[8:9]
	scratch_load_b128 v[6:9], off, off offset:560
	v_add_f64 v[189:190], v[197:198], v[189:190]
	v_add_f64 v[201:202], v[195:196], v[201:202]
	ds_load_b128 v[195:198], v1 offset:1168
	s_waitcnt vmcnt(9) lgkmcnt(1)
	v_mul_f64 v[207:208], v[2:3], v[12:13]
	v_mul_f64 v[12:13], v[4:5], v[12:13]
	v_add_f64 v[189:190], v[189:190], v[205:206]
	v_add_f64 v[199:200], v[201:202], v[199:200]
	s_waitcnt vmcnt(8) lgkmcnt(0)
	v_mul_f64 v[201:202], v[195:196], v[16:17]
	v_mul_f64 v[16:17], v[197:198], v[16:17]
	v_fma_f64 v[203:204], v[4:5], v[10:11], v[207:208]
	v_fma_f64 v[205:206], v[2:3], v[10:11], -v[12:13]
	ds_load_b128 v[2:5], v1 offset:1184
	scratch_load_b128 v[10:13], off, off offset:576
	v_add_f64 v[207:208], v[189:190], v[191:192]
	v_add_f64 v[193:194], v[199:200], v[193:194]
	ds_load_b128 v[189:192], v1 offset:1200
	s_waitcnt vmcnt(8) lgkmcnt(1)
	v_mul_f64 v[199:200], v[2:3], v[20:21]
	v_mul_f64 v[20:21], v[4:5], v[20:21]
	v_fma_f64 v[197:198], v[197:198], v[14:15], v[201:202]
	v_fma_f64 v[195:196], v[195:196], v[14:15], -v[16:17]
	scratch_load_b128 v[14:17], off, off offset:592
	v_add_f64 v[201:202], v[207:208], v[205:206]
	v_add_f64 v[193:194], v[193:194], v[203:204]
	s_waitcnt vmcnt(8) lgkmcnt(0)
	v_mul_f64 v[203:204], v[189:190], v[24:25]
	v_mul_f64 v[24:25], v[191:192], v[24:25]
	v_fma_f64 v[199:200], v[4:5], v[18:19], v[199:200]
	v_fma_f64 v[205:206], v[2:3], v[18:19], -v[20:21]
	ds_load_b128 v[2:5], v1 offset:1216
	scratch_load_b128 v[18:21], off, off offset:608
	v_add_f64 v[201:202], v[201:202], v[195:196]
	v_add_f64 v[197:198], v[193:194], v[197:198]
	ds_load_b128 v[193:196], v1 offset:1232
	s_waitcnt vmcnt(8) lgkmcnt(1)
	v_mul_f64 v[207:208], v[2:3], v[28:29]
	v_mul_f64 v[28:29], v[4:5], v[28:29]
	v_fma_f64 v[191:192], v[191:192], v[22:23], v[203:204]
	v_fma_f64 v[189:190], v[189:190], v[22:23], -v[24:25]
	scratch_load_b128 v[22:25], off, off offset:624
	;; [unrolled: 18-line block ×4, first 2 shown]
	s_waitcnt vmcnt(8) lgkmcnt(0)
	v_mul_f64 v[201:202], v[193:194], v[8:9]
	v_mul_f64 v[8:9], v[195:196], v[8:9]
	v_add_f64 v[199:200], v[199:200], v[205:206]
	v_add_f64 v[197:198], v[197:198], v[203:204]
	v_fma_f64 v[203:204], v[4:5], v[42:43], v[207:208]
	v_fma_f64 v[205:206], v[2:3], v[42:43], -v[44:45]
	ds_load_b128 v[2:5], v1 offset:1312
	scratch_load_b128 v[42:45], off, off offset:704
	v_fma_f64 v[195:196], v[195:196], v[6:7], v[201:202]
	v_fma_f64 v[193:194], v[193:194], v[6:7], -v[8:9]
	scratch_load_b128 v[6:9], off, off offset:720
	v_add_f64 v[199:200], v[199:200], v[189:190]
	v_add_f64 v[197:198], v[197:198], v[191:192]
	ds_load_b128 v[189:192], v1 offset:1328
	s_waitcnt vmcnt(9) lgkmcnt(1)
	v_mul_f64 v[207:208], v[2:3], v[12:13]
	v_mul_f64 v[12:13], v[4:5], v[12:13]
	s_waitcnt vmcnt(8) lgkmcnt(0)
	v_mul_f64 v[201:202], v[189:190], v[16:17]
	v_mul_f64 v[16:17], v[191:192], v[16:17]
	v_add_f64 v[199:200], v[199:200], v[205:206]
	v_add_f64 v[197:198], v[197:198], v[203:204]
	v_fma_f64 v[203:204], v[4:5], v[10:11], v[207:208]
	v_fma_f64 v[205:206], v[2:3], v[10:11], -v[12:13]
	ds_load_b128 v[2:5], v1 offset:1344
	ds_load_b128 v[10:13], v1 offset:1360
	v_fma_f64 v[191:192], v[191:192], v[14:15], v[201:202]
	v_fma_f64 v[14:15], v[189:190], v[14:15], -v[16:17]
	v_add_f64 v[193:194], v[199:200], v[193:194]
	v_add_f64 v[195:196], v[197:198], v[195:196]
	s_waitcnt vmcnt(7) lgkmcnt(1)
	v_mul_f64 v[197:198], v[2:3], v[20:21]
	v_mul_f64 v[20:21], v[4:5], v[20:21]
	s_delay_alu instid0(VALU_DEP_4) | instskip(NEXT) | instid1(VALU_DEP_4)
	v_add_f64 v[16:17], v[193:194], v[205:206]
	v_add_f64 v[189:190], v[195:196], v[203:204]
	s_waitcnt vmcnt(6) lgkmcnt(0)
	v_mul_f64 v[193:194], v[10:11], v[24:25]
	v_mul_f64 v[24:25], v[12:13], v[24:25]
	v_fma_f64 v[195:196], v[4:5], v[18:19], v[197:198]
	v_fma_f64 v[18:19], v[2:3], v[18:19], -v[20:21]
	v_add_f64 v[20:21], v[16:17], v[14:15]
	v_add_f64 v[189:190], v[189:190], v[191:192]
	ds_load_b128 v[2:5], v1 offset:1376
	ds_load_b128 v[14:17], v1 offset:1392
	v_fma_f64 v[12:13], v[12:13], v[22:23], v[193:194]
	v_fma_f64 v[10:11], v[10:11], v[22:23], -v[24:25]
	s_waitcnt vmcnt(5) lgkmcnt(1)
	v_mul_f64 v[191:192], v[2:3], v[28:29]
	v_mul_f64 v[28:29], v[4:5], v[28:29]
	s_waitcnt vmcnt(4) lgkmcnt(0)
	v_mul_f64 v[22:23], v[14:15], v[32:33]
	v_mul_f64 v[24:25], v[16:17], v[32:33]
	v_add_f64 v[18:19], v[20:21], v[18:19]
	v_add_f64 v[20:21], v[189:190], v[195:196]
	v_fma_f64 v[32:33], v[4:5], v[26:27], v[191:192]
	v_fma_f64 v[26:27], v[2:3], v[26:27], -v[28:29]
	v_fma_f64 v[16:17], v[16:17], v[30:31], v[22:23]
	v_fma_f64 v[14:15], v[14:15], v[30:31], -v[24:25]
	v_add_f64 v[18:19], v[18:19], v[10:11]
	v_add_f64 v[20:21], v[20:21], v[12:13]
	ds_load_b128 v[2:5], v1 offset:1408
	ds_load_b128 v[10:13], v1 offset:1424
	s_waitcnt vmcnt(3) lgkmcnt(1)
	v_mul_f64 v[28:29], v[2:3], v[36:37]
	v_mul_f64 v[36:37], v[4:5], v[36:37]
	s_waitcnt vmcnt(2) lgkmcnt(0)
	v_mul_f64 v[22:23], v[10:11], v[40:41]
	v_mul_f64 v[24:25], v[12:13], v[40:41]
	v_add_f64 v[18:19], v[18:19], v[26:27]
	v_add_f64 v[20:21], v[20:21], v[32:33]
	v_fma_f64 v[26:27], v[4:5], v[34:35], v[28:29]
	v_fma_f64 v[28:29], v[2:3], v[34:35], -v[36:37]
	v_fma_f64 v[12:13], v[12:13], v[38:39], v[22:23]
	v_fma_f64 v[10:11], v[10:11], v[38:39], -v[24:25]
	v_add_f64 v[18:19], v[18:19], v[14:15]
	v_add_f64 v[20:21], v[20:21], v[16:17]
	ds_load_b128 v[2:5], v1 offset:1440
	ds_load_b128 v[14:17], v1 offset:1456
	s_waitcnt vmcnt(1) lgkmcnt(1)
	v_mul_f64 v[30:31], v[2:3], v[44:45]
	v_mul_f64 v[32:33], v[4:5], v[44:45]
	s_waitcnt vmcnt(0) lgkmcnt(0)
	v_mul_f64 v[22:23], v[14:15], v[8:9]
	v_mul_f64 v[8:9], v[16:17], v[8:9]
	v_add_f64 v[18:19], v[18:19], v[28:29]
	v_add_f64 v[20:21], v[20:21], v[26:27]
	v_fma_f64 v[4:5], v[4:5], v[42:43], v[30:31]
	v_fma_f64 v[1:2], v[2:3], v[42:43], -v[32:33]
	v_fma_f64 v[16:17], v[16:17], v[6:7], v[22:23]
	v_fma_f64 v[6:7], v[14:15], v[6:7], -v[8:9]
	v_add_f64 v[10:11], v[18:19], v[10:11]
	v_add_f64 v[12:13], v[20:21], v[12:13]
	s_delay_alu instid0(VALU_DEP_2) | instskip(NEXT) | instid1(VALU_DEP_2)
	v_add_f64 v[1:2], v[10:11], v[1:2]
	v_add_f64 v[3:4], v[12:13], v[4:5]
	s_delay_alu instid0(VALU_DEP_2) | instskip(NEXT) | instid1(VALU_DEP_2)
	;; [unrolled: 3-line block ×3, first 2 shown]
	v_add_f64 v[1:2], v[185:186], -v[1:2]
	v_add_f64 v[3:4], v[187:188], -v[3:4]
	scratch_store_b128 off, v[1:4], off offset:208
	v_cmpx_lt_u32_e32 12, v138
	s_cbranch_execz .LBB109_265
; %bb.264:
	scratch_load_b128 v[1:4], v172, off
	v_mov_b32_e32 v5, 0
	s_delay_alu instid0(VALU_DEP_1)
	v_mov_b32_e32 v6, v5
	v_mov_b32_e32 v7, v5
	;; [unrolled: 1-line block ×3, first 2 shown]
	scratch_store_b128 off, v[5:8], off offset:192
	s_waitcnt vmcnt(0)
	ds_store_b128 v184, v[1:4]
.LBB109_265:
	s_or_b32 exec_lo, exec_lo, s2
	s_waitcnt lgkmcnt(0)
	s_waitcnt_vscnt null, 0x0
	s_barrier
	buffer_gl0_inv
	s_clause 0x7
	scratch_load_b128 v[2:5], off, off offset:208
	scratch_load_b128 v[6:9], off, off offset:224
	;; [unrolled: 1-line block ×8, first 2 shown]
	v_mov_b32_e32 v1, 0
	s_mov_b32 s2, exec_lo
	ds_load_b128 v[38:41], v1 offset:944
	s_clause 0x1
	scratch_load_b128 v[34:37], off, off offset:336
	scratch_load_b128 v[42:45], off, off offset:192
	ds_load_b128 v[185:188], v1 offset:960
	scratch_load_b128 v[189:192], off, off offset:352
	s_waitcnt vmcnt(10) lgkmcnt(1)
	v_mul_f64 v[193:194], v[40:41], v[4:5]
	v_mul_f64 v[4:5], v[38:39], v[4:5]
	s_delay_alu instid0(VALU_DEP_2) | instskip(NEXT) | instid1(VALU_DEP_2)
	v_fma_f64 v[199:200], v[38:39], v[2:3], -v[193:194]
	v_fma_f64 v[201:202], v[40:41], v[2:3], v[4:5]
	scratch_load_b128 v[38:41], off, off offset:368
	ds_load_b128 v[2:5], v1 offset:976
	s_waitcnt vmcnt(10) lgkmcnt(1)
	v_mul_f64 v[197:198], v[185:186], v[8:9]
	v_mul_f64 v[8:9], v[187:188], v[8:9]
	ds_load_b128 v[193:196], v1 offset:992
	s_waitcnt vmcnt(9) lgkmcnt(1)
	v_mul_f64 v[203:204], v[2:3], v[12:13]
	v_mul_f64 v[12:13], v[4:5], v[12:13]
	v_fma_f64 v[187:188], v[187:188], v[6:7], v[197:198]
	v_fma_f64 v[185:186], v[185:186], v[6:7], -v[8:9]
	v_add_f64 v[197:198], v[199:200], 0
	v_add_f64 v[199:200], v[201:202], 0
	scratch_load_b128 v[6:9], off, off offset:384
	v_fma_f64 v[203:204], v[4:5], v[10:11], v[203:204]
	v_fma_f64 v[205:206], v[2:3], v[10:11], -v[12:13]
	scratch_load_b128 v[10:13], off, off offset:400
	ds_load_b128 v[2:5], v1 offset:1008
	s_waitcnt vmcnt(10) lgkmcnt(1)
	v_mul_f64 v[201:202], v[193:194], v[16:17]
	v_mul_f64 v[16:17], v[195:196], v[16:17]
	v_add_f64 v[197:198], v[197:198], v[185:186]
	v_add_f64 v[199:200], v[199:200], v[187:188]
	s_waitcnt vmcnt(9) lgkmcnt(0)
	v_mul_f64 v[207:208], v[2:3], v[20:21]
	v_mul_f64 v[20:21], v[4:5], v[20:21]
	ds_load_b128 v[185:188], v1 offset:1024
	v_fma_f64 v[195:196], v[195:196], v[14:15], v[201:202]
	v_fma_f64 v[193:194], v[193:194], v[14:15], -v[16:17]
	scratch_load_b128 v[14:17], off, off offset:416
	v_add_f64 v[197:198], v[197:198], v[205:206]
	v_add_f64 v[199:200], v[199:200], v[203:204]
	v_fma_f64 v[203:204], v[4:5], v[18:19], v[207:208]
	v_fma_f64 v[205:206], v[2:3], v[18:19], -v[20:21]
	scratch_load_b128 v[18:21], off, off offset:432
	ds_load_b128 v[2:5], v1 offset:1040
	s_waitcnt vmcnt(10) lgkmcnt(1)
	v_mul_f64 v[201:202], v[185:186], v[24:25]
	v_mul_f64 v[24:25], v[187:188], v[24:25]
	s_waitcnt vmcnt(9) lgkmcnt(0)
	v_mul_f64 v[207:208], v[2:3], v[28:29]
	v_mul_f64 v[28:29], v[4:5], v[28:29]
	v_add_f64 v[197:198], v[197:198], v[193:194]
	v_add_f64 v[199:200], v[199:200], v[195:196]
	ds_load_b128 v[193:196], v1 offset:1056
	v_fma_f64 v[187:188], v[187:188], v[22:23], v[201:202]
	v_fma_f64 v[185:186], v[185:186], v[22:23], -v[24:25]
	scratch_load_b128 v[22:25], off, off offset:448
	v_add_f64 v[197:198], v[197:198], v[205:206]
	v_add_f64 v[199:200], v[199:200], v[203:204]
	v_fma_f64 v[203:204], v[4:5], v[26:27], v[207:208]
	v_fma_f64 v[205:206], v[2:3], v[26:27], -v[28:29]
	scratch_load_b128 v[26:29], off, off offset:464
	ds_load_b128 v[2:5], v1 offset:1072
	s_waitcnt vmcnt(10) lgkmcnt(1)
	v_mul_f64 v[201:202], v[193:194], v[32:33]
	v_mul_f64 v[32:33], v[195:196], v[32:33]
	s_waitcnt vmcnt(9) lgkmcnt(0)
	v_mul_f64 v[207:208], v[2:3], v[36:37]
	v_mul_f64 v[36:37], v[4:5], v[36:37]
	v_add_f64 v[197:198], v[197:198], v[185:186]
	v_add_f64 v[199:200], v[199:200], v[187:188]
	ds_load_b128 v[185:188], v1 offset:1088
	v_fma_f64 v[195:196], v[195:196], v[30:31], v[201:202]
	v_fma_f64 v[193:194], v[193:194], v[30:31], -v[32:33]
	scratch_load_b128 v[30:33], off, off offset:480
	v_add_f64 v[197:198], v[197:198], v[205:206]
	v_add_f64 v[199:200], v[199:200], v[203:204]
	v_fma_f64 v[205:206], v[4:5], v[34:35], v[207:208]
	v_fma_f64 v[207:208], v[2:3], v[34:35], -v[36:37]
	scratch_load_b128 v[34:37], off, off offset:496
	ds_load_b128 v[2:5], v1 offset:1104
	s_waitcnt vmcnt(9) lgkmcnt(1)
	v_mul_f64 v[201:202], v[185:186], v[191:192]
	v_mul_f64 v[203:204], v[187:188], v[191:192]
	v_add_f64 v[197:198], v[197:198], v[193:194]
	v_add_f64 v[195:196], v[199:200], v[195:196]
	ds_load_b128 v[191:194], v1 offset:1120
	v_fma_f64 v[201:202], v[187:188], v[189:190], v[201:202]
	v_fma_f64 v[189:190], v[185:186], v[189:190], -v[203:204]
	scratch_load_b128 v[185:188], off, off offset:512
	s_waitcnt vmcnt(9) lgkmcnt(1)
	v_mul_f64 v[199:200], v[2:3], v[40:41]
	v_mul_f64 v[40:41], v[4:5], v[40:41]
	v_add_f64 v[197:198], v[197:198], v[207:208]
	v_add_f64 v[195:196], v[195:196], v[205:206]
	s_delay_alu instid0(VALU_DEP_4) | instskip(NEXT) | instid1(VALU_DEP_4)
	v_fma_f64 v[199:200], v[4:5], v[38:39], v[199:200]
	v_fma_f64 v[205:206], v[2:3], v[38:39], -v[40:41]
	scratch_load_b128 v[38:41], off, off offset:528
	ds_load_b128 v[2:5], v1 offset:1136
	s_waitcnt vmcnt(9) lgkmcnt(1)
	v_mul_f64 v[203:204], v[191:192], v[8:9]
	v_mul_f64 v[8:9], v[193:194], v[8:9]
	s_waitcnt vmcnt(8) lgkmcnt(0)
	v_mul_f64 v[207:208], v[2:3], v[12:13]
	v_mul_f64 v[12:13], v[4:5], v[12:13]
	v_add_f64 v[189:190], v[197:198], v[189:190]
	v_add_f64 v[201:202], v[195:196], v[201:202]
	ds_load_b128 v[195:198], v1 offset:1152
	v_fma_f64 v[193:194], v[193:194], v[6:7], v[203:204]
	v_fma_f64 v[191:192], v[191:192], v[6:7], -v[8:9]
	scratch_load_b128 v[6:9], off, off offset:544
	v_fma_f64 v[203:204], v[4:5], v[10:11], v[207:208]
	v_add_f64 v[189:190], v[189:190], v[205:206]
	v_add_f64 v[199:200], v[201:202], v[199:200]
	v_fma_f64 v[205:206], v[2:3], v[10:11], -v[12:13]
	scratch_load_b128 v[10:13], off, off offset:560
	ds_load_b128 v[2:5], v1 offset:1168
	s_waitcnt vmcnt(9) lgkmcnt(1)
	v_mul_f64 v[201:202], v[195:196], v[16:17]
	v_mul_f64 v[16:17], v[197:198], v[16:17]
	v_add_f64 v[207:208], v[189:190], v[191:192]
	v_add_f64 v[193:194], v[199:200], v[193:194]
	s_waitcnt vmcnt(8) lgkmcnt(0)
	v_mul_f64 v[199:200], v[2:3], v[20:21]
	v_mul_f64 v[20:21], v[4:5], v[20:21]
	ds_load_b128 v[189:192], v1 offset:1184
	v_fma_f64 v[197:198], v[197:198], v[14:15], v[201:202]
	v_fma_f64 v[195:196], v[195:196], v[14:15], -v[16:17]
	scratch_load_b128 v[14:17], off, off offset:576
	v_add_f64 v[201:202], v[207:208], v[205:206]
	v_add_f64 v[193:194], v[193:194], v[203:204]
	v_fma_f64 v[199:200], v[4:5], v[18:19], v[199:200]
	v_fma_f64 v[205:206], v[2:3], v[18:19], -v[20:21]
	scratch_load_b128 v[18:21], off, off offset:592
	ds_load_b128 v[2:5], v1 offset:1200
	s_waitcnt vmcnt(9) lgkmcnt(1)
	v_mul_f64 v[203:204], v[189:190], v[24:25]
	v_mul_f64 v[24:25], v[191:192], v[24:25]
	s_waitcnt vmcnt(8) lgkmcnt(0)
	v_mul_f64 v[207:208], v[2:3], v[28:29]
	v_mul_f64 v[28:29], v[4:5], v[28:29]
	v_add_f64 v[201:202], v[201:202], v[195:196]
	v_add_f64 v[197:198], v[193:194], v[197:198]
	ds_load_b128 v[193:196], v1 offset:1216
	v_fma_f64 v[191:192], v[191:192], v[22:23], v[203:204]
	v_fma_f64 v[189:190], v[189:190], v[22:23], -v[24:25]
	scratch_load_b128 v[22:25], off, off offset:608
	v_fma_f64 v[203:204], v[4:5], v[26:27], v[207:208]
	v_add_f64 v[201:202], v[201:202], v[205:206]
	v_add_f64 v[197:198], v[197:198], v[199:200]
	v_fma_f64 v[205:206], v[2:3], v[26:27], -v[28:29]
	scratch_load_b128 v[26:29], off, off offset:624
	ds_load_b128 v[2:5], v1 offset:1232
	s_waitcnt vmcnt(9) lgkmcnt(1)
	v_mul_f64 v[199:200], v[193:194], v[32:33]
	v_mul_f64 v[32:33], v[195:196], v[32:33]
	s_waitcnt vmcnt(8) lgkmcnt(0)
	v_mul_f64 v[207:208], v[2:3], v[36:37]
	v_mul_f64 v[36:37], v[4:5], v[36:37]
	v_add_f64 v[201:202], v[201:202], v[189:190]
	v_add_f64 v[197:198], v[197:198], v[191:192]
	ds_load_b128 v[189:192], v1 offset:1248
	v_fma_f64 v[195:196], v[195:196], v[30:31], v[199:200]
	v_fma_f64 v[193:194], v[193:194], v[30:31], -v[32:33]
	scratch_load_b128 v[30:33], off, off offset:640
	v_add_f64 v[199:200], v[201:202], v[205:206]
	v_add_f64 v[197:198], v[197:198], v[203:204]
	v_fma_f64 v[203:204], v[4:5], v[34:35], v[207:208]
	v_fma_f64 v[205:206], v[2:3], v[34:35], -v[36:37]
	scratch_load_b128 v[34:37], off, off offset:656
	ds_load_b128 v[2:5], v1 offset:1264
	s_waitcnt vmcnt(9) lgkmcnt(1)
	v_mul_f64 v[201:202], v[189:190], v[187:188]
	v_mul_f64 v[187:188], v[191:192], v[187:188]
	s_waitcnt vmcnt(8) lgkmcnt(0)
	v_mul_f64 v[207:208], v[2:3], v[40:41]
	v_mul_f64 v[40:41], v[4:5], v[40:41]
	v_add_f64 v[199:200], v[199:200], v[193:194]
	v_add_f64 v[197:198], v[197:198], v[195:196]
	ds_load_b128 v[193:196], v1 offset:1280
	v_fma_f64 v[191:192], v[191:192], v[185:186], v[201:202]
	v_fma_f64 v[189:190], v[189:190], v[185:186], -v[187:188]
	scratch_load_b128 v[185:188], off, off offset:672
	v_add_f64 v[199:200], v[199:200], v[205:206]
	v_add_f64 v[197:198], v[197:198], v[203:204]
	v_fma_f64 v[203:204], v[4:5], v[38:39], v[207:208]
	;; [unrolled: 18-line block ×3, first 2 shown]
	v_fma_f64 v[205:206], v[2:3], v[10:11], -v[12:13]
	scratch_load_b128 v[10:13], off, off offset:720
	ds_load_b128 v[2:5], v1 offset:1328
	s_waitcnt vmcnt(9) lgkmcnt(1)
	v_mul_f64 v[201:202], v[189:190], v[16:17]
	v_mul_f64 v[16:17], v[191:192], v[16:17]
	s_waitcnt vmcnt(8) lgkmcnt(0)
	v_mul_f64 v[207:208], v[2:3], v[20:21]
	v_mul_f64 v[20:21], v[4:5], v[20:21]
	v_add_f64 v[199:200], v[199:200], v[193:194]
	v_add_f64 v[197:198], v[197:198], v[195:196]
	ds_load_b128 v[193:196], v1 offset:1344
	v_fma_f64 v[191:192], v[191:192], v[14:15], v[201:202]
	v_fma_f64 v[14:15], v[189:190], v[14:15], -v[16:17]
	v_add_f64 v[16:17], v[199:200], v[205:206]
	v_add_f64 v[189:190], v[197:198], v[203:204]
	s_waitcnt vmcnt(7) lgkmcnt(0)
	v_mul_f64 v[197:198], v[193:194], v[24:25]
	v_mul_f64 v[24:25], v[195:196], v[24:25]
	v_fma_f64 v[199:200], v[4:5], v[18:19], v[207:208]
	v_fma_f64 v[18:19], v[2:3], v[18:19], -v[20:21]
	v_add_f64 v[20:21], v[16:17], v[14:15]
	v_add_f64 v[189:190], v[189:190], v[191:192]
	ds_load_b128 v[2:5], v1 offset:1360
	ds_load_b128 v[14:17], v1 offset:1376
	v_fma_f64 v[195:196], v[195:196], v[22:23], v[197:198]
	v_fma_f64 v[22:23], v[193:194], v[22:23], -v[24:25]
	s_waitcnt vmcnt(6) lgkmcnt(1)
	v_mul_f64 v[191:192], v[2:3], v[28:29]
	v_mul_f64 v[28:29], v[4:5], v[28:29]
	s_waitcnt vmcnt(5) lgkmcnt(0)
	v_mul_f64 v[24:25], v[14:15], v[32:33]
	v_mul_f64 v[32:33], v[16:17], v[32:33]
	v_add_f64 v[18:19], v[20:21], v[18:19]
	v_add_f64 v[20:21], v[189:190], v[199:200]
	v_fma_f64 v[189:190], v[4:5], v[26:27], v[191:192]
	v_fma_f64 v[26:27], v[2:3], v[26:27], -v[28:29]
	v_fma_f64 v[16:17], v[16:17], v[30:31], v[24:25]
	v_fma_f64 v[14:15], v[14:15], v[30:31], -v[32:33]
	v_add_f64 v[22:23], v[18:19], v[22:23]
	v_add_f64 v[28:29], v[20:21], v[195:196]
	ds_load_b128 v[2:5], v1 offset:1392
	ds_load_b128 v[18:21], v1 offset:1408
	s_waitcnt vmcnt(4) lgkmcnt(1)
	v_mul_f64 v[191:192], v[2:3], v[36:37]
	v_mul_f64 v[36:37], v[4:5], v[36:37]
	v_add_f64 v[22:23], v[22:23], v[26:27]
	v_add_f64 v[24:25], v[28:29], v[189:190]
	s_waitcnt vmcnt(3) lgkmcnt(0)
	v_mul_f64 v[26:27], v[18:19], v[187:188]
	v_mul_f64 v[28:29], v[20:21], v[187:188]
	v_fma_f64 v[30:31], v[4:5], v[34:35], v[191:192]
	v_fma_f64 v[32:33], v[2:3], v[34:35], -v[36:37]
	v_add_f64 v[22:23], v[22:23], v[14:15]
	v_add_f64 v[24:25], v[24:25], v[16:17]
	ds_load_b128 v[2:5], v1 offset:1424
	ds_load_b128 v[14:17], v1 offset:1440
	v_fma_f64 v[20:21], v[20:21], v[185:186], v[26:27]
	v_fma_f64 v[18:19], v[18:19], v[185:186], -v[28:29]
	s_waitcnt vmcnt(2) lgkmcnt(1)
	v_mul_f64 v[34:35], v[2:3], v[40:41]
	v_mul_f64 v[36:37], v[4:5], v[40:41]
	s_waitcnt vmcnt(1) lgkmcnt(0)
	v_mul_f64 v[26:27], v[14:15], v[8:9]
	v_mul_f64 v[8:9], v[16:17], v[8:9]
	v_add_f64 v[22:23], v[22:23], v[32:33]
	v_add_f64 v[24:25], v[24:25], v[30:31]
	v_fma_f64 v[28:29], v[4:5], v[38:39], v[34:35]
	v_fma_f64 v[30:31], v[2:3], v[38:39], -v[36:37]
	ds_load_b128 v[2:5], v1 offset:1456
	v_fma_f64 v[16:17], v[16:17], v[6:7], v[26:27]
	v_fma_f64 v[6:7], v[14:15], v[6:7], -v[8:9]
	v_add_f64 v[18:19], v[22:23], v[18:19]
	v_add_f64 v[20:21], v[24:25], v[20:21]
	s_waitcnt vmcnt(0) lgkmcnt(0)
	v_mul_f64 v[22:23], v[2:3], v[12:13]
	v_mul_f64 v[12:13], v[4:5], v[12:13]
	s_delay_alu instid0(VALU_DEP_4) | instskip(NEXT) | instid1(VALU_DEP_4)
	v_add_f64 v[8:9], v[18:19], v[30:31]
	v_add_f64 v[14:15], v[20:21], v[28:29]
	s_delay_alu instid0(VALU_DEP_4) | instskip(NEXT) | instid1(VALU_DEP_4)
	v_fma_f64 v[4:5], v[4:5], v[10:11], v[22:23]
	v_fma_f64 v[2:3], v[2:3], v[10:11], -v[12:13]
	s_delay_alu instid0(VALU_DEP_4) | instskip(NEXT) | instid1(VALU_DEP_4)
	v_add_f64 v[6:7], v[8:9], v[6:7]
	v_add_f64 v[8:9], v[14:15], v[16:17]
	s_delay_alu instid0(VALU_DEP_2) | instskip(NEXT) | instid1(VALU_DEP_2)
	v_add_f64 v[2:3], v[6:7], v[2:3]
	v_add_f64 v[4:5], v[8:9], v[4:5]
	s_delay_alu instid0(VALU_DEP_2) | instskip(NEXT) | instid1(VALU_DEP_2)
	v_add_f64 v[2:3], v[42:43], -v[2:3]
	v_add_f64 v[4:5], v[44:45], -v[4:5]
	scratch_store_b128 off, v[2:5], off offset:192
	v_cmpx_lt_u32_e32 11, v138
	s_cbranch_execz .LBB109_267
; %bb.266:
	scratch_load_b128 v[5:8], v173, off
	v_mov_b32_e32 v2, v1
	v_mov_b32_e32 v3, v1
	;; [unrolled: 1-line block ×3, first 2 shown]
	scratch_store_b128 off, v[1:4], off offset:176
	s_waitcnt vmcnt(0)
	ds_store_b128 v184, v[5:8]
.LBB109_267:
	s_or_b32 exec_lo, exec_lo, s2
	s_waitcnt lgkmcnt(0)
	s_waitcnt_vscnt null, 0x0
	s_barrier
	buffer_gl0_inv
	s_clause 0x8
	scratch_load_b128 v[2:5], off, off offset:192
	scratch_load_b128 v[6:9], off, off offset:208
	;; [unrolled: 1-line block ×9, first 2 shown]
	ds_load_b128 v[42:45], v1 offset:928
	ds_load_b128 v[38:41], v1 offset:944
	s_clause 0x1
	scratch_load_b128 v[185:188], off, off offset:176
	scratch_load_b128 v[189:192], off, off offset:336
	s_mov_b32 s2, exec_lo
	s_waitcnt vmcnt(10) lgkmcnt(1)
	v_mul_f64 v[193:194], v[44:45], v[4:5]
	v_mul_f64 v[4:5], v[42:43], v[4:5]
	s_waitcnt vmcnt(9) lgkmcnt(0)
	v_mul_f64 v[197:198], v[38:39], v[8:9]
	v_mul_f64 v[8:9], v[40:41], v[8:9]
	s_delay_alu instid0(VALU_DEP_4) | instskip(NEXT) | instid1(VALU_DEP_4)
	v_fma_f64 v[199:200], v[42:43], v[2:3], -v[193:194]
	v_fma_f64 v[201:202], v[44:45], v[2:3], v[4:5]
	ds_load_b128 v[2:5], v1 offset:960
	ds_load_b128 v[193:196], v1 offset:976
	scratch_load_b128 v[42:45], off, off offset:352
	v_fma_f64 v[40:41], v[40:41], v[6:7], v[197:198]
	v_fma_f64 v[38:39], v[38:39], v[6:7], -v[8:9]
	scratch_load_b128 v[6:9], off, off offset:368
	s_waitcnt vmcnt(10) lgkmcnt(1)
	v_mul_f64 v[203:204], v[2:3], v[12:13]
	v_mul_f64 v[12:13], v[4:5], v[12:13]
	v_add_f64 v[197:198], v[199:200], 0
	v_add_f64 v[199:200], v[201:202], 0
	s_waitcnt vmcnt(9) lgkmcnt(0)
	v_mul_f64 v[201:202], v[193:194], v[16:17]
	v_mul_f64 v[16:17], v[195:196], v[16:17]
	v_fma_f64 v[203:204], v[4:5], v[10:11], v[203:204]
	v_fma_f64 v[205:206], v[2:3], v[10:11], -v[12:13]
	ds_load_b128 v[2:5], v1 offset:992
	scratch_load_b128 v[10:13], off, off offset:384
	v_add_f64 v[197:198], v[197:198], v[38:39]
	v_add_f64 v[199:200], v[199:200], v[40:41]
	ds_load_b128 v[38:41], v1 offset:1008
	v_fma_f64 v[195:196], v[195:196], v[14:15], v[201:202]
	v_fma_f64 v[193:194], v[193:194], v[14:15], -v[16:17]
	scratch_load_b128 v[14:17], off, off offset:400
	s_waitcnt vmcnt(10) lgkmcnt(1)
	v_mul_f64 v[207:208], v[2:3], v[20:21]
	v_mul_f64 v[20:21], v[4:5], v[20:21]
	s_waitcnt vmcnt(9) lgkmcnt(0)
	v_mul_f64 v[201:202], v[38:39], v[24:25]
	v_mul_f64 v[24:25], v[40:41], v[24:25]
	v_add_f64 v[197:198], v[197:198], v[205:206]
	v_add_f64 v[199:200], v[199:200], v[203:204]
	v_fma_f64 v[203:204], v[4:5], v[18:19], v[207:208]
	v_fma_f64 v[205:206], v[2:3], v[18:19], -v[20:21]
	ds_load_b128 v[2:5], v1 offset:1024
	scratch_load_b128 v[18:21], off, off offset:416
	v_fma_f64 v[40:41], v[40:41], v[22:23], v[201:202]
	v_fma_f64 v[38:39], v[38:39], v[22:23], -v[24:25]
	scratch_load_b128 v[22:25], off, off offset:432
	v_add_f64 v[197:198], v[197:198], v[193:194]
	v_add_f64 v[199:200], v[199:200], v[195:196]
	ds_load_b128 v[193:196], v1 offset:1040
	s_waitcnt vmcnt(10) lgkmcnt(1)
	v_mul_f64 v[207:208], v[2:3], v[28:29]
	v_mul_f64 v[28:29], v[4:5], v[28:29]
	s_waitcnt vmcnt(9) lgkmcnt(0)
	v_mul_f64 v[201:202], v[193:194], v[32:33]
	v_mul_f64 v[32:33], v[195:196], v[32:33]
	v_add_f64 v[197:198], v[197:198], v[205:206]
	v_add_f64 v[199:200], v[199:200], v[203:204]
	v_fma_f64 v[203:204], v[4:5], v[26:27], v[207:208]
	v_fma_f64 v[205:206], v[2:3], v[26:27], -v[28:29]
	ds_load_b128 v[2:5], v1 offset:1056
	scratch_load_b128 v[26:29], off, off offset:448
	v_fma_f64 v[195:196], v[195:196], v[30:31], v[201:202]
	v_fma_f64 v[193:194], v[193:194], v[30:31], -v[32:33]
	scratch_load_b128 v[30:33], off, off offset:464
	v_add_f64 v[197:198], v[197:198], v[38:39]
	v_add_f64 v[199:200], v[199:200], v[40:41]
	ds_load_b128 v[38:41], v1 offset:1072
	s_waitcnt vmcnt(10) lgkmcnt(1)
	v_mul_f64 v[207:208], v[2:3], v[36:37]
	v_mul_f64 v[36:37], v[4:5], v[36:37]
	s_waitcnt vmcnt(8) lgkmcnt(0)
	v_mul_f64 v[201:202], v[38:39], v[191:192]
	v_add_f64 v[197:198], v[197:198], v[205:206]
	v_add_f64 v[199:200], v[199:200], v[203:204]
	v_mul_f64 v[203:204], v[40:41], v[191:192]
	v_fma_f64 v[205:206], v[4:5], v[34:35], v[207:208]
	v_fma_f64 v[207:208], v[2:3], v[34:35], -v[36:37]
	ds_load_b128 v[2:5], v1 offset:1088
	scratch_load_b128 v[34:37], off, off offset:480
	v_fma_f64 v[201:202], v[40:41], v[189:190], v[201:202]
	v_add_f64 v[197:198], v[197:198], v[193:194]
	v_add_f64 v[195:196], v[199:200], v[195:196]
	ds_load_b128 v[191:194], v1 offset:1104
	v_fma_f64 v[189:190], v[38:39], v[189:190], -v[203:204]
	scratch_load_b128 v[38:41], off, off offset:496
	s_waitcnt vmcnt(9) lgkmcnt(1)
	v_mul_f64 v[199:200], v[2:3], v[44:45]
	v_mul_f64 v[44:45], v[4:5], v[44:45]
	s_waitcnt vmcnt(8) lgkmcnt(0)
	v_mul_f64 v[203:204], v[191:192], v[8:9]
	v_mul_f64 v[8:9], v[193:194], v[8:9]
	v_add_f64 v[197:198], v[197:198], v[207:208]
	v_add_f64 v[195:196], v[195:196], v[205:206]
	v_fma_f64 v[199:200], v[4:5], v[42:43], v[199:200]
	v_fma_f64 v[205:206], v[2:3], v[42:43], -v[44:45]
	ds_load_b128 v[2:5], v1 offset:1120
	scratch_load_b128 v[42:45], off, off offset:512
	v_fma_f64 v[193:194], v[193:194], v[6:7], v[203:204]
	v_fma_f64 v[191:192], v[191:192], v[6:7], -v[8:9]
	scratch_load_b128 v[6:9], off, off offset:528
	v_add_f64 v[189:190], v[197:198], v[189:190]
	v_add_f64 v[201:202], v[195:196], v[201:202]
	ds_load_b128 v[195:198], v1 offset:1136
	s_waitcnt vmcnt(9) lgkmcnt(1)
	v_mul_f64 v[207:208], v[2:3], v[12:13]
	v_mul_f64 v[12:13], v[4:5], v[12:13]
	v_add_f64 v[189:190], v[189:190], v[205:206]
	v_add_f64 v[199:200], v[201:202], v[199:200]
	s_waitcnt vmcnt(8) lgkmcnt(0)
	v_mul_f64 v[201:202], v[195:196], v[16:17]
	v_mul_f64 v[16:17], v[197:198], v[16:17]
	v_fma_f64 v[203:204], v[4:5], v[10:11], v[207:208]
	v_fma_f64 v[205:206], v[2:3], v[10:11], -v[12:13]
	ds_load_b128 v[2:5], v1 offset:1152
	scratch_load_b128 v[10:13], off, off offset:544
	v_add_f64 v[207:208], v[189:190], v[191:192]
	v_add_f64 v[193:194], v[199:200], v[193:194]
	ds_load_b128 v[189:192], v1 offset:1168
	s_waitcnt vmcnt(8) lgkmcnt(1)
	v_mul_f64 v[199:200], v[2:3], v[20:21]
	v_mul_f64 v[20:21], v[4:5], v[20:21]
	v_fma_f64 v[197:198], v[197:198], v[14:15], v[201:202]
	v_fma_f64 v[195:196], v[195:196], v[14:15], -v[16:17]
	scratch_load_b128 v[14:17], off, off offset:560
	v_add_f64 v[201:202], v[207:208], v[205:206]
	v_add_f64 v[193:194], v[193:194], v[203:204]
	s_waitcnt vmcnt(8) lgkmcnt(0)
	v_mul_f64 v[203:204], v[189:190], v[24:25]
	v_mul_f64 v[24:25], v[191:192], v[24:25]
	v_fma_f64 v[199:200], v[4:5], v[18:19], v[199:200]
	v_fma_f64 v[205:206], v[2:3], v[18:19], -v[20:21]
	ds_load_b128 v[2:5], v1 offset:1184
	scratch_load_b128 v[18:21], off, off offset:576
	v_add_f64 v[201:202], v[201:202], v[195:196]
	v_add_f64 v[197:198], v[193:194], v[197:198]
	ds_load_b128 v[193:196], v1 offset:1200
	s_waitcnt vmcnt(8) lgkmcnt(1)
	v_mul_f64 v[207:208], v[2:3], v[28:29]
	v_mul_f64 v[28:29], v[4:5], v[28:29]
	v_fma_f64 v[191:192], v[191:192], v[22:23], v[203:204]
	v_fma_f64 v[189:190], v[189:190], v[22:23], -v[24:25]
	scratch_load_b128 v[22:25], off, off offset:592
	v_add_f64 v[201:202], v[201:202], v[205:206]
	v_add_f64 v[197:198], v[197:198], v[199:200]
	s_waitcnt vmcnt(8) lgkmcnt(0)
	v_mul_f64 v[199:200], v[193:194], v[32:33]
	v_mul_f64 v[32:33], v[195:196], v[32:33]
	v_fma_f64 v[203:204], v[4:5], v[26:27], v[207:208]
	v_fma_f64 v[205:206], v[2:3], v[26:27], -v[28:29]
	ds_load_b128 v[2:5], v1 offset:1216
	scratch_load_b128 v[26:29], off, off offset:608
	v_add_f64 v[201:202], v[201:202], v[189:190]
	v_add_f64 v[197:198], v[197:198], v[191:192]
	ds_load_b128 v[189:192], v1 offset:1232
	s_waitcnt vmcnt(8) lgkmcnt(1)
	v_mul_f64 v[207:208], v[2:3], v[36:37]
	v_mul_f64 v[36:37], v[4:5], v[36:37]
	v_fma_f64 v[195:196], v[195:196], v[30:31], v[199:200]
	v_fma_f64 v[193:194], v[193:194], v[30:31], -v[32:33]
	scratch_load_b128 v[30:33], off, off offset:624
	v_add_f64 v[199:200], v[201:202], v[205:206]
	v_add_f64 v[197:198], v[197:198], v[203:204]
	s_waitcnt vmcnt(8) lgkmcnt(0)
	v_mul_f64 v[201:202], v[189:190], v[40:41]
	v_mul_f64 v[40:41], v[191:192], v[40:41]
	v_fma_f64 v[203:204], v[4:5], v[34:35], v[207:208]
	v_fma_f64 v[205:206], v[2:3], v[34:35], -v[36:37]
	ds_load_b128 v[2:5], v1 offset:1248
	scratch_load_b128 v[34:37], off, off offset:640
	v_add_f64 v[199:200], v[199:200], v[193:194]
	v_add_f64 v[197:198], v[197:198], v[195:196]
	ds_load_b128 v[193:196], v1 offset:1264
	s_waitcnt vmcnt(8) lgkmcnt(1)
	v_mul_f64 v[207:208], v[2:3], v[44:45]
	v_mul_f64 v[44:45], v[4:5], v[44:45]
	v_fma_f64 v[191:192], v[191:192], v[38:39], v[201:202]
	v_fma_f64 v[189:190], v[189:190], v[38:39], -v[40:41]
	scratch_load_b128 v[38:41], off, off offset:656
	s_waitcnt vmcnt(8) lgkmcnt(0)
	v_mul_f64 v[201:202], v[193:194], v[8:9]
	v_mul_f64 v[8:9], v[195:196], v[8:9]
	v_add_f64 v[199:200], v[199:200], v[205:206]
	v_add_f64 v[197:198], v[197:198], v[203:204]
	v_fma_f64 v[203:204], v[4:5], v[42:43], v[207:208]
	v_fma_f64 v[205:206], v[2:3], v[42:43], -v[44:45]
	ds_load_b128 v[2:5], v1 offset:1280
	scratch_load_b128 v[42:45], off, off offset:672
	v_fma_f64 v[195:196], v[195:196], v[6:7], v[201:202]
	v_fma_f64 v[193:194], v[193:194], v[6:7], -v[8:9]
	scratch_load_b128 v[6:9], off, off offset:688
	v_add_f64 v[199:200], v[199:200], v[189:190]
	v_add_f64 v[197:198], v[197:198], v[191:192]
	ds_load_b128 v[189:192], v1 offset:1296
	s_waitcnt vmcnt(9) lgkmcnt(1)
	v_mul_f64 v[207:208], v[2:3], v[12:13]
	v_mul_f64 v[12:13], v[4:5], v[12:13]
	s_waitcnt vmcnt(8) lgkmcnt(0)
	v_mul_f64 v[201:202], v[189:190], v[16:17]
	v_mul_f64 v[16:17], v[191:192], v[16:17]
	v_add_f64 v[199:200], v[199:200], v[205:206]
	v_add_f64 v[197:198], v[197:198], v[203:204]
	v_fma_f64 v[203:204], v[4:5], v[10:11], v[207:208]
	v_fma_f64 v[205:206], v[2:3], v[10:11], -v[12:13]
	ds_load_b128 v[2:5], v1 offset:1312
	scratch_load_b128 v[10:13], off, off offset:704
	v_fma_f64 v[191:192], v[191:192], v[14:15], v[201:202]
	v_fma_f64 v[189:190], v[189:190], v[14:15], -v[16:17]
	scratch_load_b128 v[14:17], off, off offset:720
	v_add_f64 v[199:200], v[199:200], v[193:194]
	v_add_f64 v[197:198], v[197:198], v[195:196]
	ds_load_b128 v[193:196], v1 offset:1328
	s_waitcnt vmcnt(9) lgkmcnt(1)
	v_mul_f64 v[207:208], v[2:3], v[20:21]
	v_mul_f64 v[20:21], v[4:5], v[20:21]
	s_waitcnt vmcnt(8) lgkmcnt(0)
	v_mul_f64 v[201:202], v[193:194], v[24:25]
	v_mul_f64 v[24:25], v[195:196], v[24:25]
	v_add_f64 v[199:200], v[199:200], v[205:206]
	v_add_f64 v[197:198], v[197:198], v[203:204]
	v_fma_f64 v[203:204], v[4:5], v[18:19], v[207:208]
	v_fma_f64 v[205:206], v[2:3], v[18:19], -v[20:21]
	ds_load_b128 v[2:5], v1 offset:1344
	ds_load_b128 v[18:21], v1 offset:1360
	v_fma_f64 v[195:196], v[195:196], v[22:23], v[201:202]
	v_fma_f64 v[22:23], v[193:194], v[22:23], -v[24:25]
	v_add_f64 v[189:190], v[199:200], v[189:190]
	v_add_f64 v[191:192], v[197:198], v[191:192]
	s_waitcnt vmcnt(7) lgkmcnt(1)
	v_mul_f64 v[197:198], v[2:3], v[28:29]
	v_mul_f64 v[28:29], v[4:5], v[28:29]
	s_delay_alu instid0(VALU_DEP_4) | instskip(NEXT) | instid1(VALU_DEP_4)
	v_add_f64 v[24:25], v[189:190], v[205:206]
	v_add_f64 v[189:190], v[191:192], v[203:204]
	s_waitcnt vmcnt(6) lgkmcnt(0)
	v_mul_f64 v[191:192], v[18:19], v[32:33]
	v_mul_f64 v[32:33], v[20:21], v[32:33]
	v_fma_f64 v[193:194], v[4:5], v[26:27], v[197:198]
	v_fma_f64 v[26:27], v[2:3], v[26:27], -v[28:29]
	v_add_f64 v[28:29], v[24:25], v[22:23]
	v_add_f64 v[189:190], v[189:190], v[195:196]
	ds_load_b128 v[2:5], v1 offset:1376
	ds_load_b128 v[22:25], v1 offset:1392
	v_fma_f64 v[20:21], v[20:21], v[30:31], v[191:192]
	v_fma_f64 v[18:19], v[18:19], v[30:31], -v[32:33]
	s_waitcnt vmcnt(5) lgkmcnt(1)
	v_mul_f64 v[195:196], v[2:3], v[36:37]
	v_mul_f64 v[36:37], v[4:5], v[36:37]
	s_waitcnt vmcnt(4) lgkmcnt(0)
	v_mul_f64 v[30:31], v[22:23], v[40:41]
	v_mul_f64 v[32:33], v[24:25], v[40:41]
	v_add_f64 v[26:27], v[28:29], v[26:27]
	v_add_f64 v[28:29], v[189:190], v[193:194]
	v_fma_f64 v[40:41], v[4:5], v[34:35], v[195:196]
	v_fma_f64 v[34:35], v[2:3], v[34:35], -v[36:37]
	v_fma_f64 v[24:25], v[24:25], v[38:39], v[30:31]
	v_fma_f64 v[22:23], v[22:23], v[38:39], -v[32:33]
	v_add_f64 v[26:27], v[26:27], v[18:19]
	v_add_f64 v[28:29], v[28:29], v[20:21]
	ds_load_b128 v[2:5], v1 offset:1408
	ds_load_b128 v[18:21], v1 offset:1424
	s_waitcnt vmcnt(3) lgkmcnt(1)
	v_mul_f64 v[36:37], v[2:3], v[44:45]
	v_mul_f64 v[44:45], v[4:5], v[44:45]
	s_waitcnt vmcnt(2) lgkmcnt(0)
	v_mul_f64 v[30:31], v[18:19], v[8:9]
	v_mul_f64 v[8:9], v[20:21], v[8:9]
	v_add_f64 v[26:27], v[26:27], v[34:35]
	v_add_f64 v[28:29], v[28:29], v[40:41]
	v_fma_f64 v[32:33], v[4:5], v[42:43], v[36:37]
	v_fma_f64 v[34:35], v[2:3], v[42:43], -v[44:45]
	v_fma_f64 v[20:21], v[20:21], v[6:7], v[30:31]
	v_fma_f64 v[6:7], v[18:19], v[6:7], -v[8:9]
	v_add_f64 v[26:27], v[26:27], v[22:23]
	v_add_f64 v[28:29], v[28:29], v[24:25]
	ds_load_b128 v[2:5], v1 offset:1440
	ds_load_b128 v[22:25], v1 offset:1456
	s_waitcnt vmcnt(1) lgkmcnt(1)
	v_mul_f64 v[36:37], v[2:3], v[12:13]
	v_mul_f64 v[12:13], v[4:5], v[12:13]
	v_add_f64 v[8:9], v[26:27], v[34:35]
	v_add_f64 v[18:19], v[28:29], v[32:33]
	s_waitcnt vmcnt(0) lgkmcnt(0)
	v_mul_f64 v[26:27], v[22:23], v[16:17]
	v_mul_f64 v[16:17], v[24:25], v[16:17]
	v_fma_f64 v[4:5], v[4:5], v[10:11], v[36:37]
	v_fma_f64 v[1:2], v[2:3], v[10:11], -v[12:13]
	v_add_f64 v[6:7], v[8:9], v[6:7]
	v_add_f64 v[8:9], v[18:19], v[20:21]
	v_fma_f64 v[10:11], v[24:25], v[14:15], v[26:27]
	v_fma_f64 v[12:13], v[22:23], v[14:15], -v[16:17]
	s_delay_alu instid0(VALU_DEP_4) | instskip(NEXT) | instid1(VALU_DEP_4)
	v_add_f64 v[1:2], v[6:7], v[1:2]
	v_add_f64 v[3:4], v[8:9], v[4:5]
	s_delay_alu instid0(VALU_DEP_2) | instskip(NEXT) | instid1(VALU_DEP_2)
	v_add_f64 v[1:2], v[1:2], v[12:13]
	v_add_f64 v[3:4], v[3:4], v[10:11]
	s_delay_alu instid0(VALU_DEP_2) | instskip(NEXT) | instid1(VALU_DEP_2)
	v_add_f64 v[1:2], v[185:186], -v[1:2]
	v_add_f64 v[3:4], v[187:188], -v[3:4]
	scratch_store_b128 off, v[1:4], off offset:176
	v_cmpx_lt_u32_e32 10, v138
	s_cbranch_execz .LBB109_269
; %bb.268:
	scratch_load_b128 v[1:4], v174, off
	v_mov_b32_e32 v5, 0
	s_delay_alu instid0(VALU_DEP_1)
	v_mov_b32_e32 v6, v5
	v_mov_b32_e32 v7, v5
	;; [unrolled: 1-line block ×3, first 2 shown]
	scratch_store_b128 off, v[5:8], off offset:160
	s_waitcnt vmcnt(0)
	ds_store_b128 v184, v[1:4]
.LBB109_269:
	s_or_b32 exec_lo, exec_lo, s2
	s_waitcnt lgkmcnt(0)
	s_waitcnt_vscnt null, 0x0
	s_barrier
	buffer_gl0_inv
	s_clause 0x7
	scratch_load_b128 v[2:5], off, off offset:176
	scratch_load_b128 v[6:9], off, off offset:192
	;; [unrolled: 1-line block ×8, first 2 shown]
	v_mov_b32_e32 v1, 0
	s_mov_b32 s2, exec_lo
	ds_load_b128 v[38:41], v1 offset:912
	s_clause 0x1
	scratch_load_b128 v[34:37], off, off offset:304
	scratch_load_b128 v[42:45], off, off offset:160
	ds_load_b128 v[185:188], v1 offset:928
	scratch_load_b128 v[189:192], off, off offset:320
	s_waitcnt vmcnt(10) lgkmcnt(1)
	v_mul_f64 v[193:194], v[40:41], v[4:5]
	v_mul_f64 v[4:5], v[38:39], v[4:5]
	s_delay_alu instid0(VALU_DEP_2) | instskip(NEXT) | instid1(VALU_DEP_2)
	v_fma_f64 v[199:200], v[38:39], v[2:3], -v[193:194]
	v_fma_f64 v[201:202], v[40:41], v[2:3], v[4:5]
	scratch_load_b128 v[38:41], off, off offset:336
	ds_load_b128 v[2:5], v1 offset:944
	s_waitcnt vmcnt(10) lgkmcnt(1)
	v_mul_f64 v[197:198], v[185:186], v[8:9]
	v_mul_f64 v[8:9], v[187:188], v[8:9]
	ds_load_b128 v[193:196], v1 offset:960
	s_waitcnt vmcnt(9) lgkmcnt(1)
	v_mul_f64 v[203:204], v[2:3], v[12:13]
	v_mul_f64 v[12:13], v[4:5], v[12:13]
	v_fma_f64 v[187:188], v[187:188], v[6:7], v[197:198]
	v_fma_f64 v[185:186], v[185:186], v[6:7], -v[8:9]
	v_add_f64 v[197:198], v[199:200], 0
	v_add_f64 v[199:200], v[201:202], 0
	scratch_load_b128 v[6:9], off, off offset:352
	v_fma_f64 v[203:204], v[4:5], v[10:11], v[203:204]
	v_fma_f64 v[205:206], v[2:3], v[10:11], -v[12:13]
	scratch_load_b128 v[10:13], off, off offset:368
	ds_load_b128 v[2:5], v1 offset:976
	s_waitcnt vmcnt(10) lgkmcnt(1)
	v_mul_f64 v[201:202], v[193:194], v[16:17]
	v_mul_f64 v[16:17], v[195:196], v[16:17]
	v_add_f64 v[197:198], v[197:198], v[185:186]
	v_add_f64 v[199:200], v[199:200], v[187:188]
	s_waitcnt vmcnt(9) lgkmcnt(0)
	v_mul_f64 v[207:208], v[2:3], v[20:21]
	v_mul_f64 v[20:21], v[4:5], v[20:21]
	ds_load_b128 v[185:188], v1 offset:992
	v_fma_f64 v[195:196], v[195:196], v[14:15], v[201:202]
	v_fma_f64 v[193:194], v[193:194], v[14:15], -v[16:17]
	scratch_load_b128 v[14:17], off, off offset:384
	v_add_f64 v[197:198], v[197:198], v[205:206]
	v_add_f64 v[199:200], v[199:200], v[203:204]
	v_fma_f64 v[203:204], v[4:5], v[18:19], v[207:208]
	v_fma_f64 v[205:206], v[2:3], v[18:19], -v[20:21]
	scratch_load_b128 v[18:21], off, off offset:400
	ds_load_b128 v[2:5], v1 offset:1008
	s_waitcnt vmcnt(10) lgkmcnt(1)
	v_mul_f64 v[201:202], v[185:186], v[24:25]
	v_mul_f64 v[24:25], v[187:188], v[24:25]
	s_waitcnt vmcnt(9) lgkmcnt(0)
	v_mul_f64 v[207:208], v[2:3], v[28:29]
	v_mul_f64 v[28:29], v[4:5], v[28:29]
	v_add_f64 v[197:198], v[197:198], v[193:194]
	v_add_f64 v[199:200], v[199:200], v[195:196]
	ds_load_b128 v[193:196], v1 offset:1024
	v_fma_f64 v[187:188], v[187:188], v[22:23], v[201:202]
	v_fma_f64 v[185:186], v[185:186], v[22:23], -v[24:25]
	scratch_load_b128 v[22:25], off, off offset:416
	v_add_f64 v[197:198], v[197:198], v[205:206]
	v_add_f64 v[199:200], v[199:200], v[203:204]
	v_fma_f64 v[203:204], v[4:5], v[26:27], v[207:208]
	v_fma_f64 v[205:206], v[2:3], v[26:27], -v[28:29]
	scratch_load_b128 v[26:29], off, off offset:432
	ds_load_b128 v[2:5], v1 offset:1040
	s_waitcnt vmcnt(10) lgkmcnt(1)
	v_mul_f64 v[201:202], v[193:194], v[32:33]
	v_mul_f64 v[32:33], v[195:196], v[32:33]
	s_waitcnt vmcnt(9) lgkmcnt(0)
	v_mul_f64 v[207:208], v[2:3], v[36:37]
	v_mul_f64 v[36:37], v[4:5], v[36:37]
	v_add_f64 v[197:198], v[197:198], v[185:186]
	v_add_f64 v[199:200], v[199:200], v[187:188]
	ds_load_b128 v[185:188], v1 offset:1056
	v_fma_f64 v[195:196], v[195:196], v[30:31], v[201:202]
	v_fma_f64 v[193:194], v[193:194], v[30:31], -v[32:33]
	scratch_load_b128 v[30:33], off, off offset:448
	v_add_f64 v[197:198], v[197:198], v[205:206]
	v_add_f64 v[199:200], v[199:200], v[203:204]
	v_fma_f64 v[205:206], v[4:5], v[34:35], v[207:208]
	v_fma_f64 v[207:208], v[2:3], v[34:35], -v[36:37]
	scratch_load_b128 v[34:37], off, off offset:464
	ds_load_b128 v[2:5], v1 offset:1072
	s_waitcnt vmcnt(9) lgkmcnt(1)
	v_mul_f64 v[201:202], v[185:186], v[191:192]
	v_mul_f64 v[203:204], v[187:188], v[191:192]
	v_add_f64 v[197:198], v[197:198], v[193:194]
	v_add_f64 v[195:196], v[199:200], v[195:196]
	ds_load_b128 v[191:194], v1 offset:1088
	v_fma_f64 v[201:202], v[187:188], v[189:190], v[201:202]
	v_fma_f64 v[189:190], v[185:186], v[189:190], -v[203:204]
	scratch_load_b128 v[185:188], off, off offset:480
	s_waitcnt vmcnt(9) lgkmcnt(1)
	v_mul_f64 v[199:200], v[2:3], v[40:41]
	v_mul_f64 v[40:41], v[4:5], v[40:41]
	v_add_f64 v[197:198], v[197:198], v[207:208]
	v_add_f64 v[195:196], v[195:196], v[205:206]
	s_delay_alu instid0(VALU_DEP_4) | instskip(NEXT) | instid1(VALU_DEP_4)
	v_fma_f64 v[199:200], v[4:5], v[38:39], v[199:200]
	v_fma_f64 v[205:206], v[2:3], v[38:39], -v[40:41]
	scratch_load_b128 v[38:41], off, off offset:496
	ds_load_b128 v[2:5], v1 offset:1104
	s_waitcnt vmcnt(9) lgkmcnt(1)
	v_mul_f64 v[203:204], v[191:192], v[8:9]
	v_mul_f64 v[8:9], v[193:194], v[8:9]
	s_waitcnt vmcnt(8) lgkmcnt(0)
	v_mul_f64 v[207:208], v[2:3], v[12:13]
	v_mul_f64 v[12:13], v[4:5], v[12:13]
	v_add_f64 v[189:190], v[197:198], v[189:190]
	v_add_f64 v[201:202], v[195:196], v[201:202]
	ds_load_b128 v[195:198], v1 offset:1120
	v_fma_f64 v[193:194], v[193:194], v[6:7], v[203:204]
	v_fma_f64 v[191:192], v[191:192], v[6:7], -v[8:9]
	scratch_load_b128 v[6:9], off, off offset:512
	v_fma_f64 v[203:204], v[4:5], v[10:11], v[207:208]
	v_add_f64 v[189:190], v[189:190], v[205:206]
	v_add_f64 v[199:200], v[201:202], v[199:200]
	v_fma_f64 v[205:206], v[2:3], v[10:11], -v[12:13]
	scratch_load_b128 v[10:13], off, off offset:528
	ds_load_b128 v[2:5], v1 offset:1136
	s_waitcnt vmcnt(9) lgkmcnt(1)
	v_mul_f64 v[201:202], v[195:196], v[16:17]
	v_mul_f64 v[16:17], v[197:198], v[16:17]
	v_add_f64 v[207:208], v[189:190], v[191:192]
	v_add_f64 v[193:194], v[199:200], v[193:194]
	s_waitcnt vmcnt(8) lgkmcnt(0)
	v_mul_f64 v[199:200], v[2:3], v[20:21]
	v_mul_f64 v[20:21], v[4:5], v[20:21]
	ds_load_b128 v[189:192], v1 offset:1152
	v_fma_f64 v[197:198], v[197:198], v[14:15], v[201:202]
	v_fma_f64 v[195:196], v[195:196], v[14:15], -v[16:17]
	scratch_load_b128 v[14:17], off, off offset:544
	v_add_f64 v[201:202], v[207:208], v[205:206]
	v_add_f64 v[193:194], v[193:194], v[203:204]
	v_fma_f64 v[199:200], v[4:5], v[18:19], v[199:200]
	v_fma_f64 v[205:206], v[2:3], v[18:19], -v[20:21]
	scratch_load_b128 v[18:21], off, off offset:560
	ds_load_b128 v[2:5], v1 offset:1168
	s_waitcnt vmcnt(9) lgkmcnt(1)
	v_mul_f64 v[203:204], v[189:190], v[24:25]
	v_mul_f64 v[24:25], v[191:192], v[24:25]
	s_waitcnt vmcnt(8) lgkmcnt(0)
	v_mul_f64 v[207:208], v[2:3], v[28:29]
	v_mul_f64 v[28:29], v[4:5], v[28:29]
	v_add_f64 v[201:202], v[201:202], v[195:196]
	v_add_f64 v[197:198], v[193:194], v[197:198]
	ds_load_b128 v[193:196], v1 offset:1184
	v_fma_f64 v[191:192], v[191:192], v[22:23], v[203:204]
	v_fma_f64 v[189:190], v[189:190], v[22:23], -v[24:25]
	scratch_load_b128 v[22:25], off, off offset:576
	v_fma_f64 v[203:204], v[4:5], v[26:27], v[207:208]
	v_add_f64 v[201:202], v[201:202], v[205:206]
	v_add_f64 v[197:198], v[197:198], v[199:200]
	v_fma_f64 v[205:206], v[2:3], v[26:27], -v[28:29]
	scratch_load_b128 v[26:29], off, off offset:592
	ds_load_b128 v[2:5], v1 offset:1200
	s_waitcnt vmcnt(9) lgkmcnt(1)
	v_mul_f64 v[199:200], v[193:194], v[32:33]
	v_mul_f64 v[32:33], v[195:196], v[32:33]
	s_waitcnt vmcnt(8) lgkmcnt(0)
	v_mul_f64 v[207:208], v[2:3], v[36:37]
	v_mul_f64 v[36:37], v[4:5], v[36:37]
	v_add_f64 v[201:202], v[201:202], v[189:190]
	v_add_f64 v[197:198], v[197:198], v[191:192]
	ds_load_b128 v[189:192], v1 offset:1216
	v_fma_f64 v[195:196], v[195:196], v[30:31], v[199:200]
	v_fma_f64 v[193:194], v[193:194], v[30:31], -v[32:33]
	scratch_load_b128 v[30:33], off, off offset:608
	v_add_f64 v[199:200], v[201:202], v[205:206]
	v_add_f64 v[197:198], v[197:198], v[203:204]
	v_fma_f64 v[203:204], v[4:5], v[34:35], v[207:208]
	v_fma_f64 v[205:206], v[2:3], v[34:35], -v[36:37]
	scratch_load_b128 v[34:37], off, off offset:624
	ds_load_b128 v[2:5], v1 offset:1232
	s_waitcnt vmcnt(9) lgkmcnt(1)
	v_mul_f64 v[201:202], v[189:190], v[187:188]
	v_mul_f64 v[187:188], v[191:192], v[187:188]
	s_waitcnt vmcnt(8) lgkmcnt(0)
	v_mul_f64 v[207:208], v[2:3], v[40:41]
	v_mul_f64 v[40:41], v[4:5], v[40:41]
	v_add_f64 v[199:200], v[199:200], v[193:194]
	v_add_f64 v[197:198], v[197:198], v[195:196]
	ds_load_b128 v[193:196], v1 offset:1248
	v_fma_f64 v[191:192], v[191:192], v[185:186], v[201:202]
	v_fma_f64 v[189:190], v[189:190], v[185:186], -v[187:188]
	scratch_load_b128 v[185:188], off, off offset:640
	v_add_f64 v[199:200], v[199:200], v[205:206]
	v_add_f64 v[197:198], v[197:198], v[203:204]
	v_fma_f64 v[203:204], v[4:5], v[38:39], v[207:208]
	;; [unrolled: 18-line block ×4, first 2 shown]
	v_fma_f64 v[205:206], v[2:3], v[18:19], -v[20:21]
	scratch_load_b128 v[18:21], off, off offset:720
	ds_load_b128 v[2:5], v1 offset:1328
	s_waitcnt vmcnt(9) lgkmcnt(1)
	v_mul_f64 v[201:202], v[193:194], v[24:25]
	v_mul_f64 v[24:25], v[195:196], v[24:25]
	s_waitcnt vmcnt(8) lgkmcnt(0)
	v_mul_f64 v[207:208], v[2:3], v[28:29]
	v_mul_f64 v[28:29], v[4:5], v[28:29]
	v_add_f64 v[199:200], v[199:200], v[189:190]
	v_add_f64 v[197:198], v[197:198], v[191:192]
	ds_load_b128 v[189:192], v1 offset:1344
	v_fma_f64 v[195:196], v[195:196], v[22:23], v[201:202]
	v_fma_f64 v[22:23], v[193:194], v[22:23], -v[24:25]
	v_add_f64 v[24:25], v[199:200], v[205:206]
	v_add_f64 v[193:194], v[197:198], v[203:204]
	s_waitcnt vmcnt(7) lgkmcnt(0)
	v_mul_f64 v[197:198], v[189:190], v[32:33]
	v_mul_f64 v[32:33], v[191:192], v[32:33]
	v_fma_f64 v[199:200], v[4:5], v[26:27], v[207:208]
	v_fma_f64 v[26:27], v[2:3], v[26:27], -v[28:29]
	v_add_f64 v[28:29], v[24:25], v[22:23]
	v_add_f64 v[193:194], v[193:194], v[195:196]
	ds_load_b128 v[2:5], v1 offset:1360
	ds_load_b128 v[22:25], v1 offset:1376
	v_fma_f64 v[191:192], v[191:192], v[30:31], v[197:198]
	v_fma_f64 v[30:31], v[189:190], v[30:31], -v[32:33]
	s_waitcnt vmcnt(6) lgkmcnt(1)
	v_mul_f64 v[195:196], v[2:3], v[36:37]
	v_mul_f64 v[36:37], v[4:5], v[36:37]
	s_waitcnt vmcnt(5) lgkmcnt(0)
	v_mul_f64 v[32:33], v[22:23], v[187:188]
	v_mul_f64 v[187:188], v[24:25], v[187:188]
	v_add_f64 v[26:27], v[28:29], v[26:27]
	v_add_f64 v[28:29], v[193:194], v[199:200]
	v_fma_f64 v[189:190], v[4:5], v[34:35], v[195:196]
	v_fma_f64 v[34:35], v[2:3], v[34:35], -v[36:37]
	v_fma_f64 v[24:25], v[24:25], v[185:186], v[32:33]
	v_fma_f64 v[22:23], v[22:23], v[185:186], -v[187:188]
	v_add_f64 v[30:31], v[26:27], v[30:31]
	v_add_f64 v[36:37], v[28:29], v[191:192]
	ds_load_b128 v[2:5], v1 offset:1392
	ds_load_b128 v[26:29], v1 offset:1408
	s_waitcnt vmcnt(4) lgkmcnt(1)
	v_mul_f64 v[191:192], v[2:3], v[40:41]
	v_mul_f64 v[40:41], v[4:5], v[40:41]
	v_add_f64 v[30:31], v[30:31], v[34:35]
	v_add_f64 v[32:33], v[36:37], v[189:190]
	s_waitcnt vmcnt(3) lgkmcnt(0)
	v_mul_f64 v[34:35], v[26:27], v[8:9]
	v_mul_f64 v[8:9], v[28:29], v[8:9]
	v_fma_f64 v[36:37], v[4:5], v[38:39], v[191:192]
	v_fma_f64 v[38:39], v[2:3], v[38:39], -v[40:41]
	v_add_f64 v[30:31], v[30:31], v[22:23]
	v_add_f64 v[32:33], v[32:33], v[24:25]
	ds_load_b128 v[2:5], v1 offset:1424
	ds_load_b128 v[22:25], v1 offset:1440
	v_fma_f64 v[28:29], v[28:29], v[6:7], v[34:35]
	v_fma_f64 v[6:7], v[26:27], v[6:7], -v[8:9]
	s_waitcnt vmcnt(2) lgkmcnt(1)
	v_mul_f64 v[40:41], v[2:3], v[12:13]
	v_mul_f64 v[12:13], v[4:5], v[12:13]
	v_add_f64 v[8:9], v[30:31], v[38:39]
	v_add_f64 v[26:27], v[32:33], v[36:37]
	s_waitcnt vmcnt(1) lgkmcnt(0)
	v_mul_f64 v[30:31], v[22:23], v[16:17]
	v_mul_f64 v[16:17], v[24:25], v[16:17]
	v_fma_f64 v[32:33], v[4:5], v[10:11], v[40:41]
	v_fma_f64 v[10:11], v[2:3], v[10:11], -v[12:13]
	ds_load_b128 v[2:5], v1 offset:1456
	v_add_f64 v[6:7], v[8:9], v[6:7]
	v_add_f64 v[8:9], v[26:27], v[28:29]
	v_fma_f64 v[24:25], v[24:25], v[14:15], v[30:31]
	v_fma_f64 v[14:15], v[22:23], v[14:15], -v[16:17]
	s_waitcnt vmcnt(0) lgkmcnt(0)
	v_mul_f64 v[12:13], v[2:3], v[20:21]
	v_mul_f64 v[20:21], v[4:5], v[20:21]
	v_add_f64 v[6:7], v[6:7], v[10:11]
	v_add_f64 v[8:9], v[8:9], v[32:33]
	s_delay_alu instid0(VALU_DEP_4) | instskip(NEXT) | instid1(VALU_DEP_4)
	v_fma_f64 v[4:5], v[4:5], v[18:19], v[12:13]
	v_fma_f64 v[2:3], v[2:3], v[18:19], -v[20:21]
	s_delay_alu instid0(VALU_DEP_4) | instskip(NEXT) | instid1(VALU_DEP_4)
	v_add_f64 v[6:7], v[6:7], v[14:15]
	v_add_f64 v[8:9], v[8:9], v[24:25]
	s_delay_alu instid0(VALU_DEP_2) | instskip(NEXT) | instid1(VALU_DEP_2)
	v_add_f64 v[2:3], v[6:7], v[2:3]
	v_add_f64 v[4:5], v[8:9], v[4:5]
	s_delay_alu instid0(VALU_DEP_2) | instskip(NEXT) | instid1(VALU_DEP_2)
	v_add_f64 v[2:3], v[42:43], -v[2:3]
	v_add_f64 v[4:5], v[44:45], -v[4:5]
	scratch_store_b128 off, v[2:5], off offset:160
	v_cmpx_lt_u32_e32 9, v138
	s_cbranch_execz .LBB109_271
; %bb.270:
	scratch_load_b128 v[5:8], v175, off
	v_mov_b32_e32 v2, v1
	v_mov_b32_e32 v3, v1
	;; [unrolled: 1-line block ×3, first 2 shown]
	scratch_store_b128 off, v[1:4], off offset:144
	s_waitcnt vmcnt(0)
	ds_store_b128 v184, v[5:8]
.LBB109_271:
	s_or_b32 exec_lo, exec_lo, s2
	s_waitcnt lgkmcnt(0)
	s_waitcnt_vscnt null, 0x0
	s_barrier
	buffer_gl0_inv
	s_clause 0x8
	scratch_load_b128 v[2:5], off, off offset:160
	scratch_load_b128 v[6:9], off, off offset:176
	scratch_load_b128 v[10:13], off, off offset:192
	scratch_load_b128 v[14:17], off, off offset:208
	scratch_load_b128 v[18:21], off, off offset:224
	scratch_load_b128 v[22:25], off, off offset:240
	scratch_load_b128 v[26:29], off, off offset:256
	scratch_load_b128 v[30:33], off, off offset:272
	scratch_load_b128 v[34:37], off, off offset:288
	ds_load_b128 v[42:45], v1 offset:896
	ds_load_b128 v[38:41], v1 offset:912
	s_clause 0x1
	scratch_load_b128 v[185:188], off, off offset:144
	scratch_load_b128 v[189:192], off, off offset:304
	s_mov_b32 s2, exec_lo
	s_waitcnt vmcnt(10) lgkmcnt(1)
	v_mul_f64 v[193:194], v[44:45], v[4:5]
	v_mul_f64 v[4:5], v[42:43], v[4:5]
	s_waitcnt vmcnt(9) lgkmcnt(0)
	v_mul_f64 v[197:198], v[38:39], v[8:9]
	v_mul_f64 v[8:9], v[40:41], v[8:9]
	s_delay_alu instid0(VALU_DEP_4) | instskip(NEXT) | instid1(VALU_DEP_4)
	v_fma_f64 v[199:200], v[42:43], v[2:3], -v[193:194]
	v_fma_f64 v[201:202], v[44:45], v[2:3], v[4:5]
	ds_load_b128 v[2:5], v1 offset:928
	ds_load_b128 v[193:196], v1 offset:944
	scratch_load_b128 v[42:45], off, off offset:320
	v_fma_f64 v[40:41], v[40:41], v[6:7], v[197:198]
	v_fma_f64 v[38:39], v[38:39], v[6:7], -v[8:9]
	scratch_load_b128 v[6:9], off, off offset:336
	s_waitcnt vmcnt(10) lgkmcnt(1)
	v_mul_f64 v[203:204], v[2:3], v[12:13]
	v_mul_f64 v[12:13], v[4:5], v[12:13]
	v_add_f64 v[197:198], v[199:200], 0
	v_add_f64 v[199:200], v[201:202], 0
	s_waitcnt vmcnt(9) lgkmcnt(0)
	v_mul_f64 v[201:202], v[193:194], v[16:17]
	v_mul_f64 v[16:17], v[195:196], v[16:17]
	v_fma_f64 v[203:204], v[4:5], v[10:11], v[203:204]
	v_fma_f64 v[205:206], v[2:3], v[10:11], -v[12:13]
	ds_load_b128 v[2:5], v1 offset:960
	scratch_load_b128 v[10:13], off, off offset:352
	v_add_f64 v[197:198], v[197:198], v[38:39]
	v_add_f64 v[199:200], v[199:200], v[40:41]
	ds_load_b128 v[38:41], v1 offset:976
	v_fma_f64 v[195:196], v[195:196], v[14:15], v[201:202]
	v_fma_f64 v[193:194], v[193:194], v[14:15], -v[16:17]
	scratch_load_b128 v[14:17], off, off offset:368
	s_waitcnt vmcnt(10) lgkmcnt(1)
	v_mul_f64 v[207:208], v[2:3], v[20:21]
	v_mul_f64 v[20:21], v[4:5], v[20:21]
	s_waitcnt vmcnt(9) lgkmcnt(0)
	v_mul_f64 v[201:202], v[38:39], v[24:25]
	v_mul_f64 v[24:25], v[40:41], v[24:25]
	v_add_f64 v[197:198], v[197:198], v[205:206]
	v_add_f64 v[199:200], v[199:200], v[203:204]
	v_fma_f64 v[203:204], v[4:5], v[18:19], v[207:208]
	v_fma_f64 v[205:206], v[2:3], v[18:19], -v[20:21]
	ds_load_b128 v[2:5], v1 offset:992
	scratch_load_b128 v[18:21], off, off offset:384
	v_fma_f64 v[40:41], v[40:41], v[22:23], v[201:202]
	v_fma_f64 v[38:39], v[38:39], v[22:23], -v[24:25]
	scratch_load_b128 v[22:25], off, off offset:400
	v_add_f64 v[197:198], v[197:198], v[193:194]
	v_add_f64 v[199:200], v[199:200], v[195:196]
	ds_load_b128 v[193:196], v1 offset:1008
	s_waitcnt vmcnt(10) lgkmcnt(1)
	v_mul_f64 v[207:208], v[2:3], v[28:29]
	v_mul_f64 v[28:29], v[4:5], v[28:29]
	s_waitcnt vmcnt(9) lgkmcnt(0)
	v_mul_f64 v[201:202], v[193:194], v[32:33]
	v_mul_f64 v[32:33], v[195:196], v[32:33]
	v_add_f64 v[197:198], v[197:198], v[205:206]
	v_add_f64 v[199:200], v[199:200], v[203:204]
	v_fma_f64 v[203:204], v[4:5], v[26:27], v[207:208]
	v_fma_f64 v[205:206], v[2:3], v[26:27], -v[28:29]
	ds_load_b128 v[2:5], v1 offset:1024
	scratch_load_b128 v[26:29], off, off offset:416
	v_fma_f64 v[195:196], v[195:196], v[30:31], v[201:202]
	v_fma_f64 v[193:194], v[193:194], v[30:31], -v[32:33]
	scratch_load_b128 v[30:33], off, off offset:432
	v_add_f64 v[197:198], v[197:198], v[38:39]
	v_add_f64 v[199:200], v[199:200], v[40:41]
	ds_load_b128 v[38:41], v1 offset:1040
	s_waitcnt vmcnt(10) lgkmcnt(1)
	v_mul_f64 v[207:208], v[2:3], v[36:37]
	v_mul_f64 v[36:37], v[4:5], v[36:37]
	s_waitcnt vmcnt(8) lgkmcnt(0)
	v_mul_f64 v[201:202], v[38:39], v[191:192]
	v_add_f64 v[197:198], v[197:198], v[205:206]
	v_add_f64 v[199:200], v[199:200], v[203:204]
	v_mul_f64 v[203:204], v[40:41], v[191:192]
	v_fma_f64 v[205:206], v[4:5], v[34:35], v[207:208]
	v_fma_f64 v[207:208], v[2:3], v[34:35], -v[36:37]
	ds_load_b128 v[2:5], v1 offset:1056
	scratch_load_b128 v[34:37], off, off offset:448
	v_fma_f64 v[201:202], v[40:41], v[189:190], v[201:202]
	v_add_f64 v[197:198], v[197:198], v[193:194]
	v_add_f64 v[195:196], v[199:200], v[195:196]
	ds_load_b128 v[191:194], v1 offset:1072
	v_fma_f64 v[189:190], v[38:39], v[189:190], -v[203:204]
	scratch_load_b128 v[38:41], off, off offset:464
	s_waitcnt vmcnt(9) lgkmcnt(1)
	v_mul_f64 v[199:200], v[2:3], v[44:45]
	v_mul_f64 v[44:45], v[4:5], v[44:45]
	s_waitcnt vmcnt(8) lgkmcnt(0)
	v_mul_f64 v[203:204], v[191:192], v[8:9]
	v_mul_f64 v[8:9], v[193:194], v[8:9]
	v_add_f64 v[197:198], v[197:198], v[207:208]
	v_add_f64 v[195:196], v[195:196], v[205:206]
	v_fma_f64 v[199:200], v[4:5], v[42:43], v[199:200]
	v_fma_f64 v[205:206], v[2:3], v[42:43], -v[44:45]
	ds_load_b128 v[2:5], v1 offset:1088
	scratch_load_b128 v[42:45], off, off offset:480
	v_fma_f64 v[193:194], v[193:194], v[6:7], v[203:204]
	v_fma_f64 v[191:192], v[191:192], v[6:7], -v[8:9]
	scratch_load_b128 v[6:9], off, off offset:496
	v_add_f64 v[189:190], v[197:198], v[189:190]
	v_add_f64 v[201:202], v[195:196], v[201:202]
	ds_load_b128 v[195:198], v1 offset:1104
	s_waitcnt vmcnt(9) lgkmcnt(1)
	v_mul_f64 v[207:208], v[2:3], v[12:13]
	v_mul_f64 v[12:13], v[4:5], v[12:13]
	v_add_f64 v[189:190], v[189:190], v[205:206]
	v_add_f64 v[199:200], v[201:202], v[199:200]
	s_waitcnt vmcnt(8) lgkmcnt(0)
	v_mul_f64 v[201:202], v[195:196], v[16:17]
	v_mul_f64 v[16:17], v[197:198], v[16:17]
	v_fma_f64 v[203:204], v[4:5], v[10:11], v[207:208]
	v_fma_f64 v[205:206], v[2:3], v[10:11], -v[12:13]
	ds_load_b128 v[2:5], v1 offset:1120
	scratch_load_b128 v[10:13], off, off offset:512
	v_add_f64 v[207:208], v[189:190], v[191:192]
	v_add_f64 v[193:194], v[199:200], v[193:194]
	ds_load_b128 v[189:192], v1 offset:1136
	s_waitcnt vmcnt(8) lgkmcnt(1)
	v_mul_f64 v[199:200], v[2:3], v[20:21]
	v_mul_f64 v[20:21], v[4:5], v[20:21]
	v_fma_f64 v[197:198], v[197:198], v[14:15], v[201:202]
	v_fma_f64 v[195:196], v[195:196], v[14:15], -v[16:17]
	scratch_load_b128 v[14:17], off, off offset:528
	v_add_f64 v[201:202], v[207:208], v[205:206]
	v_add_f64 v[193:194], v[193:194], v[203:204]
	s_waitcnt vmcnt(8) lgkmcnt(0)
	v_mul_f64 v[203:204], v[189:190], v[24:25]
	v_mul_f64 v[24:25], v[191:192], v[24:25]
	v_fma_f64 v[199:200], v[4:5], v[18:19], v[199:200]
	v_fma_f64 v[205:206], v[2:3], v[18:19], -v[20:21]
	ds_load_b128 v[2:5], v1 offset:1152
	scratch_load_b128 v[18:21], off, off offset:544
	v_add_f64 v[201:202], v[201:202], v[195:196]
	v_add_f64 v[197:198], v[193:194], v[197:198]
	ds_load_b128 v[193:196], v1 offset:1168
	s_waitcnt vmcnt(8) lgkmcnt(1)
	v_mul_f64 v[207:208], v[2:3], v[28:29]
	v_mul_f64 v[28:29], v[4:5], v[28:29]
	v_fma_f64 v[191:192], v[191:192], v[22:23], v[203:204]
	v_fma_f64 v[189:190], v[189:190], v[22:23], -v[24:25]
	scratch_load_b128 v[22:25], off, off offset:560
	;; [unrolled: 18-line block ×4, first 2 shown]
	s_waitcnt vmcnt(8) lgkmcnt(0)
	v_mul_f64 v[201:202], v[193:194], v[8:9]
	v_mul_f64 v[8:9], v[195:196], v[8:9]
	v_add_f64 v[199:200], v[199:200], v[205:206]
	v_add_f64 v[197:198], v[197:198], v[203:204]
	v_fma_f64 v[203:204], v[4:5], v[42:43], v[207:208]
	v_fma_f64 v[205:206], v[2:3], v[42:43], -v[44:45]
	ds_load_b128 v[2:5], v1 offset:1248
	scratch_load_b128 v[42:45], off, off offset:640
	v_fma_f64 v[195:196], v[195:196], v[6:7], v[201:202]
	v_fma_f64 v[193:194], v[193:194], v[6:7], -v[8:9]
	scratch_load_b128 v[6:9], off, off offset:656
	v_add_f64 v[199:200], v[199:200], v[189:190]
	v_add_f64 v[197:198], v[197:198], v[191:192]
	ds_load_b128 v[189:192], v1 offset:1264
	s_waitcnt vmcnt(9) lgkmcnt(1)
	v_mul_f64 v[207:208], v[2:3], v[12:13]
	v_mul_f64 v[12:13], v[4:5], v[12:13]
	s_waitcnt vmcnt(8) lgkmcnt(0)
	v_mul_f64 v[201:202], v[189:190], v[16:17]
	v_mul_f64 v[16:17], v[191:192], v[16:17]
	v_add_f64 v[199:200], v[199:200], v[205:206]
	v_add_f64 v[197:198], v[197:198], v[203:204]
	v_fma_f64 v[203:204], v[4:5], v[10:11], v[207:208]
	v_fma_f64 v[205:206], v[2:3], v[10:11], -v[12:13]
	ds_load_b128 v[2:5], v1 offset:1280
	scratch_load_b128 v[10:13], off, off offset:672
	v_fma_f64 v[191:192], v[191:192], v[14:15], v[201:202]
	v_fma_f64 v[189:190], v[189:190], v[14:15], -v[16:17]
	scratch_load_b128 v[14:17], off, off offset:688
	v_add_f64 v[199:200], v[199:200], v[193:194]
	v_add_f64 v[197:198], v[197:198], v[195:196]
	ds_load_b128 v[193:196], v1 offset:1296
	s_waitcnt vmcnt(9) lgkmcnt(1)
	v_mul_f64 v[207:208], v[2:3], v[20:21]
	v_mul_f64 v[20:21], v[4:5], v[20:21]
	s_waitcnt vmcnt(8) lgkmcnt(0)
	v_mul_f64 v[201:202], v[193:194], v[24:25]
	v_mul_f64 v[24:25], v[195:196], v[24:25]
	v_add_f64 v[199:200], v[199:200], v[205:206]
	v_add_f64 v[197:198], v[197:198], v[203:204]
	v_fma_f64 v[203:204], v[4:5], v[18:19], v[207:208]
	v_fma_f64 v[205:206], v[2:3], v[18:19], -v[20:21]
	ds_load_b128 v[2:5], v1 offset:1312
	scratch_load_b128 v[18:21], off, off offset:704
	v_fma_f64 v[195:196], v[195:196], v[22:23], v[201:202]
	v_fma_f64 v[193:194], v[193:194], v[22:23], -v[24:25]
	scratch_load_b128 v[22:25], off, off offset:720
	v_add_f64 v[199:200], v[199:200], v[189:190]
	v_add_f64 v[197:198], v[197:198], v[191:192]
	ds_load_b128 v[189:192], v1 offset:1328
	s_waitcnt vmcnt(9) lgkmcnt(1)
	v_mul_f64 v[207:208], v[2:3], v[28:29]
	v_mul_f64 v[28:29], v[4:5], v[28:29]
	s_waitcnt vmcnt(8) lgkmcnt(0)
	v_mul_f64 v[201:202], v[189:190], v[32:33]
	v_mul_f64 v[32:33], v[191:192], v[32:33]
	v_add_f64 v[199:200], v[199:200], v[205:206]
	v_add_f64 v[197:198], v[197:198], v[203:204]
	v_fma_f64 v[203:204], v[4:5], v[26:27], v[207:208]
	v_fma_f64 v[205:206], v[2:3], v[26:27], -v[28:29]
	ds_load_b128 v[2:5], v1 offset:1344
	ds_load_b128 v[26:29], v1 offset:1360
	v_fma_f64 v[191:192], v[191:192], v[30:31], v[201:202]
	v_fma_f64 v[30:31], v[189:190], v[30:31], -v[32:33]
	v_add_f64 v[193:194], v[199:200], v[193:194]
	v_add_f64 v[195:196], v[197:198], v[195:196]
	s_waitcnt vmcnt(7) lgkmcnt(1)
	v_mul_f64 v[197:198], v[2:3], v[36:37]
	v_mul_f64 v[36:37], v[4:5], v[36:37]
	s_delay_alu instid0(VALU_DEP_4) | instskip(NEXT) | instid1(VALU_DEP_4)
	v_add_f64 v[32:33], v[193:194], v[205:206]
	v_add_f64 v[189:190], v[195:196], v[203:204]
	s_waitcnt vmcnt(6) lgkmcnt(0)
	v_mul_f64 v[193:194], v[26:27], v[40:41]
	v_mul_f64 v[40:41], v[28:29], v[40:41]
	v_fma_f64 v[195:196], v[4:5], v[34:35], v[197:198]
	v_fma_f64 v[34:35], v[2:3], v[34:35], -v[36:37]
	v_add_f64 v[36:37], v[32:33], v[30:31]
	v_add_f64 v[189:190], v[189:190], v[191:192]
	ds_load_b128 v[2:5], v1 offset:1376
	ds_load_b128 v[30:33], v1 offset:1392
	v_fma_f64 v[28:29], v[28:29], v[38:39], v[193:194]
	v_fma_f64 v[26:27], v[26:27], v[38:39], -v[40:41]
	s_waitcnt vmcnt(5) lgkmcnt(1)
	v_mul_f64 v[191:192], v[2:3], v[44:45]
	v_mul_f64 v[44:45], v[4:5], v[44:45]
	s_waitcnt vmcnt(4) lgkmcnt(0)
	v_mul_f64 v[38:39], v[30:31], v[8:9]
	v_mul_f64 v[8:9], v[32:33], v[8:9]
	v_add_f64 v[34:35], v[36:37], v[34:35]
	v_add_f64 v[36:37], v[189:190], v[195:196]
	v_fma_f64 v[40:41], v[4:5], v[42:43], v[191:192]
	v_fma_f64 v[42:43], v[2:3], v[42:43], -v[44:45]
	v_fma_f64 v[32:33], v[32:33], v[6:7], v[38:39]
	v_fma_f64 v[6:7], v[30:31], v[6:7], -v[8:9]
	v_add_f64 v[34:35], v[34:35], v[26:27]
	v_add_f64 v[36:37], v[36:37], v[28:29]
	ds_load_b128 v[2:5], v1 offset:1408
	ds_load_b128 v[26:29], v1 offset:1424
	s_waitcnt vmcnt(3) lgkmcnt(1)
	v_mul_f64 v[44:45], v[2:3], v[12:13]
	v_mul_f64 v[12:13], v[4:5], v[12:13]
	v_add_f64 v[8:9], v[34:35], v[42:43]
	v_add_f64 v[30:31], v[36:37], v[40:41]
	s_waitcnt vmcnt(2) lgkmcnt(0)
	v_mul_f64 v[34:35], v[26:27], v[16:17]
	v_mul_f64 v[16:17], v[28:29], v[16:17]
	v_fma_f64 v[36:37], v[4:5], v[10:11], v[44:45]
	v_fma_f64 v[10:11], v[2:3], v[10:11], -v[12:13]
	v_add_f64 v[12:13], v[8:9], v[6:7]
	v_add_f64 v[30:31], v[30:31], v[32:33]
	ds_load_b128 v[2:5], v1 offset:1440
	ds_load_b128 v[6:9], v1 offset:1456
	v_fma_f64 v[28:29], v[28:29], v[14:15], v[34:35]
	v_fma_f64 v[14:15], v[26:27], v[14:15], -v[16:17]
	s_waitcnt vmcnt(1) lgkmcnt(1)
	v_mul_f64 v[32:33], v[2:3], v[20:21]
	v_mul_f64 v[20:21], v[4:5], v[20:21]
	s_waitcnt vmcnt(0) lgkmcnt(0)
	v_mul_f64 v[16:17], v[6:7], v[24:25]
	v_mul_f64 v[24:25], v[8:9], v[24:25]
	v_add_f64 v[10:11], v[12:13], v[10:11]
	v_add_f64 v[12:13], v[30:31], v[36:37]
	v_fma_f64 v[4:5], v[4:5], v[18:19], v[32:33]
	v_fma_f64 v[1:2], v[2:3], v[18:19], -v[20:21]
	v_fma_f64 v[8:9], v[8:9], v[22:23], v[16:17]
	v_fma_f64 v[6:7], v[6:7], v[22:23], -v[24:25]
	v_add_f64 v[10:11], v[10:11], v[14:15]
	v_add_f64 v[12:13], v[12:13], v[28:29]
	s_delay_alu instid0(VALU_DEP_2) | instskip(NEXT) | instid1(VALU_DEP_2)
	v_add_f64 v[1:2], v[10:11], v[1:2]
	v_add_f64 v[3:4], v[12:13], v[4:5]
	s_delay_alu instid0(VALU_DEP_2) | instskip(NEXT) | instid1(VALU_DEP_2)
	;; [unrolled: 3-line block ×3, first 2 shown]
	v_add_f64 v[1:2], v[185:186], -v[1:2]
	v_add_f64 v[3:4], v[187:188], -v[3:4]
	scratch_store_b128 off, v[1:4], off offset:144
	v_cmpx_lt_u32_e32 8, v138
	s_cbranch_execz .LBB109_273
; %bb.272:
	scratch_load_b128 v[1:4], v176, off
	v_mov_b32_e32 v5, 0
	s_delay_alu instid0(VALU_DEP_1)
	v_mov_b32_e32 v6, v5
	v_mov_b32_e32 v7, v5
	;; [unrolled: 1-line block ×3, first 2 shown]
	scratch_store_b128 off, v[5:8], off offset:128
	s_waitcnt vmcnt(0)
	ds_store_b128 v184, v[1:4]
.LBB109_273:
	s_or_b32 exec_lo, exec_lo, s2
	s_waitcnt lgkmcnt(0)
	s_waitcnt_vscnt null, 0x0
	s_barrier
	buffer_gl0_inv
	s_clause 0x7
	scratch_load_b128 v[2:5], off, off offset:144
	scratch_load_b128 v[6:9], off, off offset:160
	;; [unrolled: 1-line block ×8, first 2 shown]
	v_mov_b32_e32 v1, 0
	s_mov_b32 s2, exec_lo
	ds_load_b128 v[38:41], v1 offset:880
	s_clause 0x1
	scratch_load_b128 v[34:37], off, off offset:272
	scratch_load_b128 v[42:45], off, off offset:128
	ds_load_b128 v[185:188], v1 offset:896
	scratch_load_b128 v[189:192], off, off offset:288
	s_waitcnt vmcnt(10) lgkmcnt(1)
	v_mul_f64 v[193:194], v[40:41], v[4:5]
	v_mul_f64 v[4:5], v[38:39], v[4:5]
	s_delay_alu instid0(VALU_DEP_2) | instskip(NEXT) | instid1(VALU_DEP_2)
	v_fma_f64 v[199:200], v[38:39], v[2:3], -v[193:194]
	v_fma_f64 v[201:202], v[40:41], v[2:3], v[4:5]
	scratch_load_b128 v[38:41], off, off offset:304
	ds_load_b128 v[2:5], v1 offset:912
	s_waitcnt vmcnt(10) lgkmcnt(1)
	v_mul_f64 v[197:198], v[185:186], v[8:9]
	v_mul_f64 v[8:9], v[187:188], v[8:9]
	ds_load_b128 v[193:196], v1 offset:928
	s_waitcnt vmcnt(9) lgkmcnt(1)
	v_mul_f64 v[203:204], v[2:3], v[12:13]
	v_mul_f64 v[12:13], v[4:5], v[12:13]
	v_fma_f64 v[187:188], v[187:188], v[6:7], v[197:198]
	v_fma_f64 v[185:186], v[185:186], v[6:7], -v[8:9]
	v_add_f64 v[197:198], v[199:200], 0
	v_add_f64 v[199:200], v[201:202], 0
	scratch_load_b128 v[6:9], off, off offset:320
	v_fma_f64 v[203:204], v[4:5], v[10:11], v[203:204]
	v_fma_f64 v[205:206], v[2:3], v[10:11], -v[12:13]
	scratch_load_b128 v[10:13], off, off offset:336
	ds_load_b128 v[2:5], v1 offset:944
	s_waitcnt vmcnt(10) lgkmcnt(1)
	v_mul_f64 v[201:202], v[193:194], v[16:17]
	v_mul_f64 v[16:17], v[195:196], v[16:17]
	v_add_f64 v[197:198], v[197:198], v[185:186]
	v_add_f64 v[199:200], v[199:200], v[187:188]
	s_waitcnt vmcnt(9) lgkmcnt(0)
	v_mul_f64 v[207:208], v[2:3], v[20:21]
	v_mul_f64 v[20:21], v[4:5], v[20:21]
	ds_load_b128 v[185:188], v1 offset:960
	v_fma_f64 v[195:196], v[195:196], v[14:15], v[201:202]
	v_fma_f64 v[193:194], v[193:194], v[14:15], -v[16:17]
	scratch_load_b128 v[14:17], off, off offset:352
	v_add_f64 v[197:198], v[197:198], v[205:206]
	v_add_f64 v[199:200], v[199:200], v[203:204]
	v_fma_f64 v[203:204], v[4:5], v[18:19], v[207:208]
	v_fma_f64 v[205:206], v[2:3], v[18:19], -v[20:21]
	scratch_load_b128 v[18:21], off, off offset:368
	ds_load_b128 v[2:5], v1 offset:976
	s_waitcnt vmcnt(10) lgkmcnt(1)
	v_mul_f64 v[201:202], v[185:186], v[24:25]
	v_mul_f64 v[24:25], v[187:188], v[24:25]
	s_waitcnt vmcnt(9) lgkmcnt(0)
	v_mul_f64 v[207:208], v[2:3], v[28:29]
	v_mul_f64 v[28:29], v[4:5], v[28:29]
	v_add_f64 v[197:198], v[197:198], v[193:194]
	v_add_f64 v[199:200], v[199:200], v[195:196]
	ds_load_b128 v[193:196], v1 offset:992
	v_fma_f64 v[187:188], v[187:188], v[22:23], v[201:202]
	v_fma_f64 v[185:186], v[185:186], v[22:23], -v[24:25]
	scratch_load_b128 v[22:25], off, off offset:384
	v_add_f64 v[197:198], v[197:198], v[205:206]
	v_add_f64 v[199:200], v[199:200], v[203:204]
	v_fma_f64 v[203:204], v[4:5], v[26:27], v[207:208]
	v_fma_f64 v[205:206], v[2:3], v[26:27], -v[28:29]
	scratch_load_b128 v[26:29], off, off offset:400
	ds_load_b128 v[2:5], v1 offset:1008
	s_waitcnt vmcnt(10) lgkmcnt(1)
	v_mul_f64 v[201:202], v[193:194], v[32:33]
	v_mul_f64 v[32:33], v[195:196], v[32:33]
	s_waitcnt vmcnt(9) lgkmcnt(0)
	v_mul_f64 v[207:208], v[2:3], v[36:37]
	v_mul_f64 v[36:37], v[4:5], v[36:37]
	v_add_f64 v[197:198], v[197:198], v[185:186]
	v_add_f64 v[199:200], v[199:200], v[187:188]
	ds_load_b128 v[185:188], v1 offset:1024
	v_fma_f64 v[195:196], v[195:196], v[30:31], v[201:202]
	v_fma_f64 v[193:194], v[193:194], v[30:31], -v[32:33]
	scratch_load_b128 v[30:33], off, off offset:416
	v_add_f64 v[197:198], v[197:198], v[205:206]
	v_add_f64 v[199:200], v[199:200], v[203:204]
	v_fma_f64 v[205:206], v[4:5], v[34:35], v[207:208]
	v_fma_f64 v[207:208], v[2:3], v[34:35], -v[36:37]
	scratch_load_b128 v[34:37], off, off offset:432
	ds_load_b128 v[2:5], v1 offset:1040
	s_waitcnt vmcnt(9) lgkmcnt(1)
	v_mul_f64 v[201:202], v[185:186], v[191:192]
	v_mul_f64 v[203:204], v[187:188], v[191:192]
	v_add_f64 v[197:198], v[197:198], v[193:194]
	v_add_f64 v[195:196], v[199:200], v[195:196]
	ds_load_b128 v[191:194], v1 offset:1056
	v_fma_f64 v[201:202], v[187:188], v[189:190], v[201:202]
	v_fma_f64 v[189:190], v[185:186], v[189:190], -v[203:204]
	scratch_load_b128 v[185:188], off, off offset:448
	s_waitcnt vmcnt(9) lgkmcnt(1)
	v_mul_f64 v[199:200], v[2:3], v[40:41]
	v_mul_f64 v[40:41], v[4:5], v[40:41]
	v_add_f64 v[197:198], v[197:198], v[207:208]
	v_add_f64 v[195:196], v[195:196], v[205:206]
	s_delay_alu instid0(VALU_DEP_4) | instskip(NEXT) | instid1(VALU_DEP_4)
	v_fma_f64 v[199:200], v[4:5], v[38:39], v[199:200]
	v_fma_f64 v[205:206], v[2:3], v[38:39], -v[40:41]
	scratch_load_b128 v[38:41], off, off offset:464
	ds_load_b128 v[2:5], v1 offset:1072
	s_waitcnt vmcnt(9) lgkmcnt(1)
	v_mul_f64 v[203:204], v[191:192], v[8:9]
	v_mul_f64 v[8:9], v[193:194], v[8:9]
	s_waitcnt vmcnt(8) lgkmcnt(0)
	v_mul_f64 v[207:208], v[2:3], v[12:13]
	v_mul_f64 v[12:13], v[4:5], v[12:13]
	v_add_f64 v[189:190], v[197:198], v[189:190]
	v_add_f64 v[201:202], v[195:196], v[201:202]
	ds_load_b128 v[195:198], v1 offset:1088
	v_fma_f64 v[193:194], v[193:194], v[6:7], v[203:204]
	v_fma_f64 v[191:192], v[191:192], v[6:7], -v[8:9]
	scratch_load_b128 v[6:9], off, off offset:480
	v_fma_f64 v[203:204], v[4:5], v[10:11], v[207:208]
	v_add_f64 v[189:190], v[189:190], v[205:206]
	v_add_f64 v[199:200], v[201:202], v[199:200]
	v_fma_f64 v[205:206], v[2:3], v[10:11], -v[12:13]
	scratch_load_b128 v[10:13], off, off offset:496
	ds_load_b128 v[2:5], v1 offset:1104
	s_waitcnt vmcnt(9) lgkmcnt(1)
	v_mul_f64 v[201:202], v[195:196], v[16:17]
	v_mul_f64 v[16:17], v[197:198], v[16:17]
	v_add_f64 v[207:208], v[189:190], v[191:192]
	v_add_f64 v[193:194], v[199:200], v[193:194]
	s_waitcnt vmcnt(8) lgkmcnt(0)
	v_mul_f64 v[199:200], v[2:3], v[20:21]
	v_mul_f64 v[20:21], v[4:5], v[20:21]
	ds_load_b128 v[189:192], v1 offset:1120
	v_fma_f64 v[197:198], v[197:198], v[14:15], v[201:202]
	v_fma_f64 v[195:196], v[195:196], v[14:15], -v[16:17]
	scratch_load_b128 v[14:17], off, off offset:512
	v_add_f64 v[201:202], v[207:208], v[205:206]
	v_add_f64 v[193:194], v[193:194], v[203:204]
	v_fma_f64 v[199:200], v[4:5], v[18:19], v[199:200]
	v_fma_f64 v[205:206], v[2:3], v[18:19], -v[20:21]
	scratch_load_b128 v[18:21], off, off offset:528
	ds_load_b128 v[2:5], v1 offset:1136
	s_waitcnt vmcnt(9) lgkmcnt(1)
	v_mul_f64 v[203:204], v[189:190], v[24:25]
	v_mul_f64 v[24:25], v[191:192], v[24:25]
	s_waitcnt vmcnt(8) lgkmcnt(0)
	v_mul_f64 v[207:208], v[2:3], v[28:29]
	v_mul_f64 v[28:29], v[4:5], v[28:29]
	v_add_f64 v[201:202], v[201:202], v[195:196]
	v_add_f64 v[197:198], v[193:194], v[197:198]
	ds_load_b128 v[193:196], v1 offset:1152
	v_fma_f64 v[191:192], v[191:192], v[22:23], v[203:204]
	v_fma_f64 v[189:190], v[189:190], v[22:23], -v[24:25]
	scratch_load_b128 v[22:25], off, off offset:544
	v_fma_f64 v[203:204], v[4:5], v[26:27], v[207:208]
	v_add_f64 v[201:202], v[201:202], v[205:206]
	v_add_f64 v[197:198], v[197:198], v[199:200]
	v_fma_f64 v[205:206], v[2:3], v[26:27], -v[28:29]
	scratch_load_b128 v[26:29], off, off offset:560
	ds_load_b128 v[2:5], v1 offset:1168
	s_waitcnt vmcnt(9) lgkmcnt(1)
	v_mul_f64 v[199:200], v[193:194], v[32:33]
	v_mul_f64 v[32:33], v[195:196], v[32:33]
	s_waitcnt vmcnt(8) lgkmcnt(0)
	v_mul_f64 v[207:208], v[2:3], v[36:37]
	v_mul_f64 v[36:37], v[4:5], v[36:37]
	v_add_f64 v[201:202], v[201:202], v[189:190]
	v_add_f64 v[197:198], v[197:198], v[191:192]
	ds_load_b128 v[189:192], v1 offset:1184
	v_fma_f64 v[195:196], v[195:196], v[30:31], v[199:200]
	v_fma_f64 v[193:194], v[193:194], v[30:31], -v[32:33]
	scratch_load_b128 v[30:33], off, off offset:576
	v_add_f64 v[199:200], v[201:202], v[205:206]
	v_add_f64 v[197:198], v[197:198], v[203:204]
	v_fma_f64 v[203:204], v[4:5], v[34:35], v[207:208]
	v_fma_f64 v[205:206], v[2:3], v[34:35], -v[36:37]
	scratch_load_b128 v[34:37], off, off offset:592
	ds_load_b128 v[2:5], v1 offset:1200
	s_waitcnt vmcnt(9) lgkmcnt(1)
	v_mul_f64 v[201:202], v[189:190], v[187:188]
	v_mul_f64 v[187:188], v[191:192], v[187:188]
	s_waitcnt vmcnt(8) lgkmcnt(0)
	v_mul_f64 v[207:208], v[2:3], v[40:41]
	v_mul_f64 v[40:41], v[4:5], v[40:41]
	v_add_f64 v[199:200], v[199:200], v[193:194]
	v_add_f64 v[197:198], v[197:198], v[195:196]
	ds_load_b128 v[193:196], v1 offset:1216
	v_fma_f64 v[191:192], v[191:192], v[185:186], v[201:202]
	v_fma_f64 v[189:190], v[189:190], v[185:186], -v[187:188]
	scratch_load_b128 v[185:188], off, off offset:608
	v_add_f64 v[199:200], v[199:200], v[205:206]
	v_add_f64 v[197:198], v[197:198], v[203:204]
	v_fma_f64 v[203:204], v[4:5], v[38:39], v[207:208]
	;; [unrolled: 18-line block ×5, first 2 shown]
	v_fma_f64 v[205:206], v[2:3], v[26:27], -v[28:29]
	scratch_load_b128 v[26:29], off, off offset:720
	ds_load_b128 v[2:5], v1 offset:1328
	s_waitcnt vmcnt(9) lgkmcnt(1)
	v_mul_f64 v[201:202], v[189:190], v[32:33]
	v_mul_f64 v[32:33], v[191:192], v[32:33]
	s_waitcnt vmcnt(8) lgkmcnt(0)
	v_mul_f64 v[207:208], v[2:3], v[36:37]
	v_mul_f64 v[36:37], v[4:5], v[36:37]
	v_add_f64 v[199:200], v[199:200], v[193:194]
	v_add_f64 v[197:198], v[197:198], v[195:196]
	ds_load_b128 v[193:196], v1 offset:1344
	v_fma_f64 v[191:192], v[191:192], v[30:31], v[201:202]
	v_fma_f64 v[30:31], v[189:190], v[30:31], -v[32:33]
	v_add_f64 v[32:33], v[199:200], v[205:206]
	v_add_f64 v[189:190], v[197:198], v[203:204]
	s_waitcnt vmcnt(7) lgkmcnt(0)
	v_mul_f64 v[197:198], v[193:194], v[187:188]
	v_mul_f64 v[187:188], v[195:196], v[187:188]
	v_fma_f64 v[199:200], v[4:5], v[34:35], v[207:208]
	v_fma_f64 v[34:35], v[2:3], v[34:35], -v[36:37]
	v_add_f64 v[36:37], v[32:33], v[30:31]
	v_add_f64 v[189:190], v[189:190], v[191:192]
	ds_load_b128 v[2:5], v1 offset:1360
	ds_load_b128 v[30:33], v1 offset:1376
	v_fma_f64 v[195:196], v[195:196], v[185:186], v[197:198]
	v_fma_f64 v[185:186], v[193:194], v[185:186], -v[187:188]
	s_waitcnt vmcnt(6) lgkmcnt(1)
	v_mul_f64 v[191:192], v[2:3], v[40:41]
	v_mul_f64 v[40:41], v[4:5], v[40:41]
	s_waitcnt vmcnt(5) lgkmcnt(0)
	v_mul_f64 v[187:188], v[30:31], v[8:9]
	v_mul_f64 v[8:9], v[32:33], v[8:9]
	v_add_f64 v[34:35], v[36:37], v[34:35]
	v_add_f64 v[36:37], v[189:190], v[199:200]
	v_fma_f64 v[189:190], v[4:5], v[38:39], v[191:192]
	v_fma_f64 v[38:39], v[2:3], v[38:39], -v[40:41]
	v_fma_f64 v[32:33], v[32:33], v[6:7], v[187:188]
	v_fma_f64 v[6:7], v[30:31], v[6:7], -v[8:9]
	v_add_f64 v[40:41], v[34:35], v[185:186]
	v_add_f64 v[185:186], v[36:37], v[195:196]
	ds_load_b128 v[2:5], v1 offset:1392
	ds_load_b128 v[34:37], v1 offset:1408
	s_waitcnt vmcnt(4) lgkmcnt(1)
	v_mul_f64 v[191:192], v[2:3], v[12:13]
	v_mul_f64 v[12:13], v[4:5], v[12:13]
	v_add_f64 v[8:9], v[40:41], v[38:39]
	v_add_f64 v[30:31], v[185:186], v[189:190]
	s_waitcnt vmcnt(3) lgkmcnt(0)
	v_mul_f64 v[38:39], v[34:35], v[16:17]
	v_mul_f64 v[16:17], v[36:37], v[16:17]
	v_fma_f64 v[40:41], v[4:5], v[10:11], v[191:192]
	v_fma_f64 v[10:11], v[2:3], v[10:11], -v[12:13]
	v_add_f64 v[12:13], v[8:9], v[6:7]
	v_add_f64 v[30:31], v[30:31], v[32:33]
	ds_load_b128 v[2:5], v1 offset:1424
	ds_load_b128 v[6:9], v1 offset:1440
	v_fma_f64 v[36:37], v[36:37], v[14:15], v[38:39]
	v_fma_f64 v[14:15], v[34:35], v[14:15], -v[16:17]
	s_waitcnt vmcnt(2) lgkmcnt(1)
	v_mul_f64 v[32:33], v[2:3], v[20:21]
	v_mul_f64 v[20:21], v[4:5], v[20:21]
	s_waitcnt vmcnt(1) lgkmcnt(0)
	v_mul_f64 v[16:17], v[6:7], v[24:25]
	v_mul_f64 v[24:25], v[8:9], v[24:25]
	v_add_f64 v[10:11], v[12:13], v[10:11]
	v_add_f64 v[12:13], v[30:31], v[40:41]
	v_fma_f64 v[30:31], v[4:5], v[18:19], v[32:33]
	v_fma_f64 v[18:19], v[2:3], v[18:19], -v[20:21]
	ds_load_b128 v[2:5], v1 offset:1456
	v_fma_f64 v[8:9], v[8:9], v[22:23], v[16:17]
	v_fma_f64 v[6:7], v[6:7], v[22:23], -v[24:25]
	v_add_f64 v[10:11], v[10:11], v[14:15]
	v_add_f64 v[12:13], v[12:13], v[36:37]
	s_waitcnt vmcnt(0) lgkmcnt(0)
	v_mul_f64 v[14:15], v[2:3], v[28:29]
	v_mul_f64 v[20:21], v[4:5], v[28:29]
	s_delay_alu instid0(VALU_DEP_4) | instskip(NEXT) | instid1(VALU_DEP_4)
	v_add_f64 v[10:11], v[10:11], v[18:19]
	v_add_f64 v[12:13], v[12:13], v[30:31]
	s_delay_alu instid0(VALU_DEP_4) | instskip(NEXT) | instid1(VALU_DEP_4)
	v_fma_f64 v[4:5], v[4:5], v[26:27], v[14:15]
	v_fma_f64 v[2:3], v[2:3], v[26:27], -v[20:21]
	s_delay_alu instid0(VALU_DEP_4) | instskip(NEXT) | instid1(VALU_DEP_4)
	v_add_f64 v[6:7], v[10:11], v[6:7]
	v_add_f64 v[8:9], v[12:13], v[8:9]
	s_delay_alu instid0(VALU_DEP_2) | instskip(NEXT) | instid1(VALU_DEP_2)
	v_add_f64 v[2:3], v[6:7], v[2:3]
	v_add_f64 v[4:5], v[8:9], v[4:5]
	s_delay_alu instid0(VALU_DEP_2) | instskip(NEXT) | instid1(VALU_DEP_2)
	v_add_f64 v[2:3], v[42:43], -v[2:3]
	v_add_f64 v[4:5], v[44:45], -v[4:5]
	scratch_store_b128 off, v[2:5], off offset:128
	v_cmpx_lt_u32_e32 7, v138
	s_cbranch_execz .LBB109_275
; %bb.274:
	scratch_load_b128 v[5:8], v177, off
	v_mov_b32_e32 v2, v1
	v_mov_b32_e32 v3, v1
	;; [unrolled: 1-line block ×3, first 2 shown]
	scratch_store_b128 off, v[1:4], off offset:112
	s_waitcnt vmcnt(0)
	ds_store_b128 v184, v[5:8]
.LBB109_275:
	s_or_b32 exec_lo, exec_lo, s2
	s_waitcnt lgkmcnt(0)
	s_waitcnt_vscnt null, 0x0
	s_barrier
	buffer_gl0_inv
	s_clause 0x8
	scratch_load_b128 v[2:5], off, off offset:128
	scratch_load_b128 v[6:9], off, off offset:144
	;; [unrolled: 1-line block ×9, first 2 shown]
	ds_load_b128 v[42:45], v1 offset:864
	ds_load_b128 v[38:41], v1 offset:880
	s_clause 0x1
	scratch_load_b128 v[185:188], off, off offset:112
	scratch_load_b128 v[189:192], off, off offset:272
	s_mov_b32 s2, exec_lo
	s_waitcnt vmcnt(10) lgkmcnt(1)
	v_mul_f64 v[193:194], v[44:45], v[4:5]
	v_mul_f64 v[4:5], v[42:43], v[4:5]
	s_waitcnt vmcnt(9) lgkmcnt(0)
	v_mul_f64 v[197:198], v[38:39], v[8:9]
	v_mul_f64 v[8:9], v[40:41], v[8:9]
	s_delay_alu instid0(VALU_DEP_4) | instskip(NEXT) | instid1(VALU_DEP_4)
	v_fma_f64 v[199:200], v[42:43], v[2:3], -v[193:194]
	v_fma_f64 v[201:202], v[44:45], v[2:3], v[4:5]
	ds_load_b128 v[2:5], v1 offset:896
	ds_load_b128 v[193:196], v1 offset:912
	scratch_load_b128 v[42:45], off, off offset:288
	v_fma_f64 v[40:41], v[40:41], v[6:7], v[197:198]
	v_fma_f64 v[38:39], v[38:39], v[6:7], -v[8:9]
	scratch_load_b128 v[6:9], off, off offset:304
	s_waitcnt vmcnt(10) lgkmcnt(1)
	v_mul_f64 v[203:204], v[2:3], v[12:13]
	v_mul_f64 v[12:13], v[4:5], v[12:13]
	v_add_f64 v[197:198], v[199:200], 0
	v_add_f64 v[199:200], v[201:202], 0
	s_waitcnt vmcnt(9) lgkmcnt(0)
	v_mul_f64 v[201:202], v[193:194], v[16:17]
	v_mul_f64 v[16:17], v[195:196], v[16:17]
	v_fma_f64 v[203:204], v[4:5], v[10:11], v[203:204]
	v_fma_f64 v[205:206], v[2:3], v[10:11], -v[12:13]
	ds_load_b128 v[2:5], v1 offset:928
	scratch_load_b128 v[10:13], off, off offset:320
	v_add_f64 v[197:198], v[197:198], v[38:39]
	v_add_f64 v[199:200], v[199:200], v[40:41]
	ds_load_b128 v[38:41], v1 offset:944
	v_fma_f64 v[195:196], v[195:196], v[14:15], v[201:202]
	v_fma_f64 v[193:194], v[193:194], v[14:15], -v[16:17]
	scratch_load_b128 v[14:17], off, off offset:336
	s_waitcnt vmcnt(10) lgkmcnt(1)
	v_mul_f64 v[207:208], v[2:3], v[20:21]
	v_mul_f64 v[20:21], v[4:5], v[20:21]
	s_waitcnt vmcnt(9) lgkmcnt(0)
	v_mul_f64 v[201:202], v[38:39], v[24:25]
	v_mul_f64 v[24:25], v[40:41], v[24:25]
	v_add_f64 v[197:198], v[197:198], v[205:206]
	v_add_f64 v[199:200], v[199:200], v[203:204]
	v_fma_f64 v[203:204], v[4:5], v[18:19], v[207:208]
	v_fma_f64 v[205:206], v[2:3], v[18:19], -v[20:21]
	ds_load_b128 v[2:5], v1 offset:960
	scratch_load_b128 v[18:21], off, off offset:352
	v_fma_f64 v[40:41], v[40:41], v[22:23], v[201:202]
	v_fma_f64 v[38:39], v[38:39], v[22:23], -v[24:25]
	scratch_load_b128 v[22:25], off, off offset:368
	v_add_f64 v[197:198], v[197:198], v[193:194]
	v_add_f64 v[199:200], v[199:200], v[195:196]
	ds_load_b128 v[193:196], v1 offset:976
	s_waitcnt vmcnt(10) lgkmcnt(1)
	v_mul_f64 v[207:208], v[2:3], v[28:29]
	v_mul_f64 v[28:29], v[4:5], v[28:29]
	s_waitcnt vmcnt(9) lgkmcnt(0)
	v_mul_f64 v[201:202], v[193:194], v[32:33]
	v_mul_f64 v[32:33], v[195:196], v[32:33]
	v_add_f64 v[197:198], v[197:198], v[205:206]
	v_add_f64 v[199:200], v[199:200], v[203:204]
	v_fma_f64 v[203:204], v[4:5], v[26:27], v[207:208]
	v_fma_f64 v[205:206], v[2:3], v[26:27], -v[28:29]
	ds_load_b128 v[2:5], v1 offset:992
	scratch_load_b128 v[26:29], off, off offset:384
	v_fma_f64 v[195:196], v[195:196], v[30:31], v[201:202]
	v_fma_f64 v[193:194], v[193:194], v[30:31], -v[32:33]
	scratch_load_b128 v[30:33], off, off offset:400
	v_add_f64 v[197:198], v[197:198], v[38:39]
	v_add_f64 v[199:200], v[199:200], v[40:41]
	ds_load_b128 v[38:41], v1 offset:1008
	s_waitcnt vmcnt(10) lgkmcnt(1)
	v_mul_f64 v[207:208], v[2:3], v[36:37]
	v_mul_f64 v[36:37], v[4:5], v[36:37]
	s_waitcnt vmcnt(8) lgkmcnt(0)
	v_mul_f64 v[201:202], v[38:39], v[191:192]
	v_add_f64 v[197:198], v[197:198], v[205:206]
	v_add_f64 v[199:200], v[199:200], v[203:204]
	v_mul_f64 v[203:204], v[40:41], v[191:192]
	v_fma_f64 v[205:206], v[4:5], v[34:35], v[207:208]
	v_fma_f64 v[207:208], v[2:3], v[34:35], -v[36:37]
	ds_load_b128 v[2:5], v1 offset:1024
	scratch_load_b128 v[34:37], off, off offset:416
	v_fma_f64 v[201:202], v[40:41], v[189:190], v[201:202]
	v_add_f64 v[197:198], v[197:198], v[193:194]
	v_add_f64 v[195:196], v[199:200], v[195:196]
	ds_load_b128 v[191:194], v1 offset:1040
	v_fma_f64 v[189:190], v[38:39], v[189:190], -v[203:204]
	scratch_load_b128 v[38:41], off, off offset:432
	s_waitcnt vmcnt(9) lgkmcnt(1)
	v_mul_f64 v[199:200], v[2:3], v[44:45]
	v_mul_f64 v[44:45], v[4:5], v[44:45]
	s_waitcnt vmcnt(8) lgkmcnt(0)
	v_mul_f64 v[203:204], v[191:192], v[8:9]
	v_mul_f64 v[8:9], v[193:194], v[8:9]
	v_add_f64 v[197:198], v[197:198], v[207:208]
	v_add_f64 v[195:196], v[195:196], v[205:206]
	v_fma_f64 v[199:200], v[4:5], v[42:43], v[199:200]
	v_fma_f64 v[205:206], v[2:3], v[42:43], -v[44:45]
	ds_load_b128 v[2:5], v1 offset:1056
	scratch_load_b128 v[42:45], off, off offset:448
	v_fma_f64 v[193:194], v[193:194], v[6:7], v[203:204]
	v_fma_f64 v[191:192], v[191:192], v[6:7], -v[8:9]
	scratch_load_b128 v[6:9], off, off offset:464
	v_add_f64 v[189:190], v[197:198], v[189:190]
	v_add_f64 v[201:202], v[195:196], v[201:202]
	ds_load_b128 v[195:198], v1 offset:1072
	s_waitcnt vmcnt(9) lgkmcnt(1)
	v_mul_f64 v[207:208], v[2:3], v[12:13]
	v_mul_f64 v[12:13], v[4:5], v[12:13]
	v_add_f64 v[189:190], v[189:190], v[205:206]
	v_add_f64 v[199:200], v[201:202], v[199:200]
	s_waitcnt vmcnt(8) lgkmcnt(0)
	v_mul_f64 v[201:202], v[195:196], v[16:17]
	v_mul_f64 v[16:17], v[197:198], v[16:17]
	v_fma_f64 v[203:204], v[4:5], v[10:11], v[207:208]
	v_fma_f64 v[205:206], v[2:3], v[10:11], -v[12:13]
	ds_load_b128 v[2:5], v1 offset:1088
	scratch_load_b128 v[10:13], off, off offset:480
	v_add_f64 v[207:208], v[189:190], v[191:192]
	v_add_f64 v[193:194], v[199:200], v[193:194]
	ds_load_b128 v[189:192], v1 offset:1104
	s_waitcnt vmcnt(8) lgkmcnt(1)
	v_mul_f64 v[199:200], v[2:3], v[20:21]
	v_mul_f64 v[20:21], v[4:5], v[20:21]
	v_fma_f64 v[197:198], v[197:198], v[14:15], v[201:202]
	v_fma_f64 v[195:196], v[195:196], v[14:15], -v[16:17]
	scratch_load_b128 v[14:17], off, off offset:496
	v_add_f64 v[201:202], v[207:208], v[205:206]
	v_add_f64 v[193:194], v[193:194], v[203:204]
	s_waitcnt vmcnt(8) lgkmcnt(0)
	v_mul_f64 v[203:204], v[189:190], v[24:25]
	v_mul_f64 v[24:25], v[191:192], v[24:25]
	v_fma_f64 v[199:200], v[4:5], v[18:19], v[199:200]
	v_fma_f64 v[205:206], v[2:3], v[18:19], -v[20:21]
	ds_load_b128 v[2:5], v1 offset:1120
	scratch_load_b128 v[18:21], off, off offset:512
	v_add_f64 v[201:202], v[201:202], v[195:196]
	v_add_f64 v[197:198], v[193:194], v[197:198]
	ds_load_b128 v[193:196], v1 offset:1136
	s_waitcnt vmcnt(8) lgkmcnt(1)
	v_mul_f64 v[207:208], v[2:3], v[28:29]
	v_mul_f64 v[28:29], v[4:5], v[28:29]
	v_fma_f64 v[191:192], v[191:192], v[22:23], v[203:204]
	v_fma_f64 v[189:190], v[189:190], v[22:23], -v[24:25]
	scratch_load_b128 v[22:25], off, off offset:528
	;; [unrolled: 18-line block ×4, first 2 shown]
	s_waitcnt vmcnt(8) lgkmcnt(0)
	v_mul_f64 v[201:202], v[193:194], v[8:9]
	v_mul_f64 v[8:9], v[195:196], v[8:9]
	v_add_f64 v[199:200], v[199:200], v[205:206]
	v_add_f64 v[197:198], v[197:198], v[203:204]
	v_fma_f64 v[203:204], v[4:5], v[42:43], v[207:208]
	v_fma_f64 v[205:206], v[2:3], v[42:43], -v[44:45]
	ds_load_b128 v[2:5], v1 offset:1216
	scratch_load_b128 v[42:45], off, off offset:608
	v_fma_f64 v[195:196], v[195:196], v[6:7], v[201:202]
	v_fma_f64 v[193:194], v[193:194], v[6:7], -v[8:9]
	scratch_load_b128 v[6:9], off, off offset:624
	v_add_f64 v[199:200], v[199:200], v[189:190]
	v_add_f64 v[197:198], v[197:198], v[191:192]
	ds_load_b128 v[189:192], v1 offset:1232
	s_waitcnt vmcnt(9) lgkmcnt(1)
	v_mul_f64 v[207:208], v[2:3], v[12:13]
	v_mul_f64 v[12:13], v[4:5], v[12:13]
	s_waitcnt vmcnt(8) lgkmcnt(0)
	v_mul_f64 v[201:202], v[189:190], v[16:17]
	v_mul_f64 v[16:17], v[191:192], v[16:17]
	v_add_f64 v[199:200], v[199:200], v[205:206]
	v_add_f64 v[197:198], v[197:198], v[203:204]
	v_fma_f64 v[203:204], v[4:5], v[10:11], v[207:208]
	v_fma_f64 v[205:206], v[2:3], v[10:11], -v[12:13]
	ds_load_b128 v[2:5], v1 offset:1248
	scratch_load_b128 v[10:13], off, off offset:640
	v_fma_f64 v[191:192], v[191:192], v[14:15], v[201:202]
	v_fma_f64 v[189:190], v[189:190], v[14:15], -v[16:17]
	scratch_load_b128 v[14:17], off, off offset:656
	v_add_f64 v[199:200], v[199:200], v[193:194]
	v_add_f64 v[197:198], v[197:198], v[195:196]
	ds_load_b128 v[193:196], v1 offset:1264
	s_waitcnt vmcnt(9) lgkmcnt(1)
	v_mul_f64 v[207:208], v[2:3], v[20:21]
	v_mul_f64 v[20:21], v[4:5], v[20:21]
	;; [unrolled: 18-line block ×4, first 2 shown]
	s_waitcnt vmcnt(8) lgkmcnt(0)
	v_mul_f64 v[201:202], v[193:194], v[40:41]
	v_mul_f64 v[40:41], v[195:196], v[40:41]
	v_add_f64 v[199:200], v[199:200], v[205:206]
	v_add_f64 v[197:198], v[197:198], v[203:204]
	v_fma_f64 v[203:204], v[4:5], v[34:35], v[207:208]
	v_fma_f64 v[205:206], v[2:3], v[34:35], -v[36:37]
	ds_load_b128 v[2:5], v1 offset:1344
	ds_load_b128 v[34:37], v1 offset:1360
	v_fma_f64 v[195:196], v[195:196], v[38:39], v[201:202]
	v_fma_f64 v[38:39], v[193:194], v[38:39], -v[40:41]
	v_add_f64 v[189:190], v[199:200], v[189:190]
	v_add_f64 v[191:192], v[197:198], v[191:192]
	s_waitcnt vmcnt(7) lgkmcnt(1)
	v_mul_f64 v[197:198], v[2:3], v[44:45]
	v_mul_f64 v[44:45], v[4:5], v[44:45]
	s_delay_alu instid0(VALU_DEP_4) | instskip(NEXT) | instid1(VALU_DEP_4)
	v_add_f64 v[40:41], v[189:190], v[205:206]
	v_add_f64 v[189:190], v[191:192], v[203:204]
	s_waitcnt vmcnt(6) lgkmcnt(0)
	v_mul_f64 v[191:192], v[34:35], v[8:9]
	v_mul_f64 v[8:9], v[36:37], v[8:9]
	v_fma_f64 v[193:194], v[4:5], v[42:43], v[197:198]
	v_fma_f64 v[42:43], v[2:3], v[42:43], -v[44:45]
	v_add_f64 v[44:45], v[40:41], v[38:39]
	v_add_f64 v[189:190], v[189:190], v[195:196]
	ds_load_b128 v[2:5], v1 offset:1376
	ds_load_b128 v[38:41], v1 offset:1392
	v_fma_f64 v[36:37], v[36:37], v[6:7], v[191:192]
	v_fma_f64 v[6:7], v[34:35], v[6:7], -v[8:9]
	s_waitcnt vmcnt(5) lgkmcnt(1)
	v_mul_f64 v[195:196], v[2:3], v[12:13]
	v_mul_f64 v[12:13], v[4:5], v[12:13]
	v_add_f64 v[8:9], v[44:45], v[42:43]
	v_add_f64 v[34:35], v[189:190], v[193:194]
	s_waitcnt vmcnt(4) lgkmcnt(0)
	v_mul_f64 v[42:43], v[38:39], v[16:17]
	v_mul_f64 v[16:17], v[40:41], v[16:17]
	v_fma_f64 v[44:45], v[4:5], v[10:11], v[195:196]
	v_fma_f64 v[10:11], v[2:3], v[10:11], -v[12:13]
	v_add_f64 v[12:13], v[8:9], v[6:7]
	v_add_f64 v[34:35], v[34:35], v[36:37]
	ds_load_b128 v[2:5], v1 offset:1408
	ds_load_b128 v[6:9], v1 offset:1424
	v_fma_f64 v[40:41], v[40:41], v[14:15], v[42:43]
	v_fma_f64 v[14:15], v[38:39], v[14:15], -v[16:17]
	s_waitcnt vmcnt(3) lgkmcnt(1)
	v_mul_f64 v[36:37], v[2:3], v[20:21]
	v_mul_f64 v[20:21], v[4:5], v[20:21]
	s_waitcnt vmcnt(2) lgkmcnt(0)
	v_mul_f64 v[16:17], v[6:7], v[24:25]
	v_mul_f64 v[24:25], v[8:9], v[24:25]
	v_add_f64 v[10:11], v[12:13], v[10:11]
	v_add_f64 v[12:13], v[34:35], v[44:45]
	v_fma_f64 v[34:35], v[4:5], v[18:19], v[36:37]
	v_fma_f64 v[18:19], v[2:3], v[18:19], -v[20:21]
	v_fma_f64 v[8:9], v[8:9], v[22:23], v[16:17]
	v_fma_f64 v[6:7], v[6:7], v[22:23], -v[24:25]
	v_add_f64 v[14:15], v[10:11], v[14:15]
	v_add_f64 v[20:21], v[12:13], v[40:41]
	ds_load_b128 v[2:5], v1 offset:1440
	ds_load_b128 v[10:13], v1 offset:1456
	s_waitcnt vmcnt(1) lgkmcnt(1)
	v_mul_f64 v[36:37], v[2:3], v[28:29]
	v_mul_f64 v[28:29], v[4:5], v[28:29]
	v_add_f64 v[14:15], v[14:15], v[18:19]
	v_add_f64 v[16:17], v[20:21], v[34:35]
	s_waitcnt vmcnt(0) lgkmcnt(0)
	v_mul_f64 v[18:19], v[10:11], v[32:33]
	v_mul_f64 v[20:21], v[12:13], v[32:33]
	v_fma_f64 v[4:5], v[4:5], v[26:27], v[36:37]
	v_fma_f64 v[1:2], v[2:3], v[26:27], -v[28:29]
	v_add_f64 v[6:7], v[14:15], v[6:7]
	v_add_f64 v[8:9], v[16:17], v[8:9]
	v_fma_f64 v[12:13], v[12:13], v[30:31], v[18:19]
	v_fma_f64 v[10:11], v[10:11], v[30:31], -v[20:21]
	s_delay_alu instid0(VALU_DEP_4) | instskip(NEXT) | instid1(VALU_DEP_4)
	v_add_f64 v[1:2], v[6:7], v[1:2]
	v_add_f64 v[3:4], v[8:9], v[4:5]
	s_delay_alu instid0(VALU_DEP_2) | instskip(NEXT) | instid1(VALU_DEP_2)
	v_add_f64 v[1:2], v[1:2], v[10:11]
	v_add_f64 v[3:4], v[3:4], v[12:13]
	s_delay_alu instid0(VALU_DEP_2) | instskip(NEXT) | instid1(VALU_DEP_2)
	v_add_f64 v[1:2], v[185:186], -v[1:2]
	v_add_f64 v[3:4], v[187:188], -v[3:4]
	scratch_store_b128 off, v[1:4], off offset:112
	v_cmpx_lt_u32_e32 6, v138
	s_cbranch_execz .LBB109_277
; %bb.276:
	scratch_load_b128 v[1:4], v178, off
	v_mov_b32_e32 v5, 0
	s_delay_alu instid0(VALU_DEP_1)
	v_mov_b32_e32 v6, v5
	v_mov_b32_e32 v7, v5
	;; [unrolled: 1-line block ×3, first 2 shown]
	scratch_store_b128 off, v[5:8], off offset:96
	s_waitcnt vmcnt(0)
	ds_store_b128 v184, v[1:4]
.LBB109_277:
	s_or_b32 exec_lo, exec_lo, s2
	s_waitcnt lgkmcnt(0)
	s_waitcnt_vscnt null, 0x0
	s_barrier
	buffer_gl0_inv
	s_clause 0x7
	scratch_load_b128 v[2:5], off, off offset:112
	scratch_load_b128 v[6:9], off, off offset:128
	;; [unrolled: 1-line block ×8, first 2 shown]
	v_mov_b32_e32 v1, 0
	s_mov_b32 s2, exec_lo
	ds_load_b128 v[38:41], v1 offset:848
	s_clause 0x1
	scratch_load_b128 v[34:37], off, off offset:240
	scratch_load_b128 v[42:45], off, off offset:96
	ds_load_b128 v[185:188], v1 offset:864
	scratch_load_b128 v[189:192], off, off offset:256
	s_waitcnt vmcnt(10) lgkmcnt(1)
	v_mul_f64 v[193:194], v[40:41], v[4:5]
	v_mul_f64 v[4:5], v[38:39], v[4:5]
	s_delay_alu instid0(VALU_DEP_2) | instskip(NEXT) | instid1(VALU_DEP_2)
	v_fma_f64 v[199:200], v[38:39], v[2:3], -v[193:194]
	v_fma_f64 v[201:202], v[40:41], v[2:3], v[4:5]
	scratch_load_b128 v[38:41], off, off offset:272
	ds_load_b128 v[2:5], v1 offset:880
	s_waitcnt vmcnt(10) lgkmcnt(1)
	v_mul_f64 v[197:198], v[185:186], v[8:9]
	v_mul_f64 v[8:9], v[187:188], v[8:9]
	ds_load_b128 v[193:196], v1 offset:896
	s_waitcnt vmcnt(9) lgkmcnt(1)
	v_mul_f64 v[203:204], v[2:3], v[12:13]
	v_mul_f64 v[12:13], v[4:5], v[12:13]
	v_fma_f64 v[187:188], v[187:188], v[6:7], v[197:198]
	v_fma_f64 v[185:186], v[185:186], v[6:7], -v[8:9]
	v_add_f64 v[197:198], v[199:200], 0
	v_add_f64 v[199:200], v[201:202], 0
	scratch_load_b128 v[6:9], off, off offset:288
	v_fma_f64 v[203:204], v[4:5], v[10:11], v[203:204]
	v_fma_f64 v[205:206], v[2:3], v[10:11], -v[12:13]
	scratch_load_b128 v[10:13], off, off offset:304
	ds_load_b128 v[2:5], v1 offset:912
	s_waitcnt vmcnt(10) lgkmcnt(1)
	v_mul_f64 v[201:202], v[193:194], v[16:17]
	v_mul_f64 v[16:17], v[195:196], v[16:17]
	v_add_f64 v[197:198], v[197:198], v[185:186]
	v_add_f64 v[199:200], v[199:200], v[187:188]
	s_waitcnt vmcnt(9) lgkmcnt(0)
	v_mul_f64 v[207:208], v[2:3], v[20:21]
	v_mul_f64 v[20:21], v[4:5], v[20:21]
	ds_load_b128 v[185:188], v1 offset:928
	v_fma_f64 v[195:196], v[195:196], v[14:15], v[201:202]
	v_fma_f64 v[193:194], v[193:194], v[14:15], -v[16:17]
	scratch_load_b128 v[14:17], off, off offset:320
	v_add_f64 v[197:198], v[197:198], v[205:206]
	v_add_f64 v[199:200], v[199:200], v[203:204]
	v_fma_f64 v[203:204], v[4:5], v[18:19], v[207:208]
	v_fma_f64 v[205:206], v[2:3], v[18:19], -v[20:21]
	scratch_load_b128 v[18:21], off, off offset:336
	ds_load_b128 v[2:5], v1 offset:944
	s_waitcnt vmcnt(10) lgkmcnt(1)
	v_mul_f64 v[201:202], v[185:186], v[24:25]
	v_mul_f64 v[24:25], v[187:188], v[24:25]
	s_waitcnt vmcnt(9) lgkmcnt(0)
	v_mul_f64 v[207:208], v[2:3], v[28:29]
	v_mul_f64 v[28:29], v[4:5], v[28:29]
	v_add_f64 v[197:198], v[197:198], v[193:194]
	v_add_f64 v[199:200], v[199:200], v[195:196]
	ds_load_b128 v[193:196], v1 offset:960
	v_fma_f64 v[187:188], v[187:188], v[22:23], v[201:202]
	v_fma_f64 v[185:186], v[185:186], v[22:23], -v[24:25]
	scratch_load_b128 v[22:25], off, off offset:352
	v_add_f64 v[197:198], v[197:198], v[205:206]
	v_add_f64 v[199:200], v[199:200], v[203:204]
	v_fma_f64 v[203:204], v[4:5], v[26:27], v[207:208]
	v_fma_f64 v[205:206], v[2:3], v[26:27], -v[28:29]
	scratch_load_b128 v[26:29], off, off offset:368
	ds_load_b128 v[2:5], v1 offset:976
	s_waitcnt vmcnt(10) lgkmcnt(1)
	v_mul_f64 v[201:202], v[193:194], v[32:33]
	v_mul_f64 v[32:33], v[195:196], v[32:33]
	s_waitcnt vmcnt(9) lgkmcnt(0)
	v_mul_f64 v[207:208], v[2:3], v[36:37]
	v_mul_f64 v[36:37], v[4:5], v[36:37]
	v_add_f64 v[197:198], v[197:198], v[185:186]
	v_add_f64 v[199:200], v[199:200], v[187:188]
	ds_load_b128 v[185:188], v1 offset:992
	v_fma_f64 v[195:196], v[195:196], v[30:31], v[201:202]
	v_fma_f64 v[193:194], v[193:194], v[30:31], -v[32:33]
	scratch_load_b128 v[30:33], off, off offset:384
	v_add_f64 v[197:198], v[197:198], v[205:206]
	v_add_f64 v[199:200], v[199:200], v[203:204]
	v_fma_f64 v[205:206], v[4:5], v[34:35], v[207:208]
	v_fma_f64 v[207:208], v[2:3], v[34:35], -v[36:37]
	scratch_load_b128 v[34:37], off, off offset:400
	ds_load_b128 v[2:5], v1 offset:1008
	s_waitcnt vmcnt(9) lgkmcnt(1)
	v_mul_f64 v[201:202], v[185:186], v[191:192]
	v_mul_f64 v[203:204], v[187:188], v[191:192]
	v_add_f64 v[197:198], v[197:198], v[193:194]
	v_add_f64 v[195:196], v[199:200], v[195:196]
	ds_load_b128 v[191:194], v1 offset:1024
	v_fma_f64 v[201:202], v[187:188], v[189:190], v[201:202]
	v_fma_f64 v[189:190], v[185:186], v[189:190], -v[203:204]
	scratch_load_b128 v[185:188], off, off offset:416
	s_waitcnt vmcnt(9) lgkmcnt(1)
	v_mul_f64 v[199:200], v[2:3], v[40:41]
	v_mul_f64 v[40:41], v[4:5], v[40:41]
	v_add_f64 v[197:198], v[197:198], v[207:208]
	v_add_f64 v[195:196], v[195:196], v[205:206]
	s_delay_alu instid0(VALU_DEP_4) | instskip(NEXT) | instid1(VALU_DEP_4)
	v_fma_f64 v[199:200], v[4:5], v[38:39], v[199:200]
	v_fma_f64 v[205:206], v[2:3], v[38:39], -v[40:41]
	scratch_load_b128 v[38:41], off, off offset:432
	ds_load_b128 v[2:5], v1 offset:1040
	s_waitcnt vmcnt(9) lgkmcnt(1)
	v_mul_f64 v[203:204], v[191:192], v[8:9]
	v_mul_f64 v[8:9], v[193:194], v[8:9]
	s_waitcnt vmcnt(8) lgkmcnt(0)
	v_mul_f64 v[207:208], v[2:3], v[12:13]
	v_mul_f64 v[12:13], v[4:5], v[12:13]
	v_add_f64 v[189:190], v[197:198], v[189:190]
	v_add_f64 v[201:202], v[195:196], v[201:202]
	ds_load_b128 v[195:198], v1 offset:1056
	v_fma_f64 v[193:194], v[193:194], v[6:7], v[203:204]
	v_fma_f64 v[191:192], v[191:192], v[6:7], -v[8:9]
	scratch_load_b128 v[6:9], off, off offset:448
	v_fma_f64 v[203:204], v[4:5], v[10:11], v[207:208]
	v_add_f64 v[189:190], v[189:190], v[205:206]
	v_add_f64 v[199:200], v[201:202], v[199:200]
	v_fma_f64 v[205:206], v[2:3], v[10:11], -v[12:13]
	scratch_load_b128 v[10:13], off, off offset:464
	ds_load_b128 v[2:5], v1 offset:1072
	s_waitcnt vmcnt(9) lgkmcnt(1)
	v_mul_f64 v[201:202], v[195:196], v[16:17]
	v_mul_f64 v[16:17], v[197:198], v[16:17]
	v_add_f64 v[207:208], v[189:190], v[191:192]
	v_add_f64 v[193:194], v[199:200], v[193:194]
	s_waitcnt vmcnt(8) lgkmcnt(0)
	v_mul_f64 v[199:200], v[2:3], v[20:21]
	v_mul_f64 v[20:21], v[4:5], v[20:21]
	ds_load_b128 v[189:192], v1 offset:1088
	v_fma_f64 v[197:198], v[197:198], v[14:15], v[201:202]
	v_fma_f64 v[195:196], v[195:196], v[14:15], -v[16:17]
	scratch_load_b128 v[14:17], off, off offset:480
	v_add_f64 v[201:202], v[207:208], v[205:206]
	v_add_f64 v[193:194], v[193:194], v[203:204]
	v_fma_f64 v[199:200], v[4:5], v[18:19], v[199:200]
	v_fma_f64 v[205:206], v[2:3], v[18:19], -v[20:21]
	scratch_load_b128 v[18:21], off, off offset:496
	ds_load_b128 v[2:5], v1 offset:1104
	s_waitcnt vmcnt(9) lgkmcnt(1)
	v_mul_f64 v[203:204], v[189:190], v[24:25]
	v_mul_f64 v[24:25], v[191:192], v[24:25]
	s_waitcnt vmcnt(8) lgkmcnt(0)
	v_mul_f64 v[207:208], v[2:3], v[28:29]
	v_mul_f64 v[28:29], v[4:5], v[28:29]
	v_add_f64 v[201:202], v[201:202], v[195:196]
	v_add_f64 v[197:198], v[193:194], v[197:198]
	ds_load_b128 v[193:196], v1 offset:1120
	v_fma_f64 v[191:192], v[191:192], v[22:23], v[203:204]
	v_fma_f64 v[189:190], v[189:190], v[22:23], -v[24:25]
	scratch_load_b128 v[22:25], off, off offset:512
	v_fma_f64 v[203:204], v[4:5], v[26:27], v[207:208]
	v_add_f64 v[201:202], v[201:202], v[205:206]
	v_add_f64 v[197:198], v[197:198], v[199:200]
	v_fma_f64 v[205:206], v[2:3], v[26:27], -v[28:29]
	scratch_load_b128 v[26:29], off, off offset:528
	ds_load_b128 v[2:5], v1 offset:1136
	s_waitcnt vmcnt(9) lgkmcnt(1)
	v_mul_f64 v[199:200], v[193:194], v[32:33]
	v_mul_f64 v[32:33], v[195:196], v[32:33]
	s_waitcnt vmcnt(8) lgkmcnt(0)
	v_mul_f64 v[207:208], v[2:3], v[36:37]
	v_mul_f64 v[36:37], v[4:5], v[36:37]
	v_add_f64 v[201:202], v[201:202], v[189:190]
	v_add_f64 v[197:198], v[197:198], v[191:192]
	ds_load_b128 v[189:192], v1 offset:1152
	v_fma_f64 v[195:196], v[195:196], v[30:31], v[199:200]
	v_fma_f64 v[193:194], v[193:194], v[30:31], -v[32:33]
	scratch_load_b128 v[30:33], off, off offset:544
	v_add_f64 v[199:200], v[201:202], v[205:206]
	v_add_f64 v[197:198], v[197:198], v[203:204]
	v_fma_f64 v[203:204], v[4:5], v[34:35], v[207:208]
	v_fma_f64 v[205:206], v[2:3], v[34:35], -v[36:37]
	scratch_load_b128 v[34:37], off, off offset:560
	ds_load_b128 v[2:5], v1 offset:1168
	s_waitcnt vmcnt(9) lgkmcnt(1)
	v_mul_f64 v[201:202], v[189:190], v[187:188]
	v_mul_f64 v[187:188], v[191:192], v[187:188]
	s_waitcnt vmcnt(8) lgkmcnt(0)
	v_mul_f64 v[207:208], v[2:3], v[40:41]
	v_mul_f64 v[40:41], v[4:5], v[40:41]
	v_add_f64 v[199:200], v[199:200], v[193:194]
	v_add_f64 v[197:198], v[197:198], v[195:196]
	ds_load_b128 v[193:196], v1 offset:1184
	v_fma_f64 v[191:192], v[191:192], v[185:186], v[201:202]
	v_fma_f64 v[189:190], v[189:190], v[185:186], -v[187:188]
	scratch_load_b128 v[185:188], off, off offset:576
	v_add_f64 v[199:200], v[199:200], v[205:206]
	v_add_f64 v[197:198], v[197:198], v[203:204]
	v_fma_f64 v[203:204], v[4:5], v[38:39], v[207:208]
	;; [unrolled: 18-line block ×6, first 2 shown]
	v_fma_f64 v[207:208], v[2:3], v[34:35], -v[36:37]
	scratch_load_b128 v[34:37], off, off offset:720
	ds_load_b128 v[2:5], v1 offset:1328
	s_waitcnt vmcnt(9) lgkmcnt(1)
	v_mul_f64 v[201:202], v[193:194], v[187:188]
	v_mul_f64 v[203:204], v[195:196], v[187:188]
	v_add_f64 v[199:200], v[199:200], v[189:190]
	v_add_f64 v[191:192], v[197:198], v[191:192]
	s_waitcnt vmcnt(8) lgkmcnt(0)
	v_mul_f64 v[197:198], v[2:3], v[40:41]
	v_mul_f64 v[40:41], v[4:5], v[40:41]
	ds_load_b128 v[187:190], v1 offset:1344
	v_fma_f64 v[195:196], v[195:196], v[185:186], v[201:202]
	v_fma_f64 v[185:186], v[193:194], v[185:186], -v[203:204]
	v_add_f64 v[193:194], v[199:200], v[207:208]
	v_add_f64 v[191:192], v[191:192], v[205:206]
	s_waitcnt vmcnt(7) lgkmcnt(0)
	v_mul_f64 v[199:200], v[187:188], v[8:9]
	v_mul_f64 v[8:9], v[189:190], v[8:9]
	v_fma_f64 v[197:198], v[4:5], v[38:39], v[197:198]
	v_fma_f64 v[201:202], v[2:3], v[38:39], -v[40:41]
	ds_load_b128 v[2:5], v1 offset:1360
	ds_load_b128 v[38:41], v1 offset:1376
	v_add_f64 v[185:186], v[193:194], v[185:186]
	v_add_f64 v[191:192], v[191:192], v[195:196]
	s_waitcnt vmcnt(6) lgkmcnt(1)
	v_mul_f64 v[193:194], v[2:3], v[12:13]
	v_mul_f64 v[12:13], v[4:5], v[12:13]
	v_fma_f64 v[189:190], v[189:190], v[6:7], v[199:200]
	v_fma_f64 v[6:7], v[187:188], v[6:7], -v[8:9]
	s_waitcnt vmcnt(5) lgkmcnt(0)
	v_mul_f64 v[187:188], v[38:39], v[16:17]
	v_mul_f64 v[16:17], v[40:41], v[16:17]
	v_add_f64 v[8:9], v[185:186], v[201:202]
	v_add_f64 v[185:186], v[191:192], v[197:198]
	v_fma_f64 v[191:192], v[4:5], v[10:11], v[193:194]
	v_fma_f64 v[10:11], v[2:3], v[10:11], -v[12:13]
	v_fma_f64 v[40:41], v[40:41], v[14:15], v[187:188]
	v_fma_f64 v[14:15], v[38:39], v[14:15], -v[16:17]
	v_add_f64 v[12:13], v[8:9], v[6:7]
	v_add_f64 v[185:186], v[185:186], v[189:190]
	ds_load_b128 v[2:5], v1 offset:1392
	ds_load_b128 v[6:9], v1 offset:1408
	s_waitcnt vmcnt(4) lgkmcnt(1)
	v_mul_f64 v[189:190], v[2:3], v[20:21]
	v_mul_f64 v[20:21], v[4:5], v[20:21]
	s_waitcnt vmcnt(3) lgkmcnt(0)
	v_mul_f64 v[16:17], v[6:7], v[24:25]
	v_mul_f64 v[24:25], v[8:9], v[24:25]
	v_add_f64 v[10:11], v[12:13], v[10:11]
	v_add_f64 v[12:13], v[185:186], v[191:192]
	v_fma_f64 v[38:39], v[4:5], v[18:19], v[189:190]
	v_fma_f64 v[18:19], v[2:3], v[18:19], -v[20:21]
	v_fma_f64 v[8:9], v[8:9], v[22:23], v[16:17]
	v_fma_f64 v[6:7], v[6:7], v[22:23], -v[24:25]
	v_add_f64 v[14:15], v[10:11], v[14:15]
	v_add_f64 v[20:21], v[12:13], v[40:41]
	ds_load_b128 v[2:5], v1 offset:1424
	ds_load_b128 v[10:13], v1 offset:1440
	s_waitcnt vmcnt(2) lgkmcnt(1)
	v_mul_f64 v[40:41], v[2:3], v[28:29]
	v_mul_f64 v[28:29], v[4:5], v[28:29]
	v_add_f64 v[14:15], v[14:15], v[18:19]
	v_add_f64 v[16:17], v[20:21], v[38:39]
	s_waitcnt vmcnt(1) lgkmcnt(0)
	v_mul_f64 v[18:19], v[10:11], v[32:33]
	v_mul_f64 v[20:21], v[12:13], v[32:33]
	v_fma_f64 v[22:23], v[4:5], v[26:27], v[40:41]
	v_fma_f64 v[24:25], v[2:3], v[26:27], -v[28:29]
	ds_load_b128 v[2:5], v1 offset:1456
	v_add_f64 v[6:7], v[14:15], v[6:7]
	v_add_f64 v[8:9], v[16:17], v[8:9]
	v_fma_f64 v[12:13], v[12:13], v[30:31], v[18:19]
	v_fma_f64 v[10:11], v[10:11], v[30:31], -v[20:21]
	s_waitcnt vmcnt(0) lgkmcnt(0)
	v_mul_f64 v[14:15], v[2:3], v[36:37]
	v_mul_f64 v[16:17], v[4:5], v[36:37]
	v_add_f64 v[6:7], v[6:7], v[24:25]
	v_add_f64 v[8:9], v[8:9], v[22:23]
	s_delay_alu instid0(VALU_DEP_4) | instskip(NEXT) | instid1(VALU_DEP_4)
	v_fma_f64 v[4:5], v[4:5], v[34:35], v[14:15]
	v_fma_f64 v[2:3], v[2:3], v[34:35], -v[16:17]
	s_delay_alu instid0(VALU_DEP_4) | instskip(NEXT) | instid1(VALU_DEP_4)
	v_add_f64 v[6:7], v[6:7], v[10:11]
	v_add_f64 v[8:9], v[8:9], v[12:13]
	s_delay_alu instid0(VALU_DEP_2) | instskip(NEXT) | instid1(VALU_DEP_2)
	v_add_f64 v[2:3], v[6:7], v[2:3]
	v_add_f64 v[4:5], v[8:9], v[4:5]
	s_delay_alu instid0(VALU_DEP_2) | instskip(NEXT) | instid1(VALU_DEP_2)
	v_add_f64 v[2:3], v[42:43], -v[2:3]
	v_add_f64 v[4:5], v[44:45], -v[4:5]
	scratch_store_b128 off, v[2:5], off offset:96
	v_cmpx_lt_u32_e32 5, v138
	s_cbranch_execz .LBB109_279
; %bb.278:
	scratch_load_b128 v[5:8], v179, off
	v_mov_b32_e32 v2, v1
	v_mov_b32_e32 v3, v1
	;; [unrolled: 1-line block ×3, first 2 shown]
	scratch_store_b128 off, v[1:4], off offset:80
	s_waitcnt vmcnt(0)
	ds_store_b128 v184, v[5:8]
.LBB109_279:
	s_or_b32 exec_lo, exec_lo, s2
	s_waitcnt lgkmcnt(0)
	s_waitcnt_vscnt null, 0x0
	s_barrier
	buffer_gl0_inv
	s_clause 0x8
	scratch_load_b128 v[2:5], off, off offset:96
	scratch_load_b128 v[6:9], off, off offset:112
	;; [unrolled: 1-line block ×9, first 2 shown]
	ds_load_b128 v[42:45], v1 offset:832
	ds_load_b128 v[38:41], v1 offset:848
	s_clause 0x1
	scratch_load_b128 v[185:188], off, off offset:80
	scratch_load_b128 v[189:192], off, off offset:240
	s_mov_b32 s2, exec_lo
	s_waitcnt vmcnt(10) lgkmcnt(1)
	v_mul_f64 v[193:194], v[44:45], v[4:5]
	v_mul_f64 v[4:5], v[42:43], v[4:5]
	s_waitcnt vmcnt(9) lgkmcnt(0)
	v_mul_f64 v[197:198], v[38:39], v[8:9]
	v_mul_f64 v[8:9], v[40:41], v[8:9]
	s_delay_alu instid0(VALU_DEP_4) | instskip(NEXT) | instid1(VALU_DEP_4)
	v_fma_f64 v[199:200], v[42:43], v[2:3], -v[193:194]
	v_fma_f64 v[201:202], v[44:45], v[2:3], v[4:5]
	ds_load_b128 v[2:5], v1 offset:864
	ds_load_b128 v[193:196], v1 offset:880
	scratch_load_b128 v[42:45], off, off offset:256
	v_fma_f64 v[40:41], v[40:41], v[6:7], v[197:198]
	v_fma_f64 v[38:39], v[38:39], v[6:7], -v[8:9]
	scratch_load_b128 v[6:9], off, off offset:272
	s_waitcnt vmcnt(10) lgkmcnt(1)
	v_mul_f64 v[203:204], v[2:3], v[12:13]
	v_mul_f64 v[12:13], v[4:5], v[12:13]
	v_add_f64 v[197:198], v[199:200], 0
	v_add_f64 v[199:200], v[201:202], 0
	s_waitcnt vmcnt(9) lgkmcnt(0)
	v_mul_f64 v[201:202], v[193:194], v[16:17]
	v_mul_f64 v[16:17], v[195:196], v[16:17]
	v_fma_f64 v[203:204], v[4:5], v[10:11], v[203:204]
	v_fma_f64 v[205:206], v[2:3], v[10:11], -v[12:13]
	ds_load_b128 v[2:5], v1 offset:896
	scratch_load_b128 v[10:13], off, off offset:288
	v_add_f64 v[197:198], v[197:198], v[38:39]
	v_add_f64 v[199:200], v[199:200], v[40:41]
	ds_load_b128 v[38:41], v1 offset:912
	v_fma_f64 v[195:196], v[195:196], v[14:15], v[201:202]
	v_fma_f64 v[193:194], v[193:194], v[14:15], -v[16:17]
	scratch_load_b128 v[14:17], off, off offset:304
	s_waitcnt vmcnt(10) lgkmcnt(1)
	v_mul_f64 v[207:208], v[2:3], v[20:21]
	v_mul_f64 v[20:21], v[4:5], v[20:21]
	s_waitcnt vmcnt(9) lgkmcnt(0)
	v_mul_f64 v[201:202], v[38:39], v[24:25]
	v_mul_f64 v[24:25], v[40:41], v[24:25]
	v_add_f64 v[197:198], v[197:198], v[205:206]
	v_add_f64 v[199:200], v[199:200], v[203:204]
	v_fma_f64 v[203:204], v[4:5], v[18:19], v[207:208]
	v_fma_f64 v[205:206], v[2:3], v[18:19], -v[20:21]
	ds_load_b128 v[2:5], v1 offset:928
	scratch_load_b128 v[18:21], off, off offset:320
	v_fma_f64 v[40:41], v[40:41], v[22:23], v[201:202]
	v_fma_f64 v[38:39], v[38:39], v[22:23], -v[24:25]
	scratch_load_b128 v[22:25], off, off offset:336
	v_add_f64 v[197:198], v[197:198], v[193:194]
	v_add_f64 v[199:200], v[199:200], v[195:196]
	ds_load_b128 v[193:196], v1 offset:944
	s_waitcnt vmcnt(10) lgkmcnt(1)
	v_mul_f64 v[207:208], v[2:3], v[28:29]
	v_mul_f64 v[28:29], v[4:5], v[28:29]
	s_waitcnt vmcnt(9) lgkmcnt(0)
	v_mul_f64 v[201:202], v[193:194], v[32:33]
	v_mul_f64 v[32:33], v[195:196], v[32:33]
	v_add_f64 v[197:198], v[197:198], v[205:206]
	v_add_f64 v[199:200], v[199:200], v[203:204]
	v_fma_f64 v[203:204], v[4:5], v[26:27], v[207:208]
	v_fma_f64 v[205:206], v[2:3], v[26:27], -v[28:29]
	ds_load_b128 v[2:5], v1 offset:960
	scratch_load_b128 v[26:29], off, off offset:352
	v_fma_f64 v[195:196], v[195:196], v[30:31], v[201:202]
	v_fma_f64 v[193:194], v[193:194], v[30:31], -v[32:33]
	scratch_load_b128 v[30:33], off, off offset:368
	v_add_f64 v[197:198], v[197:198], v[38:39]
	v_add_f64 v[199:200], v[199:200], v[40:41]
	ds_load_b128 v[38:41], v1 offset:976
	s_waitcnt vmcnt(10) lgkmcnt(1)
	v_mul_f64 v[207:208], v[2:3], v[36:37]
	v_mul_f64 v[36:37], v[4:5], v[36:37]
	s_waitcnt vmcnt(8) lgkmcnt(0)
	v_mul_f64 v[201:202], v[38:39], v[191:192]
	v_add_f64 v[197:198], v[197:198], v[205:206]
	v_add_f64 v[199:200], v[199:200], v[203:204]
	v_mul_f64 v[203:204], v[40:41], v[191:192]
	v_fma_f64 v[205:206], v[4:5], v[34:35], v[207:208]
	v_fma_f64 v[207:208], v[2:3], v[34:35], -v[36:37]
	ds_load_b128 v[2:5], v1 offset:992
	scratch_load_b128 v[34:37], off, off offset:384
	v_fma_f64 v[201:202], v[40:41], v[189:190], v[201:202]
	v_add_f64 v[197:198], v[197:198], v[193:194]
	v_add_f64 v[195:196], v[199:200], v[195:196]
	ds_load_b128 v[191:194], v1 offset:1008
	v_fma_f64 v[189:190], v[38:39], v[189:190], -v[203:204]
	scratch_load_b128 v[38:41], off, off offset:400
	s_waitcnt vmcnt(9) lgkmcnt(1)
	v_mul_f64 v[199:200], v[2:3], v[44:45]
	v_mul_f64 v[44:45], v[4:5], v[44:45]
	s_waitcnt vmcnt(8) lgkmcnt(0)
	v_mul_f64 v[203:204], v[191:192], v[8:9]
	v_mul_f64 v[8:9], v[193:194], v[8:9]
	v_add_f64 v[197:198], v[197:198], v[207:208]
	v_add_f64 v[195:196], v[195:196], v[205:206]
	v_fma_f64 v[199:200], v[4:5], v[42:43], v[199:200]
	v_fma_f64 v[205:206], v[2:3], v[42:43], -v[44:45]
	ds_load_b128 v[2:5], v1 offset:1024
	scratch_load_b128 v[42:45], off, off offset:416
	v_fma_f64 v[193:194], v[193:194], v[6:7], v[203:204]
	v_fma_f64 v[191:192], v[191:192], v[6:7], -v[8:9]
	scratch_load_b128 v[6:9], off, off offset:432
	v_add_f64 v[189:190], v[197:198], v[189:190]
	v_add_f64 v[201:202], v[195:196], v[201:202]
	ds_load_b128 v[195:198], v1 offset:1040
	s_waitcnt vmcnt(9) lgkmcnt(1)
	v_mul_f64 v[207:208], v[2:3], v[12:13]
	v_mul_f64 v[12:13], v[4:5], v[12:13]
	v_add_f64 v[189:190], v[189:190], v[205:206]
	v_add_f64 v[199:200], v[201:202], v[199:200]
	s_waitcnt vmcnt(8) lgkmcnt(0)
	v_mul_f64 v[201:202], v[195:196], v[16:17]
	v_mul_f64 v[16:17], v[197:198], v[16:17]
	v_fma_f64 v[203:204], v[4:5], v[10:11], v[207:208]
	v_fma_f64 v[205:206], v[2:3], v[10:11], -v[12:13]
	ds_load_b128 v[2:5], v1 offset:1056
	scratch_load_b128 v[10:13], off, off offset:448
	v_add_f64 v[207:208], v[189:190], v[191:192]
	v_add_f64 v[193:194], v[199:200], v[193:194]
	ds_load_b128 v[189:192], v1 offset:1072
	s_waitcnt vmcnt(8) lgkmcnt(1)
	v_mul_f64 v[199:200], v[2:3], v[20:21]
	v_mul_f64 v[20:21], v[4:5], v[20:21]
	v_fma_f64 v[197:198], v[197:198], v[14:15], v[201:202]
	v_fma_f64 v[195:196], v[195:196], v[14:15], -v[16:17]
	scratch_load_b128 v[14:17], off, off offset:464
	v_add_f64 v[201:202], v[207:208], v[205:206]
	v_add_f64 v[193:194], v[193:194], v[203:204]
	s_waitcnt vmcnt(8) lgkmcnt(0)
	v_mul_f64 v[203:204], v[189:190], v[24:25]
	v_mul_f64 v[24:25], v[191:192], v[24:25]
	v_fma_f64 v[199:200], v[4:5], v[18:19], v[199:200]
	v_fma_f64 v[205:206], v[2:3], v[18:19], -v[20:21]
	ds_load_b128 v[2:5], v1 offset:1088
	scratch_load_b128 v[18:21], off, off offset:480
	v_add_f64 v[201:202], v[201:202], v[195:196]
	v_add_f64 v[197:198], v[193:194], v[197:198]
	ds_load_b128 v[193:196], v1 offset:1104
	s_waitcnt vmcnt(8) lgkmcnt(1)
	v_mul_f64 v[207:208], v[2:3], v[28:29]
	v_mul_f64 v[28:29], v[4:5], v[28:29]
	v_fma_f64 v[191:192], v[191:192], v[22:23], v[203:204]
	v_fma_f64 v[189:190], v[189:190], v[22:23], -v[24:25]
	scratch_load_b128 v[22:25], off, off offset:496
	;; [unrolled: 18-line block ×4, first 2 shown]
	s_waitcnt vmcnt(8) lgkmcnt(0)
	v_mul_f64 v[201:202], v[193:194], v[8:9]
	v_mul_f64 v[8:9], v[195:196], v[8:9]
	v_add_f64 v[199:200], v[199:200], v[205:206]
	v_add_f64 v[197:198], v[197:198], v[203:204]
	v_fma_f64 v[203:204], v[4:5], v[42:43], v[207:208]
	v_fma_f64 v[205:206], v[2:3], v[42:43], -v[44:45]
	ds_load_b128 v[2:5], v1 offset:1184
	scratch_load_b128 v[42:45], off, off offset:576
	v_fma_f64 v[195:196], v[195:196], v[6:7], v[201:202]
	v_fma_f64 v[193:194], v[193:194], v[6:7], -v[8:9]
	scratch_load_b128 v[6:9], off, off offset:592
	v_add_f64 v[199:200], v[199:200], v[189:190]
	v_add_f64 v[197:198], v[197:198], v[191:192]
	ds_load_b128 v[189:192], v1 offset:1200
	s_waitcnt vmcnt(9) lgkmcnt(1)
	v_mul_f64 v[207:208], v[2:3], v[12:13]
	v_mul_f64 v[12:13], v[4:5], v[12:13]
	s_waitcnt vmcnt(8) lgkmcnt(0)
	v_mul_f64 v[201:202], v[189:190], v[16:17]
	v_mul_f64 v[16:17], v[191:192], v[16:17]
	v_add_f64 v[199:200], v[199:200], v[205:206]
	v_add_f64 v[197:198], v[197:198], v[203:204]
	v_fma_f64 v[203:204], v[4:5], v[10:11], v[207:208]
	v_fma_f64 v[205:206], v[2:3], v[10:11], -v[12:13]
	ds_load_b128 v[2:5], v1 offset:1216
	scratch_load_b128 v[10:13], off, off offset:608
	v_fma_f64 v[191:192], v[191:192], v[14:15], v[201:202]
	v_fma_f64 v[189:190], v[189:190], v[14:15], -v[16:17]
	scratch_load_b128 v[14:17], off, off offset:624
	v_add_f64 v[199:200], v[199:200], v[193:194]
	v_add_f64 v[197:198], v[197:198], v[195:196]
	ds_load_b128 v[193:196], v1 offset:1232
	s_waitcnt vmcnt(9) lgkmcnt(1)
	v_mul_f64 v[207:208], v[2:3], v[20:21]
	v_mul_f64 v[20:21], v[4:5], v[20:21]
	;; [unrolled: 18-line block ×5, first 2 shown]
	s_waitcnt vmcnt(8) lgkmcnt(0)
	v_mul_f64 v[201:202], v[189:190], v[8:9]
	v_mul_f64 v[8:9], v[191:192], v[8:9]
	v_add_f64 v[199:200], v[199:200], v[205:206]
	v_add_f64 v[197:198], v[197:198], v[203:204]
	v_fma_f64 v[203:204], v[4:5], v[42:43], v[207:208]
	v_fma_f64 v[205:206], v[2:3], v[42:43], -v[44:45]
	ds_load_b128 v[2:5], v1 offset:1344
	ds_load_b128 v[42:45], v1 offset:1360
	v_fma_f64 v[191:192], v[191:192], v[6:7], v[201:202]
	v_fma_f64 v[6:7], v[189:190], v[6:7], -v[8:9]
	v_add_f64 v[193:194], v[199:200], v[193:194]
	v_add_f64 v[195:196], v[197:198], v[195:196]
	s_waitcnt vmcnt(7) lgkmcnt(1)
	v_mul_f64 v[197:198], v[2:3], v[12:13]
	v_mul_f64 v[12:13], v[4:5], v[12:13]
	s_delay_alu instid0(VALU_DEP_4) | instskip(NEXT) | instid1(VALU_DEP_4)
	v_add_f64 v[8:9], v[193:194], v[205:206]
	v_add_f64 v[189:190], v[195:196], v[203:204]
	s_waitcnt vmcnt(6) lgkmcnt(0)
	v_mul_f64 v[193:194], v[42:43], v[16:17]
	v_mul_f64 v[16:17], v[44:45], v[16:17]
	v_fma_f64 v[195:196], v[4:5], v[10:11], v[197:198]
	v_fma_f64 v[10:11], v[2:3], v[10:11], -v[12:13]
	v_add_f64 v[12:13], v[8:9], v[6:7]
	v_add_f64 v[189:190], v[189:190], v[191:192]
	ds_load_b128 v[2:5], v1 offset:1376
	ds_load_b128 v[6:9], v1 offset:1392
	v_fma_f64 v[44:45], v[44:45], v[14:15], v[193:194]
	v_fma_f64 v[14:15], v[42:43], v[14:15], -v[16:17]
	s_waitcnt vmcnt(5) lgkmcnt(1)
	v_mul_f64 v[191:192], v[2:3], v[20:21]
	v_mul_f64 v[20:21], v[4:5], v[20:21]
	s_waitcnt vmcnt(4) lgkmcnt(0)
	v_mul_f64 v[16:17], v[6:7], v[24:25]
	v_mul_f64 v[24:25], v[8:9], v[24:25]
	v_add_f64 v[10:11], v[12:13], v[10:11]
	v_add_f64 v[12:13], v[189:190], v[195:196]
	v_fma_f64 v[42:43], v[4:5], v[18:19], v[191:192]
	v_fma_f64 v[18:19], v[2:3], v[18:19], -v[20:21]
	v_fma_f64 v[8:9], v[8:9], v[22:23], v[16:17]
	v_fma_f64 v[6:7], v[6:7], v[22:23], -v[24:25]
	v_add_f64 v[14:15], v[10:11], v[14:15]
	v_add_f64 v[20:21], v[12:13], v[44:45]
	ds_load_b128 v[2:5], v1 offset:1408
	ds_load_b128 v[10:13], v1 offset:1424
	s_waitcnt vmcnt(3) lgkmcnt(1)
	v_mul_f64 v[44:45], v[2:3], v[28:29]
	v_mul_f64 v[28:29], v[4:5], v[28:29]
	v_add_f64 v[14:15], v[14:15], v[18:19]
	v_add_f64 v[16:17], v[20:21], v[42:43]
	s_waitcnt vmcnt(2) lgkmcnt(0)
	v_mul_f64 v[18:19], v[10:11], v[32:33]
	v_mul_f64 v[20:21], v[12:13], v[32:33]
	v_fma_f64 v[22:23], v[4:5], v[26:27], v[44:45]
	v_fma_f64 v[24:25], v[2:3], v[26:27], -v[28:29]
	v_add_f64 v[14:15], v[14:15], v[6:7]
	v_add_f64 v[16:17], v[16:17], v[8:9]
	ds_load_b128 v[2:5], v1 offset:1440
	ds_load_b128 v[6:9], v1 offset:1456
	v_fma_f64 v[12:13], v[12:13], v[30:31], v[18:19]
	v_fma_f64 v[10:11], v[10:11], v[30:31], -v[20:21]
	s_waitcnt vmcnt(1) lgkmcnt(1)
	v_mul_f64 v[26:27], v[2:3], v[36:37]
	v_mul_f64 v[28:29], v[4:5], v[36:37]
	s_waitcnt vmcnt(0) lgkmcnt(0)
	v_mul_f64 v[18:19], v[6:7], v[40:41]
	v_mul_f64 v[20:21], v[8:9], v[40:41]
	v_add_f64 v[14:15], v[14:15], v[24:25]
	v_add_f64 v[16:17], v[16:17], v[22:23]
	v_fma_f64 v[4:5], v[4:5], v[34:35], v[26:27]
	v_fma_f64 v[1:2], v[2:3], v[34:35], -v[28:29]
	v_fma_f64 v[8:9], v[8:9], v[38:39], v[18:19]
	v_fma_f64 v[6:7], v[6:7], v[38:39], -v[20:21]
	v_add_f64 v[10:11], v[14:15], v[10:11]
	v_add_f64 v[12:13], v[16:17], v[12:13]
	s_delay_alu instid0(VALU_DEP_2) | instskip(NEXT) | instid1(VALU_DEP_2)
	v_add_f64 v[1:2], v[10:11], v[1:2]
	v_add_f64 v[3:4], v[12:13], v[4:5]
	s_delay_alu instid0(VALU_DEP_2) | instskip(NEXT) | instid1(VALU_DEP_2)
	v_add_f64 v[1:2], v[1:2], v[6:7]
	v_add_f64 v[3:4], v[3:4], v[8:9]
	s_delay_alu instid0(VALU_DEP_2) | instskip(NEXT) | instid1(VALU_DEP_2)
	v_add_f64 v[1:2], v[185:186], -v[1:2]
	v_add_f64 v[3:4], v[187:188], -v[3:4]
	scratch_store_b128 off, v[1:4], off offset:80
	v_cmpx_lt_u32_e32 4, v138
	s_cbranch_execz .LBB109_281
; %bb.280:
	scratch_load_b128 v[1:4], v180, off
	v_mov_b32_e32 v5, 0
	s_delay_alu instid0(VALU_DEP_1)
	v_mov_b32_e32 v6, v5
	v_mov_b32_e32 v7, v5
	;; [unrolled: 1-line block ×3, first 2 shown]
	scratch_store_b128 off, v[5:8], off offset:64
	s_waitcnt vmcnt(0)
	ds_store_b128 v184, v[1:4]
.LBB109_281:
	s_or_b32 exec_lo, exec_lo, s2
	s_waitcnt lgkmcnt(0)
	s_waitcnt_vscnt null, 0x0
	s_barrier
	buffer_gl0_inv
	s_clause 0x7
	scratch_load_b128 v[2:5], off, off offset:80
	scratch_load_b128 v[6:9], off, off offset:96
	;; [unrolled: 1-line block ×8, first 2 shown]
	v_mov_b32_e32 v1, 0
	s_mov_b32 s2, exec_lo
	ds_load_b128 v[38:41], v1 offset:816
	s_clause 0x1
	scratch_load_b128 v[34:37], off, off offset:208
	scratch_load_b128 v[42:45], off, off offset:64
	ds_load_b128 v[185:188], v1 offset:832
	scratch_load_b128 v[189:192], off, off offset:224
	s_waitcnt vmcnt(10) lgkmcnt(1)
	v_mul_f64 v[193:194], v[40:41], v[4:5]
	v_mul_f64 v[4:5], v[38:39], v[4:5]
	s_delay_alu instid0(VALU_DEP_2) | instskip(NEXT) | instid1(VALU_DEP_2)
	v_fma_f64 v[199:200], v[38:39], v[2:3], -v[193:194]
	v_fma_f64 v[201:202], v[40:41], v[2:3], v[4:5]
	scratch_load_b128 v[38:41], off, off offset:240
	ds_load_b128 v[2:5], v1 offset:848
	s_waitcnt vmcnt(10) lgkmcnt(1)
	v_mul_f64 v[197:198], v[185:186], v[8:9]
	v_mul_f64 v[8:9], v[187:188], v[8:9]
	ds_load_b128 v[193:196], v1 offset:864
	s_waitcnt vmcnt(9) lgkmcnt(1)
	v_mul_f64 v[203:204], v[2:3], v[12:13]
	v_mul_f64 v[12:13], v[4:5], v[12:13]
	v_fma_f64 v[187:188], v[187:188], v[6:7], v[197:198]
	v_fma_f64 v[185:186], v[185:186], v[6:7], -v[8:9]
	v_add_f64 v[197:198], v[199:200], 0
	v_add_f64 v[199:200], v[201:202], 0
	scratch_load_b128 v[6:9], off, off offset:256
	v_fma_f64 v[203:204], v[4:5], v[10:11], v[203:204]
	v_fma_f64 v[205:206], v[2:3], v[10:11], -v[12:13]
	scratch_load_b128 v[10:13], off, off offset:272
	ds_load_b128 v[2:5], v1 offset:880
	s_waitcnt vmcnt(10) lgkmcnt(1)
	v_mul_f64 v[201:202], v[193:194], v[16:17]
	v_mul_f64 v[16:17], v[195:196], v[16:17]
	v_add_f64 v[197:198], v[197:198], v[185:186]
	v_add_f64 v[199:200], v[199:200], v[187:188]
	s_waitcnt vmcnt(9) lgkmcnt(0)
	v_mul_f64 v[207:208], v[2:3], v[20:21]
	v_mul_f64 v[20:21], v[4:5], v[20:21]
	ds_load_b128 v[185:188], v1 offset:896
	v_fma_f64 v[195:196], v[195:196], v[14:15], v[201:202]
	v_fma_f64 v[193:194], v[193:194], v[14:15], -v[16:17]
	scratch_load_b128 v[14:17], off, off offset:288
	v_add_f64 v[197:198], v[197:198], v[205:206]
	v_add_f64 v[199:200], v[199:200], v[203:204]
	v_fma_f64 v[203:204], v[4:5], v[18:19], v[207:208]
	v_fma_f64 v[205:206], v[2:3], v[18:19], -v[20:21]
	scratch_load_b128 v[18:21], off, off offset:304
	ds_load_b128 v[2:5], v1 offset:912
	s_waitcnt vmcnt(10) lgkmcnt(1)
	v_mul_f64 v[201:202], v[185:186], v[24:25]
	v_mul_f64 v[24:25], v[187:188], v[24:25]
	s_waitcnt vmcnt(9) lgkmcnt(0)
	v_mul_f64 v[207:208], v[2:3], v[28:29]
	v_mul_f64 v[28:29], v[4:5], v[28:29]
	v_add_f64 v[197:198], v[197:198], v[193:194]
	v_add_f64 v[199:200], v[199:200], v[195:196]
	ds_load_b128 v[193:196], v1 offset:928
	v_fma_f64 v[187:188], v[187:188], v[22:23], v[201:202]
	v_fma_f64 v[185:186], v[185:186], v[22:23], -v[24:25]
	scratch_load_b128 v[22:25], off, off offset:320
	v_add_f64 v[197:198], v[197:198], v[205:206]
	v_add_f64 v[199:200], v[199:200], v[203:204]
	v_fma_f64 v[203:204], v[4:5], v[26:27], v[207:208]
	v_fma_f64 v[205:206], v[2:3], v[26:27], -v[28:29]
	scratch_load_b128 v[26:29], off, off offset:336
	ds_load_b128 v[2:5], v1 offset:944
	s_waitcnt vmcnt(10) lgkmcnt(1)
	v_mul_f64 v[201:202], v[193:194], v[32:33]
	v_mul_f64 v[32:33], v[195:196], v[32:33]
	s_waitcnt vmcnt(9) lgkmcnt(0)
	v_mul_f64 v[207:208], v[2:3], v[36:37]
	v_mul_f64 v[36:37], v[4:5], v[36:37]
	v_add_f64 v[197:198], v[197:198], v[185:186]
	v_add_f64 v[199:200], v[199:200], v[187:188]
	ds_load_b128 v[185:188], v1 offset:960
	v_fma_f64 v[195:196], v[195:196], v[30:31], v[201:202]
	v_fma_f64 v[193:194], v[193:194], v[30:31], -v[32:33]
	scratch_load_b128 v[30:33], off, off offset:352
	v_add_f64 v[197:198], v[197:198], v[205:206]
	v_add_f64 v[199:200], v[199:200], v[203:204]
	v_fma_f64 v[205:206], v[4:5], v[34:35], v[207:208]
	v_fma_f64 v[207:208], v[2:3], v[34:35], -v[36:37]
	scratch_load_b128 v[34:37], off, off offset:368
	ds_load_b128 v[2:5], v1 offset:976
	s_waitcnt vmcnt(9) lgkmcnt(1)
	v_mul_f64 v[201:202], v[185:186], v[191:192]
	v_mul_f64 v[203:204], v[187:188], v[191:192]
	v_add_f64 v[197:198], v[197:198], v[193:194]
	v_add_f64 v[195:196], v[199:200], v[195:196]
	ds_load_b128 v[191:194], v1 offset:992
	v_fma_f64 v[201:202], v[187:188], v[189:190], v[201:202]
	v_fma_f64 v[189:190], v[185:186], v[189:190], -v[203:204]
	scratch_load_b128 v[185:188], off, off offset:384
	s_waitcnt vmcnt(9) lgkmcnt(1)
	v_mul_f64 v[199:200], v[2:3], v[40:41]
	v_mul_f64 v[40:41], v[4:5], v[40:41]
	v_add_f64 v[197:198], v[197:198], v[207:208]
	v_add_f64 v[195:196], v[195:196], v[205:206]
	s_delay_alu instid0(VALU_DEP_4) | instskip(NEXT) | instid1(VALU_DEP_4)
	v_fma_f64 v[199:200], v[4:5], v[38:39], v[199:200]
	v_fma_f64 v[205:206], v[2:3], v[38:39], -v[40:41]
	scratch_load_b128 v[38:41], off, off offset:400
	ds_load_b128 v[2:5], v1 offset:1008
	s_waitcnt vmcnt(9) lgkmcnt(1)
	v_mul_f64 v[203:204], v[191:192], v[8:9]
	v_mul_f64 v[8:9], v[193:194], v[8:9]
	s_waitcnt vmcnt(8) lgkmcnt(0)
	v_mul_f64 v[207:208], v[2:3], v[12:13]
	v_mul_f64 v[12:13], v[4:5], v[12:13]
	v_add_f64 v[189:190], v[197:198], v[189:190]
	v_add_f64 v[201:202], v[195:196], v[201:202]
	ds_load_b128 v[195:198], v1 offset:1024
	v_fma_f64 v[193:194], v[193:194], v[6:7], v[203:204]
	v_fma_f64 v[191:192], v[191:192], v[6:7], -v[8:9]
	scratch_load_b128 v[6:9], off, off offset:416
	v_fma_f64 v[203:204], v[4:5], v[10:11], v[207:208]
	v_add_f64 v[189:190], v[189:190], v[205:206]
	v_add_f64 v[199:200], v[201:202], v[199:200]
	v_fma_f64 v[205:206], v[2:3], v[10:11], -v[12:13]
	scratch_load_b128 v[10:13], off, off offset:432
	ds_load_b128 v[2:5], v1 offset:1040
	s_waitcnt vmcnt(9) lgkmcnt(1)
	v_mul_f64 v[201:202], v[195:196], v[16:17]
	v_mul_f64 v[16:17], v[197:198], v[16:17]
	v_add_f64 v[207:208], v[189:190], v[191:192]
	v_add_f64 v[193:194], v[199:200], v[193:194]
	s_waitcnt vmcnt(8) lgkmcnt(0)
	v_mul_f64 v[199:200], v[2:3], v[20:21]
	v_mul_f64 v[20:21], v[4:5], v[20:21]
	ds_load_b128 v[189:192], v1 offset:1056
	v_fma_f64 v[197:198], v[197:198], v[14:15], v[201:202]
	v_fma_f64 v[195:196], v[195:196], v[14:15], -v[16:17]
	scratch_load_b128 v[14:17], off, off offset:448
	v_add_f64 v[201:202], v[207:208], v[205:206]
	v_add_f64 v[193:194], v[193:194], v[203:204]
	v_fma_f64 v[199:200], v[4:5], v[18:19], v[199:200]
	v_fma_f64 v[205:206], v[2:3], v[18:19], -v[20:21]
	scratch_load_b128 v[18:21], off, off offset:464
	ds_load_b128 v[2:5], v1 offset:1072
	s_waitcnt vmcnt(9) lgkmcnt(1)
	v_mul_f64 v[203:204], v[189:190], v[24:25]
	v_mul_f64 v[24:25], v[191:192], v[24:25]
	s_waitcnt vmcnt(8) lgkmcnt(0)
	v_mul_f64 v[207:208], v[2:3], v[28:29]
	v_mul_f64 v[28:29], v[4:5], v[28:29]
	v_add_f64 v[201:202], v[201:202], v[195:196]
	v_add_f64 v[197:198], v[193:194], v[197:198]
	ds_load_b128 v[193:196], v1 offset:1088
	v_fma_f64 v[191:192], v[191:192], v[22:23], v[203:204]
	v_fma_f64 v[189:190], v[189:190], v[22:23], -v[24:25]
	scratch_load_b128 v[22:25], off, off offset:480
	v_fma_f64 v[203:204], v[4:5], v[26:27], v[207:208]
	v_add_f64 v[201:202], v[201:202], v[205:206]
	v_add_f64 v[197:198], v[197:198], v[199:200]
	v_fma_f64 v[205:206], v[2:3], v[26:27], -v[28:29]
	scratch_load_b128 v[26:29], off, off offset:496
	ds_load_b128 v[2:5], v1 offset:1104
	s_waitcnt vmcnt(9) lgkmcnt(1)
	v_mul_f64 v[199:200], v[193:194], v[32:33]
	v_mul_f64 v[32:33], v[195:196], v[32:33]
	s_waitcnt vmcnt(8) lgkmcnt(0)
	v_mul_f64 v[207:208], v[2:3], v[36:37]
	v_mul_f64 v[36:37], v[4:5], v[36:37]
	v_add_f64 v[201:202], v[201:202], v[189:190]
	v_add_f64 v[197:198], v[197:198], v[191:192]
	ds_load_b128 v[189:192], v1 offset:1120
	v_fma_f64 v[195:196], v[195:196], v[30:31], v[199:200]
	v_fma_f64 v[193:194], v[193:194], v[30:31], -v[32:33]
	scratch_load_b128 v[30:33], off, off offset:512
	v_add_f64 v[199:200], v[201:202], v[205:206]
	v_add_f64 v[197:198], v[197:198], v[203:204]
	v_fma_f64 v[203:204], v[4:5], v[34:35], v[207:208]
	v_fma_f64 v[205:206], v[2:3], v[34:35], -v[36:37]
	scratch_load_b128 v[34:37], off, off offset:528
	ds_load_b128 v[2:5], v1 offset:1136
	s_waitcnt vmcnt(9) lgkmcnt(1)
	v_mul_f64 v[201:202], v[189:190], v[187:188]
	v_mul_f64 v[187:188], v[191:192], v[187:188]
	s_waitcnt vmcnt(8) lgkmcnt(0)
	v_mul_f64 v[207:208], v[2:3], v[40:41]
	v_mul_f64 v[40:41], v[4:5], v[40:41]
	v_add_f64 v[199:200], v[199:200], v[193:194]
	v_add_f64 v[197:198], v[197:198], v[195:196]
	ds_load_b128 v[193:196], v1 offset:1152
	v_fma_f64 v[191:192], v[191:192], v[185:186], v[201:202]
	v_fma_f64 v[189:190], v[189:190], v[185:186], -v[187:188]
	scratch_load_b128 v[185:188], off, off offset:544
	v_add_f64 v[199:200], v[199:200], v[205:206]
	v_add_f64 v[197:198], v[197:198], v[203:204]
	v_fma_f64 v[203:204], v[4:5], v[38:39], v[207:208]
	v_fma_f64 v[205:206], v[2:3], v[38:39], -v[40:41]
	scratch_load_b128 v[38:41], off, off offset:560
	ds_load_b128 v[2:5], v1 offset:1168
	s_waitcnt vmcnt(9) lgkmcnt(1)
	v_mul_f64 v[201:202], v[193:194], v[8:9]
	v_mul_f64 v[8:9], v[195:196], v[8:9]
	s_waitcnt vmcnt(8) lgkmcnt(0)
	v_mul_f64 v[207:208], v[2:3], v[12:13]
	v_mul_f64 v[12:13], v[4:5], v[12:13]
	v_add_f64 v[199:200], v[199:200], v[189:190]
	v_add_f64 v[197:198], v[197:198], v[191:192]
	ds_load_b128 v[189:192], v1 offset:1184
	v_fma_f64 v[195:196], v[195:196], v[6:7], v[201:202]
	v_fma_f64 v[193:194], v[193:194], v[6:7], -v[8:9]
	scratch_load_b128 v[6:9], off, off offset:576
	v_add_f64 v[199:200], v[199:200], v[205:206]
	v_add_f64 v[197:198], v[197:198], v[203:204]
	v_fma_f64 v[203:204], v[4:5], v[10:11], v[207:208]
	v_fma_f64 v[205:206], v[2:3], v[10:11], -v[12:13]
	scratch_load_b128 v[10:13], off, off offset:592
	ds_load_b128 v[2:5], v1 offset:1200
	s_waitcnt vmcnt(9) lgkmcnt(1)
	v_mul_f64 v[201:202], v[189:190], v[16:17]
	v_mul_f64 v[16:17], v[191:192], v[16:17]
	s_waitcnt vmcnt(8) lgkmcnt(0)
	v_mul_f64 v[207:208], v[2:3], v[20:21]
	v_mul_f64 v[20:21], v[4:5], v[20:21]
	v_add_f64 v[199:200], v[199:200], v[193:194]
	v_add_f64 v[197:198], v[197:198], v[195:196]
	ds_load_b128 v[193:196], v1 offset:1216
	v_fma_f64 v[191:192], v[191:192], v[14:15], v[201:202]
	v_fma_f64 v[189:190], v[189:190], v[14:15], -v[16:17]
	scratch_load_b128 v[14:17], off, off offset:608
	v_add_f64 v[199:200], v[199:200], v[205:206]
	v_add_f64 v[197:198], v[197:198], v[203:204]
	v_fma_f64 v[203:204], v[4:5], v[18:19], v[207:208]
	v_fma_f64 v[205:206], v[2:3], v[18:19], -v[20:21]
	scratch_load_b128 v[18:21], off, off offset:624
	ds_load_b128 v[2:5], v1 offset:1232
	s_waitcnt vmcnt(9) lgkmcnt(1)
	v_mul_f64 v[201:202], v[193:194], v[24:25]
	v_mul_f64 v[24:25], v[195:196], v[24:25]
	s_waitcnt vmcnt(8) lgkmcnt(0)
	v_mul_f64 v[207:208], v[2:3], v[28:29]
	v_mul_f64 v[28:29], v[4:5], v[28:29]
	v_add_f64 v[199:200], v[199:200], v[189:190]
	v_add_f64 v[197:198], v[197:198], v[191:192]
	ds_load_b128 v[189:192], v1 offset:1248
	v_fma_f64 v[195:196], v[195:196], v[22:23], v[201:202]
	v_fma_f64 v[193:194], v[193:194], v[22:23], -v[24:25]
	scratch_load_b128 v[22:25], off, off offset:640
	v_add_f64 v[199:200], v[199:200], v[205:206]
	v_add_f64 v[197:198], v[197:198], v[203:204]
	v_fma_f64 v[203:204], v[4:5], v[26:27], v[207:208]
	v_fma_f64 v[205:206], v[2:3], v[26:27], -v[28:29]
	scratch_load_b128 v[26:29], off, off offset:656
	ds_load_b128 v[2:5], v1 offset:1264
	s_waitcnt vmcnt(9) lgkmcnt(1)
	v_mul_f64 v[201:202], v[189:190], v[32:33]
	v_mul_f64 v[32:33], v[191:192], v[32:33]
	s_waitcnt vmcnt(8) lgkmcnt(0)
	v_mul_f64 v[207:208], v[2:3], v[36:37]
	v_mul_f64 v[36:37], v[4:5], v[36:37]
	v_add_f64 v[199:200], v[199:200], v[193:194]
	v_add_f64 v[197:198], v[197:198], v[195:196]
	ds_load_b128 v[193:196], v1 offset:1280
	v_fma_f64 v[191:192], v[191:192], v[30:31], v[201:202]
	v_fma_f64 v[189:190], v[189:190], v[30:31], -v[32:33]
	scratch_load_b128 v[30:33], off, off offset:672
	v_add_f64 v[199:200], v[199:200], v[205:206]
	v_add_f64 v[197:198], v[197:198], v[203:204]
	v_fma_f64 v[205:206], v[4:5], v[34:35], v[207:208]
	v_fma_f64 v[207:208], v[2:3], v[34:35], -v[36:37]
	scratch_load_b128 v[34:37], off, off offset:688
	ds_load_b128 v[2:5], v1 offset:1296
	s_waitcnt vmcnt(9) lgkmcnt(1)
	v_mul_f64 v[201:202], v[193:194], v[187:188]
	v_mul_f64 v[203:204], v[195:196], v[187:188]
	v_add_f64 v[199:200], v[199:200], v[189:190]
	v_add_f64 v[191:192], v[197:198], v[191:192]
	s_waitcnt vmcnt(8) lgkmcnt(0)
	v_mul_f64 v[197:198], v[2:3], v[40:41]
	v_mul_f64 v[40:41], v[4:5], v[40:41]
	ds_load_b128 v[187:190], v1 offset:1312
	v_fma_f64 v[195:196], v[195:196], v[185:186], v[201:202]
	v_fma_f64 v[185:186], v[193:194], v[185:186], -v[203:204]
	v_add_f64 v[199:200], v[199:200], v[207:208]
	v_add_f64 v[201:202], v[191:192], v[205:206]
	scratch_load_b128 v[191:194], off, off offset:704
	v_fma_f64 v[205:206], v[4:5], v[38:39], v[197:198]
	v_fma_f64 v[207:208], v[2:3], v[38:39], -v[40:41]
	scratch_load_b128 v[38:41], off, off offset:720
	ds_load_b128 v[2:5], v1 offset:1328
	s_waitcnt vmcnt(9) lgkmcnt(1)
	v_mul_f64 v[203:204], v[187:188], v[8:9]
	v_mul_f64 v[8:9], v[189:190], v[8:9]
	v_add_f64 v[185:186], v[199:200], v[185:186]
	v_add_f64 v[199:200], v[201:202], v[195:196]
	s_waitcnt vmcnt(8) lgkmcnt(0)
	v_mul_f64 v[201:202], v[2:3], v[12:13]
	v_mul_f64 v[12:13], v[4:5], v[12:13]
	ds_load_b128 v[195:198], v1 offset:1344
	v_fma_f64 v[189:190], v[189:190], v[6:7], v[203:204]
	v_fma_f64 v[6:7], v[187:188], v[6:7], -v[8:9]
	s_waitcnt vmcnt(7) lgkmcnt(0)
	v_mul_f64 v[187:188], v[195:196], v[16:17]
	v_mul_f64 v[16:17], v[197:198], v[16:17]
	v_add_f64 v[8:9], v[185:186], v[207:208]
	v_add_f64 v[185:186], v[199:200], v[205:206]
	v_fma_f64 v[199:200], v[4:5], v[10:11], v[201:202]
	v_fma_f64 v[10:11], v[2:3], v[10:11], -v[12:13]
	v_fma_f64 v[187:188], v[197:198], v[14:15], v[187:188]
	v_fma_f64 v[14:15], v[195:196], v[14:15], -v[16:17]
	v_add_f64 v[12:13], v[8:9], v[6:7]
	v_add_f64 v[185:186], v[185:186], v[189:190]
	ds_load_b128 v[2:5], v1 offset:1360
	ds_load_b128 v[6:9], v1 offset:1376
	s_waitcnt vmcnt(6) lgkmcnt(1)
	v_mul_f64 v[189:190], v[2:3], v[20:21]
	v_mul_f64 v[20:21], v[4:5], v[20:21]
	s_waitcnt vmcnt(5) lgkmcnt(0)
	v_mul_f64 v[16:17], v[6:7], v[24:25]
	v_mul_f64 v[24:25], v[8:9], v[24:25]
	v_add_f64 v[10:11], v[12:13], v[10:11]
	v_add_f64 v[12:13], v[185:186], v[199:200]
	v_fma_f64 v[185:186], v[4:5], v[18:19], v[189:190]
	v_fma_f64 v[18:19], v[2:3], v[18:19], -v[20:21]
	v_fma_f64 v[8:9], v[8:9], v[22:23], v[16:17]
	v_fma_f64 v[6:7], v[6:7], v[22:23], -v[24:25]
	v_add_f64 v[14:15], v[10:11], v[14:15]
	v_add_f64 v[20:21], v[12:13], v[187:188]
	ds_load_b128 v[2:5], v1 offset:1392
	ds_load_b128 v[10:13], v1 offset:1408
	s_waitcnt vmcnt(4) lgkmcnt(1)
	v_mul_f64 v[187:188], v[2:3], v[28:29]
	v_mul_f64 v[28:29], v[4:5], v[28:29]
	v_add_f64 v[14:15], v[14:15], v[18:19]
	v_add_f64 v[16:17], v[20:21], v[185:186]
	s_waitcnt vmcnt(3) lgkmcnt(0)
	v_mul_f64 v[18:19], v[10:11], v[32:33]
	v_mul_f64 v[20:21], v[12:13], v[32:33]
	v_fma_f64 v[22:23], v[4:5], v[26:27], v[187:188]
	v_fma_f64 v[24:25], v[2:3], v[26:27], -v[28:29]
	v_add_f64 v[14:15], v[14:15], v[6:7]
	v_add_f64 v[16:17], v[16:17], v[8:9]
	ds_load_b128 v[2:5], v1 offset:1424
	ds_load_b128 v[6:9], v1 offset:1440
	v_fma_f64 v[12:13], v[12:13], v[30:31], v[18:19]
	v_fma_f64 v[10:11], v[10:11], v[30:31], -v[20:21]
	s_waitcnt vmcnt(2) lgkmcnt(1)
	v_mul_f64 v[26:27], v[2:3], v[36:37]
	v_mul_f64 v[28:29], v[4:5], v[36:37]
	v_add_f64 v[14:15], v[14:15], v[24:25]
	v_add_f64 v[16:17], v[16:17], v[22:23]
	s_waitcnt vmcnt(1) lgkmcnt(0)
	v_mul_f64 v[18:19], v[6:7], v[193:194]
	v_mul_f64 v[20:21], v[8:9], v[193:194]
	v_fma_f64 v[22:23], v[4:5], v[34:35], v[26:27]
	v_fma_f64 v[24:25], v[2:3], v[34:35], -v[28:29]
	ds_load_b128 v[2:5], v1 offset:1456
	v_add_f64 v[10:11], v[14:15], v[10:11]
	v_add_f64 v[12:13], v[16:17], v[12:13]
	s_waitcnt vmcnt(0) lgkmcnt(0)
	v_mul_f64 v[14:15], v[2:3], v[40:41]
	v_mul_f64 v[16:17], v[4:5], v[40:41]
	v_fma_f64 v[8:9], v[8:9], v[191:192], v[18:19]
	v_fma_f64 v[6:7], v[6:7], v[191:192], -v[20:21]
	v_add_f64 v[10:11], v[10:11], v[24:25]
	v_add_f64 v[12:13], v[12:13], v[22:23]
	v_fma_f64 v[4:5], v[4:5], v[38:39], v[14:15]
	v_fma_f64 v[2:3], v[2:3], v[38:39], -v[16:17]
	s_delay_alu instid0(VALU_DEP_4) | instskip(NEXT) | instid1(VALU_DEP_4)
	v_add_f64 v[6:7], v[10:11], v[6:7]
	v_add_f64 v[8:9], v[12:13], v[8:9]
	s_delay_alu instid0(VALU_DEP_2) | instskip(NEXT) | instid1(VALU_DEP_2)
	v_add_f64 v[2:3], v[6:7], v[2:3]
	v_add_f64 v[4:5], v[8:9], v[4:5]
	s_delay_alu instid0(VALU_DEP_2) | instskip(NEXT) | instid1(VALU_DEP_2)
	v_add_f64 v[2:3], v[42:43], -v[2:3]
	v_add_f64 v[4:5], v[44:45], -v[4:5]
	scratch_store_b128 off, v[2:5], off offset:64
	v_cmpx_lt_u32_e32 3, v138
	s_cbranch_execz .LBB109_283
; %bb.282:
	scratch_load_b128 v[5:8], v181, off
	v_mov_b32_e32 v2, v1
	v_mov_b32_e32 v3, v1
	;; [unrolled: 1-line block ×3, first 2 shown]
	scratch_store_b128 off, v[1:4], off offset:48
	s_waitcnt vmcnt(0)
	ds_store_b128 v184, v[5:8]
.LBB109_283:
	s_or_b32 exec_lo, exec_lo, s2
	s_waitcnt lgkmcnt(0)
	s_waitcnt_vscnt null, 0x0
	s_barrier
	buffer_gl0_inv
	s_clause 0x8
	scratch_load_b128 v[2:5], off, off offset:64
	scratch_load_b128 v[6:9], off, off offset:80
	;; [unrolled: 1-line block ×9, first 2 shown]
	ds_load_b128 v[42:45], v1 offset:800
	ds_load_b128 v[38:41], v1 offset:816
	s_clause 0x1
	scratch_load_b128 v[185:188], off, off offset:48
	scratch_load_b128 v[189:192], off, off offset:208
	s_mov_b32 s2, exec_lo
	s_waitcnt vmcnt(10) lgkmcnt(1)
	v_mul_f64 v[193:194], v[44:45], v[4:5]
	v_mul_f64 v[4:5], v[42:43], v[4:5]
	s_waitcnt vmcnt(9) lgkmcnt(0)
	v_mul_f64 v[197:198], v[38:39], v[8:9]
	v_mul_f64 v[8:9], v[40:41], v[8:9]
	s_delay_alu instid0(VALU_DEP_4) | instskip(NEXT) | instid1(VALU_DEP_4)
	v_fma_f64 v[199:200], v[42:43], v[2:3], -v[193:194]
	v_fma_f64 v[201:202], v[44:45], v[2:3], v[4:5]
	ds_load_b128 v[2:5], v1 offset:832
	ds_load_b128 v[193:196], v1 offset:848
	scratch_load_b128 v[42:45], off, off offset:224
	v_fma_f64 v[40:41], v[40:41], v[6:7], v[197:198]
	v_fma_f64 v[38:39], v[38:39], v[6:7], -v[8:9]
	scratch_load_b128 v[6:9], off, off offset:240
	s_waitcnt vmcnt(10) lgkmcnt(1)
	v_mul_f64 v[203:204], v[2:3], v[12:13]
	v_mul_f64 v[12:13], v[4:5], v[12:13]
	v_add_f64 v[197:198], v[199:200], 0
	v_add_f64 v[199:200], v[201:202], 0
	s_waitcnt vmcnt(9) lgkmcnt(0)
	v_mul_f64 v[201:202], v[193:194], v[16:17]
	v_mul_f64 v[16:17], v[195:196], v[16:17]
	v_fma_f64 v[203:204], v[4:5], v[10:11], v[203:204]
	v_fma_f64 v[205:206], v[2:3], v[10:11], -v[12:13]
	ds_load_b128 v[2:5], v1 offset:864
	scratch_load_b128 v[10:13], off, off offset:256
	v_add_f64 v[197:198], v[197:198], v[38:39]
	v_add_f64 v[199:200], v[199:200], v[40:41]
	ds_load_b128 v[38:41], v1 offset:880
	v_fma_f64 v[195:196], v[195:196], v[14:15], v[201:202]
	v_fma_f64 v[193:194], v[193:194], v[14:15], -v[16:17]
	scratch_load_b128 v[14:17], off, off offset:272
	s_waitcnt vmcnt(10) lgkmcnt(1)
	v_mul_f64 v[207:208], v[2:3], v[20:21]
	v_mul_f64 v[20:21], v[4:5], v[20:21]
	s_waitcnt vmcnt(9) lgkmcnt(0)
	v_mul_f64 v[201:202], v[38:39], v[24:25]
	v_mul_f64 v[24:25], v[40:41], v[24:25]
	v_add_f64 v[197:198], v[197:198], v[205:206]
	v_add_f64 v[199:200], v[199:200], v[203:204]
	v_fma_f64 v[203:204], v[4:5], v[18:19], v[207:208]
	v_fma_f64 v[205:206], v[2:3], v[18:19], -v[20:21]
	ds_load_b128 v[2:5], v1 offset:896
	scratch_load_b128 v[18:21], off, off offset:288
	v_fma_f64 v[40:41], v[40:41], v[22:23], v[201:202]
	v_fma_f64 v[38:39], v[38:39], v[22:23], -v[24:25]
	scratch_load_b128 v[22:25], off, off offset:304
	v_add_f64 v[197:198], v[197:198], v[193:194]
	v_add_f64 v[199:200], v[199:200], v[195:196]
	ds_load_b128 v[193:196], v1 offset:912
	s_waitcnt vmcnt(10) lgkmcnt(1)
	v_mul_f64 v[207:208], v[2:3], v[28:29]
	v_mul_f64 v[28:29], v[4:5], v[28:29]
	s_waitcnt vmcnt(9) lgkmcnt(0)
	v_mul_f64 v[201:202], v[193:194], v[32:33]
	v_mul_f64 v[32:33], v[195:196], v[32:33]
	v_add_f64 v[197:198], v[197:198], v[205:206]
	v_add_f64 v[199:200], v[199:200], v[203:204]
	v_fma_f64 v[203:204], v[4:5], v[26:27], v[207:208]
	v_fma_f64 v[205:206], v[2:3], v[26:27], -v[28:29]
	ds_load_b128 v[2:5], v1 offset:928
	scratch_load_b128 v[26:29], off, off offset:320
	v_fma_f64 v[195:196], v[195:196], v[30:31], v[201:202]
	v_fma_f64 v[193:194], v[193:194], v[30:31], -v[32:33]
	scratch_load_b128 v[30:33], off, off offset:336
	v_add_f64 v[197:198], v[197:198], v[38:39]
	v_add_f64 v[199:200], v[199:200], v[40:41]
	ds_load_b128 v[38:41], v1 offset:944
	s_waitcnt vmcnt(10) lgkmcnt(1)
	v_mul_f64 v[207:208], v[2:3], v[36:37]
	v_mul_f64 v[36:37], v[4:5], v[36:37]
	s_waitcnt vmcnt(8) lgkmcnt(0)
	v_mul_f64 v[201:202], v[38:39], v[191:192]
	v_add_f64 v[197:198], v[197:198], v[205:206]
	v_add_f64 v[199:200], v[199:200], v[203:204]
	v_mul_f64 v[203:204], v[40:41], v[191:192]
	v_fma_f64 v[205:206], v[4:5], v[34:35], v[207:208]
	v_fma_f64 v[207:208], v[2:3], v[34:35], -v[36:37]
	ds_load_b128 v[2:5], v1 offset:960
	scratch_load_b128 v[34:37], off, off offset:352
	v_fma_f64 v[201:202], v[40:41], v[189:190], v[201:202]
	v_add_f64 v[197:198], v[197:198], v[193:194]
	v_add_f64 v[195:196], v[199:200], v[195:196]
	ds_load_b128 v[191:194], v1 offset:976
	v_fma_f64 v[189:190], v[38:39], v[189:190], -v[203:204]
	scratch_load_b128 v[38:41], off, off offset:368
	s_waitcnt vmcnt(9) lgkmcnt(1)
	v_mul_f64 v[199:200], v[2:3], v[44:45]
	v_mul_f64 v[44:45], v[4:5], v[44:45]
	s_waitcnt vmcnt(8) lgkmcnt(0)
	v_mul_f64 v[203:204], v[191:192], v[8:9]
	v_mul_f64 v[8:9], v[193:194], v[8:9]
	v_add_f64 v[197:198], v[197:198], v[207:208]
	v_add_f64 v[195:196], v[195:196], v[205:206]
	v_fma_f64 v[199:200], v[4:5], v[42:43], v[199:200]
	v_fma_f64 v[205:206], v[2:3], v[42:43], -v[44:45]
	ds_load_b128 v[2:5], v1 offset:992
	scratch_load_b128 v[42:45], off, off offset:384
	v_fma_f64 v[193:194], v[193:194], v[6:7], v[203:204]
	v_fma_f64 v[191:192], v[191:192], v[6:7], -v[8:9]
	scratch_load_b128 v[6:9], off, off offset:400
	v_add_f64 v[189:190], v[197:198], v[189:190]
	v_add_f64 v[201:202], v[195:196], v[201:202]
	ds_load_b128 v[195:198], v1 offset:1008
	s_waitcnt vmcnt(9) lgkmcnt(1)
	v_mul_f64 v[207:208], v[2:3], v[12:13]
	v_mul_f64 v[12:13], v[4:5], v[12:13]
	v_add_f64 v[189:190], v[189:190], v[205:206]
	v_add_f64 v[199:200], v[201:202], v[199:200]
	s_waitcnt vmcnt(8) lgkmcnt(0)
	v_mul_f64 v[201:202], v[195:196], v[16:17]
	v_mul_f64 v[16:17], v[197:198], v[16:17]
	v_fma_f64 v[203:204], v[4:5], v[10:11], v[207:208]
	v_fma_f64 v[205:206], v[2:3], v[10:11], -v[12:13]
	ds_load_b128 v[2:5], v1 offset:1024
	scratch_load_b128 v[10:13], off, off offset:416
	v_add_f64 v[207:208], v[189:190], v[191:192]
	v_add_f64 v[193:194], v[199:200], v[193:194]
	ds_load_b128 v[189:192], v1 offset:1040
	s_waitcnt vmcnt(8) lgkmcnt(1)
	v_mul_f64 v[199:200], v[2:3], v[20:21]
	v_mul_f64 v[20:21], v[4:5], v[20:21]
	v_fma_f64 v[197:198], v[197:198], v[14:15], v[201:202]
	v_fma_f64 v[195:196], v[195:196], v[14:15], -v[16:17]
	scratch_load_b128 v[14:17], off, off offset:432
	v_add_f64 v[201:202], v[207:208], v[205:206]
	v_add_f64 v[193:194], v[193:194], v[203:204]
	s_waitcnt vmcnt(8) lgkmcnt(0)
	v_mul_f64 v[203:204], v[189:190], v[24:25]
	v_mul_f64 v[24:25], v[191:192], v[24:25]
	v_fma_f64 v[199:200], v[4:5], v[18:19], v[199:200]
	v_fma_f64 v[205:206], v[2:3], v[18:19], -v[20:21]
	ds_load_b128 v[2:5], v1 offset:1056
	scratch_load_b128 v[18:21], off, off offset:448
	v_add_f64 v[201:202], v[201:202], v[195:196]
	v_add_f64 v[197:198], v[193:194], v[197:198]
	ds_load_b128 v[193:196], v1 offset:1072
	s_waitcnt vmcnt(8) lgkmcnt(1)
	v_mul_f64 v[207:208], v[2:3], v[28:29]
	v_mul_f64 v[28:29], v[4:5], v[28:29]
	v_fma_f64 v[191:192], v[191:192], v[22:23], v[203:204]
	v_fma_f64 v[189:190], v[189:190], v[22:23], -v[24:25]
	scratch_load_b128 v[22:25], off, off offset:464
	;; [unrolled: 18-line block ×4, first 2 shown]
	s_waitcnt vmcnt(8) lgkmcnt(0)
	v_mul_f64 v[201:202], v[193:194], v[8:9]
	v_mul_f64 v[8:9], v[195:196], v[8:9]
	v_add_f64 v[199:200], v[199:200], v[205:206]
	v_add_f64 v[197:198], v[197:198], v[203:204]
	v_fma_f64 v[203:204], v[4:5], v[42:43], v[207:208]
	v_fma_f64 v[205:206], v[2:3], v[42:43], -v[44:45]
	ds_load_b128 v[2:5], v1 offset:1152
	scratch_load_b128 v[42:45], off, off offset:544
	v_fma_f64 v[195:196], v[195:196], v[6:7], v[201:202]
	v_fma_f64 v[193:194], v[193:194], v[6:7], -v[8:9]
	scratch_load_b128 v[6:9], off, off offset:560
	v_add_f64 v[199:200], v[199:200], v[189:190]
	v_add_f64 v[197:198], v[197:198], v[191:192]
	ds_load_b128 v[189:192], v1 offset:1168
	s_waitcnt vmcnt(9) lgkmcnt(1)
	v_mul_f64 v[207:208], v[2:3], v[12:13]
	v_mul_f64 v[12:13], v[4:5], v[12:13]
	s_waitcnt vmcnt(8) lgkmcnt(0)
	v_mul_f64 v[201:202], v[189:190], v[16:17]
	v_mul_f64 v[16:17], v[191:192], v[16:17]
	v_add_f64 v[199:200], v[199:200], v[205:206]
	v_add_f64 v[197:198], v[197:198], v[203:204]
	v_fma_f64 v[203:204], v[4:5], v[10:11], v[207:208]
	v_fma_f64 v[205:206], v[2:3], v[10:11], -v[12:13]
	ds_load_b128 v[2:5], v1 offset:1184
	scratch_load_b128 v[10:13], off, off offset:576
	v_fma_f64 v[191:192], v[191:192], v[14:15], v[201:202]
	v_fma_f64 v[189:190], v[189:190], v[14:15], -v[16:17]
	scratch_load_b128 v[14:17], off, off offset:592
	v_add_f64 v[199:200], v[199:200], v[193:194]
	v_add_f64 v[197:198], v[197:198], v[195:196]
	ds_load_b128 v[193:196], v1 offset:1200
	s_waitcnt vmcnt(9) lgkmcnt(1)
	v_mul_f64 v[207:208], v[2:3], v[20:21]
	v_mul_f64 v[20:21], v[4:5], v[20:21]
	s_waitcnt vmcnt(8) lgkmcnt(0)
	v_mul_f64 v[201:202], v[193:194], v[24:25]
	v_mul_f64 v[24:25], v[195:196], v[24:25]
	v_add_f64 v[199:200], v[199:200], v[205:206]
	v_add_f64 v[197:198], v[197:198], v[203:204]
	v_fma_f64 v[203:204], v[4:5], v[18:19], v[207:208]
	v_fma_f64 v[205:206], v[2:3], v[18:19], -v[20:21]
	ds_load_b128 v[2:5], v1 offset:1216
	scratch_load_b128 v[18:21], off, off offset:608
	v_fma_f64 v[195:196], v[195:196], v[22:23], v[201:202]
	v_fma_f64 v[193:194], v[193:194], v[22:23], -v[24:25]
	scratch_load_b128 v[22:25], off, off offset:624
	v_add_f64 v[199:200], v[199:200], v[189:190]
	v_add_f64 v[197:198], v[197:198], v[191:192]
	ds_load_b128 v[189:192], v1 offset:1232
	s_waitcnt vmcnt(9) lgkmcnt(1)
	v_mul_f64 v[207:208], v[2:3], v[28:29]
	v_mul_f64 v[28:29], v[4:5], v[28:29]
	s_waitcnt vmcnt(8) lgkmcnt(0)
	v_mul_f64 v[201:202], v[189:190], v[32:33]
	v_mul_f64 v[32:33], v[191:192], v[32:33]
	v_add_f64 v[199:200], v[199:200], v[205:206]
	v_add_f64 v[197:198], v[197:198], v[203:204]
	v_fma_f64 v[203:204], v[4:5], v[26:27], v[207:208]
	v_fma_f64 v[205:206], v[2:3], v[26:27], -v[28:29]
	ds_load_b128 v[2:5], v1 offset:1248
	scratch_load_b128 v[26:29], off, off offset:640
	v_fma_f64 v[191:192], v[191:192], v[30:31], v[201:202]
	v_fma_f64 v[189:190], v[189:190], v[30:31], -v[32:33]
	scratch_load_b128 v[30:33], off, off offset:656
	v_add_f64 v[199:200], v[199:200], v[193:194]
	v_add_f64 v[197:198], v[197:198], v[195:196]
	ds_load_b128 v[193:196], v1 offset:1264
	s_waitcnt vmcnt(9) lgkmcnt(1)
	v_mul_f64 v[207:208], v[2:3], v[36:37]
	v_mul_f64 v[36:37], v[4:5], v[36:37]
	s_waitcnt vmcnt(8) lgkmcnt(0)
	v_mul_f64 v[201:202], v[193:194], v[40:41]
	v_mul_f64 v[40:41], v[195:196], v[40:41]
	v_add_f64 v[199:200], v[199:200], v[205:206]
	v_add_f64 v[197:198], v[197:198], v[203:204]
	v_fma_f64 v[203:204], v[4:5], v[34:35], v[207:208]
	v_fma_f64 v[205:206], v[2:3], v[34:35], -v[36:37]
	ds_load_b128 v[2:5], v1 offset:1280
	scratch_load_b128 v[34:37], off, off offset:672
	v_fma_f64 v[195:196], v[195:196], v[38:39], v[201:202]
	v_fma_f64 v[193:194], v[193:194], v[38:39], -v[40:41]
	scratch_load_b128 v[38:41], off, off offset:688
	v_add_f64 v[199:200], v[199:200], v[189:190]
	v_add_f64 v[197:198], v[197:198], v[191:192]
	ds_load_b128 v[189:192], v1 offset:1296
	s_waitcnt vmcnt(9) lgkmcnt(1)
	v_mul_f64 v[207:208], v[2:3], v[44:45]
	v_mul_f64 v[44:45], v[4:5], v[44:45]
	s_waitcnt vmcnt(8) lgkmcnt(0)
	v_mul_f64 v[201:202], v[189:190], v[8:9]
	v_mul_f64 v[8:9], v[191:192], v[8:9]
	v_add_f64 v[199:200], v[199:200], v[205:206]
	v_add_f64 v[197:198], v[197:198], v[203:204]
	v_fma_f64 v[203:204], v[4:5], v[42:43], v[207:208]
	v_fma_f64 v[205:206], v[2:3], v[42:43], -v[44:45]
	ds_load_b128 v[2:5], v1 offset:1312
	scratch_load_b128 v[42:45], off, off offset:704
	v_fma_f64 v[191:192], v[191:192], v[6:7], v[201:202]
	v_fma_f64 v[189:190], v[189:190], v[6:7], -v[8:9]
	scratch_load_b128 v[6:9], off, off offset:720
	v_add_f64 v[199:200], v[199:200], v[193:194]
	v_add_f64 v[197:198], v[197:198], v[195:196]
	ds_load_b128 v[193:196], v1 offset:1328
	s_waitcnt vmcnt(9) lgkmcnt(1)
	v_mul_f64 v[207:208], v[2:3], v[12:13]
	v_mul_f64 v[12:13], v[4:5], v[12:13]
	s_waitcnt vmcnt(8) lgkmcnt(0)
	v_mul_f64 v[201:202], v[193:194], v[16:17]
	v_mul_f64 v[16:17], v[195:196], v[16:17]
	v_add_f64 v[199:200], v[199:200], v[205:206]
	v_add_f64 v[197:198], v[197:198], v[203:204]
	v_fma_f64 v[203:204], v[4:5], v[10:11], v[207:208]
	v_fma_f64 v[205:206], v[2:3], v[10:11], -v[12:13]
	ds_load_b128 v[2:5], v1 offset:1344
	ds_load_b128 v[10:13], v1 offset:1360
	v_fma_f64 v[195:196], v[195:196], v[14:15], v[201:202]
	v_fma_f64 v[14:15], v[193:194], v[14:15], -v[16:17]
	v_add_f64 v[189:190], v[199:200], v[189:190]
	v_add_f64 v[191:192], v[197:198], v[191:192]
	s_waitcnt vmcnt(7) lgkmcnt(1)
	v_mul_f64 v[197:198], v[2:3], v[20:21]
	v_mul_f64 v[20:21], v[4:5], v[20:21]
	s_delay_alu instid0(VALU_DEP_4) | instskip(NEXT) | instid1(VALU_DEP_4)
	v_add_f64 v[16:17], v[189:190], v[205:206]
	v_add_f64 v[189:190], v[191:192], v[203:204]
	s_waitcnt vmcnt(6) lgkmcnt(0)
	v_mul_f64 v[191:192], v[10:11], v[24:25]
	v_mul_f64 v[24:25], v[12:13], v[24:25]
	v_fma_f64 v[193:194], v[4:5], v[18:19], v[197:198]
	v_fma_f64 v[18:19], v[2:3], v[18:19], -v[20:21]
	v_add_f64 v[20:21], v[16:17], v[14:15]
	v_add_f64 v[189:190], v[189:190], v[195:196]
	ds_load_b128 v[2:5], v1 offset:1376
	ds_load_b128 v[14:17], v1 offset:1392
	v_fma_f64 v[12:13], v[12:13], v[22:23], v[191:192]
	v_fma_f64 v[10:11], v[10:11], v[22:23], -v[24:25]
	s_waitcnt vmcnt(5) lgkmcnt(1)
	v_mul_f64 v[195:196], v[2:3], v[28:29]
	v_mul_f64 v[28:29], v[4:5], v[28:29]
	s_waitcnt vmcnt(4) lgkmcnt(0)
	v_mul_f64 v[22:23], v[14:15], v[32:33]
	v_mul_f64 v[24:25], v[16:17], v[32:33]
	v_add_f64 v[18:19], v[20:21], v[18:19]
	v_add_f64 v[20:21], v[189:190], v[193:194]
	v_fma_f64 v[32:33], v[4:5], v[26:27], v[195:196]
	v_fma_f64 v[26:27], v[2:3], v[26:27], -v[28:29]
	v_fma_f64 v[16:17], v[16:17], v[30:31], v[22:23]
	v_fma_f64 v[14:15], v[14:15], v[30:31], -v[24:25]
	v_add_f64 v[18:19], v[18:19], v[10:11]
	v_add_f64 v[20:21], v[20:21], v[12:13]
	ds_load_b128 v[2:5], v1 offset:1408
	ds_load_b128 v[10:13], v1 offset:1424
	s_waitcnt vmcnt(3) lgkmcnt(1)
	v_mul_f64 v[28:29], v[2:3], v[36:37]
	v_mul_f64 v[36:37], v[4:5], v[36:37]
	s_waitcnt vmcnt(2) lgkmcnt(0)
	v_mul_f64 v[22:23], v[10:11], v[40:41]
	v_mul_f64 v[24:25], v[12:13], v[40:41]
	v_add_f64 v[18:19], v[18:19], v[26:27]
	v_add_f64 v[20:21], v[20:21], v[32:33]
	v_fma_f64 v[26:27], v[4:5], v[34:35], v[28:29]
	v_fma_f64 v[28:29], v[2:3], v[34:35], -v[36:37]
	v_fma_f64 v[12:13], v[12:13], v[38:39], v[22:23]
	v_fma_f64 v[10:11], v[10:11], v[38:39], -v[24:25]
	v_add_f64 v[18:19], v[18:19], v[14:15]
	v_add_f64 v[20:21], v[20:21], v[16:17]
	ds_load_b128 v[2:5], v1 offset:1440
	ds_load_b128 v[14:17], v1 offset:1456
	s_waitcnt vmcnt(1) lgkmcnt(1)
	v_mul_f64 v[30:31], v[2:3], v[44:45]
	v_mul_f64 v[32:33], v[4:5], v[44:45]
	s_waitcnt vmcnt(0) lgkmcnt(0)
	v_mul_f64 v[22:23], v[14:15], v[8:9]
	v_mul_f64 v[8:9], v[16:17], v[8:9]
	v_add_f64 v[18:19], v[18:19], v[28:29]
	v_add_f64 v[20:21], v[20:21], v[26:27]
	v_fma_f64 v[4:5], v[4:5], v[42:43], v[30:31]
	v_fma_f64 v[1:2], v[2:3], v[42:43], -v[32:33]
	v_fma_f64 v[16:17], v[16:17], v[6:7], v[22:23]
	v_fma_f64 v[6:7], v[14:15], v[6:7], -v[8:9]
	v_add_f64 v[10:11], v[18:19], v[10:11]
	v_add_f64 v[12:13], v[20:21], v[12:13]
	s_delay_alu instid0(VALU_DEP_2) | instskip(NEXT) | instid1(VALU_DEP_2)
	v_add_f64 v[1:2], v[10:11], v[1:2]
	v_add_f64 v[3:4], v[12:13], v[4:5]
	s_delay_alu instid0(VALU_DEP_2) | instskip(NEXT) | instid1(VALU_DEP_2)
	;; [unrolled: 3-line block ×3, first 2 shown]
	v_add_f64 v[1:2], v[185:186], -v[1:2]
	v_add_f64 v[3:4], v[187:188], -v[3:4]
	scratch_store_b128 off, v[1:4], off offset:48
	v_cmpx_lt_u32_e32 2, v138
	s_cbranch_execz .LBB109_285
; %bb.284:
	scratch_load_b128 v[1:4], v182, off
	v_mov_b32_e32 v5, 0
	s_delay_alu instid0(VALU_DEP_1)
	v_mov_b32_e32 v6, v5
	v_mov_b32_e32 v7, v5
	;; [unrolled: 1-line block ×3, first 2 shown]
	scratch_store_b128 off, v[5:8], off offset:32
	s_waitcnt vmcnt(0)
	ds_store_b128 v184, v[1:4]
.LBB109_285:
	s_or_b32 exec_lo, exec_lo, s2
	s_waitcnt lgkmcnt(0)
	s_waitcnt_vscnt null, 0x0
	s_barrier
	buffer_gl0_inv
	s_clause 0x7
	scratch_load_b128 v[2:5], off, off offset:48
	scratch_load_b128 v[6:9], off, off offset:64
	scratch_load_b128 v[10:13], off, off offset:80
	scratch_load_b128 v[14:17], off, off offset:96
	scratch_load_b128 v[18:21], off, off offset:112
	scratch_load_b128 v[22:25], off, off offset:128
	scratch_load_b128 v[26:29], off, off offset:144
	scratch_load_b128 v[30:33], off, off offset:160
	v_mov_b32_e32 v1, 0
	s_mov_b32 s2, exec_lo
	ds_load_b128 v[38:41], v1 offset:784
	s_clause 0x1
	scratch_load_b128 v[34:37], off, off offset:176
	scratch_load_b128 v[42:45], off, off offset:32
	ds_load_b128 v[185:188], v1 offset:800
	scratch_load_b128 v[189:192], off, off offset:192
	s_waitcnt vmcnt(10) lgkmcnt(1)
	v_mul_f64 v[193:194], v[40:41], v[4:5]
	v_mul_f64 v[4:5], v[38:39], v[4:5]
	s_delay_alu instid0(VALU_DEP_2) | instskip(NEXT) | instid1(VALU_DEP_2)
	v_fma_f64 v[199:200], v[38:39], v[2:3], -v[193:194]
	v_fma_f64 v[201:202], v[40:41], v[2:3], v[4:5]
	scratch_load_b128 v[38:41], off, off offset:208
	ds_load_b128 v[2:5], v1 offset:816
	s_waitcnt vmcnt(10) lgkmcnt(1)
	v_mul_f64 v[197:198], v[185:186], v[8:9]
	v_mul_f64 v[8:9], v[187:188], v[8:9]
	ds_load_b128 v[193:196], v1 offset:832
	s_waitcnt vmcnt(9) lgkmcnt(1)
	v_mul_f64 v[203:204], v[2:3], v[12:13]
	v_mul_f64 v[12:13], v[4:5], v[12:13]
	v_fma_f64 v[187:188], v[187:188], v[6:7], v[197:198]
	v_fma_f64 v[185:186], v[185:186], v[6:7], -v[8:9]
	v_add_f64 v[197:198], v[199:200], 0
	v_add_f64 v[199:200], v[201:202], 0
	scratch_load_b128 v[6:9], off, off offset:224
	v_fma_f64 v[203:204], v[4:5], v[10:11], v[203:204]
	v_fma_f64 v[205:206], v[2:3], v[10:11], -v[12:13]
	scratch_load_b128 v[10:13], off, off offset:240
	ds_load_b128 v[2:5], v1 offset:848
	s_waitcnt vmcnt(10) lgkmcnt(1)
	v_mul_f64 v[201:202], v[193:194], v[16:17]
	v_mul_f64 v[16:17], v[195:196], v[16:17]
	v_add_f64 v[197:198], v[197:198], v[185:186]
	v_add_f64 v[199:200], v[199:200], v[187:188]
	s_waitcnt vmcnt(9) lgkmcnt(0)
	v_mul_f64 v[207:208], v[2:3], v[20:21]
	v_mul_f64 v[20:21], v[4:5], v[20:21]
	ds_load_b128 v[185:188], v1 offset:864
	v_fma_f64 v[195:196], v[195:196], v[14:15], v[201:202]
	v_fma_f64 v[193:194], v[193:194], v[14:15], -v[16:17]
	scratch_load_b128 v[14:17], off, off offset:256
	v_add_f64 v[197:198], v[197:198], v[205:206]
	v_add_f64 v[199:200], v[199:200], v[203:204]
	v_fma_f64 v[203:204], v[4:5], v[18:19], v[207:208]
	v_fma_f64 v[205:206], v[2:3], v[18:19], -v[20:21]
	scratch_load_b128 v[18:21], off, off offset:272
	ds_load_b128 v[2:5], v1 offset:880
	s_waitcnt vmcnt(10) lgkmcnt(1)
	v_mul_f64 v[201:202], v[185:186], v[24:25]
	v_mul_f64 v[24:25], v[187:188], v[24:25]
	s_waitcnt vmcnt(9) lgkmcnt(0)
	v_mul_f64 v[207:208], v[2:3], v[28:29]
	v_mul_f64 v[28:29], v[4:5], v[28:29]
	v_add_f64 v[197:198], v[197:198], v[193:194]
	v_add_f64 v[199:200], v[199:200], v[195:196]
	ds_load_b128 v[193:196], v1 offset:896
	v_fma_f64 v[187:188], v[187:188], v[22:23], v[201:202]
	v_fma_f64 v[185:186], v[185:186], v[22:23], -v[24:25]
	scratch_load_b128 v[22:25], off, off offset:288
	v_add_f64 v[197:198], v[197:198], v[205:206]
	v_add_f64 v[199:200], v[199:200], v[203:204]
	v_fma_f64 v[203:204], v[4:5], v[26:27], v[207:208]
	v_fma_f64 v[205:206], v[2:3], v[26:27], -v[28:29]
	scratch_load_b128 v[26:29], off, off offset:304
	ds_load_b128 v[2:5], v1 offset:912
	s_waitcnt vmcnt(10) lgkmcnt(1)
	v_mul_f64 v[201:202], v[193:194], v[32:33]
	v_mul_f64 v[32:33], v[195:196], v[32:33]
	s_waitcnt vmcnt(9) lgkmcnt(0)
	v_mul_f64 v[207:208], v[2:3], v[36:37]
	v_mul_f64 v[36:37], v[4:5], v[36:37]
	v_add_f64 v[197:198], v[197:198], v[185:186]
	v_add_f64 v[199:200], v[199:200], v[187:188]
	ds_load_b128 v[185:188], v1 offset:928
	v_fma_f64 v[195:196], v[195:196], v[30:31], v[201:202]
	v_fma_f64 v[193:194], v[193:194], v[30:31], -v[32:33]
	scratch_load_b128 v[30:33], off, off offset:320
	v_add_f64 v[197:198], v[197:198], v[205:206]
	v_add_f64 v[199:200], v[199:200], v[203:204]
	v_fma_f64 v[205:206], v[4:5], v[34:35], v[207:208]
	v_fma_f64 v[207:208], v[2:3], v[34:35], -v[36:37]
	scratch_load_b128 v[34:37], off, off offset:336
	ds_load_b128 v[2:5], v1 offset:944
	s_waitcnt vmcnt(9) lgkmcnt(1)
	v_mul_f64 v[201:202], v[185:186], v[191:192]
	v_mul_f64 v[203:204], v[187:188], v[191:192]
	v_add_f64 v[197:198], v[197:198], v[193:194]
	v_add_f64 v[195:196], v[199:200], v[195:196]
	ds_load_b128 v[191:194], v1 offset:960
	v_fma_f64 v[201:202], v[187:188], v[189:190], v[201:202]
	v_fma_f64 v[189:190], v[185:186], v[189:190], -v[203:204]
	scratch_load_b128 v[185:188], off, off offset:352
	s_waitcnt vmcnt(9) lgkmcnt(1)
	v_mul_f64 v[199:200], v[2:3], v[40:41]
	v_mul_f64 v[40:41], v[4:5], v[40:41]
	v_add_f64 v[197:198], v[197:198], v[207:208]
	v_add_f64 v[195:196], v[195:196], v[205:206]
	s_delay_alu instid0(VALU_DEP_4) | instskip(NEXT) | instid1(VALU_DEP_4)
	v_fma_f64 v[199:200], v[4:5], v[38:39], v[199:200]
	v_fma_f64 v[205:206], v[2:3], v[38:39], -v[40:41]
	scratch_load_b128 v[38:41], off, off offset:368
	ds_load_b128 v[2:5], v1 offset:976
	s_waitcnt vmcnt(9) lgkmcnt(1)
	v_mul_f64 v[203:204], v[191:192], v[8:9]
	v_mul_f64 v[8:9], v[193:194], v[8:9]
	s_waitcnt vmcnt(8) lgkmcnt(0)
	v_mul_f64 v[207:208], v[2:3], v[12:13]
	v_mul_f64 v[12:13], v[4:5], v[12:13]
	v_add_f64 v[189:190], v[197:198], v[189:190]
	v_add_f64 v[201:202], v[195:196], v[201:202]
	ds_load_b128 v[195:198], v1 offset:992
	v_fma_f64 v[193:194], v[193:194], v[6:7], v[203:204]
	v_fma_f64 v[191:192], v[191:192], v[6:7], -v[8:9]
	scratch_load_b128 v[6:9], off, off offset:384
	v_fma_f64 v[203:204], v[4:5], v[10:11], v[207:208]
	v_add_f64 v[189:190], v[189:190], v[205:206]
	v_add_f64 v[199:200], v[201:202], v[199:200]
	v_fma_f64 v[205:206], v[2:3], v[10:11], -v[12:13]
	scratch_load_b128 v[10:13], off, off offset:400
	ds_load_b128 v[2:5], v1 offset:1008
	s_waitcnt vmcnt(9) lgkmcnt(1)
	v_mul_f64 v[201:202], v[195:196], v[16:17]
	v_mul_f64 v[16:17], v[197:198], v[16:17]
	v_add_f64 v[207:208], v[189:190], v[191:192]
	v_add_f64 v[193:194], v[199:200], v[193:194]
	s_waitcnt vmcnt(8) lgkmcnt(0)
	v_mul_f64 v[199:200], v[2:3], v[20:21]
	v_mul_f64 v[20:21], v[4:5], v[20:21]
	ds_load_b128 v[189:192], v1 offset:1024
	v_fma_f64 v[197:198], v[197:198], v[14:15], v[201:202]
	v_fma_f64 v[195:196], v[195:196], v[14:15], -v[16:17]
	scratch_load_b128 v[14:17], off, off offset:416
	v_add_f64 v[201:202], v[207:208], v[205:206]
	v_add_f64 v[193:194], v[193:194], v[203:204]
	v_fma_f64 v[199:200], v[4:5], v[18:19], v[199:200]
	v_fma_f64 v[205:206], v[2:3], v[18:19], -v[20:21]
	scratch_load_b128 v[18:21], off, off offset:432
	ds_load_b128 v[2:5], v1 offset:1040
	s_waitcnt vmcnt(9) lgkmcnt(1)
	v_mul_f64 v[203:204], v[189:190], v[24:25]
	v_mul_f64 v[24:25], v[191:192], v[24:25]
	s_waitcnt vmcnt(8) lgkmcnt(0)
	v_mul_f64 v[207:208], v[2:3], v[28:29]
	v_mul_f64 v[28:29], v[4:5], v[28:29]
	v_add_f64 v[201:202], v[201:202], v[195:196]
	v_add_f64 v[197:198], v[193:194], v[197:198]
	ds_load_b128 v[193:196], v1 offset:1056
	v_fma_f64 v[191:192], v[191:192], v[22:23], v[203:204]
	v_fma_f64 v[189:190], v[189:190], v[22:23], -v[24:25]
	scratch_load_b128 v[22:25], off, off offset:448
	v_fma_f64 v[203:204], v[4:5], v[26:27], v[207:208]
	v_add_f64 v[201:202], v[201:202], v[205:206]
	v_add_f64 v[197:198], v[197:198], v[199:200]
	v_fma_f64 v[205:206], v[2:3], v[26:27], -v[28:29]
	scratch_load_b128 v[26:29], off, off offset:464
	ds_load_b128 v[2:5], v1 offset:1072
	s_waitcnt vmcnt(9) lgkmcnt(1)
	v_mul_f64 v[199:200], v[193:194], v[32:33]
	v_mul_f64 v[32:33], v[195:196], v[32:33]
	s_waitcnt vmcnt(8) lgkmcnt(0)
	v_mul_f64 v[207:208], v[2:3], v[36:37]
	v_mul_f64 v[36:37], v[4:5], v[36:37]
	v_add_f64 v[201:202], v[201:202], v[189:190]
	v_add_f64 v[197:198], v[197:198], v[191:192]
	ds_load_b128 v[189:192], v1 offset:1088
	v_fma_f64 v[195:196], v[195:196], v[30:31], v[199:200]
	v_fma_f64 v[193:194], v[193:194], v[30:31], -v[32:33]
	scratch_load_b128 v[30:33], off, off offset:480
	v_add_f64 v[199:200], v[201:202], v[205:206]
	v_add_f64 v[197:198], v[197:198], v[203:204]
	v_fma_f64 v[203:204], v[4:5], v[34:35], v[207:208]
	v_fma_f64 v[205:206], v[2:3], v[34:35], -v[36:37]
	scratch_load_b128 v[34:37], off, off offset:496
	ds_load_b128 v[2:5], v1 offset:1104
	s_waitcnt vmcnt(9) lgkmcnt(1)
	v_mul_f64 v[201:202], v[189:190], v[187:188]
	v_mul_f64 v[187:188], v[191:192], v[187:188]
	s_waitcnt vmcnt(8) lgkmcnt(0)
	v_mul_f64 v[207:208], v[2:3], v[40:41]
	v_mul_f64 v[40:41], v[4:5], v[40:41]
	v_add_f64 v[199:200], v[199:200], v[193:194]
	v_add_f64 v[197:198], v[197:198], v[195:196]
	ds_load_b128 v[193:196], v1 offset:1120
	v_fma_f64 v[191:192], v[191:192], v[185:186], v[201:202]
	v_fma_f64 v[189:190], v[189:190], v[185:186], -v[187:188]
	scratch_load_b128 v[185:188], off, off offset:512
	v_add_f64 v[199:200], v[199:200], v[205:206]
	v_add_f64 v[197:198], v[197:198], v[203:204]
	v_fma_f64 v[203:204], v[4:5], v[38:39], v[207:208]
	v_fma_f64 v[205:206], v[2:3], v[38:39], -v[40:41]
	scratch_load_b128 v[38:41], off, off offset:528
	ds_load_b128 v[2:5], v1 offset:1136
	s_waitcnt vmcnt(9) lgkmcnt(1)
	v_mul_f64 v[201:202], v[193:194], v[8:9]
	v_mul_f64 v[8:9], v[195:196], v[8:9]
	s_waitcnt vmcnt(8) lgkmcnt(0)
	v_mul_f64 v[207:208], v[2:3], v[12:13]
	v_mul_f64 v[12:13], v[4:5], v[12:13]
	v_add_f64 v[199:200], v[199:200], v[189:190]
	v_add_f64 v[197:198], v[197:198], v[191:192]
	ds_load_b128 v[189:192], v1 offset:1152
	v_fma_f64 v[195:196], v[195:196], v[6:7], v[201:202]
	v_fma_f64 v[193:194], v[193:194], v[6:7], -v[8:9]
	scratch_load_b128 v[6:9], off, off offset:544
	v_add_f64 v[199:200], v[199:200], v[205:206]
	v_add_f64 v[197:198], v[197:198], v[203:204]
	v_fma_f64 v[203:204], v[4:5], v[10:11], v[207:208]
	v_fma_f64 v[205:206], v[2:3], v[10:11], -v[12:13]
	scratch_load_b128 v[10:13], off, off offset:560
	ds_load_b128 v[2:5], v1 offset:1168
	s_waitcnt vmcnt(9) lgkmcnt(1)
	v_mul_f64 v[201:202], v[189:190], v[16:17]
	v_mul_f64 v[16:17], v[191:192], v[16:17]
	s_waitcnt vmcnt(8) lgkmcnt(0)
	v_mul_f64 v[207:208], v[2:3], v[20:21]
	v_mul_f64 v[20:21], v[4:5], v[20:21]
	v_add_f64 v[199:200], v[199:200], v[193:194]
	v_add_f64 v[197:198], v[197:198], v[195:196]
	ds_load_b128 v[193:196], v1 offset:1184
	v_fma_f64 v[191:192], v[191:192], v[14:15], v[201:202]
	v_fma_f64 v[189:190], v[189:190], v[14:15], -v[16:17]
	scratch_load_b128 v[14:17], off, off offset:576
	v_add_f64 v[199:200], v[199:200], v[205:206]
	v_add_f64 v[197:198], v[197:198], v[203:204]
	v_fma_f64 v[203:204], v[4:5], v[18:19], v[207:208]
	v_fma_f64 v[205:206], v[2:3], v[18:19], -v[20:21]
	scratch_load_b128 v[18:21], off, off offset:592
	ds_load_b128 v[2:5], v1 offset:1200
	s_waitcnt vmcnt(9) lgkmcnt(1)
	v_mul_f64 v[201:202], v[193:194], v[24:25]
	v_mul_f64 v[24:25], v[195:196], v[24:25]
	s_waitcnt vmcnt(8) lgkmcnt(0)
	v_mul_f64 v[207:208], v[2:3], v[28:29]
	v_mul_f64 v[28:29], v[4:5], v[28:29]
	v_add_f64 v[199:200], v[199:200], v[189:190]
	v_add_f64 v[197:198], v[197:198], v[191:192]
	ds_load_b128 v[189:192], v1 offset:1216
	v_fma_f64 v[195:196], v[195:196], v[22:23], v[201:202]
	v_fma_f64 v[193:194], v[193:194], v[22:23], -v[24:25]
	scratch_load_b128 v[22:25], off, off offset:608
	v_add_f64 v[199:200], v[199:200], v[205:206]
	v_add_f64 v[197:198], v[197:198], v[203:204]
	v_fma_f64 v[203:204], v[4:5], v[26:27], v[207:208]
	v_fma_f64 v[205:206], v[2:3], v[26:27], -v[28:29]
	scratch_load_b128 v[26:29], off, off offset:624
	ds_load_b128 v[2:5], v1 offset:1232
	s_waitcnt vmcnt(9) lgkmcnt(1)
	v_mul_f64 v[201:202], v[189:190], v[32:33]
	v_mul_f64 v[32:33], v[191:192], v[32:33]
	s_waitcnt vmcnt(8) lgkmcnt(0)
	v_mul_f64 v[207:208], v[2:3], v[36:37]
	v_mul_f64 v[36:37], v[4:5], v[36:37]
	v_add_f64 v[199:200], v[199:200], v[193:194]
	v_add_f64 v[197:198], v[197:198], v[195:196]
	ds_load_b128 v[193:196], v1 offset:1248
	v_fma_f64 v[191:192], v[191:192], v[30:31], v[201:202]
	v_fma_f64 v[189:190], v[189:190], v[30:31], -v[32:33]
	scratch_load_b128 v[30:33], off, off offset:640
	v_add_f64 v[199:200], v[199:200], v[205:206]
	v_add_f64 v[197:198], v[197:198], v[203:204]
	v_fma_f64 v[205:206], v[4:5], v[34:35], v[207:208]
	v_fma_f64 v[207:208], v[2:3], v[34:35], -v[36:37]
	scratch_load_b128 v[34:37], off, off offset:656
	ds_load_b128 v[2:5], v1 offset:1264
	s_waitcnt vmcnt(9) lgkmcnt(1)
	v_mul_f64 v[201:202], v[193:194], v[187:188]
	v_mul_f64 v[203:204], v[195:196], v[187:188]
	v_add_f64 v[199:200], v[199:200], v[189:190]
	v_add_f64 v[191:192], v[197:198], v[191:192]
	s_waitcnt vmcnt(8) lgkmcnt(0)
	v_mul_f64 v[197:198], v[2:3], v[40:41]
	v_mul_f64 v[40:41], v[4:5], v[40:41]
	ds_load_b128 v[187:190], v1 offset:1280
	v_fma_f64 v[195:196], v[195:196], v[185:186], v[201:202]
	v_fma_f64 v[185:186], v[193:194], v[185:186], -v[203:204]
	v_add_f64 v[199:200], v[199:200], v[207:208]
	v_add_f64 v[201:202], v[191:192], v[205:206]
	scratch_load_b128 v[191:194], off, off offset:672
	v_fma_f64 v[205:206], v[4:5], v[38:39], v[197:198]
	v_fma_f64 v[207:208], v[2:3], v[38:39], -v[40:41]
	scratch_load_b128 v[38:41], off, off offset:688
	ds_load_b128 v[2:5], v1 offset:1296
	s_waitcnt vmcnt(9) lgkmcnt(1)
	v_mul_f64 v[203:204], v[187:188], v[8:9]
	v_mul_f64 v[8:9], v[189:190], v[8:9]
	v_add_f64 v[185:186], v[199:200], v[185:186]
	v_add_f64 v[199:200], v[201:202], v[195:196]
	s_waitcnt vmcnt(8) lgkmcnt(0)
	v_mul_f64 v[201:202], v[2:3], v[12:13]
	v_mul_f64 v[12:13], v[4:5], v[12:13]
	ds_load_b128 v[195:198], v1 offset:1312
	v_fma_f64 v[189:190], v[189:190], v[6:7], v[203:204]
	v_fma_f64 v[187:188], v[187:188], v[6:7], -v[8:9]
	scratch_load_b128 v[6:9], off, off offset:704
	v_add_f64 v[185:186], v[185:186], v[207:208]
	v_add_f64 v[199:200], v[199:200], v[205:206]
	v_fma_f64 v[201:202], v[4:5], v[10:11], v[201:202]
	v_fma_f64 v[205:206], v[2:3], v[10:11], -v[12:13]
	scratch_load_b128 v[10:13], off, off offset:720
	ds_load_b128 v[2:5], v1 offset:1328
	s_waitcnt vmcnt(9) lgkmcnt(1)
	v_mul_f64 v[203:204], v[195:196], v[16:17]
	v_mul_f64 v[16:17], v[197:198], v[16:17]
	v_add_f64 v[207:208], v[185:186], v[187:188]
	v_add_f64 v[189:190], v[199:200], v[189:190]
	s_waitcnt vmcnt(8) lgkmcnt(0)
	v_mul_f64 v[199:200], v[2:3], v[20:21]
	v_mul_f64 v[20:21], v[4:5], v[20:21]
	ds_load_b128 v[185:188], v1 offset:1344
	v_fma_f64 v[197:198], v[197:198], v[14:15], v[203:204]
	v_fma_f64 v[14:15], v[195:196], v[14:15], -v[16:17]
	s_waitcnt vmcnt(7) lgkmcnt(0)
	v_mul_f64 v[195:196], v[185:186], v[24:25]
	v_mul_f64 v[24:25], v[187:188], v[24:25]
	v_add_f64 v[16:17], v[207:208], v[205:206]
	v_add_f64 v[189:190], v[189:190], v[201:202]
	v_fma_f64 v[199:200], v[4:5], v[18:19], v[199:200]
	v_fma_f64 v[18:19], v[2:3], v[18:19], -v[20:21]
	v_fma_f64 v[187:188], v[187:188], v[22:23], v[195:196]
	v_fma_f64 v[22:23], v[185:186], v[22:23], -v[24:25]
	v_add_f64 v[20:21], v[16:17], v[14:15]
	v_add_f64 v[189:190], v[189:190], v[197:198]
	ds_load_b128 v[2:5], v1 offset:1360
	ds_load_b128 v[14:17], v1 offset:1376
	s_waitcnt vmcnt(6) lgkmcnt(1)
	v_mul_f64 v[197:198], v[2:3], v[28:29]
	v_mul_f64 v[28:29], v[4:5], v[28:29]
	s_waitcnt vmcnt(5) lgkmcnt(0)
	v_mul_f64 v[24:25], v[14:15], v[32:33]
	v_mul_f64 v[32:33], v[16:17], v[32:33]
	v_add_f64 v[18:19], v[20:21], v[18:19]
	v_add_f64 v[20:21], v[189:190], v[199:200]
	v_fma_f64 v[185:186], v[4:5], v[26:27], v[197:198]
	v_fma_f64 v[26:27], v[2:3], v[26:27], -v[28:29]
	v_fma_f64 v[16:17], v[16:17], v[30:31], v[24:25]
	v_fma_f64 v[14:15], v[14:15], v[30:31], -v[32:33]
	v_add_f64 v[22:23], v[18:19], v[22:23]
	v_add_f64 v[28:29], v[20:21], v[187:188]
	ds_load_b128 v[2:5], v1 offset:1392
	ds_load_b128 v[18:21], v1 offset:1408
	s_waitcnt vmcnt(4) lgkmcnt(1)
	v_mul_f64 v[187:188], v[2:3], v[36:37]
	v_mul_f64 v[36:37], v[4:5], v[36:37]
	v_add_f64 v[22:23], v[22:23], v[26:27]
	v_add_f64 v[24:25], v[28:29], v[185:186]
	s_waitcnt vmcnt(3) lgkmcnt(0)
	v_mul_f64 v[26:27], v[18:19], v[193:194]
	v_mul_f64 v[28:29], v[20:21], v[193:194]
	v_fma_f64 v[30:31], v[4:5], v[34:35], v[187:188]
	v_fma_f64 v[32:33], v[2:3], v[34:35], -v[36:37]
	v_add_f64 v[22:23], v[22:23], v[14:15]
	v_add_f64 v[24:25], v[24:25], v[16:17]
	ds_load_b128 v[2:5], v1 offset:1424
	ds_load_b128 v[14:17], v1 offset:1440
	v_fma_f64 v[20:21], v[20:21], v[191:192], v[26:27]
	v_fma_f64 v[18:19], v[18:19], v[191:192], -v[28:29]
	s_waitcnt vmcnt(2) lgkmcnt(1)
	v_mul_f64 v[34:35], v[2:3], v[40:41]
	v_mul_f64 v[36:37], v[4:5], v[40:41]
	s_waitcnt vmcnt(1) lgkmcnt(0)
	v_mul_f64 v[26:27], v[14:15], v[8:9]
	v_mul_f64 v[8:9], v[16:17], v[8:9]
	v_add_f64 v[22:23], v[22:23], v[32:33]
	v_add_f64 v[24:25], v[24:25], v[30:31]
	v_fma_f64 v[28:29], v[4:5], v[38:39], v[34:35]
	v_fma_f64 v[30:31], v[2:3], v[38:39], -v[36:37]
	ds_load_b128 v[2:5], v1 offset:1456
	v_fma_f64 v[16:17], v[16:17], v[6:7], v[26:27]
	v_fma_f64 v[6:7], v[14:15], v[6:7], -v[8:9]
	v_add_f64 v[18:19], v[22:23], v[18:19]
	v_add_f64 v[20:21], v[24:25], v[20:21]
	s_waitcnt vmcnt(0) lgkmcnt(0)
	v_mul_f64 v[22:23], v[2:3], v[12:13]
	v_mul_f64 v[12:13], v[4:5], v[12:13]
	s_delay_alu instid0(VALU_DEP_4) | instskip(NEXT) | instid1(VALU_DEP_4)
	v_add_f64 v[8:9], v[18:19], v[30:31]
	v_add_f64 v[14:15], v[20:21], v[28:29]
	s_delay_alu instid0(VALU_DEP_4) | instskip(NEXT) | instid1(VALU_DEP_4)
	v_fma_f64 v[4:5], v[4:5], v[10:11], v[22:23]
	v_fma_f64 v[2:3], v[2:3], v[10:11], -v[12:13]
	s_delay_alu instid0(VALU_DEP_4) | instskip(NEXT) | instid1(VALU_DEP_4)
	v_add_f64 v[6:7], v[8:9], v[6:7]
	v_add_f64 v[8:9], v[14:15], v[16:17]
	s_delay_alu instid0(VALU_DEP_2) | instskip(NEXT) | instid1(VALU_DEP_2)
	v_add_f64 v[2:3], v[6:7], v[2:3]
	v_add_f64 v[4:5], v[8:9], v[4:5]
	s_delay_alu instid0(VALU_DEP_2) | instskip(NEXT) | instid1(VALU_DEP_2)
	v_add_f64 v[2:3], v[42:43], -v[2:3]
	v_add_f64 v[4:5], v[44:45], -v[4:5]
	scratch_store_b128 off, v[2:5], off offset:32
	v_cmpx_lt_u32_e32 1, v138
	s_cbranch_execz .LBB109_287
; %bb.286:
	scratch_load_b128 v[5:8], v183, off
	v_mov_b32_e32 v2, v1
	v_mov_b32_e32 v3, v1
	v_mov_b32_e32 v4, v1
	scratch_store_b128 off, v[1:4], off offset:16
	s_waitcnt vmcnt(0)
	ds_store_b128 v184, v[5:8]
.LBB109_287:
	s_or_b32 exec_lo, exec_lo, s2
	s_waitcnt lgkmcnt(0)
	s_waitcnt_vscnt null, 0x0
	s_barrier
	buffer_gl0_inv
	s_clause 0x8
	scratch_load_b128 v[2:5], off, off offset:32
	scratch_load_b128 v[6:9], off, off offset:48
	scratch_load_b128 v[10:13], off, off offset:64
	scratch_load_b128 v[14:17], off, off offset:80
	scratch_load_b128 v[18:21], off, off offset:96
	scratch_load_b128 v[22:25], off, off offset:112
	scratch_load_b128 v[26:29], off, off offset:128
	scratch_load_b128 v[30:33], off, off offset:144
	scratch_load_b128 v[34:37], off, off offset:160
	ds_load_b128 v[42:45], v1 offset:768
	ds_load_b128 v[38:41], v1 offset:784
	s_clause 0x1
	scratch_load_b128 v[185:188], off, off offset:16
	scratch_load_b128 v[189:192], off, off offset:176
	s_mov_b32 s2, exec_lo
	s_waitcnt vmcnt(10) lgkmcnt(1)
	v_mul_f64 v[193:194], v[44:45], v[4:5]
	v_mul_f64 v[4:5], v[42:43], v[4:5]
	s_waitcnt vmcnt(9) lgkmcnt(0)
	v_mul_f64 v[197:198], v[38:39], v[8:9]
	v_mul_f64 v[8:9], v[40:41], v[8:9]
	s_delay_alu instid0(VALU_DEP_4) | instskip(NEXT) | instid1(VALU_DEP_4)
	v_fma_f64 v[199:200], v[42:43], v[2:3], -v[193:194]
	v_fma_f64 v[201:202], v[44:45], v[2:3], v[4:5]
	ds_load_b128 v[2:5], v1 offset:800
	ds_load_b128 v[193:196], v1 offset:816
	scratch_load_b128 v[42:45], off, off offset:192
	v_fma_f64 v[40:41], v[40:41], v[6:7], v[197:198]
	v_fma_f64 v[38:39], v[38:39], v[6:7], -v[8:9]
	scratch_load_b128 v[6:9], off, off offset:208
	s_waitcnt vmcnt(10) lgkmcnt(1)
	v_mul_f64 v[203:204], v[2:3], v[12:13]
	v_mul_f64 v[12:13], v[4:5], v[12:13]
	v_add_f64 v[197:198], v[199:200], 0
	v_add_f64 v[199:200], v[201:202], 0
	s_waitcnt vmcnt(9) lgkmcnt(0)
	v_mul_f64 v[201:202], v[193:194], v[16:17]
	v_mul_f64 v[16:17], v[195:196], v[16:17]
	v_fma_f64 v[203:204], v[4:5], v[10:11], v[203:204]
	v_fma_f64 v[205:206], v[2:3], v[10:11], -v[12:13]
	ds_load_b128 v[2:5], v1 offset:832
	scratch_load_b128 v[10:13], off, off offset:224
	v_add_f64 v[197:198], v[197:198], v[38:39]
	v_add_f64 v[199:200], v[199:200], v[40:41]
	ds_load_b128 v[38:41], v1 offset:848
	v_fma_f64 v[195:196], v[195:196], v[14:15], v[201:202]
	v_fma_f64 v[193:194], v[193:194], v[14:15], -v[16:17]
	scratch_load_b128 v[14:17], off, off offset:240
	s_waitcnt vmcnt(10) lgkmcnt(1)
	v_mul_f64 v[207:208], v[2:3], v[20:21]
	v_mul_f64 v[20:21], v[4:5], v[20:21]
	s_waitcnt vmcnt(9) lgkmcnt(0)
	v_mul_f64 v[201:202], v[38:39], v[24:25]
	v_mul_f64 v[24:25], v[40:41], v[24:25]
	v_add_f64 v[197:198], v[197:198], v[205:206]
	v_add_f64 v[199:200], v[199:200], v[203:204]
	v_fma_f64 v[203:204], v[4:5], v[18:19], v[207:208]
	v_fma_f64 v[205:206], v[2:3], v[18:19], -v[20:21]
	ds_load_b128 v[2:5], v1 offset:864
	scratch_load_b128 v[18:21], off, off offset:256
	v_fma_f64 v[40:41], v[40:41], v[22:23], v[201:202]
	v_fma_f64 v[38:39], v[38:39], v[22:23], -v[24:25]
	scratch_load_b128 v[22:25], off, off offset:272
	v_add_f64 v[197:198], v[197:198], v[193:194]
	v_add_f64 v[199:200], v[199:200], v[195:196]
	ds_load_b128 v[193:196], v1 offset:880
	s_waitcnt vmcnt(10) lgkmcnt(1)
	v_mul_f64 v[207:208], v[2:3], v[28:29]
	v_mul_f64 v[28:29], v[4:5], v[28:29]
	s_waitcnt vmcnt(9) lgkmcnt(0)
	v_mul_f64 v[201:202], v[193:194], v[32:33]
	v_mul_f64 v[32:33], v[195:196], v[32:33]
	v_add_f64 v[197:198], v[197:198], v[205:206]
	v_add_f64 v[199:200], v[199:200], v[203:204]
	v_fma_f64 v[203:204], v[4:5], v[26:27], v[207:208]
	v_fma_f64 v[205:206], v[2:3], v[26:27], -v[28:29]
	ds_load_b128 v[2:5], v1 offset:896
	scratch_load_b128 v[26:29], off, off offset:288
	v_fma_f64 v[195:196], v[195:196], v[30:31], v[201:202]
	v_fma_f64 v[193:194], v[193:194], v[30:31], -v[32:33]
	scratch_load_b128 v[30:33], off, off offset:304
	v_add_f64 v[197:198], v[197:198], v[38:39]
	v_add_f64 v[199:200], v[199:200], v[40:41]
	ds_load_b128 v[38:41], v1 offset:912
	s_waitcnt vmcnt(10) lgkmcnt(1)
	v_mul_f64 v[207:208], v[2:3], v[36:37]
	v_mul_f64 v[36:37], v[4:5], v[36:37]
	s_waitcnt vmcnt(8) lgkmcnt(0)
	v_mul_f64 v[201:202], v[38:39], v[191:192]
	v_add_f64 v[197:198], v[197:198], v[205:206]
	v_add_f64 v[199:200], v[199:200], v[203:204]
	v_mul_f64 v[203:204], v[40:41], v[191:192]
	v_fma_f64 v[205:206], v[4:5], v[34:35], v[207:208]
	v_fma_f64 v[207:208], v[2:3], v[34:35], -v[36:37]
	ds_load_b128 v[2:5], v1 offset:928
	scratch_load_b128 v[34:37], off, off offset:320
	v_fma_f64 v[201:202], v[40:41], v[189:190], v[201:202]
	v_add_f64 v[197:198], v[197:198], v[193:194]
	v_add_f64 v[195:196], v[199:200], v[195:196]
	ds_load_b128 v[191:194], v1 offset:944
	v_fma_f64 v[189:190], v[38:39], v[189:190], -v[203:204]
	scratch_load_b128 v[38:41], off, off offset:336
	s_waitcnt vmcnt(9) lgkmcnt(1)
	v_mul_f64 v[199:200], v[2:3], v[44:45]
	v_mul_f64 v[44:45], v[4:5], v[44:45]
	s_waitcnt vmcnt(8) lgkmcnt(0)
	v_mul_f64 v[203:204], v[191:192], v[8:9]
	v_mul_f64 v[8:9], v[193:194], v[8:9]
	v_add_f64 v[197:198], v[197:198], v[207:208]
	v_add_f64 v[195:196], v[195:196], v[205:206]
	v_fma_f64 v[199:200], v[4:5], v[42:43], v[199:200]
	v_fma_f64 v[205:206], v[2:3], v[42:43], -v[44:45]
	ds_load_b128 v[2:5], v1 offset:960
	scratch_load_b128 v[42:45], off, off offset:352
	v_fma_f64 v[193:194], v[193:194], v[6:7], v[203:204]
	v_fma_f64 v[191:192], v[191:192], v[6:7], -v[8:9]
	scratch_load_b128 v[6:9], off, off offset:368
	v_add_f64 v[189:190], v[197:198], v[189:190]
	v_add_f64 v[201:202], v[195:196], v[201:202]
	ds_load_b128 v[195:198], v1 offset:976
	s_waitcnt vmcnt(9) lgkmcnt(1)
	v_mul_f64 v[207:208], v[2:3], v[12:13]
	v_mul_f64 v[12:13], v[4:5], v[12:13]
	v_add_f64 v[189:190], v[189:190], v[205:206]
	v_add_f64 v[199:200], v[201:202], v[199:200]
	s_waitcnt vmcnt(8) lgkmcnt(0)
	v_mul_f64 v[201:202], v[195:196], v[16:17]
	v_mul_f64 v[16:17], v[197:198], v[16:17]
	v_fma_f64 v[203:204], v[4:5], v[10:11], v[207:208]
	v_fma_f64 v[205:206], v[2:3], v[10:11], -v[12:13]
	ds_load_b128 v[2:5], v1 offset:992
	scratch_load_b128 v[10:13], off, off offset:384
	v_add_f64 v[207:208], v[189:190], v[191:192]
	v_add_f64 v[193:194], v[199:200], v[193:194]
	ds_load_b128 v[189:192], v1 offset:1008
	s_waitcnt vmcnt(8) lgkmcnt(1)
	v_mul_f64 v[199:200], v[2:3], v[20:21]
	v_mul_f64 v[20:21], v[4:5], v[20:21]
	v_fma_f64 v[197:198], v[197:198], v[14:15], v[201:202]
	v_fma_f64 v[195:196], v[195:196], v[14:15], -v[16:17]
	scratch_load_b128 v[14:17], off, off offset:400
	v_add_f64 v[201:202], v[207:208], v[205:206]
	v_add_f64 v[193:194], v[193:194], v[203:204]
	s_waitcnt vmcnt(8) lgkmcnt(0)
	v_mul_f64 v[203:204], v[189:190], v[24:25]
	v_mul_f64 v[24:25], v[191:192], v[24:25]
	v_fma_f64 v[199:200], v[4:5], v[18:19], v[199:200]
	v_fma_f64 v[205:206], v[2:3], v[18:19], -v[20:21]
	ds_load_b128 v[2:5], v1 offset:1024
	scratch_load_b128 v[18:21], off, off offset:416
	v_add_f64 v[201:202], v[201:202], v[195:196]
	v_add_f64 v[197:198], v[193:194], v[197:198]
	ds_load_b128 v[193:196], v1 offset:1040
	s_waitcnt vmcnt(8) lgkmcnt(1)
	v_mul_f64 v[207:208], v[2:3], v[28:29]
	v_mul_f64 v[28:29], v[4:5], v[28:29]
	v_fma_f64 v[191:192], v[191:192], v[22:23], v[203:204]
	v_fma_f64 v[189:190], v[189:190], v[22:23], -v[24:25]
	scratch_load_b128 v[22:25], off, off offset:432
	;; [unrolled: 18-line block ×4, first 2 shown]
	s_waitcnt vmcnt(8) lgkmcnt(0)
	v_mul_f64 v[201:202], v[193:194], v[8:9]
	v_mul_f64 v[8:9], v[195:196], v[8:9]
	v_add_f64 v[199:200], v[199:200], v[205:206]
	v_add_f64 v[197:198], v[197:198], v[203:204]
	v_fma_f64 v[203:204], v[4:5], v[42:43], v[207:208]
	v_fma_f64 v[205:206], v[2:3], v[42:43], -v[44:45]
	ds_load_b128 v[2:5], v1 offset:1120
	scratch_load_b128 v[42:45], off, off offset:512
	v_fma_f64 v[195:196], v[195:196], v[6:7], v[201:202]
	v_fma_f64 v[193:194], v[193:194], v[6:7], -v[8:9]
	scratch_load_b128 v[6:9], off, off offset:528
	v_add_f64 v[199:200], v[199:200], v[189:190]
	v_add_f64 v[197:198], v[197:198], v[191:192]
	ds_load_b128 v[189:192], v1 offset:1136
	s_waitcnt vmcnt(9) lgkmcnt(1)
	v_mul_f64 v[207:208], v[2:3], v[12:13]
	v_mul_f64 v[12:13], v[4:5], v[12:13]
	s_waitcnt vmcnt(8) lgkmcnt(0)
	v_mul_f64 v[201:202], v[189:190], v[16:17]
	v_mul_f64 v[16:17], v[191:192], v[16:17]
	v_add_f64 v[199:200], v[199:200], v[205:206]
	v_add_f64 v[197:198], v[197:198], v[203:204]
	v_fma_f64 v[203:204], v[4:5], v[10:11], v[207:208]
	v_fma_f64 v[205:206], v[2:3], v[10:11], -v[12:13]
	ds_load_b128 v[2:5], v1 offset:1152
	scratch_load_b128 v[10:13], off, off offset:544
	v_fma_f64 v[191:192], v[191:192], v[14:15], v[201:202]
	v_fma_f64 v[189:190], v[189:190], v[14:15], -v[16:17]
	scratch_load_b128 v[14:17], off, off offset:560
	v_add_f64 v[199:200], v[199:200], v[193:194]
	v_add_f64 v[197:198], v[197:198], v[195:196]
	ds_load_b128 v[193:196], v1 offset:1168
	s_waitcnt vmcnt(9) lgkmcnt(1)
	v_mul_f64 v[207:208], v[2:3], v[20:21]
	v_mul_f64 v[20:21], v[4:5], v[20:21]
	s_waitcnt vmcnt(8) lgkmcnt(0)
	v_mul_f64 v[201:202], v[193:194], v[24:25]
	v_mul_f64 v[24:25], v[195:196], v[24:25]
	v_add_f64 v[199:200], v[199:200], v[205:206]
	v_add_f64 v[197:198], v[197:198], v[203:204]
	v_fma_f64 v[203:204], v[4:5], v[18:19], v[207:208]
	v_fma_f64 v[205:206], v[2:3], v[18:19], -v[20:21]
	ds_load_b128 v[2:5], v1 offset:1184
	scratch_load_b128 v[18:21], off, off offset:576
	v_fma_f64 v[195:196], v[195:196], v[22:23], v[201:202]
	v_fma_f64 v[193:194], v[193:194], v[22:23], -v[24:25]
	scratch_load_b128 v[22:25], off, off offset:592
	v_add_f64 v[199:200], v[199:200], v[189:190]
	v_add_f64 v[197:198], v[197:198], v[191:192]
	ds_load_b128 v[189:192], v1 offset:1200
	s_waitcnt vmcnt(9) lgkmcnt(1)
	v_mul_f64 v[207:208], v[2:3], v[28:29]
	v_mul_f64 v[28:29], v[4:5], v[28:29]
	s_waitcnt vmcnt(8) lgkmcnt(0)
	v_mul_f64 v[201:202], v[189:190], v[32:33]
	v_mul_f64 v[32:33], v[191:192], v[32:33]
	v_add_f64 v[199:200], v[199:200], v[205:206]
	v_add_f64 v[197:198], v[197:198], v[203:204]
	v_fma_f64 v[203:204], v[4:5], v[26:27], v[207:208]
	v_fma_f64 v[205:206], v[2:3], v[26:27], -v[28:29]
	ds_load_b128 v[2:5], v1 offset:1216
	scratch_load_b128 v[26:29], off, off offset:608
	v_fma_f64 v[191:192], v[191:192], v[30:31], v[201:202]
	v_fma_f64 v[189:190], v[189:190], v[30:31], -v[32:33]
	scratch_load_b128 v[30:33], off, off offset:624
	v_add_f64 v[199:200], v[199:200], v[193:194]
	v_add_f64 v[197:198], v[197:198], v[195:196]
	ds_load_b128 v[193:196], v1 offset:1232
	s_waitcnt vmcnt(9) lgkmcnt(1)
	v_mul_f64 v[207:208], v[2:3], v[36:37]
	v_mul_f64 v[36:37], v[4:5], v[36:37]
	s_waitcnt vmcnt(8) lgkmcnt(0)
	v_mul_f64 v[201:202], v[193:194], v[40:41]
	v_mul_f64 v[40:41], v[195:196], v[40:41]
	v_add_f64 v[199:200], v[199:200], v[205:206]
	v_add_f64 v[197:198], v[197:198], v[203:204]
	v_fma_f64 v[203:204], v[4:5], v[34:35], v[207:208]
	v_fma_f64 v[205:206], v[2:3], v[34:35], -v[36:37]
	ds_load_b128 v[2:5], v1 offset:1248
	scratch_load_b128 v[34:37], off, off offset:640
	v_fma_f64 v[195:196], v[195:196], v[38:39], v[201:202]
	v_fma_f64 v[193:194], v[193:194], v[38:39], -v[40:41]
	scratch_load_b128 v[38:41], off, off offset:656
	v_add_f64 v[199:200], v[199:200], v[189:190]
	v_add_f64 v[197:198], v[197:198], v[191:192]
	ds_load_b128 v[189:192], v1 offset:1264
	s_waitcnt vmcnt(9) lgkmcnt(1)
	v_mul_f64 v[207:208], v[2:3], v[44:45]
	v_mul_f64 v[44:45], v[4:5], v[44:45]
	s_waitcnt vmcnt(8) lgkmcnt(0)
	v_mul_f64 v[201:202], v[189:190], v[8:9]
	v_mul_f64 v[8:9], v[191:192], v[8:9]
	v_add_f64 v[199:200], v[199:200], v[205:206]
	v_add_f64 v[197:198], v[197:198], v[203:204]
	v_fma_f64 v[203:204], v[4:5], v[42:43], v[207:208]
	v_fma_f64 v[205:206], v[2:3], v[42:43], -v[44:45]
	ds_load_b128 v[2:5], v1 offset:1280
	scratch_load_b128 v[42:45], off, off offset:672
	v_fma_f64 v[191:192], v[191:192], v[6:7], v[201:202]
	v_fma_f64 v[189:190], v[189:190], v[6:7], -v[8:9]
	scratch_load_b128 v[6:9], off, off offset:688
	v_add_f64 v[199:200], v[199:200], v[193:194]
	v_add_f64 v[197:198], v[197:198], v[195:196]
	ds_load_b128 v[193:196], v1 offset:1296
	s_waitcnt vmcnt(9) lgkmcnt(1)
	v_mul_f64 v[207:208], v[2:3], v[12:13]
	v_mul_f64 v[12:13], v[4:5], v[12:13]
	s_waitcnt vmcnt(8) lgkmcnt(0)
	v_mul_f64 v[201:202], v[193:194], v[16:17]
	v_mul_f64 v[16:17], v[195:196], v[16:17]
	v_add_f64 v[199:200], v[199:200], v[205:206]
	v_add_f64 v[197:198], v[197:198], v[203:204]
	v_fma_f64 v[203:204], v[4:5], v[10:11], v[207:208]
	v_fma_f64 v[205:206], v[2:3], v[10:11], -v[12:13]
	ds_load_b128 v[2:5], v1 offset:1312
	scratch_load_b128 v[10:13], off, off offset:704
	v_fma_f64 v[195:196], v[195:196], v[14:15], v[201:202]
	v_fma_f64 v[193:194], v[193:194], v[14:15], -v[16:17]
	scratch_load_b128 v[14:17], off, off offset:720
	v_add_f64 v[199:200], v[199:200], v[189:190]
	v_add_f64 v[197:198], v[197:198], v[191:192]
	ds_load_b128 v[189:192], v1 offset:1328
	s_waitcnt vmcnt(9) lgkmcnt(1)
	v_mul_f64 v[207:208], v[2:3], v[20:21]
	v_mul_f64 v[20:21], v[4:5], v[20:21]
	s_waitcnt vmcnt(8) lgkmcnt(0)
	v_mul_f64 v[201:202], v[189:190], v[24:25]
	v_mul_f64 v[24:25], v[191:192], v[24:25]
	v_add_f64 v[199:200], v[199:200], v[205:206]
	v_add_f64 v[197:198], v[197:198], v[203:204]
	v_fma_f64 v[203:204], v[4:5], v[18:19], v[207:208]
	v_fma_f64 v[205:206], v[2:3], v[18:19], -v[20:21]
	ds_load_b128 v[2:5], v1 offset:1344
	ds_load_b128 v[18:21], v1 offset:1360
	v_fma_f64 v[191:192], v[191:192], v[22:23], v[201:202]
	v_fma_f64 v[22:23], v[189:190], v[22:23], -v[24:25]
	v_add_f64 v[193:194], v[199:200], v[193:194]
	v_add_f64 v[195:196], v[197:198], v[195:196]
	s_waitcnt vmcnt(7) lgkmcnt(1)
	v_mul_f64 v[197:198], v[2:3], v[28:29]
	v_mul_f64 v[28:29], v[4:5], v[28:29]
	s_delay_alu instid0(VALU_DEP_4) | instskip(NEXT) | instid1(VALU_DEP_4)
	v_add_f64 v[24:25], v[193:194], v[205:206]
	v_add_f64 v[189:190], v[195:196], v[203:204]
	s_waitcnt vmcnt(6) lgkmcnt(0)
	v_mul_f64 v[193:194], v[18:19], v[32:33]
	v_mul_f64 v[32:33], v[20:21], v[32:33]
	v_fma_f64 v[195:196], v[4:5], v[26:27], v[197:198]
	v_fma_f64 v[26:27], v[2:3], v[26:27], -v[28:29]
	v_add_f64 v[28:29], v[24:25], v[22:23]
	v_add_f64 v[189:190], v[189:190], v[191:192]
	ds_load_b128 v[2:5], v1 offset:1376
	ds_load_b128 v[22:25], v1 offset:1392
	v_fma_f64 v[20:21], v[20:21], v[30:31], v[193:194]
	v_fma_f64 v[18:19], v[18:19], v[30:31], -v[32:33]
	s_waitcnt vmcnt(5) lgkmcnt(1)
	v_mul_f64 v[191:192], v[2:3], v[36:37]
	v_mul_f64 v[36:37], v[4:5], v[36:37]
	s_waitcnt vmcnt(4) lgkmcnt(0)
	v_mul_f64 v[30:31], v[22:23], v[40:41]
	v_mul_f64 v[32:33], v[24:25], v[40:41]
	v_add_f64 v[26:27], v[28:29], v[26:27]
	v_add_f64 v[28:29], v[189:190], v[195:196]
	v_fma_f64 v[40:41], v[4:5], v[34:35], v[191:192]
	v_fma_f64 v[34:35], v[2:3], v[34:35], -v[36:37]
	v_fma_f64 v[24:25], v[24:25], v[38:39], v[30:31]
	v_fma_f64 v[22:23], v[22:23], v[38:39], -v[32:33]
	v_add_f64 v[26:27], v[26:27], v[18:19]
	v_add_f64 v[28:29], v[28:29], v[20:21]
	ds_load_b128 v[2:5], v1 offset:1408
	ds_load_b128 v[18:21], v1 offset:1424
	s_waitcnt vmcnt(3) lgkmcnt(1)
	v_mul_f64 v[36:37], v[2:3], v[44:45]
	v_mul_f64 v[44:45], v[4:5], v[44:45]
	s_waitcnt vmcnt(2) lgkmcnt(0)
	v_mul_f64 v[30:31], v[18:19], v[8:9]
	v_mul_f64 v[8:9], v[20:21], v[8:9]
	v_add_f64 v[26:27], v[26:27], v[34:35]
	v_add_f64 v[28:29], v[28:29], v[40:41]
	v_fma_f64 v[32:33], v[4:5], v[42:43], v[36:37]
	v_fma_f64 v[34:35], v[2:3], v[42:43], -v[44:45]
	v_fma_f64 v[20:21], v[20:21], v[6:7], v[30:31]
	v_fma_f64 v[6:7], v[18:19], v[6:7], -v[8:9]
	v_add_f64 v[26:27], v[26:27], v[22:23]
	v_add_f64 v[28:29], v[28:29], v[24:25]
	ds_load_b128 v[2:5], v1 offset:1440
	ds_load_b128 v[22:25], v1 offset:1456
	s_waitcnt vmcnt(1) lgkmcnt(1)
	v_mul_f64 v[36:37], v[2:3], v[12:13]
	v_mul_f64 v[12:13], v[4:5], v[12:13]
	v_add_f64 v[8:9], v[26:27], v[34:35]
	v_add_f64 v[18:19], v[28:29], v[32:33]
	s_waitcnt vmcnt(0) lgkmcnt(0)
	v_mul_f64 v[26:27], v[22:23], v[16:17]
	v_mul_f64 v[16:17], v[24:25], v[16:17]
	v_fma_f64 v[4:5], v[4:5], v[10:11], v[36:37]
	v_fma_f64 v[1:2], v[2:3], v[10:11], -v[12:13]
	v_add_f64 v[6:7], v[8:9], v[6:7]
	v_add_f64 v[8:9], v[18:19], v[20:21]
	v_fma_f64 v[10:11], v[24:25], v[14:15], v[26:27]
	v_fma_f64 v[12:13], v[22:23], v[14:15], -v[16:17]
	s_delay_alu instid0(VALU_DEP_4) | instskip(NEXT) | instid1(VALU_DEP_4)
	v_add_f64 v[1:2], v[6:7], v[1:2]
	v_add_f64 v[3:4], v[8:9], v[4:5]
	s_delay_alu instid0(VALU_DEP_2) | instskip(NEXT) | instid1(VALU_DEP_2)
	v_add_f64 v[1:2], v[1:2], v[12:13]
	v_add_f64 v[3:4], v[3:4], v[10:11]
	s_delay_alu instid0(VALU_DEP_2) | instskip(NEXT) | instid1(VALU_DEP_2)
	v_add_f64 v[1:2], v[185:186], -v[1:2]
	v_add_f64 v[3:4], v[187:188], -v[3:4]
	scratch_store_b128 off, v[1:4], off offset:16
	v_cmpx_ne_u32_e32 0, v138
	s_cbranch_execz .LBB109_289
; %bb.288:
	scratch_load_b128 v[1:4], off, off
	v_mov_b32_e32 v5, 0
	s_delay_alu instid0(VALU_DEP_1)
	v_mov_b32_e32 v6, v5
	v_mov_b32_e32 v7, v5
	;; [unrolled: 1-line block ×3, first 2 shown]
	scratch_store_b128 off, v[5:8], off
	s_waitcnt vmcnt(0)
	ds_store_b128 v184, v[1:4]
.LBB109_289:
	s_or_b32 exec_lo, exec_lo, s2
	s_waitcnt lgkmcnt(0)
	s_waitcnt_vscnt null, 0x0
	s_barrier
	buffer_gl0_inv
	s_clause 0x7
	scratch_load_b128 v[1:4], off, off offset:16
	scratch_load_b128 v[5:8], off, off offset:32
	;; [unrolled: 1-line block ×8, first 2 shown]
	v_mov_b32_e32 v41, 0
	s_and_b32 vcc_lo, exec_lo, s14
	ds_load_b128 v[37:40], v41 offset:752
	s_clause 0x1
	scratch_load_b128 v[33:36], off, off offset:144
	scratch_load_b128 v[42:45], off, off
	ds_load_b128 v[184:187], v41 offset:768
	scratch_load_b128 v[188:191], off, off offset:160
	s_waitcnt vmcnt(10) lgkmcnt(1)
	v_mul_f64 v[192:193], v[39:40], v[3:4]
	v_mul_f64 v[3:4], v[37:38], v[3:4]
	s_delay_alu instid0(VALU_DEP_2) | instskip(NEXT) | instid1(VALU_DEP_2)
	v_fma_f64 v[198:199], v[37:38], v[1:2], -v[192:193]
	v_fma_f64 v[200:201], v[39:40], v[1:2], v[3:4]
	scratch_load_b128 v[37:40], off, off offset:176
	ds_load_b128 v[1:4], v41 offset:784
	s_waitcnt vmcnt(10) lgkmcnt(1)
	v_mul_f64 v[196:197], v[184:185], v[7:8]
	v_mul_f64 v[7:8], v[186:187], v[7:8]
	ds_load_b128 v[192:195], v41 offset:800
	s_waitcnt vmcnt(9) lgkmcnt(1)
	v_mul_f64 v[202:203], v[1:2], v[11:12]
	v_mul_f64 v[11:12], v[3:4], v[11:12]
	v_fma_f64 v[186:187], v[186:187], v[5:6], v[196:197]
	v_fma_f64 v[184:185], v[184:185], v[5:6], -v[7:8]
	v_add_f64 v[196:197], v[198:199], 0
	v_add_f64 v[198:199], v[200:201], 0
	scratch_load_b128 v[5:8], off, off offset:192
	v_fma_f64 v[202:203], v[3:4], v[9:10], v[202:203]
	v_fma_f64 v[204:205], v[1:2], v[9:10], -v[11:12]
	scratch_load_b128 v[9:12], off, off offset:208
	ds_load_b128 v[1:4], v41 offset:816
	s_waitcnt vmcnt(10) lgkmcnt(1)
	v_mul_f64 v[200:201], v[192:193], v[15:16]
	v_mul_f64 v[15:16], v[194:195], v[15:16]
	v_add_f64 v[196:197], v[196:197], v[184:185]
	v_add_f64 v[198:199], v[198:199], v[186:187]
	s_waitcnt vmcnt(9) lgkmcnt(0)
	v_mul_f64 v[206:207], v[1:2], v[19:20]
	v_mul_f64 v[19:20], v[3:4], v[19:20]
	ds_load_b128 v[184:187], v41 offset:832
	v_fma_f64 v[194:195], v[194:195], v[13:14], v[200:201]
	v_fma_f64 v[192:193], v[192:193], v[13:14], -v[15:16]
	scratch_load_b128 v[13:16], off, off offset:224
	v_add_f64 v[196:197], v[196:197], v[204:205]
	v_add_f64 v[198:199], v[198:199], v[202:203]
	v_fma_f64 v[202:203], v[3:4], v[17:18], v[206:207]
	v_fma_f64 v[204:205], v[1:2], v[17:18], -v[19:20]
	scratch_load_b128 v[17:20], off, off offset:240
	ds_load_b128 v[1:4], v41 offset:848
	s_waitcnt vmcnt(10) lgkmcnt(1)
	v_mul_f64 v[200:201], v[184:185], v[23:24]
	v_mul_f64 v[23:24], v[186:187], v[23:24]
	s_waitcnt vmcnt(9) lgkmcnt(0)
	v_mul_f64 v[206:207], v[1:2], v[27:28]
	v_mul_f64 v[27:28], v[3:4], v[27:28]
	v_add_f64 v[196:197], v[196:197], v[192:193]
	v_add_f64 v[198:199], v[198:199], v[194:195]
	ds_load_b128 v[192:195], v41 offset:864
	v_fma_f64 v[186:187], v[186:187], v[21:22], v[200:201]
	v_fma_f64 v[184:185], v[184:185], v[21:22], -v[23:24]
	scratch_load_b128 v[21:24], off, off offset:256
	v_add_f64 v[196:197], v[196:197], v[204:205]
	v_add_f64 v[198:199], v[198:199], v[202:203]
	v_fma_f64 v[202:203], v[3:4], v[25:26], v[206:207]
	v_fma_f64 v[204:205], v[1:2], v[25:26], -v[27:28]
	scratch_load_b128 v[25:28], off, off offset:272
	ds_load_b128 v[1:4], v41 offset:880
	s_waitcnt vmcnt(10) lgkmcnt(1)
	v_mul_f64 v[200:201], v[192:193], v[31:32]
	v_mul_f64 v[31:32], v[194:195], v[31:32]
	s_waitcnt vmcnt(9) lgkmcnt(0)
	v_mul_f64 v[206:207], v[1:2], v[35:36]
	v_mul_f64 v[35:36], v[3:4], v[35:36]
	v_add_f64 v[196:197], v[196:197], v[184:185]
	v_add_f64 v[198:199], v[198:199], v[186:187]
	ds_load_b128 v[184:187], v41 offset:896
	v_fma_f64 v[194:195], v[194:195], v[29:30], v[200:201]
	v_fma_f64 v[192:193], v[192:193], v[29:30], -v[31:32]
	scratch_load_b128 v[29:32], off, off offset:288
	v_add_f64 v[196:197], v[196:197], v[204:205]
	v_add_f64 v[198:199], v[198:199], v[202:203]
	v_fma_f64 v[204:205], v[3:4], v[33:34], v[206:207]
	v_fma_f64 v[206:207], v[1:2], v[33:34], -v[35:36]
	scratch_load_b128 v[33:36], off, off offset:304
	ds_load_b128 v[1:4], v41 offset:912
	s_waitcnt vmcnt(9) lgkmcnt(1)
	v_mul_f64 v[200:201], v[184:185], v[190:191]
	v_mul_f64 v[202:203], v[186:187], v[190:191]
	v_add_f64 v[196:197], v[196:197], v[192:193]
	v_add_f64 v[194:195], v[198:199], v[194:195]
	ds_load_b128 v[190:193], v41 offset:928
	v_fma_f64 v[200:201], v[186:187], v[188:189], v[200:201]
	v_fma_f64 v[188:189], v[184:185], v[188:189], -v[202:203]
	scratch_load_b128 v[184:187], off, off offset:320
	s_waitcnt vmcnt(9) lgkmcnt(1)
	v_mul_f64 v[198:199], v[1:2], v[39:40]
	v_mul_f64 v[39:40], v[3:4], v[39:40]
	v_add_f64 v[196:197], v[196:197], v[206:207]
	v_add_f64 v[194:195], v[194:195], v[204:205]
	s_delay_alu instid0(VALU_DEP_4) | instskip(NEXT) | instid1(VALU_DEP_4)
	v_fma_f64 v[198:199], v[3:4], v[37:38], v[198:199]
	v_fma_f64 v[204:205], v[1:2], v[37:38], -v[39:40]
	scratch_load_b128 v[37:40], off, off offset:336
	ds_load_b128 v[1:4], v41 offset:944
	s_waitcnt vmcnt(9) lgkmcnt(1)
	v_mul_f64 v[202:203], v[190:191], v[7:8]
	v_mul_f64 v[7:8], v[192:193], v[7:8]
	s_waitcnt vmcnt(8) lgkmcnt(0)
	v_mul_f64 v[206:207], v[1:2], v[11:12]
	v_mul_f64 v[11:12], v[3:4], v[11:12]
	v_add_f64 v[188:189], v[196:197], v[188:189]
	v_add_f64 v[200:201], v[194:195], v[200:201]
	ds_load_b128 v[194:197], v41 offset:960
	v_fma_f64 v[192:193], v[192:193], v[5:6], v[202:203]
	v_fma_f64 v[190:191], v[190:191], v[5:6], -v[7:8]
	scratch_load_b128 v[5:8], off, off offset:352
	v_fma_f64 v[202:203], v[3:4], v[9:10], v[206:207]
	v_add_f64 v[188:189], v[188:189], v[204:205]
	v_add_f64 v[198:199], v[200:201], v[198:199]
	v_fma_f64 v[204:205], v[1:2], v[9:10], -v[11:12]
	scratch_load_b128 v[9:12], off, off offset:368
	ds_load_b128 v[1:4], v41 offset:976
	s_waitcnt vmcnt(9) lgkmcnt(1)
	v_mul_f64 v[200:201], v[194:195], v[15:16]
	v_mul_f64 v[15:16], v[196:197], v[15:16]
	v_add_f64 v[206:207], v[188:189], v[190:191]
	v_add_f64 v[192:193], v[198:199], v[192:193]
	s_waitcnt vmcnt(8) lgkmcnt(0)
	v_mul_f64 v[198:199], v[1:2], v[19:20]
	v_mul_f64 v[19:20], v[3:4], v[19:20]
	ds_load_b128 v[188:191], v41 offset:992
	v_fma_f64 v[196:197], v[196:197], v[13:14], v[200:201]
	v_fma_f64 v[194:195], v[194:195], v[13:14], -v[15:16]
	scratch_load_b128 v[13:16], off, off offset:384
	v_add_f64 v[200:201], v[206:207], v[204:205]
	v_add_f64 v[192:193], v[192:193], v[202:203]
	v_fma_f64 v[198:199], v[3:4], v[17:18], v[198:199]
	v_fma_f64 v[204:205], v[1:2], v[17:18], -v[19:20]
	scratch_load_b128 v[17:20], off, off offset:400
	ds_load_b128 v[1:4], v41 offset:1008
	s_waitcnt vmcnt(9) lgkmcnt(1)
	v_mul_f64 v[202:203], v[188:189], v[23:24]
	v_mul_f64 v[23:24], v[190:191], v[23:24]
	s_waitcnt vmcnt(8) lgkmcnt(0)
	v_mul_f64 v[206:207], v[1:2], v[27:28]
	v_mul_f64 v[27:28], v[3:4], v[27:28]
	v_add_f64 v[200:201], v[200:201], v[194:195]
	v_add_f64 v[196:197], v[192:193], v[196:197]
	ds_load_b128 v[192:195], v41 offset:1024
	v_fma_f64 v[190:191], v[190:191], v[21:22], v[202:203]
	v_fma_f64 v[188:189], v[188:189], v[21:22], -v[23:24]
	scratch_load_b128 v[21:24], off, off offset:416
	v_fma_f64 v[202:203], v[3:4], v[25:26], v[206:207]
	v_add_f64 v[200:201], v[200:201], v[204:205]
	v_add_f64 v[196:197], v[196:197], v[198:199]
	v_fma_f64 v[204:205], v[1:2], v[25:26], -v[27:28]
	scratch_load_b128 v[25:28], off, off offset:432
	ds_load_b128 v[1:4], v41 offset:1040
	s_waitcnt vmcnt(9) lgkmcnt(1)
	v_mul_f64 v[198:199], v[192:193], v[31:32]
	v_mul_f64 v[31:32], v[194:195], v[31:32]
	s_waitcnt vmcnt(8) lgkmcnt(0)
	v_mul_f64 v[206:207], v[1:2], v[35:36]
	v_mul_f64 v[35:36], v[3:4], v[35:36]
	v_add_f64 v[200:201], v[200:201], v[188:189]
	v_add_f64 v[196:197], v[196:197], v[190:191]
	ds_load_b128 v[188:191], v41 offset:1056
	v_fma_f64 v[194:195], v[194:195], v[29:30], v[198:199]
	v_fma_f64 v[192:193], v[192:193], v[29:30], -v[31:32]
	scratch_load_b128 v[29:32], off, off offset:448
	v_add_f64 v[198:199], v[200:201], v[204:205]
	v_add_f64 v[196:197], v[196:197], v[202:203]
	v_fma_f64 v[202:203], v[3:4], v[33:34], v[206:207]
	v_fma_f64 v[204:205], v[1:2], v[33:34], -v[35:36]
	scratch_load_b128 v[33:36], off, off offset:464
	ds_load_b128 v[1:4], v41 offset:1072
	s_waitcnt vmcnt(9) lgkmcnt(1)
	v_mul_f64 v[200:201], v[188:189], v[186:187]
	v_mul_f64 v[186:187], v[190:191], v[186:187]
	s_waitcnt vmcnt(8) lgkmcnt(0)
	v_mul_f64 v[206:207], v[1:2], v[39:40]
	v_mul_f64 v[39:40], v[3:4], v[39:40]
	v_add_f64 v[198:199], v[198:199], v[192:193]
	v_add_f64 v[196:197], v[196:197], v[194:195]
	ds_load_b128 v[192:195], v41 offset:1088
	v_fma_f64 v[190:191], v[190:191], v[184:185], v[200:201]
	v_fma_f64 v[188:189], v[188:189], v[184:185], -v[186:187]
	scratch_load_b128 v[184:187], off, off offset:480
	v_add_f64 v[198:199], v[198:199], v[204:205]
	v_add_f64 v[196:197], v[196:197], v[202:203]
	v_fma_f64 v[202:203], v[3:4], v[37:38], v[206:207]
	;; [unrolled: 18-line block ×6, first 2 shown]
	v_fma_f64 v[206:207], v[1:2], v[33:34], -v[35:36]
	scratch_load_b128 v[33:36], off, off offset:624
	ds_load_b128 v[1:4], v41 offset:1232
	s_waitcnt vmcnt(9) lgkmcnt(1)
	v_mul_f64 v[200:201], v[192:193], v[186:187]
	v_mul_f64 v[202:203], v[194:195], v[186:187]
	v_add_f64 v[198:199], v[198:199], v[188:189]
	v_add_f64 v[190:191], v[196:197], v[190:191]
	s_waitcnt vmcnt(8) lgkmcnt(0)
	v_mul_f64 v[196:197], v[1:2], v[39:40]
	v_mul_f64 v[39:40], v[3:4], v[39:40]
	ds_load_b128 v[186:189], v41 offset:1248
	v_fma_f64 v[194:195], v[194:195], v[184:185], v[200:201]
	v_fma_f64 v[184:185], v[192:193], v[184:185], -v[202:203]
	v_add_f64 v[198:199], v[198:199], v[206:207]
	v_add_f64 v[200:201], v[190:191], v[204:205]
	scratch_load_b128 v[190:193], off, off offset:640
	v_fma_f64 v[204:205], v[3:4], v[37:38], v[196:197]
	v_fma_f64 v[206:207], v[1:2], v[37:38], -v[39:40]
	scratch_load_b128 v[37:40], off, off offset:656
	ds_load_b128 v[1:4], v41 offset:1264
	s_waitcnt vmcnt(9) lgkmcnt(1)
	v_mul_f64 v[202:203], v[186:187], v[7:8]
	v_mul_f64 v[7:8], v[188:189], v[7:8]
	v_add_f64 v[184:185], v[198:199], v[184:185]
	v_add_f64 v[198:199], v[200:201], v[194:195]
	s_waitcnt vmcnt(8) lgkmcnt(0)
	v_mul_f64 v[200:201], v[1:2], v[11:12]
	v_mul_f64 v[11:12], v[3:4], v[11:12]
	ds_load_b128 v[194:197], v41 offset:1280
	v_fma_f64 v[188:189], v[188:189], v[5:6], v[202:203]
	v_fma_f64 v[186:187], v[186:187], v[5:6], -v[7:8]
	scratch_load_b128 v[5:8], off, off offset:672
	v_add_f64 v[184:185], v[184:185], v[206:207]
	v_add_f64 v[198:199], v[198:199], v[204:205]
	v_fma_f64 v[200:201], v[3:4], v[9:10], v[200:201]
	v_fma_f64 v[204:205], v[1:2], v[9:10], -v[11:12]
	scratch_load_b128 v[9:12], off, off offset:688
	ds_load_b128 v[1:4], v41 offset:1296
	s_waitcnt vmcnt(9) lgkmcnt(1)
	v_mul_f64 v[202:203], v[194:195], v[15:16]
	v_mul_f64 v[15:16], v[196:197], v[15:16]
	v_add_f64 v[206:207], v[184:185], v[186:187]
	v_add_f64 v[188:189], v[198:199], v[188:189]
	s_waitcnt vmcnt(8) lgkmcnt(0)
	v_mul_f64 v[198:199], v[1:2], v[19:20]
	v_mul_f64 v[19:20], v[3:4], v[19:20]
	ds_load_b128 v[184:187], v41 offset:1312
	v_fma_f64 v[196:197], v[196:197], v[13:14], v[202:203]
	v_fma_f64 v[194:195], v[194:195], v[13:14], -v[15:16]
	scratch_load_b128 v[13:16], off, off offset:704
	v_add_f64 v[202:203], v[206:207], v[204:205]
	v_add_f64 v[188:189], v[188:189], v[200:201]
	v_fma_f64 v[198:199], v[3:4], v[17:18], v[198:199]
	v_fma_f64 v[204:205], v[1:2], v[17:18], -v[19:20]
	scratch_load_b128 v[17:20], off, off offset:720
	ds_load_b128 v[1:4], v41 offset:1328
	s_waitcnt vmcnt(9) lgkmcnt(1)
	v_mul_f64 v[200:201], v[184:185], v[23:24]
	v_mul_f64 v[23:24], v[186:187], v[23:24]
	s_waitcnt vmcnt(8) lgkmcnt(0)
	v_mul_f64 v[206:207], v[1:2], v[27:28]
	v_mul_f64 v[27:28], v[3:4], v[27:28]
	v_add_f64 v[202:203], v[202:203], v[194:195]
	v_add_f64 v[188:189], v[188:189], v[196:197]
	ds_load_b128 v[194:197], v41 offset:1344
	v_fma_f64 v[186:187], v[186:187], v[21:22], v[200:201]
	v_fma_f64 v[21:22], v[184:185], v[21:22], -v[23:24]
	v_add_f64 v[23:24], v[202:203], v[204:205]
	v_add_f64 v[184:185], v[188:189], v[198:199]
	s_waitcnt vmcnt(7) lgkmcnt(0)
	v_mul_f64 v[188:189], v[194:195], v[31:32]
	v_mul_f64 v[31:32], v[196:197], v[31:32]
	v_fma_f64 v[198:199], v[3:4], v[25:26], v[206:207]
	v_fma_f64 v[25:26], v[1:2], v[25:26], -v[27:28]
	v_add_f64 v[27:28], v[23:24], v[21:22]
	v_add_f64 v[184:185], v[184:185], v[186:187]
	ds_load_b128 v[1:4], v41 offset:1360
	ds_load_b128 v[21:24], v41 offset:1376
	v_fma_f64 v[188:189], v[196:197], v[29:30], v[188:189]
	v_fma_f64 v[29:30], v[194:195], v[29:30], -v[31:32]
	s_waitcnt vmcnt(6) lgkmcnt(1)
	v_mul_f64 v[186:187], v[1:2], v[35:36]
	v_mul_f64 v[35:36], v[3:4], v[35:36]
	v_add_f64 v[25:26], v[27:28], v[25:26]
	v_add_f64 v[27:28], v[184:185], v[198:199]
	s_waitcnt vmcnt(5) lgkmcnt(0)
	v_mul_f64 v[31:32], v[21:22], v[192:193]
	v_mul_f64 v[184:185], v[23:24], v[192:193]
	v_fma_f64 v[186:187], v[3:4], v[33:34], v[186:187]
	v_fma_f64 v[33:34], v[1:2], v[33:34], -v[35:36]
	v_add_f64 v[29:30], v[25:26], v[29:30]
	v_add_f64 v[35:36], v[27:28], v[188:189]
	ds_load_b128 v[1:4], v41 offset:1392
	ds_load_b128 v[25:28], v41 offset:1408
	v_fma_f64 v[23:24], v[23:24], v[190:191], v[31:32]
	v_fma_f64 v[21:22], v[21:22], v[190:191], -v[184:185]
	s_waitcnt vmcnt(4) lgkmcnt(1)
	v_mul_f64 v[188:189], v[1:2], v[39:40]
	v_mul_f64 v[39:40], v[3:4], v[39:40]
	;; [unrolled: 16-line block ×3, first 2 shown]
	v_add_f64 v[7:8], v[29:30], v[37:38]
	v_add_f64 v[25:26], v[31:32], v[35:36]
	s_waitcnt vmcnt(1) lgkmcnt(0)
	v_mul_f64 v[29:30], v[21:22], v[15:16]
	v_mul_f64 v[15:16], v[23:24], v[15:16]
	v_fma_f64 v[31:32], v[3:4], v[9:10], v[39:40]
	v_fma_f64 v[9:10], v[1:2], v[9:10], -v[11:12]
	ds_load_b128 v[1:4], v41 offset:1456
	v_add_f64 v[5:6], v[7:8], v[5:6]
	v_add_f64 v[7:8], v[25:26], v[27:28]
	v_fma_f64 v[23:24], v[23:24], v[13:14], v[29:30]
	v_fma_f64 v[13:14], v[21:22], v[13:14], -v[15:16]
	s_waitcnt vmcnt(0) lgkmcnt(0)
	v_mul_f64 v[11:12], v[1:2], v[19:20]
	v_mul_f64 v[19:20], v[3:4], v[19:20]
	v_add_f64 v[5:6], v[5:6], v[9:10]
	v_add_f64 v[7:8], v[7:8], v[31:32]
	s_delay_alu instid0(VALU_DEP_4) | instskip(NEXT) | instid1(VALU_DEP_4)
	v_fma_f64 v[3:4], v[3:4], v[17:18], v[11:12]
	v_fma_f64 v[1:2], v[1:2], v[17:18], -v[19:20]
	s_delay_alu instid0(VALU_DEP_4) | instskip(NEXT) | instid1(VALU_DEP_4)
	v_add_f64 v[5:6], v[5:6], v[13:14]
	v_add_f64 v[7:8], v[7:8], v[23:24]
	s_delay_alu instid0(VALU_DEP_2) | instskip(NEXT) | instid1(VALU_DEP_2)
	v_add_f64 v[1:2], v[5:6], v[1:2]
	v_add_f64 v[3:4], v[7:8], v[3:4]
	s_delay_alu instid0(VALU_DEP_2) | instskip(NEXT) | instid1(VALU_DEP_2)
	v_add_f64 v[1:2], v[42:43], -v[1:2]
	v_add_f64 v[3:4], v[44:45], -v[3:4]
	scratch_store_b128 off, v[1:4], off
	s_cbranch_vccz .LBB109_381
; %bb.290:
	v_dual_mov_b32 v1, s8 :: v_dual_mov_b32 v2, s9
	s_load_b64 s[0:1], s[0:1], 0x4
	flat_load_b32 v1, v[1:2] offset:176
	v_bfe_u32 v2, v0, 10, 10
	v_bfe_u32 v0, v0, 20, 10
	s_waitcnt lgkmcnt(0)
	s_lshr_b32 s0, s0, 16
	s_delay_alu instid0(VALU_DEP_2) | instskip(SKIP_1) | instid1(SALU_CYCLE_1)
	v_mul_u32_u24_e32 v2, s1, v2
	s_mul_i32 s0, s0, s1
	v_mul_u32_u24_e32 v3, s0, v138
	s_mov_b32 s0, exec_lo
	s_delay_alu instid0(VALU_DEP_1) | instskip(NEXT) | instid1(VALU_DEP_1)
	v_add3_u32 v0, v3, v2, v0
	v_lshl_add_u32 v0, v0, 4, 0x5c8
	s_waitcnt vmcnt(0)
	v_cmpx_ne_u32_e32 45, v1
	s_cbranch_execz .LBB109_292
; %bb.291:
	v_lshl_add_u32 v9, v1, 4, 0
	s_clause 0x1
	scratch_load_b128 v[1:4], v147, off
	scratch_load_b128 v[5:8], v9, off offset:-16
	s_waitcnt vmcnt(1)
	ds_store_2addr_b64 v0, v[1:2], v[3:4] offset1:1
	s_waitcnt vmcnt(0)
	s_clause 0x1
	scratch_store_b128 v147, v[5:8], off
	scratch_store_b128 v9, v[1:4], off offset:-16
.LBB109_292:
	s_or_b32 exec_lo, exec_lo, s0
	v_dual_mov_b32 v1, s8 :: v_dual_mov_b32 v2, s9
	s_mov_b32 s0, exec_lo
	flat_load_b32 v1, v[1:2] offset:172
	s_waitcnt vmcnt(0) lgkmcnt(0)
	v_cmpx_ne_u32_e32 44, v1
	s_cbranch_execz .LBB109_294
; %bb.293:
	v_lshl_add_u32 v9, v1, 4, 0
	s_clause 0x1
	scratch_load_b128 v[1:4], v150, off
	scratch_load_b128 v[5:8], v9, off offset:-16
	s_waitcnt vmcnt(1)
	ds_store_2addr_b64 v0, v[1:2], v[3:4] offset1:1
	s_waitcnt vmcnt(0)
	s_clause 0x1
	scratch_store_b128 v150, v[5:8], off
	scratch_store_b128 v9, v[1:4], off offset:-16
.LBB109_294:
	s_or_b32 exec_lo, exec_lo, s0
	v_dual_mov_b32 v1, s8 :: v_dual_mov_b32 v2, s9
	s_mov_b32 s0, exec_lo
	flat_load_b32 v1, v[1:2] offset:168
	s_waitcnt vmcnt(0) lgkmcnt(0)
	;; [unrolled: 19-line block ×43, first 2 shown]
	v_cmpx_ne_u32_e32 2, v1
	s_cbranch_execz .LBB109_378
; %bb.377:
	v_lshl_add_u32 v9, v1, 4, 0
	s_clause 0x1
	scratch_load_b128 v[1:4], v183, off
	scratch_load_b128 v[5:8], v9, off offset:-16
	s_waitcnt vmcnt(1)
	ds_store_2addr_b64 v0, v[1:2], v[3:4] offset1:1
	s_waitcnt vmcnt(0)
	s_clause 0x1
	scratch_store_b128 v183, v[5:8], off
	scratch_store_b128 v9, v[1:4], off offset:-16
.LBB109_378:
	s_or_b32 exec_lo, exec_lo, s0
	v_dual_mov_b32 v1, s8 :: v_dual_mov_b32 v2, s9
	s_mov_b32 s0, exec_lo
	flat_load_b32 v1, v[1:2]
	s_waitcnt vmcnt(0) lgkmcnt(0)
	v_cmpx_ne_u32_e32 1, v1
	s_cbranch_execz .LBB109_380
; %bb.379:
	v_lshl_add_u32 v9, v1, 4, 0
	scratch_load_b128 v[1:4], off, off
	scratch_load_b128 v[5:8], v9, off offset:-16
	s_waitcnt vmcnt(1)
	ds_store_2addr_b64 v0, v[1:2], v[3:4] offset1:1
	s_waitcnt vmcnt(0)
	scratch_store_b128 off, v[5:8], off
	scratch_store_b128 v9, v[1:4], off offset:-16
.LBB109_380:
	s_or_b32 exec_lo, exec_lo, s0
.LBB109_381:
	scratch_load_b128 v[0:3], off, off
	s_clause 0x16
	scratch_load_b128 v[4:7], v183, off
	scratch_load_b128 v[8:11], v182, off
	;; [unrolled: 1-line block ×23, first 2 shown]
	s_waitcnt vmcnt(23)
	global_store_b128 v[46:47], v[0:3], off
	s_clause 0x1
	scratch_load_b128 v[0:3], v160, off
	scratch_load_b128 v[44:47], v159, off
	s_waitcnt vmcnt(24)
	global_store_b128 v[50:51], v[4:7], off
	s_clause 0x1
	scratch_load_b128 v[4:7], v157, off
	scratch_load_b128 v[213:216], v156, off
	;; [unrolled: 5-line block ×11, first 2 shown]
	s_waitcnt vmcnt(34)
	global_store_b128 v[68:69], v[173:176], off
	s_waitcnt vmcnt(33)
	global_store_b128 v[70:71], v[177:180], off
	;; [unrolled: 2-line block ×35, first 2 shown]
	s_endpgm
	.section	.rodata,"a",@progbits
	.p2align	6, 0x0
	.amdhsa_kernel _ZN9rocsolver6v33100L18getri_kernel_smallILi46E19rocblas_complex_numIdEPKPS3_EEvT1_iilPiilS8_bb
		.amdhsa_group_segment_fixed_size 2504
		.amdhsa_private_segment_fixed_size 752
		.amdhsa_kernarg_size 60
		.amdhsa_user_sgpr_count 15
		.amdhsa_user_sgpr_dispatch_ptr 1
		.amdhsa_user_sgpr_queue_ptr 0
		.amdhsa_user_sgpr_kernarg_segment_ptr 1
		.amdhsa_user_sgpr_dispatch_id 0
		.amdhsa_user_sgpr_private_segment_size 0
		.amdhsa_wavefront_size32 1
		.amdhsa_uses_dynamic_stack 0
		.amdhsa_enable_private_segment 1
		.amdhsa_system_sgpr_workgroup_id_x 1
		.amdhsa_system_sgpr_workgroup_id_y 0
		.amdhsa_system_sgpr_workgroup_id_z 0
		.amdhsa_system_sgpr_workgroup_info 0
		.amdhsa_system_vgpr_workitem_id 2
		.amdhsa_next_free_vgpr 244
		.amdhsa_next_free_sgpr 52
		.amdhsa_reserve_vcc 1
		.amdhsa_float_round_mode_32 0
		.amdhsa_float_round_mode_16_64 0
		.amdhsa_float_denorm_mode_32 3
		.amdhsa_float_denorm_mode_16_64 3
		.amdhsa_dx10_clamp 1
		.amdhsa_ieee_mode 1
		.amdhsa_fp16_overflow 0
		.amdhsa_workgroup_processor_mode 1
		.amdhsa_memory_ordered 1
		.amdhsa_forward_progress 0
		.amdhsa_shared_vgpr_count 0
		.amdhsa_exception_fp_ieee_invalid_op 0
		.amdhsa_exception_fp_denorm_src 0
		.amdhsa_exception_fp_ieee_div_zero 0
		.amdhsa_exception_fp_ieee_overflow 0
		.amdhsa_exception_fp_ieee_underflow 0
		.amdhsa_exception_fp_ieee_inexact 0
		.amdhsa_exception_int_div_zero 0
	.end_amdhsa_kernel
	.section	.text._ZN9rocsolver6v33100L18getri_kernel_smallILi46E19rocblas_complex_numIdEPKPS3_EEvT1_iilPiilS8_bb,"axG",@progbits,_ZN9rocsolver6v33100L18getri_kernel_smallILi46E19rocblas_complex_numIdEPKPS3_EEvT1_iilPiilS8_bb,comdat
.Lfunc_end109:
	.size	_ZN9rocsolver6v33100L18getri_kernel_smallILi46E19rocblas_complex_numIdEPKPS3_EEvT1_iilPiilS8_bb, .Lfunc_end109-_ZN9rocsolver6v33100L18getri_kernel_smallILi46E19rocblas_complex_numIdEPKPS3_EEvT1_iilPiilS8_bb
                                        ; -- End function
	.section	.AMDGPU.csdata,"",@progbits
; Kernel info:
; codeLenInByte = 99004
; NumSgprs: 54
; NumVgprs: 244
; ScratchSize: 752
; MemoryBound: 0
; FloatMode: 240
; IeeeMode: 1
; LDSByteSize: 2504 bytes/workgroup (compile time only)
; SGPRBlocks: 6
; VGPRBlocks: 30
; NumSGPRsForWavesPerEU: 54
; NumVGPRsForWavesPerEU: 244
; Occupancy: 5
; WaveLimiterHint : 1
; COMPUTE_PGM_RSRC2:SCRATCH_EN: 1
; COMPUTE_PGM_RSRC2:USER_SGPR: 15
; COMPUTE_PGM_RSRC2:TRAP_HANDLER: 0
; COMPUTE_PGM_RSRC2:TGID_X_EN: 1
; COMPUTE_PGM_RSRC2:TGID_Y_EN: 0
; COMPUTE_PGM_RSRC2:TGID_Z_EN: 0
; COMPUTE_PGM_RSRC2:TIDIG_COMP_CNT: 2
	.section	.text._ZN9rocsolver6v33100L18getri_kernel_smallILi47E19rocblas_complex_numIdEPKPS3_EEvT1_iilPiilS8_bb,"axG",@progbits,_ZN9rocsolver6v33100L18getri_kernel_smallILi47E19rocblas_complex_numIdEPKPS3_EEvT1_iilPiilS8_bb,comdat
	.globl	_ZN9rocsolver6v33100L18getri_kernel_smallILi47E19rocblas_complex_numIdEPKPS3_EEvT1_iilPiilS8_bb ; -- Begin function _ZN9rocsolver6v33100L18getri_kernel_smallILi47E19rocblas_complex_numIdEPKPS3_EEvT1_iilPiilS8_bb
	.p2align	8
	.type	_ZN9rocsolver6v33100L18getri_kernel_smallILi47E19rocblas_complex_numIdEPKPS3_EEvT1_iilPiilS8_bb,@function
_ZN9rocsolver6v33100L18getri_kernel_smallILi47E19rocblas_complex_numIdEPKPS3_EEvT1_iilPiilS8_bb: ; @_ZN9rocsolver6v33100L18getri_kernel_smallILi47E19rocblas_complex_numIdEPKPS3_EEvT1_iilPiilS8_bb
; %bb.0:
	v_and_b32_e32 v140, 0x3ff, v0
	s_mov_b32 s4, exec_lo
	s_delay_alu instid0(VALU_DEP_1)
	v_cmpx_gt_u32_e32 47, v140
	s_cbranch_execz .LBB110_202
; %bb.1:
	s_mov_b32 s10, s15
	s_clause 0x2
	s_load_b32 s15, s[2:3], 0x38
	s_load_b64 s[8:9], s[2:3], 0x0
	s_load_b128 s[4:7], s[2:3], 0x28
	s_waitcnt lgkmcnt(0)
	s_bitcmp1_b32 s15, 8
	s_cselect_b32 s14, -1, 0
	s_ashr_i32 s11, s10, 31
	s_delay_alu instid0(SALU_CYCLE_1) | instskip(NEXT) | instid1(SALU_CYCLE_1)
	s_lshl_b64 s[12:13], s[10:11], 3
	s_add_u32 s8, s8, s12
	s_addc_u32 s9, s9, s13
	s_load_b64 s[12:13], s[8:9], 0x0
	s_bfe_u32 s8, s15, 0x10008
	s_delay_alu instid0(SALU_CYCLE_1)
	s_cmp_eq_u32 s8, 0
                                        ; implicit-def: $sgpr8_sgpr9
	s_cbranch_scc1 .LBB110_3
; %bb.2:
	s_clause 0x1
	s_load_b32 s8, s[2:3], 0x20
	s_load_b64 s[16:17], s[2:3], 0x18
	s_mul_i32 s5, s10, s5
	s_mul_hi_u32 s9, s10, s4
	s_mul_i32 s18, s11, s4
	s_add_i32 s5, s9, s5
	s_mul_i32 s4, s10, s4
	s_add_i32 s5, s5, s18
	s_delay_alu instid0(SALU_CYCLE_1)
	s_lshl_b64 s[4:5], s[4:5], 2
	s_waitcnt lgkmcnt(0)
	s_ashr_i32 s9, s8, 31
	s_add_u32 s16, s16, s4
	s_addc_u32 s17, s17, s5
	s_lshl_b64 s[4:5], s[8:9], 2
	s_delay_alu instid0(SALU_CYCLE_1)
	s_add_u32 s8, s16, s4
	s_addc_u32 s9, s17, s5
.LBB110_3:
	s_load_b64 s[2:3], s[2:3], 0x8
	v_lshlrev_b32_e32 v13, 4, v140
	s_movk_i32 s18, 0xd0
	s_movk_i32 s19, 0xe0
	s_movk_i32 s20, 0xf0
	s_movk_i32 s21, 0x100
	s_movk_i32 s22, 0x110
	s_movk_i32 s23, 0x120
	s_movk_i32 s24, 0x130
	s_movk_i32 s25, 0x140
	s_movk_i32 s26, 0x150
	s_movk_i32 s27, 0x160
	s_movk_i32 s28, 0x170
	s_movk_i32 s29, 0x180
	s_movk_i32 s30, 0x190
	s_movk_i32 s31, 0x1a0
	s_movk_i32 s33, 0x1b0
	s_movk_i32 s34, 0x1c0
	s_movk_i32 s35, 0x1d0
	s_movk_i32 s36, 0x1e0
	s_waitcnt lgkmcnt(0)
	v_add3_u32 v5, s3, s3, v140
	s_ashr_i32 s5, s2, 31
	s_mov_b32 s4, s2
	s_mov_b32 s16, s3
	s_lshl_b64 s[4:5], s[4:5], 4
	v_add_nc_u32_e32 v7, s3, v5
	v_ashrrev_i32_e32 v6, 31, v5
	s_add_u32 s4, s12, s4
	s_addc_u32 s5, s13, s5
	v_add_co_u32 v46, s2, s4, v13
	v_add_nc_u32_e32 v9, s3, v7
	v_ashrrev_i32_e32 v8, 31, v7
	s_ashr_i32 s17, s3, 31
	v_add_co_ci_u32_e64 v47, null, s5, 0, s2
	v_lshlrev_b64 v[5:6], 4, v[5:6]
	s_lshl_b64 s[12:13], s[16:17], 4
	v_add_nc_u32_e32 v14, s3, v9
	v_add_co_u32 v48, vcc_lo, v46, s12
	v_lshlrev_b64 v[11:12], 4, v[7:8]
	v_ashrrev_i32_e32 v10, 31, v9
	v_add_co_ci_u32_e32 v49, vcc_lo, s13, v47, vcc_lo
	v_add_co_u32 v50, vcc_lo, s4, v5
	v_ashrrev_i32_e32 v15, 31, v14
	v_add_nc_u32_e32 v16, s3, v14
	v_add_co_ci_u32_e32 v51, vcc_lo, s5, v6, vcc_lo
	v_lshlrev_b64 v[9:10], 4, v[9:10]
	v_add_co_u32 v52, vcc_lo, s4, v11
	v_add_co_ci_u32_e32 v53, vcc_lo, s5, v12, vcc_lo
	v_lshlrev_b64 v[11:12], 4, v[14:15]
	v_ashrrev_i32_e32 v17, 31, v16
	v_add_nc_u32_e32 v14, s3, v16
	v_add_co_u32 v54, vcc_lo, s4, v9
	v_add_co_ci_u32_e32 v55, vcc_lo, s5, v10, vcc_lo
	s_delay_alu instid0(VALU_DEP_4) | instskip(NEXT) | instid1(VALU_DEP_4)
	v_lshlrev_b64 v[9:10], 4, v[16:17]
	v_ashrrev_i32_e32 v15, 31, v14
	v_add_nc_u32_e32 v16, s3, v14
	v_add_co_u32 v56, vcc_lo, s4, v11
	v_add_co_ci_u32_e32 v57, vcc_lo, s5, v12, vcc_lo
	s_delay_alu instid0(VALU_DEP_4) | instskip(NEXT) | instid1(VALU_DEP_4)
	;; [unrolled: 6-line block ×7, first 2 shown]
	v_lshlrev_b64 v[9:10], 4, v[16:17]
	v_add_nc_u32_e32 v16, s3, v14
	v_ashrrev_i32_e32 v15, 31, v14
	v_add_co_u32 v68, vcc_lo, s4, v11
	v_add_co_ci_u32_e32 v69, vcc_lo, s5, v12, vcc_lo
	s_delay_alu instid0(VALU_DEP_4) | instskip(SKIP_3) | instid1(VALU_DEP_4)
	v_add_nc_u32_e32 v18, s3, v16
	v_ashrrev_i32_e32 v17, 31, v16
	v_lshlrev_b64 v[11:12], 4, v[14:15]
	v_add_co_u32 v70, vcc_lo, s4, v9
	v_add_nc_u32_e32 v44, s3, v18
	s_delay_alu instid0(VALU_DEP_4)
	v_lshlrev_b64 v[42:43], 4, v[16:17]
	v_ashrrev_i32_e32 v19, 31, v18
	v_add_co_ci_u32_e32 v71, vcc_lo, s5, v10, vcc_lo
	v_add_co_u32 v72, vcc_lo, s4, v11
	s_clause 0x1
	global_load_b128 v[1:4], v13, s[4:5]
	global_load_b128 v[5:8], v[48:49], off
	v_ashrrev_i32_e32 v45, 31, v44
	v_add_co_ci_u32_e32 v73, vcc_lo, s5, v12, vcc_lo
	s_clause 0x1
	global_load_b128 v[9:12], v[50:51], off
	global_load_b128 v[14:17], v[52:53], off
	v_lshlrev_b64 v[76:77], 4, v[18:19]
	s_clause 0x1
	global_load_b128 v[18:21], v[54:55], off
	global_load_b128 v[22:25], v[56:57], off
	v_add_co_u32 v74, vcc_lo, s4, v42
	s_clause 0x3
	global_load_b128 v[26:29], v[58:59], off
	global_load_b128 v[30:33], v[60:61], off
	;; [unrolled: 1-line block ×4, first 2 shown]
	v_add_co_ci_u32_e32 v75, vcc_lo, s5, v43, vcc_lo
	v_add_nc_u32_e32 v82, s3, v44
	v_lshlrev_b64 v[78:79], 4, v[44:45]
	s_clause 0x4
	global_load_b128 v[42:45], v[66:67], off
	global_load_b128 v[141:144], v[68:69], off
	global_load_b128 v[145:148], v[70:71], off
	global_load_b128 v[149:152], v[72:73], off
	global_load_b128 v[153:156], v[74:75], off
	v_add_co_u32 v76, vcc_lo, s4, v76
	v_ashrrev_i32_e32 v83, 31, v82
	v_add_co_ci_u32_e32 v77, vcc_lo, s5, v77, vcc_lo
	v_add_co_u32 v78, vcc_lo, s4, v78
	s_delay_alu instid0(VALU_DEP_3) | instskip(SKIP_4) | instid1(VALU_DEP_2)
	v_lshlrev_b64 v[80:81], 4, v[82:83]
	v_add_nc_u32_e32 v82, s3, v82
	v_add_co_ci_u32_e32 v79, vcc_lo, s5, v79, vcc_lo
	s_movk_i32 s2, 0x50
	s_movk_i32 s12, 0x90
	v_add_nc_u32_e32 v84, s3, v82
	v_ashrrev_i32_e32 v83, 31, v82
	v_add_co_u32 v80, vcc_lo, s4, v80
	v_add_co_ci_u32_e32 v81, vcc_lo, s5, v81, vcc_lo
	s_delay_alu instid0(VALU_DEP_4)
	v_add_nc_u32_e32 v86, s3, v84
	v_ashrrev_i32_e32 v85, 31, v84
	v_lshlrev_b64 v[82:83], 4, v[82:83]
	s_clause 0x2
	global_load_b128 v[157:160], v[76:77], off
	global_load_b128 v[161:164], v[78:79], off
	global_load_b128 v[165:168], v[80:81], off
	s_movk_i32 s13, 0xa0
	v_add_nc_u32_e32 v88, s3, v86
	v_ashrrev_i32_e32 v87, 31, v86
	v_lshlrev_b64 v[84:85], 4, v[84:85]
	v_add_co_u32 v82, vcc_lo, s4, v82
	s_delay_alu instid0(VALU_DEP_4) | instskip(SKIP_3) | instid1(VALU_DEP_4)
	v_add_nc_u32_e32 v90, s3, v88
	v_ashrrev_i32_e32 v89, 31, v88
	v_lshlrev_b64 v[86:87], 4, v[86:87]
	v_add_co_ci_u32_e32 v83, vcc_lo, s5, v83, vcc_lo
	v_add_nc_u32_e32 v92, s3, v90
	v_ashrrev_i32_e32 v91, 31, v90
	v_add_co_u32 v84, vcc_lo, s4, v84
	v_lshlrev_b64 v[88:89], 4, v[88:89]
	s_delay_alu instid0(VALU_DEP_4) | instskip(SKIP_3) | instid1(VALU_DEP_4)
	v_add_nc_u32_e32 v94, s3, v92
	v_ashrrev_i32_e32 v93, 31, v92
	v_add_co_ci_u32_e32 v85, vcc_lo, s5, v85, vcc_lo
	v_add_co_u32 v86, vcc_lo, s4, v86
	v_add_nc_u32_e32 v96, s3, v94
	v_lshlrev_b64 v[90:91], 4, v[90:91]
	v_ashrrev_i32_e32 v95, 31, v94
	v_add_co_ci_u32_e32 v87, vcc_lo, s5, v87, vcc_lo
	s_delay_alu instid0(VALU_DEP_4) | instskip(SKIP_3) | instid1(VALU_DEP_4)
	v_add_nc_u32_e32 v98, s3, v96
	v_add_co_u32 v88, vcc_lo, s4, v88
	v_lshlrev_b64 v[92:93], 4, v[92:93]
	v_ashrrev_i32_e32 v97, 31, v96
	v_add_nc_u32_e32 v100, s3, v98
	v_add_co_ci_u32_e32 v89, vcc_lo, s5, v89, vcc_lo
	v_add_co_u32 v90, vcc_lo, s4, v90
	s_delay_alu instid0(VALU_DEP_3) | instskip(SKIP_3) | instid1(VALU_DEP_4)
	v_add_nc_u32_e32 v102, s3, v100
	v_lshlrev_b64 v[94:95], 4, v[94:95]
	v_ashrrev_i32_e32 v99, 31, v98
	v_add_co_ci_u32_e32 v91, vcc_lo, s5, v91, vcc_lo
	v_add_nc_u32_e32 v104, s3, v102
	v_add_co_u32 v92, vcc_lo, s4, v92
	v_lshlrev_b64 v[96:97], 4, v[96:97]
	v_ashrrev_i32_e32 v101, 31, v100
	s_delay_alu instid0(VALU_DEP_4) | instskip(SKIP_2) | instid1(VALU_DEP_3)
	v_add_nc_u32_e32 v106, s3, v104
	v_add_co_ci_u32_e32 v93, vcc_lo, s5, v93, vcc_lo
	v_add_co_u32 v94, vcc_lo, s4, v94
	v_add_nc_u32_e32 v108, s3, v106
	v_lshlrev_b64 v[98:99], 4, v[98:99]
	v_ashrrev_i32_e32 v103, 31, v102
	v_add_co_ci_u32_e32 v95, vcc_lo, s5, v95, vcc_lo
	s_delay_alu instid0(VALU_DEP_4) | instskip(SKIP_3) | instid1(VALU_DEP_4)
	v_add_nc_u32_e32 v110, s3, v108
	v_add_co_u32 v96, vcc_lo, s4, v96
	v_lshlrev_b64 v[100:101], 4, v[100:101]
	v_ashrrev_i32_e32 v105, 31, v104
	v_add_nc_u32_e32 v112, s3, v110
	v_add_co_ci_u32_e32 v97, vcc_lo, s5, v97, vcc_lo
	v_add_co_u32 v98, vcc_lo, s4, v98
	s_delay_alu instid0(VALU_DEP_3) | instskip(SKIP_3) | instid1(VALU_DEP_4)
	v_add_nc_u32_e32 v114, s3, v112
	v_lshlrev_b64 v[102:103], 4, v[102:103]
	v_ashrrev_i32_e32 v107, 31, v106
	v_add_co_ci_u32_e32 v99, vcc_lo, s5, v99, vcc_lo
	v_add_nc_u32_e32 v116, s3, v114
	v_add_co_u32 v100, vcc_lo, s4, v100
	v_lshlrev_b64 v[104:105], 4, v[104:105]
	v_ashrrev_i32_e32 v109, 31, v108
	s_delay_alu instid0(VALU_DEP_4) | instskip(SKIP_2) | instid1(VALU_DEP_3)
	v_add_nc_u32_e32 v118, s3, v116
	v_add_co_ci_u32_e32 v101, vcc_lo, s5, v101, vcc_lo
	v_add_co_u32 v102, vcc_lo, s4, v102
	v_add_nc_u32_e32 v120, s3, v118
	v_lshlrev_b64 v[106:107], 4, v[106:107]
	v_ashrrev_i32_e32 v111, 31, v110
	v_add_co_ci_u32_e32 v103, vcc_lo, s5, v103, vcc_lo
	s_delay_alu instid0(VALU_DEP_4) | instskip(SKIP_3) | instid1(VALU_DEP_4)
	v_add_nc_u32_e32 v122, s3, v120
	v_add_co_u32 v104, vcc_lo, s4, v104
	v_lshlrev_b64 v[108:109], 4, v[108:109]
	v_ashrrev_i32_e32 v113, 31, v112
	v_add_nc_u32_e32 v124, s3, v122
	v_add_co_ci_u32_e32 v105, vcc_lo, s5, v105, vcc_lo
	v_add_co_u32 v106, vcc_lo, s4, v106
	v_lshlrev_b64 v[110:111], 4, v[110:111]
	v_ashrrev_i32_e32 v115, 31, v114
	v_add_co_ci_u32_e32 v107, vcc_lo, s5, v107, vcc_lo
	v_add_nc_u32_e32 v126, s3, v124
	v_add_co_u32 v108, vcc_lo, s4, v108
	v_lshlrev_b64 v[112:113], 4, v[112:113]
	v_ashrrev_i32_e32 v117, 31, v116
	v_add_co_ci_u32_e32 v109, vcc_lo, s5, v109, vcc_lo
	v_add_co_u32 v110, vcc_lo, s4, v110
	v_lshlrev_b64 v[114:115], 4, v[114:115]
	v_ashrrev_i32_e32 v119, 31, v118
	v_add_nc_u32_e32 v128, s3, v126
	v_add_co_ci_u32_e32 v111, vcc_lo, s5, v111, vcc_lo
	v_add_co_u32 v112, vcc_lo, s4, v112
	v_lshlrev_b64 v[116:117], 4, v[116:117]
	v_ashrrev_i32_e32 v121, 31, v120
	v_add_co_ci_u32_e32 v113, vcc_lo, s5, v113, vcc_lo
	v_add_co_u32 v114, vcc_lo, s4, v114
	v_lshlrev_b64 v[118:119], 4, v[118:119]
	v_add_nc_u32_e32 v130, s3, v128
	v_ashrrev_i32_e32 v123, 31, v122
	v_add_co_ci_u32_e32 v115, vcc_lo, s5, v115, vcc_lo
	v_add_co_u32 v116, vcc_lo, s4, v116
	v_lshlrev_b64 v[120:121], 4, v[120:121]
	v_ashrrev_i32_e32 v125, 31, v124
	v_add_co_ci_u32_e32 v117, vcc_lo, s5, v117, vcc_lo
	v_add_nc_u32_e32 v132, s3, v130
	v_add_co_u32 v118, vcc_lo, s4, v118
	v_lshlrev_b64 v[122:123], 4, v[122:123]
	v_ashrrev_i32_e32 v127, 31, v126
	v_add_co_ci_u32_e32 v119, vcc_lo, s5, v119, vcc_lo
	v_add_co_u32 v120, vcc_lo, s4, v120
	v_lshlrev_b64 v[124:125], 4, v[124:125]
	v_ashrrev_i32_e32 v129, 31, v128
	v_add_nc_u32_e32 v134, s3, v132
	v_add_co_ci_u32_e32 v121, vcc_lo, s5, v121, vcc_lo
	v_add_co_u32 v122, vcc_lo, s4, v122
	v_lshlrev_b64 v[126:127], 4, v[126:127]
	v_ashrrev_i32_e32 v131, 31, v130
	v_add_co_ci_u32_e32 v123, vcc_lo, s5, v123, vcc_lo
	v_add_co_u32 v124, vcc_lo, s4, v124
	v_lshlrev_b64 v[128:129], 4, v[128:129]
	v_add_nc_u32_e32 v136, s3, v134
	v_ashrrev_i32_e32 v133, 31, v132
	v_add_co_ci_u32_e32 v125, vcc_lo, s5, v125, vcc_lo
	v_add_co_u32 v126, vcc_lo, s4, v126
	v_lshlrev_b64 v[130:131], 4, v[130:131]
	v_ashrrev_i32_e32 v135, 31, v134
	v_add_co_ci_u32_e32 v127, vcc_lo, s5, v127, vcc_lo
	v_add_nc_u32_e32 v138, s3, v136
	v_add_co_u32 v128, vcc_lo, s4, v128
	v_lshlrev_b64 v[132:133], 4, v[132:133]
	v_ashrrev_i32_e32 v137, 31, v136
	v_add_co_ci_u32_e32 v129, vcc_lo, s5, v129, vcc_lo
	v_add_co_u32 v130, vcc_lo, s4, v130
	v_lshlrev_b64 v[134:135], 4, v[134:135]
	v_ashrrev_i32_e32 v139, 31, v138
	v_add_co_ci_u32_e32 v131, vcc_lo, s5, v131, vcc_lo
	v_add_co_u32 v132, vcc_lo, s4, v132
	v_lshlrev_b64 v[136:137], 4, v[136:137]
	v_add_co_ci_u32_e32 v133, vcc_lo, s5, v133, vcc_lo
	v_add_co_u32 v134, vcc_lo, s4, v134
	v_lshlrev_b64 v[138:139], 4, v[138:139]
	v_add_co_ci_u32_e32 v135, vcc_lo, s5, v135, vcc_lo
	v_add_co_u32 v136, vcc_lo, s4, v136
	v_add_co_ci_u32_e32 v137, vcc_lo, s5, v137, vcc_lo
	s_clause 0x8
	global_load_b128 v[169:172], v[82:83], off
	global_load_b128 v[173:176], v[84:85], off
	global_load_b128 v[187:190], v[86:87], off
	global_load_b128 v[191:194], v[88:89], off
	global_load_b128 v[195:198], v[90:91], off
	global_load_b128 v[199:202], v[92:93], off
	global_load_b128 v[203:206], v[94:95], off
	global_load_b128 v[207:210], v[96:97], off
	global_load_b128 v[211:214], v[98:99], off
	v_add_co_u32 v138, vcc_lo, s4, v138
	s_clause 0x1
	global_load_b128 v[215:218], v[100:101], off
	global_load_b128 v[219:222], v[102:103], off
	s_waitcnt vmcnt(28)
	scratch_store_b128 off, v[1:4], off
	s_waitcnt vmcnt(27)
	scratch_store_b128 off, v[5:8], off offset:16
	s_clause 0x1
	global_load_b128 v[1:4], v[104:105], off
	global_load_b128 v[5:8], v[106:107], off
	s_waitcnt vmcnt(28)
	scratch_store_b128 off, v[9:12], off offset:32
	s_waitcnt vmcnt(27)
	scratch_store_b128 off, v[14:17], off offset:48
	v_add_co_ci_u32_e32 v139, vcc_lo, s5, v139, vcc_lo
	s_clause 0x1
	global_load_b128 v[9:12], v[108:109], off
	global_load_b128 v[14:17], v[110:111], off
	s_waitcnt vmcnt(28)
	scratch_store_b128 off, v[18:21], off offset:64
	s_waitcnt vmcnt(27)
	scratch_store_b128 off, v[22:25], off offset:80
	s_clause 0x1
	global_load_b128 v[18:21], v[112:113], off
	global_load_b128 v[22:25], v[114:115], off
	s_waitcnt vmcnt(28)
	scratch_store_b128 off, v[26:29], off offset:96
	s_waitcnt vmcnt(27)
	scratch_store_b128 off, v[30:33], off offset:112
	;; [unrolled: 7-line block ×5, first 2 shown]
	s_clause 0x5
	global_load_b128 v[227:230], v[128:129], off
	global_load_b128 v[231:234], v[130:131], off
	;; [unrolled: 1-line block ×6, first 2 shown]
	s_movk_i32 s3, 0x60
	s_movk_i32 s4, 0x70
	;; [unrolled: 1-line block ×21, first 2 shown]
	s_waitcnt vmcnt(32)
	scratch_store_b128 off, v[153:156], off offset:224
	s_waitcnt vmcnt(31)
	scratch_store_b128 off, v[157:160], off offset:240
	;; [unrolled: 2-line block ×4, first 2 shown]
	v_add_nc_u32_e64 v186, 0, 16
	v_add_nc_u32_e64 v185, 0, 32
	;; [unrolled: 1-line block ×38, first 2 shown]
	s_bitcmp0_b32 s15, 0
	s_mov_b32 s3, -1
	s_waitcnt vmcnt(28)
	scratch_store_b128 off, v[169:172], off offset:288
	s_waitcnt vmcnt(27)
	scratch_store_b128 off, v[173:176], off offset:304
	v_add_nc_u32_e64 v176, s16, 0
	v_add_nc_u32_e64 v175, s17, 0
	;; [unrolled: 1-line block ×8, first 2 shown]
	s_waitcnt vmcnt(26)
	scratch_store_b128 off, v[187:190], off offset:320
	s_waitcnt vmcnt(25)
	scratch_store_b128 off, v[191:194], off offset:336
	s_waitcnt vmcnt(24)
	scratch_store_b128 off, v[195:198], off offset:352
	s_waitcnt vmcnt(23)
	scratch_store_b128 off, v[199:202], off offset:368
	s_waitcnt vmcnt(22)
	scratch_store_b128 off, v[203:206], off offset:384
	s_waitcnt vmcnt(21)
	scratch_store_b128 off, v[207:210], off offset:400
	s_waitcnt vmcnt(20)
	scratch_store_b128 off, v[211:214], off offset:416
	s_waitcnt vmcnt(19)
	scratch_store_b128 off, v[215:218], off offset:432
	s_waitcnt vmcnt(18)
	scratch_store_b128 off, v[219:222], off offset:448
	s_waitcnt vmcnt(17)
	scratch_store_b128 off, v[1:4], off offset:464
	s_waitcnt vmcnt(16)
	scratch_store_b128 off, v[5:8], off offset:480
	s_waitcnt vmcnt(15)
	scratch_store_b128 off, v[9:12], off offset:496
	s_waitcnt vmcnt(14)
	scratch_store_b128 off, v[14:17], off offset:512
	s_waitcnt vmcnt(13)
	scratch_store_b128 off, v[18:21], off offset:528
	s_waitcnt vmcnt(12)
	scratch_store_b128 off, v[22:25], off offset:544
	s_waitcnt vmcnt(11)
	scratch_store_b128 off, v[26:29], off offset:560
	s_waitcnt vmcnt(10)
	scratch_store_b128 off, v[30:33], off offset:576
	s_waitcnt vmcnt(9)
	scratch_store_b128 off, v[34:37], off offset:592
	s_waitcnt vmcnt(8)
	scratch_store_b128 off, v[38:41], off offset:608
	s_waitcnt vmcnt(7)
	scratch_store_b128 off, v[42:45], off offset:624
	s_waitcnt vmcnt(6)
	scratch_store_b128 off, v[223:226], off offset:640
	s_waitcnt vmcnt(5)
	scratch_store_b128 off, v[227:230], off offset:656
	s_waitcnt vmcnt(4)
	scratch_store_b128 off, v[231:234], off offset:672
	s_waitcnt vmcnt(3)
	scratch_store_b128 off, v[235:238], off offset:688
	s_waitcnt vmcnt(2)
	scratch_store_b128 off, v[239:242], off offset:704
	s_waitcnt vmcnt(1)
	scratch_store_b128 off, v[243:246], off offset:720
	s_waitcnt vmcnt(0)
	scratch_store_b128 off, v[247:250], off offset:736
	s_cbranch_scc1 .LBB110_200
; %bb.4:
	v_cmp_eq_u32_e64 s2, 0, v140
	s_delay_alu instid0(VALU_DEP_1)
	s_and_saveexec_b32 s3, s2
	s_cbranch_execz .LBB110_6
; %bb.5:
	v_mov_b32_e32 v1, 0
	ds_store_b32 v1, v1 offset:1504
.LBB110_6:
	s_or_b32 exec_lo, exec_lo, s3
	s_waitcnt lgkmcnt(0)
	s_waitcnt_vscnt null, 0x0
	s_barrier
	buffer_gl0_inv
	scratch_load_b128 v[1:4], v13, off
	s_waitcnt vmcnt(0)
	v_cmp_eq_f64_e32 vcc_lo, 0, v[1:2]
	v_cmp_eq_f64_e64 s3, 0, v[3:4]
	s_delay_alu instid0(VALU_DEP_1) | instskip(NEXT) | instid1(SALU_CYCLE_1)
	s_and_b32 s3, vcc_lo, s3
	s_and_saveexec_b32 s4, s3
	s_cbranch_execz .LBB110_10
; %bb.7:
	v_mov_b32_e32 v1, 0
	s_mov_b32 s5, 0
	ds_load_b32 v2, v1 offset:1504
	s_waitcnt lgkmcnt(0)
	v_readfirstlane_b32 s3, v2
	v_add_nc_u32_e32 v2, 1, v140
	s_delay_alu instid0(VALU_DEP_2) | instskip(NEXT) | instid1(VALU_DEP_1)
	s_cmp_eq_u32 s3, 0
	v_cmp_gt_i32_e32 vcc_lo, s3, v2
	s_cselect_b32 s12, -1, 0
	s_delay_alu instid0(SALU_CYCLE_1) | instskip(NEXT) | instid1(SALU_CYCLE_1)
	s_or_b32 s12, s12, vcc_lo
	s_and_b32 exec_lo, exec_lo, s12
	s_cbranch_execz .LBB110_10
; %bb.8:
	v_mov_b32_e32 v3, s3
.LBB110_9:                              ; =>This Inner Loop Header: Depth=1
	ds_cmpstore_rtn_b32 v3, v1, v2, v3 offset:1504
	s_waitcnt lgkmcnt(0)
	v_cmp_ne_u32_e32 vcc_lo, 0, v3
	v_cmp_le_i32_e64 s3, v3, v2
	s_delay_alu instid0(VALU_DEP_1) | instskip(NEXT) | instid1(SALU_CYCLE_1)
	s_and_b32 s3, vcc_lo, s3
	s_and_b32 s3, exec_lo, s3
	s_delay_alu instid0(SALU_CYCLE_1) | instskip(NEXT) | instid1(SALU_CYCLE_1)
	s_or_b32 s5, s3, s5
	s_and_not1_b32 exec_lo, exec_lo, s5
	s_cbranch_execnz .LBB110_9
.LBB110_10:
	s_or_b32 exec_lo, exec_lo, s4
	v_mov_b32_e32 v1, 0
	s_barrier
	buffer_gl0_inv
	ds_load_b32 v2, v1 offset:1504
	s_and_saveexec_b32 s3, s2
	s_cbranch_execz .LBB110_12
; %bb.11:
	s_lshl_b64 s[4:5], s[10:11], 2
	s_delay_alu instid0(SALU_CYCLE_1)
	s_add_u32 s4, s6, s4
	s_addc_u32 s5, s7, s5
	s_waitcnt lgkmcnt(0)
	global_store_b32 v1, v2, s[4:5]
.LBB110_12:
	s_or_b32 exec_lo, exec_lo, s3
	s_waitcnt lgkmcnt(0)
	v_cmp_ne_u32_e32 vcc_lo, 0, v2
	s_mov_b32 s3, 0
	s_cbranch_vccnz .LBB110_200
; %bb.13:
	v_add_nc_u32_e32 v14, 0, v13
                                        ; implicit-def: $vgpr9_vgpr10
	scratch_load_b128 v[1:4], v14, off
	s_waitcnt vmcnt(0)
	v_mov_b32_e32 v5, v1
	v_cmp_gt_f64_e32 vcc_lo, 0, v[1:2]
	v_xor_b32_e32 v6, 0x80000000, v2
	v_xor_b32_e32 v7, 0x80000000, v4
	s_delay_alu instid0(VALU_DEP_2) | instskip(SKIP_1) | instid1(VALU_DEP_3)
	v_cndmask_b32_e32 v6, v2, v6, vcc_lo
	v_cmp_gt_f64_e32 vcc_lo, 0, v[3:4]
	v_dual_cndmask_b32 v8, v4, v7 :: v_dual_mov_b32 v7, v3
	s_delay_alu instid0(VALU_DEP_1) | instskip(SKIP_1) | instid1(SALU_CYCLE_1)
	v_cmp_ngt_f64_e32 vcc_lo, v[5:6], v[7:8]
                                        ; implicit-def: $vgpr5_vgpr6
	s_and_saveexec_b32 s3, vcc_lo
	s_xor_b32 s3, exec_lo, s3
	s_cbranch_execz .LBB110_15
; %bb.14:
	v_div_scale_f64 v[5:6], null, v[3:4], v[3:4], v[1:2]
	v_div_scale_f64 v[11:12], vcc_lo, v[1:2], v[3:4], v[1:2]
	s_delay_alu instid0(VALU_DEP_2) | instskip(SKIP_2) | instid1(VALU_DEP_1)
	v_rcp_f64_e32 v[7:8], v[5:6]
	s_waitcnt_depctr 0xfff
	v_fma_f64 v[9:10], -v[5:6], v[7:8], 1.0
	v_fma_f64 v[7:8], v[7:8], v[9:10], v[7:8]
	s_delay_alu instid0(VALU_DEP_1) | instskip(NEXT) | instid1(VALU_DEP_1)
	v_fma_f64 v[9:10], -v[5:6], v[7:8], 1.0
	v_fma_f64 v[7:8], v[7:8], v[9:10], v[7:8]
	s_delay_alu instid0(VALU_DEP_1) | instskip(NEXT) | instid1(VALU_DEP_1)
	v_mul_f64 v[9:10], v[11:12], v[7:8]
	v_fma_f64 v[5:6], -v[5:6], v[9:10], v[11:12]
	s_delay_alu instid0(VALU_DEP_1) | instskip(NEXT) | instid1(VALU_DEP_1)
	v_div_fmas_f64 v[5:6], v[5:6], v[7:8], v[9:10]
	v_div_fixup_f64 v[5:6], v[5:6], v[3:4], v[1:2]
	s_delay_alu instid0(VALU_DEP_1) | instskip(NEXT) | instid1(VALU_DEP_1)
	v_fma_f64 v[1:2], v[1:2], v[5:6], v[3:4]
	v_div_scale_f64 v[3:4], null, v[1:2], v[1:2], 1.0
	v_div_scale_f64 v[11:12], vcc_lo, 1.0, v[1:2], 1.0
	s_delay_alu instid0(VALU_DEP_2) | instskip(SKIP_2) | instid1(VALU_DEP_1)
	v_rcp_f64_e32 v[7:8], v[3:4]
	s_waitcnt_depctr 0xfff
	v_fma_f64 v[9:10], -v[3:4], v[7:8], 1.0
	v_fma_f64 v[7:8], v[7:8], v[9:10], v[7:8]
	s_delay_alu instid0(VALU_DEP_1) | instskip(NEXT) | instid1(VALU_DEP_1)
	v_fma_f64 v[9:10], -v[3:4], v[7:8], 1.0
	v_fma_f64 v[7:8], v[7:8], v[9:10], v[7:8]
	s_delay_alu instid0(VALU_DEP_1) | instskip(NEXT) | instid1(VALU_DEP_1)
	v_mul_f64 v[9:10], v[11:12], v[7:8]
	v_fma_f64 v[3:4], -v[3:4], v[9:10], v[11:12]
	s_delay_alu instid0(VALU_DEP_1) | instskip(NEXT) | instid1(VALU_DEP_1)
	v_div_fmas_f64 v[3:4], v[3:4], v[7:8], v[9:10]
	v_div_fixup_f64 v[7:8], v[3:4], v[1:2], 1.0
                                        ; implicit-def: $vgpr1_vgpr2
	s_delay_alu instid0(VALU_DEP_1) | instskip(SKIP_1) | instid1(VALU_DEP_2)
	v_mul_f64 v[5:6], v[5:6], v[7:8]
	v_xor_b32_e32 v8, 0x80000000, v8
	v_xor_b32_e32 v10, 0x80000000, v6
	s_delay_alu instid0(VALU_DEP_3)
	v_mov_b32_e32 v9, v5
.LBB110_15:
	s_and_not1_saveexec_b32 s3, s3
	s_cbranch_execz .LBB110_17
; %bb.16:
	v_div_scale_f64 v[5:6], null, v[1:2], v[1:2], v[3:4]
	v_div_scale_f64 v[11:12], vcc_lo, v[3:4], v[1:2], v[3:4]
	s_delay_alu instid0(VALU_DEP_2) | instskip(SKIP_2) | instid1(VALU_DEP_1)
	v_rcp_f64_e32 v[7:8], v[5:6]
	s_waitcnt_depctr 0xfff
	v_fma_f64 v[9:10], -v[5:6], v[7:8], 1.0
	v_fma_f64 v[7:8], v[7:8], v[9:10], v[7:8]
	s_delay_alu instid0(VALU_DEP_1) | instskip(NEXT) | instid1(VALU_DEP_1)
	v_fma_f64 v[9:10], -v[5:6], v[7:8], 1.0
	v_fma_f64 v[7:8], v[7:8], v[9:10], v[7:8]
	s_delay_alu instid0(VALU_DEP_1) | instskip(NEXT) | instid1(VALU_DEP_1)
	v_mul_f64 v[9:10], v[11:12], v[7:8]
	v_fma_f64 v[5:6], -v[5:6], v[9:10], v[11:12]
	s_delay_alu instid0(VALU_DEP_1) | instskip(NEXT) | instid1(VALU_DEP_1)
	v_div_fmas_f64 v[5:6], v[5:6], v[7:8], v[9:10]
	v_div_fixup_f64 v[7:8], v[5:6], v[1:2], v[3:4]
	s_delay_alu instid0(VALU_DEP_1) | instskip(NEXT) | instid1(VALU_DEP_1)
	v_fma_f64 v[1:2], v[3:4], v[7:8], v[1:2]
	v_div_scale_f64 v[3:4], null, v[1:2], v[1:2], 1.0
	s_delay_alu instid0(VALU_DEP_1) | instskip(SKIP_2) | instid1(VALU_DEP_1)
	v_rcp_f64_e32 v[5:6], v[3:4]
	s_waitcnt_depctr 0xfff
	v_fma_f64 v[9:10], -v[3:4], v[5:6], 1.0
	v_fma_f64 v[5:6], v[5:6], v[9:10], v[5:6]
	s_delay_alu instid0(VALU_DEP_1) | instskip(NEXT) | instid1(VALU_DEP_1)
	v_fma_f64 v[9:10], -v[3:4], v[5:6], 1.0
	v_fma_f64 v[5:6], v[5:6], v[9:10], v[5:6]
	v_div_scale_f64 v[9:10], vcc_lo, 1.0, v[1:2], 1.0
	s_delay_alu instid0(VALU_DEP_1) | instskip(NEXT) | instid1(VALU_DEP_1)
	v_mul_f64 v[11:12], v[9:10], v[5:6]
	v_fma_f64 v[3:4], -v[3:4], v[11:12], v[9:10]
	s_delay_alu instid0(VALU_DEP_1) | instskip(NEXT) | instid1(VALU_DEP_1)
	v_div_fmas_f64 v[3:4], v[3:4], v[5:6], v[11:12]
	v_div_fixup_f64 v[5:6], v[3:4], v[1:2], 1.0
	s_delay_alu instid0(VALU_DEP_1)
	v_mul_f64 v[7:8], v[7:8], -v[5:6]
	v_xor_b32_e32 v10, 0x80000000, v6
	v_mov_b32_e32 v9, v5
.LBB110_17:
	s_or_b32 exec_lo, exec_lo, s3
	scratch_store_b128 v14, v[5:8], off
	scratch_load_b128 v[1:4], v186, off
	v_xor_b32_e32 v12, 0x80000000, v8
	v_mov_b32_e32 v11, v7
	v_add_nc_u32_e32 v5, 0x2f0, v13
	ds_store_b128 v13, v[9:12]
	s_waitcnt vmcnt(0)
	ds_store_b128 v13, v[1:4] offset:752
	s_waitcnt lgkmcnt(0)
	s_waitcnt_vscnt null, 0x0
	s_barrier
	buffer_gl0_inv
	s_and_saveexec_b32 s3, s2
	s_cbranch_execz .LBB110_19
; %bb.18:
	scratch_load_b128 v[1:4], v14, off
	ds_load_b128 v[6:9], v5
	v_mov_b32_e32 v10, 0
	ds_load_b128 v[15:18], v10 offset:16
	s_waitcnt vmcnt(0) lgkmcnt(1)
	v_mul_f64 v[10:11], v[6:7], v[3:4]
	v_mul_f64 v[3:4], v[8:9], v[3:4]
	s_delay_alu instid0(VALU_DEP_2) | instskip(NEXT) | instid1(VALU_DEP_2)
	v_fma_f64 v[8:9], v[8:9], v[1:2], v[10:11]
	v_fma_f64 v[1:2], v[6:7], v[1:2], -v[3:4]
	s_delay_alu instid0(VALU_DEP_2) | instskip(NEXT) | instid1(VALU_DEP_2)
	v_add_f64 v[3:4], v[8:9], 0
	v_add_f64 v[1:2], v[1:2], 0
	s_waitcnt lgkmcnt(0)
	s_delay_alu instid0(VALU_DEP_2) | instskip(NEXT) | instid1(VALU_DEP_2)
	v_mul_f64 v[6:7], v[3:4], v[17:18]
	v_mul_f64 v[8:9], v[1:2], v[17:18]
	s_delay_alu instid0(VALU_DEP_2) | instskip(NEXT) | instid1(VALU_DEP_2)
	v_fma_f64 v[1:2], v[1:2], v[15:16], -v[6:7]
	v_fma_f64 v[3:4], v[3:4], v[15:16], v[8:9]
	scratch_store_b128 off, v[1:4], off offset:16
.LBB110_19:
	s_or_b32 exec_lo, exec_lo, s3
	s_waitcnt_vscnt null, 0x0
	s_barrier
	buffer_gl0_inv
	scratch_load_b128 v[1:4], v185, off
	s_mov_b32 s3, exec_lo
	s_waitcnt vmcnt(0)
	ds_store_b128 v5, v[1:4]
	s_waitcnt lgkmcnt(0)
	s_barrier
	buffer_gl0_inv
	v_cmpx_gt_u32_e32 2, v140
	s_cbranch_execz .LBB110_23
; %bb.20:
	scratch_load_b128 v[1:4], v14, off
	ds_load_b128 v[6:9], v5
	s_waitcnt vmcnt(0) lgkmcnt(0)
	v_mul_f64 v[10:11], v[8:9], v[3:4]
	v_mul_f64 v[3:4], v[6:7], v[3:4]
	s_delay_alu instid0(VALU_DEP_2) | instskip(NEXT) | instid1(VALU_DEP_2)
	v_fma_f64 v[6:7], v[6:7], v[1:2], -v[10:11]
	v_fma_f64 v[3:4], v[8:9], v[1:2], v[3:4]
	s_delay_alu instid0(VALU_DEP_2) | instskip(NEXT) | instid1(VALU_DEP_2)
	v_add_f64 v[1:2], v[6:7], 0
	v_add_f64 v[3:4], v[3:4], 0
	s_and_saveexec_b32 s4, s2
	s_cbranch_execz .LBB110_22
; %bb.21:
	scratch_load_b128 v[6:9], off, off offset:16
	v_mov_b32_e32 v10, 0
	ds_load_b128 v[15:18], v10 offset:768
	s_waitcnt vmcnt(0) lgkmcnt(0)
	v_mul_f64 v[10:11], v[15:16], v[8:9]
	v_mul_f64 v[8:9], v[17:18], v[8:9]
	s_delay_alu instid0(VALU_DEP_2) | instskip(NEXT) | instid1(VALU_DEP_2)
	v_fma_f64 v[10:11], v[17:18], v[6:7], v[10:11]
	v_fma_f64 v[6:7], v[15:16], v[6:7], -v[8:9]
	s_delay_alu instid0(VALU_DEP_2) | instskip(NEXT) | instid1(VALU_DEP_2)
	v_add_f64 v[3:4], v[3:4], v[10:11]
	v_add_f64 v[1:2], v[1:2], v[6:7]
.LBB110_22:
	s_or_b32 exec_lo, exec_lo, s4
	v_mov_b32_e32 v6, 0
	ds_load_b128 v[6:9], v6 offset:32
	s_waitcnt lgkmcnt(0)
	v_mul_f64 v[10:11], v[3:4], v[8:9]
	v_mul_f64 v[8:9], v[1:2], v[8:9]
	s_delay_alu instid0(VALU_DEP_2) | instskip(NEXT) | instid1(VALU_DEP_2)
	v_fma_f64 v[1:2], v[1:2], v[6:7], -v[10:11]
	v_fma_f64 v[3:4], v[3:4], v[6:7], v[8:9]
	scratch_store_b128 off, v[1:4], off offset:32
.LBB110_23:
	s_or_b32 exec_lo, exec_lo, s3
	s_waitcnt_vscnt null, 0x0
	s_barrier
	buffer_gl0_inv
	scratch_load_b128 v[1:4], v184, off
	v_add_nc_u32_e32 v6, -1, v140
	s_mov_b32 s2, exec_lo
	s_waitcnt vmcnt(0)
	ds_store_b128 v5, v[1:4]
	s_waitcnt lgkmcnt(0)
	s_barrier
	buffer_gl0_inv
	v_cmpx_gt_u32_e32 3, v140
	s_cbranch_execz .LBB110_27
; %bb.24:
	v_dual_mov_b32 v1, 0 :: v_dual_add_nc_u32 v8, 0x2f0, v13
	v_dual_mov_b32 v2, 0 :: v_dual_add_nc_u32 v7, -1, v140
	v_or_b32_e32 v9, 8, v14
	s_mov_b32 s3, 0
	s_delay_alu instid0(VALU_DEP_2)
	v_dual_mov_b32 v4, v2 :: v_dual_mov_b32 v3, v1
	.p2align	6
.LBB110_25:                             ; =>This Inner Loop Header: Depth=1
	scratch_load_b128 v[15:18], v9, off offset:-8
	ds_load_b128 v[19:22], v8
	v_add_nc_u32_e32 v7, 1, v7
	v_add_nc_u32_e32 v8, 16, v8
	;; [unrolled: 1-line block ×3, first 2 shown]
	s_delay_alu instid0(VALU_DEP_3) | instskip(SKIP_4) | instid1(VALU_DEP_2)
	v_cmp_lt_u32_e32 vcc_lo, 1, v7
	s_or_b32 s3, vcc_lo, s3
	s_waitcnt vmcnt(0) lgkmcnt(0)
	v_mul_f64 v[10:11], v[21:22], v[17:18]
	v_mul_f64 v[17:18], v[19:20], v[17:18]
	v_fma_f64 v[10:11], v[19:20], v[15:16], -v[10:11]
	s_delay_alu instid0(VALU_DEP_2) | instskip(NEXT) | instid1(VALU_DEP_2)
	v_fma_f64 v[15:16], v[21:22], v[15:16], v[17:18]
	v_add_f64 v[3:4], v[3:4], v[10:11]
	s_delay_alu instid0(VALU_DEP_2)
	v_add_f64 v[1:2], v[1:2], v[15:16]
	s_and_not1_b32 exec_lo, exec_lo, s3
	s_cbranch_execnz .LBB110_25
; %bb.26:
	s_or_b32 exec_lo, exec_lo, s3
	v_mov_b32_e32 v7, 0
	ds_load_b128 v[7:10], v7 offset:48
	s_waitcnt lgkmcnt(0)
	v_mul_f64 v[11:12], v[1:2], v[9:10]
	v_mul_f64 v[15:16], v[3:4], v[9:10]
	s_delay_alu instid0(VALU_DEP_2) | instskip(NEXT) | instid1(VALU_DEP_2)
	v_fma_f64 v[9:10], v[3:4], v[7:8], -v[11:12]
	v_fma_f64 v[11:12], v[1:2], v[7:8], v[15:16]
	scratch_store_b128 off, v[9:12], off offset:48
.LBB110_27:
	s_or_b32 exec_lo, exec_lo, s2
	s_waitcnt_vscnt null, 0x0
	s_barrier
	buffer_gl0_inv
	scratch_load_b128 v[1:4], v183, off
	s_mov_b32 s2, exec_lo
	s_waitcnt vmcnt(0)
	ds_store_b128 v5, v[1:4]
	s_waitcnt lgkmcnt(0)
	s_barrier
	buffer_gl0_inv
	v_cmpx_gt_u32_e32 4, v140
	s_cbranch_execz .LBB110_31
; %bb.28:
	v_dual_mov_b32 v1, 0 :: v_dual_add_nc_u32 v8, 0x2f0, v13
	v_dual_mov_b32 v2, 0 :: v_dual_add_nc_u32 v7, -1, v140
	v_or_b32_e32 v9, 8, v14
	s_mov_b32 s3, 0
	s_delay_alu instid0(VALU_DEP_2)
	v_dual_mov_b32 v4, v2 :: v_dual_mov_b32 v3, v1
	.p2align	6
.LBB110_29:                             ; =>This Inner Loop Header: Depth=1
	scratch_load_b128 v[15:18], v9, off offset:-8
	ds_load_b128 v[19:22], v8
	v_add_nc_u32_e32 v7, 1, v7
	v_add_nc_u32_e32 v8, 16, v8
	;; [unrolled: 1-line block ×3, first 2 shown]
	s_delay_alu instid0(VALU_DEP_3) | instskip(SKIP_4) | instid1(VALU_DEP_2)
	v_cmp_lt_u32_e32 vcc_lo, 2, v7
	s_or_b32 s3, vcc_lo, s3
	s_waitcnt vmcnt(0) lgkmcnt(0)
	v_mul_f64 v[10:11], v[21:22], v[17:18]
	v_mul_f64 v[17:18], v[19:20], v[17:18]
	v_fma_f64 v[10:11], v[19:20], v[15:16], -v[10:11]
	s_delay_alu instid0(VALU_DEP_2) | instskip(NEXT) | instid1(VALU_DEP_2)
	v_fma_f64 v[15:16], v[21:22], v[15:16], v[17:18]
	v_add_f64 v[3:4], v[3:4], v[10:11]
	s_delay_alu instid0(VALU_DEP_2)
	v_add_f64 v[1:2], v[1:2], v[15:16]
	s_and_not1_b32 exec_lo, exec_lo, s3
	s_cbranch_execnz .LBB110_29
; %bb.30:
	s_or_b32 exec_lo, exec_lo, s3
	v_mov_b32_e32 v7, 0
	ds_load_b128 v[7:10], v7 offset:64
	s_waitcnt lgkmcnt(0)
	v_mul_f64 v[11:12], v[1:2], v[9:10]
	v_mul_f64 v[15:16], v[3:4], v[9:10]
	s_delay_alu instid0(VALU_DEP_2) | instskip(NEXT) | instid1(VALU_DEP_2)
	v_fma_f64 v[9:10], v[3:4], v[7:8], -v[11:12]
	v_fma_f64 v[11:12], v[1:2], v[7:8], v[15:16]
	scratch_store_b128 off, v[9:12], off offset:64
.LBB110_31:
	s_or_b32 exec_lo, exec_lo, s2
	s_waitcnt_vscnt null, 0x0
	s_barrier
	buffer_gl0_inv
	scratch_load_b128 v[1:4], v182, off
	s_mov_b32 s2, exec_lo
	s_waitcnt vmcnt(0)
	ds_store_b128 v5, v[1:4]
	s_waitcnt lgkmcnt(0)
	s_barrier
	buffer_gl0_inv
	v_cmpx_gt_u32_e32 5, v140
	s_cbranch_execz .LBB110_35
; %bb.32:
	v_dual_mov_b32 v1, 0 :: v_dual_add_nc_u32 v8, 0x2f0, v13
	v_dual_mov_b32 v2, 0 :: v_dual_add_nc_u32 v7, -1, v140
	v_or_b32_e32 v9, 8, v14
	s_mov_b32 s3, 0
	s_delay_alu instid0(VALU_DEP_2)
	v_dual_mov_b32 v4, v2 :: v_dual_mov_b32 v3, v1
	.p2align	6
.LBB110_33:                             ; =>This Inner Loop Header: Depth=1
	scratch_load_b128 v[15:18], v9, off offset:-8
	ds_load_b128 v[19:22], v8
	v_add_nc_u32_e32 v7, 1, v7
	v_add_nc_u32_e32 v8, 16, v8
	;; [unrolled: 1-line block ×3, first 2 shown]
	s_delay_alu instid0(VALU_DEP_3) | instskip(SKIP_4) | instid1(VALU_DEP_2)
	v_cmp_lt_u32_e32 vcc_lo, 3, v7
	s_or_b32 s3, vcc_lo, s3
	s_waitcnt vmcnt(0) lgkmcnt(0)
	v_mul_f64 v[10:11], v[21:22], v[17:18]
	v_mul_f64 v[17:18], v[19:20], v[17:18]
	v_fma_f64 v[10:11], v[19:20], v[15:16], -v[10:11]
	s_delay_alu instid0(VALU_DEP_2) | instskip(NEXT) | instid1(VALU_DEP_2)
	v_fma_f64 v[15:16], v[21:22], v[15:16], v[17:18]
	v_add_f64 v[3:4], v[3:4], v[10:11]
	s_delay_alu instid0(VALU_DEP_2)
	v_add_f64 v[1:2], v[1:2], v[15:16]
	s_and_not1_b32 exec_lo, exec_lo, s3
	s_cbranch_execnz .LBB110_33
; %bb.34:
	s_or_b32 exec_lo, exec_lo, s3
	v_mov_b32_e32 v7, 0
	ds_load_b128 v[7:10], v7 offset:80
	s_waitcnt lgkmcnt(0)
	v_mul_f64 v[11:12], v[1:2], v[9:10]
	v_mul_f64 v[15:16], v[3:4], v[9:10]
	s_delay_alu instid0(VALU_DEP_2) | instskip(NEXT) | instid1(VALU_DEP_2)
	v_fma_f64 v[9:10], v[3:4], v[7:8], -v[11:12]
	v_fma_f64 v[11:12], v[1:2], v[7:8], v[15:16]
	scratch_store_b128 off, v[9:12], off offset:80
.LBB110_35:
	s_or_b32 exec_lo, exec_lo, s2
	s_waitcnt_vscnt null, 0x0
	s_barrier
	buffer_gl0_inv
	scratch_load_b128 v[1:4], v181, off
	s_mov_b32 s2, exec_lo
	s_waitcnt vmcnt(0)
	ds_store_b128 v5, v[1:4]
	s_waitcnt lgkmcnt(0)
	s_barrier
	buffer_gl0_inv
	v_cmpx_gt_u32_e32 6, v140
	s_cbranch_execz .LBB110_39
; %bb.36:
	v_dual_mov_b32 v1, 0 :: v_dual_add_nc_u32 v8, 0x2f0, v13
	v_dual_mov_b32 v2, 0 :: v_dual_add_nc_u32 v7, -1, v140
	v_or_b32_e32 v9, 8, v14
	s_mov_b32 s3, 0
	s_delay_alu instid0(VALU_DEP_2)
	v_dual_mov_b32 v4, v2 :: v_dual_mov_b32 v3, v1
	.p2align	6
.LBB110_37:                             ; =>This Inner Loop Header: Depth=1
	scratch_load_b128 v[15:18], v9, off offset:-8
	ds_load_b128 v[19:22], v8
	v_add_nc_u32_e32 v7, 1, v7
	v_add_nc_u32_e32 v8, 16, v8
	;; [unrolled: 1-line block ×3, first 2 shown]
	s_delay_alu instid0(VALU_DEP_3) | instskip(SKIP_4) | instid1(VALU_DEP_2)
	v_cmp_lt_u32_e32 vcc_lo, 4, v7
	s_or_b32 s3, vcc_lo, s3
	s_waitcnt vmcnt(0) lgkmcnt(0)
	v_mul_f64 v[10:11], v[21:22], v[17:18]
	v_mul_f64 v[17:18], v[19:20], v[17:18]
	v_fma_f64 v[10:11], v[19:20], v[15:16], -v[10:11]
	s_delay_alu instid0(VALU_DEP_2) | instskip(NEXT) | instid1(VALU_DEP_2)
	v_fma_f64 v[15:16], v[21:22], v[15:16], v[17:18]
	v_add_f64 v[3:4], v[3:4], v[10:11]
	s_delay_alu instid0(VALU_DEP_2)
	v_add_f64 v[1:2], v[1:2], v[15:16]
	s_and_not1_b32 exec_lo, exec_lo, s3
	s_cbranch_execnz .LBB110_37
; %bb.38:
	s_or_b32 exec_lo, exec_lo, s3
	v_mov_b32_e32 v7, 0
	ds_load_b128 v[7:10], v7 offset:96
	s_waitcnt lgkmcnt(0)
	v_mul_f64 v[11:12], v[1:2], v[9:10]
	v_mul_f64 v[15:16], v[3:4], v[9:10]
	s_delay_alu instid0(VALU_DEP_2) | instskip(NEXT) | instid1(VALU_DEP_2)
	v_fma_f64 v[9:10], v[3:4], v[7:8], -v[11:12]
	v_fma_f64 v[11:12], v[1:2], v[7:8], v[15:16]
	scratch_store_b128 off, v[9:12], off offset:96
.LBB110_39:
	s_or_b32 exec_lo, exec_lo, s2
	s_waitcnt_vscnt null, 0x0
	s_barrier
	buffer_gl0_inv
	scratch_load_b128 v[1:4], v180, off
	s_mov_b32 s2, exec_lo
	s_waitcnt vmcnt(0)
	ds_store_b128 v5, v[1:4]
	s_waitcnt lgkmcnt(0)
	s_barrier
	buffer_gl0_inv
	v_cmpx_gt_u32_e32 7, v140
	s_cbranch_execz .LBB110_43
; %bb.40:
	v_dual_mov_b32 v1, 0 :: v_dual_add_nc_u32 v8, 0x2f0, v13
	v_dual_mov_b32 v2, 0 :: v_dual_add_nc_u32 v7, -1, v140
	v_or_b32_e32 v9, 8, v14
	s_mov_b32 s3, 0
	s_delay_alu instid0(VALU_DEP_2)
	v_dual_mov_b32 v4, v2 :: v_dual_mov_b32 v3, v1
	.p2align	6
.LBB110_41:                             ; =>This Inner Loop Header: Depth=1
	scratch_load_b128 v[15:18], v9, off offset:-8
	ds_load_b128 v[19:22], v8
	v_add_nc_u32_e32 v7, 1, v7
	v_add_nc_u32_e32 v8, 16, v8
	;; [unrolled: 1-line block ×3, first 2 shown]
	s_delay_alu instid0(VALU_DEP_3) | instskip(SKIP_4) | instid1(VALU_DEP_2)
	v_cmp_lt_u32_e32 vcc_lo, 5, v7
	s_or_b32 s3, vcc_lo, s3
	s_waitcnt vmcnt(0) lgkmcnt(0)
	v_mul_f64 v[10:11], v[21:22], v[17:18]
	v_mul_f64 v[17:18], v[19:20], v[17:18]
	v_fma_f64 v[10:11], v[19:20], v[15:16], -v[10:11]
	s_delay_alu instid0(VALU_DEP_2) | instskip(NEXT) | instid1(VALU_DEP_2)
	v_fma_f64 v[15:16], v[21:22], v[15:16], v[17:18]
	v_add_f64 v[3:4], v[3:4], v[10:11]
	s_delay_alu instid0(VALU_DEP_2)
	v_add_f64 v[1:2], v[1:2], v[15:16]
	s_and_not1_b32 exec_lo, exec_lo, s3
	s_cbranch_execnz .LBB110_41
; %bb.42:
	s_or_b32 exec_lo, exec_lo, s3
	v_mov_b32_e32 v7, 0
	ds_load_b128 v[7:10], v7 offset:112
	s_waitcnt lgkmcnt(0)
	v_mul_f64 v[11:12], v[1:2], v[9:10]
	v_mul_f64 v[15:16], v[3:4], v[9:10]
	s_delay_alu instid0(VALU_DEP_2) | instskip(NEXT) | instid1(VALU_DEP_2)
	v_fma_f64 v[9:10], v[3:4], v[7:8], -v[11:12]
	v_fma_f64 v[11:12], v[1:2], v[7:8], v[15:16]
	scratch_store_b128 off, v[9:12], off offset:112
.LBB110_43:
	s_or_b32 exec_lo, exec_lo, s2
	s_waitcnt_vscnt null, 0x0
	s_barrier
	buffer_gl0_inv
	scratch_load_b128 v[1:4], v179, off
	s_mov_b32 s2, exec_lo
	s_waitcnt vmcnt(0)
	ds_store_b128 v5, v[1:4]
	s_waitcnt lgkmcnt(0)
	s_barrier
	buffer_gl0_inv
	v_cmpx_gt_u32_e32 8, v140
	s_cbranch_execz .LBB110_47
; %bb.44:
	v_dual_mov_b32 v1, 0 :: v_dual_add_nc_u32 v8, 0x2f0, v13
	v_dual_mov_b32 v2, 0 :: v_dual_add_nc_u32 v7, -1, v140
	v_or_b32_e32 v9, 8, v14
	s_mov_b32 s3, 0
	s_delay_alu instid0(VALU_DEP_2)
	v_dual_mov_b32 v4, v2 :: v_dual_mov_b32 v3, v1
	.p2align	6
.LBB110_45:                             ; =>This Inner Loop Header: Depth=1
	scratch_load_b128 v[15:18], v9, off offset:-8
	ds_load_b128 v[19:22], v8
	v_add_nc_u32_e32 v7, 1, v7
	v_add_nc_u32_e32 v8, 16, v8
	;; [unrolled: 1-line block ×3, first 2 shown]
	s_delay_alu instid0(VALU_DEP_3) | instskip(SKIP_4) | instid1(VALU_DEP_2)
	v_cmp_lt_u32_e32 vcc_lo, 6, v7
	s_or_b32 s3, vcc_lo, s3
	s_waitcnt vmcnt(0) lgkmcnt(0)
	v_mul_f64 v[10:11], v[21:22], v[17:18]
	v_mul_f64 v[17:18], v[19:20], v[17:18]
	v_fma_f64 v[10:11], v[19:20], v[15:16], -v[10:11]
	s_delay_alu instid0(VALU_DEP_2) | instskip(NEXT) | instid1(VALU_DEP_2)
	v_fma_f64 v[15:16], v[21:22], v[15:16], v[17:18]
	v_add_f64 v[3:4], v[3:4], v[10:11]
	s_delay_alu instid0(VALU_DEP_2)
	v_add_f64 v[1:2], v[1:2], v[15:16]
	s_and_not1_b32 exec_lo, exec_lo, s3
	s_cbranch_execnz .LBB110_45
; %bb.46:
	s_or_b32 exec_lo, exec_lo, s3
	v_mov_b32_e32 v7, 0
	ds_load_b128 v[7:10], v7 offset:128
	s_waitcnt lgkmcnt(0)
	v_mul_f64 v[11:12], v[1:2], v[9:10]
	v_mul_f64 v[15:16], v[3:4], v[9:10]
	s_delay_alu instid0(VALU_DEP_2) | instskip(NEXT) | instid1(VALU_DEP_2)
	v_fma_f64 v[9:10], v[3:4], v[7:8], -v[11:12]
	v_fma_f64 v[11:12], v[1:2], v[7:8], v[15:16]
	scratch_store_b128 off, v[9:12], off offset:128
.LBB110_47:
	s_or_b32 exec_lo, exec_lo, s2
	s_waitcnt_vscnt null, 0x0
	s_barrier
	buffer_gl0_inv
	scratch_load_b128 v[1:4], v178, off
	s_mov_b32 s2, exec_lo
	s_waitcnt vmcnt(0)
	ds_store_b128 v5, v[1:4]
	s_waitcnt lgkmcnt(0)
	s_barrier
	buffer_gl0_inv
	v_cmpx_gt_u32_e32 9, v140
	s_cbranch_execz .LBB110_51
; %bb.48:
	v_dual_mov_b32 v1, 0 :: v_dual_add_nc_u32 v8, 0x2f0, v13
	v_dual_mov_b32 v2, 0 :: v_dual_add_nc_u32 v7, -1, v140
	v_or_b32_e32 v9, 8, v14
	s_mov_b32 s3, 0
	s_delay_alu instid0(VALU_DEP_2)
	v_dual_mov_b32 v4, v2 :: v_dual_mov_b32 v3, v1
	.p2align	6
.LBB110_49:                             ; =>This Inner Loop Header: Depth=1
	scratch_load_b128 v[15:18], v9, off offset:-8
	ds_load_b128 v[19:22], v8
	v_add_nc_u32_e32 v7, 1, v7
	v_add_nc_u32_e32 v8, 16, v8
	;; [unrolled: 1-line block ×3, first 2 shown]
	s_delay_alu instid0(VALU_DEP_3) | instskip(SKIP_4) | instid1(VALU_DEP_2)
	v_cmp_lt_u32_e32 vcc_lo, 7, v7
	s_or_b32 s3, vcc_lo, s3
	s_waitcnt vmcnt(0) lgkmcnt(0)
	v_mul_f64 v[10:11], v[21:22], v[17:18]
	v_mul_f64 v[17:18], v[19:20], v[17:18]
	v_fma_f64 v[10:11], v[19:20], v[15:16], -v[10:11]
	s_delay_alu instid0(VALU_DEP_2) | instskip(NEXT) | instid1(VALU_DEP_2)
	v_fma_f64 v[15:16], v[21:22], v[15:16], v[17:18]
	v_add_f64 v[3:4], v[3:4], v[10:11]
	s_delay_alu instid0(VALU_DEP_2)
	v_add_f64 v[1:2], v[1:2], v[15:16]
	s_and_not1_b32 exec_lo, exec_lo, s3
	s_cbranch_execnz .LBB110_49
; %bb.50:
	s_or_b32 exec_lo, exec_lo, s3
	v_mov_b32_e32 v7, 0
	ds_load_b128 v[7:10], v7 offset:144
	s_waitcnt lgkmcnt(0)
	v_mul_f64 v[11:12], v[1:2], v[9:10]
	v_mul_f64 v[15:16], v[3:4], v[9:10]
	s_delay_alu instid0(VALU_DEP_2) | instskip(NEXT) | instid1(VALU_DEP_2)
	v_fma_f64 v[9:10], v[3:4], v[7:8], -v[11:12]
	v_fma_f64 v[11:12], v[1:2], v[7:8], v[15:16]
	scratch_store_b128 off, v[9:12], off offset:144
.LBB110_51:
	s_or_b32 exec_lo, exec_lo, s2
	s_waitcnt_vscnt null, 0x0
	s_barrier
	buffer_gl0_inv
	scratch_load_b128 v[1:4], v177, off
	s_mov_b32 s2, exec_lo
	s_waitcnt vmcnt(0)
	ds_store_b128 v5, v[1:4]
	s_waitcnt lgkmcnt(0)
	s_barrier
	buffer_gl0_inv
	v_cmpx_gt_u32_e32 10, v140
	s_cbranch_execz .LBB110_55
; %bb.52:
	v_dual_mov_b32 v1, 0 :: v_dual_add_nc_u32 v8, 0x2f0, v13
	v_dual_mov_b32 v2, 0 :: v_dual_add_nc_u32 v7, -1, v140
	v_or_b32_e32 v9, 8, v14
	s_mov_b32 s3, 0
	s_delay_alu instid0(VALU_DEP_2)
	v_dual_mov_b32 v4, v2 :: v_dual_mov_b32 v3, v1
	.p2align	6
.LBB110_53:                             ; =>This Inner Loop Header: Depth=1
	scratch_load_b128 v[15:18], v9, off offset:-8
	ds_load_b128 v[19:22], v8
	v_add_nc_u32_e32 v7, 1, v7
	v_add_nc_u32_e32 v8, 16, v8
	;; [unrolled: 1-line block ×3, first 2 shown]
	s_delay_alu instid0(VALU_DEP_3) | instskip(SKIP_4) | instid1(VALU_DEP_2)
	v_cmp_lt_u32_e32 vcc_lo, 8, v7
	s_or_b32 s3, vcc_lo, s3
	s_waitcnt vmcnt(0) lgkmcnt(0)
	v_mul_f64 v[10:11], v[21:22], v[17:18]
	v_mul_f64 v[17:18], v[19:20], v[17:18]
	v_fma_f64 v[10:11], v[19:20], v[15:16], -v[10:11]
	s_delay_alu instid0(VALU_DEP_2) | instskip(NEXT) | instid1(VALU_DEP_2)
	v_fma_f64 v[15:16], v[21:22], v[15:16], v[17:18]
	v_add_f64 v[3:4], v[3:4], v[10:11]
	s_delay_alu instid0(VALU_DEP_2)
	v_add_f64 v[1:2], v[1:2], v[15:16]
	s_and_not1_b32 exec_lo, exec_lo, s3
	s_cbranch_execnz .LBB110_53
; %bb.54:
	s_or_b32 exec_lo, exec_lo, s3
	v_mov_b32_e32 v7, 0
	ds_load_b128 v[7:10], v7 offset:160
	s_waitcnt lgkmcnt(0)
	v_mul_f64 v[11:12], v[1:2], v[9:10]
	v_mul_f64 v[15:16], v[3:4], v[9:10]
	s_delay_alu instid0(VALU_DEP_2) | instskip(NEXT) | instid1(VALU_DEP_2)
	v_fma_f64 v[9:10], v[3:4], v[7:8], -v[11:12]
	v_fma_f64 v[11:12], v[1:2], v[7:8], v[15:16]
	scratch_store_b128 off, v[9:12], off offset:160
.LBB110_55:
	s_or_b32 exec_lo, exec_lo, s2
	s_waitcnt_vscnt null, 0x0
	s_barrier
	buffer_gl0_inv
	scratch_load_b128 v[1:4], v176, off
	s_mov_b32 s2, exec_lo
	s_waitcnt vmcnt(0)
	ds_store_b128 v5, v[1:4]
	s_waitcnt lgkmcnt(0)
	s_barrier
	buffer_gl0_inv
	v_cmpx_gt_u32_e32 11, v140
	s_cbranch_execz .LBB110_59
; %bb.56:
	v_dual_mov_b32 v1, 0 :: v_dual_add_nc_u32 v8, 0x2f0, v13
	v_dual_mov_b32 v2, 0 :: v_dual_add_nc_u32 v7, -1, v140
	v_or_b32_e32 v9, 8, v14
	s_mov_b32 s3, 0
	s_delay_alu instid0(VALU_DEP_2)
	v_dual_mov_b32 v4, v2 :: v_dual_mov_b32 v3, v1
	.p2align	6
.LBB110_57:                             ; =>This Inner Loop Header: Depth=1
	scratch_load_b128 v[15:18], v9, off offset:-8
	ds_load_b128 v[19:22], v8
	v_add_nc_u32_e32 v7, 1, v7
	v_add_nc_u32_e32 v8, 16, v8
	v_add_nc_u32_e32 v9, 16, v9
	s_delay_alu instid0(VALU_DEP_3) | instskip(SKIP_4) | instid1(VALU_DEP_2)
	v_cmp_lt_u32_e32 vcc_lo, 9, v7
	s_or_b32 s3, vcc_lo, s3
	s_waitcnt vmcnt(0) lgkmcnt(0)
	v_mul_f64 v[10:11], v[21:22], v[17:18]
	v_mul_f64 v[17:18], v[19:20], v[17:18]
	v_fma_f64 v[10:11], v[19:20], v[15:16], -v[10:11]
	s_delay_alu instid0(VALU_DEP_2) | instskip(NEXT) | instid1(VALU_DEP_2)
	v_fma_f64 v[15:16], v[21:22], v[15:16], v[17:18]
	v_add_f64 v[3:4], v[3:4], v[10:11]
	s_delay_alu instid0(VALU_DEP_2)
	v_add_f64 v[1:2], v[1:2], v[15:16]
	s_and_not1_b32 exec_lo, exec_lo, s3
	s_cbranch_execnz .LBB110_57
; %bb.58:
	s_or_b32 exec_lo, exec_lo, s3
	v_mov_b32_e32 v7, 0
	ds_load_b128 v[7:10], v7 offset:176
	s_waitcnt lgkmcnt(0)
	v_mul_f64 v[11:12], v[1:2], v[9:10]
	v_mul_f64 v[15:16], v[3:4], v[9:10]
	s_delay_alu instid0(VALU_DEP_2) | instskip(NEXT) | instid1(VALU_DEP_2)
	v_fma_f64 v[9:10], v[3:4], v[7:8], -v[11:12]
	v_fma_f64 v[11:12], v[1:2], v[7:8], v[15:16]
	scratch_store_b128 off, v[9:12], off offset:176
.LBB110_59:
	s_or_b32 exec_lo, exec_lo, s2
	s_waitcnt_vscnt null, 0x0
	s_barrier
	buffer_gl0_inv
	scratch_load_b128 v[1:4], v175, off
	s_mov_b32 s2, exec_lo
	s_waitcnt vmcnt(0)
	ds_store_b128 v5, v[1:4]
	s_waitcnt lgkmcnt(0)
	s_barrier
	buffer_gl0_inv
	v_cmpx_gt_u32_e32 12, v140
	s_cbranch_execz .LBB110_63
; %bb.60:
	v_dual_mov_b32 v1, 0 :: v_dual_add_nc_u32 v8, 0x2f0, v13
	v_dual_mov_b32 v2, 0 :: v_dual_add_nc_u32 v7, -1, v140
	v_or_b32_e32 v9, 8, v14
	s_mov_b32 s3, 0
	s_delay_alu instid0(VALU_DEP_2)
	v_dual_mov_b32 v4, v2 :: v_dual_mov_b32 v3, v1
	.p2align	6
.LBB110_61:                             ; =>This Inner Loop Header: Depth=1
	scratch_load_b128 v[15:18], v9, off offset:-8
	ds_load_b128 v[19:22], v8
	v_add_nc_u32_e32 v7, 1, v7
	v_add_nc_u32_e32 v8, 16, v8
	;; [unrolled: 1-line block ×3, first 2 shown]
	s_delay_alu instid0(VALU_DEP_3) | instskip(SKIP_4) | instid1(VALU_DEP_2)
	v_cmp_lt_u32_e32 vcc_lo, 10, v7
	s_or_b32 s3, vcc_lo, s3
	s_waitcnt vmcnt(0) lgkmcnt(0)
	v_mul_f64 v[10:11], v[21:22], v[17:18]
	v_mul_f64 v[17:18], v[19:20], v[17:18]
	v_fma_f64 v[10:11], v[19:20], v[15:16], -v[10:11]
	s_delay_alu instid0(VALU_DEP_2) | instskip(NEXT) | instid1(VALU_DEP_2)
	v_fma_f64 v[15:16], v[21:22], v[15:16], v[17:18]
	v_add_f64 v[3:4], v[3:4], v[10:11]
	s_delay_alu instid0(VALU_DEP_2)
	v_add_f64 v[1:2], v[1:2], v[15:16]
	s_and_not1_b32 exec_lo, exec_lo, s3
	s_cbranch_execnz .LBB110_61
; %bb.62:
	s_or_b32 exec_lo, exec_lo, s3
	v_mov_b32_e32 v7, 0
	ds_load_b128 v[7:10], v7 offset:192
	s_waitcnt lgkmcnt(0)
	v_mul_f64 v[11:12], v[1:2], v[9:10]
	v_mul_f64 v[15:16], v[3:4], v[9:10]
	s_delay_alu instid0(VALU_DEP_2) | instskip(NEXT) | instid1(VALU_DEP_2)
	v_fma_f64 v[9:10], v[3:4], v[7:8], -v[11:12]
	v_fma_f64 v[11:12], v[1:2], v[7:8], v[15:16]
	scratch_store_b128 off, v[9:12], off offset:192
.LBB110_63:
	s_or_b32 exec_lo, exec_lo, s2
	s_waitcnt_vscnt null, 0x0
	s_barrier
	buffer_gl0_inv
	scratch_load_b128 v[1:4], v174, off
	s_mov_b32 s2, exec_lo
	s_waitcnt vmcnt(0)
	ds_store_b128 v5, v[1:4]
	s_waitcnt lgkmcnt(0)
	s_barrier
	buffer_gl0_inv
	v_cmpx_gt_u32_e32 13, v140
	s_cbranch_execz .LBB110_67
; %bb.64:
	v_dual_mov_b32 v1, 0 :: v_dual_add_nc_u32 v8, 0x2f0, v13
	v_dual_mov_b32 v2, 0 :: v_dual_add_nc_u32 v7, -1, v140
	v_or_b32_e32 v9, 8, v14
	s_mov_b32 s3, 0
	s_delay_alu instid0(VALU_DEP_2)
	v_dual_mov_b32 v4, v2 :: v_dual_mov_b32 v3, v1
	.p2align	6
.LBB110_65:                             ; =>This Inner Loop Header: Depth=1
	scratch_load_b128 v[15:18], v9, off offset:-8
	ds_load_b128 v[19:22], v8
	v_add_nc_u32_e32 v7, 1, v7
	v_add_nc_u32_e32 v8, 16, v8
	;; [unrolled: 1-line block ×3, first 2 shown]
	s_delay_alu instid0(VALU_DEP_3) | instskip(SKIP_4) | instid1(VALU_DEP_2)
	v_cmp_lt_u32_e32 vcc_lo, 11, v7
	s_or_b32 s3, vcc_lo, s3
	s_waitcnt vmcnt(0) lgkmcnt(0)
	v_mul_f64 v[10:11], v[21:22], v[17:18]
	v_mul_f64 v[17:18], v[19:20], v[17:18]
	v_fma_f64 v[10:11], v[19:20], v[15:16], -v[10:11]
	s_delay_alu instid0(VALU_DEP_2) | instskip(NEXT) | instid1(VALU_DEP_2)
	v_fma_f64 v[15:16], v[21:22], v[15:16], v[17:18]
	v_add_f64 v[3:4], v[3:4], v[10:11]
	s_delay_alu instid0(VALU_DEP_2)
	v_add_f64 v[1:2], v[1:2], v[15:16]
	s_and_not1_b32 exec_lo, exec_lo, s3
	s_cbranch_execnz .LBB110_65
; %bb.66:
	s_or_b32 exec_lo, exec_lo, s3
	v_mov_b32_e32 v7, 0
	ds_load_b128 v[7:10], v7 offset:208
	s_waitcnt lgkmcnt(0)
	v_mul_f64 v[11:12], v[1:2], v[9:10]
	v_mul_f64 v[15:16], v[3:4], v[9:10]
	s_delay_alu instid0(VALU_DEP_2) | instskip(NEXT) | instid1(VALU_DEP_2)
	v_fma_f64 v[9:10], v[3:4], v[7:8], -v[11:12]
	v_fma_f64 v[11:12], v[1:2], v[7:8], v[15:16]
	scratch_store_b128 off, v[9:12], off offset:208
.LBB110_67:
	s_or_b32 exec_lo, exec_lo, s2
	s_waitcnt_vscnt null, 0x0
	s_barrier
	buffer_gl0_inv
	scratch_load_b128 v[1:4], v173, off
	s_mov_b32 s2, exec_lo
	s_waitcnt vmcnt(0)
	ds_store_b128 v5, v[1:4]
	s_waitcnt lgkmcnt(0)
	s_barrier
	buffer_gl0_inv
	v_cmpx_gt_u32_e32 14, v140
	s_cbranch_execz .LBB110_71
; %bb.68:
	v_dual_mov_b32 v1, 0 :: v_dual_add_nc_u32 v8, 0x2f0, v13
	v_dual_mov_b32 v2, 0 :: v_dual_add_nc_u32 v7, -1, v140
	v_or_b32_e32 v9, 8, v14
	s_mov_b32 s3, 0
	s_delay_alu instid0(VALU_DEP_2)
	v_dual_mov_b32 v4, v2 :: v_dual_mov_b32 v3, v1
	.p2align	6
.LBB110_69:                             ; =>This Inner Loop Header: Depth=1
	scratch_load_b128 v[15:18], v9, off offset:-8
	ds_load_b128 v[19:22], v8
	v_add_nc_u32_e32 v7, 1, v7
	v_add_nc_u32_e32 v8, 16, v8
	;; [unrolled: 1-line block ×3, first 2 shown]
	s_delay_alu instid0(VALU_DEP_3) | instskip(SKIP_4) | instid1(VALU_DEP_2)
	v_cmp_lt_u32_e32 vcc_lo, 12, v7
	s_or_b32 s3, vcc_lo, s3
	s_waitcnt vmcnt(0) lgkmcnt(0)
	v_mul_f64 v[10:11], v[21:22], v[17:18]
	v_mul_f64 v[17:18], v[19:20], v[17:18]
	v_fma_f64 v[10:11], v[19:20], v[15:16], -v[10:11]
	s_delay_alu instid0(VALU_DEP_2) | instskip(NEXT) | instid1(VALU_DEP_2)
	v_fma_f64 v[15:16], v[21:22], v[15:16], v[17:18]
	v_add_f64 v[3:4], v[3:4], v[10:11]
	s_delay_alu instid0(VALU_DEP_2)
	v_add_f64 v[1:2], v[1:2], v[15:16]
	s_and_not1_b32 exec_lo, exec_lo, s3
	s_cbranch_execnz .LBB110_69
; %bb.70:
	s_or_b32 exec_lo, exec_lo, s3
	v_mov_b32_e32 v7, 0
	ds_load_b128 v[7:10], v7 offset:224
	s_waitcnt lgkmcnt(0)
	v_mul_f64 v[11:12], v[1:2], v[9:10]
	v_mul_f64 v[15:16], v[3:4], v[9:10]
	s_delay_alu instid0(VALU_DEP_2) | instskip(NEXT) | instid1(VALU_DEP_2)
	v_fma_f64 v[9:10], v[3:4], v[7:8], -v[11:12]
	v_fma_f64 v[11:12], v[1:2], v[7:8], v[15:16]
	scratch_store_b128 off, v[9:12], off offset:224
.LBB110_71:
	s_or_b32 exec_lo, exec_lo, s2
	s_waitcnt_vscnt null, 0x0
	s_barrier
	buffer_gl0_inv
	scratch_load_b128 v[1:4], v172, off
	s_mov_b32 s2, exec_lo
	s_waitcnt vmcnt(0)
	ds_store_b128 v5, v[1:4]
	s_waitcnt lgkmcnt(0)
	s_barrier
	buffer_gl0_inv
	v_cmpx_gt_u32_e32 15, v140
	s_cbranch_execz .LBB110_75
; %bb.72:
	v_dual_mov_b32 v1, 0 :: v_dual_add_nc_u32 v8, 0x2f0, v13
	v_dual_mov_b32 v2, 0 :: v_dual_add_nc_u32 v7, -1, v140
	v_or_b32_e32 v9, 8, v14
	s_mov_b32 s3, 0
	s_delay_alu instid0(VALU_DEP_2)
	v_dual_mov_b32 v4, v2 :: v_dual_mov_b32 v3, v1
	.p2align	6
.LBB110_73:                             ; =>This Inner Loop Header: Depth=1
	scratch_load_b128 v[15:18], v9, off offset:-8
	ds_load_b128 v[19:22], v8
	v_add_nc_u32_e32 v7, 1, v7
	v_add_nc_u32_e32 v8, 16, v8
	;; [unrolled: 1-line block ×3, first 2 shown]
	s_delay_alu instid0(VALU_DEP_3) | instskip(SKIP_4) | instid1(VALU_DEP_2)
	v_cmp_lt_u32_e32 vcc_lo, 13, v7
	s_or_b32 s3, vcc_lo, s3
	s_waitcnt vmcnt(0) lgkmcnt(0)
	v_mul_f64 v[10:11], v[21:22], v[17:18]
	v_mul_f64 v[17:18], v[19:20], v[17:18]
	v_fma_f64 v[10:11], v[19:20], v[15:16], -v[10:11]
	s_delay_alu instid0(VALU_DEP_2) | instskip(NEXT) | instid1(VALU_DEP_2)
	v_fma_f64 v[15:16], v[21:22], v[15:16], v[17:18]
	v_add_f64 v[3:4], v[3:4], v[10:11]
	s_delay_alu instid0(VALU_DEP_2)
	v_add_f64 v[1:2], v[1:2], v[15:16]
	s_and_not1_b32 exec_lo, exec_lo, s3
	s_cbranch_execnz .LBB110_73
; %bb.74:
	s_or_b32 exec_lo, exec_lo, s3
	v_mov_b32_e32 v7, 0
	ds_load_b128 v[7:10], v7 offset:240
	s_waitcnt lgkmcnt(0)
	v_mul_f64 v[11:12], v[1:2], v[9:10]
	v_mul_f64 v[15:16], v[3:4], v[9:10]
	s_delay_alu instid0(VALU_DEP_2) | instskip(NEXT) | instid1(VALU_DEP_2)
	v_fma_f64 v[9:10], v[3:4], v[7:8], -v[11:12]
	v_fma_f64 v[11:12], v[1:2], v[7:8], v[15:16]
	scratch_store_b128 off, v[9:12], off offset:240
.LBB110_75:
	s_or_b32 exec_lo, exec_lo, s2
	s_waitcnt_vscnt null, 0x0
	s_barrier
	buffer_gl0_inv
	scratch_load_b128 v[1:4], v171, off
	s_mov_b32 s2, exec_lo
	s_waitcnt vmcnt(0)
	ds_store_b128 v5, v[1:4]
	s_waitcnt lgkmcnt(0)
	s_barrier
	buffer_gl0_inv
	v_cmpx_gt_u32_e32 16, v140
	s_cbranch_execz .LBB110_79
; %bb.76:
	v_dual_mov_b32 v1, 0 :: v_dual_add_nc_u32 v8, 0x2f0, v13
	v_dual_mov_b32 v2, 0 :: v_dual_add_nc_u32 v7, -1, v140
	v_or_b32_e32 v9, 8, v14
	s_mov_b32 s3, 0
	s_delay_alu instid0(VALU_DEP_2)
	v_dual_mov_b32 v4, v2 :: v_dual_mov_b32 v3, v1
	.p2align	6
.LBB110_77:                             ; =>This Inner Loop Header: Depth=1
	scratch_load_b128 v[15:18], v9, off offset:-8
	ds_load_b128 v[19:22], v8
	v_add_nc_u32_e32 v7, 1, v7
	v_add_nc_u32_e32 v8, 16, v8
	;; [unrolled: 1-line block ×3, first 2 shown]
	s_delay_alu instid0(VALU_DEP_3) | instskip(SKIP_4) | instid1(VALU_DEP_2)
	v_cmp_lt_u32_e32 vcc_lo, 14, v7
	s_or_b32 s3, vcc_lo, s3
	s_waitcnt vmcnt(0) lgkmcnt(0)
	v_mul_f64 v[10:11], v[21:22], v[17:18]
	v_mul_f64 v[17:18], v[19:20], v[17:18]
	v_fma_f64 v[10:11], v[19:20], v[15:16], -v[10:11]
	s_delay_alu instid0(VALU_DEP_2) | instskip(NEXT) | instid1(VALU_DEP_2)
	v_fma_f64 v[15:16], v[21:22], v[15:16], v[17:18]
	v_add_f64 v[3:4], v[3:4], v[10:11]
	s_delay_alu instid0(VALU_DEP_2)
	v_add_f64 v[1:2], v[1:2], v[15:16]
	s_and_not1_b32 exec_lo, exec_lo, s3
	s_cbranch_execnz .LBB110_77
; %bb.78:
	s_or_b32 exec_lo, exec_lo, s3
	v_mov_b32_e32 v7, 0
	ds_load_b128 v[7:10], v7 offset:256
	s_waitcnt lgkmcnt(0)
	v_mul_f64 v[11:12], v[1:2], v[9:10]
	v_mul_f64 v[15:16], v[3:4], v[9:10]
	s_delay_alu instid0(VALU_DEP_2) | instskip(NEXT) | instid1(VALU_DEP_2)
	v_fma_f64 v[9:10], v[3:4], v[7:8], -v[11:12]
	v_fma_f64 v[11:12], v[1:2], v[7:8], v[15:16]
	scratch_store_b128 off, v[9:12], off offset:256
.LBB110_79:
	s_or_b32 exec_lo, exec_lo, s2
	s_waitcnt_vscnt null, 0x0
	s_barrier
	buffer_gl0_inv
	scratch_load_b128 v[1:4], v170, off
	s_mov_b32 s2, exec_lo
	s_waitcnt vmcnt(0)
	ds_store_b128 v5, v[1:4]
	s_waitcnt lgkmcnt(0)
	s_barrier
	buffer_gl0_inv
	v_cmpx_gt_u32_e32 17, v140
	s_cbranch_execz .LBB110_83
; %bb.80:
	v_dual_mov_b32 v1, 0 :: v_dual_add_nc_u32 v8, 0x2f0, v13
	v_dual_mov_b32 v2, 0 :: v_dual_add_nc_u32 v7, -1, v140
	v_or_b32_e32 v9, 8, v14
	s_mov_b32 s3, 0
	s_delay_alu instid0(VALU_DEP_2)
	v_dual_mov_b32 v4, v2 :: v_dual_mov_b32 v3, v1
	.p2align	6
.LBB110_81:                             ; =>This Inner Loop Header: Depth=1
	scratch_load_b128 v[15:18], v9, off offset:-8
	ds_load_b128 v[19:22], v8
	v_add_nc_u32_e32 v7, 1, v7
	v_add_nc_u32_e32 v8, 16, v8
	;; [unrolled: 1-line block ×3, first 2 shown]
	s_delay_alu instid0(VALU_DEP_3) | instskip(SKIP_4) | instid1(VALU_DEP_2)
	v_cmp_lt_u32_e32 vcc_lo, 15, v7
	s_or_b32 s3, vcc_lo, s3
	s_waitcnt vmcnt(0) lgkmcnt(0)
	v_mul_f64 v[10:11], v[21:22], v[17:18]
	v_mul_f64 v[17:18], v[19:20], v[17:18]
	v_fma_f64 v[10:11], v[19:20], v[15:16], -v[10:11]
	s_delay_alu instid0(VALU_DEP_2) | instskip(NEXT) | instid1(VALU_DEP_2)
	v_fma_f64 v[15:16], v[21:22], v[15:16], v[17:18]
	v_add_f64 v[3:4], v[3:4], v[10:11]
	s_delay_alu instid0(VALU_DEP_2)
	v_add_f64 v[1:2], v[1:2], v[15:16]
	s_and_not1_b32 exec_lo, exec_lo, s3
	s_cbranch_execnz .LBB110_81
; %bb.82:
	s_or_b32 exec_lo, exec_lo, s3
	v_mov_b32_e32 v7, 0
	ds_load_b128 v[7:10], v7 offset:272
	s_waitcnt lgkmcnt(0)
	v_mul_f64 v[11:12], v[1:2], v[9:10]
	v_mul_f64 v[15:16], v[3:4], v[9:10]
	s_delay_alu instid0(VALU_DEP_2) | instskip(NEXT) | instid1(VALU_DEP_2)
	v_fma_f64 v[9:10], v[3:4], v[7:8], -v[11:12]
	v_fma_f64 v[11:12], v[1:2], v[7:8], v[15:16]
	scratch_store_b128 off, v[9:12], off offset:272
.LBB110_83:
	s_or_b32 exec_lo, exec_lo, s2
	s_waitcnt_vscnt null, 0x0
	s_barrier
	buffer_gl0_inv
	scratch_load_b128 v[1:4], v169, off
	s_mov_b32 s2, exec_lo
	s_waitcnt vmcnt(0)
	ds_store_b128 v5, v[1:4]
	s_waitcnt lgkmcnt(0)
	s_barrier
	buffer_gl0_inv
	v_cmpx_gt_u32_e32 18, v140
	s_cbranch_execz .LBB110_87
; %bb.84:
	v_dual_mov_b32 v1, 0 :: v_dual_add_nc_u32 v8, 0x2f0, v13
	v_dual_mov_b32 v2, 0 :: v_dual_add_nc_u32 v7, -1, v140
	v_or_b32_e32 v9, 8, v14
	s_mov_b32 s3, 0
	s_delay_alu instid0(VALU_DEP_2)
	v_dual_mov_b32 v4, v2 :: v_dual_mov_b32 v3, v1
	.p2align	6
.LBB110_85:                             ; =>This Inner Loop Header: Depth=1
	scratch_load_b128 v[15:18], v9, off offset:-8
	ds_load_b128 v[19:22], v8
	v_add_nc_u32_e32 v7, 1, v7
	v_add_nc_u32_e32 v8, 16, v8
	v_add_nc_u32_e32 v9, 16, v9
	s_delay_alu instid0(VALU_DEP_3) | instskip(SKIP_4) | instid1(VALU_DEP_2)
	v_cmp_lt_u32_e32 vcc_lo, 16, v7
	s_or_b32 s3, vcc_lo, s3
	s_waitcnt vmcnt(0) lgkmcnt(0)
	v_mul_f64 v[10:11], v[21:22], v[17:18]
	v_mul_f64 v[17:18], v[19:20], v[17:18]
	v_fma_f64 v[10:11], v[19:20], v[15:16], -v[10:11]
	s_delay_alu instid0(VALU_DEP_2) | instskip(NEXT) | instid1(VALU_DEP_2)
	v_fma_f64 v[15:16], v[21:22], v[15:16], v[17:18]
	v_add_f64 v[3:4], v[3:4], v[10:11]
	s_delay_alu instid0(VALU_DEP_2)
	v_add_f64 v[1:2], v[1:2], v[15:16]
	s_and_not1_b32 exec_lo, exec_lo, s3
	s_cbranch_execnz .LBB110_85
; %bb.86:
	s_or_b32 exec_lo, exec_lo, s3
	v_mov_b32_e32 v7, 0
	ds_load_b128 v[7:10], v7 offset:288
	s_waitcnt lgkmcnt(0)
	v_mul_f64 v[11:12], v[1:2], v[9:10]
	v_mul_f64 v[15:16], v[3:4], v[9:10]
	s_delay_alu instid0(VALU_DEP_2) | instskip(NEXT) | instid1(VALU_DEP_2)
	v_fma_f64 v[9:10], v[3:4], v[7:8], -v[11:12]
	v_fma_f64 v[11:12], v[1:2], v[7:8], v[15:16]
	scratch_store_b128 off, v[9:12], off offset:288
.LBB110_87:
	s_or_b32 exec_lo, exec_lo, s2
	s_waitcnt_vscnt null, 0x0
	s_barrier
	buffer_gl0_inv
	scratch_load_b128 v[1:4], v168, off
	s_mov_b32 s2, exec_lo
	s_waitcnt vmcnt(0)
	ds_store_b128 v5, v[1:4]
	s_waitcnt lgkmcnt(0)
	s_barrier
	buffer_gl0_inv
	v_cmpx_gt_u32_e32 19, v140
	s_cbranch_execz .LBB110_91
; %bb.88:
	v_dual_mov_b32 v1, 0 :: v_dual_add_nc_u32 v8, 0x2f0, v13
	v_dual_mov_b32 v2, 0 :: v_dual_add_nc_u32 v7, -1, v140
	v_or_b32_e32 v9, 8, v14
	s_mov_b32 s3, 0
	s_delay_alu instid0(VALU_DEP_2)
	v_dual_mov_b32 v4, v2 :: v_dual_mov_b32 v3, v1
	.p2align	6
.LBB110_89:                             ; =>This Inner Loop Header: Depth=1
	scratch_load_b128 v[15:18], v9, off offset:-8
	ds_load_b128 v[19:22], v8
	v_add_nc_u32_e32 v7, 1, v7
	v_add_nc_u32_e32 v8, 16, v8
	;; [unrolled: 1-line block ×3, first 2 shown]
	s_delay_alu instid0(VALU_DEP_3) | instskip(SKIP_4) | instid1(VALU_DEP_2)
	v_cmp_lt_u32_e32 vcc_lo, 17, v7
	s_or_b32 s3, vcc_lo, s3
	s_waitcnt vmcnt(0) lgkmcnt(0)
	v_mul_f64 v[10:11], v[21:22], v[17:18]
	v_mul_f64 v[17:18], v[19:20], v[17:18]
	v_fma_f64 v[10:11], v[19:20], v[15:16], -v[10:11]
	s_delay_alu instid0(VALU_DEP_2) | instskip(NEXT) | instid1(VALU_DEP_2)
	v_fma_f64 v[15:16], v[21:22], v[15:16], v[17:18]
	v_add_f64 v[3:4], v[3:4], v[10:11]
	s_delay_alu instid0(VALU_DEP_2)
	v_add_f64 v[1:2], v[1:2], v[15:16]
	s_and_not1_b32 exec_lo, exec_lo, s3
	s_cbranch_execnz .LBB110_89
; %bb.90:
	s_or_b32 exec_lo, exec_lo, s3
	v_mov_b32_e32 v7, 0
	ds_load_b128 v[7:10], v7 offset:304
	s_waitcnt lgkmcnt(0)
	v_mul_f64 v[11:12], v[1:2], v[9:10]
	v_mul_f64 v[15:16], v[3:4], v[9:10]
	s_delay_alu instid0(VALU_DEP_2) | instskip(NEXT) | instid1(VALU_DEP_2)
	v_fma_f64 v[9:10], v[3:4], v[7:8], -v[11:12]
	v_fma_f64 v[11:12], v[1:2], v[7:8], v[15:16]
	scratch_store_b128 off, v[9:12], off offset:304
.LBB110_91:
	s_or_b32 exec_lo, exec_lo, s2
	s_waitcnt_vscnt null, 0x0
	s_barrier
	buffer_gl0_inv
	scratch_load_b128 v[1:4], v167, off
	s_mov_b32 s2, exec_lo
	s_waitcnt vmcnt(0)
	ds_store_b128 v5, v[1:4]
	s_waitcnt lgkmcnt(0)
	s_barrier
	buffer_gl0_inv
	v_cmpx_gt_u32_e32 20, v140
	s_cbranch_execz .LBB110_95
; %bb.92:
	v_dual_mov_b32 v1, 0 :: v_dual_add_nc_u32 v8, 0x2f0, v13
	v_dual_mov_b32 v2, 0 :: v_dual_add_nc_u32 v7, -1, v140
	v_or_b32_e32 v9, 8, v14
	s_mov_b32 s3, 0
	s_delay_alu instid0(VALU_DEP_2)
	v_dual_mov_b32 v4, v2 :: v_dual_mov_b32 v3, v1
	.p2align	6
.LBB110_93:                             ; =>This Inner Loop Header: Depth=1
	scratch_load_b128 v[15:18], v9, off offset:-8
	ds_load_b128 v[19:22], v8
	v_add_nc_u32_e32 v7, 1, v7
	v_add_nc_u32_e32 v8, 16, v8
	;; [unrolled: 1-line block ×3, first 2 shown]
	s_delay_alu instid0(VALU_DEP_3) | instskip(SKIP_4) | instid1(VALU_DEP_2)
	v_cmp_lt_u32_e32 vcc_lo, 18, v7
	s_or_b32 s3, vcc_lo, s3
	s_waitcnt vmcnt(0) lgkmcnt(0)
	v_mul_f64 v[10:11], v[21:22], v[17:18]
	v_mul_f64 v[17:18], v[19:20], v[17:18]
	v_fma_f64 v[10:11], v[19:20], v[15:16], -v[10:11]
	s_delay_alu instid0(VALU_DEP_2) | instskip(NEXT) | instid1(VALU_DEP_2)
	v_fma_f64 v[15:16], v[21:22], v[15:16], v[17:18]
	v_add_f64 v[3:4], v[3:4], v[10:11]
	s_delay_alu instid0(VALU_DEP_2)
	v_add_f64 v[1:2], v[1:2], v[15:16]
	s_and_not1_b32 exec_lo, exec_lo, s3
	s_cbranch_execnz .LBB110_93
; %bb.94:
	s_or_b32 exec_lo, exec_lo, s3
	v_mov_b32_e32 v7, 0
	ds_load_b128 v[7:10], v7 offset:320
	s_waitcnt lgkmcnt(0)
	v_mul_f64 v[11:12], v[1:2], v[9:10]
	v_mul_f64 v[15:16], v[3:4], v[9:10]
	s_delay_alu instid0(VALU_DEP_2) | instskip(NEXT) | instid1(VALU_DEP_2)
	v_fma_f64 v[9:10], v[3:4], v[7:8], -v[11:12]
	v_fma_f64 v[11:12], v[1:2], v[7:8], v[15:16]
	scratch_store_b128 off, v[9:12], off offset:320
.LBB110_95:
	s_or_b32 exec_lo, exec_lo, s2
	s_waitcnt_vscnt null, 0x0
	s_barrier
	buffer_gl0_inv
	scratch_load_b128 v[1:4], v166, off
	s_mov_b32 s2, exec_lo
	s_waitcnt vmcnt(0)
	ds_store_b128 v5, v[1:4]
	s_waitcnt lgkmcnt(0)
	s_barrier
	buffer_gl0_inv
	v_cmpx_gt_u32_e32 21, v140
	s_cbranch_execz .LBB110_99
; %bb.96:
	v_dual_mov_b32 v1, 0 :: v_dual_add_nc_u32 v8, 0x2f0, v13
	v_dual_mov_b32 v2, 0 :: v_dual_add_nc_u32 v7, -1, v140
	v_or_b32_e32 v9, 8, v14
	s_mov_b32 s3, 0
	s_delay_alu instid0(VALU_DEP_2)
	v_dual_mov_b32 v4, v2 :: v_dual_mov_b32 v3, v1
	.p2align	6
.LBB110_97:                             ; =>This Inner Loop Header: Depth=1
	scratch_load_b128 v[15:18], v9, off offset:-8
	ds_load_b128 v[19:22], v8
	v_add_nc_u32_e32 v7, 1, v7
	v_add_nc_u32_e32 v8, 16, v8
	;; [unrolled: 1-line block ×3, first 2 shown]
	s_delay_alu instid0(VALU_DEP_3) | instskip(SKIP_4) | instid1(VALU_DEP_2)
	v_cmp_lt_u32_e32 vcc_lo, 19, v7
	s_or_b32 s3, vcc_lo, s3
	s_waitcnt vmcnt(0) lgkmcnt(0)
	v_mul_f64 v[10:11], v[21:22], v[17:18]
	v_mul_f64 v[17:18], v[19:20], v[17:18]
	v_fma_f64 v[10:11], v[19:20], v[15:16], -v[10:11]
	s_delay_alu instid0(VALU_DEP_2) | instskip(NEXT) | instid1(VALU_DEP_2)
	v_fma_f64 v[15:16], v[21:22], v[15:16], v[17:18]
	v_add_f64 v[3:4], v[3:4], v[10:11]
	s_delay_alu instid0(VALU_DEP_2)
	v_add_f64 v[1:2], v[1:2], v[15:16]
	s_and_not1_b32 exec_lo, exec_lo, s3
	s_cbranch_execnz .LBB110_97
; %bb.98:
	s_or_b32 exec_lo, exec_lo, s3
	v_mov_b32_e32 v7, 0
	ds_load_b128 v[7:10], v7 offset:336
	s_waitcnt lgkmcnt(0)
	v_mul_f64 v[11:12], v[1:2], v[9:10]
	v_mul_f64 v[15:16], v[3:4], v[9:10]
	s_delay_alu instid0(VALU_DEP_2) | instskip(NEXT) | instid1(VALU_DEP_2)
	v_fma_f64 v[9:10], v[3:4], v[7:8], -v[11:12]
	v_fma_f64 v[11:12], v[1:2], v[7:8], v[15:16]
	scratch_store_b128 off, v[9:12], off offset:336
.LBB110_99:
	s_or_b32 exec_lo, exec_lo, s2
	s_waitcnt_vscnt null, 0x0
	s_barrier
	buffer_gl0_inv
	scratch_load_b128 v[1:4], v165, off
	s_mov_b32 s2, exec_lo
	s_waitcnt vmcnt(0)
	ds_store_b128 v5, v[1:4]
	s_waitcnt lgkmcnt(0)
	s_barrier
	buffer_gl0_inv
	v_cmpx_gt_u32_e32 22, v140
	s_cbranch_execz .LBB110_103
; %bb.100:
	v_dual_mov_b32 v1, 0 :: v_dual_add_nc_u32 v8, 0x2f0, v13
	v_dual_mov_b32 v2, 0 :: v_dual_add_nc_u32 v7, -1, v140
	v_or_b32_e32 v9, 8, v14
	s_mov_b32 s3, 0
	s_delay_alu instid0(VALU_DEP_2)
	v_dual_mov_b32 v4, v2 :: v_dual_mov_b32 v3, v1
	.p2align	6
.LBB110_101:                            ; =>This Inner Loop Header: Depth=1
	scratch_load_b128 v[15:18], v9, off offset:-8
	ds_load_b128 v[19:22], v8
	v_add_nc_u32_e32 v7, 1, v7
	v_add_nc_u32_e32 v8, 16, v8
	;; [unrolled: 1-line block ×3, first 2 shown]
	s_delay_alu instid0(VALU_DEP_3) | instskip(SKIP_4) | instid1(VALU_DEP_2)
	v_cmp_lt_u32_e32 vcc_lo, 20, v7
	s_or_b32 s3, vcc_lo, s3
	s_waitcnt vmcnt(0) lgkmcnt(0)
	v_mul_f64 v[10:11], v[21:22], v[17:18]
	v_mul_f64 v[17:18], v[19:20], v[17:18]
	v_fma_f64 v[10:11], v[19:20], v[15:16], -v[10:11]
	s_delay_alu instid0(VALU_DEP_2) | instskip(NEXT) | instid1(VALU_DEP_2)
	v_fma_f64 v[15:16], v[21:22], v[15:16], v[17:18]
	v_add_f64 v[3:4], v[3:4], v[10:11]
	s_delay_alu instid0(VALU_DEP_2)
	v_add_f64 v[1:2], v[1:2], v[15:16]
	s_and_not1_b32 exec_lo, exec_lo, s3
	s_cbranch_execnz .LBB110_101
; %bb.102:
	s_or_b32 exec_lo, exec_lo, s3
	v_mov_b32_e32 v7, 0
	ds_load_b128 v[7:10], v7 offset:352
	s_waitcnt lgkmcnt(0)
	v_mul_f64 v[11:12], v[1:2], v[9:10]
	v_mul_f64 v[15:16], v[3:4], v[9:10]
	s_delay_alu instid0(VALU_DEP_2) | instskip(NEXT) | instid1(VALU_DEP_2)
	v_fma_f64 v[9:10], v[3:4], v[7:8], -v[11:12]
	v_fma_f64 v[11:12], v[1:2], v[7:8], v[15:16]
	scratch_store_b128 off, v[9:12], off offset:352
.LBB110_103:
	s_or_b32 exec_lo, exec_lo, s2
	s_waitcnt_vscnt null, 0x0
	s_barrier
	buffer_gl0_inv
	scratch_load_b128 v[1:4], v163, off
	s_mov_b32 s2, exec_lo
	s_waitcnt vmcnt(0)
	ds_store_b128 v5, v[1:4]
	s_waitcnt lgkmcnt(0)
	s_barrier
	buffer_gl0_inv
	v_cmpx_gt_u32_e32 23, v140
	s_cbranch_execz .LBB110_107
; %bb.104:
	v_dual_mov_b32 v1, 0 :: v_dual_add_nc_u32 v8, 0x2f0, v13
	v_dual_mov_b32 v2, 0 :: v_dual_add_nc_u32 v7, -1, v140
	v_or_b32_e32 v9, 8, v14
	s_mov_b32 s3, 0
	s_delay_alu instid0(VALU_DEP_2)
	v_dual_mov_b32 v4, v2 :: v_dual_mov_b32 v3, v1
	.p2align	6
.LBB110_105:                            ; =>This Inner Loop Header: Depth=1
	scratch_load_b128 v[15:18], v9, off offset:-8
	ds_load_b128 v[19:22], v8
	v_add_nc_u32_e32 v7, 1, v7
	v_add_nc_u32_e32 v8, 16, v8
	;; [unrolled: 1-line block ×3, first 2 shown]
	s_delay_alu instid0(VALU_DEP_3) | instskip(SKIP_4) | instid1(VALU_DEP_2)
	v_cmp_lt_u32_e32 vcc_lo, 21, v7
	s_or_b32 s3, vcc_lo, s3
	s_waitcnt vmcnt(0) lgkmcnt(0)
	v_mul_f64 v[10:11], v[21:22], v[17:18]
	v_mul_f64 v[17:18], v[19:20], v[17:18]
	v_fma_f64 v[10:11], v[19:20], v[15:16], -v[10:11]
	s_delay_alu instid0(VALU_DEP_2) | instskip(NEXT) | instid1(VALU_DEP_2)
	v_fma_f64 v[15:16], v[21:22], v[15:16], v[17:18]
	v_add_f64 v[3:4], v[3:4], v[10:11]
	s_delay_alu instid0(VALU_DEP_2)
	v_add_f64 v[1:2], v[1:2], v[15:16]
	s_and_not1_b32 exec_lo, exec_lo, s3
	s_cbranch_execnz .LBB110_105
; %bb.106:
	s_or_b32 exec_lo, exec_lo, s3
	v_mov_b32_e32 v7, 0
	ds_load_b128 v[7:10], v7 offset:368
	s_waitcnt lgkmcnt(0)
	v_mul_f64 v[11:12], v[1:2], v[9:10]
	v_mul_f64 v[15:16], v[3:4], v[9:10]
	s_delay_alu instid0(VALU_DEP_2) | instskip(NEXT) | instid1(VALU_DEP_2)
	v_fma_f64 v[9:10], v[3:4], v[7:8], -v[11:12]
	v_fma_f64 v[11:12], v[1:2], v[7:8], v[15:16]
	scratch_store_b128 off, v[9:12], off offset:368
.LBB110_107:
	s_or_b32 exec_lo, exec_lo, s2
	s_waitcnt_vscnt null, 0x0
	s_barrier
	buffer_gl0_inv
	scratch_load_b128 v[1:4], v162, off
	s_mov_b32 s2, exec_lo
	s_waitcnt vmcnt(0)
	ds_store_b128 v5, v[1:4]
	s_waitcnt lgkmcnt(0)
	s_barrier
	buffer_gl0_inv
	v_cmpx_gt_u32_e32 24, v140
	s_cbranch_execz .LBB110_111
; %bb.108:
	v_dual_mov_b32 v1, 0 :: v_dual_add_nc_u32 v8, 0x2f0, v13
	v_dual_mov_b32 v2, 0 :: v_dual_add_nc_u32 v7, -1, v140
	v_or_b32_e32 v9, 8, v14
	s_mov_b32 s3, 0
	s_delay_alu instid0(VALU_DEP_2)
	v_dual_mov_b32 v4, v2 :: v_dual_mov_b32 v3, v1
	.p2align	6
.LBB110_109:                            ; =>This Inner Loop Header: Depth=1
	scratch_load_b128 v[15:18], v9, off offset:-8
	ds_load_b128 v[19:22], v8
	v_add_nc_u32_e32 v7, 1, v7
	v_add_nc_u32_e32 v8, 16, v8
	;; [unrolled: 1-line block ×3, first 2 shown]
	s_delay_alu instid0(VALU_DEP_3) | instskip(SKIP_4) | instid1(VALU_DEP_2)
	v_cmp_lt_u32_e32 vcc_lo, 22, v7
	s_or_b32 s3, vcc_lo, s3
	s_waitcnt vmcnt(0) lgkmcnt(0)
	v_mul_f64 v[10:11], v[21:22], v[17:18]
	v_mul_f64 v[17:18], v[19:20], v[17:18]
	v_fma_f64 v[10:11], v[19:20], v[15:16], -v[10:11]
	s_delay_alu instid0(VALU_DEP_2) | instskip(NEXT) | instid1(VALU_DEP_2)
	v_fma_f64 v[15:16], v[21:22], v[15:16], v[17:18]
	v_add_f64 v[3:4], v[3:4], v[10:11]
	s_delay_alu instid0(VALU_DEP_2)
	v_add_f64 v[1:2], v[1:2], v[15:16]
	s_and_not1_b32 exec_lo, exec_lo, s3
	s_cbranch_execnz .LBB110_109
; %bb.110:
	s_or_b32 exec_lo, exec_lo, s3
	v_mov_b32_e32 v7, 0
	ds_load_b128 v[7:10], v7 offset:384
	s_waitcnt lgkmcnt(0)
	v_mul_f64 v[11:12], v[1:2], v[9:10]
	v_mul_f64 v[15:16], v[3:4], v[9:10]
	s_delay_alu instid0(VALU_DEP_2) | instskip(NEXT) | instid1(VALU_DEP_2)
	v_fma_f64 v[9:10], v[3:4], v[7:8], -v[11:12]
	v_fma_f64 v[11:12], v[1:2], v[7:8], v[15:16]
	scratch_store_b128 off, v[9:12], off offset:384
.LBB110_111:
	s_or_b32 exec_lo, exec_lo, s2
	s_waitcnt_vscnt null, 0x0
	s_barrier
	buffer_gl0_inv
	scratch_load_b128 v[1:4], v160, off
	s_mov_b32 s2, exec_lo
	s_waitcnt vmcnt(0)
	ds_store_b128 v5, v[1:4]
	s_waitcnt lgkmcnt(0)
	s_barrier
	buffer_gl0_inv
	v_cmpx_gt_u32_e32 25, v140
	s_cbranch_execz .LBB110_115
; %bb.112:
	v_dual_mov_b32 v1, 0 :: v_dual_add_nc_u32 v8, 0x2f0, v13
	v_dual_mov_b32 v2, 0 :: v_dual_add_nc_u32 v7, -1, v140
	v_or_b32_e32 v9, 8, v14
	s_mov_b32 s3, 0
	s_delay_alu instid0(VALU_DEP_2)
	v_dual_mov_b32 v4, v2 :: v_dual_mov_b32 v3, v1
	.p2align	6
.LBB110_113:                            ; =>This Inner Loop Header: Depth=1
	scratch_load_b128 v[15:18], v9, off offset:-8
	ds_load_b128 v[19:22], v8
	v_add_nc_u32_e32 v7, 1, v7
	v_add_nc_u32_e32 v8, 16, v8
	;; [unrolled: 1-line block ×3, first 2 shown]
	s_delay_alu instid0(VALU_DEP_3) | instskip(SKIP_4) | instid1(VALU_DEP_2)
	v_cmp_lt_u32_e32 vcc_lo, 23, v7
	s_or_b32 s3, vcc_lo, s3
	s_waitcnt vmcnt(0) lgkmcnt(0)
	v_mul_f64 v[10:11], v[21:22], v[17:18]
	v_mul_f64 v[17:18], v[19:20], v[17:18]
	v_fma_f64 v[10:11], v[19:20], v[15:16], -v[10:11]
	s_delay_alu instid0(VALU_DEP_2) | instskip(NEXT) | instid1(VALU_DEP_2)
	v_fma_f64 v[15:16], v[21:22], v[15:16], v[17:18]
	v_add_f64 v[3:4], v[3:4], v[10:11]
	s_delay_alu instid0(VALU_DEP_2)
	v_add_f64 v[1:2], v[1:2], v[15:16]
	s_and_not1_b32 exec_lo, exec_lo, s3
	s_cbranch_execnz .LBB110_113
; %bb.114:
	s_or_b32 exec_lo, exec_lo, s3
	v_mov_b32_e32 v7, 0
	ds_load_b128 v[7:10], v7 offset:400
	s_waitcnt lgkmcnt(0)
	v_mul_f64 v[11:12], v[1:2], v[9:10]
	v_mul_f64 v[15:16], v[3:4], v[9:10]
	s_delay_alu instid0(VALU_DEP_2) | instskip(NEXT) | instid1(VALU_DEP_2)
	v_fma_f64 v[9:10], v[3:4], v[7:8], -v[11:12]
	v_fma_f64 v[11:12], v[1:2], v[7:8], v[15:16]
	scratch_store_b128 off, v[9:12], off offset:400
.LBB110_115:
	s_or_b32 exec_lo, exec_lo, s2
	s_waitcnt_vscnt null, 0x0
	s_barrier
	buffer_gl0_inv
	scratch_load_b128 v[1:4], v158, off
	s_mov_b32 s2, exec_lo
	s_waitcnt vmcnt(0)
	ds_store_b128 v5, v[1:4]
	s_waitcnt lgkmcnt(0)
	s_barrier
	buffer_gl0_inv
	v_cmpx_gt_u32_e32 26, v140
	s_cbranch_execz .LBB110_119
; %bb.116:
	v_dual_mov_b32 v1, 0 :: v_dual_add_nc_u32 v8, 0x2f0, v13
	v_dual_mov_b32 v2, 0 :: v_dual_add_nc_u32 v7, -1, v140
	v_or_b32_e32 v9, 8, v14
	s_mov_b32 s3, 0
	s_delay_alu instid0(VALU_DEP_2)
	v_dual_mov_b32 v4, v2 :: v_dual_mov_b32 v3, v1
	.p2align	6
.LBB110_117:                            ; =>This Inner Loop Header: Depth=1
	scratch_load_b128 v[15:18], v9, off offset:-8
	ds_load_b128 v[19:22], v8
	v_add_nc_u32_e32 v7, 1, v7
	v_add_nc_u32_e32 v8, 16, v8
	;; [unrolled: 1-line block ×3, first 2 shown]
	s_delay_alu instid0(VALU_DEP_3) | instskip(SKIP_4) | instid1(VALU_DEP_2)
	v_cmp_lt_u32_e32 vcc_lo, 24, v7
	s_or_b32 s3, vcc_lo, s3
	s_waitcnt vmcnt(0) lgkmcnt(0)
	v_mul_f64 v[10:11], v[21:22], v[17:18]
	v_mul_f64 v[17:18], v[19:20], v[17:18]
	v_fma_f64 v[10:11], v[19:20], v[15:16], -v[10:11]
	s_delay_alu instid0(VALU_DEP_2) | instskip(NEXT) | instid1(VALU_DEP_2)
	v_fma_f64 v[15:16], v[21:22], v[15:16], v[17:18]
	v_add_f64 v[3:4], v[3:4], v[10:11]
	s_delay_alu instid0(VALU_DEP_2)
	v_add_f64 v[1:2], v[1:2], v[15:16]
	s_and_not1_b32 exec_lo, exec_lo, s3
	s_cbranch_execnz .LBB110_117
; %bb.118:
	s_or_b32 exec_lo, exec_lo, s3
	v_mov_b32_e32 v7, 0
	ds_load_b128 v[7:10], v7 offset:416
	s_waitcnt lgkmcnt(0)
	v_mul_f64 v[11:12], v[1:2], v[9:10]
	v_mul_f64 v[15:16], v[3:4], v[9:10]
	s_delay_alu instid0(VALU_DEP_2) | instskip(NEXT) | instid1(VALU_DEP_2)
	v_fma_f64 v[9:10], v[3:4], v[7:8], -v[11:12]
	v_fma_f64 v[11:12], v[1:2], v[7:8], v[15:16]
	scratch_store_b128 off, v[9:12], off offset:416
.LBB110_119:
	s_or_b32 exec_lo, exec_lo, s2
	s_waitcnt_vscnt null, 0x0
	s_barrier
	buffer_gl0_inv
	scratch_load_b128 v[1:4], v156, off
	s_mov_b32 s2, exec_lo
	s_waitcnt vmcnt(0)
	ds_store_b128 v5, v[1:4]
	s_waitcnt lgkmcnt(0)
	s_barrier
	buffer_gl0_inv
	v_cmpx_gt_u32_e32 27, v140
	s_cbranch_execz .LBB110_123
; %bb.120:
	v_dual_mov_b32 v1, 0 :: v_dual_add_nc_u32 v8, 0x2f0, v13
	v_dual_mov_b32 v2, 0 :: v_dual_add_nc_u32 v7, -1, v140
	v_or_b32_e32 v9, 8, v14
	s_mov_b32 s3, 0
	s_delay_alu instid0(VALU_DEP_2)
	v_dual_mov_b32 v4, v2 :: v_dual_mov_b32 v3, v1
	.p2align	6
.LBB110_121:                            ; =>This Inner Loop Header: Depth=1
	scratch_load_b128 v[15:18], v9, off offset:-8
	ds_load_b128 v[19:22], v8
	v_add_nc_u32_e32 v7, 1, v7
	v_add_nc_u32_e32 v8, 16, v8
	;; [unrolled: 1-line block ×3, first 2 shown]
	s_delay_alu instid0(VALU_DEP_3) | instskip(SKIP_4) | instid1(VALU_DEP_2)
	v_cmp_lt_u32_e32 vcc_lo, 25, v7
	s_or_b32 s3, vcc_lo, s3
	s_waitcnt vmcnt(0) lgkmcnt(0)
	v_mul_f64 v[10:11], v[21:22], v[17:18]
	v_mul_f64 v[17:18], v[19:20], v[17:18]
	v_fma_f64 v[10:11], v[19:20], v[15:16], -v[10:11]
	s_delay_alu instid0(VALU_DEP_2) | instskip(NEXT) | instid1(VALU_DEP_2)
	v_fma_f64 v[15:16], v[21:22], v[15:16], v[17:18]
	v_add_f64 v[3:4], v[3:4], v[10:11]
	s_delay_alu instid0(VALU_DEP_2)
	v_add_f64 v[1:2], v[1:2], v[15:16]
	s_and_not1_b32 exec_lo, exec_lo, s3
	s_cbranch_execnz .LBB110_121
; %bb.122:
	s_or_b32 exec_lo, exec_lo, s3
	v_mov_b32_e32 v7, 0
	ds_load_b128 v[7:10], v7 offset:432
	s_waitcnt lgkmcnt(0)
	v_mul_f64 v[11:12], v[1:2], v[9:10]
	v_mul_f64 v[15:16], v[3:4], v[9:10]
	s_delay_alu instid0(VALU_DEP_2) | instskip(NEXT) | instid1(VALU_DEP_2)
	v_fma_f64 v[9:10], v[3:4], v[7:8], -v[11:12]
	v_fma_f64 v[11:12], v[1:2], v[7:8], v[15:16]
	scratch_store_b128 off, v[9:12], off offset:432
.LBB110_123:
	s_or_b32 exec_lo, exec_lo, s2
	s_waitcnt_vscnt null, 0x0
	s_barrier
	buffer_gl0_inv
	scratch_load_b128 v[1:4], v154, off
	s_mov_b32 s2, exec_lo
	s_waitcnt vmcnt(0)
	ds_store_b128 v5, v[1:4]
	s_waitcnt lgkmcnt(0)
	s_barrier
	buffer_gl0_inv
	v_cmpx_gt_u32_e32 28, v140
	s_cbranch_execz .LBB110_127
; %bb.124:
	v_dual_mov_b32 v1, 0 :: v_dual_add_nc_u32 v8, 0x2f0, v13
	v_dual_mov_b32 v2, 0 :: v_dual_add_nc_u32 v7, -1, v140
	v_or_b32_e32 v9, 8, v14
	s_mov_b32 s3, 0
	s_delay_alu instid0(VALU_DEP_2)
	v_dual_mov_b32 v4, v2 :: v_dual_mov_b32 v3, v1
	.p2align	6
.LBB110_125:                            ; =>This Inner Loop Header: Depth=1
	scratch_load_b128 v[15:18], v9, off offset:-8
	ds_load_b128 v[19:22], v8
	v_add_nc_u32_e32 v7, 1, v7
	v_add_nc_u32_e32 v8, 16, v8
	;; [unrolled: 1-line block ×3, first 2 shown]
	s_delay_alu instid0(VALU_DEP_3) | instskip(SKIP_4) | instid1(VALU_DEP_2)
	v_cmp_lt_u32_e32 vcc_lo, 26, v7
	s_or_b32 s3, vcc_lo, s3
	s_waitcnt vmcnt(0) lgkmcnt(0)
	v_mul_f64 v[10:11], v[21:22], v[17:18]
	v_mul_f64 v[17:18], v[19:20], v[17:18]
	v_fma_f64 v[10:11], v[19:20], v[15:16], -v[10:11]
	s_delay_alu instid0(VALU_DEP_2) | instskip(NEXT) | instid1(VALU_DEP_2)
	v_fma_f64 v[15:16], v[21:22], v[15:16], v[17:18]
	v_add_f64 v[3:4], v[3:4], v[10:11]
	s_delay_alu instid0(VALU_DEP_2)
	v_add_f64 v[1:2], v[1:2], v[15:16]
	s_and_not1_b32 exec_lo, exec_lo, s3
	s_cbranch_execnz .LBB110_125
; %bb.126:
	s_or_b32 exec_lo, exec_lo, s3
	v_mov_b32_e32 v7, 0
	ds_load_b128 v[7:10], v7 offset:448
	s_waitcnt lgkmcnt(0)
	v_mul_f64 v[11:12], v[1:2], v[9:10]
	v_mul_f64 v[15:16], v[3:4], v[9:10]
	s_delay_alu instid0(VALU_DEP_2) | instskip(NEXT) | instid1(VALU_DEP_2)
	v_fma_f64 v[9:10], v[3:4], v[7:8], -v[11:12]
	v_fma_f64 v[11:12], v[1:2], v[7:8], v[15:16]
	scratch_store_b128 off, v[9:12], off offset:448
.LBB110_127:
	s_or_b32 exec_lo, exec_lo, s2
	s_waitcnt_vscnt null, 0x0
	s_barrier
	buffer_gl0_inv
	scratch_load_b128 v[1:4], v153, off
	s_mov_b32 s2, exec_lo
	s_waitcnt vmcnt(0)
	ds_store_b128 v5, v[1:4]
	s_waitcnt lgkmcnt(0)
	s_barrier
	buffer_gl0_inv
	v_cmpx_gt_u32_e32 29, v140
	s_cbranch_execz .LBB110_131
; %bb.128:
	v_dual_mov_b32 v1, 0 :: v_dual_add_nc_u32 v8, 0x2f0, v13
	v_dual_mov_b32 v2, 0 :: v_dual_add_nc_u32 v7, -1, v140
	v_or_b32_e32 v9, 8, v14
	s_mov_b32 s3, 0
	s_delay_alu instid0(VALU_DEP_2)
	v_dual_mov_b32 v4, v2 :: v_dual_mov_b32 v3, v1
	.p2align	6
.LBB110_129:                            ; =>This Inner Loop Header: Depth=1
	scratch_load_b128 v[15:18], v9, off offset:-8
	ds_load_b128 v[19:22], v8
	v_add_nc_u32_e32 v7, 1, v7
	v_add_nc_u32_e32 v8, 16, v8
	;; [unrolled: 1-line block ×3, first 2 shown]
	s_delay_alu instid0(VALU_DEP_3) | instskip(SKIP_4) | instid1(VALU_DEP_2)
	v_cmp_lt_u32_e32 vcc_lo, 27, v7
	s_or_b32 s3, vcc_lo, s3
	s_waitcnt vmcnt(0) lgkmcnt(0)
	v_mul_f64 v[10:11], v[21:22], v[17:18]
	v_mul_f64 v[17:18], v[19:20], v[17:18]
	v_fma_f64 v[10:11], v[19:20], v[15:16], -v[10:11]
	s_delay_alu instid0(VALU_DEP_2) | instskip(NEXT) | instid1(VALU_DEP_2)
	v_fma_f64 v[15:16], v[21:22], v[15:16], v[17:18]
	v_add_f64 v[3:4], v[3:4], v[10:11]
	s_delay_alu instid0(VALU_DEP_2)
	v_add_f64 v[1:2], v[1:2], v[15:16]
	s_and_not1_b32 exec_lo, exec_lo, s3
	s_cbranch_execnz .LBB110_129
; %bb.130:
	s_or_b32 exec_lo, exec_lo, s3
	v_mov_b32_e32 v7, 0
	ds_load_b128 v[7:10], v7 offset:464
	s_waitcnt lgkmcnt(0)
	v_mul_f64 v[11:12], v[1:2], v[9:10]
	v_mul_f64 v[15:16], v[3:4], v[9:10]
	s_delay_alu instid0(VALU_DEP_2) | instskip(NEXT) | instid1(VALU_DEP_2)
	v_fma_f64 v[9:10], v[3:4], v[7:8], -v[11:12]
	v_fma_f64 v[11:12], v[1:2], v[7:8], v[15:16]
	scratch_store_b128 off, v[9:12], off offset:464
.LBB110_131:
	s_or_b32 exec_lo, exec_lo, s2
	s_waitcnt_vscnt null, 0x0
	s_barrier
	buffer_gl0_inv
	scratch_load_b128 v[1:4], v151, off
	s_mov_b32 s2, exec_lo
	s_waitcnt vmcnt(0)
	ds_store_b128 v5, v[1:4]
	s_waitcnt lgkmcnt(0)
	s_barrier
	buffer_gl0_inv
	v_cmpx_gt_u32_e32 30, v140
	s_cbranch_execz .LBB110_135
; %bb.132:
	v_dual_mov_b32 v1, 0 :: v_dual_add_nc_u32 v8, 0x2f0, v13
	v_dual_mov_b32 v2, 0 :: v_dual_add_nc_u32 v7, -1, v140
	v_or_b32_e32 v9, 8, v14
	s_mov_b32 s3, 0
	s_delay_alu instid0(VALU_DEP_2)
	v_dual_mov_b32 v4, v2 :: v_dual_mov_b32 v3, v1
	.p2align	6
.LBB110_133:                            ; =>This Inner Loop Header: Depth=1
	scratch_load_b128 v[15:18], v9, off offset:-8
	ds_load_b128 v[19:22], v8
	v_add_nc_u32_e32 v7, 1, v7
	v_add_nc_u32_e32 v8, 16, v8
	;; [unrolled: 1-line block ×3, first 2 shown]
	s_delay_alu instid0(VALU_DEP_3) | instskip(SKIP_4) | instid1(VALU_DEP_2)
	v_cmp_lt_u32_e32 vcc_lo, 28, v7
	s_or_b32 s3, vcc_lo, s3
	s_waitcnt vmcnt(0) lgkmcnt(0)
	v_mul_f64 v[10:11], v[21:22], v[17:18]
	v_mul_f64 v[17:18], v[19:20], v[17:18]
	v_fma_f64 v[10:11], v[19:20], v[15:16], -v[10:11]
	s_delay_alu instid0(VALU_DEP_2) | instskip(NEXT) | instid1(VALU_DEP_2)
	v_fma_f64 v[15:16], v[21:22], v[15:16], v[17:18]
	v_add_f64 v[3:4], v[3:4], v[10:11]
	s_delay_alu instid0(VALU_DEP_2)
	v_add_f64 v[1:2], v[1:2], v[15:16]
	s_and_not1_b32 exec_lo, exec_lo, s3
	s_cbranch_execnz .LBB110_133
; %bb.134:
	s_or_b32 exec_lo, exec_lo, s3
	v_mov_b32_e32 v7, 0
	ds_load_b128 v[7:10], v7 offset:480
	s_waitcnt lgkmcnt(0)
	v_mul_f64 v[11:12], v[1:2], v[9:10]
	v_mul_f64 v[15:16], v[3:4], v[9:10]
	s_delay_alu instid0(VALU_DEP_2) | instskip(NEXT) | instid1(VALU_DEP_2)
	v_fma_f64 v[9:10], v[3:4], v[7:8], -v[11:12]
	v_fma_f64 v[11:12], v[1:2], v[7:8], v[15:16]
	scratch_store_b128 off, v[9:12], off offset:480
.LBB110_135:
	s_or_b32 exec_lo, exec_lo, s2
	s_waitcnt_vscnt null, 0x0
	s_barrier
	buffer_gl0_inv
	scratch_load_b128 v[1:4], v149, off
	s_mov_b32 s2, exec_lo
	s_waitcnt vmcnt(0)
	ds_store_b128 v5, v[1:4]
	s_waitcnt lgkmcnt(0)
	s_barrier
	buffer_gl0_inv
	v_cmpx_gt_u32_e32 31, v140
	s_cbranch_execz .LBB110_139
; %bb.136:
	v_dual_mov_b32 v1, 0 :: v_dual_add_nc_u32 v8, 0x2f0, v13
	v_dual_mov_b32 v2, 0 :: v_dual_add_nc_u32 v7, -1, v140
	v_or_b32_e32 v9, 8, v14
	s_mov_b32 s3, 0
	s_delay_alu instid0(VALU_DEP_2)
	v_dual_mov_b32 v4, v2 :: v_dual_mov_b32 v3, v1
	.p2align	6
.LBB110_137:                            ; =>This Inner Loop Header: Depth=1
	scratch_load_b128 v[15:18], v9, off offset:-8
	ds_load_b128 v[19:22], v8
	v_add_nc_u32_e32 v7, 1, v7
	v_add_nc_u32_e32 v8, 16, v8
	;; [unrolled: 1-line block ×3, first 2 shown]
	s_delay_alu instid0(VALU_DEP_3) | instskip(SKIP_4) | instid1(VALU_DEP_2)
	v_cmp_lt_u32_e32 vcc_lo, 29, v7
	s_or_b32 s3, vcc_lo, s3
	s_waitcnt vmcnt(0) lgkmcnt(0)
	v_mul_f64 v[10:11], v[21:22], v[17:18]
	v_mul_f64 v[17:18], v[19:20], v[17:18]
	v_fma_f64 v[10:11], v[19:20], v[15:16], -v[10:11]
	s_delay_alu instid0(VALU_DEP_2) | instskip(NEXT) | instid1(VALU_DEP_2)
	v_fma_f64 v[15:16], v[21:22], v[15:16], v[17:18]
	v_add_f64 v[3:4], v[3:4], v[10:11]
	s_delay_alu instid0(VALU_DEP_2)
	v_add_f64 v[1:2], v[1:2], v[15:16]
	s_and_not1_b32 exec_lo, exec_lo, s3
	s_cbranch_execnz .LBB110_137
; %bb.138:
	s_or_b32 exec_lo, exec_lo, s3
	v_mov_b32_e32 v7, 0
	ds_load_b128 v[7:10], v7 offset:496
	s_waitcnt lgkmcnt(0)
	v_mul_f64 v[11:12], v[1:2], v[9:10]
	v_mul_f64 v[15:16], v[3:4], v[9:10]
	s_delay_alu instid0(VALU_DEP_2) | instskip(NEXT) | instid1(VALU_DEP_2)
	v_fma_f64 v[9:10], v[3:4], v[7:8], -v[11:12]
	v_fma_f64 v[11:12], v[1:2], v[7:8], v[15:16]
	scratch_store_b128 off, v[9:12], off offset:496
.LBB110_139:
	s_or_b32 exec_lo, exec_lo, s2
	s_waitcnt_vscnt null, 0x0
	s_barrier
	buffer_gl0_inv
	scratch_load_b128 v[1:4], v147, off
	s_mov_b32 s2, exec_lo
	s_waitcnt vmcnt(0)
	ds_store_b128 v5, v[1:4]
	s_waitcnt lgkmcnt(0)
	s_barrier
	buffer_gl0_inv
	v_cmpx_gt_u32_e32 32, v140
	s_cbranch_execz .LBB110_143
; %bb.140:
	v_dual_mov_b32 v1, 0 :: v_dual_add_nc_u32 v8, 0x2f0, v13
	v_dual_mov_b32 v2, 0 :: v_dual_add_nc_u32 v7, -1, v140
	v_or_b32_e32 v9, 8, v14
	s_mov_b32 s3, 0
	s_delay_alu instid0(VALU_DEP_2)
	v_dual_mov_b32 v4, v2 :: v_dual_mov_b32 v3, v1
	.p2align	6
.LBB110_141:                            ; =>This Inner Loop Header: Depth=1
	scratch_load_b128 v[15:18], v9, off offset:-8
	ds_load_b128 v[19:22], v8
	v_add_nc_u32_e32 v7, 1, v7
	v_add_nc_u32_e32 v8, 16, v8
	;; [unrolled: 1-line block ×3, first 2 shown]
	s_delay_alu instid0(VALU_DEP_3) | instskip(SKIP_4) | instid1(VALU_DEP_2)
	v_cmp_lt_u32_e32 vcc_lo, 30, v7
	s_or_b32 s3, vcc_lo, s3
	s_waitcnt vmcnt(0) lgkmcnt(0)
	v_mul_f64 v[10:11], v[21:22], v[17:18]
	v_mul_f64 v[17:18], v[19:20], v[17:18]
	v_fma_f64 v[10:11], v[19:20], v[15:16], -v[10:11]
	s_delay_alu instid0(VALU_DEP_2) | instskip(NEXT) | instid1(VALU_DEP_2)
	v_fma_f64 v[15:16], v[21:22], v[15:16], v[17:18]
	v_add_f64 v[3:4], v[3:4], v[10:11]
	s_delay_alu instid0(VALU_DEP_2)
	v_add_f64 v[1:2], v[1:2], v[15:16]
	s_and_not1_b32 exec_lo, exec_lo, s3
	s_cbranch_execnz .LBB110_141
; %bb.142:
	s_or_b32 exec_lo, exec_lo, s3
	v_mov_b32_e32 v7, 0
	ds_load_b128 v[7:10], v7 offset:512
	s_waitcnt lgkmcnt(0)
	v_mul_f64 v[11:12], v[1:2], v[9:10]
	v_mul_f64 v[15:16], v[3:4], v[9:10]
	s_delay_alu instid0(VALU_DEP_2) | instskip(NEXT) | instid1(VALU_DEP_2)
	v_fma_f64 v[9:10], v[3:4], v[7:8], -v[11:12]
	v_fma_f64 v[11:12], v[1:2], v[7:8], v[15:16]
	scratch_store_b128 off, v[9:12], off offset:512
.LBB110_143:
	s_or_b32 exec_lo, exec_lo, s2
	s_waitcnt_vscnt null, 0x0
	s_barrier
	buffer_gl0_inv
	scratch_load_b128 v[1:4], v145, off
	s_mov_b32 s2, exec_lo
	s_waitcnt vmcnt(0)
	ds_store_b128 v5, v[1:4]
	s_waitcnt lgkmcnt(0)
	s_barrier
	buffer_gl0_inv
	v_cmpx_gt_u32_e32 33, v140
	s_cbranch_execz .LBB110_147
; %bb.144:
	v_dual_mov_b32 v1, 0 :: v_dual_add_nc_u32 v8, 0x2f0, v13
	v_dual_mov_b32 v2, 0 :: v_dual_add_nc_u32 v7, -1, v140
	v_or_b32_e32 v9, 8, v14
	s_mov_b32 s3, 0
	s_delay_alu instid0(VALU_DEP_2)
	v_dual_mov_b32 v4, v2 :: v_dual_mov_b32 v3, v1
	.p2align	6
.LBB110_145:                            ; =>This Inner Loop Header: Depth=1
	scratch_load_b128 v[15:18], v9, off offset:-8
	ds_load_b128 v[19:22], v8
	v_add_nc_u32_e32 v7, 1, v7
	v_add_nc_u32_e32 v8, 16, v8
	;; [unrolled: 1-line block ×3, first 2 shown]
	s_delay_alu instid0(VALU_DEP_3) | instskip(SKIP_4) | instid1(VALU_DEP_2)
	v_cmp_lt_u32_e32 vcc_lo, 31, v7
	s_or_b32 s3, vcc_lo, s3
	s_waitcnt vmcnt(0) lgkmcnt(0)
	v_mul_f64 v[10:11], v[21:22], v[17:18]
	v_mul_f64 v[17:18], v[19:20], v[17:18]
	v_fma_f64 v[10:11], v[19:20], v[15:16], -v[10:11]
	s_delay_alu instid0(VALU_DEP_2) | instskip(NEXT) | instid1(VALU_DEP_2)
	v_fma_f64 v[15:16], v[21:22], v[15:16], v[17:18]
	v_add_f64 v[3:4], v[3:4], v[10:11]
	s_delay_alu instid0(VALU_DEP_2)
	v_add_f64 v[1:2], v[1:2], v[15:16]
	s_and_not1_b32 exec_lo, exec_lo, s3
	s_cbranch_execnz .LBB110_145
; %bb.146:
	s_or_b32 exec_lo, exec_lo, s3
	v_mov_b32_e32 v7, 0
	ds_load_b128 v[7:10], v7 offset:528
	s_waitcnt lgkmcnt(0)
	v_mul_f64 v[11:12], v[1:2], v[9:10]
	v_mul_f64 v[15:16], v[3:4], v[9:10]
	s_delay_alu instid0(VALU_DEP_2) | instskip(NEXT) | instid1(VALU_DEP_2)
	v_fma_f64 v[9:10], v[3:4], v[7:8], -v[11:12]
	v_fma_f64 v[11:12], v[1:2], v[7:8], v[15:16]
	scratch_store_b128 off, v[9:12], off offset:528
.LBB110_147:
	s_or_b32 exec_lo, exec_lo, s2
	s_waitcnt_vscnt null, 0x0
	s_barrier
	buffer_gl0_inv
	scratch_load_b128 v[1:4], v144, off
	s_mov_b32 s2, exec_lo
	s_waitcnt vmcnt(0)
	ds_store_b128 v5, v[1:4]
	s_waitcnt lgkmcnt(0)
	s_barrier
	buffer_gl0_inv
	v_cmpx_gt_u32_e32 34, v140
	s_cbranch_execz .LBB110_151
; %bb.148:
	v_dual_mov_b32 v1, 0 :: v_dual_add_nc_u32 v8, 0x2f0, v13
	v_dual_mov_b32 v2, 0 :: v_dual_add_nc_u32 v7, -1, v140
	v_or_b32_e32 v9, 8, v14
	s_mov_b32 s3, 0
	s_delay_alu instid0(VALU_DEP_2)
	v_dual_mov_b32 v4, v2 :: v_dual_mov_b32 v3, v1
	.p2align	6
.LBB110_149:                            ; =>This Inner Loop Header: Depth=1
	scratch_load_b128 v[15:18], v9, off offset:-8
	ds_load_b128 v[19:22], v8
	v_add_nc_u32_e32 v7, 1, v7
	v_add_nc_u32_e32 v8, 16, v8
	;; [unrolled: 1-line block ×3, first 2 shown]
	s_delay_alu instid0(VALU_DEP_3) | instskip(SKIP_4) | instid1(VALU_DEP_2)
	v_cmp_lt_u32_e32 vcc_lo, 32, v7
	s_or_b32 s3, vcc_lo, s3
	s_waitcnt vmcnt(0) lgkmcnt(0)
	v_mul_f64 v[10:11], v[21:22], v[17:18]
	v_mul_f64 v[17:18], v[19:20], v[17:18]
	v_fma_f64 v[10:11], v[19:20], v[15:16], -v[10:11]
	s_delay_alu instid0(VALU_DEP_2) | instskip(NEXT) | instid1(VALU_DEP_2)
	v_fma_f64 v[15:16], v[21:22], v[15:16], v[17:18]
	v_add_f64 v[3:4], v[3:4], v[10:11]
	s_delay_alu instid0(VALU_DEP_2)
	v_add_f64 v[1:2], v[1:2], v[15:16]
	s_and_not1_b32 exec_lo, exec_lo, s3
	s_cbranch_execnz .LBB110_149
; %bb.150:
	s_or_b32 exec_lo, exec_lo, s3
	v_mov_b32_e32 v7, 0
	ds_load_b128 v[7:10], v7 offset:544
	s_waitcnt lgkmcnt(0)
	v_mul_f64 v[11:12], v[1:2], v[9:10]
	v_mul_f64 v[15:16], v[3:4], v[9:10]
	s_delay_alu instid0(VALU_DEP_2) | instskip(NEXT) | instid1(VALU_DEP_2)
	v_fma_f64 v[9:10], v[3:4], v[7:8], -v[11:12]
	v_fma_f64 v[11:12], v[1:2], v[7:8], v[15:16]
	scratch_store_b128 off, v[9:12], off offset:544
.LBB110_151:
	s_or_b32 exec_lo, exec_lo, s2
	s_waitcnt_vscnt null, 0x0
	s_barrier
	buffer_gl0_inv
	scratch_load_b128 v[1:4], v141, off
	s_mov_b32 s2, exec_lo
	s_waitcnt vmcnt(0)
	ds_store_b128 v5, v[1:4]
	s_waitcnt lgkmcnt(0)
	s_barrier
	buffer_gl0_inv
	v_cmpx_gt_u32_e32 35, v140
	s_cbranch_execz .LBB110_155
; %bb.152:
	v_dual_mov_b32 v1, 0 :: v_dual_add_nc_u32 v8, 0x2f0, v13
	v_dual_mov_b32 v2, 0 :: v_dual_add_nc_u32 v7, -1, v140
	v_or_b32_e32 v9, 8, v14
	s_mov_b32 s3, 0
	s_delay_alu instid0(VALU_DEP_2)
	v_dual_mov_b32 v4, v2 :: v_dual_mov_b32 v3, v1
	.p2align	6
.LBB110_153:                            ; =>This Inner Loop Header: Depth=1
	scratch_load_b128 v[15:18], v9, off offset:-8
	ds_load_b128 v[19:22], v8
	v_add_nc_u32_e32 v7, 1, v7
	v_add_nc_u32_e32 v8, 16, v8
	v_add_nc_u32_e32 v9, 16, v9
	s_delay_alu instid0(VALU_DEP_3) | instskip(SKIP_4) | instid1(VALU_DEP_2)
	v_cmp_lt_u32_e32 vcc_lo, 33, v7
	s_or_b32 s3, vcc_lo, s3
	s_waitcnt vmcnt(0) lgkmcnt(0)
	v_mul_f64 v[10:11], v[21:22], v[17:18]
	v_mul_f64 v[17:18], v[19:20], v[17:18]
	v_fma_f64 v[10:11], v[19:20], v[15:16], -v[10:11]
	s_delay_alu instid0(VALU_DEP_2) | instskip(NEXT) | instid1(VALU_DEP_2)
	v_fma_f64 v[15:16], v[21:22], v[15:16], v[17:18]
	v_add_f64 v[3:4], v[3:4], v[10:11]
	s_delay_alu instid0(VALU_DEP_2)
	v_add_f64 v[1:2], v[1:2], v[15:16]
	s_and_not1_b32 exec_lo, exec_lo, s3
	s_cbranch_execnz .LBB110_153
; %bb.154:
	s_or_b32 exec_lo, exec_lo, s3
	v_mov_b32_e32 v7, 0
	ds_load_b128 v[7:10], v7 offset:560
	s_waitcnt lgkmcnt(0)
	v_mul_f64 v[11:12], v[1:2], v[9:10]
	v_mul_f64 v[15:16], v[3:4], v[9:10]
	s_delay_alu instid0(VALU_DEP_2) | instskip(NEXT) | instid1(VALU_DEP_2)
	v_fma_f64 v[9:10], v[3:4], v[7:8], -v[11:12]
	v_fma_f64 v[11:12], v[1:2], v[7:8], v[15:16]
	scratch_store_b128 off, v[9:12], off offset:560
.LBB110_155:
	s_or_b32 exec_lo, exec_lo, s2
	s_waitcnt_vscnt null, 0x0
	s_barrier
	buffer_gl0_inv
	scratch_load_b128 v[1:4], v164, off
	s_mov_b32 s2, exec_lo
	s_waitcnt vmcnt(0)
	ds_store_b128 v5, v[1:4]
	s_waitcnt lgkmcnt(0)
	s_barrier
	buffer_gl0_inv
	v_cmpx_gt_u32_e32 36, v140
	s_cbranch_execz .LBB110_159
; %bb.156:
	v_dual_mov_b32 v1, 0 :: v_dual_add_nc_u32 v8, 0x2f0, v13
	v_dual_mov_b32 v2, 0 :: v_dual_add_nc_u32 v7, -1, v140
	v_or_b32_e32 v9, 8, v14
	s_mov_b32 s3, 0
	s_delay_alu instid0(VALU_DEP_2)
	v_dual_mov_b32 v4, v2 :: v_dual_mov_b32 v3, v1
	.p2align	6
.LBB110_157:                            ; =>This Inner Loop Header: Depth=1
	scratch_load_b128 v[15:18], v9, off offset:-8
	ds_load_b128 v[19:22], v8
	v_add_nc_u32_e32 v7, 1, v7
	v_add_nc_u32_e32 v8, 16, v8
	;; [unrolled: 1-line block ×3, first 2 shown]
	s_delay_alu instid0(VALU_DEP_3) | instskip(SKIP_4) | instid1(VALU_DEP_2)
	v_cmp_lt_u32_e32 vcc_lo, 34, v7
	s_or_b32 s3, vcc_lo, s3
	s_waitcnt vmcnt(0) lgkmcnt(0)
	v_mul_f64 v[10:11], v[21:22], v[17:18]
	v_mul_f64 v[17:18], v[19:20], v[17:18]
	v_fma_f64 v[10:11], v[19:20], v[15:16], -v[10:11]
	s_delay_alu instid0(VALU_DEP_2) | instskip(NEXT) | instid1(VALU_DEP_2)
	v_fma_f64 v[15:16], v[21:22], v[15:16], v[17:18]
	v_add_f64 v[3:4], v[3:4], v[10:11]
	s_delay_alu instid0(VALU_DEP_2)
	v_add_f64 v[1:2], v[1:2], v[15:16]
	s_and_not1_b32 exec_lo, exec_lo, s3
	s_cbranch_execnz .LBB110_157
; %bb.158:
	s_or_b32 exec_lo, exec_lo, s3
	v_mov_b32_e32 v7, 0
	ds_load_b128 v[7:10], v7 offset:576
	s_waitcnt lgkmcnt(0)
	v_mul_f64 v[11:12], v[1:2], v[9:10]
	v_mul_f64 v[15:16], v[3:4], v[9:10]
	s_delay_alu instid0(VALU_DEP_2) | instskip(NEXT) | instid1(VALU_DEP_2)
	v_fma_f64 v[9:10], v[3:4], v[7:8], -v[11:12]
	v_fma_f64 v[11:12], v[1:2], v[7:8], v[15:16]
	scratch_store_b128 off, v[9:12], off offset:576
.LBB110_159:
	s_or_b32 exec_lo, exec_lo, s2
	s_waitcnt_vscnt null, 0x0
	s_barrier
	buffer_gl0_inv
	scratch_load_b128 v[1:4], v161, off
	s_mov_b32 s2, exec_lo
	s_waitcnt vmcnt(0)
	ds_store_b128 v5, v[1:4]
	s_waitcnt lgkmcnt(0)
	s_barrier
	buffer_gl0_inv
	v_cmpx_gt_u32_e32 37, v140
	s_cbranch_execz .LBB110_163
; %bb.160:
	v_dual_mov_b32 v1, 0 :: v_dual_add_nc_u32 v8, 0x2f0, v13
	v_dual_mov_b32 v2, 0 :: v_dual_add_nc_u32 v7, -1, v140
	v_or_b32_e32 v9, 8, v14
	s_mov_b32 s3, 0
	s_delay_alu instid0(VALU_DEP_2)
	v_dual_mov_b32 v4, v2 :: v_dual_mov_b32 v3, v1
	.p2align	6
.LBB110_161:                            ; =>This Inner Loop Header: Depth=1
	scratch_load_b128 v[15:18], v9, off offset:-8
	ds_load_b128 v[19:22], v8
	v_add_nc_u32_e32 v7, 1, v7
	v_add_nc_u32_e32 v8, 16, v8
	;; [unrolled: 1-line block ×3, first 2 shown]
	s_delay_alu instid0(VALU_DEP_3) | instskip(SKIP_4) | instid1(VALU_DEP_2)
	v_cmp_lt_u32_e32 vcc_lo, 35, v7
	s_or_b32 s3, vcc_lo, s3
	s_waitcnt vmcnt(0) lgkmcnt(0)
	v_mul_f64 v[10:11], v[21:22], v[17:18]
	v_mul_f64 v[17:18], v[19:20], v[17:18]
	v_fma_f64 v[10:11], v[19:20], v[15:16], -v[10:11]
	s_delay_alu instid0(VALU_DEP_2) | instskip(NEXT) | instid1(VALU_DEP_2)
	v_fma_f64 v[15:16], v[21:22], v[15:16], v[17:18]
	v_add_f64 v[3:4], v[3:4], v[10:11]
	s_delay_alu instid0(VALU_DEP_2)
	v_add_f64 v[1:2], v[1:2], v[15:16]
	s_and_not1_b32 exec_lo, exec_lo, s3
	s_cbranch_execnz .LBB110_161
; %bb.162:
	s_or_b32 exec_lo, exec_lo, s3
	v_mov_b32_e32 v7, 0
	ds_load_b128 v[7:10], v7 offset:592
	s_waitcnt lgkmcnt(0)
	v_mul_f64 v[11:12], v[1:2], v[9:10]
	v_mul_f64 v[15:16], v[3:4], v[9:10]
	s_delay_alu instid0(VALU_DEP_2) | instskip(NEXT) | instid1(VALU_DEP_2)
	v_fma_f64 v[9:10], v[3:4], v[7:8], -v[11:12]
	v_fma_f64 v[11:12], v[1:2], v[7:8], v[15:16]
	scratch_store_b128 off, v[9:12], off offset:592
.LBB110_163:
	s_or_b32 exec_lo, exec_lo, s2
	s_waitcnt_vscnt null, 0x0
	s_barrier
	buffer_gl0_inv
	scratch_load_b128 v[1:4], v159, off
	s_mov_b32 s2, exec_lo
	s_waitcnt vmcnt(0)
	ds_store_b128 v5, v[1:4]
	s_waitcnt lgkmcnt(0)
	s_barrier
	buffer_gl0_inv
	v_cmpx_gt_u32_e32 38, v140
	s_cbranch_execz .LBB110_167
; %bb.164:
	v_dual_mov_b32 v1, 0 :: v_dual_add_nc_u32 v8, 0x2f0, v13
	v_dual_mov_b32 v2, 0 :: v_dual_add_nc_u32 v7, -1, v140
	v_or_b32_e32 v9, 8, v14
	s_mov_b32 s3, 0
	s_delay_alu instid0(VALU_DEP_2)
	v_dual_mov_b32 v4, v2 :: v_dual_mov_b32 v3, v1
	.p2align	6
.LBB110_165:                            ; =>This Inner Loop Header: Depth=1
	scratch_load_b128 v[15:18], v9, off offset:-8
	ds_load_b128 v[19:22], v8
	v_add_nc_u32_e32 v7, 1, v7
	v_add_nc_u32_e32 v8, 16, v8
	;; [unrolled: 1-line block ×3, first 2 shown]
	s_delay_alu instid0(VALU_DEP_3) | instskip(SKIP_4) | instid1(VALU_DEP_2)
	v_cmp_lt_u32_e32 vcc_lo, 36, v7
	s_or_b32 s3, vcc_lo, s3
	s_waitcnt vmcnt(0) lgkmcnt(0)
	v_mul_f64 v[10:11], v[21:22], v[17:18]
	v_mul_f64 v[17:18], v[19:20], v[17:18]
	v_fma_f64 v[10:11], v[19:20], v[15:16], -v[10:11]
	s_delay_alu instid0(VALU_DEP_2) | instskip(NEXT) | instid1(VALU_DEP_2)
	v_fma_f64 v[15:16], v[21:22], v[15:16], v[17:18]
	v_add_f64 v[3:4], v[3:4], v[10:11]
	s_delay_alu instid0(VALU_DEP_2)
	v_add_f64 v[1:2], v[1:2], v[15:16]
	s_and_not1_b32 exec_lo, exec_lo, s3
	s_cbranch_execnz .LBB110_165
; %bb.166:
	s_or_b32 exec_lo, exec_lo, s3
	v_mov_b32_e32 v7, 0
	ds_load_b128 v[7:10], v7 offset:608
	s_waitcnt lgkmcnt(0)
	v_mul_f64 v[11:12], v[1:2], v[9:10]
	v_mul_f64 v[15:16], v[3:4], v[9:10]
	s_delay_alu instid0(VALU_DEP_2) | instskip(NEXT) | instid1(VALU_DEP_2)
	v_fma_f64 v[9:10], v[3:4], v[7:8], -v[11:12]
	v_fma_f64 v[11:12], v[1:2], v[7:8], v[15:16]
	scratch_store_b128 off, v[9:12], off offset:608
.LBB110_167:
	s_or_b32 exec_lo, exec_lo, s2
	s_waitcnt_vscnt null, 0x0
	s_barrier
	buffer_gl0_inv
	scratch_load_b128 v[1:4], v157, off
	s_mov_b32 s2, exec_lo
	s_waitcnt vmcnt(0)
	ds_store_b128 v5, v[1:4]
	s_waitcnt lgkmcnt(0)
	s_barrier
	buffer_gl0_inv
	v_cmpx_gt_u32_e32 39, v140
	s_cbranch_execz .LBB110_171
; %bb.168:
	v_dual_mov_b32 v1, 0 :: v_dual_add_nc_u32 v8, 0x2f0, v13
	v_dual_mov_b32 v2, 0 :: v_dual_add_nc_u32 v7, -1, v140
	v_or_b32_e32 v9, 8, v14
	s_mov_b32 s3, 0
	s_delay_alu instid0(VALU_DEP_2)
	v_dual_mov_b32 v4, v2 :: v_dual_mov_b32 v3, v1
	.p2align	6
.LBB110_169:                            ; =>This Inner Loop Header: Depth=1
	scratch_load_b128 v[15:18], v9, off offset:-8
	ds_load_b128 v[19:22], v8
	v_add_nc_u32_e32 v7, 1, v7
	v_add_nc_u32_e32 v8, 16, v8
	;; [unrolled: 1-line block ×3, first 2 shown]
	s_delay_alu instid0(VALU_DEP_3) | instskip(SKIP_4) | instid1(VALU_DEP_2)
	v_cmp_lt_u32_e32 vcc_lo, 37, v7
	s_or_b32 s3, vcc_lo, s3
	s_waitcnt vmcnt(0) lgkmcnt(0)
	v_mul_f64 v[10:11], v[21:22], v[17:18]
	v_mul_f64 v[17:18], v[19:20], v[17:18]
	v_fma_f64 v[10:11], v[19:20], v[15:16], -v[10:11]
	s_delay_alu instid0(VALU_DEP_2) | instskip(NEXT) | instid1(VALU_DEP_2)
	v_fma_f64 v[15:16], v[21:22], v[15:16], v[17:18]
	v_add_f64 v[3:4], v[3:4], v[10:11]
	s_delay_alu instid0(VALU_DEP_2)
	v_add_f64 v[1:2], v[1:2], v[15:16]
	s_and_not1_b32 exec_lo, exec_lo, s3
	s_cbranch_execnz .LBB110_169
; %bb.170:
	s_or_b32 exec_lo, exec_lo, s3
	v_mov_b32_e32 v7, 0
	ds_load_b128 v[7:10], v7 offset:624
	s_waitcnt lgkmcnt(0)
	v_mul_f64 v[11:12], v[1:2], v[9:10]
	v_mul_f64 v[15:16], v[3:4], v[9:10]
	s_delay_alu instid0(VALU_DEP_2) | instskip(NEXT) | instid1(VALU_DEP_2)
	v_fma_f64 v[9:10], v[3:4], v[7:8], -v[11:12]
	v_fma_f64 v[11:12], v[1:2], v[7:8], v[15:16]
	scratch_store_b128 off, v[9:12], off offset:624
.LBB110_171:
	s_or_b32 exec_lo, exec_lo, s2
	s_waitcnt_vscnt null, 0x0
	s_barrier
	buffer_gl0_inv
	scratch_load_b128 v[1:4], v155, off
	s_mov_b32 s2, exec_lo
	s_waitcnt vmcnt(0)
	ds_store_b128 v5, v[1:4]
	s_waitcnt lgkmcnt(0)
	s_barrier
	buffer_gl0_inv
	v_cmpx_gt_u32_e32 40, v140
	s_cbranch_execz .LBB110_175
; %bb.172:
	v_dual_mov_b32 v1, 0 :: v_dual_add_nc_u32 v8, 0x2f0, v13
	v_dual_mov_b32 v2, 0 :: v_dual_add_nc_u32 v7, -1, v140
	v_or_b32_e32 v9, 8, v14
	s_mov_b32 s3, 0
	s_delay_alu instid0(VALU_DEP_2)
	v_dual_mov_b32 v4, v2 :: v_dual_mov_b32 v3, v1
	.p2align	6
.LBB110_173:                            ; =>This Inner Loop Header: Depth=1
	scratch_load_b128 v[15:18], v9, off offset:-8
	ds_load_b128 v[19:22], v8
	v_add_nc_u32_e32 v7, 1, v7
	v_add_nc_u32_e32 v8, 16, v8
	;; [unrolled: 1-line block ×3, first 2 shown]
	s_delay_alu instid0(VALU_DEP_3) | instskip(SKIP_4) | instid1(VALU_DEP_2)
	v_cmp_lt_u32_e32 vcc_lo, 38, v7
	s_or_b32 s3, vcc_lo, s3
	s_waitcnt vmcnt(0) lgkmcnt(0)
	v_mul_f64 v[10:11], v[21:22], v[17:18]
	v_mul_f64 v[17:18], v[19:20], v[17:18]
	v_fma_f64 v[10:11], v[19:20], v[15:16], -v[10:11]
	s_delay_alu instid0(VALU_DEP_2) | instskip(NEXT) | instid1(VALU_DEP_2)
	v_fma_f64 v[15:16], v[21:22], v[15:16], v[17:18]
	v_add_f64 v[3:4], v[3:4], v[10:11]
	s_delay_alu instid0(VALU_DEP_2)
	v_add_f64 v[1:2], v[1:2], v[15:16]
	s_and_not1_b32 exec_lo, exec_lo, s3
	s_cbranch_execnz .LBB110_173
; %bb.174:
	s_or_b32 exec_lo, exec_lo, s3
	v_mov_b32_e32 v7, 0
	ds_load_b128 v[7:10], v7 offset:640
	s_waitcnt lgkmcnt(0)
	v_mul_f64 v[11:12], v[1:2], v[9:10]
	v_mul_f64 v[15:16], v[3:4], v[9:10]
	s_delay_alu instid0(VALU_DEP_2) | instskip(NEXT) | instid1(VALU_DEP_2)
	v_fma_f64 v[9:10], v[3:4], v[7:8], -v[11:12]
	v_fma_f64 v[11:12], v[1:2], v[7:8], v[15:16]
	scratch_store_b128 off, v[9:12], off offset:640
.LBB110_175:
	s_or_b32 exec_lo, exec_lo, s2
	s_waitcnt_vscnt null, 0x0
	s_barrier
	buffer_gl0_inv
	scratch_load_b128 v[1:4], v152, off
	s_mov_b32 s2, exec_lo
	s_waitcnt vmcnt(0)
	ds_store_b128 v5, v[1:4]
	s_waitcnt lgkmcnt(0)
	s_barrier
	buffer_gl0_inv
	v_cmpx_gt_u32_e32 41, v140
	s_cbranch_execz .LBB110_179
; %bb.176:
	v_dual_mov_b32 v1, 0 :: v_dual_add_nc_u32 v8, 0x2f0, v13
	v_dual_mov_b32 v2, 0 :: v_dual_add_nc_u32 v7, -1, v140
	v_or_b32_e32 v9, 8, v14
	s_mov_b32 s3, 0
	s_delay_alu instid0(VALU_DEP_2)
	v_dual_mov_b32 v4, v2 :: v_dual_mov_b32 v3, v1
	.p2align	6
.LBB110_177:                            ; =>This Inner Loop Header: Depth=1
	scratch_load_b128 v[15:18], v9, off offset:-8
	ds_load_b128 v[19:22], v8
	v_add_nc_u32_e32 v7, 1, v7
	v_add_nc_u32_e32 v8, 16, v8
	;; [unrolled: 1-line block ×3, first 2 shown]
	s_delay_alu instid0(VALU_DEP_3) | instskip(SKIP_4) | instid1(VALU_DEP_2)
	v_cmp_lt_u32_e32 vcc_lo, 39, v7
	s_or_b32 s3, vcc_lo, s3
	s_waitcnt vmcnt(0) lgkmcnt(0)
	v_mul_f64 v[10:11], v[21:22], v[17:18]
	v_mul_f64 v[17:18], v[19:20], v[17:18]
	v_fma_f64 v[10:11], v[19:20], v[15:16], -v[10:11]
	s_delay_alu instid0(VALU_DEP_2) | instskip(NEXT) | instid1(VALU_DEP_2)
	v_fma_f64 v[15:16], v[21:22], v[15:16], v[17:18]
	v_add_f64 v[3:4], v[3:4], v[10:11]
	s_delay_alu instid0(VALU_DEP_2)
	v_add_f64 v[1:2], v[1:2], v[15:16]
	s_and_not1_b32 exec_lo, exec_lo, s3
	s_cbranch_execnz .LBB110_177
; %bb.178:
	s_or_b32 exec_lo, exec_lo, s3
	v_mov_b32_e32 v7, 0
	ds_load_b128 v[7:10], v7 offset:656
	s_waitcnt lgkmcnt(0)
	v_mul_f64 v[11:12], v[1:2], v[9:10]
	v_mul_f64 v[15:16], v[3:4], v[9:10]
	s_delay_alu instid0(VALU_DEP_2) | instskip(NEXT) | instid1(VALU_DEP_2)
	v_fma_f64 v[9:10], v[3:4], v[7:8], -v[11:12]
	v_fma_f64 v[11:12], v[1:2], v[7:8], v[15:16]
	scratch_store_b128 off, v[9:12], off offset:656
.LBB110_179:
	s_or_b32 exec_lo, exec_lo, s2
	s_waitcnt_vscnt null, 0x0
	s_barrier
	buffer_gl0_inv
	scratch_load_b128 v[1:4], v150, off
	s_mov_b32 s2, exec_lo
	s_waitcnt vmcnt(0)
	ds_store_b128 v5, v[1:4]
	s_waitcnt lgkmcnt(0)
	s_barrier
	buffer_gl0_inv
	v_cmpx_gt_u32_e32 42, v140
	s_cbranch_execz .LBB110_183
; %bb.180:
	v_dual_mov_b32 v1, 0 :: v_dual_add_nc_u32 v8, 0x2f0, v13
	v_dual_mov_b32 v2, 0 :: v_dual_add_nc_u32 v7, -1, v140
	v_or_b32_e32 v9, 8, v14
	s_mov_b32 s3, 0
	s_delay_alu instid0(VALU_DEP_2)
	v_dual_mov_b32 v4, v2 :: v_dual_mov_b32 v3, v1
	.p2align	6
.LBB110_181:                            ; =>This Inner Loop Header: Depth=1
	scratch_load_b128 v[15:18], v9, off offset:-8
	ds_load_b128 v[19:22], v8
	v_add_nc_u32_e32 v7, 1, v7
	v_add_nc_u32_e32 v8, 16, v8
	;; [unrolled: 1-line block ×3, first 2 shown]
	s_delay_alu instid0(VALU_DEP_3) | instskip(SKIP_4) | instid1(VALU_DEP_2)
	v_cmp_lt_u32_e32 vcc_lo, 40, v7
	s_or_b32 s3, vcc_lo, s3
	s_waitcnt vmcnt(0) lgkmcnt(0)
	v_mul_f64 v[10:11], v[21:22], v[17:18]
	v_mul_f64 v[17:18], v[19:20], v[17:18]
	v_fma_f64 v[10:11], v[19:20], v[15:16], -v[10:11]
	s_delay_alu instid0(VALU_DEP_2) | instskip(NEXT) | instid1(VALU_DEP_2)
	v_fma_f64 v[15:16], v[21:22], v[15:16], v[17:18]
	v_add_f64 v[3:4], v[3:4], v[10:11]
	s_delay_alu instid0(VALU_DEP_2)
	v_add_f64 v[1:2], v[1:2], v[15:16]
	s_and_not1_b32 exec_lo, exec_lo, s3
	s_cbranch_execnz .LBB110_181
; %bb.182:
	s_or_b32 exec_lo, exec_lo, s3
	v_mov_b32_e32 v7, 0
	ds_load_b128 v[7:10], v7 offset:672
	s_waitcnt lgkmcnt(0)
	v_mul_f64 v[11:12], v[1:2], v[9:10]
	v_mul_f64 v[15:16], v[3:4], v[9:10]
	s_delay_alu instid0(VALU_DEP_2) | instskip(NEXT) | instid1(VALU_DEP_2)
	v_fma_f64 v[9:10], v[3:4], v[7:8], -v[11:12]
	v_fma_f64 v[11:12], v[1:2], v[7:8], v[15:16]
	scratch_store_b128 off, v[9:12], off offset:672
.LBB110_183:
	s_or_b32 exec_lo, exec_lo, s2
	s_waitcnt_vscnt null, 0x0
	s_barrier
	buffer_gl0_inv
	scratch_load_b128 v[1:4], v148, off
	s_mov_b32 s2, exec_lo
	s_waitcnt vmcnt(0)
	ds_store_b128 v5, v[1:4]
	s_waitcnt lgkmcnt(0)
	s_barrier
	buffer_gl0_inv
	v_cmpx_gt_u32_e32 43, v140
	s_cbranch_execz .LBB110_187
; %bb.184:
	v_dual_mov_b32 v1, 0 :: v_dual_add_nc_u32 v8, 0x2f0, v13
	v_dual_mov_b32 v2, 0 :: v_dual_add_nc_u32 v7, -1, v140
	v_or_b32_e32 v9, 8, v14
	s_mov_b32 s3, 0
	s_delay_alu instid0(VALU_DEP_2)
	v_dual_mov_b32 v4, v2 :: v_dual_mov_b32 v3, v1
	.p2align	6
.LBB110_185:                            ; =>This Inner Loop Header: Depth=1
	scratch_load_b128 v[15:18], v9, off offset:-8
	ds_load_b128 v[19:22], v8
	v_add_nc_u32_e32 v7, 1, v7
	v_add_nc_u32_e32 v8, 16, v8
	;; [unrolled: 1-line block ×3, first 2 shown]
	s_delay_alu instid0(VALU_DEP_3) | instskip(SKIP_4) | instid1(VALU_DEP_2)
	v_cmp_lt_u32_e32 vcc_lo, 41, v7
	s_or_b32 s3, vcc_lo, s3
	s_waitcnt vmcnt(0) lgkmcnt(0)
	v_mul_f64 v[10:11], v[21:22], v[17:18]
	v_mul_f64 v[17:18], v[19:20], v[17:18]
	v_fma_f64 v[10:11], v[19:20], v[15:16], -v[10:11]
	s_delay_alu instid0(VALU_DEP_2) | instskip(NEXT) | instid1(VALU_DEP_2)
	v_fma_f64 v[15:16], v[21:22], v[15:16], v[17:18]
	v_add_f64 v[3:4], v[3:4], v[10:11]
	s_delay_alu instid0(VALU_DEP_2)
	v_add_f64 v[1:2], v[1:2], v[15:16]
	s_and_not1_b32 exec_lo, exec_lo, s3
	s_cbranch_execnz .LBB110_185
; %bb.186:
	s_or_b32 exec_lo, exec_lo, s3
	v_mov_b32_e32 v7, 0
	ds_load_b128 v[7:10], v7 offset:688
	s_waitcnt lgkmcnt(0)
	v_mul_f64 v[11:12], v[1:2], v[9:10]
	v_mul_f64 v[15:16], v[3:4], v[9:10]
	s_delay_alu instid0(VALU_DEP_2) | instskip(NEXT) | instid1(VALU_DEP_2)
	v_fma_f64 v[9:10], v[3:4], v[7:8], -v[11:12]
	v_fma_f64 v[11:12], v[1:2], v[7:8], v[15:16]
	scratch_store_b128 off, v[9:12], off offset:688
.LBB110_187:
	s_or_b32 exec_lo, exec_lo, s2
	s_waitcnt_vscnt null, 0x0
	s_barrier
	buffer_gl0_inv
	scratch_load_b128 v[1:4], v146, off
	s_mov_b32 s2, exec_lo
	s_waitcnt vmcnt(0)
	ds_store_b128 v5, v[1:4]
	s_waitcnt lgkmcnt(0)
	s_barrier
	buffer_gl0_inv
	v_cmpx_gt_u32_e32 44, v140
	s_cbranch_execz .LBB110_191
; %bb.188:
	v_dual_mov_b32 v1, 0 :: v_dual_add_nc_u32 v8, 0x2f0, v13
	v_dual_mov_b32 v2, 0 :: v_dual_add_nc_u32 v7, -1, v140
	v_or_b32_e32 v9, 8, v14
	s_mov_b32 s3, 0
	s_delay_alu instid0(VALU_DEP_2)
	v_dual_mov_b32 v4, v2 :: v_dual_mov_b32 v3, v1
	.p2align	6
.LBB110_189:                            ; =>This Inner Loop Header: Depth=1
	scratch_load_b128 v[15:18], v9, off offset:-8
	ds_load_b128 v[19:22], v8
	v_add_nc_u32_e32 v7, 1, v7
	v_add_nc_u32_e32 v8, 16, v8
	;; [unrolled: 1-line block ×3, first 2 shown]
	s_delay_alu instid0(VALU_DEP_3) | instskip(SKIP_4) | instid1(VALU_DEP_2)
	v_cmp_lt_u32_e32 vcc_lo, 42, v7
	s_or_b32 s3, vcc_lo, s3
	s_waitcnt vmcnt(0) lgkmcnt(0)
	v_mul_f64 v[10:11], v[21:22], v[17:18]
	v_mul_f64 v[17:18], v[19:20], v[17:18]
	v_fma_f64 v[10:11], v[19:20], v[15:16], -v[10:11]
	s_delay_alu instid0(VALU_DEP_2) | instskip(NEXT) | instid1(VALU_DEP_2)
	v_fma_f64 v[15:16], v[21:22], v[15:16], v[17:18]
	v_add_f64 v[3:4], v[3:4], v[10:11]
	s_delay_alu instid0(VALU_DEP_2)
	v_add_f64 v[1:2], v[1:2], v[15:16]
	s_and_not1_b32 exec_lo, exec_lo, s3
	s_cbranch_execnz .LBB110_189
; %bb.190:
	s_or_b32 exec_lo, exec_lo, s3
	v_mov_b32_e32 v7, 0
	ds_load_b128 v[7:10], v7 offset:704
	s_waitcnt lgkmcnt(0)
	v_mul_f64 v[11:12], v[1:2], v[9:10]
	v_mul_f64 v[15:16], v[3:4], v[9:10]
	s_delay_alu instid0(VALU_DEP_2) | instskip(NEXT) | instid1(VALU_DEP_2)
	v_fma_f64 v[9:10], v[3:4], v[7:8], -v[11:12]
	v_fma_f64 v[11:12], v[1:2], v[7:8], v[15:16]
	scratch_store_b128 off, v[9:12], off offset:704
.LBB110_191:
	s_or_b32 exec_lo, exec_lo, s2
	s_waitcnt_vscnt null, 0x0
	s_barrier
	buffer_gl0_inv
	scratch_load_b128 v[1:4], v143, off
	s_mov_b32 s2, exec_lo
	s_waitcnt vmcnt(0)
	ds_store_b128 v5, v[1:4]
	s_waitcnt lgkmcnt(0)
	s_barrier
	buffer_gl0_inv
	v_cmpx_gt_u32_e32 45, v140
	s_cbranch_execz .LBB110_195
; %bb.192:
	v_dual_mov_b32 v1, 0 :: v_dual_add_nc_u32 v8, 0x2f0, v13
	v_dual_mov_b32 v2, 0 :: v_dual_add_nc_u32 v7, -1, v140
	v_or_b32_e32 v9, 8, v14
	s_mov_b32 s3, 0
	s_delay_alu instid0(VALU_DEP_2)
	v_dual_mov_b32 v4, v2 :: v_dual_mov_b32 v3, v1
	.p2align	6
.LBB110_193:                            ; =>This Inner Loop Header: Depth=1
	scratch_load_b128 v[10:13], v9, off offset:-8
	ds_load_b128 v[15:18], v8
	v_add_nc_u32_e32 v7, 1, v7
	v_add_nc_u32_e32 v8, 16, v8
	;; [unrolled: 1-line block ×3, first 2 shown]
	s_delay_alu instid0(VALU_DEP_3) | instskip(SKIP_4) | instid1(VALU_DEP_2)
	v_cmp_lt_u32_e32 vcc_lo, 43, v7
	s_or_b32 s3, vcc_lo, s3
	s_waitcnt vmcnt(0) lgkmcnt(0)
	v_mul_f64 v[19:20], v[17:18], v[12:13]
	v_mul_f64 v[12:13], v[15:16], v[12:13]
	v_fma_f64 v[15:16], v[15:16], v[10:11], -v[19:20]
	s_delay_alu instid0(VALU_DEP_2) | instskip(NEXT) | instid1(VALU_DEP_2)
	v_fma_f64 v[10:11], v[17:18], v[10:11], v[12:13]
	v_add_f64 v[3:4], v[3:4], v[15:16]
	s_delay_alu instid0(VALU_DEP_2)
	v_add_f64 v[1:2], v[1:2], v[10:11]
	s_and_not1_b32 exec_lo, exec_lo, s3
	s_cbranch_execnz .LBB110_193
; %bb.194:
	s_or_b32 exec_lo, exec_lo, s3
	v_mov_b32_e32 v7, 0
	ds_load_b128 v[7:10], v7 offset:720
	s_waitcnt lgkmcnt(0)
	v_mul_f64 v[11:12], v[1:2], v[9:10]
	v_mul_f64 v[15:16], v[3:4], v[9:10]
	s_delay_alu instid0(VALU_DEP_2) | instskip(NEXT) | instid1(VALU_DEP_2)
	v_fma_f64 v[9:10], v[3:4], v[7:8], -v[11:12]
	v_fma_f64 v[11:12], v[1:2], v[7:8], v[15:16]
	scratch_store_b128 off, v[9:12], off offset:720
.LBB110_195:
	s_or_b32 exec_lo, exec_lo, s2
	s_waitcnt_vscnt null, 0x0
	s_barrier
	buffer_gl0_inv
	scratch_load_b128 v[1:4], v142, off
	s_mov_b32 s2, exec_lo
	s_waitcnt vmcnt(0)
	ds_store_b128 v5, v[1:4]
	s_waitcnt lgkmcnt(0)
	s_barrier
	buffer_gl0_inv
	v_cmpx_ne_u32_e32 46, v140
	s_cbranch_execz .LBB110_199
; %bb.196:
	v_mov_b32_e32 v1, 0
	v_mov_b32_e32 v2, 0
	v_or_b32_e32 v7, 8, v14
	s_mov_b32 s3, 0
	s_delay_alu instid0(VALU_DEP_2)
	v_dual_mov_b32 v4, v2 :: v_dual_mov_b32 v3, v1
	.p2align	6
.LBB110_197:                            ; =>This Inner Loop Header: Depth=1
	scratch_load_b128 v[8:11], v7, off offset:-8
	ds_load_b128 v[12:15], v5
	v_add_nc_u32_e32 v6, 1, v6
	v_add_nc_u32_e32 v5, 16, v5
	;; [unrolled: 1-line block ×3, first 2 shown]
	s_delay_alu instid0(VALU_DEP_3) | instskip(SKIP_4) | instid1(VALU_DEP_2)
	v_cmp_lt_u32_e32 vcc_lo, 44, v6
	s_or_b32 s3, vcc_lo, s3
	s_waitcnt vmcnt(0) lgkmcnt(0)
	v_mul_f64 v[16:17], v[14:15], v[10:11]
	v_mul_f64 v[10:11], v[12:13], v[10:11]
	v_fma_f64 v[12:13], v[12:13], v[8:9], -v[16:17]
	s_delay_alu instid0(VALU_DEP_2) | instskip(NEXT) | instid1(VALU_DEP_2)
	v_fma_f64 v[8:9], v[14:15], v[8:9], v[10:11]
	v_add_f64 v[3:4], v[3:4], v[12:13]
	s_delay_alu instid0(VALU_DEP_2)
	v_add_f64 v[1:2], v[1:2], v[8:9]
	s_and_not1_b32 exec_lo, exec_lo, s3
	s_cbranch_execnz .LBB110_197
; %bb.198:
	s_or_b32 exec_lo, exec_lo, s3
	v_mov_b32_e32 v5, 0
	ds_load_b128 v[5:8], v5 offset:736
	s_waitcnt lgkmcnt(0)
	v_mul_f64 v[9:10], v[1:2], v[7:8]
	v_mul_f64 v[7:8], v[3:4], v[7:8]
	s_delay_alu instid0(VALU_DEP_2) | instskip(NEXT) | instid1(VALU_DEP_2)
	v_fma_f64 v[3:4], v[3:4], v[5:6], -v[9:10]
	v_fma_f64 v[5:6], v[1:2], v[5:6], v[7:8]
	scratch_store_b128 off, v[3:6], off offset:736
.LBB110_199:
	s_or_b32 exec_lo, exec_lo, s2
	s_mov_b32 s3, -1
	s_waitcnt_vscnt null, 0x0
	s_barrier
	buffer_gl0_inv
.LBB110_200:
	s_and_b32 vcc_lo, exec_lo, s3
	s_cbranch_vccz .LBB110_202
; %bb.201:
	s_lshl_b64 s[2:3], s[10:11], 2
	v_mov_b32_e32 v1, 0
	s_add_u32 s2, s6, s2
	s_addc_u32 s3, s7, s3
	global_load_b32 v1, v1, s[2:3]
	s_waitcnt vmcnt(0)
	v_cmp_ne_u32_e32 vcc_lo, 0, v1
	s_cbranch_vccz .LBB110_203
.LBB110_202:
	s_endpgm
.LBB110_203:
	v_lshl_add_u32 v187, v140, 4, 0x2f0
	s_mov_b32 s2, exec_lo
	v_cmpx_eq_u32_e32 46, v140
	s_cbranch_execz .LBB110_205
; %bb.204:
	scratch_load_b128 v[1:4], v143, off
	v_mov_b32_e32 v5, 0
	s_delay_alu instid0(VALU_DEP_1)
	v_mov_b32_e32 v6, v5
	v_mov_b32_e32 v7, v5
	;; [unrolled: 1-line block ×3, first 2 shown]
	scratch_store_b128 off, v[5:8], off offset:720
	s_waitcnt vmcnt(0)
	ds_store_b128 v187, v[1:4]
.LBB110_205:
	s_or_b32 exec_lo, exec_lo, s2
	s_waitcnt lgkmcnt(0)
	s_waitcnt_vscnt null, 0x0
	s_barrier
	buffer_gl0_inv
	s_clause 0x1
	scratch_load_b128 v[2:5], off, off offset:736
	scratch_load_b128 v[6:9], off, off offset:720
	v_mov_b32_e32 v1, 0
	s_mov_b32 s2, exec_lo
	ds_load_b128 v[10:13], v1 offset:1488
	s_waitcnt vmcnt(1) lgkmcnt(0)
	v_mul_f64 v[14:15], v[12:13], v[4:5]
	v_mul_f64 v[4:5], v[10:11], v[4:5]
	s_delay_alu instid0(VALU_DEP_2) | instskip(NEXT) | instid1(VALU_DEP_2)
	v_fma_f64 v[10:11], v[10:11], v[2:3], -v[14:15]
	v_fma_f64 v[2:3], v[12:13], v[2:3], v[4:5]
	s_delay_alu instid0(VALU_DEP_2) | instskip(NEXT) | instid1(VALU_DEP_2)
	v_add_f64 v[4:5], v[10:11], 0
	v_add_f64 v[10:11], v[2:3], 0
	s_waitcnt vmcnt(0)
	s_delay_alu instid0(VALU_DEP_2) | instskip(NEXT) | instid1(VALU_DEP_2)
	v_add_f64 v[2:3], v[6:7], -v[4:5]
	v_add_f64 v[4:5], v[8:9], -v[10:11]
	scratch_store_b128 off, v[2:5], off offset:720
	v_cmpx_lt_u32_e32 44, v140
	s_cbranch_execz .LBB110_207
; %bb.206:
	scratch_load_b128 v[5:8], v146, off
	v_mov_b32_e32 v2, v1
	v_mov_b32_e32 v3, v1
	;; [unrolled: 1-line block ×3, first 2 shown]
	scratch_store_b128 off, v[1:4], off offset:704
	s_waitcnt vmcnt(0)
	ds_store_b128 v187, v[5:8]
.LBB110_207:
	s_or_b32 exec_lo, exec_lo, s2
	s_waitcnt lgkmcnt(0)
	s_waitcnt_vscnt null, 0x0
	s_barrier
	buffer_gl0_inv
	s_clause 0x2
	scratch_load_b128 v[2:5], off, off offset:720
	scratch_load_b128 v[6:9], off, off offset:736
	;; [unrolled: 1-line block ×3, first 2 shown]
	ds_load_b128 v[14:17], v1 offset:1472
	ds_load_b128 v[18:21], v1 offset:1488
	s_mov_b32 s2, exec_lo
	s_waitcnt vmcnt(2) lgkmcnt(1)
	v_mul_f64 v[22:23], v[16:17], v[4:5]
	v_mul_f64 v[4:5], v[14:15], v[4:5]
	s_waitcnt vmcnt(1) lgkmcnt(0)
	v_mul_f64 v[24:25], v[18:19], v[8:9]
	v_mul_f64 v[8:9], v[20:21], v[8:9]
	s_delay_alu instid0(VALU_DEP_4) | instskip(NEXT) | instid1(VALU_DEP_4)
	v_fma_f64 v[14:15], v[14:15], v[2:3], -v[22:23]
	v_fma_f64 v[1:2], v[16:17], v[2:3], v[4:5]
	s_delay_alu instid0(VALU_DEP_4) | instskip(NEXT) | instid1(VALU_DEP_4)
	v_fma_f64 v[3:4], v[20:21], v[6:7], v[24:25]
	v_fma_f64 v[5:6], v[18:19], v[6:7], -v[8:9]
	s_delay_alu instid0(VALU_DEP_4) | instskip(NEXT) | instid1(VALU_DEP_4)
	v_add_f64 v[7:8], v[14:15], 0
	v_add_f64 v[1:2], v[1:2], 0
	s_delay_alu instid0(VALU_DEP_2) | instskip(NEXT) | instid1(VALU_DEP_2)
	v_add_f64 v[5:6], v[7:8], v[5:6]
	v_add_f64 v[3:4], v[1:2], v[3:4]
	s_waitcnt vmcnt(0)
	s_delay_alu instid0(VALU_DEP_2) | instskip(NEXT) | instid1(VALU_DEP_2)
	v_add_f64 v[1:2], v[10:11], -v[5:6]
	v_add_f64 v[3:4], v[12:13], -v[3:4]
	scratch_store_b128 off, v[1:4], off offset:704
	v_cmpx_lt_u32_e32 43, v140
	s_cbranch_execz .LBB110_209
; %bb.208:
	scratch_load_b128 v[1:4], v148, off
	v_mov_b32_e32 v5, 0
	s_delay_alu instid0(VALU_DEP_1)
	v_mov_b32_e32 v6, v5
	v_mov_b32_e32 v7, v5
	;; [unrolled: 1-line block ×3, first 2 shown]
	scratch_store_b128 off, v[5:8], off offset:688
	s_waitcnt vmcnt(0)
	ds_store_b128 v187, v[1:4]
.LBB110_209:
	s_or_b32 exec_lo, exec_lo, s2
	s_waitcnt lgkmcnt(0)
	s_waitcnt_vscnt null, 0x0
	s_barrier
	buffer_gl0_inv
	s_clause 0x3
	scratch_load_b128 v[2:5], off, off offset:704
	scratch_load_b128 v[6:9], off, off offset:720
	;; [unrolled: 1-line block ×4, first 2 shown]
	v_mov_b32_e32 v1, 0
	ds_load_b128 v[18:21], v1 offset:1456
	ds_load_b128 v[22:25], v1 offset:1472
	s_mov_b32 s2, exec_lo
	s_waitcnt vmcnt(3) lgkmcnt(1)
	v_mul_f64 v[26:27], v[20:21], v[4:5]
	v_mul_f64 v[4:5], v[18:19], v[4:5]
	s_waitcnt vmcnt(2) lgkmcnt(0)
	v_mul_f64 v[28:29], v[22:23], v[8:9]
	v_mul_f64 v[8:9], v[24:25], v[8:9]
	s_delay_alu instid0(VALU_DEP_4) | instskip(NEXT) | instid1(VALU_DEP_4)
	v_fma_f64 v[18:19], v[18:19], v[2:3], -v[26:27]
	v_fma_f64 v[20:21], v[20:21], v[2:3], v[4:5]
	ds_load_b128 v[2:5], v1 offset:1488
	v_fma_f64 v[24:25], v[24:25], v[6:7], v[28:29]
	v_fma_f64 v[6:7], v[22:23], v[6:7], -v[8:9]
	s_waitcnt vmcnt(1) lgkmcnt(0)
	v_mul_f64 v[26:27], v[2:3], v[12:13]
	v_mul_f64 v[12:13], v[4:5], v[12:13]
	v_add_f64 v[8:9], v[18:19], 0
	v_add_f64 v[18:19], v[20:21], 0
	s_delay_alu instid0(VALU_DEP_4) | instskip(NEXT) | instid1(VALU_DEP_4)
	v_fma_f64 v[4:5], v[4:5], v[10:11], v[26:27]
	v_fma_f64 v[2:3], v[2:3], v[10:11], -v[12:13]
	s_delay_alu instid0(VALU_DEP_4) | instskip(NEXT) | instid1(VALU_DEP_4)
	v_add_f64 v[6:7], v[8:9], v[6:7]
	v_add_f64 v[8:9], v[18:19], v[24:25]
	s_delay_alu instid0(VALU_DEP_2) | instskip(NEXT) | instid1(VALU_DEP_2)
	v_add_f64 v[2:3], v[6:7], v[2:3]
	v_add_f64 v[4:5], v[8:9], v[4:5]
	s_waitcnt vmcnt(0)
	s_delay_alu instid0(VALU_DEP_2) | instskip(NEXT) | instid1(VALU_DEP_2)
	v_add_f64 v[2:3], v[14:15], -v[2:3]
	v_add_f64 v[4:5], v[16:17], -v[4:5]
	scratch_store_b128 off, v[2:5], off offset:688
	v_cmpx_lt_u32_e32 42, v140
	s_cbranch_execz .LBB110_211
; %bb.210:
	scratch_load_b128 v[5:8], v150, off
	v_mov_b32_e32 v2, v1
	v_mov_b32_e32 v3, v1
	;; [unrolled: 1-line block ×3, first 2 shown]
	scratch_store_b128 off, v[1:4], off offset:672
	s_waitcnt vmcnt(0)
	ds_store_b128 v187, v[5:8]
.LBB110_211:
	s_or_b32 exec_lo, exec_lo, s2
	s_waitcnt lgkmcnt(0)
	s_waitcnt_vscnt null, 0x0
	s_barrier
	buffer_gl0_inv
	s_clause 0x4
	scratch_load_b128 v[2:5], off, off offset:688
	scratch_load_b128 v[6:9], off, off offset:704
	;; [unrolled: 1-line block ×5, first 2 shown]
	ds_load_b128 v[22:25], v1 offset:1440
	ds_load_b128 v[26:29], v1 offset:1456
	s_mov_b32 s2, exec_lo
	s_waitcnt vmcnt(4) lgkmcnt(1)
	v_mul_f64 v[30:31], v[24:25], v[4:5]
	v_mul_f64 v[4:5], v[22:23], v[4:5]
	s_waitcnt vmcnt(3) lgkmcnt(0)
	v_mul_f64 v[32:33], v[26:27], v[8:9]
	v_mul_f64 v[8:9], v[28:29], v[8:9]
	s_delay_alu instid0(VALU_DEP_4) | instskip(NEXT) | instid1(VALU_DEP_4)
	v_fma_f64 v[30:31], v[22:23], v[2:3], -v[30:31]
	v_fma_f64 v[34:35], v[24:25], v[2:3], v[4:5]
	ds_load_b128 v[2:5], v1 offset:1472
	ds_load_b128 v[22:25], v1 offset:1488
	v_fma_f64 v[28:29], v[28:29], v[6:7], v[32:33]
	v_fma_f64 v[6:7], v[26:27], v[6:7], -v[8:9]
	s_waitcnt vmcnt(2) lgkmcnt(1)
	v_mul_f64 v[36:37], v[2:3], v[12:13]
	v_mul_f64 v[12:13], v[4:5], v[12:13]
	v_add_f64 v[8:9], v[30:31], 0
	v_add_f64 v[26:27], v[34:35], 0
	s_waitcnt vmcnt(1) lgkmcnt(0)
	v_mul_f64 v[30:31], v[22:23], v[16:17]
	v_mul_f64 v[16:17], v[24:25], v[16:17]
	v_fma_f64 v[4:5], v[4:5], v[10:11], v[36:37]
	v_fma_f64 v[1:2], v[2:3], v[10:11], -v[12:13]
	v_add_f64 v[6:7], v[8:9], v[6:7]
	v_add_f64 v[8:9], v[26:27], v[28:29]
	v_fma_f64 v[10:11], v[24:25], v[14:15], v[30:31]
	v_fma_f64 v[12:13], v[22:23], v[14:15], -v[16:17]
	s_delay_alu instid0(VALU_DEP_4) | instskip(NEXT) | instid1(VALU_DEP_4)
	v_add_f64 v[1:2], v[6:7], v[1:2]
	v_add_f64 v[3:4], v[8:9], v[4:5]
	s_delay_alu instid0(VALU_DEP_2) | instskip(NEXT) | instid1(VALU_DEP_2)
	v_add_f64 v[1:2], v[1:2], v[12:13]
	v_add_f64 v[3:4], v[3:4], v[10:11]
	s_waitcnt vmcnt(0)
	s_delay_alu instid0(VALU_DEP_2) | instskip(NEXT) | instid1(VALU_DEP_2)
	v_add_f64 v[1:2], v[18:19], -v[1:2]
	v_add_f64 v[3:4], v[20:21], -v[3:4]
	scratch_store_b128 off, v[1:4], off offset:672
	v_cmpx_lt_u32_e32 41, v140
	s_cbranch_execz .LBB110_213
; %bb.212:
	scratch_load_b128 v[1:4], v152, off
	v_mov_b32_e32 v5, 0
	s_delay_alu instid0(VALU_DEP_1)
	v_mov_b32_e32 v6, v5
	v_mov_b32_e32 v7, v5
	;; [unrolled: 1-line block ×3, first 2 shown]
	scratch_store_b128 off, v[5:8], off offset:656
	s_waitcnt vmcnt(0)
	ds_store_b128 v187, v[1:4]
.LBB110_213:
	s_or_b32 exec_lo, exec_lo, s2
	s_waitcnt lgkmcnt(0)
	s_waitcnt_vscnt null, 0x0
	s_barrier
	buffer_gl0_inv
	s_clause 0x5
	scratch_load_b128 v[2:5], off, off offset:672
	scratch_load_b128 v[6:9], off, off offset:688
	;; [unrolled: 1-line block ×6, first 2 shown]
	v_mov_b32_e32 v1, 0
	ds_load_b128 v[26:29], v1 offset:1424
	ds_load_b128 v[30:33], v1 offset:1440
	s_mov_b32 s2, exec_lo
	s_waitcnt vmcnt(5) lgkmcnt(1)
	v_mul_f64 v[34:35], v[28:29], v[4:5]
	v_mul_f64 v[4:5], v[26:27], v[4:5]
	s_waitcnt vmcnt(4) lgkmcnt(0)
	v_mul_f64 v[36:37], v[30:31], v[8:9]
	v_mul_f64 v[8:9], v[32:33], v[8:9]
	s_delay_alu instid0(VALU_DEP_4) | instskip(NEXT) | instid1(VALU_DEP_4)
	v_fma_f64 v[34:35], v[26:27], v[2:3], -v[34:35]
	v_fma_f64 v[38:39], v[28:29], v[2:3], v[4:5]
	ds_load_b128 v[2:5], v1 offset:1456
	ds_load_b128 v[26:29], v1 offset:1472
	v_fma_f64 v[32:33], v[32:33], v[6:7], v[36:37]
	v_fma_f64 v[6:7], v[30:31], v[6:7], -v[8:9]
	s_waitcnt vmcnt(3) lgkmcnt(1)
	v_mul_f64 v[40:41], v[2:3], v[12:13]
	v_mul_f64 v[12:13], v[4:5], v[12:13]
	v_add_f64 v[8:9], v[34:35], 0
	v_add_f64 v[30:31], v[38:39], 0
	s_waitcnt vmcnt(2) lgkmcnt(0)
	v_mul_f64 v[34:35], v[26:27], v[16:17]
	v_mul_f64 v[16:17], v[28:29], v[16:17]
	v_fma_f64 v[36:37], v[4:5], v[10:11], v[40:41]
	v_fma_f64 v[10:11], v[2:3], v[10:11], -v[12:13]
	ds_load_b128 v[2:5], v1 offset:1488
	v_add_f64 v[6:7], v[8:9], v[6:7]
	v_add_f64 v[8:9], v[30:31], v[32:33]
	v_fma_f64 v[28:29], v[28:29], v[14:15], v[34:35]
	v_fma_f64 v[14:15], v[26:27], v[14:15], -v[16:17]
	s_waitcnt vmcnt(1) lgkmcnt(0)
	v_mul_f64 v[12:13], v[2:3], v[20:21]
	v_mul_f64 v[20:21], v[4:5], v[20:21]
	v_add_f64 v[6:7], v[6:7], v[10:11]
	v_add_f64 v[8:9], v[8:9], v[36:37]
	s_delay_alu instid0(VALU_DEP_4) | instskip(NEXT) | instid1(VALU_DEP_4)
	v_fma_f64 v[4:5], v[4:5], v[18:19], v[12:13]
	v_fma_f64 v[2:3], v[2:3], v[18:19], -v[20:21]
	s_delay_alu instid0(VALU_DEP_4) | instskip(NEXT) | instid1(VALU_DEP_4)
	v_add_f64 v[6:7], v[6:7], v[14:15]
	v_add_f64 v[8:9], v[8:9], v[28:29]
	s_delay_alu instid0(VALU_DEP_2) | instskip(NEXT) | instid1(VALU_DEP_2)
	v_add_f64 v[2:3], v[6:7], v[2:3]
	v_add_f64 v[4:5], v[8:9], v[4:5]
	s_waitcnt vmcnt(0)
	s_delay_alu instid0(VALU_DEP_2) | instskip(NEXT) | instid1(VALU_DEP_2)
	v_add_f64 v[2:3], v[22:23], -v[2:3]
	v_add_f64 v[4:5], v[24:25], -v[4:5]
	scratch_store_b128 off, v[2:5], off offset:656
	v_cmpx_lt_u32_e32 40, v140
	s_cbranch_execz .LBB110_215
; %bb.214:
	scratch_load_b128 v[5:8], v155, off
	v_mov_b32_e32 v2, v1
	v_mov_b32_e32 v3, v1
	v_mov_b32_e32 v4, v1
	scratch_store_b128 off, v[1:4], off offset:640
	s_waitcnt vmcnt(0)
	ds_store_b128 v187, v[5:8]
.LBB110_215:
	s_or_b32 exec_lo, exec_lo, s2
	s_waitcnt lgkmcnt(0)
	s_waitcnt_vscnt null, 0x0
	s_barrier
	buffer_gl0_inv
	s_clause 0x5
	scratch_load_b128 v[2:5], off, off offset:656
	scratch_load_b128 v[6:9], off, off offset:672
	;; [unrolled: 1-line block ×6, first 2 shown]
	ds_load_b128 v[26:29], v1 offset:1408
	ds_load_b128 v[34:37], v1 offset:1424
	scratch_load_b128 v[30:33], off, off offset:640
	s_mov_b32 s2, exec_lo
	s_waitcnt vmcnt(6) lgkmcnt(1)
	v_mul_f64 v[38:39], v[28:29], v[4:5]
	v_mul_f64 v[4:5], v[26:27], v[4:5]
	s_waitcnt vmcnt(5) lgkmcnt(0)
	v_mul_f64 v[40:41], v[34:35], v[8:9]
	v_mul_f64 v[8:9], v[36:37], v[8:9]
	s_delay_alu instid0(VALU_DEP_4) | instskip(NEXT) | instid1(VALU_DEP_4)
	v_fma_f64 v[38:39], v[26:27], v[2:3], -v[38:39]
	v_fma_f64 v[42:43], v[28:29], v[2:3], v[4:5]
	ds_load_b128 v[2:5], v1 offset:1440
	ds_load_b128 v[26:29], v1 offset:1456
	v_fma_f64 v[36:37], v[36:37], v[6:7], v[40:41]
	v_fma_f64 v[6:7], v[34:35], v[6:7], -v[8:9]
	s_waitcnt vmcnt(4) lgkmcnt(1)
	v_mul_f64 v[44:45], v[2:3], v[12:13]
	v_mul_f64 v[12:13], v[4:5], v[12:13]
	v_add_f64 v[8:9], v[38:39], 0
	v_add_f64 v[34:35], v[42:43], 0
	s_waitcnt vmcnt(3) lgkmcnt(0)
	v_mul_f64 v[38:39], v[26:27], v[16:17]
	v_mul_f64 v[16:17], v[28:29], v[16:17]
	v_fma_f64 v[40:41], v[4:5], v[10:11], v[44:45]
	v_fma_f64 v[10:11], v[2:3], v[10:11], -v[12:13]
	v_add_f64 v[12:13], v[8:9], v[6:7]
	v_add_f64 v[34:35], v[34:35], v[36:37]
	ds_load_b128 v[2:5], v1 offset:1472
	ds_load_b128 v[6:9], v1 offset:1488
	v_fma_f64 v[28:29], v[28:29], v[14:15], v[38:39]
	v_fma_f64 v[14:15], v[26:27], v[14:15], -v[16:17]
	s_waitcnt vmcnt(2) lgkmcnt(1)
	v_mul_f64 v[36:37], v[2:3], v[20:21]
	v_mul_f64 v[20:21], v[4:5], v[20:21]
	s_waitcnt vmcnt(1) lgkmcnt(0)
	v_mul_f64 v[16:17], v[6:7], v[24:25]
	v_mul_f64 v[24:25], v[8:9], v[24:25]
	v_add_f64 v[10:11], v[12:13], v[10:11]
	v_add_f64 v[12:13], v[34:35], v[40:41]
	v_fma_f64 v[4:5], v[4:5], v[18:19], v[36:37]
	v_fma_f64 v[1:2], v[2:3], v[18:19], -v[20:21]
	v_fma_f64 v[8:9], v[8:9], v[22:23], v[16:17]
	v_fma_f64 v[6:7], v[6:7], v[22:23], -v[24:25]
	v_add_f64 v[10:11], v[10:11], v[14:15]
	v_add_f64 v[12:13], v[12:13], v[28:29]
	s_delay_alu instid0(VALU_DEP_2) | instskip(NEXT) | instid1(VALU_DEP_2)
	v_add_f64 v[1:2], v[10:11], v[1:2]
	v_add_f64 v[3:4], v[12:13], v[4:5]
	s_delay_alu instid0(VALU_DEP_2) | instskip(NEXT) | instid1(VALU_DEP_2)
	v_add_f64 v[1:2], v[1:2], v[6:7]
	v_add_f64 v[3:4], v[3:4], v[8:9]
	s_waitcnt vmcnt(0)
	s_delay_alu instid0(VALU_DEP_2) | instskip(NEXT) | instid1(VALU_DEP_2)
	v_add_f64 v[1:2], v[30:31], -v[1:2]
	v_add_f64 v[3:4], v[32:33], -v[3:4]
	scratch_store_b128 off, v[1:4], off offset:640
	v_cmpx_lt_u32_e32 39, v140
	s_cbranch_execz .LBB110_217
; %bb.216:
	scratch_load_b128 v[1:4], v157, off
	v_mov_b32_e32 v5, 0
	s_delay_alu instid0(VALU_DEP_1)
	v_mov_b32_e32 v6, v5
	v_mov_b32_e32 v7, v5
	;; [unrolled: 1-line block ×3, first 2 shown]
	scratch_store_b128 off, v[5:8], off offset:624
	s_waitcnt vmcnt(0)
	ds_store_b128 v187, v[1:4]
.LBB110_217:
	s_or_b32 exec_lo, exec_lo, s2
	s_waitcnt lgkmcnt(0)
	s_waitcnt_vscnt null, 0x0
	s_barrier
	buffer_gl0_inv
	s_clause 0x6
	scratch_load_b128 v[2:5], off, off offset:640
	scratch_load_b128 v[6:9], off, off offset:656
	scratch_load_b128 v[10:13], off, off offset:672
	scratch_load_b128 v[14:17], off, off offset:688
	scratch_load_b128 v[18:21], off, off offset:704
	scratch_load_b128 v[22:25], off, off offset:720
	scratch_load_b128 v[26:29], off, off offset:736
	v_mov_b32_e32 v1, 0
	scratch_load_b128 v[38:41], off, off offset:624
	s_mov_b32 s2, exec_lo
	ds_load_b128 v[30:33], v1 offset:1392
	ds_load_b128 v[34:37], v1 offset:1408
	s_waitcnt vmcnt(7) lgkmcnt(1)
	v_mul_f64 v[42:43], v[32:33], v[4:5]
	v_mul_f64 v[4:5], v[30:31], v[4:5]
	s_waitcnt vmcnt(6) lgkmcnt(0)
	v_mul_f64 v[44:45], v[34:35], v[8:9]
	v_mul_f64 v[8:9], v[36:37], v[8:9]
	s_delay_alu instid0(VALU_DEP_4) | instskip(NEXT) | instid1(VALU_DEP_4)
	v_fma_f64 v[30:31], v[30:31], v[2:3], -v[42:43]
	v_fma_f64 v[32:33], v[32:33], v[2:3], v[4:5]
	ds_load_b128 v[2:5], v1 offset:1424
	v_fma_f64 v[36:37], v[36:37], v[6:7], v[44:45]
	v_fma_f64 v[34:35], v[34:35], v[6:7], -v[8:9]
	ds_load_b128 v[6:9], v1 offset:1440
	s_waitcnt vmcnt(5) lgkmcnt(1)
	v_mul_f64 v[42:43], v[2:3], v[12:13]
	v_mul_f64 v[12:13], v[4:5], v[12:13]
	s_waitcnt vmcnt(4) lgkmcnt(0)
	v_mul_f64 v[44:45], v[6:7], v[16:17]
	v_mul_f64 v[16:17], v[8:9], v[16:17]
	v_add_f64 v[30:31], v[30:31], 0
	v_add_f64 v[32:33], v[32:33], 0
	v_fma_f64 v[42:43], v[4:5], v[10:11], v[42:43]
	v_fma_f64 v[10:11], v[2:3], v[10:11], -v[12:13]
	ds_load_b128 v[2:5], v1 offset:1456
	v_add_f64 v[12:13], v[30:31], v[34:35]
	v_add_f64 v[30:31], v[32:33], v[36:37]
	v_fma_f64 v[34:35], v[8:9], v[14:15], v[44:45]
	v_fma_f64 v[14:15], v[6:7], v[14:15], -v[16:17]
	ds_load_b128 v[6:9], v1 offset:1472
	s_waitcnt vmcnt(3) lgkmcnt(1)
	v_mul_f64 v[32:33], v[2:3], v[20:21]
	v_mul_f64 v[20:21], v[4:5], v[20:21]
	s_waitcnt vmcnt(2) lgkmcnt(0)
	v_mul_f64 v[16:17], v[6:7], v[24:25]
	v_mul_f64 v[24:25], v[8:9], v[24:25]
	v_add_f64 v[10:11], v[12:13], v[10:11]
	v_add_f64 v[12:13], v[30:31], v[42:43]
	v_fma_f64 v[30:31], v[4:5], v[18:19], v[32:33]
	v_fma_f64 v[18:19], v[2:3], v[18:19], -v[20:21]
	ds_load_b128 v[2:5], v1 offset:1488
	v_fma_f64 v[8:9], v[8:9], v[22:23], v[16:17]
	v_fma_f64 v[6:7], v[6:7], v[22:23], -v[24:25]
	s_waitcnt vmcnt(1) lgkmcnt(0)
	v_mul_f64 v[20:21], v[4:5], v[28:29]
	v_add_f64 v[10:11], v[10:11], v[14:15]
	v_add_f64 v[12:13], v[12:13], v[34:35]
	v_mul_f64 v[14:15], v[2:3], v[28:29]
	s_delay_alu instid0(VALU_DEP_4) | instskip(NEXT) | instid1(VALU_DEP_4)
	v_fma_f64 v[2:3], v[2:3], v[26:27], -v[20:21]
	v_add_f64 v[10:11], v[10:11], v[18:19]
	s_delay_alu instid0(VALU_DEP_4) | instskip(NEXT) | instid1(VALU_DEP_4)
	v_add_f64 v[12:13], v[12:13], v[30:31]
	v_fma_f64 v[4:5], v[4:5], v[26:27], v[14:15]
	s_delay_alu instid0(VALU_DEP_3) | instskip(NEXT) | instid1(VALU_DEP_3)
	v_add_f64 v[6:7], v[10:11], v[6:7]
	v_add_f64 v[8:9], v[12:13], v[8:9]
	s_delay_alu instid0(VALU_DEP_2) | instskip(NEXT) | instid1(VALU_DEP_2)
	v_add_f64 v[2:3], v[6:7], v[2:3]
	v_add_f64 v[4:5], v[8:9], v[4:5]
	s_waitcnt vmcnt(0)
	s_delay_alu instid0(VALU_DEP_2) | instskip(NEXT) | instid1(VALU_DEP_2)
	v_add_f64 v[2:3], v[38:39], -v[2:3]
	v_add_f64 v[4:5], v[40:41], -v[4:5]
	scratch_store_b128 off, v[2:5], off offset:624
	v_cmpx_lt_u32_e32 38, v140
	s_cbranch_execz .LBB110_219
; %bb.218:
	scratch_load_b128 v[5:8], v159, off
	v_mov_b32_e32 v2, v1
	v_mov_b32_e32 v3, v1
	;; [unrolled: 1-line block ×3, first 2 shown]
	scratch_store_b128 off, v[1:4], off offset:608
	s_waitcnt vmcnt(0)
	ds_store_b128 v187, v[5:8]
.LBB110_219:
	s_or_b32 exec_lo, exec_lo, s2
	s_waitcnt lgkmcnt(0)
	s_waitcnt_vscnt null, 0x0
	s_barrier
	buffer_gl0_inv
	s_clause 0x7
	scratch_load_b128 v[2:5], off, off offset:624
	scratch_load_b128 v[6:9], off, off offset:640
	;; [unrolled: 1-line block ×8, first 2 shown]
	ds_load_b128 v[34:37], v1 offset:1376
	ds_load_b128 v[38:41], v1 offset:1392
	s_mov_b32 s2, exec_lo
	s_waitcnt vmcnt(7) lgkmcnt(1)
	v_mul_f64 v[42:43], v[36:37], v[4:5]
	v_mul_f64 v[4:5], v[34:35], v[4:5]
	s_waitcnt vmcnt(6) lgkmcnt(0)
	v_mul_f64 v[44:45], v[38:39], v[8:9]
	v_mul_f64 v[8:9], v[40:41], v[8:9]
	s_delay_alu instid0(VALU_DEP_4) | instskip(NEXT) | instid1(VALU_DEP_4)
	v_fma_f64 v[42:43], v[34:35], v[2:3], -v[42:43]
	v_fma_f64 v[188:189], v[36:37], v[2:3], v[4:5]
	ds_load_b128 v[2:5], v1 offset:1408
	scratch_load_b128 v[34:37], off, off offset:608
	v_fma_f64 v[40:41], v[40:41], v[6:7], v[44:45]
	v_fma_f64 v[38:39], v[38:39], v[6:7], -v[8:9]
	ds_load_b128 v[6:9], v1 offset:1424
	s_waitcnt vmcnt(6) lgkmcnt(1)
	v_mul_f64 v[190:191], v[2:3], v[12:13]
	v_mul_f64 v[12:13], v[4:5], v[12:13]
	v_add_f64 v[42:43], v[42:43], 0
	v_add_f64 v[44:45], v[188:189], 0
	s_waitcnt vmcnt(5) lgkmcnt(0)
	v_mul_f64 v[188:189], v[6:7], v[16:17]
	v_mul_f64 v[16:17], v[8:9], v[16:17]
	v_fma_f64 v[190:191], v[4:5], v[10:11], v[190:191]
	v_fma_f64 v[10:11], v[2:3], v[10:11], -v[12:13]
	ds_load_b128 v[2:5], v1 offset:1440
	v_add_f64 v[12:13], v[42:43], v[38:39]
	v_add_f64 v[38:39], v[44:45], v[40:41]
	v_fma_f64 v[42:43], v[8:9], v[14:15], v[188:189]
	v_fma_f64 v[14:15], v[6:7], v[14:15], -v[16:17]
	ds_load_b128 v[6:9], v1 offset:1456
	s_waitcnt vmcnt(4) lgkmcnt(1)
	v_mul_f64 v[40:41], v[2:3], v[20:21]
	v_mul_f64 v[20:21], v[4:5], v[20:21]
	s_waitcnt vmcnt(3) lgkmcnt(0)
	v_mul_f64 v[16:17], v[6:7], v[24:25]
	v_mul_f64 v[24:25], v[8:9], v[24:25]
	v_add_f64 v[10:11], v[12:13], v[10:11]
	v_add_f64 v[12:13], v[38:39], v[190:191]
	v_fma_f64 v[38:39], v[4:5], v[18:19], v[40:41]
	v_fma_f64 v[18:19], v[2:3], v[18:19], -v[20:21]
	ds_load_b128 v[2:5], v1 offset:1472
	v_fma_f64 v[16:17], v[8:9], v[22:23], v[16:17]
	v_fma_f64 v[22:23], v[6:7], v[22:23], -v[24:25]
	ds_load_b128 v[6:9], v1 offset:1488
	s_waitcnt vmcnt(2) lgkmcnt(1)
	v_mul_f64 v[20:21], v[4:5], v[28:29]
	v_add_f64 v[10:11], v[10:11], v[14:15]
	v_add_f64 v[12:13], v[12:13], v[42:43]
	v_mul_f64 v[14:15], v[2:3], v[28:29]
	s_waitcnt vmcnt(1) lgkmcnt(0)
	v_mul_f64 v[24:25], v[8:9], v[32:33]
	v_fma_f64 v[1:2], v[2:3], v[26:27], -v[20:21]
	v_add_f64 v[10:11], v[10:11], v[18:19]
	v_add_f64 v[12:13], v[12:13], v[38:39]
	v_mul_f64 v[18:19], v[6:7], v[32:33]
	v_fma_f64 v[4:5], v[4:5], v[26:27], v[14:15]
	v_fma_f64 v[6:7], v[6:7], v[30:31], -v[24:25]
	v_add_f64 v[10:11], v[10:11], v[22:23]
	v_add_f64 v[12:13], v[12:13], v[16:17]
	v_fma_f64 v[8:9], v[8:9], v[30:31], v[18:19]
	s_delay_alu instid0(VALU_DEP_3) | instskip(NEXT) | instid1(VALU_DEP_3)
	v_add_f64 v[1:2], v[10:11], v[1:2]
	v_add_f64 v[3:4], v[12:13], v[4:5]
	s_delay_alu instid0(VALU_DEP_2) | instskip(NEXT) | instid1(VALU_DEP_2)
	v_add_f64 v[1:2], v[1:2], v[6:7]
	v_add_f64 v[3:4], v[3:4], v[8:9]
	s_waitcnt vmcnt(0)
	s_delay_alu instid0(VALU_DEP_2) | instskip(NEXT) | instid1(VALU_DEP_2)
	v_add_f64 v[1:2], v[34:35], -v[1:2]
	v_add_f64 v[3:4], v[36:37], -v[3:4]
	scratch_store_b128 off, v[1:4], off offset:608
	v_cmpx_lt_u32_e32 37, v140
	s_cbranch_execz .LBB110_221
; %bb.220:
	scratch_load_b128 v[1:4], v161, off
	v_mov_b32_e32 v5, 0
	s_delay_alu instid0(VALU_DEP_1)
	v_mov_b32_e32 v6, v5
	v_mov_b32_e32 v7, v5
	;; [unrolled: 1-line block ×3, first 2 shown]
	scratch_store_b128 off, v[5:8], off offset:592
	s_waitcnt vmcnt(0)
	ds_store_b128 v187, v[1:4]
.LBB110_221:
	s_or_b32 exec_lo, exec_lo, s2
	s_waitcnt lgkmcnt(0)
	s_waitcnt_vscnt null, 0x0
	s_barrier
	buffer_gl0_inv
	s_clause 0x7
	scratch_load_b128 v[2:5], off, off offset:608
	scratch_load_b128 v[6:9], off, off offset:624
	;; [unrolled: 1-line block ×8, first 2 shown]
	v_mov_b32_e32 v1, 0
	s_mov_b32 s2, exec_lo
	ds_load_b128 v[34:37], v1 offset:1360
	s_clause 0x1
	scratch_load_b128 v[38:41], off, off offset:736
	scratch_load_b128 v[42:45], off, off offset:592
	ds_load_b128 v[188:191], v1 offset:1376
	s_waitcnt vmcnt(9) lgkmcnt(1)
	v_mul_f64 v[192:193], v[36:37], v[4:5]
	v_mul_f64 v[4:5], v[34:35], v[4:5]
	s_waitcnt vmcnt(8) lgkmcnt(0)
	v_mul_f64 v[194:195], v[188:189], v[8:9]
	v_mul_f64 v[8:9], v[190:191], v[8:9]
	s_delay_alu instid0(VALU_DEP_4) | instskip(NEXT) | instid1(VALU_DEP_4)
	v_fma_f64 v[192:193], v[34:35], v[2:3], -v[192:193]
	v_fma_f64 v[196:197], v[36:37], v[2:3], v[4:5]
	ds_load_b128 v[2:5], v1 offset:1392
	ds_load_b128 v[34:37], v1 offset:1408
	v_fma_f64 v[190:191], v[190:191], v[6:7], v[194:195]
	v_fma_f64 v[6:7], v[188:189], v[6:7], -v[8:9]
	s_waitcnt vmcnt(7) lgkmcnt(1)
	v_mul_f64 v[198:199], v[2:3], v[12:13]
	v_mul_f64 v[12:13], v[4:5], v[12:13]
	v_add_f64 v[8:9], v[192:193], 0
	v_add_f64 v[188:189], v[196:197], 0
	s_waitcnt vmcnt(6) lgkmcnt(0)
	v_mul_f64 v[192:193], v[34:35], v[16:17]
	v_mul_f64 v[16:17], v[36:37], v[16:17]
	v_fma_f64 v[194:195], v[4:5], v[10:11], v[198:199]
	v_fma_f64 v[10:11], v[2:3], v[10:11], -v[12:13]
	v_add_f64 v[12:13], v[8:9], v[6:7]
	v_add_f64 v[188:189], v[188:189], v[190:191]
	ds_load_b128 v[2:5], v1 offset:1424
	ds_load_b128 v[6:9], v1 offset:1440
	v_fma_f64 v[36:37], v[36:37], v[14:15], v[192:193]
	v_fma_f64 v[14:15], v[34:35], v[14:15], -v[16:17]
	s_waitcnt vmcnt(5) lgkmcnt(1)
	v_mul_f64 v[190:191], v[2:3], v[20:21]
	v_mul_f64 v[20:21], v[4:5], v[20:21]
	s_waitcnt vmcnt(4) lgkmcnt(0)
	v_mul_f64 v[16:17], v[6:7], v[24:25]
	v_mul_f64 v[24:25], v[8:9], v[24:25]
	v_add_f64 v[10:11], v[12:13], v[10:11]
	v_add_f64 v[12:13], v[188:189], v[194:195]
	v_fma_f64 v[34:35], v[4:5], v[18:19], v[190:191]
	v_fma_f64 v[18:19], v[2:3], v[18:19], -v[20:21]
	v_fma_f64 v[8:9], v[8:9], v[22:23], v[16:17]
	v_fma_f64 v[6:7], v[6:7], v[22:23], -v[24:25]
	v_add_f64 v[14:15], v[10:11], v[14:15]
	v_add_f64 v[20:21], v[12:13], v[36:37]
	ds_load_b128 v[2:5], v1 offset:1456
	ds_load_b128 v[10:13], v1 offset:1472
	s_waitcnt vmcnt(3) lgkmcnt(1)
	v_mul_f64 v[36:37], v[2:3], v[28:29]
	v_mul_f64 v[28:29], v[4:5], v[28:29]
	v_add_f64 v[14:15], v[14:15], v[18:19]
	v_add_f64 v[16:17], v[20:21], v[34:35]
	s_waitcnt vmcnt(2) lgkmcnt(0)
	v_mul_f64 v[18:19], v[10:11], v[32:33]
	v_mul_f64 v[20:21], v[12:13], v[32:33]
	v_fma_f64 v[22:23], v[4:5], v[26:27], v[36:37]
	v_fma_f64 v[24:25], v[2:3], v[26:27], -v[28:29]
	ds_load_b128 v[2:5], v1 offset:1488
	v_add_f64 v[6:7], v[14:15], v[6:7]
	v_add_f64 v[8:9], v[16:17], v[8:9]
	v_fma_f64 v[12:13], v[12:13], v[30:31], v[18:19]
	v_fma_f64 v[10:11], v[10:11], v[30:31], -v[20:21]
	s_waitcnt vmcnt(1) lgkmcnt(0)
	v_mul_f64 v[14:15], v[2:3], v[40:41]
	v_mul_f64 v[16:17], v[4:5], v[40:41]
	v_add_f64 v[6:7], v[6:7], v[24:25]
	v_add_f64 v[8:9], v[8:9], v[22:23]
	s_delay_alu instid0(VALU_DEP_4) | instskip(NEXT) | instid1(VALU_DEP_4)
	v_fma_f64 v[4:5], v[4:5], v[38:39], v[14:15]
	v_fma_f64 v[2:3], v[2:3], v[38:39], -v[16:17]
	s_delay_alu instid0(VALU_DEP_4) | instskip(NEXT) | instid1(VALU_DEP_4)
	v_add_f64 v[6:7], v[6:7], v[10:11]
	v_add_f64 v[8:9], v[8:9], v[12:13]
	s_delay_alu instid0(VALU_DEP_2) | instskip(NEXT) | instid1(VALU_DEP_2)
	v_add_f64 v[2:3], v[6:7], v[2:3]
	v_add_f64 v[4:5], v[8:9], v[4:5]
	s_waitcnt vmcnt(0)
	s_delay_alu instid0(VALU_DEP_2) | instskip(NEXT) | instid1(VALU_DEP_2)
	v_add_f64 v[2:3], v[42:43], -v[2:3]
	v_add_f64 v[4:5], v[44:45], -v[4:5]
	scratch_store_b128 off, v[2:5], off offset:592
	v_cmpx_lt_u32_e32 36, v140
	s_cbranch_execz .LBB110_223
; %bb.222:
	scratch_load_b128 v[5:8], v164, off
	v_mov_b32_e32 v2, v1
	v_mov_b32_e32 v3, v1
	;; [unrolled: 1-line block ×3, first 2 shown]
	scratch_store_b128 off, v[1:4], off offset:576
	s_waitcnt vmcnt(0)
	ds_store_b128 v187, v[5:8]
.LBB110_223:
	s_or_b32 exec_lo, exec_lo, s2
	s_waitcnt lgkmcnt(0)
	s_waitcnt_vscnt null, 0x0
	s_barrier
	buffer_gl0_inv
	s_clause 0x8
	scratch_load_b128 v[2:5], off, off offset:592
	scratch_load_b128 v[6:9], off, off offset:608
	;; [unrolled: 1-line block ×9, first 2 shown]
	ds_load_b128 v[38:41], v1 offset:1344
	ds_load_b128 v[42:45], v1 offset:1360
	s_clause 0x1
	scratch_load_b128 v[188:191], off, off offset:576
	scratch_load_b128 v[192:195], off, off offset:736
	s_mov_b32 s2, exec_lo
	s_waitcnt vmcnt(10) lgkmcnt(1)
	v_mul_f64 v[196:197], v[40:41], v[4:5]
	v_mul_f64 v[4:5], v[38:39], v[4:5]
	s_waitcnt vmcnt(9) lgkmcnt(0)
	v_mul_f64 v[198:199], v[42:43], v[8:9]
	v_mul_f64 v[8:9], v[44:45], v[8:9]
	s_delay_alu instid0(VALU_DEP_4) | instskip(NEXT) | instid1(VALU_DEP_4)
	v_fma_f64 v[196:197], v[38:39], v[2:3], -v[196:197]
	v_fma_f64 v[200:201], v[40:41], v[2:3], v[4:5]
	ds_load_b128 v[2:5], v1 offset:1376
	ds_load_b128 v[38:41], v1 offset:1392
	v_fma_f64 v[44:45], v[44:45], v[6:7], v[198:199]
	v_fma_f64 v[6:7], v[42:43], v[6:7], -v[8:9]
	s_waitcnt vmcnt(8) lgkmcnt(1)
	v_mul_f64 v[202:203], v[2:3], v[12:13]
	v_mul_f64 v[12:13], v[4:5], v[12:13]
	v_add_f64 v[8:9], v[196:197], 0
	v_add_f64 v[42:43], v[200:201], 0
	s_waitcnt vmcnt(7) lgkmcnt(0)
	v_mul_f64 v[196:197], v[38:39], v[16:17]
	v_mul_f64 v[16:17], v[40:41], v[16:17]
	v_fma_f64 v[198:199], v[4:5], v[10:11], v[202:203]
	v_fma_f64 v[10:11], v[2:3], v[10:11], -v[12:13]
	v_add_f64 v[12:13], v[8:9], v[6:7]
	v_add_f64 v[42:43], v[42:43], v[44:45]
	ds_load_b128 v[2:5], v1 offset:1408
	ds_load_b128 v[6:9], v1 offset:1424
	v_fma_f64 v[40:41], v[40:41], v[14:15], v[196:197]
	v_fma_f64 v[14:15], v[38:39], v[14:15], -v[16:17]
	s_waitcnt vmcnt(6) lgkmcnt(1)
	v_mul_f64 v[44:45], v[2:3], v[20:21]
	v_mul_f64 v[20:21], v[4:5], v[20:21]
	s_waitcnt vmcnt(5) lgkmcnt(0)
	v_mul_f64 v[16:17], v[6:7], v[24:25]
	v_mul_f64 v[24:25], v[8:9], v[24:25]
	v_add_f64 v[10:11], v[12:13], v[10:11]
	v_add_f64 v[12:13], v[42:43], v[198:199]
	v_fma_f64 v[38:39], v[4:5], v[18:19], v[44:45]
	v_fma_f64 v[18:19], v[2:3], v[18:19], -v[20:21]
	v_fma_f64 v[8:9], v[8:9], v[22:23], v[16:17]
	v_fma_f64 v[6:7], v[6:7], v[22:23], -v[24:25]
	v_add_f64 v[14:15], v[10:11], v[14:15]
	v_add_f64 v[20:21], v[12:13], v[40:41]
	ds_load_b128 v[2:5], v1 offset:1440
	ds_load_b128 v[10:13], v1 offset:1456
	s_waitcnt vmcnt(4) lgkmcnt(1)
	v_mul_f64 v[40:41], v[2:3], v[28:29]
	v_mul_f64 v[28:29], v[4:5], v[28:29]
	v_add_f64 v[14:15], v[14:15], v[18:19]
	v_add_f64 v[16:17], v[20:21], v[38:39]
	s_waitcnt vmcnt(3) lgkmcnt(0)
	v_mul_f64 v[18:19], v[10:11], v[32:33]
	v_mul_f64 v[20:21], v[12:13], v[32:33]
	v_fma_f64 v[22:23], v[4:5], v[26:27], v[40:41]
	v_fma_f64 v[24:25], v[2:3], v[26:27], -v[28:29]
	v_add_f64 v[14:15], v[14:15], v[6:7]
	v_add_f64 v[16:17], v[16:17], v[8:9]
	ds_load_b128 v[2:5], v1 offset:1472
	ds_load_b128 v[6:9], v1 offset:1488
	v_fma_f64 v[12:13], v[12:13], v[30:31], v[18:19]
	v_fma_f64 v[10:11], v[10:11], v[30:31], -v[20:21]
	s_waitcnt vmcnt(2) lgkmcnt(1)
	v_mul_f64 v[26:27], v[2:3], v[36:37]
	v_mul_f64 v[28:29], v[4:5], v[36:37]
	s_waitcnt vmcnt(0) lgkmcnt(0)
	v_mul_f64 v[18:19], v[6:7], v[194:195]
	v_mul_f64 v[20:21], v[8:9], v[194:195]
	v_add_f64 v[14:15], v[14:15], v[24:25]
	v_add_f64 v[16:17], v[16:17], v[22:23]
	v_fma_f64 v[4:5], v[4:5], v[34:35], v[26:27]
	v_fma_f64 v[1:2], v[2:3], v[34:35], -v[28:29]
	v_fma_f64 v[8:9], v[8:9], v[192:193], v[18:19]
	v_fma_f64 v[6:7], v[6:7], v[192:193], -v[20:21]
	v_add_f64 v[10:11], v[14:15], v[10:11]
	v_add_f64 v[12:13], v[16:17], v[12:13]
	s_delay_alu instid0(VALU_DEP_2) | instskip(NEXT) | instid1(VALU_DEP_2)
	v_add_f64 v[1:2], v[10:11], v[1:2]
	v_add_f64 v[3:4], v[12:13], v[4:5]
	s_delay_alu instid0(VALU_DEP_2) | instskip(NEXT) | instid1(VALU_DEP_2)
	;; [unrolled: 3-line block ×3, first 2 shown]
	v_add_f64 v[1:2], v[188:189], -v[1:2]
	v_add_f64 v[3:4], v[190:191], -v[3:4]
	scratch_store_b128 off, v[1:4], off offset:576
	v_cmpx_lt_u32_e32 35, v140
	s_cbranch_execz .LBB110_225
; %bb.224:
	scratch_load_b128 v[1:4], v141, off
	v_mov_b32_e32 v5, 0
	s_delay_alu instid0(VALU_DEP_1)
	v_mov_b32_e32 v6, v5
	v_mov_b32_e32 v7, v5
	;; [unrolled: 1-line block ×3, first 2 shown]
	scratch_store_b128 off, v[5:8], off offset:560
	s_waitcnt vmcnt(0)
	ds_store_b128 v187, v[1:4]
.LBB110_225:
	s_or_b32 exec_lo, exec_lo, s2
	s_waitcnt lgkmcnt(0)
	s_waitcnt_vscnt null, 0x0
	s_barrier
	buffer_gl0_inv
	s_clause 0x7
	scratch_load_b128 v[2:5], off, off offset:576
	scratch_load_b128 v[6:9], off, off offset:592
	;; [unrolled: 1-line block ×8, first 2 shown]
	v_mov_b32_e32 v1, 0
	s_mov_b32 s2, exec_lo
	ds_load_b128 v[34:37], v1 offset:1328
	s_clause 0x1
	scratch_load_b128 v[38:41], off, off offset:704
	scratch_load_b128 v[42:45], off, off offset:560
	ds_load_b128 v[188:191], v1 offset:1344
	scratch_load_b128 v[192:195], off, off offset:720
	s_waitcnt vmcnt(10) lgkmcnt(1)
	v_mul_f64 v[196:197], v[36:37], v[4:5]
	v_mul_f64 v[4:5], v[34:35], v[4:5]
	s_delay_alu instid0(VALU_DEP_2) | instskip(NEXT) | instid1(VALU_DEP_2)
	v_fma_f64 v[202:203], v[34:35], v[2:3], -v[196:197]
	v_fma_f64 v[204:205], v[36:37], v[2:3], v[4:5]
	scratch_load_b128 v[34:37], off, off offset:736
	ds_load_b128 v[2:5], v1 offset:1360
	s_waitcnt vmcnt(10) lgkmcnt(1)
	v_mul_f64 v[200:201], v[188:189], v[8:9]
	v_mul_f64 v[8:9], v[190:191], v[8:9]
	ds_load_b128 v[196:199], v1 offset:1376
	s_waitcnt vmcnt(9) lgkmcnt(1)
	v_mul_f64 v[206:207], v[2:3], v[12:13]
	v_mul_f64 v[12:13], v[4:5], v[12:13]
	v_fma_f64 v[190:191], v[190:191], v[6:7], v[200:201]
	v_fma_f64 v[6:7], v[188:189], v[6:7], -v[8:9]
	v_add_f64 v[8:9], v[202:203], 0
	v_add_f64 v[188:189], v[204:205], 0
	s_waitcnt vmcnt(8) lgkmcnt(0)
	v_mul_f64 v[200:201], v[196:197], v[16:17]
	v_mul_f64 v[16:17], v[198:199], v[16:17]
	v_fma_f64 v[202:203], v[4:5], v[10:11], v[206:207]
	v_fma_f64 v[10:11], v[2:3], v[10:11], -v[12:13]
	v_add_f64 v[12:13], v[8:9], v[6:7]
	v_add_f64 v[188:189], v[188:189], v[190:191]
	ds_load_b128 v[2:5], v1 offset:1392
	ds_load_b128 v[6:9], v1 offset:1408
	v_fma_f64 v[198:199], v[198:199], v[14:15], v[200:201]
	v_fma_f64 v[14:15], v[196:197], v[14:15], -v[16:17]
	s_waitcnt vmcnt(7) lgkmcnt(1)
	v_mul_f64 v[190:191], v[2:3], v[20:21]
	v_mul_f64 v[20:21], v[4:5], v[20:21]
	s_waitcnt vmcnt(6) lgkmcnt(0)
	v_mul_f64 v[16:17], v[6:7], v[24:25]
	v_mul_f64 v[24:25], v[8:9], v[24:25]
	v_add_f64 v[10:11], v[12:13], v[10:11]
	v_add_f64 v[12:13], v[188:189], v[202:203]
	v_fma_f64 v[188:189], v[4:5], v[18:19], v[190:191]
	v_fma_f64 v[18:19], v[2:3], v[18:19], -v[20:21]
	v_fma_f64 v[8:9], v[8:9], v[22:23], v[16:17]
	v_fma_f64 v[6:7], v[6:7], v[22:23], -v[24:25]
	v_add_f64 v[14:15], v[10:11], v[14:15]
	v_add_f64 v[20:21], v[12:13], v[198:199]
	ds_load_b128 v[2:5], v1 offset:1424
	ds_load_b128 v[10:13], v1 offset:1440
	s_waitcnt vmcnt(5) lgkmcnt(1)
	v_mul_f64 v[190:191], v[2:3], v[28:29]
	v_mul_f64 v[28:29], v[4:5], v[28:29]
	v_add_f64 v[14:15], v[14:15], v[18:19]
	v_add_f64 v[16:17], v[20:21], v[188:189]
	s_waitcnt vmcnt(4) lgkmcnt(0)
	v_mul_f64 v[18:19], v[10:11], v[32:33]
	v_mul_f64 v[20:21], v[12:13], v[32:33]
	v_fma_f64 v[22:23], v[4:5], v[26:27], v[190:191]
	v_fma_f64 v[24:25], v[2:3], v[26:27], -v[28:29]
	v_add_f64 v[14:15], v[14:15], v[6:7]
	v_add_f64 v[16:17], v[16:17], v[8:9]
	ds_load_b128 v[2:5], v1 offset:1456
	ds_load_b128 v[6:9], v1 offset:1472
	v_fma_f64 v[12:13], v[12:13], v[30:31], v[18:19]
	v_fma_f64 v[10:11], v[10:11], v[30:31], -v[20:21]
	s_waitcnt vmcnt(3) lgkmcnt(1)
	v_mul_f64 v[26:27], v[2:3], v[40:41]
	v_mul_f64 v[28:29], v[4:5], v[40:41]
	s_waitcnt vmcnt(1) lgkmcnt(0)
	v_mul_f64 v[18:19], v[6:7], v[194:195]
	v_mul_f64 v[20:21], v[8:9], v[194:195]
	v_add_f64 v[14:15], v[14:15], v[24:25]
	v_add_f64 v[16:17], v[16:17], v[22:23]
	v_fma_f64 v[22:23], v[4:5], v[38:39], v[26:27]
	v_fma_f64 v[24:25], v[2:3], v[38:39], -v[28:29]
	ds_load_b128 v[2:5], v1 offset:1488
	v_fma_f64 v[8:9], v[8:9], v[192:193], v[18:19]
	v_fma_f64 v[6:7], v[6:7], v[192:193], -v[20:21]
	v_add_f64 v[10:11], v[14:15], v[10:11]
	v_add_f64 v[12:13], v[16:17], v[12:13]
	s_waitcnt vmcnt(0) lgkmcnt(0)
	v_mul_f64 v[14:15], v[2:3], v[36:37]
	v_mul_f64 v[16:17], v[4:5], v[36:37]
	s_delay_alu instid0(VALU_DEP_4) | instskip(NEXT) | instid1(VALU_DEP_4)
	v_add_f64 v[10:11], v[10:11], v[24:25]
	v_add_f64 v[12:13], v[12:13], v[22:23]
	s_delay_alu instid0(VALU_DEP_4) | instskip(NEXT) | instid1(VALU_DEP_4)
	v_fma_f64 v[4:5], v[4:5], v[34:35], v[14:15]
	v_fma_f64 v[2:3], v[2:3], v[34:35], -v[16:17]
	s_delay_alu instid0(VALU_DEP_4) | instskip(NEXT) | instid1(VALU_DEP_4)
	v_add_f64 v[6:7], v[10:11], v[6:7]
	v_add_f64 v[8:9], v[12:13], v[8:9]
	s_delay_alu instid0(VALU_DEP_2) | instskip(NEXT) | instid1(VALU_DEP_2)
	v_add_f64 v[2:3], v[6:7], v[2:3]
	v_add_f64 v[4:5], v[8:9], v[4:5]
	s_delay_alu instid0(VALU_DEP_2) | instskip(NEXT) | instid1(VALU_DEP_2)
	v_add_f64 v[2:3], v[42:43], -v[2:3]
	v_add_f64 v[4:5], v[44:45], -v[4:5]
	scratch_store_b128 off, v[2:5], off offset:560
	v_cmpx_lt_u32_e32 34, v140
	s_cbranch_execz .LBB110_227
; %bb.226:
	scratch_load_b128 v[5:8], v144, off
	v_mov_b32_e32 v2, v1
	v_mov_b32_e32 v3, v1
	;; [unrolled: 1-line block ×3, first 2 shown]
	scratch_store_b128 off, v[1:4], off offset:544
	s_waitcnt vmcnt(0)
	ds_store_b128 v187, v[5:8]
.LBB110_227:
	s_or_b32 exec_lo, exec_lo, s2
	s_waitcnt lgkmcnt(0)
	s_waitcnt_vscnt null, 0x0
	s_barrier
	buffer_gl0_inv
	s_clause 0x8
	scratch_load_b128 v[2:5], off, off offset:560
	scratch_load_b128 v[6:9], off, off offset:576
	;; [unrolled: 1-line block ×9, first 2 shown]
	ds_load_b128 v[38:41], v1 offset:1312
	ds_load_b128 v[42:45], v1 offset:1328
	s_clause 0x1
	scratch_load_b128 v[188:191], off, off offset:544
	scratch_load_b128 v[192:195], off, off offset:704
	s_mov_b32 s2, exec_lo
	s_waitcnt vmcnt(10) lgkmcnt(1)
	v_mul_f64 v[196:197], v[40:41], v[4:5]
	v_mul_f64 v[4:5], v[38:39], v[4:5]
	s_waitcnt vmcnt(9) lgkmcnt(0)
	v_mul_f64 v[200:201], v[42:43], v[8:9]
	v_mul_f64 v[8:9], v[44:45], v[8:9]
	s_delay_alu instid0(VALU_DEP_4) | instskip(NEXT) | instid1(VALU_DEP_4)
	v_fma_f64 v[202:203], v[38:39], v[2:3], -v[196:197]
	v_fma_f64 v[204:205], v[40:41], v[2:3], v[4:5]
	ds_load_b128 v[2:5], v1 offset:1344
	ds_load_b128 v[196:199], v1 offset:1360
	scratch_load_b128 v[38:41], off, off offset:720
	v_fma_f64 v[44:45], v[44:45], v[6:7], v[200:201]
	v_fma_f64 v[42:43], v[42:43], v[6:7], -v[8:9]
	scratch_load_b128 v[6:9], off, off offset:736
	s_waitcnt vmcnt(10) lgkmcnt(1)
	v_mul_f64 v[206:207], v[2:3], v[12:13]
	v_mul_f64 v[12:13], v[4:5], v[12:13]
	v_add_f64 v[200:201], v[202:203], 0
	v_add_f64 v[202:203], v[204:205], 0
	s_waitcnt vmcnt(9) lgkmcnt(0)
	v_mul_f64 v[204:205], v[196:197], v[16:17]
	v_mul_f64 v[16:17], v[198:199], v[16:17]
	v_fma_f64 v[206:207], v[4:5], v[10:11], v[206:207]
	v_fma_f64 v[208:209], v[2:3], v[10:11], -v[12:13]
	ds_load_b128 v[2:5], v1 offset:1376
	ds_load_b128 v[10:13], v1 offset:1392
	v_add_f64 v[42:43], v[200:201], v[42:43]
	v_add_f64 v[44:45], v[202:203], v[44:45]
	v_fma_f64 v[198:199], v[198:199], v[14:15], v[204:205]
	v_fma_f64 v[14:15], v[196:197], v[14:15], -v[16:17]
	s_waitcnt vmcnt(8) lgkmcnt(1)
	v_mul_f64 v[200:201], v[2:3], v[20:21]
	v_mul_f64 v[20:21], v[4:5], v[20:21]
	v_add_f64 v[16:17], v[42:43], v[208:209]
	v_add_f64 v[42:43], v[44:45], v[206:207]
	s_waitcnt vmcnt(7) lgkmcnt(0)
	v_mul_f64 v[44:45], v[10:11], v[24:25]
	v_mul_f64 v[24:25], v[12:13], v[24:25]
	v_fma_f64 v[196:197], v[4:5], v[18:19], v[200:201]
	v_fma_f64 v[18:19], v[2:3], v[18:19], -v[20:21]
	v_add_f64 v[20:21], v[16:17], v[14:15]
	v_add_f64 v[42:43], v[42:43], v[198:199]
	ds_load_b128 v[2:5], v1 offset:1408
	ds_load_b128 v[14:17], v1 offset:1424
	v_fma_f64 v[12:13], v[12:13], v[22:23], v[44:45]
	v_fma_f64 v[10:11], v[10:11], v[22:23], -v[24:25]
	s_waitcnt vmcnt(6) lgkmcnt(1)
	v_mul_f64 v[198:199], v[2:3], v[28:29]
	v_mul_f64 v[28:29], v[4:5], v[28:29]
	s_waitcnt vmcnt(5) lgkmcnt(0)
	v_mul_f64 v[22:23], v[14:15], v[32:33]
	v_mul_f64 v[24:25], v[16:17], v[32:33]
	v_add_f64 v[18:19], v[20:21], v[18:19]
	v_add_f64 v[20:21], v[42:43], v[196:197]
	v_fma_f64 v[32:33], v[4:5], v[26:27], v[198:199]
	v_fma_f64 v[26:27], v[2:3], v[26:27], -v[28:29]
	v_fma_f64 v[16:17], v[16:17], v[30:31], v[22:23]
	v_fma_f64 v[14:15], v[14:15], v[30:31], -v[24:25]
	v_add_f64 v[18:19], v[18:19], v[10:11]
	v_add_f64 v[20:21], v[20:21], v[12:13]
	ds_load_b128 v[2:5], v1 offset:1440
	ds_load_b128 v[10:13], v1 offset:1456
	s_waitcnt vmcnt(4) lgkmcnt(1)
	v_mul_f64 v[28:29], v[2:3], v[36:37]
	v_mul_f64 v[36:37], v[4:5], v[36:37]
	s_waitcnt vmcnt(2) lgkmcnt(0)
	v_mul_f64 v[22:23], v[10:11], v[194:195]
	v_mul_f64 v[24:25], v[12:13], v[194:195]
	v_add_f64 v[18:19], v[18:19], v[26:27]
	v_add_f64 v[20:21], v[20:21], v[32:33]
	v_fma_f64 v[26:27], v[4:5], v[34:35], v[28:29]
	v_fma_f64 v[28:29], v[2:3], v[34:35], -v[36:37]
	v_fma_f64 v[12:13], v[12:13], v[192:193], v[22:23]
	v_fma_f64 v[10:11], v[10:11], v[192:193], -v[24:25]
	v_add_f64 v[18:19], v[18:19], v[14:15]
	v_add_f64 v[20:21], v[20:21], v[16:17]
	ds_load_b128 v[2:5], v1 offset:1472
	ds_load_b128 v[14:17], v1 offset:1488
	s_waitcnt vmcnt(1) lgkmcnt(1)
	v_mul_f64 v[30:31], v[2:3], v[40:41]
	v_mul_f64 v[32:33], v[4:5], v[40:41]
	s_waitcnt vmcnt(0) lgkmcnt(0)
	v_mul_f64 v[22:23], v[14:15], v[8:9]
	v_mul_f64 v[8:9], v[16:17], v[8:9]
	v_add_f64 v[18:19], v[18:19], v[28:29]
	v_add_f64 v[20:21], v[20:21], v[26:27]
	v_fma_f64 v[4:5], v[4:5], v[38:39], v[30:31]
	v_fma_f64 v[1:2], v[2:3], v[38:39], -v[32:33]
	v_fma_f64 v[16:17], v[16:17], v[6:7], v[22:23]
	v_fma_f64 v[6:7], v[14:15], v[6:7], -v[8:9]
	v_add_f64 v[10:11], v[18:19], v[10:11]
	v_add_f64 v[12:13], v[20:21], v[12:13]
	s_delay_alu instid0(VALU_DEP_2) | instskip(NEXT) | instid1(VALU_DEP_2)
	v_add_f64 v[1:2], v[10:11], v[1:2]
	v_add_f64 v[3:4], v[12:13], v[4:5]
	s_delay_alu instid0(VALU_DEP_2) | instskip(NEXT) | instid1(VALU_DEP_2)
	;; [unrolled: 3-line block ×3, first 2 shown]
	v_add_f64 v[1:2], v[188:189], -v[1:2]
	v_add_f64 v[3:4], v[190:191], -v[3:4]
	scratch_store_b128 off, v[1:4], off offset:544
	v_cmpx_lt_u32_e32 33, v140
	s_cbranch_execz .LBB110_229
; %bb.228:
	scratch_load_b128 v[1:4], v145, off
	v_mov_b32_e32 v5, 0
	s_delay_alu instid0(VALU_DEP_1)
	v_mov_b32_e32 v6, v5
	v_mov_b32_e32 v7, v5
	;; [unrolled: 1-line block ×3, first 2 shown]
	scratch_store_b128 off, v[5:8], off offset:528
	s_waitcnt vmcnt(0)
	ds_store_b128 v187, v[1:4]
.LBB110_229:
	s_or_b32 exec_lo, exec_lo, s2
	s_waitcnt lgkmcnt(0)
	s_waitcnt_vscnt null, 0x0
	s_barrier
	buffer_gl0_inv
	s_clause 0x7
	scratch_load_b128 v[2:5], off, off offset:544
	scratch_load_b128 v[6:9], off, off offset:560
	;; [unrolled: 1-line block ×8, first 2 shown]
	v_mov_b32_e32 v1, 0
	s_mov_b32 s2, exec_lo
	ds_load_b128 v[34:37], v1 offset:1296
	s_clause 0x1
	scratch_load_b128 v[38:41], off, off offset:672
	scratch_load_b128 v[42:45], off, off offset:528
	ds_load_b128 v[188:191], v1 offset:1312
	scratch_load_b128 v[192:195], off, off offset:688
	s_waitcnt vmcnt(10) lgkmcnt(1)
	v_mul_f64 v[196:197], v[36:37], v[4:5]
	v_mul_f64 v[4:5], v[34:35], v[4:5]
	s_delay_alu instid0(VALU_DEP_2) | instskip(NEXT) | instid1(VALU_DEP_2)
	v_fma_f64 v[202:203], v[34:35], v[2:3], -v[196:197]
	v_fma_f64 v[204:205], v[36:37], v[2:3], v[4:5]
	scratch_load_b128 v[34:37], off, off offset:704
	ds_load_b128 v[2:5], v1 offset:1328
	s_waitcnt vmcnt(10) lgkmcnt(1)
	v_mul_f64 v[200:201], v[188:189], v[8:9]
	v_mul_f64 v[8:9], v[190:191], v[8:9]
	ds_load_b128 v[196:199], v1 offset:1344
	s_waitcnt vmcnt(9) lgkmcnt(1)
	v_mul_f64 v[206:207], v[2:3], v[12:13]
	v_mul_f64 v[12:13], v[4:5], v[12:13]
	v_fma_f64 v[190:191], v[190:191], v[6:7], v[200:201]
	v_fma_f64 v[188:189], v[188:189], v[6:7], -v[8:9]
	v_add_f64 v[200:201], v[202:203], 0
	v_add_f64 v[202:203], v[204:205], 0
	scratch_load_b128 v[6:9], off, off offset:720
	v_fma_f64 v[206:207], v[4:5], v[10:11], v[206:207]
	v_fma_f64 v[208:209], v[2:3], v[10:11], -v[12:13]
	scratch_load_b128 v[10:13], off, off offset:736
	ds_load_b128 v[2:5], v1 offset:1360
	s_waitcnt vmcnt(10) lgkmcnt(1)
	v_mul_f64 v[204:205], v[196:197], v[16:17]
	v_mul_f64 v[16:17], v[198:199], v[16:17]
	v_add_f64 v[200:201], v[200:201], v[188:189]
	v_add_f64 v[202:203], v[202:203], v[190:191]
	s_waitcnt vmcnt(9) lgkmcnt(0)
	v_mul_f64 v[210:211], v[2:3], v[20:21]
	v_mul_f64 v[20:21], v[4:5], v[20:21]
	ds_load_b128 v[188:191], v1 offset:1376
	v_fma_f64 v[198:199], v[198:199], v[14:15], v[204:205]
	v_fma_f64 v[14:15], v[196:197], v[14:15], -v[16:17]
	v_add_f64 v[16:17], v[200:201], v[208:209]
	v_add_f64 v[196:197], v[202:203], v[206:207]
	s_waitcnt vmcnt(8) lgkmcnt(0)
	v_mul_f64 v[200:201], v[188:189], v[24:25]
	v_mul_f64 v[24:25], v[190:191], v[24:25]
	v_fma_f64 v[202:203], v[4:5], v[18:19], v[210:211]
	v_fma_f64 v[18:19], v[2:3], v[18:19], -v[20:21]
	v_add_f64 v[20:21], v[16:17], v[14:15]
	v_add_f64 v[196:197], v[196:197], v[198:199]
	ds_load_b128 v[2:5], v1 offset:1392
	ds_load_b128 v[14:17], v1 offset:1408
	v_fma_f64 v[190:191], v[190:191], v[22:23], v[200:201]
	v_fma_f64 v[22:23], v[188:189], v[22:23], -v[24:25]
	s_waitcnt vmcnt(7) lgkmcnt(1)
	v_mul_f64 v[198:199], v[2:3], v[28:29]
	v_mul_f64 v[28:29], v[4:5], v[28:29]
	s_waitcnt vmcnt(6) lgkmcnt(0)
	v_mul_f64 v[24:25], v[14:15], v[32:33]
	v_mul_f64 v[32:33], v[16:17], v[32:33]
	v_add_f64 v[18:19], v[20:21], v[18:19]
	v_add_f64 v[20:21], v[196:197], v[202:203]
	v_fma_f64 v[188:189], v[4:5], v[26:27], v[198:199]
	v_fma_f64 v[26:27], v[2:3], v[26:27], -v[28:29]
	v_fma_f64 v[16:17], v[16:17], v[30:31], v[24:25]
	v_fma_f64 v[14:15], v[14:15], v[30:31], -v[32:33]
	v_add_f64 v[22:23], v[18:19], v[22:23]
	v_add_f64 v[28:29], v[20:21], v[190:191]
	ds_load_b128 v[2:5], v1 offset:1424
	ds_load_b128 v[18:21], v1 offset:1440
	s_waitcnt vmcnt(5) lgkmcnt(1)
	v_mul_f64 v[190:191], v[2:3], v[40:41]
	v_mul_f64 v[40:41], v[4:5], v[40:41]
	v_add_f64 v[22:23], v[22:23], v[26:27]
	v_add_f64 v[24:25], v[28:29], v[188:189]
	s_waitcnt vmcnt(3) lgkmcnt(0)
	v_mul_f64 v[26:27], v[18:19], v[194:195]
	v_mul_f64 v[28:29], v[20:21], v[194:195]
	v_fma_f64 v[30:31], v[4:5], v[38:39], v[190:191]
	v_fma_f64 v[32:33], v[2:3], v[38:39], -v[40:41]
	v_add_f64 v[22:23], v[22:23], v[14:15]
	v_add_f64 v[24:25], v[24:25], v[16:17]
	ds_load_b128 v[2:5], v1 offset:1456
	ds_load_b128 v[14:17], v1 offset:1472
	v_fma_f64 v[20:21], v[20:21], v[192:193], v[26:27]
	v_fma_f64 v[18:19], v[18:19], v[192:193], -v[28:29]
	s_waitcnt vmcnt(2) lgkmcnt(1)
	v_mul_f64 v[38:39], v[2:3], v[36:37]
	v_mul_f64 v[36:37], v[4:5], v[36:37]
	v_add_f64 v[22:23], v[22:23], v[32:33]
	v_add_f64 v[24:25], v[24:25], v[30:31]
	s_waitcnt vmcnt(1) lgkmcnt(0)
	v_mul_f64 v[26:27], v[14:15], v[8:9]
	v_mul_f64 v[8:9], v[16:17], v[8:9]
	v_fma_f64 v[28:29], v[4:5], v[34:35], v[38:39]
	v_fma_f64 v[30:31], v[2:3], v[34:35], -v[36:37]
	ds_load_b128 v[2:5], v1 offset:1488
	v_add_f64 v[18:19], v[22:23], v[18:19]
	v_add_f64 v[20:21], v[24:25], v[20:21]
	s_waitcnt vmcnt(0) lgkmcnt(0)
	v_mul_f64 v[22:23], v[2:3], v[12:13]
	v_mul_f64 v[12:13], v[4:5], v[12:13]
	v_fma_f64 v[16:17], v[16:17], v[6:7], v[26:27]
	v_fma_f64 v[6:7], v[14:15], v[6:7], -v[8:9]
	v_add_f64 v[8:9], v[18:19], v[30:31]
	v_add_f64 v[14:15], v[20:21], v[28:29]
	v_fma_f64 v[4:5], v[4:5], v[10:11], v[22:23]
	v_fma_f64 v[2:3], v[2:3], v[10:11], -v[12:13]
	s_delay_alu instid0(VALU_DEP_4) | instskip(NEXT) | instid1(VALU_DEP_4)
	v_add_f64 v[6:7], v[8:9], v[6:7]
	v_add_f64 v[8:9], v[14:15], v[16:17]
	s_delay_alu instid0(VALU_DEP_2) | instskip(NEXT) | instid1(VALU_DEP_2)
	v_add_f64 v[2:3], v[6:7], v[2:3]
	v_add_f64 v[4:5], v[8:9], v[4:5]
	s_delay_alu instid0(VALU_DEP_2) | instskip(NEXT) | instid1(VALU_DEP_2)
	v_add_f64 v[2:3], v[42:43], -v[2:3]
	v_add_f64 v[4:5], v[44:45], -v[4:5]
	scratch_store_b128 off, v[2:5], off offset:528
	v_cmpx_lt_u32_e32 32, v140
	s_cbranch_execz .LBB110_231
; %bb.230:
	scratch_load_b128 v[5:8], v147, off
	v_mov_b32_e32 v2, v1
	v_mov_b32_e32 v3, v1
	v_mov_b32_e32 v4, v1
	scratch_store_b128 off, v[1:4], off offset:512
	s_waitcnt vmcnt(0)
	ds_store_b128 v187, v[5:8]
.LBB110_231:
	s_or_b32 exec_lo, exec_lo, s2
	s_waitcnt lgkmcnt(0)
	s_waitcnt_vscnt null, 0x0
	s_barrier
	buffer_gl0_inv
	s_clause 0x8
	scratch_load_b128 v[2:5], off, off offset:528
	scratch_load_b128 v[6:9], off, off offset:544
	;; [unrolled: 1-line block ×9, first 2 shown]
	ds_load_b128 v[38:41], v1 offset:1280
	ds_load_b128 v[42:45], v1 offset:1296
	s_clause 0x1
	scratch_load_b128 v[188:191], off, off offset:512
	scratch_load_b128 v[192:195], off, off offset:672
	s_mov_b32 s2, exec_lo
	s_waitcnt vmcnt(10) lgkmcnt(1)
	v_mul_f64 v[196:197], v[40:41], v[4:5]
	v_mul_f64 v[4:5], v[38:39], v[4:5]
	s_waitcnt vmcnt(9) lgkmcnt(0)
	v_mul_f64 v[200:201], v[42:43], v[8:9]
	v_mul_f64 v[8:9], v[44:45], v[8:9]
	s_delay_alu instid0(VALU_DEP_4) | instskip(NEXT) | instid1(VALU_DEP_4)
	v_fma_f64 v[202:203], v[38:39], v[2:3], -v[196:197]
	v_fma_f64 v[204:205], v[40:41], v[2:3], v[4:5]
	ds_load_b128 v[2:5], v1 offset:1312
	ds_load_b128 v[196:199], v1 offset:1328
	scratch_load_b128 v[38:41], off, off offset:688
	v_fma_f64 v[44:45], v[44:45], v[6:7], v[200:201]
	v_fma_f64 v[42:43], v[42:43], v[6:7], -v[8:9]
	scratch_load_b128 v[6:9], off, off offset:704
	s_waitcnt vmcnt(10) lgkmcnt(1)
	v_mul_f64 v[206:207], v[2:3], v[12:13]
	v_mul_f64 v[12:13], v[4:5], v[12:13]
	v_add_f64 v[200:201], v[202:203], 0
	v_add_f64 v[202:203], v[204:205], 0
	s_waitcnt vmcnt(9) lgkmcnt(0)
	v_mul_f64 v[204:205], v[196:197], v[16:17]
	v_mul_f64 v[16:17], v[198:199], v[16:17]
	v_fma_f64 v[206:207], v[4:5], v[10:11], v[206:207]
	v_fma_f64 v[208:209], v[2:3], v[10:11], -v[12:13]
	ds_load_b128 v[2:5], v1 offset:1344
	scratch_load_b128 v[10:13], off, off offset:720
	v_add_f64 v[200:201], v[200:201], v[42:43]
	v_add_f64 v[202:203], v[202:203], v[44:45]
	ds_load_b128 v[42:45], v1 offset:1360
	v_fma_f64 v[198:199], v[198:199], v[14:15], v[204:205]
	v_fma_f64 v[196:197], v[196:197], v[14:15], -v[16:17]
	scratch_load_b128 v[14:17], off, off offset:736
	s_waitcnt vmcnt(10) lgkmcnt(1)
	v_mul_f64 v[210:211], v[2:3], v[20:21]
	v_mul_f64 v[20:21], v[4:5], v[20:21]
	s_waitcnt vmcnt(9) lgkmcnt(0)
	v_mul_f64 v[204:205], v[42:43], v[24:25]
	v_mul_f64 v[24:25], v[44:45], v[24:25]
	v_add_f64 v[200:201], v[200:201], v[208:209]
	v_add_f64 v[202:203], v[202:203], v[206:207]
	v_fma_f64 v[206:207], v[4:5], v[18:19], v[210:211]
	v_fma_f64 v[208:209], v[2:3], v[18:19], -v[20:21]
	ds_load_b128 v[2:5], v1 offset:1376
	ds_load_b128 v[18:21], v1 offset:1392
	v_fma_f64 v[44:45], v[44:45], v[22:23], v[204:205]
	v_fma_f64 v[22:23], v[42:43], v[22:23], -v[24:25]
	v_add_f64 v[196:197], v[200:201], v[196:197]
	v_add_f64 v[198:199], v[202:203], v[198:199]
	s_waitcnt vmcnt(8) lgkmcnt(1)
	v_mul_f64 v[200:201], v[2:3], v[28:29]
	v_mul_f64 v[28:29], v[4:5], v[28:29]
	s_delay_alu instid0(VALU_DEP_4) | instskip(NEXT) | instid1(VALU_DEP_4)
	v_add_f64 v[24:25], v[196:197], v[208:209]
	v_add_f64 v[42:43], v[198:199], v[206:207]
	s_waitcnt vmcnt(7) lgkmcnt(0)
	v_mul_f64 v[196:197], v[18:19], v[32:33]
	v_mul_f64 v[32:33], v[20:21], v[32:33]
	v_fma_f64 v[198:199], v[4:5], v[26:27], v[200:201]
	v_fma_f64 v[26:27], v[2:3], v[26:27], -v[28:29]
	v_add_f64 v[28:29], v[24:25], v[22:23]
	v_add_f64 v[42:43], v[42:43], v[44:45]
	ds_load_b128 v[2:5], v1 offset:1408
	ds_load_b128 v[22:25], v1 offset:1424
	v_fma_f64 v[20:21], v[20:21], v[30:31], v[196:197]
	v_fma_f64 v[18:19], v[18:19], v[30:31], -v[32:33]
	s_waitcnt vmcnt(6) lgkmcnt(1)
	v_mul_f64 v[44:45], v[2:3], v[36:37]
	v_mul_f64 v[36:37], v[4:5], v[36:37]
	s_waitcnt vmcnt(4) lgkmcnt(0)
	v_mul_f64 v[30:31], v[22:23], v[194:195]
	v_mul_f64 v[32:33], v[24:25], v[194:195]
	v_add_f64 v[26:27], v[28:29], v[26:27]
	v_add_f64 v[28:29], v[42:43], v[198:199]
	v_fma_f64 v[42:43], v[4:5], v[34:35], v[44:45]
	v_fma_f64 v[34:35], v[2:3], v[34:35], -v[36:37]
	v_fma_f64 v[24:25], v[24:25], v[192:193], v[30:31]
	v_fma_f64 v[22:23], v[22:23], v[192:193], -v[32:33]
	v_add_f64 v[26:27], v[26:27], v[18:19]
	v_add_f64 v[28:29], v[28:29], v[20:21]
	ds_load_b128 v[2:5], v1 offset:1440
	ds_load_b128 v[18:21], v1 offset:1456
	s_waitcnt vmcnt(3) lgkmcnt(1)
	v_mul_f64 v[36:37], v[2:3], v[40:41]
	v_mul_f64 v[40:41], v[4:5], v[40:41]
	s_waitcnt vmcnt(2) lgkmcnt(0)
	v_mul_f64 v[30:31], v[18:19], v[8:9]
	v_mul_f64 v[8:9], v[20:21], v[8:9]
	v_add_f64 v[26:27], v[26:27], v[34:35]
	v_add_f64 v[28:29], v[28:29], v[42:43]
	v_fma_f64 v[32:33], v[4:5], v[38:39], v[36:37]
	v_fma_f64 v[34:35], v[2:3], v[38:39], -v[40:41]
	v_fma_f64 v[20:21], v[20:21], v[6:7], v[30:31]
	v_fma_f64 v[6:7], v[18:19], v[6:7], -v[8:9]
	v_add_f64 v[26:27], v[26:27], v[22:23]
	v_add_f64 v[28:29], v[28:29], v[24:25]
	ds_load_b128 v[2:5], v1 offset:1472
	ds_load_b128 v[22:25], v1 offset:1488
	s_waitcnt vmcnt(1) lgkmcnt(1)
	v_mul_f64 v[36:37], v[2:3], v[12:13]
	v_mul_f64 v[12:13], v[4:5], v[12:13]
	v_add_f64 v[8:9], v[26:27], v[34:35]
	v_add_f64 v[18:19], v[28:29], v[32:33]
	s_waitcnt vmcnt(0) lgkmcnt(0)
	v_mul_f64 v[26:27], v[22:23], v[16:17]
	v_mul_f64 v[16:17], v[24:25], v[16:17]
	v_fma_f64 v[4:5], v[4:5], v[10:11], v[36:37]
	v_fma_f64 v[1:2], v[2:3], v[10:11], -v[12:13]
	v_add_f64 v[6:7], v[8:9], v[6:7]
	v_add_f64 v[8:9], v[18:19], v[20:21]
	v_fma_f64 v[10:11], v[24:25], v[14:15], v[26:27]
	v_fma_f64 v[12:13], v[22:23], v[14:15], -v[16:17]
	s_delay_alu instid0(VALU_DEP_4) | instskip(NEXT) | instid1(VALU_DEP_4)
	v_add_f64 v[1:2], v[6:7], v[1:2]
	v_add_f64 v[3:4], v[8:9], v[4:5]
	s_delay_alu instid0(VALU_DEP_2) | instskip(NEXT) | instid1(VALU_DEP_2)
	v_add_f64 v[1:2], v[1:2], v[12:13]
	v_add_f64 v[3:4], v[3:4], v[10:11]
	s_delay_alu instid0(VALU_DEP_2) | instskip(NEXT) | instid1(VALU_DEP_2)
	v_add_f64 v[1:2], v[188:189], -v[1:2]
	v_add_f64 v[3:4], v[190:191], -v[3:4]
	scratch_store_b128 off, v[1:4], off offset:512
	v_cmpx_lt_u32_e32 31, v140
	s_cbranch_execz .LBB110_233
; %bb.232:
	scratch_load_b128 v[1:4], v149, off
	v_mov_b32_e32 v5, 0
	s_delay_alu instid0(VALU_DEP_1)
	v_mov_b32_e32 v6, v5
	v_mov_b32_e32 v7, v5
	v_mov_b32_e32 v8, v5
	scratch_store_b128 off, v[5:8], off offset:496
	s_waitcnt vmcnt(0)
	ds_store_b128 v187, v[1:4]
.LBB110_233:
	s_or_b32 exec_lo, exec_lo, s2
	s_waitcnt lgkmcnt(0)
	s_waitcnt_vscnt null, 0x0
	s_barrier
	buffer_gl0_inv
	s_clause 0x7
	scratch_load_b128 v[2:5], off, off offset:512
	scratch_load_b128 v[6:9], off, off offset:528
	;; [unrolled: 1-line block ×8, first 2 shown]
	v_mov_b32_e32 v1, 0
	s_mov_b32 s2, exec_lo
	ds_load_b128 v[34:37], v1 offset:1264
	s_clause 0x1
	scratch_load_b128 v[38:41], off, off offset:640
	scratch_load_b128 v[42:45], off, off offset:496
	ds_load_b128 v[188:191], v1 offset:1280
	scratch_load_b128 v[192:195], off, off offset:656
	s_waitcnt vmcnt(10) lgkmcnt(1)
	v_mul_f64 v[196:197], v[36:37], v[4:5]
	v_mul_f64 v[4:5], v[34:35], v[4:5]
	s_delay_alu instid0(VALU_DEP_2) | instskip(NEXT) | instid1(VALU_DEP_2)
	v_fma_f64 v[202:203], v[34:35], v[2:3], -v[196:197]
	v_fma_f64 v[204:205], v[36:37], v[2:3], v[4:5]
	scratch_load_b128 v[34:37], off, off offset:672
	ds_load_b128 v[2:5], v1 offset:1296
	s_waitcnt vmcnt(10) lgkmcnt(1)
	v_mul_f64 v[200:201], v[188:189], v[8:9]
	v_mul_f64 v[8:9], v[190:191], v[8:9]
	ds_load_b128 v[196:199], v1 offset:1312
	s_waitcnt vmcnt(9) lgkmcnt(1)
	v_mul_f64 v[206:207], v[2:3], v[12:13]
	v_mul_f64 v[12:13], v[4:5], v[12:13]
	v_fma_f64 v[190:191], v[190:191], v[6:7], v[200:201]
	v_fma_f64 v[188:189], v[188:189], v[6:7], -v[8:9]
	v_add_f64 v[200:201], v[202:203], 0
	v_add_f64 v[202:203], v[204:205], 0
	scratch_load_b128 v[6:9], off, off offset:688
	v_fma_f64 v[206:207], v[4:5], v[10:11], v[206:207]
	v_fma_f64 v[208:209], v[2:3], v[10:11], -v[12:13]
	scratch_load_b128 v[10:13], off, off offset:704
	ds_load_b128 v[2:5], v1 offset:1328
	s_waitcnt vmcnt(10) lgkmcnt(1)
	v_mul_f64 v[204:205], v[196:197], v[16:17]
	v_mul_f64 v[16:17], v[198:199], v[16:17]
	v_add_f64 v[200:201], v[200:201], v[188:189]
	v_add_f64 v[202:203], v[202:203], v[190:191]
	s_waitcnt vmcnt(9) lgkmcnt(0)
	v_mul_f64 v[210:211], v[2:3], v[20:21]
	v_mul_f64 v[20:21], v[4:5], v[20:21]
	ds_load_b128 v[188:191], v1 offset:1344
	v_fma_f64 v[198:199], v[198:199], v[14:15], v[204:205]
	v_fma_f64 v[196:197], v[196:197], v[14:15], -v[16:17]
	scratch_load_b128 v[14:17], off, off offset:720
	v_add_f64 v[200:201], v[200:201], v[208:209]
	v_add_f64 v[202:203], v[202:203], v[206:207]
	v_fma_f64 v[206:207], v[4:5], v[18:19], v[210:211]
	v_fma_f64 v[208:209], v[2:3], v[18:19], -v[20:21]
	scratch_load_b128 v[18:21], off, off offset:736
	ds_load_b128 v[2:5], v1 offset:1360
	s_waitcnt vmcnt(10) lgkmcnt(1)
	v_mul_f64 v[204:205], v[188:189], v[24:25]
	v_mul_f64 v[24:25], v[190:191], v[24:25]
	s_waitcnt vmcnt(9) lgkmcnt(0)
	v_mul_f64 v[210:211], v[2:3], v[28:29]
	v_mul_f64 v[28:29], v[4:5], v[28:29]
	v_add_f64 v[200:201], v[200:201], v[196:197]
	v_add_f64 v[202:203], v[202:203], v[198:199]
	ds_load_b128 v[196:199], v1 offset:1376
	v_fma_f64 v[190:191], v[190:191], v[22:23], v[204:205]
	v_fma_f64 v[22:23], v[188:189], v[22:23], -v[24:25]
	v_add_f64 v[24:25], v[200:201], v[208:209]
	v_add_f64 v[188:189], v[202:203], v[206:207]
	s_waitcnt vmcnt(8) lgkmcnt(0)
	v_mul_f64 v[200:201], v[196:197], v[32:33]
	v_mul_f64 v[32:33], v[198:199], v[32:33]
	v_fma_f64 v[202:203], v[4:5], v[26:27], v[210:211]
	v_fma_f64 v[26:27], v[2:3], v[26:27], -v[28:29]
	v_add_f64 v[28:29], v[24:25], v[22:23]
	v_add_f64 v[188:189], v[188:189], v[190:191]
	ds_load_b128 v[2:5], v1 offset:1392
	ds_load_b128 v[22:25], v1 offset:1408
	v_fma_f64 v[198:199], v[198:199], v[30:31], v[200:201]
	v_fma_f64 v[30:31], v[196:197], v[30:31], -v[32:33]
	s_waitcnt vmcnt(7) lgkmcnt(1)
	v_mul_f64 v[190:191], v[2:3], v[40:41]
	v_mul_f64 v[40:41], v[4:5], v[40:41]
	s_waitcnt vmcnt(5) lgkmcnt(0)
	v_mul_f64 v[32:33], v[22:23], v[194:195]
	v_add_f64 v[26:27], v[28:29], v[26:27]
	v_add_f64 v[28:29], v[188:189], v[202:203]
	v_mul_f64 v[188:189], v[24:25], v[194:195]
	v_fma_f64 v[190:191], v[4:5], v[38:39], v[190:191]
	v_fma_f64 v[38:39], v[2:3], v[38:39], -v[40:41]
	v_fma_f64 v[24:25], v[24:25], v[192:193], v[32:33]
	v_add_f64 v[30:31], v[26:27], v[30:31]
	v_add_f64 v[40:41], v[28:29], v[198:199]
	ds_load_b128 v[2:5], v1 offset:1424
	ds_load_b128 v[26:29], v1 offset:1440
	v_fma_f64 v[22:23], v[22:23], v[192:193], -v[188:189]
	s_waitcnt vmcnt(4) lgkmcnt(1)
	v_mul_f64 v[194:195], v[2:3], v[36:37]
	v_mul_f64 v[36:37], v[4:5], v[36:37]
	v_add_f64 v[30:31], v[30:31], v[38:39]
	v_add_f64 v[32:33], v[40:41], v[190:191]
	s_waitcnt vmcnt(3) lgkmcnt(0)
	v_mul_f64 v[38:39], v[26:27], v[8:9]
	v_mul_f64 v[8:9], v[28:29], v[8:9]
	v_fma_f64 v[40:41], v[4:5], v[34:35], v[194:195]
	v_fma_f64 v[34:35], v[2:3], v[34:35], -v[36:37]
	v_add_f64 v[30:31], v[30:31], v[22:23]
	v_add_f64 v[32:33], v[32:33], v[24:25]
	ds_load_b128 v[2:5], v1 offset:1456
	ds_load_b128 v[22:25], v1 offset:1472
	v_fma_f64 v[28:29], v[28:29], v[6:7], v[38:39]
	v_fma_f64 v[6:7], v[26:27], v[6:7], -v[8:9]
	s_waitcnt vmcnt(2) lgkmcnt(1)
	v_mul_f64 v[36:37], v[2:3], v[12:13]
	v_mul_f64 v[12:13], v[4:5], v[12:13]
	v_add_f64 v[8:9], v[30:31], v[34:35]
	v_add_f64 v[26:27], v[32:33], v[40:41]
	s_waitcnt vmcnt(1) lgkmcnt(0)
	v_mul_f64 v[30:31], v[22:23], v[16:17]
	v_mul_f64 v[16:17], v[24:25], v[16:17]
	v_fma_f64 v[32:33], v[4:5], v[10:11], v[36:37]
	v_fma_f64 v[10:11], v[2:3], v[10:11], -v[12:13]
	ds_load_b128 v[2:5], v1 offset:1488
	v_add_f64 v[6:7], v[8:9], v[6:7]
	v_add_f64 v[8:9], v[26:27], v[28:29]
	v_fma_f64 v[24:25], v[24:25], v[14:15], v[30:31]
	v_fma_f64 v[14:15], v[22:23], v[14:15], -v[16:17]
	s_waitcnt vmcnt(0) lgkmcnt(0)
	v_mul_f64 v[12:13], v[2:3], v[20:21]
	v_mul_f64 v[20:21], v[4:5], v[20:21]
	v_add_f64 v[6:7], v[6:7], v[10:11]
	v_add_f64 v[8:9], v[8:9], v[32:33]
	s_delay_alu instid0(VALU_DEP_4) | instskip(NEXT) | instid1(VALU_DEP_4)
	v_fma_f64 v[4:5], v[4:5], v[18:19], v[12:13]
	v_fma_f64 v[2:3], v[2:3], v[18:19], -v[20:21]
	s_delay_alu instid0(VALU_DEP_4) | instskip(NEXT) | instid1(VALU_DEP_4)
	v_add_f64 v[6:7], v[6:7], v[14:15]
	v_add_f64 v[8:9], v[8:9], v[24:25]
	s_delay_alu instid0(VALU_DEP_2) | instskip(NEXT) | instid1(VALU_DEP_2)
	v_add_f64 v[2:3], v[6:7], v[2:3]
	v_add_f64 v[4:5], v[8:9], v[4:5]
	s_delay_alu instid0(VALU_DEP_2) | instskip(NEXT) | instid1(VALU_DEP_2)
	v_add_f64 v[2:3], v[42:43], -v[2:3]
	v_add_f64 v[4:5], v[44:45], -v[4:5]
	scratch_store_b128 off, v[2:5], off offset:496
	v_cmpx_lt_u32_e32 30, v140
	s_cbranch_execz .LBB110_235
; %bb.234:
	scratch_load_b128 v[5:8], v151, off
	v_mov_b32_e32 v2, v1
	v_mov_b32_e32 v3, v1
	;; [unrolled: 1-line block ×3, first 2 shown]
	scratch_store_b128 off, v[1:4], off offset:480
	s_waitcnt vmcnt(0)
	ds_store_b128 v187, v[5:8]
.LBB110_235:
	s_or_b32 exec_lo, exec_lo, s2
	s_waitcnt lgkmcnt(0)
	s_waitcnt_vscnt null, 0x0
	s_barrier
	buffer_gl0_inv
	s_clause 0x8
	scratch_load_b128 v[2:5], off, off offset:496
	scratch_load_b128 v[6:9], off, off offset:512
	;; [unrolled: 1-line block ×9, first 2 shown]
	ds_load_b128 v[38:41], v1 offset:1248
	ds_load_b128 v[42:45], v1 offset:1264
	s_clause 0x1
	scratch_load_b128 v[188:191], off, off offset:480
	scratch_load_b128 v[192:195], off, off offset:640
	s_mov_b32 s2, exec_lo
	s_waitcnt vmcnt(10) lgkmcnt(1)
	v_mul_f64 v[196:197], v[40:41], v[4:5]
	v_mul_f64 v[4:5], v[38:39], v[4:5]
	s_waitcnt vmcnt(9) lgkmcnt(0)
	v_mul_f64 v[200:201], v[42:43], v[8:9]
	v_mul_f64 v[8:9], v[44:45], v[8:9]
	s_delay_alu instid0(VALU_DEP_4) | instskip(NEXT) | instid1(VALU_DEP_4)
	v_fma_f64 v[202:203], v[38:39], v[2:3], -v[196:197]
	v_fma_f64 v[204:205], v[40:41], v[2:3], v[4:5]
	ds_load_b128 v[2:5], v1 offset:1280
	ds_load_b128 v[196:199], v1 offset:1296
	scratch_load_b128 v[38:41], off, off offset:656
	v_fma_f64 v[44:45], v[44:45], v[6:7], v[200:201]
	v_fma_f64 v[42:43], v[42:43], v[6:7], -v[8:9]
	scratch_load_b128 v[6:9], off, off offset:672
	s_waitcnt vmcnt(10) lgkmcnt(1)
	v_mul_f64 v[206:207], v[2:3], v[12:13]
	v_mul_f64 v[12:13], v[4:5], v[12:13]
	v_add_f64 v[200:201], v[202:203], 0
	v_add_f64 v[202:203], v[204:205], 0
	s_waitcnt vmcnt(9) lgkmcnt(0)
	v_mul_f64 v[204:205], v[196:197], v[16:17]
	v_mul_f64 v[16:17], v[198:199], v[16:17]
	v_fma_f64 v[206:207], v[4:5], v[10:11], v[206:207]
	v_fma_f64 v[208:209], v[2:3], v[10:11], -v[12:13]
	ds_load_b128 v[2:5], v1 offset:1312
	scratch_load_b128 v[10:13], off, off offset:688
	v_add_f64 v[200:201], v[200:201], v[42:43]
	v_add_f64 v[202:203], v[202:203], v[44:45]
	ds_load_b128 v[42:45], v1 offset:1328
	v_fma_f64 v[198:199], v[198:199], v[14:15], v[204:205]
	v_fma_f64 v[196:197], v[196:197], v[14:15], -v[16:17]
	scratch_load_b128 v[14:17], off, off offset:704
	s_waitcnt vmcnt(10) lgkmcnt(1)
	v_mul_f64 v[210:211], v[2:3], v[20:21]
	v_mul_f64 v[20:21], v[4:5], v[20:21]
	s_waitcnt vmcnt(9) lgkmcnt(0)
	v_mul_f64 v[204:205], v[42:43], v[24:25]
	v_mul_f64 v[24:25], v[44:45], v[24:25]
	v_add_f64 v[200:201], v[200:201], v[208:209]
	v_add_f64 v[202:203], v[202:203], v[206:207]
	v_fma_f64 v[206:207], v[4:5], v[18:19], v[210:211]
	v_fma_f64 v[208:209], v[2:3], v[18:19], -v[20:21]
	ds_load_b128 v[2:5], v1 offset:1344
	scratch_load_b128 v[18:21], off, off offset:720
	v_fma_f64 v[44:45], v[44:45], v[22:23], v[204:205]
	v_fma_f64 v[42:43], v[42:43], v[22:23], -v[24:25]
	scratch_load_b128 v[22:25], off, off offset:736
	v_add_f64 v[200:201], v[200:201], v[196:197]
	v_add_f64 v[202:203], v[202:203], v[198:199]
	ds_load_b128 v[196:199], v1 offset:1360
	s_waitcnt vmcnt(10) lgkmcnt(1)
	v_mul_f64 v[210:211], v[2:3], v[28:29]
	v_mul_f64 v[28:29], v[4:5], v[28:29]
	s_waitcnt vmcnt(9) lgkmcnt(0)
	v_mul_f64 v[204:205], v[196:197], v[32:33]
	v_mul_f64 v[32:33], v[198:199], v[32:33]
	v_add_f64 v[200:201], v[200:201], v[208:209]
	v_add_f64 v[202:203], v[202:203], v[206:207]
	v_fma_f64 v[206:207], v[4:5], v[26:27], v[210:211]
	v_fma_f64 v[208:209], v[2:3], v[26:27], -v[28:29]
	ds_load_b128 v[2:5], v1 offset:1376
	ds_load_b128 v[26:29], v1 offset:1392
	v_fma_f64 v[198:199], v[198:199], v[30:31], v[204:205]
	v_fma_f64 v[30:31], v[196:197], v[30:31], -v[32:33]
	v_add_f64 v[42:43], v[200:201], v[42:43]
	v_add_f64 v[44:45], v[202:203], v[44:45]
	s_waitcnt vmcnt(8) lgkmcnt(1)
	v_mul_f64 v[200:201], v[2:3], v[36:37]
	v_mul_f64 v[36:37], v[4:5], v[36:37]
	s_delay_alu instid0(VALU_DEP_4) | instskip(NEXT) | instid1(VALU_DEP_4)
	v_add_f64 v[32:33], v[42:43], v[208:209]
	v_add_f64 v[42:43], v[44:45], v[206:207]
	s_waitcnt vmcnt(6) lgkmcnt(0)
	v_mul_f64 v[44:45], v[26:27], v[194:195]
	v_mul_f64 v[194:195], v[28:29], v[194:195]
	v_fma_f64 v[196:197], v[4:5], v[34:35], v[200:201]
	v_fma_f64 v[34:35], v[2:3], v[34:35], -v[36:37]
	v_add_f64 v[36:37], v[32:33], v[30:31]
	v_add_f64 v[42:43], v[42:43], v[198:199]
	ds_load_b128 v[2:5], v1 offset:1408
	ds_load_b128 v[30:33], v1 offset:1424
	v_fma_f64 v[28:29], v[28:29], v[192:193], v[44:45]
	v_fma_f64 v[26:27], v[26:27], v[192:193], -v[194:195]
	s_waitcnt vmcnt(5) lgkmcnt(1)
	v_mul_f64 v[198:199], v[2:3], v[40:41]
	v_mul_f64 v[40:41], v[4:5], v[40:41]
	v_add_f64 v[34:35], v[36:37], v[34:35]
	v_add_f64 v[36:37], v[42:43], v[196:197]
	s_waitcnt vmcnt(4) lgkmcnt(0)
	v_mul_f64 v[42:43], v[30:31], v[8:9]
	v_mul_f64 v[8:9], v[32:33], v[8:9]
	v_fma_f64 v[44:45], v[4:5], v[38:39], v[198:199]
	v_fma_f64 v[38:39], v[2:3], v[38:39], -v[40:41]
	v_add_f64 v[34:35], v[34:35], v[26:27]
	v_add_f64 v[36:37], v[36:37], v[28:29]
	ds_load_b128 v[2:5], v1 offset:1440
	ds_load_b128 v[26:29], v1 offset:1456
	v_fma_f64 v[32:33], v[32:33], v[6:7], v[42:43]
	v_fma_f64 v[6:7], v[30:31], v[6:7], -v[8:9]
	s_waitcnt vmcnt(3) lgkmcnt(1)
	v_mul_f64 v[40:41], v[2:3], v[12:13]
	v_mul_f64 v[12:13], v[4:5], v[12:13]
	;; [unrolled: 16-line block ×3, first 2 shown]
	s_waitcnt vmcnt(0) lgkmcnt(0)
	v_mul_f64 v[16:17], v[6:7], v[24:25]
	v_mul_f64 v[24:25], v[8:9], v[24:25]
	v_add_f64 v[10:11], v[12:13], v[10:11]
	v_add_f64 v[12:13], v[30:31], v[36:37]
	v_fma_f64 v[4:5], v[4:5], v[18:19], v[32:33]
	v_fma_f64 v[1:2], v[2:3], v[18:19], -v[20:21]
	v_fma_f64 v[8:9], v[8:9], v[22:23], v[16:17]
	v_fma_f64 v[6:7], v[6:7], v[22:23], -v[24:25]
	v_add_f64 v[10:11], v[10:11], v[14:15]
	v_add_f64 v[12:13], v[12:13], v[28:29]
	s_delay_alu instid0(VALU_DEP_2) | instskip(NEXT) | instid1(VALU_DEP_2)
	v_add_f64 v[1:2], v[10:11], v[1:2]
	v_add_f64 v[3:4], v[12:13], v[4:5]
	s_delay_alu instid0(VALU_DEP_2) | instskip(NEXT) | instid1(VALU_DEP_2)
	;; [unrolled: 3-line block ×3, first 2 shown]
	v_add_f64 v[1:2], v[188:189], -v[1:2]
	v_add_f64 v[3:4], v[190:191], -v[3:4]
	scratch_store_b128 off, v[1:4], off offset:480
	v_cmpx_lt_u32_e32 29, v140
	s_cbranch_execz .LBB110_237
; %bb.236:
	scratch_load_b128 v[1:4], v153, off
	v_mov_b32_e32 v5, 0
	s_delay_alu instid0(VALU_DEP_1)
	v_mov_b32_e32 v6, v5
	v_mov_b32_e32 v7, v5
	;; [unrolled: 1-line block ×3, first 2 shown]
	scratch_store_b128 off, v[5:8], off offset:464
	s_waitcnt vmcnt(0)
	ds_store_b128 v187, v[1:4]
.LBB110_237:
	s_or_b32 exec_lo, exec_lo, s2
	s_waitcnt lgkmcnt(0)
	s_waitcnt_vscnt null, 0x0
	s_barrier
	buffer_gl0_inv
	s_clause 0x7
	scratch_load_b128 v[2:5], off, off offset:480
	scratch_load_b128 v[6:9], off, off offset:496
	;; [unrolled: 1-line block ×8, first 2 shown]
	v_mov_b32_e32 v1, 0
	s_mov_b32 s2, exec_lo
	ds_load_b128 v[34:37], v1 offset:1232
	s_clause 0x1
	scratch_load_b128 v[38:41], off, off offset:608
	scratch_load_b128 v[42:45], off, off offset:464
	ds_load_b128 v[188:191], v1 offset:1248
	scratch_load_b128 v[192:195], off, off offset:624
	s_waitcnt vmcnt(10) lgkmcnt(1)
	v_mul_f64 v[196:197], v[36:37], v[4:5]
	v_mul_f64 v[4:5], v[34:35], v[4:5]
	s_delay_alu instid0(VALU_DEP_2) | instskip(NEXT) | instid1(VALU_DEP_2)
	v_fma_f64 v[202:203], v[34:35], v[2:3], -v[196:197]
	v_fma_f64 v[204:205], v[36:37], v[2:3], v[4:5]
	scratch_load_b128 v[34:37], off, off offset:640
	ds_load_b128 v[2:5], v1 offset:1264
	s_waitcnt vmcnt(10) lgkmcnt(1)
	v_mul_f64 v[200:201], v[188:189], v[8:9]
	v_mul_f64 v[8:9], v[190:191], v[8:9]
	ds_load_b128 v[196:199], v1 offset:1280
	s_waitcnt vmcnt(9) lgkmcnt(1)
	v_mul_f64 v[206:207], v[2:3], v[12:13]
	v_mul_f64 v[12:13], v[4:5], v[12:13]
	v_fma_f64 v[190:191], v[190:191], v[6:7], v[200:201]
	v_fma_f64 v[188:189], v[188:189], v[6:7], -v[8:9]
	v_add_f64 v[200:201], v[202:203], 0
	v_add_f64 v[202:203], v[204:205], 0
	scratch_load_b128 v[6:9], off, off offset:656
	v_fma_f64 v[206:207], v[4:5], v[10:11], v[206:207]
	v_fma_f64 v[208:209], v[2:3], v[10:11], -v[12:13]
	scratch_load_b128 v[10:13], off, off offset:672
	ds_load_b128 v[2:5], v1 offset:1296
	s_waitcnt vmcnt(10) lgkmcnt(1)
	v_mul_f64 v[204:205], v[196:197], v[16:17]
	v_mul_f64 v[16:17], v[198:199], v[16:17]
	v_add_f64 v[200:201], v[200:201], v[188:189]
	v_add_f64 v[202:203], v[202:203], v[190:191]
	s_waitcnt vmcnt(9) lgkmcnt(0)
	v_mul_f64 v[210:211], v[2:3], v[20:21]
	v_mul_f64 v[20:21], v[4:5], v[20:21]
	ds_load_b128 v[188:191], v1 offset:1312
	v_fma_f64 v[198:199], v[198:199], v[14:15], v[204:205]
	v_fma_f64 v[196:197], v[196:197], v[14:15], -v[16:17]
	scratch_load_b128 v[14:17], off, off offset:688
	v_add_f64 v[200:201], v[200:201], v[208:209]
	v_add_f64 v[202:203], v[202:203], v[206:207]
	v_fma_f64 v[206:207], v[4:5], v[18:19], v[210:211]
	v_fma_f64 v[208:209], v[2:3], v[18:19], -v[20:21]
	scratch_load_b128 v[18:21], off, off offset:704
	ds_load_b128 v[2:5], v1 offset:1328
	s_waitcnt vmcnt(10) lgkmcnt(1)
	v_mul_f64 v[204:205], v[188:189], v[24:25]
	v_mul_f64 v[24:25], v[190:191], v[24:25]
	s_waitcnt vmcnt(9) lgkmcnt(0)
	v_mul_f64 v[210:211], v[2:3], v[28:29]
	v_mul_f64 v[28:29], v[4:5], v[28:29]
	v_add_f64 v[200:201], v[200:201], v[196:197]
	v_add_f64 v[202:203], v[202:203], v[198:199]
	ds_load_b128 v[196:199], v1 offset:1344
	v_fma_f64 v[190:191], v[190:191], v[22:23], v[204:205]
	v_fma_f64 v[188:189], v[188:189], v[22:23], -v[24:25]
	scratch_load_b128 v[22:25], off, off offset:720
	v_add_f64 v[200:201], v[200:201], v[208:209]
	v_add_f64 v[202:203], v[202:203], v[206:207]
	v_fma_f64 v[206:207], v[4:5], v[26:27], v[210:211]
	v_fma_f64 v[208:209], v[2:3], v[26:27], -v[28:29]
	scratch_load_b128 v[26:29], off, off offset:736
	ds_load_b128 v[2:5], v1 offset:1360
	s_waitcnt vmcnt(10) lgkmcnt(1)
	v_mul_f64 v[204:205], v[196:197], v[32:33]
	v_mul_f64 v[32:33], v[198:199], v[32:33]
	s_waitcnt vmcnt(9) lgkmcnt(0)
	v_mul_f64 v[210:211], v[2:3], v[40:41]
	v_mul_f64 v[40:41], v[4:5], v[40:41]
	v_add_f64 v[200:201], v[200:201], v[188:189]
	v_add_f64 v[202:203], v[202:203], v[190:191]
	ds_load_b128 v[188:191], v1 offset:1376
	v_fma_f64 v[198:199], v[198:199], v[30:31], v[204:205]
	v_fma_f64 v[30:31], v[196:197], v[30:31], -v[32:33]
	v_add_f64 v[32:33], v[200:201], v[208:209]
	v_add_f64 v[196:197], v[202:203], v[206:207]
	s_waitcnt vmcnt(7) lgkmcnt(0)
	v_mul_f64 v[200:201], v[188:189], v[194:195]
	v_mul_f64 v[194:195], v[190:191], v[194:195]
	v_fma_f64 v[202:203], v[4:5], v[38:39], v[210:211]
	v_fma_f64 v[38:39], v[2:3], v[38:39], -v[40:41]
	v_add_f64 v[40:41], v[32:33], v[30:31]
	v_add_f64 v[196:197], v[196:197], v[198:199]
	ds_load_b128 v[2:5], v1 offset:1392
	ds_load_b128 v[30:33], v1 offset:1408
	v_fma_f64 v[190:191], v[190:191], v[192:193], v[200:201]
	v_fma_f64 v[188:189], v[188:189], v[192:193], -v[194:195]
	s_waitcnt vmcnt(6) lgkmcnt(1)
	v_mul_f64 v[198:199], v[2:3], v[36:37]
	v_mul_f64 v[36:37], v[4:5], v[36:37]
	v_add_f64 v[38:39], v[40:41], v[38:39]
	v_add_f64 v[40:41], v[196:197], v[202:203]
	s_waitcnt vmcnt(5) lgkmcnt(0)
	v_mul_f64 v[192:193], v[30:31], v[8:9]
	v_mul_f64 v[8:9], v[32:33], v[8:9]
	v_fma_f64 v[194:195], v[4:5], v[34:35], v[198:199]
	v_fma_f64 v[196:197], v[2:3], v[34:35], -v[36:37]
	ds_load_b128 v[2:5], v1 offset:1424
	ds_load_b128 v[34:37], v1 offset:1440
	v_add_f64 v[38:39], v[38:39], v[188:189]
	v_add_f64 v[40:41], v[40:41], v[190:191]
	s_waitcnt vmcnt(4) lgkmcnt(1)
	v_mul_f64 v[188:189], v[2:3], v[12:13]
	v_mul_f64 v[12:13], v[4:5], v[12:13]
	v_fma_f64 v[32:33], v[32:33], v[6:7], v[192:193]
	v_fma_f64 v[6:7], v[30:31], v[6:7], -v[8:9]
	v_add_f64 v[8:9], v[38:39], v[196:197]
	v_add_f64 v[30:31], v[40:41], v[194:195]
	s_waitcnt vmcnt(3) lgkmcnt(0)
	v_mul_f64 v[38:39], v[34:35], v[16:17]
	v_mul_f64 v[16:17], v[36:37], v[16:17]
	v_fma_f64 v[40:41], v[4:5], v[10:11], v[188:189]
	v_fma_f64 v[10:11], v[2:3], v[10:11], -v[12:13]
	v_add_f64 v[12:13], v[8:9], v[6:7]
	v_add_f64 v[30:31], v[30:31], v[32:33]
	ds_load_b128 v[2:5], v1 offset:1456
	ds_load_b128 v[6:9], v1 offset:1472
	v_fma_f64 v[36:37], v[36:37], v[14:15], v[38:39]
	v_fma_f64 v[14:15], v[34:35], v[14:15], -v[16:17]
	s_waitcnt vmcnt(2) lgkmcnt(1)
	v_mul_f64 v[32:33], v[2:3], v[20:21]
	v_mul_f64 v[20:21], v[4:5], v[20:21]
	s_waitcnt vmcnt(1) lgkmcnt(0)
	v_mul_f64 v[16:17], v[6:7], v[24:25]
	v_mul_f64 v[24:25], v[8:9], v[24:25]
	v_add_f64 v[10:11], v[12:13], v[10:11]
	v_add_f64 v[12:13], v[30:31], v[40:41]
	v_fma_f64 v[30:31], v[4:5], v[18:19], v[32:33]
	v_fma_f64 v[18:19], v[2:3], v[18:19], -v[20:21]
	ds_load_b128 v[2:5], v1 offset:1488
	v_fma_f64 v[8:9], v[8:9], v[22:23], v[16:17]
	v_fma_f64 v[6:7], v[6:7], v[22:23], -v[24:25]
	v_add_f64 v[10:11], v[10:11], v[14:15]
	v_add_f64 v[12:13], v[12:13], v[36:37]
	s_waitcnt vmcnt(0) lgkmcnt(0)
	v_mul_f64 v[14:15], v[2:3], v[28:29]
	v_mul_f64 v[20:21], v[4:5], v[28:29]
	s_delay_alu instid0(VALU_DEP_4) | instskip(NEXT) | instid1(VALU_DEP_4)
	v_add_f64 v[10:11], v[10:11], v[18:19]
	v_add_f64 v[12:13], v[12:13], v[30:31]
	s_delay_alu instid0(VALU_DEP_4) | instskip(NEXT) | instid1(VALU_DEP_4)
	v_fma_f64 v[4:5], v[4:5], v[26:27], v[14:15]
	v_fma_f64 v[2:3], v[2:3], v[26:27], -v[20:21]
	s_delay_alu instid0(VALU_DEP_4) | instskip(NEXT) | instid1(VALU_DEP_4)
	v_add_f64 v[6:7], v[10:11], v[6:7]
	v_add_f64 v[8:9], v[12:13], v[8:9]
	s_delay_alu instid0(VALU_DEP_2) | instskip(NEXT) | instid1(VALU_DEP_2)
	v_add_f64 v[2:3], v[6:7], v[2:3]
	v_add_f64 v[4:5], v[8:9], v[4:5]
	s_delay_alu instid0(VALU_DEP_2) | instskip(NEXT) | instid1(VALU_DEP_2)
	v_add_f64 v[2:3], v[42:43], -v[2:3]
	v_add_f64 v[4:5], v[44:45], -v[4:5]
	scratch_store_b128 off, v[2:5], off offset:464
	v_cmpx_lt_u32_e32 28, v140
	s_cbranch_execz .LBB110_239
; %bb.238:
	scratch_load_b128 v[5:8], v154, off
	v_mov_b32_e32 v2, v1
	v_mov_b32_e32 v3, v1
	;; [unrolled: 1-line block ×3, first 2 shown]
	scratch_store_b128 off, v[1:4], off offset:448
	s_waitcnt vmcnt(0)
	ds_store_b128 v187, v[5:8]
.LBB110_239:
	s_or_b32 exec_lo, exec_lo, s2
	s_waitcnt lgkmcnt(0)
	s_waitcnt_vscnt null, 0x0
	s_barrier
	buffer_gl0_inv
	s_clause 0x8
	scratch_load_b128 v[2:5], off, off offset:464
	scratch_load_b128 v[6:9], off, off offset:480
	;; [unrolled: 1-line block ×9, first 2 shown]
	ds_load_b128 v[38:41], v1 offset:1216
	ds_load_b128 v[42:45], v1 offset:1232
	s_clause 0x1
	scratch_load_b128 v[188:191], off, off offset:448
	scratch_load_b128 v[192:195], off, off offset:608
	s_mov_b32 s2, exec_lo
	s_waitcnt vmcnt(10) lgkmcnt(1)
	v_mul_f64 v[196:197], v[40:41], v[4:5]
	v_mul_f64 v[4:5], v[38:39], v[4:5]
	s_waitcnt vmcnt(9) lgkmcnt(0)
	v_mul_f64 v[200:201], v[42:43], v[8:9]
	v_mul_f64 v[8:9], v[44:45], v[8:9]
	s_delay_alu instid0(VALU_DEP_4) | instskip(NEXT) | instid1(VALU_DEP_4)
	v_fma_f64 v[202:203], v[38:39], v[2:3], -v[196:197]
	v_fma_f64 v[204:205], v[40:41], v[2:3], v[4:5]
	ds_load_b128 v[2:5], v1 offset:1248
	ds_load_b128 v[196:199], v1 offset:1264
	scratch_load_b128 v[38:41], off, off offset:624
	v_fma_f64 v[44:45], v[44:45], v[6:7], v[200:201]
	v_fma_f64 v[42:43], v[42:43], v[6:7], -v[8:9]
	scratch_load_b128 v[6:9], off, off offset:640
	s_waitcnt vmcnt(10) lgkmcnt(1)
	v_mul_f64 v[206:207], v[2:3], v[12:13]
	v_mul_f64 v[12:13], v[4:5], v[12:13]
	v_add_f64 v[200:201], v[202:203], 0
	v_add_f64 v[202:203], v[204:205], 0
	s_waitcnt vmcnt(9) lgkmcnt(0)
	v_mul_f64 v[204:205], v[196:197], v[16:17]
	v_mul_f64 v[16:17], v[198:199], v[16:17]
	v_fma_f64 v[206:207], v[4:5], v[10:11], v[206:207]
	v_fma_f64 v[208:209], v[2:3], v[10:11], -v[12:13]
	ds_load_b128 v[2:5], v1 offset:1280
	scratch_load_b128 v[10:13], off, off offset:656
	v_add_f64 v[200:201], v[200:201], v[42:43]
	v_add_f64 v[202:203], v[202:203], v[44:45]
	ds_load_b128 v[42:45], v1 offset:1296
	v_fma_f64 v[198:199], v[198:199], v[14:15], v[204:205]
	v_fma_f64 v[196:197], v[196:197], v[14:15], -v[16:17]
	scratch_load_b128 v[14:17], off, off offset:672
	s_waitcnt vmcnt(10) lgkmcnt(1)
	v_mul_f64 v[210:211], v[2:3], v[20:21]
	v_mul_f64 v[20:21], v[4:5], v[20:21]
	s_waitcnt vmcnt(9) lgkmcnt(0)
	v_mul_f64 v[204:205], v[42:43], v[24:25]
	v_mul_f64 v[24:25], v[44:45], v[24:25]
	v_add_f64 v[200:201], v[200:201], v[208:209]
	v_add_f64 v[202:203], v[202:203], v[206:207]
	v_fma_f64 v[206:207], v[4:5], v[18:19], v[210:211]
	v_fma_f64 v[208:209], v[2:3], v[18:19], -v[20:21]
	ds_load_b128 v[2:5], v1 offset:1312
	scratch_load_b128 v[18:21], off, off offset:688
	v_fma_f64 v[44:45], v[44:45], v[22:23], v[204:205]
	v_fma_f64 v[42:43], v[42:43], v[22:23], -v[24:25]
	scratch_load_b128 v[22:25], off, off offset:704
	v_add_f64 v[200:201], v[200:201], v[196:197]
	v_add_f64 v[202:203], v[202:203], v[198:199]
	ds_load_b128 v[196:199], v1 offset:1328
	s_waitcnt vmcnt(10) lgkmcnt(1)
	v_mul_f64 v[210:211], v[2:3], v[28:29]
	v_mul_f64 v[28:29], v[4:5], v[28:29]
	s_waitcnt vmcnt(9) lgkmcnt(0)
	v_mul_f64 v[204:205], v[196:197], v[32:33]
	v_mul_f64 v[32:33], v[198:199], v[32:33]
	v_add_f64 v[200:201], v[200:201], v[208:209]
	v_add_f64 v[202:203], v[202:203], v[206:207]
	v_fma_f64 v[206:207], v[4:5], v[26:27], v[210:211]
	v_fma_f64 v[208:209], v[2:3], v[26:27], -v[28:29]
	ds_load_b128 v[2:5], v1 offset:1344
	scratch_load_b128 v[26:29], off, off offset:720
	v_fma_f64 v[198:199], v[198:199], v[30:31], v[204:205]
	v_fma_f64 v[196:197], v[196:197], v[30:31], -v[32:33]
	scratch_load_b128 v[30:33], off, off offset:736
	v_add_f64 v[200:201], v[200:201], v[42:43]
	v_add_f64 v[202:203], v[202:203], v[44:45]
	ds_load_b128 v[42:45], v1 offset:1360
	s_waitcnt vmcnt(10) lgkmcnt(1)
	v_mul_f64 v[210:211], v[2:3], v[36:37]
	v_mul_f64 v[36:37], v[4:5], v[36:37]
	s_waitcnt vmcnt(8) lgkmcnt(0)
	v_mul_f64 v[204:205], v[42:43], v[194:195]
	v_mul_f64 v[194:195], v[44:45], v[194:195]
	v_add_f64 v[200:201], v[200:201], v[208:209]
	v_add_f64 v[202:203], v[202:203], v[206:207]
	v_fma_f64 v[206:207], v[4:5], v[34:35], v[210:211]
	v_fma_f64 v[208:209], v[2:3], v[34:35], -v[36:37]
	ds_load_b128 v[2:5], v1 offset:1376
	ds_load_b128 v[34:37], v1 offset:1392
	v_fma_f64 v[44:45], v[44:45], v[192:193], v[204:205]
	v_fma_f64 v[42:43], v[42:43], v[192:193], -v[194:195]
	v_add_f64 v[196:197], v[200:201], v[196:197]
	v_add_f64 v[198:199], v[202:203], v[198:199]
	s_waitcnt vmcnt(7) lgkmcnt(1)
	v_mul_f64 v[200:201], v[2:3], v[40:41]
	v_mul_f64 v[40:41], v[4:5], v[40:41]
	s_delay_alu instid0(VALU_DEP_4) | instskip(NEXT) | instid1(VALU_DEP_4)
	v_add_f64 v[192:193], v[196:197], v[208:209]
	v_add_f64 v[194:195], v[198:199], v[206:207]
	s_waitcnt vmcnt(6) lgkmcnt(0)
	v_mul_f64 v[196:197], v[34:35], v[8:9]
	v_mul_f64 v[8:9], v[36:37], v[8:9]
	v_fma_f64 v[198:199], v[4:5], v[38:39], v[200:201]
	v_fma_f64 v[200:201], v[2:3], v[38:39], -v[40:41]
	ds_load_b128 v[2:5], v1 offset:1408
	ds_load_b128 v[38:41], v1 offset:1424
	v_add_f64 v[42:43], v[192:193], v[42:43]
	v_add_f64 v[44:45], v[194:195], v[44:45]
	v_fma_f64 v[36:37], v[36:37], v[6:7], v[196:197]
	s_waitcnt vmcnt(5) lgkmcnt(1)
	v_mul_f64 v[192:193], v[2:3], v[12:13]
	v_mul_f64 v[12:13], v[4:5], v[12:13]
	v_fma_f64 v[6:7], v[34:35], v[6:7], -v[8:9]
	v_add_f64 v[8:9], v[42:43], v[200:201]
	v_add_f64 v[34:35], v[44:45], v[198:199]
	s_waitcnt vmcnt(4) lgkmcnt(0)
	v_mul_f64 v[42:43], v[38:39], v[16:17]
	v_mul_f64 v[16:17], v[40:41], v[16:17]
	v_fma_f64 v[44:45], v[4:5], v[10:11], v[192:193]
	v_fma_f64 v[10:11], v[2:3], v[10:11], -v[12:13]
	v_add_f64 v[12:13], v[8:9], v[6:7]
	v_add_f64 v[34:35], v[34:35], v[36:37]
	ds_load_b128 v[2:5], v1 offset:1440
	ds_load_b128 v[6:9], v1 offset:1456
	v_fma_f64 v[40:41], v[40:41], v[14:15], v[42:43]
	v_fma_f64 v[14:15], v[38:39], v[14:15], -v[16:17]
	s_waitcnt vmcnt(3) lgkmcnt(1)
	v_mul_f64 v[36:37], v[2:3], v[20:21]
	v_mul_f64 v[20:21], v[4:5], v[20:21]
	s_waitcnt vmcnt(2) lgkmcnt(0)
	v_mul_f64 v[16:17], v[6:7], v[24:25]
	v_mul_f64 v[24:25], v[8:9], v[24:25]
	v_add_f64 v[10:11], v[12:13], v[10:11]
	v_add_f64 v[12:13], v[34:35], v[44:45]
	v_fma_f64 v[34:35], v[4:5], v[18:19], v[36:37]
	v_fma_f64 v[18:19], v[2:3], v[18:19], -v[20:21]
	v_fma_f64 v[8:9], v[8:9], v[22:23], v[16:17]
	v_fma_f64 v[6:7], v[6:7], v[22:23], -v[24:25]
	v_add_f64 v[14:15], v[10:11], v[14:15]
	v_add_f64 v[20:21], v[12:13], v[40:41]
	ds_load_b128 v[2:5], v1 offset:1472
	ds_load_b128 v[10:13], v1 offset:1488
	s_waitcnt vmcnt(1) lgkmcnt(1)
	v_mul_f64 v[36:37], v[2:3], v[28:29]
	v_mul_f64 v[28:29], v[4:5], v[28:29]
	v_add_f64 v[14:15], v[14:15], v[18:19]
	v_add_f64 v[16:17], v[20:21], v[34:35]
	s_waitcnt vmcnt(0) lgkmcnt(0)
	v_mul_f64 v[18:19], v[10:11], v[32:33]
	v_mul_f64 v[20:21], v[12:13], v[32:33]
	v_fma_f64 v[4:5], v[4:5], v[26:27], v[36:37]
	v_fma_f64 v[1:2], v[2:3], v[26:27], -v[28:29]
	v_add_f64 v[6:7], v[14:15], v[6:7]
	v_add_f64 v[8:9], v[16:17], v[8:9]
	v_fma_f64 v[12:13], v[12:13], v[30:31], v[18:19]
	v_fma_f64 v[10:11], v[10:11], v[30:31], -v[20:21]
	s_delay_alu instid0(VALU_DEP_4) | instskip(NEXT) | instid1(VALU_DEP_4)
	v_add_f64 v[1:2], v[6:7], v[1:2]
	v_add_f64 v[3:4], v[8:9], v[4:5]
	s_delay_alu instid0(VALU_DEP_2) | instskip(NEXT) | instid1(VALU_DEP_2)
	v_add_f64 v[1:2], v[1:2], v[10:11]
	v_add_f64 v[3:4], v[3:4], v[12:13]
	s_delay_alu instid0(VALU_DEP_2) | instskip(NEXT) | instid1(VALU_DEP_2)
	v_add_f64 v[1:2], v[188:189], -v[1:2]
	v_add_f64 v[3:4], v[190:191], -v[3:4]
	scratch_store_b128 off, v[1:4], off offset:448
	v_cmpx_lt_u32_e32 27, v140
	s_cbranch_execz .LBB110_241
; %bb.240:
	scratch_load_b128 v[1:4], v156, off
	v_mov_b32_e32 v5, 0
	s_delay_alu instid0(VALU_DEP_1)
	v_mov_b32_e32 v6, v5
	v_mov_b32_e32 v7, v5
	;; [unrolled: 1-line block ×3, first 2 shown]
	scratch_store_b128 off, v[5:8], off offset:432
	s_waitcnt vmcnt(0)
	ds_store_b128 v187, v[1:4]
.LBB110_241:
	s_or_b32 exec_lo, exec_lo, s2
	s_waitcnt lgkmcnt(0)
	s_waitcnt_vscnt null, 0x0
	s_barrier
	buffer_gl0_inv
	s_clause 0x7
	scratch_load_b128 v[2:5], off, off offset:448
	scratch_load_b128 v[6:9], off, off offset:464
	;; [unrolled: 1-line block ×8, first 2 shown]
	v_mov_b32_e32 v1, 0
	s_mov_b32 s2, exec_lo
	ds_load_b128 v[34:37], v1 offset:1200
	s_clause 0x1
	scratch_load_b128 v[38:41], off, off offset:576
	scratch_load_b128 v[42:45], off, off offset:432
	ds_load_b128 v[188:191], v1 offset:1216
	scratch_load_b128 v[192:195], off, off offset:592
	s_waitcnt vmcnt(10) lgkmcnt(1)
	v_mul_f64 v[196:197], v[36:37], v[4:5]
	v_mul_f64 v[4:5], v[34:35], v[4:5]
	s_delay_alu instid0(VALU_DEP_2) | instskip(NEXT) | instid1(VALU_DEP_2)
	v_fma_f64 v[202:203], v[34:35], v[2:3], -v[196:197]
	v_fma_f64 v[204:205], v[36:37], v[2:3], v[4:5]
	scratch_load_b128 v[34:37], off, off offset:608
	ds_load_b128 v[2:5], v1 offset:1232
	s_waitcnt vmcnt(10) lgkmcnt(1)
	v_mul_f64 v[200:201], v[188:189], v[8:9]
	v_mul_f64 v[8:9], v[190:191], v[8:9]
	ds_load_b128 v[196:199], v1 offset:1248
	s_waitcnt vmcnt(9) lgkmcnt(1)
	v_mul_f64 v[206:207], v[2:3], v[12:13]
	v_mul_f64 v[12:13], v[4:5], v[12:13]
	v_fma_f64 v[190:191], v[190:191], v[6:7], v[200:201]
	v_fma_f64 v[188:189], v[188:189], v[6:7], -v[8:9]
	v_add_f64 v[200:201], v[202:203], 0
	v_add_f64 v[202:203], v[204:205], 0
	scratch_load_b128 v[6:9], off, off offset:624
	v_fma_f64 v[206:207], v[4:5], v[10:11], v[206:207]
	v_fma_f64 v[208:209], v[2:3], v[10:11], -v[12:13]
	scratch_load_b128 v[10:13], off, off offset:640
	ds_load_b128 v[2:5], v1 offset:1264
	s_waitcnt vmcnt(10) lgkmcnt(1)
	v_mul_f64 v[204:205], v[196:197], v[16:17]
	v_mul_f64 v[16:17], v[198:199], v[16:17]
	v_add_f64 v[200:201], v[200:201], v[188:189]
	v_add_f64 v[202:203], v[202:203], v[190:191]
	s_waitcnt vmcnt(9) lgkmcnt(0)
	v_mul_f64 v[210:211], v[2:3], v[20:21]
	v_mul_f64 v[20:21], v[4:5], v[20:21]
	ds_load_b128 v[188:191], v1 offset:1280
	v_fma_f64 v[198:199], v[198:199], v[14:15], v[204:205]
	v_fma_f64 v[196:197], v[196:197], v[14:15], -v[16:17]
	scratch_load_b128 v[14:17], off, off offset:656
	v_add_f64 v[200:201], v[200:201], v[208:209]
	v_add_f64 v[202:203], v[202:203], v[206:207]
	v_fma_f64 v[206:207], v[4:5], v[18:19], v[210:211]
	v_fma_f64 v[208:209], v[2:3], v[18:19], -v[20:21]
	scratch_load_b128 v[18:21], off, off offset:672
	ds_load_b128 v[2:5], v1 offset:1296
	s_waitcnt vmcnt(10) lgkmcnt(1)
	v_mul_f64 v[204:205], v[188:189], v[24:25]
	v_mul_f64 v[24:25], v[190:191], v[24:25]
	s_waitcnt vmcnt(9) lgkmcnt(0)
	v_mul_f64 v[210:211], v[2:3], v[28:29]
	v_mul_f64 v[28:29], v[4:5], v[28:29]
	v_add_f64 v[200:201], v[200:201], v[196:197]
	v_add_f64 v[202:203], v[202:203], v[198:199]
	ds_load_b128 v[196:199], v1 offset:1312
	v_fma_f64 v[190:191], v[190:191], v[22:23], v[204:205]
	v_fma_f64 v[188:189], v[188:189], v[22:23], -v[24:25]
	scratch_load_b128 v[22:25], off, off offset:688
	v_add_f64 v[200:201], v[200:201], v[208:209]
	v_add_f64 v[202:203], v[202:203], v[206:207]
	v_fma_f64 v[206:207], v[4:5], v[26:27], v[210:211]
	v_fma_f64 v[208:209], v[2:3], v[26:27], -v[28:29]
	scratch_load_b128 v[26:29], off, off offset:704
	ds_load_b128 v[2:5], v1 offset:1328
	s_waitcnt vmcnt(10) lgkmcnt(1)
	v_mul_f64 v[204:205], v[196:197], v[32:33]
	v_mul_f64 v[32:33], v[198:199], v[32:33]
	s_waitcnt vmcnt(9) lgkmcnt(0)
	v_mul_f64 v[210:211], v[2:3], v[40:41]
	v_mul_f64 v[40:41], v[4:5], v[40:41]
	v_add_f64 v[200:201], v[200:201], v[188:189]
	v_add_f64 v[202:203], v[202:203], v[190:191]
	ds_load_b128 v[188:191], v1 offset:1344
	v_fma_f64 v[198:199], v[198:199], v[30:31], v[204:205]
	v_fma_f64 v[196:197], v[196:197], v[30:31], -v[32:33]
	scratch_load_b128 v[30:33], off, off offset:720
	v_add_f64 v[200:201], v[200:201], v[208:209]
	v_add_f64 v[202:203], v[202:203], v[206:207]
	v_fma_f64 v[208:209], v[4:5], v[38:39], v[210:211]
	v_fma_f64 v[210:211], v[2:3], v[38:39], -v[40:41]
	scratch_load_b128 v[38:41], off, off offset:736
	ds_load_b128 v[2:5], v1 offset:1360
	s_waitcnt vmcnt(9) lgkmcnt(1)
	v_mul_f64 v[204:205], v[188:189], v[194:195]
	v_mul_f64 v[206:207], v[190:191], v[194:195]
	v_add_f64 v[200:201], v[200:201], v[196:197]
	v_add_f64 v[198:199], v[202:203], v[198:199]
	ds_load_b128 v[194:197], v1 offset:1376
	v_fma_f64 v[190:191], v[190:191], v[192:193], v[204:205]
	v_fma_f64 v[188:189], v[188:189], v[192:193], -v[206:207]
	s_waitcnt vmcnt(8) lgkmcnt(1)
	v_mul_f64 v[202:203], v[2:3], v[36:37]
	v_mul_f64 v[36:37], v[4:5], v[36:37]
	v_add_f64 v[192:193], v[200:201], v[210:211]
	v_add_f64 v[198:199], v[198:199], v[208:209]
	s_delay_alu instid0(VALU_DEP_4) | instskip(NEXT) | instid1(VALU_DEP_4)
	v_fma_f64 v[202:203], v[4:5], v[34:35], v[202:203]
	v_fma_f64 v[204:205], v[2:3], v[34:35], -v[36:37]
	ds_load_b128 v[2:5], v1 offset:1392
	ds_load_b128 v[34:37], v1 offset:1408
	s_waitcnt vmcnt(7) lgkmcnt(2)
	v_mul_f64 v[200:201], v[194:195], v[8:9]
	v_mul_f64 v[8:9], v[196:197], v[8:9]
	v_add_f64 v[188:189], v[192:193], v[188:189]
	v_add_f64 v[190:191], v[198:199], v[190:191]
	s_waitcnt vmcnt(6) lgkmcnt(1)
	v_mul_f64 v[192:193], v[2:3], v[12:13]
	v_mul_f64 v[12:13], v[4:5], v[12:13]
	v_fma_f64 v[196:197], v[196:197], v[6:7], v[200:201]
	v_fma_f64 v[6:7], v[194:195], v[6:7], -v[8:9]
	v_add_f64 v[8:9], v[188:189], v[204:205]
	v_add_f64 v[188:189], v[190:191], v[202:203]
	s_waitcnt vmcnt(5) lgkmcnt(0)
	v_mul_f64 v[190:191], v[34:35], v[16:17]
	v_mul_f64 v[16:17], v[36:37], v[16:17]
	v_fma_f64 v[192:193], v[4:5], v[10:11], v[192:193]
	v_fma_f64 v[10:11], v[2:3], v[10:11], -v[12:13]
	v_add_f64 v[12:13], v[8:9], v[6:7]
	v_add_f64 v[188:189], v[188:189], v[196:197]
	ds_load_b128 v[2:5], v1 offset:1424
	ds_load_b128 v[6:9], v1 offset:1440
	v_fma_f64 v[36:37], v[36:37], v[14:15], v[190:191]
	v_fma_f64 v[14:15], v[34:35], v[14:15], -v[16:17]
	s_waitcnt vmcnt(4) lgkmcnt(1)
	v_mul_f64 v[194:195], v[2:3], v[20:21]
	v_mul_f64 v[20:21], v[4:5], v[20:21]
	s_waitcnt vmcnt(3) lgkmcnt(0)
	v_mul_f64 v[16:17], v[6:7], v[24:25]
	v_mul_f64 v[24:25], v[8:9], v[24:25]
	v_add_f64 v[10:11], v[12:13], v[10:11]
	v_add_f64 v[12:13], v[188:189], v[192:193]
	v_fma_f64 v[34:35], v[4:5], v[18:19], v[194:195]
	v_fma_f64 v[18:19], v[2:3], v[18:19], -v[20:21]
	v_fma_f64 v[8:9], v[8:9], v[22:23], v[16:17]
	v_fma_f64 v[6:7], v[6:7], v[22:23], -v[24:25]
	v_add_f64 v[14:15], v[10:11], v[14:15]
	v_add_f64 v[20:21], v[12:13], v[36:37]
	ds_load_b128 v[2:5], v1 offset:1456
	ds_load_b128 v[10:13], v1 offset:1472
	s_waitcnt vmcnt(2) lgkmcnt(1)
	v_mul_f64 v[36:37], v[2:3], v[28:29]
	v_mul_f64 v[28:29], v[4:5], v[28:29]
	v_add_f64 v[14:15], v[14:15], v[18:19]
	v_add_f64 v[16:17], v[20:21], v[34:35]
	s_waitcnt vmcnt(1) lgkmcnt(0)
	v_mul_f64 v[18:19], v[10:11], v[32:33]
	v_mul_f64 v[20:21], v[12:13], v[32:33]
	v_fma_f64 v[22:23], v[4:5], v[26:27], v[36:37]
	v_fma_f64 v[24:25], v[2:3], v[26:27], -v[28:29]
	ds_load_b128 v[2:5], v1 offset:1488
	v_add_f64 v[6:7], v[14:15], v[6:7]
	v_add_f64 v[8:9], v[16:17], v[8:9]
	v_fma_f64 v[12:13], v[12:13], v[30:31], v[18:19]
	v_fma_f64 v[10:11], v[10:11], v[30:31], -v[20:21]
	s_waitcnt vmcnt(0) lgkmcnt(0)
	v_mul_f64 v[14:15], v[2:3], v[40:41]
	v_mul_f64 v[16:17], v[4:5], v[40:41]
	v_add_f64 v[6:7], v[6:7], v[24:25]
	v_add_f64 v[8:9], v[8:9], v[22:23]
	s_delay_alu instid0(VALU_DEP_4) | instskip(NEXT) | instid1(VALU_DEP_4)
	v_fma_f64 v[4:5], v[4:5], v[38:39], v[14:15]
	v_fma_f64 v[2:3], v[2:3], v[38:39], -v[16:17]
	s_delay_alu instid0(VALU_DEP_4) | instskip(NEXT) | instid1(VALU_DEP_4)
	v_add_f64 v[6:7], v[6:7], v[10:11]
	v_add_f64 v[8:9], v[8:9], v[12:13]
	s_delay_alu instid0(VALU_DEP_2) | instskip(NEXT) | instid1(VALU_DEP_2)
	v_add_f64 v[2:3], v[6:7], v[2:3]
	v_add_f64 v[4:5], v[8:9], v[4:5]
	s_delay_alu instid0(VALU_DEP_2) | instskip(NEXT) | instid1(VALU_DEP_2)
	v_add_f64 v[2:3], v[42:43], -v[2:3]
	v_add_f64 v[4:5], v[44:45], -v[4:5]
	scratch_store_b128 off, v[2:5], off offset:432
	v_cmpx_lt_u32_e32 26, v140
	s_cbranch_execz .LBB110_243
; %bb.242:
	scratch_load_b128 v[5:8], v158, off
	v_mov_b32_e32 v2, v1
	v_mov_b32_e32 v3, v1
	v_mov_b32_e32 v4, v1
	scratch_store_b128 off, v[1:4], off offset:416
	s_waitcnt vmcnt(0)
	ds_store_b128 v187, v[5:8]
.LBB110_243:
	s_or_b32 exec_lo, exec_lo, s2
	s_waitcnt lgkmcnt(0)
	s_waitcnt_vscnt null, 0x0
	s_barrier
	buffer_gl0_inv
	s_clause 0x8
	scratch_load_b128 v[2:5], off, off offset:432
	scratch_load_b128 v[6:9], off, off offset:448
	;; [unrolled: 1-line block ×9, first 2 shown]
	ds_load_b128 v[38:41], v1 offset:1184
	ds_load_b128 v[42:45], v1 offset:1200
	s_clause 0x1
	scratch_load_b128 v[188:191], off, off offset:416
	scratch_load_b128 v[192:195], off, off offset:576
	s_mov_b32 s2, exec_lo
	s_waitcnt vmcnt(10) lgkmcnt(1)
	v_mul_f64 v[196:197], v[40:41], v[4:5]
	v_mul_f64 v[4:5], v[38:39], v[4:5]
	s_waitcnt vmcnt(9) lgkmcnt(0)
	v_mul_f64 v[200:201], v[42:43], v[8:9]
	v_mul_f64 v[8:9], v[44:45], v[8:9]
	s_delay_alu instid0(VALU_DEP_4) | instskip(NEXT) | instid1(VALU_DEP_4)
	v_fma_f64 v[202:203], v[38:39], v[2:3], -v[196:197]
	v_fma_f64 v[204:205], v[40:41], v[2:3], v[4:5]
	ds_load_b128 v[2:5], v1 offset:1216
	ds_load_b128 v[196:199], v1 offset:1232
	scratch_load_b128 v[38:41], off, off offset:592
	v_fma_f64 v[44:45], v[44:45], v[6:7], v[200:201]
	v_fma_f64 v[42:43], v[42:43], v[6:7], -v[8:9]
	scratch_load_b128 v[6:9], off, off offset:608
	s_waitcnt vmcnt(10) lgkmcnt(1)
	v_mul_f64 v[206:207], v[2:3], v[12:13]
	v_mul_f64 v[12:13], v[4:5], v[12:13]
	v_add_f64 v[200:201], v[202:203], 0
	v_add_f64 v[202:203], v[204:205], 0
	s_waitcnt vmcnt(9) lgkmcnt(0)
	v_mul_f64 v[204:205], v[196:197], v[16:17]
	v_mul_f64 v[16:17], v[198:199], v[16:17]
	v_fma_f64 v[206:207], v[4:5], v[10:11], v[206:207]
	v_fma_f64 v[208:209], v[2:3], v[10:11], -v[12:13]
	ds_load_b128 v[2:5], v1 offset:1248
	scratch_load_b128 v[10:13], off, off offset:624
	v_add_f64 v[200:201], v[200:201], v[42:43]
	v_add_f64 v[202:203], v[202:203], v[44:45]
	ds_load_b128 v[42:45], v1 offset:1264
	v_fma_f64 v[198:199], v[198:199], v[14:15], v[204:205]
	v_fma_f64 v[196:197], v[196:197], v[14:15], -v[16:17]
	scratch_load_b128 v[14:17], off, off offset:640
	s_waitcnt vmcnt(10) lgkmcnt(1)
	v_mul_f64 v[210:211], v[2:3], v[20:21]
	v_mul_f64 v[20:21], v[4:5], v[20:21]
	s_waitcnt vmcnt(9) lgkmcnt(0)
	v_mul_f64 v[204:205], v[42:43], v[24:25]
	v_mul_f64 v[24:25], v[44:45], v[24:25]
	v_add_f64 v[200:201], v[200:201], v[208:209]
	v_add_f64 v[202:203], v[202:203], v[206:207]
	v_fma_f64 v[206:207], v[4:5], v[18:19], v[210:211]
	v_fma_f64 v[208:209], v[2:3], v[18:19], -v[20:21]
	ds_load_b128 v[2:5], v1 offset:1280
	scratch_load_b128 v[18:21], off, off offset:656
	v_fma_f64 v[44:45], v[44:45], v[22:23], v[204:205]
	v_fma_f64 v[42:43], v[42:43], v[22:23], -v[24:25]
	scratch_load_b128 v[22:25], off, off offset:672
	v_add_f64 v[200:201], v[200:201], v[196:197]
	v_add_f64 v[202:203], v[202:203], v[198:199]
	ds_load_b128 v[196:199], v1 offset:1296
	s_waitcnt vmcnt(10) lgkmcnt(1)
	v_mul_f64 v[210:211], v[2:3], v[28:29]
	v_mul_f64 v[28:29], v[4:5], v[28:29]
	s_waitcnt vmcnt(9) lgkmcnt(0)
	v_mul_f64 v[204:205], v[196:197], v[32:33]
	v_mul_f64 v[32:33], v[198:199], v[32:33]
	v_add_f64 v[200:201], v[200:201], v[208:209]
	v_add_f64 v[202:203], v[202:203], v[206:207]
	v_fma_f64 v[206:207], v[4:5], v[26:27], v[210:211]
	v_fma_f64 v[208:209], v[2:3], v[26:27], -v[28:29]
	ds_load_b128 v[2:5], v1 offset:1312
	scratch_load_b128 v[26:29], off, off offset:688
	v_fma_f64 v[198:199], v[198:199], v[30:31], v[204:205]
	v_fma_f64 v[196:197], v[196:197], v[30:31], -v[32:33]
	scratch_load_b128 v[30:33], off, off offset:704
	v_add_f64 v[200:201], v[200:201], v[42:43]
	v_add_f64 v[202:203], v[202:203], v[44:45]
	ds_load_b128 v[42:45], v1 offset:1328
	s_waitcnt vmcnt(10) lgkmcnt(1)
	v_mul_f64 v[210:211], v[2:3], v[36:37]
	v_mul_f64 v[36:37], v[4:5], v[36:37]
	s_waitcnt vmcnt(8) lgkmcnt(0)
	v_mul_f64 v[204:205], v[42:43], v[194:195]
	v_add_f64 v[200:201], v[200:201], v[208:209]
	v_add_f64 v[202:203], v[202:203], v[206:207]
	v_mul_f64 v[206:207], v[44:45], v[194:195]
	v_fma_f64 v[208:209], v[4:5], v[34:35], v[210:211]
	v_fma_f64 v[210:211], v[2:3], v[34:35], -v[36:37]
	ds_load_b128 v[2:5], v1 offset:1344
	scratch_load_b128 v[34:37], off, off offset:720
	v_fma_f64 v[44:45], v[44:45], v[192:193], v[204:205]
	v_add_f64 v[200:201], v[200:201], v[196:197]
	v_add_f64 v[198:199], v[202:203], v[198:199]
	ds_load_b128 v[194:197], v1 offset:1360
	v_fma_f64 v[192:193], v[42:43], v[192:193], -v[206:207]
	s_waitcnt vmcnt(8) lgkmcnt(1)
	v_mul_f64 v[202:203], v[2:3], v[40:41]
	v_mul_f64 v[212:213], v[4:5], v[40:41]
	scratch_load_b128 v[40:43], off, off offset:736
	s_waitcnt vmcnt(8) lgkmcnt(0)
	v_mul_f64 v[204:205], v[194:195], v[8:9]
	v_mul_f64 v[8:9], v[196:197], v[8:9]
	v_add_f64 v[200:201], v[200:201], v[210:211]
	v_add_f64 v[198:199], v[198:199], v[208:209]
	v_fma_f64 v[202:203], v[4:5], v[38:39], v[202:203]
	v_fma_f64 v[38:39], v[2:3], v[38:39], -v[212:213]
	v_fma_f64 v[196:197], v[196:197], v[6:7], v[204:205]
	v_fma_f64 v[6:7], v[194:195], v[6:7], -v[8:9]
	v_add_f64 v[192:193], v[200:201], v[192:193]
	v_add_f64 v[44:45], v[198:199], v[44:45]
	ds_load_b128 v[2:5], v1 offset:1376
	ds_load_b128 v[198:201], v1 offset:1392
	s_waitcnt vmcnt(7) lgkmcnt(1)
	v_mul_f64 v[206:207], v[2:3], v[12:13]
	v_mul_f64 v[12:13], v[4:5], v[12:13]
	v_add_f64 v[8:9], v[192:193], v[38:39]
	v_add_f64 v[38:39], v[44:45], v[202:203]
	s_waitcnt vmcnt(6) lgkmcnt(0)
	v_mul_f64 v[44:45], v[198:199], v[16:17]
	v_mul_f64 v[16:17], v[200:201], v[16:17]
	v_fma_f64 v[192:193], v[4:5], v[10:11], v[206:207]
	v_fma_f64 v[10:11], v[2:3], v[10:11], -v[12:13]
	v_add_f64 v[12:13], v[8:9], v[6:7]
	v_add_f64 v[38:39], v[38:39], v[196:197]
	ds_load_b128 v[2:5], v1 offset:1408
	ds_load_b128 v[6:9], v1 offset:1424
	v_fma_f64 v[44:45], v[200:201], v[14:15], v[44:45]
	v_fma_f64 v[14:15], v[198:199], v[14:15], -v[16:17]
	s_waitcnt vmcnt(5) lgkmcnt(1)
	v_mul_f64 v[194:195], v[2:3], v[20:21]
	v_mul_f64 v[20:21], v[4:5], v[20:21]
	s_waitcnt vmcnt(4) lgkmcnt(0)
	v_mul_f64 v[16:17], v[6:7], v[24:25]
	v_mul_f64 v[24:25], v[8:9], v[24:25]
	v_add_f64 v[10:11], v[12:13], v[10:11]
	v_add_f64 v[12:13], v[38:39], v[192:193]
	v_fma_f64 v[38:39], v[4:5], v[18:19], v[194:195]
	v_fma_f64 v[18:19], v[2:3], v[18:19], -v[20:21]
	v_fma_f64 v[8:9], v[8:9], v[22:23], v[16:17]
	v_fma_f64 v[6:7], v[6:7], v[22:23], -v[24:25]
	v_add_f64 v[14:15], v[10:11], v[14:15]
	v_add_f64 v[20:21], v[12:13], v[44:45]
	ds_load_b128 v[2:5], v1 offset:1440
	ds_load_b128 v[10:13], v1 offset:1456
	s_waitcnt vmcnt(3) lgkmcnt(1)
	v_mul_f64 v[44:45], v[2:3], v[28:29]
	v_mul_f64 v[28:29], v[4:5], v[28:29]
	v_add_f64 v[14:15], v[14:15], v[18:19]
	v_add_f64 v[16:17], v[20:21], v[38:39]
	s_waitcnt vmcnt(2) lgkmcnt(0)
	v_mul_f64 v[18:19], v[10:11], v[32:33]
	v_mul_f64 v[20:21], v[12:13], v[32:33]
	v_fma_f64 v[22:23], v[4:5], v[26:27], v[44:45]
	v_fma_f64 v[24:25], v[2:3], v[26:27], -v[28:29]
	v_add_f64 v[14:15], v[14:15], v[6:7]
	v_add_f64 v[16:17], v[16:17], v[8:9]
	ds_load_b128 v[2:5], v1 offset:1472
	ds_load_b128 v[6:9], v1 offset:1488
	v_fma_f64 v[12:13], v[12:13], v[30:31], v[18:19]
	v_fma_f64 v[10:11], v[10:11], v[30:31], -v[20:21]
	s_waitcnt vmcnt(1) lgkmcnt(1)
	v_mul_f64 v[26:27], v[2:3], v[36:37]
	v_mul_f64 v[28:29], v[4:5], v[36:37]
	s_waitcnt vmcnt(0) lgkmcnt(0)
	v_mul_f64 v[18:19], v[6:7], v[42:43]
	v_add_f64 v[14:15], v[14:15], v[24:25]
	v_add_f64 v[16:17], v[16:17], v[22:23]
	v_mul_f64 v[20:21], v[8:9], v[42:43]
	v_fma_f64 v[4:5], v[4:5], v[34:35], v[26:27]
	v_fma_f64 v[1:2], v[2:3], v[34:35], -v[28:29]
	v_fma_f64 v[8:9], v[8:9], v[40:41], v[18:19]
	v_add_f64 v[10:11], v[14:15], v[10:11]
	v_add_f64 v[12:13], v[16:17], v[12:13]
	v_fma_f64 v[6:7], v[6:7], v[40:41], -v[20:21]
	s_delay_alu instid0(VALU_DEP_3) | instskip(NEXT) | instid1(VALU_DEP_3)
	v_add_f64 v[1:2], v[10:11], v[1:2]
	v_add_f64 v[3:4], v[12:13], v[4:5]
	s_delay_alu instid0(VALU_DEP_2) | instskip(NEXT) | instid1(VALU_DEP_2)
	v_add_f64 v[1:2], v[1:2], v[6:7]
	v_add_f64 v[3:4], v[3:4], v[8:9]
	s_delay_alu instid0(VALU_DEP_2) | instskip(NEXT) | instid1(VALU_DEP_2)
	v_add_f64 v[1:2], v[188:189], -v[1:2]
	v_add_f64 v[3:4], v[190:191], -v[3:4]
	scratch_store_b128 off, v[1:4], off offset:416
	v_cmpx_lt_u32_e32 25, v140
	s_cbranch_execz .LBB110_245
; %bb.244:
	scratch_load_b128 v[1:4], v160, off
	v_mov_b32_e32 v5, 0
	s_delay_alu instid0(VALU_DEP_1)
	v_mov_b32_e32 v6, v5
	v_mov_b32_e32 v7, v5
	;; [unrolled: 1-line block ×3, first 2 shown]
	scratch_store_b128 off, v[5:8], off offset:400
	s_waitcnt vmcnt(0)
	ds_store_b128 v187, v[1:4]
.LBB110_245:
	s_or_b32 exec_lo, exec_lo, s2
	s_waitcnt lgkmcnt(0)
	s_waitcnt_vscnt null, 0x0
	s_barrier
	buffer_gl0_inv
	s_clause 0x7
	scratch_load_b128 v[2:5], off, off offset:416
	scratch_load_b128 v[6:9], off, off offset:432
	;; [unrolled: 1-line block ×8, first 2 shown]
	v_mov_b32_e32 v1, 0
	s_mov_b32 s2, exec_lo
	ds_load_b128 v[34:37], v1 offset:1168
	s_clause 0x1
	scratch_load_b128 v[38:41], off, off offset:544
	scratch_load_b128 v[42:45], off, off offset:400
	ds_load_b128 v[188:191], v1 offset:1184
	scratch_load_b128 v[192:195], off, off offset:560
	s_waitcnt vmcnt(10) lgkmcnt(1)
	v_mul_f64 v[196:197], v[36:37], v[4:5]
	v_mul_f64 v[4:5], v[34:35], v[4:5]
	s_delay_alu instid0(VALU_DEP_2) | instskip(NEXT) | instid1(VALU_DEP_2)
	v_fma_f64 v[202:203], v[34:35], v[2:3], -v[196:197]
	v_fma_f64 v[204:205], v[36:37], v[2:3], v[4:5]
	scratch_load_b128 v[34:37], off, off offset:576
	ds_load_b128 v[2:5], v1 offset:1200
	s_waitcnt vmcnt(10) lgkmcnt(1)
	v_mul_f64 v[200:201], v[188:189], v[8:9]
	v_mul_f64 v[8:9], v[190:191], v[8:9]
	ds_load_b128 v[196:199], v1 offset:1216
	s_waitcnt vmcnt(9) lgkmcnt(1)
	v_mul_f64 v[206:207], v[2:3], v[12:13]
	v_mul_f64 v[12:13], v[4:5], v[12:13]
	v_fma_f64 v[190:191], v[190:191], v[6:7], v[200:201]
	v_fma_f64 v[188:189], v[188:189], v[6:7], -v[8:9]
	v_add_f64 v[200:201], v[202:203], 0
	v_add_f64 v[202:203], v[204:205], 0
	scratch_load_b128 v[6:9], off, off offset:592
	v_fma_f64 v[206:207], v[4:5], v[10:11], v[206:207]
	v_fma_f64 v[208:209], v[2:3], v[10:11], -v[12:13]
	scratch_load_b128 v[10:13], off, off offset:608
	ds_load_b128 v[2:5], v1 offset:1232
	s_waitcnt vmcnt(10) lgkmcnt(1)
	v_mul_f64 v[204:205], v[196:197], v[16:17]
	v_mul_f64 v[16:17], v[198:199], v[16:17]
	v_add_f64 v[200:201], v[200:201], v[188:189]
	v_add_f64 v[202:203], v[202:203], v[190:191]
	s_waitcnt vmcnt(9) lgkmcnt(0)
	v_mul_f64 v[210:211], v[2:3], v[20:21]
	v_mul_f64 v[20:21], v[4:5], v[20:21]
	ds_load_b128 v[188:191], v1 offset:1248
	v_fma_f64 v[198:199], v[198:199], v[14:15], v[204:205]
	v_fma_f64 v[196:197], v[196:197], v[14:15], -v[16:17]
	scratch_load_b128 v[14:17], off, off offset:624
	v_add_f64 v[200:201], v[200:201], v[208:209]
	v_add_f64 v[202:203], v[202:203], v[206:207]
	v_fma_f64 v[206:207], v[4:5], v[18:19], v[210:211]
	v_fma_f64 v[208:209], v[2:3], v[18:19], -v[20:21]
	scratch_load_b128 v[18:21], off, off offset:640
	ds_load_b128 v[2:5], v1 offset:1264
	s_waitcnt vmcnt(10) lgkmcnt(1)
	v_mul_f64 v[204:205], v[188:189], v[24:25]
	v_mul_f64 v[24:25], v[190:191], v[24:25]
	s_waitcnt vmcnt(9) lgkmcnt(0)
	v_mul_f64 v[210:211], v[2:3], v[28:29]
	v_mul_f64 v[28:29], v[4:5], v[28:29]
	v_add_f64 v[200:201], v[200:201], v[196:197]
	v_add_f64 v[202:203], v[202:203], v[198:199]
	ds_load_b128 v[196:199], v1 offset:1280
	v_fma_f64 v[190:191], v[190:191], v[22:23], v[204:205]
	v_fma_f64 v[188:189], v[188:189], v[22:23], -v[24:25]
	scratch_load_b128 v[22:25], off, off offset:656
	v_add_f64 v[200:201], v[200:201], v[208:209]
	v_add_f64 v[202:203], v[202:203], v[206:207]
	v_fma_f64 v[206:207], v[4:5], v[26:27], v[210:211]
	v_fma_f64 v[208:209], v[2:3], v[26:27], -v[28:29]
	scratch_load_b128 v[26:29], off, off offset:672
	ds_load_b128 v[2:5], v1 offset:1296
	s_waitcnt vmcnt(10) lgkmcnt(1)
	v_mul_f64 v[204:205], v[196:197], v[32:33]
	v_mul_f64 v[32:33], v[198:199], v[32:33]
	s_waitcnt vmcnt(9) lgkmcnt(0)
	v_mul_f64 v[210:211], v[2:3], v[40:41]
	v_mul_f64 v[40:41], v[4:5], v[40:41]
	v_add_f64 v[200:201], v[200:201], v[188:189]
	v_add_f64 v[202:203], v[202:203], v[190:191]
	ds_load_b128 v[188:191], v1 offset:1312
	v_fma_f64 v[198:199], v[198:199], v[30:31], v[204:205]
	v_fma_f64 v[196:197], v[196:197], v[30:31], -v[32:33]
	scratch_load_b128 v[30:33], off, off offset:688
	v_add_f64 v[200:201], v[200:201], v[208:209]
	v_add_f64 v[202:203], v[202:203], v[206:207]
	v_fma_f64 v[208:209], v[4:5], v[38:39], v[210:211]
	v_fma_f64 v[210:211], v[2:3], v[38:39], -v[40:41]
	scratch_load_b128 v[38:41], off, off offset:704
	ds_load_b128 v[2:5], v1 offset:1328
	s_waitcnt vmcnt(9) lgkmcnt(1)
	v_mul_f64 v[204:205], v[188:189], v[194:195]
	v_mul_f64 v[206:207], v[190:191], v[194:195]
	v_add_f64 v[200:201], v[200:201], v[196:197]
	v_add_f64 v[198:199], v[202:203], v[198:199]
	ds_load_b128 v[194:197], v1 offset:1344
	v_fma_f64 v[204:205], v[190:191], v[192:193], v[204:205]
	v_fma_f64 v[192:193], v[188:189], v[192:193], -v[206:207]
	scratch_load_b128 v[188:191], off, off offset:720
	s_waitcnt vmcnt(9) lgkmcnt(1)
	v_mul_f64 v[202:203], v[2:3], v[36:37]
	v_mul_f64 v[36:37], v[4:5], v[36:37]
	v_add_f64 v[200:201], v[200:201], v[210:211]
	v_add_f64 v[198:199], v[198:199], v[208:209]
	s_delay_alu instid0(VALU_DEP_4) | instskip(NEXT) | instid1(VALU_DEP_4)
	v_fma_f64 v[202:203], v[4:5], v[34:35], v[202:203]
	v_fma_f64 v[208:209], v[2:3], v[34:35], -v[36:37]
	scratch_load_b128 v[34:37], off, off offset:736
	ds_load_b128 v[2:5], v1 offset:1360
	s_waitcnt vmcnt(9) lgkmcnt(1)
	v_mul_f64 v[206:207], v[194:195], v[8:9]
	v_mul_f64 v[8:9], v[196:197], v[8:9]
	s_waitcnt vmcnt(8) lgkmcnt(0)
	v_mul_f64 v[210:211], v[2:3], v[12:13]
	v_mul_f64 v[12:13], v[4:5], v[12:13]
	v_add_f64 v[192:193], v[200:201], v[192:193]
	v_add_f64 v[204:205], v[198:199], v[204:205]
	ds_load_b128 v[198:201], v1 offset:1376
	v_fma_f64 v[196:197], v[196:197], v[6:7], v[206:207]
	v_fma_f64 v[6:7], v[194:195], v[6:7], -v[8:9]
	v_add_f64 v[8:9], v[192:193], v[208:209]
	v_add_f64 v[192:193], v[204:205], v[202:203]
	s_waitcnt vmcnt(7) lgkmcnt(0)
	v_mul_f64 v[194:195], v[198:199], v[16:17]
	v_mul_f64 v[16:17], v[200:201], v[16:17]
	v_fma_f64 v[202:203], v[4:5], v[10:11], v[210:211]
	v_fma_f64 v[10:11], v[2:3], v[10:11], -v[12:13]
	v_add_f64 v[12:13], v[8:9], v[6:7]
	v_add_f64 v[192:193], v[192:193], v[196:197]
	ds_load_b128 v[2:5], v1 offset:1392
	ds_load_b128 v[6:9], v1 offset:1408
	v_fma_f64 v[194:195], v[200:201], v[14:15], v[194:195]
	v_fma_f64 v[14:15], v[198:199], v[14:15], -v[16:17]
	s_waitcnt vmcnt(6) lgkmcnt(1)
	v_mul_f64 v[196:197], v[2:3], v[20:21]
	v_mul_f64 v[20:21], v[4:5], v[20:21]
	s_waitcnt vmcnt(5) lgkmcnt(0)
	v_mul_f64 v[16:17], v[6:7], v[24:25]
	v_mul_f64 v[24:25], v[8:9], v[24:25]
	v_add_f64 v[10:11], v[12:13], v[10:11]
	v_add_f64 v[12:13], v[192:193], v[202:203]
	v_fma_f64 v[192:193], v[4:5], v[18:19], v[196:197]
	v_fma_f64 v[18:19], v[2:3], v[18:19], -v[20:21]
	v_fma_f64 v[8:9], v[8:9], v[22:23], v[16:17]
	v_fma_f64 v[6:7], v[6:7], v[22:23], -v[24:25]
	v_add_f64 v[14:15], v[10:11], v[14:15]
	v_add_f64 v[20:21], v[12:13], v[194:195]
	ds_load_b128 v[2:5], v1 offset:1424
	ds_load_b128 v[10:13], v1 offset:1440
	s_waitcnt vmcnt(4) lgkmcnt(1)
	v_mul_f64 v[194:195], v[2:3], v[28:29]
	v_mul_f64 v[28:29], v[4:5], v[28:29]
	v_add_f64 v[14:15], v[14:15], v[18:19]
	v_add_f64 v[16:17], v[20:21], v[192:193]
	s_waitcnt vmcnt(3) lgkmcnt(0)
	v_mul_f64 v[18:19], v[10:11], v[32:33]
	v_mul_f64 v[20:21], v[12:13], v[32:33]
	v_fma_f64 v[22:23], v[4:5], v[26:27], v[194:195]
	v_fma_f64 v[24:25], v[2:3], v[26:27], -v[28:29]
	v_add_f64 v[14:15], v[14:15], v[6:7]
	v_add_f64 v[16:17], v[16:17], v[8:9]
	ds_load_b128 v[2:5], v1 offset:1456
	ds_load_b128 v[6:9], v1 offset:1472
	v_fma_f64 v[12:13], v[12:13], v[30:31], v[18:19]
	v_fma_f64 v[10:11], v[10:11], v[30:31], -v[20:21]
	s_waitcnt vmcnt(2) lgkmcnt(1)
	v_mul_f64 v[26:27], v[2:3], v[40:41]
	v_mul_f64 v[28:29], v[4:5], v[40:41]
	s_waitcnt vmcnt(1) lgkmcnt(0)
	v_mul_f64 v[18:19], v[6:7], v[190:191]
	v_mul_f64 v[20:21], v[8:9], v[190:191]
	v_add_f64 v[14:15], v[14:15], v[24:25]
	v_add_f64 v[16:17], v[16:17], v[22:23]
	v_fma_f64 v[22:23], v[4:5], v[38:39], v[26:27]
	v_fma_f64 v[24:25], v[2:3], v[38:39], -v[28:29]
	ds_load_b128 v[2:5], v1 offset:1488
	v_fma_f64 v[8:9], v[8:9], v[188:189], v[18:19]
	v_fma_f64 v[6:7], v[6:7], v[188:189], -v[20:21]
	v_add_f64 v[10:11], v[14:15], v[10:11]
	v_add_f64 v[12:13], v[16:17], v[12:13]
	s_waitcnt vmcnt(0) lgkmcnt(0)
	v_mul_f64 v[14:15], v[2:3], v[36:37]
	v_mul_f64 v[16:17], v[4:5], v[36:37]
	s_delay_alu instid0(VALU_DEP_4) | instskip(NEXT) | instid1(VALU_DEP_4)
	v_add_f64 v[10:11], v[10:11], v[24:25]
	v_add_f64 v[12:13], v[12:13], v[22:23]
	s_delay_alu instid0(VALU_DEP_4) | instskip(NEXT) | instid1(VALU_DEP_4)
	v_fma_f64 v[4:5], v[4:5], v[34:35], v[14:15]
	v_fma_f64 v[2:3], v[2:3], v[34:35], -v[16:17]
	s_delay_alu instid0(VALU_DEP_4) | instskip(NEXT) | instid1(VALU_DEP_4)
	v_add_f64 v[6:7], v[10:11], v[6:7]
	v_add_f64 v[8:9], v[12:13], v[8:9]
	s_delay_alu instid0(VALU_DEP_2) | instskip(NEXT) | instid1(VALU_DEP_2)
	v_add_f64 v[2:3], v[6:7], v[2:3]
	v_add_f64 v[4:5], v[8:9], v[4:5]
	s_delay_alu instid0(VALU_DEP_2) | instskip(NEXT) | instid1(VALU_DEP_2)
	v_add_f64 v[2:3], v[42:43], -v[2:3]
	v_add_f64 v[4:5], v[44:45], -v[4:5]
	scratch_store_b128 off, v[2:5], off offset:400
	v_cmpx_lt_u32_e32 24, v140
	s_cbranch_execz .LBB110_247
; %bb.246:
	scratch_load_b128 v[5:8], v162, off
	v_mov_b32_e32 v2, v1
	v_mov_b32_e32 v3, v1
	v_mov_b32_e32 v4, v1
	scratch_store_b128 off, v[1:4], off offset:384
	s_waitcnt vmcnt(0)
	ds_store_b128 v187, v[5:8]
.LBB110_247:
	s_or_b32 exec_lo, exec_lo, s2
	s_waitcnt lgkmcnt(0)
	s_waitcnt_vscnt null, 0x0
	s_barrier
	buffer_gl0_inv
	s_clause 0x8
	scratch_load_b128 v[2:5], off, off offset:400
	scratch_load_b128 v[6:9], off, off offset:416
	scratch_load_b128 v[10:13], off, off offset:432
	scratch_load_b128 v[14:17], off, off offset:448
	scratch_load_b128 v[18:21], off, off offset:464
	scratch_load_b128 v[22:25], off, off offset:480
	scratch_load_b128 v[26:29], off, off offset:496
	scratch_load_b128 v[30:33], off, off offset:512
	scratch_load_b128 v[34:37], off, off offset:528
	ds_load_b128 v[38:41], v1 offset:1152
	ds_load_b128 v[42:45], v1 offset:1168
	s_clause 0x1
	scratch_load_b128 v[188:191], off, off offset:384
	scratch_load_b128 v[192:195], off, off offset:544
	s_mov_b32 s2, exec_lo
	s_waitcnt vmcnt(10) lgkmcnt(1)
	v_mul_f64 v[196:197], v[40:41], v[4:5]
	v_mul_f64 v[4:5], v[38:39], v[4:5]
	s_waitcnt vmcnt(9) lgkmcnt(0)
	v_mul_f64 v[200:201], v[42:43], v[8:9]
	v_mul_f64 v[8:9], v[44:45], v[8:9]
	s_delay_alu instid0(VALU_DEP_4) | instskip(NEXT) | instid1(VALU_DEP_4)
	v_fma_f64 v[202:203], v[38:39], v[2:3], -v[196:197]
	v_fma_f64 v[204:205], v[40:41], v[2:3], v[4:5]
	ds_load_b128 v[2:5], v1 offset:1184
	ds_load_b128 v[196:199], v1 offset:1200
	scratch_load_b128 v[38:41], off, off offset:560
	v_fma_f64 v[44:45], v[44:45], v[6:7], v[200:201]
	v_fma_f64 v[42:43], v[42:43], v[6:7], -v[8:9]
	scratch_load_b128 v[6:9], off, off offset:576
	s_waitcnt vmcnt(10) lgkmcnt(1)
	v_mul_f64 v[206:207], v[2:3], v[12:13]
	v_mul_f64 v[12:13], v[4:5], v[12:13]
	v_add_f64 v[200:201], v[202:203], 0
	v_add_f64 v[202:203], v[204:205], 0
	s_waitcnt vmcnt(9) lgkmcnt(0)
	v_mul_f64 v[204:205], v[196:197], v[16:17]
	v_mul_f64 v[16:17], v[198:199], v[16:17]
	v_fma_f64 v[206:207], v[4:5], v[10:11], v[206:207]
	v_fma_f64 v[208:209], v[2:3], v[10:11], -v[12:13]
	ds_load_b128 v[2:5], v1 offset:1216
	scratch_load_b128 v[10:13], off, off offset:592
	v_add_f64 v[200:201], v[200:201], v[42:43]
	v_add_f64 v[202:203], v[202:203], v[44:45]
	ds_load_b128 v[42:45], v1 offset:1232
	v_fma_f64 v[198:199], v[198:199], v[14:15], v[204:205]
	v_fma_f64 v[196:197], v[196:197], v[14:15], -v[16:17]
	scratch_load_b128 v[14:17], off, off offset:608
	s_waitcnt vmcnt(10) lgkmcnt(1)
	v_mul_f64 v[210:211], v[2:3], v[20:21]
	v_mul_f64 v[20:21], v[4:5], v[20:21]
	s_waitcnt vmcnt(9) lgkmcnt(0)
	v_mul_f64 v[204:205], v[42:43], v[24:25]
	v_mul_f64 v[24:25], v[44:45], v[24:25]
	v_add_f64 v[200:201], v[200:201], v[208:209]
	v_add_f64 v[202:203], v[202:203], v[206:207]
	v_fma_f64 v[206:207], v[4:5], v[18:19], v[210:211]
	v_fma_f64 v[208:209], v[2:3], v[18:19], -v[20:21]
	ds_load_b128 v[2:5], v1 offset:1248
	scratch_load_b128 v[18:21], off, off offset:624
	v_fma_f64 v[44:45], v[44:45], v[22:23], v[204:205]
	v_fma_f64 v[42:43], v[42:43], v[22:23], -v[24:25]
	scratch_load_b128 v[22:25], off, off offset:640
	v_add_f64 v[200:201], v[200:201], v[196:197]
	v_add_f64 v[202:203], v[202:203], v[198:199]
	ds_load_b128 v[196:199], v1 offset:1264
	s_waitcnt vmcnt(10) lgkmcnt(1)
	v_mul_f64 v[210:211], v[2:3], v[28:29]
	v_mul_f64 v[28:29], v[4:5], v[28:29]
	s_waitcnt vmcnt(9) lgkmcnt(0)
	v_mul_f64 v[204:205], v[196:197], v[32:33]
	v_mul_f64 v[32:33], v[198:199], v[32:33]
	v_add_f64 v[200:201], v[200:201], v[208:209]
	v_add_f64 v[202:203], v[202:203], v[206:207]
	v_fma_f64 v[206:207], v[4:5], v[26:27], v[210:211]
	v_fma_f64 v[208:209], v[2:3], v[26:27], -v[28:29]
	ds_load_b128 v[2:5], v1 offset:1280
	scratch_load_b128 v[26:29], off, off offset:656
	v_fma_f64 v[198:199], v[198:199], v[30:31], v[204:205]
	v_fma_f64 v[196:197], v[196:197], v[30:31], -v[32:33]
	scratch_load_b128 v[30:33], off, off offset:672
	v_add_f64 v[200:201], v[200:201], v[42:43]
	v_add_f64 v[202:203], v[202:203], v[44:45]
	ds_load_b128 v[42:45], v1 offset:1296
	s_waitcnt vmcnt(10) lgkmcnt(1)
	v_mul_f64 v[210:211], v[2:3], v[36:37]
	v_mul_f64 v[36:37], v[4:5], v[36:37]
	s_waitcnt vmcnt(8) lgkmcnt(0)
	v_mul_f64 v[204:205], v[42:43], v[194:195]
	v_add_f64 v[200:201], v[200:201], v[208:209]
	v_add_f64 v[202:203], v[202:203], v[206:207]
	v_mul_f64 v[206:207], v[44:45], v[194:195]
	v_fma_f64 v[208:209], v[4:5], v[34:35], v[210:211]
	v_fma_f64 v[210:211], v[2:3], v[34:35], -v[36:37]
	ds_load_b128 v[2:5], v1 offset:1312
	scratch_load_b128 v[34:37], off, off offset:688
	v_fma_f64 v[44:45], v[44:45], v[192:193], v[204:205]
	v_add_f64 v[200:201], v[200:201], v[196:197]
	v_add_f64 v[198:199], v[202:203], v[198:199]
	ds_load_b128 v[194:197], v1 offset:1328
	v_fma_f64 v[192:193], v[42:43], v[192:193], -v[206:207]
	s_waitcnt vmcnt(8) lgkmcnt(1)
	v_mul_f64 v[202:203], v[2:3], v[40:41]
	v_mul_f64 v[212:213], v[4:5], v[40:41]
	scratch_load_b128 v[40:43], off, off offset:704
	s_waitcnt vmcnt(8) lgkmcnt(0)
	v_mul_f64 v[206:207], v[194:195], v[8:9]
	v_mul_f64 v[8:9], v[196:197], v[8:9]
	v_add_f64 v[200:201], v[200:201], v[210:211]
	v_add_f64 v[198:199], v[198:199], v[208:209]
	v_fma_f64 v[208:209], v[4:5], v[38:39], v[202:203]
	v_fma_f64 v[38:39], v[2:3], v[38:39], -v[212:213]
	ds_load_b128 v[2:5], v1 offset:1344
	ds_load_b128 v[202:205], v1 offset:1360
	v_fma_f64 v[196:197], v[196:197], v[6:7], v[206:207]
	v_fma_f64 v[194:195], v[194:195], v[6:7], -v[8:9]
	scratch_load_b128 v[6:9], off, off offset:736
	v_add_f64 v[192:193], v[200:201], v[192:193]
	v_add_f64 v[44:45], v[198:199], v[44:45]
	scratch_load_b128 v[198:201], off, off offset:720
	s_waitcnt vmcnt(9) lgkmcnt(1)
	v_mul_f64 v[210:211], v[2:3], v[12:13]
	v_mul_f64 v[12:13], v[4:5], v[12:13]
	v_add_f64 v[38:39], v[192:193], v[38:39]
	v_add_f64 v[44:45], v[44:45], v[208:209]
	s_waitcnt vmcnt(8) lgkmcnt(0)
	v_mul_f64 v[192:193], v[202:203], v[16:17]
	v_mul_f64 v[16:17], v[204:205], v[16:17]
	v_fma_f64 v[206:207], v[4:5], v[10:11], v[210:211]
	v_fma_f64 v[208:209], v[2:3], v[10:11], -v[12:13]
	ds_load_b128 v[2:5], v1 offset:1376
	ds_load_b128 v[10:13], v1 offset:1392
	v_add_f64 v[38:39], v[38:39], v[194:195]
	v_add_f64 v[44:45], v[44:45], v[196:197]
	s_waitcnt vmcnt(7) lgkmcnt(1)
	v_mul_f64 v[194:195], v[2:3], v[20:21]
	v_mul_f64 v[20:21], v[4:5], v[20:21]
	v_fma_f64 v[192:193], v[204:205], v[14:15], v[192:193]
	v_fma_f64 v[14:15], v[202:203], v[14:15], -v[16:17]
	v_add_f64 v[16:17], v[38:39], v[208:209]
	v_add_f64 v[38:39], v[44:45], v[206:207]
	s_waitcnt vmcnt(6) lgkmcnt(0)
	v_mul_f64 v[44:45], v[10:11], v[24:25]
	v_mul_f64 v[24:25], v[12:13], v[24:25]
	v_fma_f64 v[194:195], v[4:5], v[18:19], v[194:195]
	v_fma_f64 v[18:19], v[2:3], v[18:19], -v[20:21]
	v_add_f64 v[20:21], v[16:17], v[14:15]
	v_add_f64 v[38:39], v[38:39], v[192:193]
	ds_load_b128 v[2:5], v1 offset:1408
	ds_load_b128 v[14:17], v1 offset:1424
	v_fma_f64 v[12:13], v[12:13], v[22:23], v[44:45]
	v_fma_f64 v[10:11], v[10:11], v[22:23], -v[24:25]
	s_waitcnt vmcnt(5) lgkmcnt(1)
	v_mul_f64 v[192:193], v[2:3], v[28:29]
	v_mul_f64 v[28:29], v[4:5], v[28:29]
	s_waitcnt vmcnt(4) lgkmcnt(0)
	v_mul_f64 v[22:23], v[14:15], v[32:33]
	v_mul_f64 v[24:25], v[16:17], v[32:33]
	v_add_f64 v[18:19], v[20:21], v[18:19]
	v_add_f64 v[20:21], v[38:39], v[194:195]
	v_fma_f64 v[32:33], v[4:5], v[26:27], v[192:193]
	v_fma_f64 v[26:27], v[2:3], v[26:27], -v[28:29]
	v_fma_f64 v[16:17], v[16:17], v[30:31], v[22:23]
	v_fma_f64 v[14:15], v[14:15], v[30:31], -v[24:25]
	v_add_f64 v[18:19], v[18:19], v[10:11]
	v_add_f64 v[20:21], v[20:21], v[12:13]
	ds_load_b128 v[2:5], v1 offset:1440
	ds_load_b128 v[10:13], v1 offset:1456
	s_waitcnt vmcnt(3) lgkmcnt(1)
	v_mul_f64 v[28:29], v[2:3], v[36:37]
	v_mul_f64 v[36:37], v[4:5], v[36:37]
	s_waitcnt vmcnt(2) lgkmcnt(0)
	v_mul_f64 v[22:23], v[10:11], v[42:43]
	v_add_f64 v[18:19], v[18:19], v[26:27]
	v_add_f64 v[20:21], v[20:21], v[32:33]
	v_mul_f64 v[24:25], v[12:13], v[42:43]
	v_fma_f64 v[26:27], v[4:5], v[34:35], v[28:29]
	v_fma_f64 v[28:29], v[2:3], v[34:35], -v[36:37]
	v_fma_f64 v[12:13], v[12:13], v[40:41], v[22:23]
	v_add_f64 v[18:19], v[18:19], v[14:15]
	v_add_f64 v[20:21], v[20:21], v[16:17]
	ds_load_b128 v[2:5], v1 offset:1472
	ds_load_b128 v[14:17], v1 offset:1488
	v_fma_f64 v[10:11], v[10:11], v[40:41], -v[24:25]
	s_waitcnt vmcnt(0) lgkmcnt(1)
	v_mul_f64 v[30:31], v[2:3], v[200:201]
	v_mul_f64 v[32:33], v[4:5], v[200:201]
	s_waitcnt lgkmcnt(0)
	v_mul_f64 v[22:23], v[14:15], v[8:9]
	v_mul_f64 v[8:9], v[16:17], v[8:9]
	v_add_f64 v[18:19], v[18:19], v[28:29]
	v_add_f64 v[20:21], v[20:21], v[26:27]
	v_fma_f64 v[4:5], v[4:5], v[198:199], v[30:31]
	v_fma_f64 v[1:2], v[2:3], v[198:199], -v[32:33]
	v_fma_f64 v[16:17], v[16:17], v[6:7], v[22:23]
	v_fma_f64 v[6:7], v[14:15], v[6:7], -v[8:9]
	v_add_f64 v[10:11], v[18:19], v[10:11]
	v_add_f64 v[12:13], v[20:21], v[12:13]
	s_delay_alu instid0(VALU_DEP_2) | instskip(NEXT) | instid1(VALU_DEP_2)
	v_add_f64 v[1:2], v[10:11], v[1:2]
	v_add_f64 v[3:4], v[12:13], v[4:5]
	s_delay_alu instid0(VALU_DEP_2) | instskip(NEXT) | instid1(VALU_DEP_2)
	;; [unrolled: 3-line block ×3, first 2 shown]
	v_add_f64 v[1:2], v[188:189], -v[1:2]
	v_add_f64 v[3:4], v[190:191], -v[3:4]
	scratch_store_b128 off, v[1:4], off offset:384
	v_cmpx_lt_u32_e32 23, v140
	s_cbranch_execz .LBB110_249
; %bb.248:
	scratch_load_b128 v[1:4], v163, off
	v_mov_b32_e32 v5, 0
	s_delay_alu instid0(VALU_DEP_1)
	v_mov_b32_e32 v6, v5
	v_mov_b32_e32 v7, v5
	v_mov_b32_e32 v8, v5
	scratch_store_b128 off, v[5:8], off offset:368
	s_waitcnt vmcnt(0)
	ds_store_b128 v187, v[1:4]
.LBB110_249:
	s_or_b32 exec_lo, exec_lo, s2
	s_waitcnt lgkmcnt(0)
	s_waitcnt_vscnt null, 0x0
	s_barrier
	buffer_gl0_inv
	s_clause 0x7
	scratch_load_b128 v[2:5], off, off offset:384
	scratch_load_b128 v[6:9], off, off offset:400
	;; [unrolled: 1-line block ×8, first 2 shown]
	v_mov_b32_e32 v1, 0
	s_mov_b32 s2, exec_lo
	ds_load_b128 v[34:37], v1 offset:1136
	s_clause 0x1
	scratch_load_b128 v[38:41], off, off offset:512
	scratch_load_b128 v[42:45], off, off offset:368
	ds_load_b128 v[188:191], v1 offset:1152
	scratch_load_b128 v[192:195], off, off offset:528
	s_waitcnt vmcnt(10) lgkmcnt(1)
	v_mul_f64 v[196:197], v[36:37], v[4:5]
	v_mul_f64 v[4:5], v[34:35], v[4:5]
	s_delay_alu instid0(VALU_DEP_2) | instskip(NEXT) | instid1(VALU_DEP_2)
	v_fma_f64 v[202:203], v[34:35], v[2:3], -v[196:197]
	v_fma_f64 v[204:205], v[36:37], v[2:3], v[4:5]
	scratch_load_b128 v[34:37], off, off offset:544
	ds_load_b128 v[2:5], v1 offset:1168
	s_waitcnt vmcnt(10) lgkmcnt(1)
	v_mul_f64 v[200:201], v[188:189], v[8:9]
	v_mul_f64 v[8:9], v[190:191], v[8:9]
	ds_load_b128 v[196:199], v1 offset:1184
	s_waitcnt vmcnt(9) lgkmcnt(1)
	v_mul_f64 v[206:207], v[2:3], v[12:13]
	v_mul_f64 v[12:13], v[4:5], v[12:13]
	v_fma_f64 v[190:191], v[190:191], v[6:7], v[200:201]
	v_fma_f64 v[188:189], v[188:189], v[6:7], -v[8:9]
	v_add_f64 v[200:201], v[202:203], 0
	v_add_f64 v[202:203], v[204:205], 0
	scratch_load_b128 v[6:9], off, off offset:560
	v_fma_f64 v[206:207], v[4:5], v[10:11], v[206:207]
	v_fma_f64 v[208:209], v[2:3], v[10:11], -v[12:13]
	scratch_load_b128 v[10:13], off, off offset:576
	ds_load_b128 v[2:5], v1 offset:1200
	s_waitcnt vmcnt(10) lgkmcnt(1)
	v_mul_f64 v[204:205], v[196:197], v[16:17]
	v_mul_f64 v[16:17], v[198:199], v[16:17]
	v_add_f64 v[200:201], v[200:201], v[188:189]
	v_add_f64 v[202:203], v[202:203], v[190:191]
	s_waitcnt vmcnt(9) lgkmcnt(0)
	v_mul_f64 v[210:211], v[2:3], v[20:21]
	v_mul_f64 v[20:21], v[4:5], v[20:21]
	ds_load_b128 v[188:191], v1 offset:1216
	v_fma_f64 v[198:199], v[198:199], v[14:15], v[204:205]
	v_fma_f64 v[196:197], v[196:197], v[14:15], -v[16:17]
	scratch_load_b128 v[14:17], off, off offset:592
	v_add_f64 v[200:201], v[200:201], v[208:209]
	v_add_f64 v[202:203], v[202:203], v[206:207]
	v_fma_f64 v[206:207], v[4:5], v[18:19], v[210:211]
	v_fma_f64 v[208:209], v[2:3], v[18:19], -v[20:21]
	scratch_load_b128 v[18:21], off, off offset:608
	ds_load_b128 v[2:5], v1 offset:1232
	s_waitcnt vmcnt(10) lgkmcnt(1)
	v_mul_f64 v[204:205], v[188:189], v[24:25]
	v_mul_f64 v[24:25], v[190:191], v[24:25]
	s_waitcnt vmcnt(9) lgkmcnt(0)
	v_mul_f64 v[210:211], v[2:3], v[28:29]
	v_mul_f64 v[28:29], v[4:5], v[28:29]
	v_add_f64 v[200:201], v[200:201], v[196:197]
	v_add_f64 v[202:203], v[202:203], v[198:199]
	ds_load_b128 v[196:199], v1 offset:1248
	v_fma_f64 v[190:191], v[190:191], v[22:23], v[204:205]
	v_fma_f64 v[188:189], v[188:189], v[22:23], -v[24:25]
	scratch_load_b128 v[22:25], off, off offset:624
	v_add_f64 v[200:201], v[200:201], v[208:209]
	v_add_f64 v[202:203], v[202:203], v[206:207]
	v_fma_f64 v[206:207], v[4:5], v[26:27], v[210:211]
	v_fma_f64 v[208:209], v[2:3], v[26:27], -v[28:29]
	scratch_load_b128 v[26:29], off, off offset:640
	ds_load_b128 v[2:5], v1 offset:1264
	s_waitcnt vmcnt(10) lgkmcnt(1)
	v_mul_f64 v[204:205], v[196:197], v[32:33]
	v_mul_f64 v[32:33], v[198:199], v[32:33]
	s_waitcnt vmcnt(9) lgkmcnt(0)
	v_mul_f64 v[210:211], v[2:3], v[40:41]
	v_mul_f64 v[40:41], v[4:5], v[40:41]
	v_add_f64 v[200:201], v[200:201], v[188:189]
	v_add_f64 v[202:203], v[202:203], v[190:191]
	ds_load_b128 v[188:191], v1 offset:1280
	v_fma_f64 v[198:199], v[198:199], v[30:31], v[204:205]
	v_fma_f64 v[196:197], v[196:197], v[30:31], -v[32:33]
	scratch_load_b128 v[30:33], off, off offset:656
	v_add_f64 v[200:201], v[200:201], v[208:209]
	v_add_f64 v[202:203], v[202:203], v[206:207]
	v_fma_f64 v[208:209], v[4:5], v[38:39], v[210:211]
	v_fma_f64 v[210:211], v[2:3], v[38:39], -v[40:41]
	scratch_load_b128 v[38:41], off, off offset:672
	ds_load_b128 v[2:5], v1 offset:1296
	s_waitcnt vmcnt(9) lgkmcnt(1)
	v_mul_f64 v[204:205], v[188:189], v[194:195]
	v_mul_f64 v[206:207], v[190:191], v[194:195]
	v_add_f64 v[200:201], v[200:201], v[196:197]
	v_add_f64 v[198:199], v[202:203], v[198:199]
	ds_load_b128 v[194:197], v1 offset:1312
	v_fma_f64 v[204:205], v[190:191], v[192:193], v[204:205]
	v_fma_f64 v[192:193], v[188:189], v[192:193], -v[206:207]
	scratch_load_b128 v[188:191], off, off offset:688
	s_waitcnt vmcnt(9) lgkmcnt(1)
	v_mul_f64 v[202:203], v[2:3], v[36:37]
	v_mul_f64 v[36:37], v[4:5], v[36:37]
	v_add_f64 v[200:201], v[200:201], v[210:211]
	v_add_f64 v[198:199], v[198:199], v[208:209]
	s_delay_alu instid0(VALU_DEP_4) | instskip(NEXT) | instid1(VALU_DEP_4)
	v_fma_f64 v[202:203], v[4:5], v[34:35], v[202:203]
	v_fma_f64 v[208:209], v[2:3], v[34:35], -v[36:37]
	scratch_load_b128 v[34:37], off, off offset:704
	ds_load_b128 v[2:5], v1 offset:1328
	s_waitcnt vmcnt(9) lgkmcnt(1)
	v_mul_f64 v[206:207], v[194:195], v[8:9]
	v_mul_f64 v[8:9], v[196:197], v[8:9]
	s_waitcnt vmcnt(8) lgkmcnt(0)
	v_mul_f64 v[210:211], v[2:3], v[12:13]
	v_mul_f64 v[12:13], v[4:5], v[12:13]
	v_add_f64 v[192:193], v[200:201], v[192:193]
	v_add_f64 v[204:205], v[198:199], v[204:205]
	ds_load_b128 v[198:201], v1 offset:1344
	v_fma_f64 v[196:197], v[196:197], v[6:7], v[206:207]
	v_fma_f64 v[194:195], v[194:195], v[6:7], -v[8:9]
	scratch_load_b128 v[6:9], off, off offset:720
	v_fma_f64 v[206:207], v[4:5], v[10:11], v[210:211]
	v_add_f64 v[192:193], v[192:193], v[208:209]
	v_add_f64 v[202:203], v[204:205], v[202:203]
	v_fma_f64 v[208:209], v[2:3], v[10:11], -v[12:13]
	scratch_load_b128 v[10:13], off, off offset:736
	ds_load_b128 v[2:5], v1 offset:1360
	s_waitcnt vmcnt(9) lgkmcnt(1)
	v_mul_f64 v[204:205], v[198:199], v[16:17]
	v_mul_f64 v[16:17], v[200:201], v[16:17]
	v_add_f64 v[210:211], v[192:193], v[194:195]
	v_add_f64 v[196:197], v[202:203], v[196:197]
	s_waitcnt vmcnt(8) lgkmcnt(0)
	v_mul_f64 v[202:203], v[2:3], v[20:21]
	v_mul_f64 v[20:21], v[4:5], v[20:21]
	ds_load_b128 v[192:195], v1 offset:1376
	v_fma_f64 v[200:201], v[200:201], v[14:15], v[204:205]
	v_fma_f64 v[14:15], v[198:199], v[14:15], -v[16:17]
	s_waitcnt vmcnt(7) lgkmcnt(0)
	v_mul_f64 v[198:199], v[192:193], v[24:25]
	v_mul_f64 v[24:25], v[194:195], v[24:25]
	v_add_f64 v[16:17], v[210:211], v[208:209]
	v_add_f64 v[196:197], v[196:197], v[206:207]
	v_fma_f64 v[202:203], v[4:5], v[18:19], v[202:203]
	v_fma_f64 v[18:19], v[2:3], v[18:19], -v[20:21]
	v_fma_f64 v[194:195], v[194:195], v[22:23], v[198:199]
	v_fma_f64 v[22:23], v[192:193], v[22:23], -v[24:25]
	v_add_f64 v[20:21], v[16:17], v[14:15]
	v_add_f64 v[196:197], v[196:197], v[200:201]
	ds_load_b128 v[2:5], v1 offset:1392
	ds_load_b128 v[14:17], v1 offset:1408
	s_waitcnt vmcnt(6) lgkmcnt(1)
	v_mul_f64 v[200:201], v[2:3], v[28:29]
	v_mul_f64 v[28:29], v[4:5], v[28:29]
	s_waitcnt vmcnt(5) lgkmcnt(0)
	v_mul_f64 v[24:25], v[14:15], v[32:33]
	v_mul_f64 v[32:33], v[16:17], v[32:33]
	v_add_f64 v[18:19], v[20:21], v[18:19]
	v_add_f64 v[20:21], v[196:197], v[202:203]
	v_fma_f64 v[192:193], v[4:5], v[26:27], v[200:201]
	v_fma_f64 v[26:27], v[2:3], v[26:27], -v[28:29]
	v_fma_f64 v[16:17], v[16:17], v[30:31], v[24:25]
	v_fma_f64 v[14:15], v[14:15], v[30:31], -v[32:33]
	v_add_f64 v[22:23], v[18:19], v[22:23]
	v_add_f64 v[28:29], v[20:21], v[194:195]
	ds_load_b128 v[2:5], v1 offset:1424
	ds_load_b128 v[18:21], v1 offset:1440
	s_waitcnt vmcnt(4) lgkmcnt(1)
	v_mul_f64 v[194:195], v[2:3], v[40:41]
	v_mul_f64 v[40:41], v[4:5], v[40:41]
	v_add_f64 v[22:23], v[22:23], v[26:27]
	v_add_f64 v[24:25], v[28:29], v[192:193]
	s_waitcnt vmcnt(3) lgkmcnt(0)
	v_mul_f64 v[26:27], v[18:19], v[190:191]
	v_mul_f64 v[28:29], v[20:21], v[190:191]
	v_fma_f64 v[30:31], v[4:5], v[38:39], v[194:195]
	v_fma_f64 v[32:33], v[2:3], v[38:39], -v[40:41]
	v_add_f64 v[22:23], v[22:23], v[14:15]
	v_add_f64 v[24:25], v[24:25], v[16:17]
	ds_load_b128 v[2:5], v1 offset:1456
	ds_load_b128 v[14:17], v1 offset:1472
	v_fma_f64 v[20:21], v[20:21], v[188:189], v[26:27]
	v_fma_f64 v[18:19], v[18:19], v[188:189], -v[28:29]
	s_waitcnt vmcnt(2) lgkmcnt(1)
	v_mul_f64 v[38:39], v[2:3], v[36:37]
	v_mul_f64 v[36:37], v[4:5], v[36:37]
	s_waitcnt vmcnt(1) lgkmcnt(0)
	v_mul_f64 v[26:27], v[14:15], v[8:9]
	v_mul_f64 v[8:9], v[16:17], v[8:9]
	v_add_f64 v[22:23], v[22:23], v[32:33]
	v_add_f64 v[24:25], v[24:25], v[30:31]
	v_fma_f64 v[28:29], v[4:5], v[34:35], v[38:39]
	v_fma_f64 v[30:31], v[2:3], v[34:35], -v[36:37]
	ds_load_b128 v[2:5], v1 offset:1488
	v_fma_f64 v[16:17], v[16:17], v[6:7], v[26:27]
	v_fma_f64 v[6:7], v[14:15], v[6:7], -v[8:9]
	v_add_f64 v[18:19], v[22:23], v[18:19]
	v_add_f64 v[20:21], v[24:25], v[20:21]
	s_waitcnt vmcnt(0) lgkmcnt(0)
	v_mul_f64 v[22:23], v[2:3], v[12:13]
	v_mul_f64 v[12:13], v[4:5], v[12:13]
	s_delay_alu instid0(VALU_DEP_4) | instskip(NEXT) | instid1(VALU_DEP_4)
	v_add_f64 v[8:9], v[18:19], v[30:31]
	v_add_f64 v[14:15], v[20:21], v[28:29]
	s_delay_alu instid0(VALU_DEP_4) | instskip(NEXT) | instid1(VALU_DEP_4)
	v_fma_f64 v[4:5], v[4:5], v[10:11], v[22:23]
	v_fma_f64 v[2:3], v[2:3], v[10:11], -v[12:13]
	s_delay_alu instid0(VALU_DEP_4) | instskip(NEXT) | instid1(VALU_DEP_4)
	v_add_f64 v[6:7], v[8:9], v[6:7]
	v_add_f64 v[8:9], v[14:15], v[16:17]
	s_delay_alu instid0(VALU_DEP_2) | instskip(NEXT) | instid1(VALU_DEP_2)
	v_add_f64 v[2:3], v[6:7], v[2:3]
	v_add_f64 v[4:5], v[8:9], v[4:5]
	s_delay_alu instid0(VALU_DEP_2) | instskip(NEXT) | instid1(VALU_DEP_2)
	v_add_f64 v[2:3], v[42:43], -v[2:3]
	v_add_f64 v[4:5], v[44:45], -v[4:5]
	scratch_store_b128 off, v[2:5], off offset:368
	v_cmpx_lt_u32_e32 22, v140
	s_cbranch_execz .LBB110_251
; %bb.250:
	scratch_load_b128 v[5:8], v165, off
	v_mov_b32_e32 v2, v1
	v_mov_b32_e32 v3, v1
	;; [unrolled: 1-line block ×3, first 2 shown]
	scratch_store_b128 off, v[1:4], off offset:352
	s_waitcnt vmcnt(0)
	ds_store_b128 v187, v[5:8]
.LBB110_251:
	s_or_b32 exec_lo, exec_lo, s2
	s_waitcnt lgkmcnt(0)
	s_waitcnt_vscnt null, 0x0
	s_barrier
	buffer_gl0_inv
	s_clause 0x8
	scratch_load_b128 v[2:5], off, off offset:368
	scratch_load_b128 v[6:9], off, off offset:384
	;; [unrolled: 1-line block ×9, first 2 shown]
	ds_load_b128 v[38:41], v1 offset:1120
	ds_load_b128 v[42:45], v1 offset:1136
	s_clause 0x1
	scratch_load_b128 v[188:191], off, off offset:352
	scratch_load_b128 v[192:195], off, off offset:512
	s_mov_b32 s2, exec_lo
	s_waitcnt vmcnt(10) lgkmcnt(1)
	v_mul_f64 v[196:197], v[40:41], v[4:5]
	v_mul_f64 v[4:5], v[38:39], v[4:5]
	s_waitcnt vmcnt(9) lgkmcnt(0)
	v_mul_f64 v[200:201], v[42:43], v[8:9]
	v_mul_f64 v[8:9], v[44:45], v[8:9]
	s_delay_alu instid0(VALU_DEP_4) | instskip(NEXT) | instid1(VALU_DEP_4)
	v_fma_f64 v[202:203], v[38:39], v[2:3], -v[196:197]
	v_fma_f64 v[204:205], v[40:41], v[2:3], v[4:5]
	ds_load_b128 v[2:5], v1 offset:1152
	ds_load_b128 v[196:199], v1 offset:1168
	scratch_load_b128 v[38:41], off, off offset:528
	v_fma_f64 v[44:45], v[44:45], v[6:7], v[200:201]
	v_fma_f64 v[42:43], v[42:43], v[6:7], -v[8:9]
	scratch_load_b128 v[6:9], off, off offset:544
	s_waitcnt vmcnt(10) lgkmcnt(1)
	v_mul_f64 v[206:207], v[2:3], v[12:13]
	v_mul_f64 v[12:13], v[4:5], v[12:13]
	v_add_f64 v[200:201], v[202:203], 0
	v_add_f64 v[202:203], v[204:205], 0
	s_waitcnt vmcnt(9) lgkmcnt(0)
	v_mul_f64 v[204:205], v[196:197], v[16:17]
	v_mul_f64 v[16:17], v[198:199], v[16:17]
	v_fma_f64 v[206:207], v[4:5], v[10:11], v[206:207]
	v_fma_f64 v[208:209], v[2:3], v[10:11], -v[12:13]
	ds_load_b128 v[2:5], v1 offset:1184
	scratch_load_b128 v[10:13], off, off offset:560
	v_add_f64 v[200:201], v[200:201], v[42:43]
	v_add_f64 v[202:203], v[202:203], v[44:45]
	ds_load_b128 v[42:45], v1 offset:1200
	v_fma_f64 v[198:199], v[198:199], v[14:15], v[204:205]
	v_fma_f64 v[196:197], v[196:197], v[14:15], -v[16:17]
	scratch_load_b128 v[14:17], off, off offset:576
	s_waitcnt vmcnt(10) lgkmcnt(1)
	v_mul_f64 v[210:211], v[2:3], v[20:21]
	v_mul_f64 v[20:21], v[4:5], v[20:21]
	s_waitcnt vmcnt(9) lgkmcnt(0)
	v_mul_f64 v[204:205], v[42:43], v[24:25]
	v_mul_f64 v[24:25], v[44:45], v[24:25]
	v_add_f64 v[200:201], v[200:201], v[208:209]
	v_add_f64 v[202:203], v[202:203], v[206:207]
	v_fma_f64 v[206:207], v[4:5], v[18:19], v[210:211]
	v_fma_f64 v[208:209], v[2:3], v[18:19], -v[20:21]
	ds_load_b128 v[2:5], v1 offset:1216
	scratch_load_b128 v[18:21], off, off offset:592
	v_fma_f64 v[44:45], v[44:45], v[22:23], v[204:205]
	v_fma_f64 v[42:43], v[42:43], v[22:23], -v[24:25]
	scratch_load_b128 v[22:25], off, off offset:608
	v_add_f64 v[200:201], v[200:201], v[196:197]
	v_add_f64 v[202:203], v[202:203], v[198:199]
	ds_load_b128 v[196:199], v1 offset:1232
	s_waitcnt vmcnt(10) lgkmcnt(1)
	v_mul_f64 v[210:211], v[2:3], v[28:29]
	v_mul_f64 v[28:29], v[4:5], v[28:29]
	s_waitcnt vmcnt(9) lgkmcnt(0)
	v_mul_f64 v[204:205], v[196:197], v[32:33]
	v_mul_f64 v[32:33], v[198:199], v[32:33]
	v_add_f64 v[200:201], v[200:201], v[208:209]
	v_add_f64 v[202:203], v[202:203], v[206:207]
	v_fma_f64 v[206:207], v[4:5], v[26:27], v[210:211]
	v_fma_f64 v[208:209], v[2:3], v[26:27], -v[28:29]
	ds_load_b128 v[2:5], v1 offset:1248
	scratch_load_b128 v[26:29], off, off offset:624
	v_fma_f64 v[198:199], v[198:199], v[30:31], v[204:205]
	v_fma_f64 v[196:197], v[196:197], v[30:31], -v[32:33]
	scratch_load_b128 v[30:33], off, off offset:640
	v_add_f64 v[200:201], v[200:201], v[42:43]
	v_add_f64 v[202:203], v[202:203], v[44:45]
	ds_load_b128 v[42:45], v1 offset:1264
	s_waitcnt vmcnt(10) lgkmcnt(1)
	v_mul_f64 v[210:211], v[2:3], v[36:37]
	v_mul_f64 v[36:37], v[4:5], v[36:37]
	s_waitcnt vmcnt(8) lgkmcnt(0)
	v_mul_f64 v[204:205], v[42:43], v[194:195]
	v_add_f64 v[200:201], v[200:201], v[208:209]
	v_add_f64 v[202:203], v[202:203], v[206:207]
	v_mul_f64 v[206:207], v[44:45], v[194:195]
	v_fma_f64 v[208:209], v[4:5], v[34:35], v[210:211]
	v_fma_f64 v[210:211], v[2:3], v[34:35], -v[36:37]
	ds_load_b128 v[2:5], v1 offset:1280
	scratch_load_b128 v[34:37], off, off offset:656
	v_fma_f64 v[44:45], v[44:45], v[192:193], v[204:205]
	v_add_f64 v[200:201], v[200:201], v[196:197]
	v_add_f64 v[198:199], v[202:203], v[198:199]
	ds_load_b128 v[194:197], v1 offset:1296
	v_fma_f64 v[192:193], v[42:43], v[192:193], -v[206:207]
	s_waitcnt vmcnt(8) lgkmcnt(1)
	v_mul_f64 v[202:203], v[2:3], v[40:41]
	v_mul_f64 v[212:213], v[4:5], v[40:41]
	scratch_load_b128 v[40:43], off, off offset:672
	s_waitcnt vmcnt(8) lgkmcnt(0)
	v_mul_f64 v[206:207], v[194:195], v[8:9]
	v_mul_f64 v[8:9], v[196:197], v[8:9]
	v_add_f64 v[200:201], v[200:201], v[210:211]
	v_add_f64 v[198:199], v[198:199], v[208:209]
	v_fma_f64 v[208:209], v[4:5], v[38:39], v[202:203]
	v_fma_f64 v[38:39], v[2:3], v[38:39], -v[212:213]
	ds_load_b128 v[2:5], v1 offset:1312
	ds_load_b128 v[202:205], v1 offset:1328
	v_fma_f64 v[196:197], v[196:197], v[6:7], v[206:207]
	v_fma_f64 v[194:195], v[194:195], v[6:7], -v[8:9]
	scratch_load_b128 v[6:9], off, off offset:704
	v_add_f64 v[192:193], v[200:201], v[192:193]
	v_add_f64 v[44:45], v[198:199], v[44:45]
	scratch_load_b128 v[198:201], off, off offset:688
	s_waitcnt vmcnt(9) lgkmcnt(1)
	v_mul_f64 v[210:211], v[2:3], v[12:13]
	v_mul_f64 v[12:13], v[4:5], v[12:13]
	s_waitcnt vmcnt(8) lgkmcnt(0)
	v_mul_f64 v[206:207], v[202:203], v[16:17]
	v_mul_f64 v[16:17], v[204:205], v[16:17]
	v_add_f64 v[38:39], v[192:193], v[38:39]
	v_add_f64 v[44:45], v[44:45], v[208:209]
	v_fma_f64 v[208:209], v[4:5], v[10:11], v[210:211]
	v_fma_f64 v[210:211], v[2:3], v[10:11], -v[12:13]
	ds_load_b128 v[2:5], v1 offset:1344
	scratch_load_b128 v[10:13], off, off offset:720
	v_fma_f64 v[204:205], v[204:205], v[14:15], v[206:207]
	v_fma_f64 v[202:203], v[202:203], v[14:15], -v[16:17]
	scratch_load_b128 v[14:17], off, off offset:736
	v_add_f64 v[38:39], v[38:39], v[194:195]
	v_add_f64 v[44:45], v[44:45], v[196:197]
	ds_load_b128 v[192:195], v1 offset:1360
	s_waitcnt vmcnt(9) lgkmcnt(1)
	v_mul_f64 v[196:197], v[2:3], v[20:21]
	v_mul_f64 v[20:21], v[4:5], v[20:21]
	s_waitcnt vmcnt(8) lgkmcnt(0)
	v_mul_f64 v[206:207], v[192:193], v[24:25]
	v_mul_f64 v[24:25], v[194:195], v[24:25]
	v_add_f64 v[38:39], v[38:39], v[210:211]
	v_add_f64 v[44:45], v[44:45], v[208:209]
	v_fma_f64 v[196:197], v[4:5], v[18:19], v[196:197]
	v_fma_f64 v[208:209], v[2:3], v[18:19], -v[20:21]
	ds_load_b128 v[2:5], v1 offset:1376
	ds_load_b128 v[18:21], v1 offset:1392
	v_fma_f64 v[194:195], v[194:195], v[22:23], v[206:207]
	v_fma_f64 v[22:23], v[192:193], v[22:23], -v[24:25]
	v_add_f64 v[38:39], v[38:39], v[202:203]
	v_add_f64 v[44:45], v[44:45], v[204:205]
	s_waitcnt vmcnt(7) lgkmcnt(1)
	v_mul_f64 v[202:203], v[2:3], v[28:29]
	v_mul_f64 v[28:29], v[4:5], v[28:29]
	s_delay_alu instid0(VALU_DEP_4) | instskip(NEXT) | instid1(VALU_DEP_4)
	v_add_f64 v[24:25], v[38:39], v[208:209]
	v_add_f64 v[38:39], v[44:45], v[196:197]
	s_waitcnt vmcnt(6) lgkmcnt(0)
	v_mul_f64 v[44:45], v[18:19], v[32:33]
	v_mul_f64 v[32:33], v[20:21], v[32:33]
	v_fma_f64 v[192:193], v[4:5], v[26:27], v[202:203]
	v_fma_f64 v[26:27], v[2:3], v[26:27], -v[28:29]
	v_add_f64 v[28:29], v[24:25], v[22:23]
	v_add_f64 v[38:39], v[38:39], v[194:195]
	ds_load_b128 v[2:5], v1 offset:1408
	ds_load_b128 v[22:25], v1 offset:1424
	v_fma_f64 v[20:21], v[20:21], v[30:31], v[44:45]
	v_fma_f64 v[18:19], v[18:19], v[30:31], -v[32:33]
	s_waitcnt vmcnt(5) lgkmcnt(1)
	v_mul_f64 v[194:195], v[2:3], v[36:37]
	v_mul_f64 v[36:37], v[4:5], v[36:37]
	s_waitcnt vmcnt(4) lgkmcnt(0)
	v_mul_f64 v[30:31], v[22:23], v[42:43]
	v_add_f64 v[26:27], v[28:29], v[26:27]
	v_add_f64 v[28:29], v[38:39], v[192:193]
	v_mul_f64 v[32:33], v[24:25], v[42:43]
	v_fma_f64 v[38:39], v[4:5], v[34:35], v[194:195]
	v_fma_f64 v[34:35], v[2:3], v[34:35], -v[36:37]
	v_fma_f64 v[24:25], v[24:25], v[40:41], v[30:31]
	v_add_f64 v[26:27], v[26:27], v[18:19]
	v_add_f64 v[28:29], v[28:29], v[20:21]
	ds_load_b128 v[2:5], v1 offset:1440
	ds_load_b128 v[18:21], v1 offset:1456
	v_fma_f64 v[22:23], v[22:23], v[40:41], -v[32:33]
	s_waitcnt vmcnt(2) lgkmcnt(1)
	v_mul_f64 v[36:37], v[2:3], v[200:201]
	v_mul_f64 v[42:43], v[4:5], v[200:201]
	s_waitcnt lgkmcnt(0)
	v_mul_f64 v[30:31], v[18:19], v[8:9]
	v_mul_f64 v[8:9], v[20:21], v[8:9]
	v_add_f64 v[26:27], v[26:27], v[34:35]
	v_add_f64 v[28:29], v[28:29], v[38:39]
	v_fma_f64 v[32:33], v[4:5], v[198:199], v[36:37]
	v_fma_f64 v[34:35], v[2:3], v[198:199], -v[42:43]
	v_fma_f64 v[20:21], v[20:21], v[6:7], v[30:31]
	v_fma_f64 v[6:7], v[18:19], v[6:7], -v[8:9]
	v_add_f64 v[26:27], v[26:27], v[22:23]
	v_add_f64 v[28:29], v[28:29], v[24:25]
	ds_load_b128 v[2:5], v1 offset:1472
	ds_load_b128 v[22:25], v1 offset:1488
	s_waitcnt vmcnt(1) lgkmcnt(1)
	v_mul_f64 v[36:37], v[2:3], v[12:13]
	v_mul_f64 v[12:13], v[4:5], v[12:13]
	v_add_f64 v[8:9], v[26:27], v[34:35]
	v_add_f64 v[18:19], v[28:29], v[32:33]
	s_waitcnt vmcnt(0) lgkmcnt(0)
	v_mul_f64 v[26:27], v[22:23], v[16:17]
	v_mul_f64 v[16:17], v[24:25], v[16:17]
	v_fma_f64 v[4:5], v[4:5], v[10:11], v[36:37]
	v_fma_f64 v[1:2], v[2:3], v[10:11], -v[12:13]
	v_add_f64 v[6:7], v[8:9], v[6:7]
	v_add_f64 v[8:9], v[18:19], v[20:21]
	v_fma_f64 v[10:11], v[24:25], v[14:15], v[26:27]
	v_fma_f64 v[12:13], v[22:23], v[14:15], -v[16:17]
	s_delay_alu instid0(VALU_DEP_4) | instskip(NEXT) | instid1(VALU_DEP_4)
	v_add_f64 v[1:2], v[6:7], v[1:2]
	v_add_f64 v[3:4], v[8:9], v[4:5]
	s_delay_alu instid0(VALU_DEP_2) | instskip(NEXT) | instid1(VALU_DEP_2)
	v_add_f64 v[1:2], v[1:2], v[12:13]
	v_add_f64 v[3:4], v[3:4], v[10:11]
	s_delay_alu instid0(VALU_DEP_2) | instskip(NEXT) | instid1(VALU_DEP_2)
	v_add_f64 v[1:2], v[188:189], -v[1:2]
	v_add_f64 v[3:4], v[190:191], -v[3:4]
	scratch_store_b128 off, v[1:4], off offset:352
	v_cmpx_lt_u32_e32 21, v140
	s_cbranch_execz .LBB110_253
; %bb.252:
	scratch_load_b128 v[1:4], v166, off
	v_mov_b32_e32 v5, 0
	s_delay_alu instid0(VALU_DEP_1)
	v_mov_b32_e32 v6, v5
	v_mov_b32_e32 v7, v5
	;; [unrolled: 1-line block ×3, first 2 shown]
	scratch_store_b128 off, v[5:8], off offset:336
	s_waitcnt vmcnt(0)
	ds_store_b128 v187, v[1:4]
.LBB110_253:
	s_or_b32 exec_lo, exec_lo, s2
	s_waitcnt lgkmcnt(0)
	s_waitcnt_vscnt null, 0x0
	s_barrier
	buffer_gl0_inv
	s_clause 0x7
	scratch_load_b128 v[2:5], off, off offset:352
	scratch_load_b128 v[6:9], off, off offset:368
	;; [unrolled: 1-line block ×8, first 2 shown]
	v_mov_b32_e32 v1, 0
	s_mov_b32 s2, exec_lo
	ds_load_b128 v[34:37], v1 offset:1104
	s_clause 0x1
	scratch_load_b128 v[38:41], off, off offset:480
	scratch_load_b128 v[42:45], off, off offset:336
	ds_load_b128 v[188:191], v1 offset:1120
	scratch_load_b128 v[192:195], off, off offset:496
	s_waitcnt vmcnt(10) lgkmcnt(1)
	v_mul_f64 v[196:197], v[36:37], v[4:5]
	v_mul_f64 v[4:5], v[34:35], v[4:5]
	s_delay_alu instid0(VALU_DEP_2) | instskip(NEXT) | instid1(VALU_DEP_2)
	v_fma_f64 v[202:203], v[34:35], v[2:3], -v[196:197]
	v_fma_f64 v[204:205], v[36:37], v[2:3], v[4:5]
	scratch_load_b128 v[34:37], off, off offset:512
	ds_load_b128 v[2:5], v1 offset:1136
	s_waitcnt vmcnt(10) lgkmcnt(1)
	v_mul_f64 v[200:201], v[188:189], v[8:9]
	v_mul_f64 v[8:9], v[190:191], v[8:9]
	ds_load_b128 v[196:199], v1 offset:1152
	s_waitcnt vmcnt(9) lgkmcnt(1)
	v_mul_f64 v[206:207], v[2:3], v[12:13]
	v_mul_f64 v[12:13], v[4:5], v[12:13]
	v_fma_f64 v[190:191], v[190:191], v[6:7], v[200:201]
	v_fma_f64 v[188:189], v[188:189], v[6:7], -v[8:9]
	v_add_f64 v[200:201], v[202:203], 0
	v_add_f64 v[202:203], v[204:205], 0
	scratch_load_b128 v[6:9], off, off offset:528
	v_fma_f64 v[206:207], v[4:5], v[10:11], v[206:207]
	v_fma_f64 v[208:209], v[2:3], v[10:11], -v[12:13]
	scratch_load_b128 v[10:13], off, off offset:544
	ds_load_b128 v[2:5], v1 offset:1168
	s_waitcnt vmcnt(10) lgkmcnt(1)
	v_mul_f64 v[204:205], v[196:197], v[16:17]
	v_mul_f64 v[16:17], v[198:199], v[16:17]
	v_add_f64 v[200:201], v[200:201], v[188:189]
	v_add_f64 v[202:203], v[202:203], v[190:191]
	s_waitcnt vmcnt(9) lgkmcnt(0)
	v_mul_f64 v[210:211], v[2:3], v[20:21]
	v_mul_f64 v[20:21], v[4:5], v[20:21]
	ds_load_b128 v[188:191], v1 offset:1184
	v_fma_f64 v[198:199], v[198:199], v[14:15], v[204:205]
	v_fma_f64 v[196:197], v[196:197], v[14:15], -v[16:17]
	scratch_load_b128 v[14:17], off, off offset:560
	v_add_f64 v[200:201], v[200:201], v[208:209]
	v_add_f64 v[202:203], v[202:203], v[206:207]
	v_fma_f64 v[206:207], v[4:5], v[18:19], v[210:211]
	v_fma_f64 v[208:209], v[2:3], v[18:19], -v[20:21]
	scratch_load_b128 v[18:21], off, off offset:576
	ds_load_b128 v[2:5], v1 offset:1200
	s_waitcnt vmcnt(10) lgkmcnt(1)
	v_mul_f64 v[204:205], v[188:189], v[24:25]
	v_mul_f64 v[24:25], v[190:191], v[24:25]
	s_waitcnt vmcnt(9) lgkmcnt(0)
	v_mul_f64 v[210:211], v[2:3], v[28:29]
	v_mul_f64 v[28:29], v[4:5], v[28:29]
	v_add_f64 v[200:201], v[200:201], v[196:197]
	v_add_f64 v[202:203], v[202:203], v[198:199]
	ds_load_b128 v[196:199], v1 offset:1216
	v_fma_f64 v[190:191], v[190:191], v[22:23], v[204:205]
	v_fma_f64 v[188:189], v[188:189], v[22:23], -v[24:25]
	scratch_load_b128 v[22:25], off, off offset:592
	v_add_f64 v[200:201], v[200:201], v[208:209]
	v_add_f64 v[202:203], v[202:203], v[206:207]
	v_fma_f64 v[206:207], v[4:5], v[26:27], v[210:211]
	v_fma_f64 v[208:209], v[2:3], v[26:27], -v[28:29]
	scratch_load_b128 v[26:29], off, off offset:608
	ds_load_b128 v[2:5], v1 offset:1232
	s_waitcnt vmcnt(10) lgkmcnt(1)
	v_mul_f64 v[204:205], v[196:197], v[32:33]
	v_mul_f64 v[32:33], v[198:199], v[32:33]
	s_waitcnt vmcnt(9) lgkmcnt(0)
	v_mul_f64 v[210:211], v[2:3], v[40:41]
	v_mul_f64 v[40:41], v[4:5], v[40:41]
	v_add_f64 v[200:201], v[200:201], v[188:189]
	v_add_f64 v[202:203], v[202:203], v[190:191]
	ds_load_b128 v[188:191], v1 offset:1248
	v_fma_f64 v[198:199], v[198:199], v[30:31], v[204:205]
	v_fma_f64 v[196:197], v[196:197], v[30:31], -v[32:33]
	scratch_load_b128 v[30:33], off, off offset:624
	v_add_f64 v[200:201], v[200:201], v[208:209]
	v_add_f64 v[202:203], v[202:203], v[206:207]
	v_fma_f64 v[208:209], v[4:5], v[38:39], v[210:211]
	v_fma_f64 v[210:211], v[2:3], v[38:39], -v[40:41]
	scratch_load_b128 v[38:41], off, off offset:640
	ds_load_b128 v[2:5], v1 offset:1264
	s_waitcnt vmcnt(9) lgkmcnt(1)
	v_mul_f64 v[204:205], v[188:189], v[194:195]
	v_mul_f64 v[206:207], v[190:191], v[194:195]
	v_add_f64 v[200:201], v[200:201], v[196:197]
	v_add_f64 v[198:199], v[202:203], v[198:199]
	ds_load_b128 v[194:197], v1 offset:1280
	v_fma_f64 v[204:205], v[190:191], v[192:193], v[204:205]
	v_fma_f64 v[192:193], v[188:189], v[192:193], -v[206:207]
	scratch_load_b128 v[188:191], off, off offset:656
	s_waitcnt vmcnt(9) lgkmcnt(1)
	v_mul_f64 v[202:203], v[2:3], v[36:37]
	v_mul_f64 v[36:37], v[4:5], v[36:37]
	v_add_f64 v[200:201], v[200:201], v[210:211]
	v_add_f64 v[198:199], v[198:199], v[208:209]
	s_delay_alu instid0(VALU_DEP_4) | instskip(NEXT) | instid1(VALU_DEP_4)
	v_fma_f64 v[202:203], v[4:5], v[34:35], v[202:203]
	v_fma_f64 v[208:209], v[2:3], v[34:35], -v[36:37]
	scratch_load_b128 v[34:37], off, off offset:672
	ds_load_b128 v[2:5], v1 offset:1296
	s_waitcnt vmcnt(9) lgkmcnt(1)
	v_mul_f64 v[206:207], v[194:195], v[8:9]
	v_mul_f64 v[8:9], v[196:197], v[8:9]
	s_waitcnt vmcnt(8) lgkmcnt(0)
	v_mul_f64 v[210:211], v[2:3], v[12:13]
	v_mul_f64 v[12:13], v[4:5], v[12:13]
	v_add_f64 v[192:193], v[200:201], v[192:193]
	v_add_f64 v[204:205], v[198:199], v[204:205]
	ds_load_b128 v[198:201], v1 offset:1312
	v_fma_f64 v[196:197], v[196:197], v[6:7], v[206:207]
	v_fma_f64 v[194:195], v[194:195], v[6:7], -v[8:9]
	scratch_load_b128 v[6:9], off, off offset:688
	v_fma_f64 v[206:207], v[4:5], v[10:11], v[210:211]
	v_add_f64 v[192:193], v[192:193], v[208:209]
	v_add_f64 v[202:203], v[204:205], v[202:203]
	v_fma_f64 v[208:209], v[2:3], v[10:11], -v[12:13]
	scratch_load_b128 v[10:13], off, off offset:704
	ds_load_b128 v[2:5], v1 offset:1328
	s_waitcnt vmcnt(9) lgkmcnt(1)
	v_mul_f64 v[204:205], v[198:199], v[16:17]
	v_mul_f64 v[16:17], v[200:201], v[16:17]
	v_add_f64 v[210:211], v[192:193], v[194:195]
	v_add_f64 v[196:197], v[202:203], v[196:197]
	s_waitcnt vmcnt(8) lgkmcnt(0)
	v_mul_f64 v[202:203], v[2:3], v[20:21]
	v_mul_f64 v[20:21], v[4:5], v[20:21]
	ds_load_b128 v[192:195], v1 offset:1344
	v_fma_f64 v[200:201], v[200:201], v[14:15], v[204:205]
	v_fma_f64 v[198:199], v[198:199], v[14:15], -v[16:17]
	scratch_load_b128 v[14:17], off, off offset:720
	v_add_f64 v[204:205], v[210:211], v[208:209]
	v_add_f64 v[196:197], v[196:197], v[206:207]
	v_fma_f64 v[202:203], v[4:5], v[18:19], v[202:203]
	v_fma_f64 v[208:209], v[2:3], v[18:19], -v[20:21]
	scratch_load_b128 v[18:21], off, off offset:736
	ds_load_b128 v[2:5], v1 offset:1360
	s_waitcnt vmcnt(9) lgkmcnt(1)
	v_mul_f64 v[206:207], v[192:193], v[24:25]
	v_mul_f64 v[24:25], v[194:195], v[24:25]
	s_waitcnt vmcnt(8) lgkmcnt(0)
	v_mul_f64 v[210:211], v[2:3], v[28:29]
	v_mul_f64 v[28:29], v[4:5], v[28:29]
	v_add_f64 v[204:205], v[204:205], v[198:199]
	v_add_f64 v[200:201], v[196:197], v[200:201]
	ds_load_b128 v[196:199], v1 offset:1376
	v_fma_f64 v[194:195], v[194:195], v[22:23], v[206:207]
	v_fma_f64 v[22:23], v[192:193], v[22:23], -v[24:25]
	v_add_f64 v[24:25], v[204:205], v[208:209]
	v_add_f64 v[192:193], v[200:201], v[202:203]
	s_waitcnt vmcnt(7) lgkmcnt(0)
	v_mul_f64 v[200:201], v[196:197], v[32:33]
	v_mul_f64 v[32:33], v[198:199], v[32:33]
	v_fma_f64 v[202:203], v[4:5], v[26:27], v[210:211]
	v_fma_f64 v[26:27], v[2:3], v[26:27], -v[28:29]
	v_add_f64 v[28:29], v[24:25], v[22:23]
	v_add_f64 v[192:193], v[192:193], v[194:195]
	ds_load_b128 v[2:5], v1 offset:1392
	ds_load_b128 v[22:25], v1 offset:1408
	v_fma_f64 v[198:199], v[198:199], v[30:31], v[200:201]
	v_fma_f64 v[30:31], v[196:197], v[30:31], -v[32:33]
	s_waitcnt vmcnt(6) lgkmcnt(1)
	v_mul_f64 v[194:195], v[2:3], v[40:41]
	v_mul_f64 v[40:41], v[4:5], v[40:41]
	s_waitcnt vmcnt(5) lgkmcnt(0)
	v_mul_f64 v[32:33], v[22:23], v[190:191]
	v_mul_f64 v[190:191], v[24:25], v[190:191]
	v_add_f64 v[26:27], v[28:29], v[26:27]
	v_add_f64 v[28:29], v[192:193], v[202:203]
	v_fma_f64 v[192:193], v[4:5], v[38:39], v[194:195]
	v_fma_f64 v[38:39], v[2:3], v[38:39], -v[40:41]
	v_fma_f64 v[24:25], v[24:25], v[188:189], v[32:33]
	v_fma_f64 v[22:23], v[22:23], v[188:189], -v[190:191]
	v_add_f64 v[30:31], v[26:27], v[30:31]
	v_add_f64 v[40:41], v[28:29], v[198:199]
	ds_load_b128 v[2:5], v1 offset:1424
	ds_load_b128 v[26:29], v1 offset:1440
	s_waitcnt vmcnt(4) lgkmcnt(1)
	v_mul_f64 v[194:195], v[2:3], v[36:37]
	v_mul_f64 v[36:37], v[4:5], v[36:37]
	v_add_f64 v[30:31], v[30:31], v[38:39]
	v_add_f64 v[32:33], v[40:41], v[192:193]
	s_waitcnt vmcnt(3) lgkmcnt(0)
	v_mul_f64 v[38:39], v[26:27], v[8:9]
	v_mul_f64 v[8:9], v[28:29], v[8:9]
	v_fma_f64 v[40:41], v[4:5], v[34:35], v[194:195]
	v_fma_f64 v[34:35], v[2:3], v[34:35], -v[36:37]
	v_add_f64 v[30:31], v[30:31], v[22:23]
	v_add_f64 v[32:33], v[32:33], v[24:25]
	ds_load_b128 v[2:5], v1 offset:1456
	ds_load_b128 v[22:25], v1 offset:1472
	v_fma_f64 v[28:29], v[28:29], v[6:7], v[38:39]
	v_fma_f64 v[6:7], v[26:27], v[6:7], -v[8:9]
	s_waitcnt vmcnt(2) lgkmcnt(1)
	v_mul_f64 v[36:37], v[2:3], v[12:13]
	v_mul_f64 v[12:13], v[4:5], v[12:13]
	v_add_f64 v[8:9], v[30:31], v[34:35]
	v_add_f64 v[26:27], v[32:33], v[40:41]
	s_waitcnt vmcnt(1) lgkmcnt(0)
	v_mul_f64 v[30:31], v[22:23], v[16:17]
	v_mul_f64 v[16:17], v[24:25], v[16:17]
	v_fma_f64 v[32:33], v[4:5], v[10:11], v[36:37]
	v_fma_f64 v[10:11], v[2:3], v[10:11], -v[12:13]
	ds_load_b128 v[2:5], v1 offset:1488
	v_add_f64 v[6:7], v[8:9], v[6:7]
	v_add_f64 v[8:9], v[26:27], v[28:29]
	v_fma_f64 v[24:25], v[24:25], v[14:15], v[30:31]
	v_fma_f64 v[14:15], v[22:23], v[14:15], -v[16:17]
	s_waitcnt vmcnt(0) lgkmcnt(0)
	v_mul_f64 v[12:13], v[2:3], v[20:21]
	v_mul_f64 v[20:21], v[4:5], v[20:21]
	v_add_f64 v[6:7], v[6:7], v[10:11]
	v_add_f64 v[8:9], v[8:9], v[32:33]
	s_delay_alu instid0(VALU_DEP_4) | instskip(NEXT) | instid1(VALU_DEP_4)
	v_fma_f64 v[4:5], v[4:5], v[18:19], v[12:13]
	v_fma_f64 v[2:3], v[2:3], v[18:19], -v[20:21]
	s_delay_alu instid0(VALU_DEP_4) | instskip(NEXT) | instid1(VALU_DEP_4)
	v_add_f64 v[6:7], v[6:7], v[14:15]
	v_add_f64 v[8:9], v[8:9], v[24:25]
	s_delay_alu instid0(VALU_DEP_2) | instskip(NEXT) | instid1(VALU_DEP_2)
	v_add_f64 v[2:3], v[6:7], v[2:3]
	v_add_f64 v[4:5], v[8:9], v[4:5]
	s_delay_alu instid0(VALU_DEP_2) | instskip(NEXT) | instid1(VALU_DEP_2)
	v_add_f64 v[2:3], v[42:43], -v[2:3]
	v_add_f64 v[4:5], v[44:45], -v[4:5]
	scratch_store_b128 off, v[2:5], off offset:336
	v_cmpx_lt_u32_e32 20, v140
	s_cbranch_execz .LBB110_255
; %bb.254:
	scratch_load_b128 v[5:8], v167, off
	v_mov_b32_e32 v2, v1
	v_mov_b32_e32 v3, v1
	;; [unrolled: 1-line block ×3, first 2 shown]
	scratch_store_b128 off, v[1:4], off offset:320
	s_waitcnt vmcnt(0)
	ds_store_b128 v187, v[5:8]
.LBB110_255:
	s_or_b32 exec_lo, exec_lo, s2
	s_waitcnt lgkmcnt(0)
	s_waitcnt_vscnt null, 0x0
	s_barrier
	buffer_gl0_inv
	s_clause 0x8
	scratch_load_b128 v[2:5], off, off offset:336
	scratch_load_b128 v[6:9], off, off offset:352
	;; [unrolled: 1-line block ×9, first 2 shown]
	ds_load_b128 v[38:41], v1 offset:1088
	ds_load_b128 v[42:45], v1 offset:1104
	s_clause 0x1
	scratch_load_b128 v[188:191], off, off offset:320
	scratch_load_b128 v[192:195], off, off offset:480
	s_mov_b32 s2, exec_lo
	s_waitcnt vmcnt(10) lgkmcnt(1)
	v_mul_f64 v[196:197], v[40:41], v[4:5]
	v_mul_f64 v[4:5], v[38:39], v[4:5]
	s_waitcnt vmcnt(9) lgkmcnt(0)
	v_mul_f64 v[200:201], v[42:43], v[8:9]
	v_mul_f64 v[8:9], v[44:45], v[8:9]
	s_delay_alu instid0(VALU_DEP_4) | instskip(NEXT) | instid1(VALU_DEP_4)
	v_fma_f64 v[202:203], v[38:39], v[2:3], -v[196:197]
	v_fma_f64 v[204:205], v[40:41], v[2:3], v[4:5]
	ds_load_b128 v[2:5], v1 offset:1120
	ds_load_b128 v[196:199], v1 offset:1136
	scratch_load_b128 v[38:41], off, off offset:496
	v_fma_f64 v[44:45], v[44:45], v[6:7], v[200:201]
	v_fma_f64 v[42:43], v[42:43], v[6:7], -v[8:9]
	scratch_load_b128 v[6:9], off, off offset:512
	s_waitcnt vmcnt(10) lgkmcnt(1)
	v_mul_f64 v[206:207], v[2:3], v[12:13]
	v_mul_f64 v[12:13], v[4:5], v[12:13]
	v_add_f64 v[200:201], v[202:203], 0
	v_add_f64 v[202:203], v[204:205], 0
	s_waitcnt vmcnt(9) lgkmcnt(0)
	v_mul_f64 v[204:205], v[196:197], v[16:17]
	v_mul_f64 v[16:17], v[198:199], v[16:17]
	v_fma_f64 v[206:207], v[4:5], v[10:11], v[206:207]
	v_fma_f64 v[208:209], v[2:3], v[10:11], -v[12:13]
	ds_load_b128 v[2:5], v1 offset:1152
	scratch_load_b128 v[10:13], off, off offset:528
	v_add_f64 v[200:201], v[200:201], v[42:43]
	v_add_f64 v[202:203], v[202:203], v[44:45]
	ds_load_b128 v[42:45], v1 offset:1168
	v_fma_f64 v[198:199], v[198:199], v[14:15], v[204:205]
	v_fma_f64 v[196:197], v[196:197], v[14:15], -v[16:17]
	scratch_load_b128 v[14:17], off, off offset:544
	s_waitcnt vmcnt(10) lgkmcnt(1)
	v_mul_f64 v[210:211], v[2:3], v[20:21]
	v_mul_f64 v[20:21], v[4:5], v[20:21]
	s_waitcnt vmcnt(9) lgkmcnt(0)
	v_mul_f64 v[204:205], v[42:43], v[24:25]
	v_mul_f64 v[24:25], v[44:45], v[24:25]
	v_add_f64 v[200:201], v[200:201], v[208:209]
	v_add_f64 v[202:203], v[202:203], v[206:207]
	v_fma_f64 v[206:207], v[4:5], v[18:19], v[210:211]
	v_fma_f64 v[208:209], v[2:3], v[18:19], -v[20:21]
	ds_load_b128 v[2:5], v1 offset:1184
	scratch_load_b128 v[18:21], off, off offset:560
	v_fma_f64 v[44:45], v[44:45], v[22:23], v[204:205]
	v_fma_f64 v[42:43], v[42:43], v[22:23], -v[24:25]
	scratch_load_b128 v[22:25], off, off offset:576
	v_add_f64 v[200:201], v[200:201], v[196:197]
	v_add_f64 v[202:203], v[202:203], v[198:199]
	ds_load_b128 v[196:199], v1 offset:1200
	s_waitcnt vmcnt(10) lgkmcnt(1)
	v_mul_f64 v[210:211], v[2:3], v[28:29]
	v_mul_f64 v[28:29], v[4:5], v[28:29]
	s_waitcnt vmcnt(9) lgkmcnt(0)
	v_mul_f64 v[204:205], v[196:197], v[32:33]
	v_mul_f64 v[32:33], v[198:199], v[32:33]
	v_add_f64 v[200:201], v[200:201], v[208:209]
	v_add_f64 v[202:203], v[202:203], v[206:207]
	v_fma_f64 v[206:207], v[4:5], v[26:27], v[210:211]
	v_fma_f64 v[208:209], v[2:3], v[26:27], -v[28:29]
	ds_load_b128 v[2:5], v1 offset:1216
	scratch_load_b128 v[26:29], off, off offset:592
	v_fma_f64 v[198:199], v[198:199], v[30:31], v[204:205]
	v_fma_f64 v[196:197], v[196:197], v[30:31], -v[32:33]
	scratch_load_b128 v[30:33], off, off offset:608
	v_add_f64 v[200:201], v[200:201], v[42:43]
	v_add_f64 v[202:203], v[202:203], v[44:45]
	ds_load_b128 v[42:45], v1 offset:1232
	s_waitcnt vmcnt(10) lgkmcnt(1)
	v_mul_f64 v[210:211], v[2:3], v[36:37]
	v_mul_f64 v[36:37], v[4:5], v[36:37]
	s_waitcnt vmcnt(8) lgkmcnt(0)
	v_mul_f64 v[204:205], v[42:43], v[194:195]
	v_add_f64 v[200:201], v[200:201], v[208:209]
	v_add_f64 v[202:203], v[202:203], v[206:207]
	v_mul_f64 v[206:207], v[44:45], v[194:195]
	v_fma_f64 v[208:209], v[4:5], v[34:35], v[210:211]
	v_fma_f64 v[210:211], v[2:3], v[34:35], -v[36:37]
	ds_load_b128 v[2:5], v1 offset:1248
	scratch_load_b128 v[34:37], off, off offset:624
	v_fma_f64 v[44:45], v[44:45], v[192:193], v[204:205]
	v_add_f64 v[200:201], v[200:201], v[196:197]
	v_add_f64 v[198:199], v[202:203], v[198:199]
	ds_load_b128 v[194:197], v1 offset:1264
	v_fma_f64 v[192:193], v[42:43], v[192:193], -v[206:207]
	s_waitcnt vmcnt(8) lgkmcnt(1)
	v_mul_f64 v[202:203], v[2:3], v[40:41]
	v_mul_f64 v[212:213], v[4:5], v[40:41]
	scratch_load_b128 v[40:43], off, off offset:640
	s_waitcnt vmcnt(8) lgkmcnt(0)
	v_mul_f64 v[206:207], v[194:195], v[8:9]
	v_mul_f64 v[8:9], v[196:197], v[8:9]
	v_add_f64 v[200:201], v[200:201], v[210:211]
	v_add_f64 v[198:199], v[198:199], v[208:209]
	v_fma_f64 v[208:209], v[4:5], v[38:39], v[202:203]
	v_fma_f64 v[38:39], v[2:3], v[38:39], -v[212:213]
	ds_load_b128 v[2:5], v1 offset:1280
	ds_load_b128 v[202:205], v1 offset:1296
	v_fma_f64 v[196:197], v[196:197], v[6:7], v[206:207]
	v_fma_f64 v[194:195], v[194:195], v[6:7], -v[8:9]
	scratch_load_b128 v[6:9], off, off offset:672
	v_add_f64 v[192:193], v[200:201], v[192:193]
	v_add_f64 v[44:45], v[198:199], v[44:45]
	scratch_load_b128 v[198:201], off, off offset:656
	s_waitcnt vmcnt(9) lgkmcnt(1)
	v_mul_f64 v[210:211], v[2:3], v[12:13]
	v_mul_f64 v[12:13], v[4:5], v[12:13]
	s_waitcnt vmcnt(8) lgkmcnt(0)
	v_mul_f64 v[206:207], v[202:203], v[16:17]
	v_mul_f64 v[16:17], v[204:205], v[16:17]
	v_add_f64 v[38:39], v[192:193], v[38:39]
	v_add_f64 v[44:45], v[44:45], v[208:209]
	v_fma_f64 v[208:209], v[4:5], v[10:11], v[210:211]
	v_fma_f64 v[210:211], v[2:3], v[10:11], -v[12:13]
	ds_load_b128 v[2:5], v1 offset:1312
	scratch_load_b128 v[10:13], off, off offset:688
	v_fma_f64 v[204:205], v[204:205], v[14:15], v[206:207]
	v_fma_f64 v[202:203], v[202:203], v[14:15], -v[16:17]
	scratch_load_b128 v[14:17], off, off offset:704
	v_add_f64 v[38:39], v[38:39], v[194:195]
	v_add_f64 v[44:45], v[44:45], v[196:197]
	ds_load_b128 v[192:195], v1 offset:1328
	s_waitcnt vmcnt(9) lgkmcnt(1)
	v_mul_f64 v[196:197], v[2:3], v[20:21]
	v_mul_f64 v[20:21], v[4:5], v[20:21]
	s_waitcnt vmcnt(8) lgkmcnt(0)
	v_mul_f64 v[206:207], v[192:193], v[24:25]
	v_mul_f64 v[24:25], v[194:195], v[24:25]
	v_add_f64 v[38:39], v[38:39], v[210:211]
	v_add_f64 v[44:45], v[44:45], v[208:209]
	v_fma_f64 v[196:197], v[4:5], v[18:19], v[196:197]
	v_fma_f64 v[208:209], v[2:3], v[18:19], -v[20:21]
	ds_load_b128 v[2:5], v1 offset:1344
	scratch_load_b128 v[18:21], off, off offset:720
	v_fma_f64 v[194:195], v[194:195], v[22:23], v[206:207]
	v_fma_f64 v[192:193], v[192:193], v[22:23], -v[24:25]
	scratch_load_b128 v[22:25], off, off offset:736
	v_add_f64 v[38:39], v[38:39], v[202:203]
	v_add_f64 v[44:45], v[44:45], v[204:205]
	ds_load_b128 v[202:205], v1 offset:1360
	s_waitcnt vmcnt(9) lgkmcnt(1)
	v_mul_f64 v[210:211], v[2:3], v[28:29]
	v_mul_f64 v[28:29], v[4:5], v[28:29]
	v_add_f64 v[38:39], v[38:39], v[208:209]
	v_add_f64 v[44:45], v[44:45], v[196:197]
	s_waitcnt vmcnt(8) lgkmcnt(0)
	v_mul_f64 v[196:197], v[202:203], v[32:33]
	v_mul_f64 v[32:33], v[204:205], v[32:33]
	v_fma_f64 v[206:207], v[4:5], v[26:27], v[210:211]
	v_fma_f64 v[208:209], v[2:3], v[26:27], -v[28:29]
	ds_load_b128 v[2:5], v1 offset:1376
	ds_load_b128 v[26:29], v1 offset:1392
	v_add_f64 v[38:39], v[38:39], v[192:193]
	v_add_f64 v[44:45], v[44:45], v[194:195]
	s_waitcnt vmcnt(7) lgkmcnt(1)
	v_mul_f64 v[192:193], v[2:3], v[36:37]
	v_mul_f64 v[36:37], v[4:5], v[36:37]
	v_fma_f64 v[194:195], v[204:205], v[30:31], v[196:197]
	v_fma_f64 v[30:31], v[202:203], v[30:31], -v[32:33]
	v_add_f64 v[32:33], v[38:39], v[208:209]
	v_add_f64 v[38:39], v[44:45], v[206:207]
	s_waitcnt vmcnt(6) lgkmcnt(0)
	v_mul_f64 v[44:45], v[26:27], v[42:43]
	v_mul_f64 v[42:43], v[28:29], v[42:43]
	v_fma_f64 v[192:193], v[4:5], v[34:35], v[192:193]
	v_fma_f64 v[34:35], v[2:3], v[34:35], -v[36:37]
	v_add_f64 v[36:37], v[32:33], v[30:31]
	v_add_f64 v[38:39], v[38:39], v[194:195]
	ds_load_b128 v[2:5], v1 offset:1408
	ds_load_b128 v[30:33], v1 offset:1424
	v_fma_f64 v[28:29], v[28:29], v[40:41], v[44:45]
	v_fma_f64 v[26:27], v[26:27], v[40:41], -v[42:43]
	s_waitcnt vmcnt(4) lgkmcnt(1)
	v_mul_f64 v[194:195], v[2:3], v[200:201]
	v_mul_f64 v[196:197], v[4:5], v[200:201]
	v_add_f64 v[34:35], v[36:37], v[34:35]
	v_add_f64 v[36:37], v[38:39], v[192:193]
	s_waitcnt lgkmcnt(0)
	v_mul_f64 v[38:39], v[30:31], v[8:9]
	v_mul_f64 v[8:9], v[32:33], v[8:9]
	v_fma_f64 v[40:41], v[4:5], v[198:199], v[194:195]
	v_fma_f64 v[42:43], v[2:3], v[198:199], -v[196:197]
	v_add_f64 v[34:35], v[34:35], v[26:27]
	v_add_f64 v[36:37], v[36:37], v[28:29]
	ds_load_b128 v[2:5], v1 offset:1440
	ds_load_b128 v[26:29], v1 offset:1456
	v_fma_f64 v[32:33], v[32:33], v[6:7], v[38:39]
	v_fma_f64 v[6:7], v[30:31], v[6:7], -v[8:9]
	s_waitcnt vmcnt(3) lgkmcnt(1)
	v_mul_f64 v[44:45], v[2:3], v[12:13]
	v_mul_f64 v[12:13], v[4:5], v[12:13]
	v_add_f64 v[8:9], v[34:35], v[42:43]
	v_add_f64 v[30:31], v[36:37], v[40:41]
	s_waitcnt vmcnt(2) lgkmcnt(0)
	v_mul_f64 v[34:35], v[26:27], v[16:17]
	v_mul_f64 v[16:17], v[28:29], v[16:17]
	v_fma_f64 v[36:37], v[4:5], v[10:11], v[44:45]
	v_fma_f64 v[10:11], v[2:3], v[10:11], -v[12:13]
	v_add_f64 v[12:13], v[8:9], v[6:7]
	v_add_f64 v[30:31], v[30:31], v[32:33]
	ds_load_b128 v[2:5], v1 offset:1472
	ds_load_b128 v[6:9], v1 offset:1488
	v_fma_f64 v[28:29], v[28:29], v[14:15], v[34:35]
	v_fma_f64 v[14:15], v[26:27], v[14:15], -v[16:17]
	s_waitcnt vmcnt(1) lgkmcnt(1)
	v_mul_f64 v[32:33], v[2:3], v[20:21]
	v_mul_f64 v[20:21], v[4:5], v[20:21]
	s_waitcnt vmcnt(0) lgkmcnt(0)
	v_mul_f64 v[16:17], v[6:7], v[24:25]
	v_mul_f64 v[24:25], v[8:9], v[24:25]
	v_add_f64 v[10:11], v[12:13], v[10:11]
	v_add_f64 v[12:13], v[30:31], v[36:37]
	v_fma_f64 v[4:5], v[4:5], v[18:19], v[32:33]
	v_fma_f64 v[1:2], v[2:3], v[18:19], -v[20:21]
	v_fma_f64 v[8:9], v[8:9], v[22:23], v[16:17]
	v_fma_f64 v[6:7], v[6:7], v[22:23], -v[24:25]
	v_add_f64 v[10:11], v[10:11], v[14:15]
	v_add_f64 v[12:13], v[12:13], v[28:29]
	s_delay_alu instid0(VALU_DEP_2) | instskip(NEXT) | instid1(VALU_DEP_2)
	v_add_f64 v[1:2], v[10:11], v[1:2]
	v_add_f64 v[3:4], v[12:13], v[4:5]
	s_delay_alu instid0(VALU_DEP_2) | instskip(NEXT) | instid1(VALU_DEP_2)
	;; [unrolled: 3-line block ×3, first 2 shown]
	v_add_f64 v[1:2], v[188:189], -v[1:2]
	v_add_f64 v[3:4], v[190:191], -v[3:4]
	scratch_store_b128 off, v[1:4], off offset:320
	v_cmpx_lt_u32_e32 19, v140
	s_cbranch_execz .LBB110_257
; %bb.256:
	scratch_load_b128 v[1:4], v168, off
	v_mov_b32_e32 v5, 0
	s_delay_alu instid0(VALU_DEP_1)
	v_mov_b32_e32 v6, v5
	v_mov_b32_e32 v7, v5
	;; [unrolled: 1-line block ×3, first 2 shown]
	scratch_store_b128 off, v[5:8], off offset:304
	s_waitcnt vmcnt(0)
	ds_store_b128 v187, v[1:4]
.LBB110_257:
	s_or_b32 exec_lo, exec_lo, s2
	s_waitcnt lgkmcnt(0)
	s_waitcnt_vscnt null, 0x0
	s_barrier
	buffer_gl0_inv
	s_clause 0x7
	scratch_load_b128 v[2:5], off, off offset:320
	scratch_load_b128 v[6:9], off, off offset:336
	;; [unrolled: 1-line block ×8, first 2 shown]
	v_mov_b32_e32 v1, 0
	s_mov_b32 s2, exec_lo
	ds_load_b128 v[38:41], v1 offset:1072
	s_clause 0x1
	scratch_load_b128 v[34:37], off, off offset:448
	scratch_load_b128 v[42:45], off, off offset:304
	ds_load_b128 v[188:191], v1 offset:1088
	scratch_load_b128 v[192:195], off, off offset:464
	s_waitcnt vmcnt(10) lgkmcnt(1)
	v_mul_f64 v[196:197], v[40:41], v[4:5]
	v_mul_f64 v[4:5], v[38:39], v[4:5]
	s_delay_alu instid0(VALU_DEP_2) | instskip(NEXT) | instid1(VALU_DEP_2)
	v_fma_f64 v[202:203], v[38:39], v[2:3], -v[196:197]
	v_fma_f64 v[204:205], v[40:41], v[2:3], v[4:5]
	scratch_load_b128 v[38:41], off, off offset:480
	ds_load_b128 v[2:5], v1 offset:1104
	s_waitcnt vmcnt(10) lgkmcnt(1)
	v_mul_f64 v[200:201], v[188:189], v[8:9]
	v_mul_f64 v[8:9], v[190:191], v[8:9]
	ds_load_b128 v[196:199], v1 offset:1120
	s_waitcnt vmcnt(9) lgkmcnt(1)
	v_mul_f64 v[206:207], v[2:3], v[12:13]
	v_mul_f64 v[12:13], v[4:5], v[12:13]
	v_fma_f64 v[190:191], v[190:191], v[6:7], v[200:201]
	v_fma_f64 v[188:189], v[188:189], v[6:7], -v[8:9]
	v_add_f64 v[200:201], v[202:203], 0
	v_add_f64 v[202:203], v[204:205], 0
	scratch_load_b128 v[6:9], off, off offset:496
	v_fma_f64 v[206:207], v[4:5], v[10:11], v[206:207]
	v_fma_f64 v[208:209], v[2:3], v[10:11], -v[12:13]
	scratch_load_b128 v[10:13], off, off offset:512
	ds_load_b128 v[2:5], v1 offset:1136
	s_waitcnt vmcnt(10) lgkmcnt(1)
	v_mul_f64 v[204:205], v[196:197], v[16:17]
	v_mul_f64 v[16:17], v[198:199], v[16:17]
	v_add_f64 v[200:201], v[200:201], v[188:189]
	v_add_f64 v[202:203], v[202:203], v[190:191]
	s_waitcnt vmcnt(9) lgkmcnt(0)
	v_mul_f64 v[210:211], v[2:3], v[20:21]
	v_mul_f64 v[20:21], v[4:5], v[20:21]
	ds_load_b128 v[188:191], v1 offset:1152
	v_fma_f64 v[198:199], v[198:199], v[14:15], v[204:205]
	v_fma_f64 v[196:197], v[196:197], v[14:15], -v[16:17]
	scratch_load_b128 v[14:17], off, off offset:528
	v_add_f64 v[200:201], v[200:201], v[208:209]
	v_add_f64 v[202:203], v[202:203], v[206:207]
	v_fma_f64 v[206:207], v[4:5], v[18:19], v[210:211]
	v_fma_f64 v[208:209], v[2:3], v[18:19], -v[20:21]
	scratch_load_b128 v[18:21], off, off offset:544
	ds_load_b128 v[2:5], v1 offset:1168
	s_waitcnt vmcnt(10) lgkmcnt(1)
	v_mul_f64 v[204:205], v[188:189], v[24:25]
	v_mul_f64 v[24:25], v[190:191], v[24:25]
	s_waitcnt vmcnt(9) lgkmcnt(0)
	v_mul_f64 v[210:211], v[2:3], v[28:29]
	v_mul_f64 v[28:29], v[4:5], v[28:29]
	v_add_f64 v[200:201], v[200:201], v[196:197]
	v_add_f64 v[202:203], v[202:203], v[198:199]
	ds_load_b128 v[196:199], v1 offset:1184
	v_fma_f64 v[190:191], v[190:191], v[22:23], v[204:205]
	v_fma_f64 v[188:189], v[188:189], v[22:23], -v[24:25]
	scratch_load_b128 v[22:25], off, off offset:560
	v_add_f64 v[200:201], v[200:201], v[208:209]
	v_add_f64 v[202:203], v[202:203], v[206:207]
	v_fma_f64 v[206:207], v[4:5], v[26:27], v[210:211]
	v_fma_f64 v[208:209], v[2:3], v[26:27], -v[28:29]
	scratch_load_b128 v[26:29], off, off offset:576
	ds_load_b128 v[2:5], v1 offset:1200
	s_waitcnt vmcnt(10) lgkmcnt(1)
	v_mul_f64 v[204:205], v[196:197], v[32:33]
	v_mul_f64 v[32:33], v[198:199], v[32:33]
	s_waitcnt vmcnt(9) lgkmcnt(0)
	v_mul_f64 v[210:211], v[2:3], v[36:37]
	v_mul_f64 v[36:37], v[4:5], v[36:37]
	v_add_f64 v[200:201], v[200:201], v[188:189]
	v_add_f64 v[202:203], v[202:203], v[190:191]
	ds_load_b128 v[188:191], v1 offset:1216
	v_fma_f64 v[198:199], v[198:199], v[30:31], v[204:205]
	v_fma_f64 v[196:197], v[196:197], v[30:31], -v[32:33]
	scratch_load_b128 v[30:33], off, off offset:592
	v_add_f64 v[200:201], v[200:201], v[208:209]
	v_add_f64 v[202:203], v[202:203], v[206:207]
	v_fma_f64 v[208:209], v[4:5], v[34:35], v[210:211]
	v_fma_f64 v[210:211], v[2:3], v[34:35], -v[36:37]
	scratch_load_b128 v[34:37], off, off offset:608
	ds_load_b128 v[2:5], v1 offset:1232
	s_waitcnt vmcnt(9) lgkmcnt(1)
	v_mul_f64 v[204:205], v[188:189], v[194:195]
	v_mul_f64 v[206:207], v[190:191], v[194:195]
	v_add_f64 v[200:201], v[200:201], v[196:197]
	v_add_f64 v[198:199], v[202:203], v[198:199]
	ds_load_b128 v[194:197], v1 offset:1248
	v_fma_f64 v[204:205], v[190:191], v[192:193], v[204:205]
	v_fma_f64 v[192:193], v[188:189], v[192:193], -v[206:207]
	scratch_load_b128 v[188:191], off, off offset:624
	s_waitcnt vmcnt(9) lgkmcnt(1)
	v_mul_f64 v[202:203], v[2:3], v[40:41]
	v_mul_f64 v[40:41], v[4:5], v[40:41]
	v_add_f64 v[200:201], v[200:201], v[210:211]
	v_add_f64 v[198:199], v[198:199], v[208:209]
	s_delay_alu instid0(VALU_DEP_4) | instskip(NEXT) | instid1(VALU_DEP_4)
	v_fma_f64 v[202:203], v[4:5], v[38:39], v[202:203]
	v_fma_f64 v[208:209], v[2:3], v[38:39], -v[40:41]
	scratch_load_b128 v[38:41], off, off offset:640
	ds_load_b128 v[2:5], v1 offset:1264
	s_waitcnt vmcnt(9) lgkmcnt(1)
	v_mul_f64 v[206:207], v[194:195], v[8:9]
	v_mul_f64 v[8:9], v[196:197], v[8:9]
	s_waitcnt vmcnt(8) lgkmcnt(0)
	v_mul_f64 v[210:211], v[2:3], v[12:13]
	v_mul_f64 v[12:13], v[4:5], v[12:13]
	v_add_f64 v[192:193], v[200:201], v[192:193]
	v_add_f64 v[204:205], v[198:199], v[204:205]
	ds_load_b128 v[198:201], v1 offset:1280
	v_fma_f64 v[196:197], v[196:197], v[6:7], v[206:207]
	v_fma_f64 v[194:195], v[194:195], v[6:7], -v[8:9]
	scratch_load_b128 v[6:9], off, off offset:656
	v_fma_f64 v[206:207], v[4:5], v[10:11], v[210:211]
	v_add_f64 v[192:193], v[192:193], v[208:209]
	v_add_f64 v[202:203], v[204:205], v[202:203]
	v_fma_f64 v[208:209], v[2:3], v[10:11], -v[12:13]
	scratch_load_b128 v[10:13], off, off offset:672
	ds_load_b128 v[2:5], v1 offset:1296
	s_waitcnt vmcnt(9) lgkmcnt(1)
	v_mul_f64 v[204:205], v[198:199], v[16:17]
	v_mul_f64 v[16:17], v[200:201], v[16:17]
	v_add_f64 v[210:211], v[192:193], v[194:195]
	v_add_f64 v[196:197], v[202:203], v[196:197]
	s_waitcnt vmcnt(8) lgkmcnt(0)
	v_mul_f64 v[202:203], v[2:3], v[20:21]
	v_mul_f64 v[20:21], v[4:5], v[20:21]
	ds_load_b128 v[192:195], v1 offset:1312
	v_fma_f64 v[200:201], v[200:201], v[14:15], v[204:205]
	v_fma_f64 v[198:199], v[198:199], v[14:15], -v[16:17]
	scratch_load_b128 v[14:17], off, off offset:688
	v_add_f64 v[204:205], v[210:211], v[208:209]
	v_add_f64 v[196:197], v[196:197], v[206:207]
	v_fma_f64 v[202:203], v[4:5], v[18:19], v[202:203]
	v_fma_f64 v[208:209], v[2:3], v[18:19], -v[20:21]
	scratch_load_b128 v[18:21], off, off offset:704
	ds_load_b128 v[2:5], v1 offset:1328
	s_waitcnt vmcnt(9) lgkmcnt(1)
	v_mul_f64 v[206:207], v[192:193], v[24:25]
	v_mul_f64 v[24:25], v[194:195], v[24:25]
	s_waitcnt vmcnt(8) lgkmcnt(0)
	v_mul_f64 v[210:211], v[2:3], v[28:29]
	v_mul_f64 v[28:29], v[4:5], v[28:29]
	v_add_f64 v[204:205], v[204:205], v[198:199]
	v_add_f64 v[200:201], v[196:197], v[200:201]
	ds_load_b128 v[196:199], v1 offset:1344
	v_fma_f64 v[194:195], v[194:195], v[22:23], v[206:207]
	v_fma_f64 v[192:193], v[192:193], v[22:23], -v[24:25]
	scratch_load_b128 v[22:25], off, off offset:720
	v_fma_f64 v[206:207], v[4:5], v[26:27], v[210:211]
	v_add_f64 v[204:205], v[204:205], v[208:209]
	v_add_f64 v[200:201], v[200:201], v[202:203]
	v_fma_f64 v[208:209], v[2:3], v[26:27], -v[28:29]
	scratch_load_b128 v[26:29], off, off offset:736
	ds_load_b128 v[2:5], v1 offset:1360
	s_waitcnt vmcnt(9) lgkmcnt(1)
	v_mul_f64 v[202:203], v[196:197], v[32:33]
	v_mul_f64 v[32:33], v[198:199], v[32:33]
	s_waitcnt vmcnt(8) lgkmcnt(0)
	v_mul_f64 v[210:211], v[2:3], v[36:37]
	v_mul_f64 v[36:37], v[4:5], v[36:37]
	v_add_f64 v[204:205], v[204:205], v[192:193]
	v_add_f64 v[200:201], v[200:201], v[194:195]
	ds_load_b128 v[192:195], v1 offset:1376
	v_fma_f64 v[198:199], v[198:199], v[30:31], v[202:203]
	v_fma_f64 v[30:31], v[196:197], v[30:31], -v[32:33]
	v_fma_f64 v[202:203], v[4:5], v[34:35], v[210:211]
	v_fma_f64 v[34:35], v[2:3], v[34:35], -v[36:37]
	v_add_f64 v[32:33], v[204:205], v[208:209]
	v_add_f64 v[196:197], v[200:201], v[206:207]
	s_waitcnt vmcnt(7) lgkmcnt(0)
	v_mul_f64 v[200:201], v[192:193], v[190:191]
	v_mul_f64 v[190:191], v[194:195], v[190:191]
	s_delay_alu instid0(VALU_DEP_4) | instskip(NEXT) | instid1(VALU_DEP_4)
	v_add_f64 v[36:37], v[32:33], v[30:31]
	v_add_f64 v[196:197], v[196:197], v[198:199]
	ds_load_b128 v[2:5], v1 offset:1392
	ds_load_b128 v[30:33], v1 offset:1408
	v_fma_f64 v[194:195], v[194:195], v[188:189], v[200:201]
	v_fma_f64 v[188:189], v[192:193], v[188:189], -v[190:191]
	s_waitcnt vmcnt(6) lgkmcnt(1)
	v_mul_f64 v[198:199], v[2:3], v[40:41]
	v_mul_f64 v[40:41], v[4:5], v[40:41]
	s_waitcnt vmcnt(5) lgkmcnt(0)
	v_mul_f64 v[190:191], v[30:31], v[8:9]
	v_mul_f64 v[8:9], v[32:33], v[8:9]
	v_add_f64 v[34:35], v[36:37], v[34:35]
	v_add_f64 v[36:37], v[196:197], v[202:203]
	v_fma_f64 v[192:193], v[4:5], v[38:39], v[198:199]
	v_fma_f64 v[38:39], v[2:3], v[38:39], -v[40:41]
	v_fma_f64 v[32:33], v[32:33], v[6:7], v[190:191]
	v_fma_f64 v[6:7], v[30:31], v[6:7], -v[8:9]
	v_add_f64 v[40:41], v[34:35], v[188:189]
	v_add_f64 v[188:189], v[36:37], v[194:195]
	ds_load_b128 v[2:5], v1 offset:1424
	ds_load_b128 v[34:37], v1 offset:1440
	s_waitcnt vmcnt(4) lgkmcnt(1)
	v_mul_f64 v[194:195], v[2:3], v[12:13]
	v_mul_f64 v[12:13], v[4:5], v[12:13]
	v_add_f64 v[8:9], v[40:41], v[38:39]
	v_add_f64 v[30:31], v[188:189], v[192:193]
	s_waitcnt vmcnt(3) lgkmcnt(0)
	v_mul_f64 v[38:39], v[34:35], v[16:17]
	v_mul_f64 v[16:17], v[36:37], v[16:17]
	v_fma_f64 v[40:41], v[4:5], v[10:11], v[194:195]
	v_fma_f64 v[10:11], v[2:3], v[10:11], -v[12:13]
	v_add_f64 v[12:13], v[8:9], v[6:7]
	v_add_f64 v[30:31], v[30:31], v[32:33]
	ds_load_b128 v[2:5], v1 offset:1456
	ds_load_b128 v[6:9], v1 offset:1472
	v_fma_f64 v[36:37], v[36:37], v[14:15], v[38:39]
	v_fma_f64 v[14:15], v[34:35], v[14:15], -v[16:17]
	s_waitcnt vmcnt(2) lgkmcnt(1)
	v_mul_f64 v[32:33], v[2:3], v[20:21]
	v_mul_f64 v[20:21], v[4:5], v[20:21]
	s_waitcnt vmcnt(1) lgkmcnt(0)
	v_mul_f64 v[16:17], v[6:7], v[24:25]
	v_mul_f64 v[24:25], v[8:9], v[24:25]
	v_add_f64 v[10:11], v[12:13], v[10:11]
	v_add_f64 v[12:13], v[30:31], v[40:41]
	v_fma_f64 v[30:31], v[4:5], v[18:19], v[32:33]
	v_fma_f64 v[18:19], v[2:3], v[18:19], -v[20:21]
	ds_load_b128 v[2:5], v1 offset:1488
	v_fma_f64 v[8:9], v[8:9], v[22:23], v[16:17]
	v_fma_f64 v[6:7], v[6:7], v[22:23], -v[24:25]
	v_add_f64 v[10:11], v[10:11], v[14:15]
	v_add_f64 v[12:13], v[12:13], v[36:37]
	s_waitcnt vmcnt(0) lgkmcnt(0)
	v_mul_f64 v[14:15], v[2:3], v[28:29]
	v_mul_f64 v[20:21], v[4:5], v[28:29]
	s_delay_alu instid0(VALU_DEP_4) | instskip(NEXT) | instid1(VALU_DEP_4)
	v_add_f64 v[10:11], v[10:11], v[18:19]
	v_add_f64 v[12:13], v[12:13], v[30:31]
	s_delay_alu instid0(VALU_DEP_4) | instskip(NEXT) | instid1(VALU_DEP_4)
	v_fma_f64 v[4:5], v[4:5], v[26:27], v[14:15]
	v_fma_f64 v[2:3], v[2:3], v[26:27], -v[20:21]
	s_delay_alu instid0(VALU_DEP_4) | instskip(NEXT) | instid1(VALU_DEP_4)
	v_add_f64 v[6:7], v[10:11], v[6:7]
	v_add_f64 v[8:9], v[12:13], v[8:9]
	s_delay_alu instid0(VALU_DEP_2) | instskip(NEXT) | instid1(VALU_DEP_2)
	v_add_f64 v[2:3], v[6:7], v[2:3]
	v_add_f64 v[4:5], v[8:9], v[4:5]
	s_delay_alu instid0(VALU_DEP_2) | instskip(NEXT) | instid1(VALU_DEP_2)
	v_add_f64 v[2:3], v[42:43], -v[2:3]
	v_add_f64 v[4:5], v[44:45], -v[4:5]
	scratch_store_b128 off, v[2:5], off offset:304
	v_cmpx_lt_u32_e32 18, v140
	s_cbranch_execz .LBB110_259
; %bb.258:
	scratch_load_b128 v[5:8], v169, off
	v_mov_b32_e32 v2, v1
	v_mov_b32_e32 v3, v1
	;; [unrolled: 1-line block ×3, first 2 shown]
	scratch_store_b128 off, v[1:4], off offset:288
	s_waitcnt vmcnt(0)
	ds_store_b128 v187, v[5:8]
.LBB110_259:
	s_or_b32 exec_lo, exec_lo, s2
	s_waitcnt lgkmcnt(0)
	s_waitcnt_vscnt null, 0x0
	s_barrier
	buffer_gl0_inv
	s_clause 0x8
	scratch_load_b128 v[2:5], off, off offset:304
	scratch_load_b128 v[6:9], off, off offset:320
	;; [unrolled: 1-line block ×9, first 2 shown]
	ds_load_b128 v[42:45], v1 offset:1056
	ds_load_b128 v[38:41], v1 offset:1072
	s_clause 0x1
	scratch_load_b128 v[188:191], off, off offset:288
	scratch_load_b128 v[192:195], off, off offset:448
	s_mov_b32 s2, exec_lo
	s_waitcnt vmcnt(10) lgkmcnt(1)
	v_mul_f64 v[196:197], v[44:45], v[4:5]
	v_mul_f64 v[4:5], v[42:43], v[4:5]
	s_waitcnt vmcnt(9) lgkmcnt(0)
	v_mul_f64 v[200:201], v[38:39], v[8:9]
	v_mul_f64 v[8:9], v[40:41], v[8:9]
	s_delay_alu instid0(VALU_DEP_4) | instskip(NEXT) | instid1(VALU_DEP_4)
	v_fma_f64 v[202:203], v[42:43], v[2:3], -v[196:197]
	v_fma_f64 v[204:205], v[44:45], v[2:3], v[4:5]
	ds_load_b128 v[2:5], v1 offset:1088
	ds_load_b128 v[196:199], v1 offset:1104
	scratch_load_b128 v[42:45], off, off offset:464
	v_fma_f64 v[40:41], v[40:41], v[6:7], v[200:201]
	v_fma_f64 v[38:39], v[38:39], v[6:7], -v[8:9]
	scratch_load_b128 v[6:9], off, off offset:480
	s_waitcnt vmcnt(10) lgkmcnt(1)
	v_mul_f64 v[206:207], v[2:3], v[12:13]
	v_mul_f64 v[12:13], v[4:5], v[12:13]
	v_add_f64 v[200:201], v[202:203], 0
	v_add_f64 v[202:203], v[204:205], 0
	s_waitcnt vmcnt(9) lgkmcnt(0)
	v_mul_f64 v[204:205], v[196:197], v[16:17]
	v_mul_f64 v[16:17], v[198:199], v[16:17]
	v_fma_f64 v[206:207], v[4:5], v[10:11], v[206:207]
	v_fma_f64 v[208:209], v[2:3], v[10:11], -v[12:13]
	ds_load_b128 v[2:5], v1 offset:1120
	scratch_load_b128 v[10:13], off, off offset:496
	v_add_f64 v[200:201], v[200:201], v[38:39]
	v_add_f64 v[202:203], v[202:203], v[40:41]
	ds_load_b128 v[38:41], v1 offset:1136
	v_fma_f64 v[198:199], v[198:199], v[14:15], v[204:205]
	v_fma_f64 v[196:197], v[196:197], v[14:15], -v[16:17]
	scratch_load_b128 v[14:17], off, off offset:512
	s_waitcnt vmcnt(10) lgkmcnt(1)
	v_mul_f64 v[210:211], v[2:3], v[20:21]
	v_mul_f64 v[20:21], v[4:5], v[20:21]
	s_waitcnt vmcnt(9) lgkmcnt(0)
	v_mul_f64 v[204:205], v[38:39], v[24:25]
	v_mul_f64 v[24:25], v[40:41], v[24:25]
	v_add_f64 v[200:201], v[200:201], v[208:209]
	v_add_f64 v[202:203], v[202:203], v[206:207]
	v_fma_f64 v[206:207], v[4:5], v[18:19], v[210:211]
	v_fma_f64 v[208:209], v[2:3], v[18:19], -v[20:21]
	ds_load_b128 v[2:5], v1 offset:1152
	scratch_load_b128 v[18:21], off, off offset:528
	v_fma_f64 v[40:41], v[40:41], v[22:23], v[204:205]
	v_fma_f64 v[38:39], v[38:39], v[22:23], -v[24:25]
	scratch_load_b128 v[22:25], off, off offset:544
	v_add_f64 v[200:201], v[200:201], v[196:197]
	v_add_f64 v[202:203], v[202:203], v[198:199]
	ds_load_b128 v[196:199], v1 offset:1168
	s_waitcnt vmcnt(10) lgkmcnt(1)
	v_mul_f64 v[210:211], v[2:3], v[28:29]
	v_mul_f64 v[28:29], v[4:5], v[28:29]
	s_waitcnt vmcnt(9) lgkmcnt(0)
	v_mul_f64 v[204:205], v[196:197], v[32:33]
	v_mul_f64 v[32:33], v[198:199], v[32:33]
	v_add_f64 v[200:201], v[200:201], v[208:209]
	v_add_f64 v[202:203], v[202:203], v[206:207]
	v_fma_f64 v[206:207], v[4:5], v[26:27], v[210:211]
	v_fma_f64 v[208:209], v[2:3], v[26:27], -v[28:29]
	ds_load_b128 v[2:5], v1 offset:1184
	scratch_load_b128 v[26:29], off, off offset:560
	v_fma_f64 v[198:199], v[198:199], v[30:31], v[204:205]
	v_fma_f64 v[196:197], v[196:197], v[30:31], -v[32:33]
	scratch_load_b128 v[30:33], off, off offset:576
	v_add_f64 v[200:201], v[200:201], v[38:39]
	v_add_f64 v[202:203], v[202:203], v[40:41]
	ds_load_b128 v[38:41], v1 offset:1200
	s_waitcnt vmcnt(10) lgkmcnt(1)
	v_mul_f64 v[210:211], v[2:3], v[36:37]
	v_mul_f64 v[36:37], v[4:5], v[36:37]
	s_waitcnt vmcnt(8) lgkmcnt(0)
	v_mul_f64 v[204:205], v[38:39], v[194:195]
	v_add_f64 v[200:201], v[200:201], v[208:209]
	v_add_f64 v[202:203], v[202:203], v[206:207]
	v_mul_f64 v[206:207], v[40:41], v[194:195]
	v_fma_f64 v[208:209], v[4:5], v[34:35], v[210:211]
	v_fma_f64 v[210:211], v[2:3], v[34:35], -v[36:37]
	ds_load_b128 v[2:5], v1 offset:1216
	scratch_load_b128 v[34:37], off, off offset:592
	v_fma_f64 v[204:205], v[40:41], v[192:193], v[204:205]
	v_add_f64 v[200:201], v[200:201], v[196:197]
	v_add_f64 v[198:199], v[202:203], v[198:199]
	ds_load_b128 v[194:197], v1 offset:1232
	v_fma_f64 v[192:193], v[38:39], v[192:193], -v[206:207]
	scratch_load_b128 v[38:41], off, off offset:608
	s_waitcnt vmcnt(9) lgkmcnt(1)
	v_mul_f64 v[202:203], v[2:3], v[44:45]
	v_mul_f64 v[44:45], v[4:5], v[44:45]
	s_waitcnt vmcnt(8) lgkmcnt(0)
	v_mul_f64 v[206:207], v[194:195], v[8:9]
	v_mul_f64 v[8:9], v[196:197], v[8:9]
	v_add_f64 v[200:201], v[200:201], v[210:211]
	v_add_f64 v[198:199], v[198:199], v[208:209]
	v_fma_f64 v[202:203], v[4:5], v[42:43], v[202:203]
	v_fma_f64 v[208:209], v[2:3], v[42:43], -v[44:45]
	ds_load_b128 v[2:5], v1 offset:1248
	scratch_load_b128 v[42:45], off, off offset:624
	v_fma_f64 v[196:197], v[196:197], v[6:7], v[206:207]
	v_fma_f64 v[194:195], v[194:195], v[6:7], -v[8:9]
	scratch_load_b128 v[6:9], off, off offset:640
	v_add_f64 v[192:193], v[200:201], v[192:193]
	v_add_f64 v[204:205], v[198:199], v[204:205]
	ds_load_b128 v[198:201], v1 offset:1264
	s_waitcnt vmcnt(9) lgkmcnt(1)
	v_mul_f64 v[210:211], v[2:3], v[12:13]
	v_mul_f64 v[12:13], v[4:5], v[12:13]
	v_add_f64 v[192:193], v[192:193], v[208:209]
	v_add_f64 v[202:203], v[204:205], v[202:203]
	s_waitcnt vmcnt(8) lgkmcnt(0)
	v_mul_f64 v[204:205], v[198:199], v[16:17]
	v_mul_f64 v[16:17], v[200:201], v[16:17]
	v_fma_f64 v[206:207], v[4:5], v[10:11], v[210:211]
	v_fma_f64 v[208:209], v[2:3], v[10:11], -v[12:13]
	ds_load_b128 v[2:5], v1 offset:1280
	scratch_load_b128 v[10:13], off, off offset:656
	v_add_f64 v[210:211], v[192:193], v[194:195]
	v_add_f64 v[196:197], v[202:203], v[196:197]
	ds_load_b128 v[192:195], v1 offset:1296
	s_waitcnt vmcnt(8) lgkmcnt(1)
	v_mul_f64 v[202:203], v[2:3], v[20:21]
	v_mul_f64 v[20:21], v[4:5], v[20:21]
	v_fma_f64 v[200:201], v[200:201], v[14:15], v[204:205]
	v_fma_f64 v[198:199], v[198:199], v[14:15], -v[16:17]
	scratch_load_b128 v[14:17], off, off offset:672
	v_add_f64 v[204:205], v[210:211], v[208:209]
	v_add_f64 v[196:197], v[196:197], v[206:207]
	s_waitcnt vmcnt(8) lgkmcnt(0)
	v_mul_f64 v[206:207], v[192:193], v[24:25]
	v_mul_f64 v[24:25], v[194:195], v[24:25]
	v_fma_f64 v[202:203], v[4:5], v[18:19], v[202:203]
	v_fma_f64 v[208:209], v[2:3], v[18:19], -v[20:21]
	ds_load_b128 v[2:5], v1 offset:1312
	scratch_load_b128 v[18:21], off, off offset:688
	v_add_f64 v[204:205], v[204:205], v[198:199]
	v_add_f64 v[200:201], v[196:197], v[200:201]
	ds_load_b128 v[196:199], v1 offset:1328
	s_waitcnt vmcnt(8) lgkmcnt(1)
	v_mul_f64 v[210:211], v[2:3], v[28:29]
	v_mul_f64 v[28:29], v[4:5], v[28:29]
	v_fma_f64 v[194:195], v[194:195], v[22:23], v[206:207]
	v_fma_f64 v[192:193], v[192:193], v[22:23], -v[24:25]
	scratch_load_b128 v[22:25], off, off offset:704
	;; [unrolled: 18-line block ×3, first 2 shown]
	v_add_f64 v[202:203], v[204:205], v[208:209]
	v_add_f64 v[200:201], v[200:201], v[206:207]
	s_waitcnt vmcnt(8) lgkmcnt(0)
	v_mul_f64 v[204:205], v[192:193], v[40:41]
	v_mul_f64 v[40:41], v[194:195], v[40:41]
	v_fma_f64 v[206:207], v[4:5], v[34:35], v[210:211]
	v_fma_f64 v[208:209], v[2:3], v[34:35], -v[36:37]
	ds_load_b128 v[2:5], v1 offset:1376
	ds_load_b128 v[34:37], v1 offset:1392
	v_add_f64 v[196:197], v[202:203], v[196:197]
	v_add_f64 v[198:199], v[200:201], v[198:199]
	s_waitcnt vmcnt(7) lgkmcnt(1)
	v_mul_f64 v[200:201], v[2:3], v[44:45]
	v_mul_f64 v[44:45], v[4:5], v[44:45]
	v_fma_f64 v[194:195], v[194:195], v[38:39], v[204:205]
	v_fma_f64 v[38:39], v[192:193], v[38:39], -v[40:41]
	v_add_f64 v[40:41], v[196:197], v[208:209]
	v_add_f64 v[192:193], v[198:199], v[206:207]
	s_waitcnt vmcnt(6) lgkmcnt(0)
	v_mul_f64 v[196:197], v[34:35], v[8:9]
	v_mul_f64 v[8:9], v[36:37], v[8:9]
	v_fma_f64 v[198:199], v[4:5], v[42:43], v[200:201]
	v_fma_f64 v[42:43], v[2:3], v[42:43], -v[44:45]
	v_add_f64 v[44:45], v[40:41], v[38:39]
	v_add_f64 v[192:193], v[192:193], v[194:195]
	ds_load_b128 v[2:5], v1 offset:1408
	ds_load_b128 v[38:41], v1 offset:1424
	v_fma_f64 v[36:37], v[36:37], v[6:7], v[196:197]
	v_fma_f64 v[6:7], v[34:35], v[6:7], -v[8:9]
	s_waitcnt vmcnt(5) lgkmcnt(1)
	v_mul_f64 v[194:195], v[2:3], v[12:13]
	v_mul_f64 v[12:13], v[4:5], v[12:13]
	v_add_f64 v[8:9], v[44:45], v[42:43]
	v_add_f64 v[34:35], v[192:193], v[198:199]
	s_waitcnt vmcnt(4) lgkmcnt(0)
	v_mul_f64 v[42:43], v[38:39], v[16:17]
	v_mul_f64 v[16:17], v[40:41], v[16:17]
	v_fma_f64 v[44:45], v[4:5], v[10:11], v[194:195]
	v_fma_f64 v[10:11], v[2:3], v[10:11], -v[12:13]
	v_add_f64 v[12:13], v[8:9], v[6:7]
	v_add_f64 v[34:35], v[34:35], v[36:37]
	ds_load_b128 v[2:5], v1 offset:1440
	ds_load_b128 v[6:9], v1 offset:1456
	v_fma_f64 v[40:41], v[40:41], v[14:15], v[42:43]
	v_fma_f64 v[14:15], v[38:39], v[14:15], -v[16:17]
	s_waitcnt vmcnt(3) lgkmcnt(1)
	v_mul_f64 v[36:37], v[2:3], v[20:21]
	v_mul_f64 v[20:21], v[4:5], v[20:21]
	s_waitcnt vmcnt(2) lgkmcnt(0)
	v_mul_f64 v[16:17], v[6:7], v[24:25]
	v_mul_f64 v[24:25], v[8:9], v[24:25]
	v_add_f64 v[10:11], v[12:13], v[10:11]
	v_add_f64 v[12:13], v[34:35], v[44:45]
	v_fma_f64 v[34:35], v[4:5], v[18:19], v[36:37]
	v_fma_f64 v[18:19], v[2:3], v[18:19], -v[20:21]
	v_fma_f64 v[8:9], v[8:9], v[22:23], v[16:17]
	v_fma_f64 v[6:7], v[6:7], v[22:23], -v[24:25]
	v_add_f64 v[14:15], v[10:11], v[14:15]
	v_add_f64 v[20:21], v[12:13], v[40:41]
	ds_load_b128 v[2:5], v1 offset:1472
	ds_load_b128 v[10:13], v1 offset:1488
	s_waitcnt vmcnt(1) lgkmcnt(1)
	v_mul_f64 v[36:37], v[2:3], v[28:29]
	v_mul_f64 v[28:29], v[4:5], v[28:29]
	v_add_f64 v[14:15], v[14:15], v[18:19]
	v_add_f64 v[16:17], v[20:21], v[34:35]
	s_waitcnt vmcnt(0) lgkmcnt(0)
	v_mul_f64 v[18:19], v[10:11], v[32:33]
	v_mul_f64 v[20:21], v[12:13], v[32:33]
	v_fma_f64 v[4:5], v[4:5], v[26:27], v[36:37]
	v_fma_f64 v[1:2], v[2:3], v[26:27], -v[28:29]
	v_add_f64 v[6:7], v[14:15], v[6:7]
	v_add_f64 v[8:9], v[16:17], v[8:9]
	v_fma_f64 v[12:13], v[12:13], v[30:31], v[18:19]
	v_fma_f64 v[10:11], v[10:11], v[30:31], -v[20:21]
	s_delay_alu instid0(VALU_DEP_4) | instskip(NEXT) | instid1(VALU_DEP_4)
	v_add_f64 v[1:2], v[6:7], v[1:2]
	v_add_f64 v[3:4], v[8:9], v[4:5]
	s_delay_alu instid0(VALU_DEP_2) | instskip(NEXT) | instid1(VALU_DEP_2)
	v_add_f64 v[1:2], v[1:2], v[10:11]
	v_add_f64 v[3:4], v[3:4], v[12:13]
	s_delay_alu instid0(VALU_DEP_2) | instskip(NEXT) | instid1(VALU_DEP_2)
	v_add_f64 v[1:2], v[188:189], -v[1:2]
	v_add_f64 v[3:4], v[190:191], -v[3:4]
	scratch_store_b128 off, v[1:4], off offset:288
	v_cmpx_lt_u32_e32 17, v140
	s_cbranch_execz .LBB110_261
; %bb.260:
	scratch_load_b128 v[1:4], v170, off
	v_mov_b32_e32 v5, 0
	s_delay_alu instid0(VALU_DEP_1)
	v_mov_b32_e32 v6, v5
	v_mov_b32_e32 v7, v5
	;; [unrolled: 1-line block ×3, first 2 shown]
	scratch_store_b128 off, v[5:8], off offset:272
	s_waitcnt vmcnt(0)
	ds_store_b128 v187, v[1:4]
.LBB110_261:
	s_or_b32 exec_lo, exec_lo, s2
	s_waitcnt lgkmcnt(0)
	s_waitcnt_vscnt null, 0x0
	s_barrier
	buffer_gl0_inv
	s_clause 0x7
	scratch_load_b128 v[2:5], off, off offset:288
	scratch_load_b128 v[6:9], off, off offset:304
	;; [unrolled: 1-line block ×8, first 2 shown]
	v_mov_b32_e32 v1, 0
	s_mov_b32 s2, exec_lo
	ds_load_b128 v[38:41], v1 offset:1040
	s_clause 0x1
	scratch_load_b128 v[34:37], off, off offset:416
	scratch_load_b128 v[42:45], off, off offset:272
	ds_load_b128 v[188:191], v1 offset:1056
	scratch_load_b128 v[192:195], off, off offset:432
	s_waitcnt vmcnt(10) lgkmcnt(1)
	v_mul_f64 v[196:197], v[40:41], v[4:5]
	v_mul_f64 v[4:5], v[38:39], v[4:5]
	s_delay_alu instid0(VALU_DEP_2) | instskip(NEXT) | instid1(VALU_DEP_2)
	v_fma_f64 v[202:203], v[38:39], v[2:3], -v[196:197]
	v_fma_f64 v[204:205], v[40:41], v[2:3], v[4:5]
	scratch_load_b128 v[38:41], off, off offset:448
	ds_load_b128 v[2:5], v1 offset:1072
	s_waitcnt vmcnt(10) lgkmcnt(1)
	v_mul_f64 v[200:201], v[188:189], v[8:9]
	v_mul_f64 v[8:9], v[190:191], v[8:9]
	ds_load_b128 v[196:199], v1 offset:1088
	s_waitcnt vmcnt(9) lgkmcnt(1)
	v_mul_f64 v[206:207], v[2:3], v[12:13]
	v_mul_f64 v[12:13], v[4:5], v[12:13]
	v_fma_f64 v[190:191], v[190:191], v[6:7], v[200:201]
	v_fma_f64 v[188:189], v[188:189], v[6:7], -v[8:9]
	v_add_f64 v[200:201], v[202:203], 0
	v_add_f64 v[202:203], v[204:205], 0
	scratch_load_b128 v[6:9], off, off offset:464
	v_fma_f64 v[206:207], v[4:5], v[10:11], v[206:207]
	v_fma_f64 v[208:209], v[2:3], v[10:11], -v[12:13]
	scratch_load_b128 v[10:13], off, off offset:480
	ds_load_b128 v[2:5], v1 offset:1104
	s_waitcnt vmcnt(10) lgkmcnt(1)
	v_mul_f64 v[204:205], v[196:197], v[16:17]
	v_mul_f64 v[16:17], v[198:199], v[16:17]
	v_add_f64 v[200:201], v[200:201], v[188:189]
	v_add_f64 v[202:203], v[202:203], v[190:191]
	s_waitcnt vmcnt(9) lgkmcnt(0)
	v_mul_f64 v[210:211], v[2:3], v[20:21]
	v_mul_f64 v[20:21], v[4:5], v[20:21]
	ds_load_b128 v[188:191], v1 offset:1120
	v_fma_f64 v[198:199], v[198:199], v[14:15], v[204:205]
	v_fma_f64 v[196:197], v[196:197], v[14:15], -v[16:17]
	scratch_load_b128 v[14:17], off, off offset:496
	v_add_f64 v[200:201], v[200:201], v[208:209]
	v_add_f64 v[202:203], v[202:203], v[206:207]
	v_fma_f64 v[206:207], v[4:5], v[18:19], v[210:211]
	v_fma_f64 v[208:209], v[2:3], v[18:19], -v[20:21]
	scratch_load_b128 v[18:21], off, off offset:512
	ds_load_b128 v[2:5], v1 offset:1136
	s_waitcnt vmcnt(10) lgkmcnt(1)
	v_mul_f64 v[204:205], v[188:189], v[24:25]
	v_mul_f64 v[24:25], v[190:191], v[24:25]
	s_waitcnt vmcnt(9) lgkmcnt(0)
	v_mul_f64 v[210:211], v[2:3], v[28:29]
	v_mul_f64 v[28:29], v[4:5], v[28:29]
	v_add_f64 v[200:201], v[200:201], v[196:197]
	v_add_f64 v[202:203], v[202:203], v[198:199]
	ds_load_b128 v[196:199], v1 offset:1152
	v_fma_f64 v[190:191], v[190:191], v[22:23], v[204:205]
	v_fma_f64 v[188:189], v[188:189], v[22:23], -v[24:25]
	scratch_load_b128 v[22:25], off, off offset:528
	v_add_f64 v[200:201], v[200:201], v[208:209]
	v_add_f64 v[202:203], v[202:203], v[206:207]
	v_fma_f64 v[206:207], v[4:5], v[26:27], v[210:211]
	v_fma_f64 v[208:209], v[2:3], v[26:27], -v[28:29]
	scratch_load_b128 v[26:29], off, off offset:544
	ds_load_b128 v[2:5], v1 offset:1168
	s_waitcnt vmcnt(10) lgkmcnt(1)
	v_mul_f64 v[204:205], v[196:197], v[32:33]
	v_mul_f64 v[32:33], v[198:199], v[32:33]
	s_waitcnt vmcnt(9) lgkmcnt(0)
	v_mul_f64 v[210:211], v[2:3], v[36:37]
	v_mul_f64 v[36:37], v[4:5], v[36:37]
	v_add_f64 v[200:201], v[200:201], v[188:189]
	v_add_f64 v[202:203], v[202:203], v[190:191]
	ds_load_b128 v[188:191], v1 offset:1184
	v_fma_f64 v[198:199], v[198:199], v[30:31], v[204:205]
	v_fma_f64 v[196:197], v[196:197], v[30:31], -v[32:33]
	scratch_load_b128 v[30:33], off, off offset:560
	v_add_f64 v[200:201], v[200:201], v[208:209]
	v_add_f64 v[202:203], v[202:203], v[206:207]
	v_fma_f64 v[208:209], v[4:5], v[34:35], v[210:211]
	v_fma_f64 v[210:211], v[2:3], v[34:35], -v[36:37]
	scratch_load_b128 v[34:37], off, off offset:576
	ds_load_b128 v[2:5], v1 offset:1200
	s_waitcnt vmcnt(9) lgkmcnt(1)
	v_mul_f64 v[204:205], v[188:189], v[194:195]
	v_mul_f64 v[206:207], v[190:191], v[194:195]
	v_add_f64 v[200:201], v[200:201], v[196:197]
	v_add_f64 v[198:199], v[202:203], v[198:199]
	ds_load_b128 v[194:197], v1 offset:1216
	v_fma_f64 v[204:205], v[190:191], v[192:193], v[204:205]
	v_fma_f64 v[192:193], v[188:189], v[192:193], -v[206:207]
	scratch_load_b128 v[188:191], off, off offset:592
	s_waitcnt vmcnt(9) lgkmcnt(1)
	v_mul_f64 v[202:203], v[2:3], v[40:41]
	v_mul_f64 v[40:41], v[4:5], v[40:41]
	v_add_f64 v[200:201], v[200:201], v[210:211]
	v_add_f64 v[198:199], v[198:199], v[208:209]
	s_delay_alu instid0(VALU_DEP_4) | instskip(NEXT) | instid1(VALU_DEP_4)
	v_fma_f64 v[202:203], v[4:5], v[38:39], v[202:203]
	v_fma_f64 v[208:209], v[2:3], v[38:39], -v[40:41]
	scratch_load_b128 v[38:41], off, off offset:608
	ds_load_b128 v[2:5], v1 offset:1232
	s_waitcnt vmcnt(9) lgkmcnt(1)
	v_mul_f64 v[206:207], v[194:195], v[8:9]
	v_mul_f64 v[8:9], v[196:197], v[8:9]
	s_waitcnt vmcnt(8) lgkmcnt(0)
	v_mul_f64 v[210:211], v[2:3], v[12:13]
	v_mul_f64 v[12:13], v[4:5], v[12:13]
	v_add_f64 v[192:193], v[200:201], v[192:193]
	v_add_f64 v[204:205], v[198:199], v[204:205]
	ds_load_b128 v[198:201], v1 offset:1248
	v_fma_f64 v[196:197], v[196:197], v[6:7], v[206:207]
	v_fma_f64 v[194:195], v[194:195], v[6:7], -v[8:9]
	scratch_load_b128 v[6:9], off, off offset:624
	v_fma_f64 v[206:207], v[4:5], v[10:11], v[210:211]
	v_add_f64 v[192:193], v[192:193], v[208:209]
	v_add_f64 v[202:203], v[204:205], v[202:203]
	v_fma_f64 v[208:209], v[2:3], v[10:11], -v[12:13]
	scratch_load_b128 v[10:13], off, off offset:640
	ds_load_b128 v[2:5], v1 offset:1264
	s_waitcnt vmcnt(9) lgkmcnt(1)
	v_mul_f64 v[204:205], v[198:199], v[16:17]
	v_mul_f64 v[16:17], v[200:201], v[16:17]
	v_add_f64 v[210:211], v[192:193], v[194:195]
	v_add_f64 v[196:197], v[202:203], v[196:197]
	s_waitcnt vmcnt(8) lgkmcnt(0)
	v_mul_f64 v[202:203], v[2:3], v[20:21]
	v_mul_f64 v[20:21], v[4:5], v[20:21]
	ds_load_b128 v[192:195], v1 offset:1280
	v_fma_f64 v[200:201], v[200:201], v[14:15], v[204:205]
	v_fma_f64 v[198:199], v[198:199], v[14:15], -v[16:17]
	scratch_load_b128 v[14:17], off, off offset:656
	v_add_f64 v[204:205], v[210:211], v[208:209]
	v_add_f64 v[196:197], v[196:197], v[206:207]
	v_fma_f64 v[202:203], v[4:5], v[18:19], v[202:203]
	v_fma_f64 v[208:209], v[2:3], v[18:19], -v[20:21]
	scratch_load_b128 v[18:21], off, off offset:672
	ds_load_b128 v[2:5], v1 offset:1296
	s_waitcnt vmcnt(9) lgkmcnt(1)
	v_mul_f64 v[206:207], v[192:193], v[24:25]
	v_mul_f64 v[24:25], v[194:195], v[24:25]
	s_waitcnt vmcnt(8) lgkmcnt(0)
	v_mul_f64 v[210:211], v[2:3], v[28:29]
	v_mul_f64 v[28:29], v[4:5], v[28:29]
	v_add_f64 v[204:205], v[204:205], v[198:199]
	v_add_f64 v[200:201], v[196:197], v[200:201]
	ds_load_b128 v[196:199], v1 offset:1312
	v_fma_f64 v[194:195], v[194:195], v[22:23], v[206:207]
	v_fma_f64 v[192:193], v[192:193], v[22:23], -v[24:25]
	scratch_load_b128 v[22:25], off, off offset:688
	v_fma_f64 v[206:207], v[4:5], v[26:27], v[210:211]
	v_add_f64 v[204:205], v[204:205], v[208:209]
	v_add_f64 v[200:201], v[200:201], v[202:203]
	v_fma_f64 v[208:209], v[2:3], v[26:27], -v[28:29]
	scratch_load_b128 v[26:29], off, off offset:704
	ds_load_b128 v[2:5], v1 offset:1328
	s_waitcnt vmcnt(9) lgkmcnt(1)
	v_mul_f64 v[202:203], v[196:197], v[32:33]
	v_mul_f64 v[32:33], v[198:199], v[32:33]
	s_waitcnt vmcnt(8) lgkmcnt(0)
	v_mul_f64 v[210:211], v[2:3], v[36:37]
	v_mul_f64 v[36:37], v[4:5], v[36:37]
	v_add_f64 v[204:205], v[204:205], v[192:193]
	v_add_f64 v[200:201], v[200:201], v[194:195]
	ds_load_b128 v[192:195], v1 offset:1344
	v_fma_f64 v[198:199], v[198:199], v[30:31], v[202:203]
	v_fma_f64 v[196:197], v[196:197], v[30:31], -v[32:33]
	scratch_load_b128 v[30:33], off, off offset:720
	v_add_f64 v[202:203], v[204:205], v[208:209]
	v_add_f64 v[200:201], v[200:201], v[206:207]
	v_fma_f64 v[206:207], v[4:5], v[34:35], v[210:211]
	v_fma_f64 v[208:209], v[2:3], v[34:35], -v[36:37]
	scratch_load_b128 v[34:37], off, off offset:736
	ds_load_b128 v[2:5], v1 offset:1360
	s_waitcnt vmcnt(9) lgkmcnt(1)
	v_mul_f64 v[204:205], v[192:193], v[190:191]
	v_mul_f64 v[190:191], v[194:195], v[190:191]
	s_waitcnt vmcnt(8) lgkmcnt(0)
	v_mul_f64 v[210:211], v[2:3], v[40:41]
	v_mul_f64 v[40:41], v[4:5], v[40:41]
	v_add_f64 v[202:203], v[202:203], v[196:197]
	v_add_f64 v[200:201], v[200:201], v[198:199]
	ds_load_b128 v[196:199], v1 offset:1376
	v_fma_f64 v[194:195], v[194:195], v[188:189], v[204:205]
	v_fma_f64 v[188:189], v[192:193], v[188:189], -v[190:191]
	v_fma_f64 v[204:205], v[2:3], v[38:39], -v[40:41]
	v_add_f64 v[190:191], v[202:203], v[208:209]
	v_add_f64 v[192:193], v[200:201], v[206:207]
	s_waitcnt vmcnt(7) lgkmcnt(0)
	v_mul_f64 v[200:201], v[196:197], v[8:9]
	v_mul_f64 v[8:9], v[198:199], v[8:9]
	v_fma_f64 v[202:203], v[4:5], v[38:39], v[210:211]
	ds_load_b128 v[2:5], v1 offset:1392
	ds_load_b128 v[38:41], v1 offset:1408
	v_add_f64 v[188:189], v[190:191], v[188:189]
	v_add_f64 v[190:191], v[192:193], v[194:195]
	s_waitcnt vmcnt(6) lgkmcnt(1)
	v_mul_f64 v[192:193], v[2:3], v[12:13]
	v_mul_f64 v[12:13], v[4:5], v[12:13]
	v_fma_f64 v[194:195], v[198:199], v[6:7], v[200:201]
	v_fma_f64 v[6:7], v[196:197], v[6:7], -v[8:9]
	v_add_f64 v[8:9], v[188:189], v[204:205]
	v_add_f64 v[188:189], v[190:191], v[202:203]
	s_waitcnt vmcnt(5) lgkmcnt(0)
	v_mul_f64 v[190:191], v[38:39], v[16:17]
	v_mul_f64 v[16:17], v[40:41], v[16:17]
	v_fma_f64 v[192:193], v[4:5], v[10:11], v[192:193]
	v_fma_f64 v[10:11], v[2:3], v[10:11], -v[12:13]
	v_add_f64 v[12:13], v[8:9], v[6:7]
	v_add_f64 v[188:189], v[188:189], v[194:195]
	ds_load_b128 v[2:5], v1 offset:1424
	ds_load_b128 v[6:9], v1 offset:1440
	v_fma_f64 v[40:41], v[40:41], v[14:15], v[190:191]
	v_fma_f64 v[14:15], v[38:39], v[14:15], -v[16:17]
	s_waitcnt vmcnt(4) lgkmcnt(1)
	v_mul_f64 v[194:195], v[2:3], v[20:21]
	v_mul_f64 v[20:21], v[4:5], v[20:21]
	s_waitcnt vmcnt(3) lgkmcnt(0)
	v_mul_f64 v[16:17], v[6:7], v[24:25]
	v_mul_f64 v[24:25], v[8:9], v[24:25]
	v_add_f64 v[10:11], v[12:13], v[10:11]
	v_add_f64 v[12:13], v[188:189], v[192:193]
	v_fma_f64 v[38:39], v[4:5], v[18:19], v[194:195]
	v_fma_f64 v[18:19], v[2:3], v[18:19], -v[20:21]
	v_fma_f64 v[8:9], v[8:9], v[22:23], v[16:17]
	v_fma_f64 v[6:7], v[6:7], v[22:23], -v[24:25]
	v_add_f64 v[14:15], v[10:11], v[14:15]
	v_add_f64 v[20:21], v[12:13], v[40:41]
	ds_load_b128 v[2:5], v1 offset:1456
	ds_load_b128 v[10:13], v1 offset:1472
	s_waitcnt vmcnt(2) lgkmcnt(1)
	v_mul_f64 v[40:41], v[2:3], v[28:29]
	v_mul_f64 v[28:29], v[4:5], v[28:29]
	v_add_f64 v[14:15], v[14:15], v[18:19]
	v_add_f64 v[16:17], v[20:21], v[38:39]
	s_waitcnt vmcnt(1) lgkmcnt(0)
	v_mul_f64 v[18:19], v[10:11], v[32:33]
	v_mul_f64 v[20:21], v[12:13], v[32:33]
	v_fma_f64 v[22:23], v[4:5], v[26:27], v[40:41]
	v_fma_f64 v[24:25], v[2:3], v[26:27], -v[28:29]
	ds_load_b128 v[2:5], v1 offset:1488
	v_add_f64 v[6:7], v[14:15], v[6:7]
	v_add_f64 v[8:9], v[16:17], v[8:9]
	v_fma_f64 v[12:13], v[12:13], v[30:31], v[18:19]
	v_fma_f64 v[10:11], v[10:11], v[30:31], -v[20:21]
	s_waitcnt vmcnt(0) lgkmcnt(0)
	v_mul_f64 v[14:15], v[2:3], v[36:37]
	v_mul_f64 v[16:17], v[4:5], v[36:37]
	v_add_f64 v[6:7], v[6:7], v[24:25]
	v_add_f64 v[8:9], v[8:9], v[22:23]
	s_delay_alu instid0(VALU_DEP_4) | instskip(NEXT) | instid1(VALU_DEP_4)
	v_fma_f64 v[4:5], v[4:5], v[34:35], v[14:15]
	v_fma_f64 v[2:3], v[2:3], v[34:35], -v[16:17]
	s_delay_alu instid0(VALU_DEP_4) | instskip(NEXT) | instid1(VALU_DEP_4)
	v_add_f64 v[6:7], v[6:7], v[10:11]
	v_add_f64 v[8:9], v[8:9], v[12:13]
	s_delay_alu instid0(VALU_DEP_2) | instskip(NEXT) | instid1(VALU_DEP_2)
	v_add_f64 v[2:3], v[6:7], v[2:3]
	v_add_f64 v[4:5], v[8:9], v[4:5]
	s_delay_alu instid0(VALU_DEP_2) | instskip(NEXT) | instid1(VALU_DEP_2)
	v_add_f64 v[2:3], v[42:43], -v[2:3]
	v_add_f64 v[4:5], v[44:45], -v[4:5]
	scratch_store_b128 off, v[2:5], off offset:272
	v_cmpx_lt_u32_e32 16, v140
	s_cbranch_execz .LBB110_263
; %bb.262:
	scratch_load_b128 v[5:8], v171, off
	v_mov_b32_e32 v2, v1
	v_mov_b32_e32 v3, v1
	;; [unrolled: 1-line block ×3, first 2 shown]
	scratch_store_b128 off, v[1:4], off offset:256
	s_waitcnt vmcnt(0)
	ds_store_b128 v187, v[5:8]
.LBB110_263:
	s_or_b32 exec_lo, exec_lo, s2
	s_waitcnt lgkmcnt(0)
	s_waitcnt_vscnt null, 0x0
	s_barrier
	buffer_gl0_inv
	s_clause 0x8
	scratch_load_b128 v[2:5], off, off offset:272
	scratch_load_b128 v[6:9], off, off offset:288
	;; [unrolled: 1-line block ×9, first 2 shown]
	ds_load_b128 v[42:45], v1 offset:1024
	ds_load_b128 v[38:41], v1 offset:1040
	s_clause 0x1
	scratch_load_b128 v[188:191], off, off offset:256
	scratch_load_b128 v[192:195], off, off offset:416
	s_mov_b32 s2, exec_lo
	s_waitcnt vmcnt(10) lgkmcnt(1)
	v_mul_f64 v[196:197], v[44:45], v[4:5]
	v_mul_f64 v[4:5], v[42:43], v[4:5]
	s_waitcnt vmcnt(9) lgkmcnt(0)
	v_mul_f64 v[200:201], v[38:39], v[8:9]
	v_mul_f64 v[8:9], v[40:41], v[8:9]
	s_delay_alu instid0(VALU_DEP_4) | instskip(NEXT) | instid1(VALU_DEP_4)
	v_fma_f64 v[202:203], v[42:43], v[2:3], -v[196:197]
	v_fma_f64 v[204:205], v[44:45], v[2:3], v[4:5]
	ds_load_b128 v[2:5], v1 offset:1056
	ds_load_b128 v[196:199], v1 offset:1072
	scratch_load_b128 v[42:45], off, off offset:432
	v_fma_f64 v[40:41], v[40:41], v[6:7], v[200:201]
	v_fma_f64 v[38:39], v[38:39], v[6:7], -v[8:9]
	scratch_load_b128 v[6:9], off, off offset:448
	s_waitcnt vmcnt(10) lgkmcnt(1)
	v_mul_f64 v[206:207], v[2:3], v[12:13]
	v_mul_f64 v[12:13], v[4:5], v[12:13]
	v_add_f64 v[200:201], v[202:203], 0
	v_add_f64 v[202:203], v[204:205], 0
	s_waitcnt vmcnt(9) lgkmcnt(0)
	v_mul_f64 v[204:205], v[196:197], v[16:17]
	v_mul_f64 v[16:17], v[198:199], v[16:17]
	v_fma_f64 v[206:207], v[4:5], v[10:11], v[206:207]
	v_fma_f64 v[208:209], v[2:3], v[10:11], -v[12:13]
	ds_load_b128 v[2:5], v1 offset:1088
	scratch_load_b128 v[10:13], off, off offset:464
	v_add_f64 v[200:201], v[200:201], v[38:39]
	v_add_f64 v[202:203], v[202:203], v[40:41]
	ds_load_b128 v[38:41], v1 offset:1104
	v_fma_f64 v[198:199], v[198:199], v[14:15], v[204:205]
	v_fma_f64 v[196:197], v[196:197], v[14:15], -v[16:17]
	scratch_load_b128 v[14:17], off, off offset:480
	s_waitcnt vmcnt(10) lgkmcnt(1)
	v_mul_f64 v[210:211], v[2:3], v[20:21]
	v_mul_f64 v[20:21], v[4:5], v[20:21]
	s_waitcnt vmcnt(9) lgkmcnt(0)
	v_mul_f64 v[204:205], v[38:39], v[24:25]
	v_mul_f64 v[24:25], v[40:41], v[24:25]
	v_add_f64 v[200:201], v[200:201], v[208:209]
	v_add_f64 v[202:203], v[202:203], v[206:207]
	v_fma_f64 v[206:207], v[4:5], v[18:19], v[210:211]
	v_fma_f64 v[208:209], v[2:3], v[18:19], -v[20:21]
	ds_load_b128 v[2:5], v1 offset:1120
	scratch_load_b128 v[18:21], off, off offset:496
	v_fma_f64 v[40:41], v[40:41], v[22:23], v[204:205]
	v_fma_f64 v[38:39], v[38:39], v[22:23], -v[24:25]
	scratch_load_b128 v[22:25], off, off offset:512
	v_add_f64 v[200:201], v[200:201], v[196:197]
	v_add_f64 v[202:203], v[202:203], v[198:199]
	ds_load_b128 v[196:199], v1 offset:1136
	s_waitcnt vmcnt(10) lgkmcnt(1)
	v_mul_f64 v[210:211], v[2:3], v[28:29]
	v_mul_f64 v[28:29], v[4:5], v[28:29]
	s_waitcnt vmcnt(9) lgkmcnt(0)
	v_mul_f64 v[204:205], v[196:197], v[32:33]
	v_mul_f64 v[32:33], v[198:199], v[32:33]
	v_add_f64 v[200:201], v[200:201], v[208:209]
	v_add_f64 v[202:203], v[202:203], v[206:207]
	v_fma_f64 v[206:207], v[4:5], v[26:27], v[210:211]
	v_fma_f64 v[208:209], v[2:3], v[26:27], -v[28:29]
	ds_load_b128 v[2:5], v1 offset:1152
	scratch_load_b128 v[26:29], off, off offset:528
	v_fma_f64 v[198:199], v[198:199], v[30:31], v[204:205]
	v_fma_f64 v[196:197], v[196:197], v[30:31], -v[32:33]
	scratch_load_b128 v[30:33], off, off offset:544
	v_add_f64 v[200:201], v[200:201], v[38:39]
	v_add_f64 v[202:203], v[202:203], v[40:41]
	ds_load_b128 v[38:41], v1 offset:1168
	s_waitcnt vmcnt(10) lgkmcnt(1)
	v_mul_f64 v[210:211], v[2:3], v[36:37]
	v_mul_f64 v[36:37], v[4:5], v[36:37]
	s_waitcnt vmcnt(8) lgkmcnt(0)
	v_mul_f64 v[204:205], v[38:39], v[194:195]
	v_add_f64 v[200:201], v[200:201], v[208:209]
	v_add_f64 v[202:203], v[202:203], v[206:207]
	v_mul_f64 v[206:207], v[40:41], v[194:195]
	v_fma_f64 v[208:209], v[4:5], v[34:35], v[210:211]
	v_fma_f64 v[210:211], v[2:3], v[34:35], -v[36:37]
	ds_load_b128 v[2:5], v1 offset:1184
	scratch_load_b128 v[34:37], off, off offset:560
	v_fma_f64 v[204:205], v[40:41], v[192:193], v[204:205]
	v_add_f64 v[200:201], v[200:201], v[196:197]
	v_add_f64 v[198:199], v[202:203], v[198:199]
	ds_load_b128 v[194:197], v1 offset:1200
	v_fma_f64 v[192:193], v[38:39], v[192:193], -v[206:207]
	scratch_load_b128 v[38:41], off, off offset:576
	s_waitcnt vmcnt(9) lgkmcnt(1)
	v_mul_f64 v[202:203], v[2:3], v[44:45]
	v_mul_f64 v[44:45], v[4:5], v[44:45]
	s_waitcnt vmcnt(8) lgkmcnt(0)
	v_mul_f64 v[206:207], v[194:195], v[8:9]
	v_mul_f64 v[8:9], v[196:197], v[8:9]
	v_add_f64 v[200:201], v[200:201], v[210:211]
	v_add_f64 v[198:199], v[198:199], v[208:209]
	v_fma_f64 v[202:203], v[4:5], v[42:43], v[202:203]
	v_fma_f64 v[208:209], v[2:3], v[42:43], -v[44:45]
	ds_load_b128 v[2:5], v1 offset:1216
	scratch_load_b128 v[42:45], off, off offset:592
	v_fma_f64 v[196:197], v[196:197], v[6:7], v[206:207]
	v_fma_f64 v[194:195], v[194:195], v[6:7], -v[8:9]
	scratch_load_b128 v[6:9], off, off offset:608
	v_add_f64 v[192:193], v[200:201], v[192:193]
	v_add_f64 v[204:205], v[198:199], v[204:205]
	ds_load_b128 v[198:201], v1 offset:1232
	s_waitcnt vmcnt(9) lgkmcnt(1)
	v_mul_f64 v[210:211], v[2:3], v[12:13]
	v_mul_f64 v[12:13], v[4:5], v[12:13]
	v_add_f64 v[192:193], v[192:193], v[208:209]
	v_add_f64 v[202:203], v[204:205], v[202:203]
	s_waitcnt vmcnt(8) lgkmcnt(0)
	v_mul_f64 v[204:205], v[198:199], v[16:17]
	v_mul_f64 v[16:17], v[200:201], v[16:17]
	v_fma_f64 v[206:207], v[4:5], v[10:11], v[210:211]
	v_fma_f64 v[208:209], v[2:3], v[10:11], -v[12:13]
	ds_load_b128 v[2:5], v1 offset:1248
	scratch_load_b128 v[10:13], off, off offset:624
	v_add_f64 v[210:211], v[192:193], v[194:195]
	v_add_f64 v[196:197], v[202:203], v[196:197]
	ds_load_b128 v[192:195], v1 offset:1264
	s_waitcnt vmcnt(8) lgkmcnt(1)
	v_mul_f64 v[202:203], v[2:3], v[20:21]
	v_mul_f64 v[20:21], v[4:5], v[20:21]
	v_fma_f64 v[200:201], v[200:201], v[14:15], v[204:205]
	v_fma_f64 v[198:199], v[198:199], v[14:15], -v[16:17]
	scratch_load_b128 v[14:17], off, off offset:640
	v_add_f64 v[204:205], v[210:211], v[208:209]
	v_add_f64 v[196:197], v[196:197], v[206:207]
	s_waitcnt vmcnt(8) lgkmcnt(0)
	v_mul_f64 v[206:207], v[192:193], v[24:25]
	v_mul_f64 v[24:25], v[194:195], v[24:25]
	v_fma_f64 v[202:203], v[4:5], v[18:19], v[202:203]
	v_fma_f64 v[208:209], v[2:3], v[18:19], -v[20:21]
	ds_load_b128 v[2:5], v1 offset:1280
	scratch_load_b128 v[18:21], off, off offset:656
	v_add_f64 v[204:205], v[204:205], v[198:199]
	v_add_f64 v[200:201], v[196:197], v[200:201]
	ds_load_b128 v[196:199], v1 offset:1296
	s_waitcnt vmcnt(8) lgkmcnt(1)
	v_mul_f64 v[210:211], v[2:3], v[28:29]
	v_mul_f64 v[28:29], v[4:5], v[28:29]
	v_fma_f64 v[194:195], v[194:195], v[22:23], v[206:207]
	v_fma_f64 v[192:193], v[192:193], v[22:23], -v[24:25]
	scratch_load_b128 v[22:25], off, off offset:672
	v_add_f64 v[204:205], v[204:205], v[208:209]
	v_add_f64 v[200:201], v[200:201], v[202:203]
	s_waitcnt vmcnt(8) lgkmcnt(0)
	v_mul_f64 v[202:203], v[196:197], v[32:33]
	v_mul_f64 v[32:33], v[198:199], v[32:33]
	v_fma_f64 v[206:207], v[4:5], v[26:27], v[210:211]
	v_fma_f64 v[208:209], v[2:3], v[26:27], -v[28:29]
	ds_load_b128 v[2:5], v1 offset:1312
	scratch_load_b128 v[26:29], off, off offset:688
	v_add_f64 v[204:205], v[204:205], v[192:193]
	v_add_f64 v[200:201], v[200:201], v[194:195]
	ds_load_b128 v[192:195], v1 offset:1328
	s_waitcnt vmcnt(8) lgkmcnt(1)
	v_mul_f64 v[210:211], v[2:3], v[36:37]
	v_mul_f64 v[36:37], v[4:5], v[36:37]
	v_fma_f64 v[198:199], v[198:199], v[30:31], v[202:203]
	v_fma_f64 v[196:197], v[196:197], v[30:31], -v[32:33]
	scratch_load_b128 v[30:33], off, off offset:704
	v_add_f64 v[202:203], v[204:205], v[208:209]
	v_add_f64 v[200:201], v[200:201], v[206:207]
	s_waitcnt vmcnt(8) lgkmcnt(0)
	v_mul_f64 v[204:205], v[192:193], v[40:41]
	v_mul_f64 v[40:41], v[194:195], v[40:41]
	v_fma_f64 v[206:207], v[4:5], v[34:35], v[210:211]
	v_fma_f64 v[208:209], v[2:3], v[34:35], -v[36:37]
	ds_load_b128 v[2:5], v1 offset:1344
	scratch_load_b128 v[34:37], off, off offset:720
	v_add_f64 v[202:203], v[202:203], v[196:197]
	v_add_f64 v[200:201], v[200:201], v[198:199]
	ds_load_b128 v[196:199], v1 offset:1360
	s_waitcnt vmcnt(8) lgkmcnt(1)
	v_mul_f64 v[210:211], v[2:3], v[44:45]
	v_mul_f64 v[44:45], v[4:5], v[44:45]
	v_fma_f64 v[194:195], v[194:195], v[38:39], v[204:205]
	v_fma_f64 v[192:193], v[192:193], v[38:39], -v[40:41]
	scratch_load_b128 v[38:41], off, off offset:736
	s_waitcnt vmcnt(8) lgkmcnt(0)
	v_mul_f64 v[204:205], v[196:197], v[8:9]
	v_mul_f64 v[8:9], v[198:199], v[8:9]
	v_add_f64 v[202:203], v[202:203], v[208:209]
	v_add_f64 v[200:201], v[200:201], v[206:207]
	v_fma_f64 v[206:207], v[4:5], v[42:43], v[210:211]
	v_fma_f64 v[208:209], v[2:3], v[42:43], -v[44:45]
	ds_load_b128 v[2:5], v1 offset:1376
	ds_load_b128 v[42:45], v1 offset:1392
	v_fma_f64 v[198:199], v[198:199], v[6:7], v[204:205]
	v_fma_f64 v[6:7], v[196:197], v[6:7], -v[8:9]
	v_add_f64 v[192:193], v[202:203], v[192:193]
	v_add_f64 v[194:195], v[200:201], v[194:195]
	s_waitcnt vmcnt(7) lgkmcnt(1)
	v_mul_f64 v[200:201], v[2:3], v[12:13]
	v_mul_f64 v[12:13], v[4:5], v[12:13]
	s_delay_alu instid0(VALU_DEP_4) | instskip(NEXT) | instid1(VALU_DEP_4)
	v_add_f64 v[8:9], v[192:193], v[208:209]
	v_add_f64 v[192:193], v[194:195], v[206:207]
	s_waitcnt vmcnt(6) lgkmcnt(0)
	v_mul_f64 v[194:195], v[42:43], v[16:17]
	v_mul_f64 v[16:17], v[44:45], v[16:17]
	v_fma_f64 v[196:197], v[4:5], v[10:11], v[200:201]
	v_fma_f64 v[10:11], v[2:3], v[10:11], -v[12:13]
	v_add_f64 v[12:13], v[8:9], v[6:7]
	v_add_f64 v[192:193], v[192:193], v[198:199]
	ds_load_b128 v[2:5], v1 offset:1408
	ds_load_b128 v[6:9], v1 offset:1424
	v_fma_f64 v[44:45], v[44:45], v[14:15], v[194:195]
	v_fma_f64 v[14:15], v[42:43], v[14:15], -v[16:17]
	s_waitcnt vmcnt(5) lgkmcnt(1)
	v_mul_f64 v[198:199], v[2:3], v[20:21]
	v_mul_f64 v[20:21], v[4:5], v[20:21]
	s_waitcnt vmcnt(4) lgkmcnt(0)
	v_mul_f64 v[16:17], v[6:7], v[24:25]
	v_mul_f64 v[24:25], v[8:9], v[24:25]
	v_add_f64 v[10:11], v[12:13], v[10:11]
	v_add_f64 v[12:13], v[192:193], v[196:197]
	v_fma_f64 v[42:43], v[4:5], v[18:19], v[198:199]
	v_fma_f64 v[18:19], v[2:3], v[18:19], -v[20:21]
	v_fma_f64 v[8:9], v[8:9], v[22:23], v[16:17]
	v_fma_f64 v[6:7], v[6:7], v[22:23], -v[24:25]
	v_add_f64 v[14:15], v[10:11], v[14:15]
	v_add_f64 v[20:21], v[12:13], v[44:45]
	ds_load_b128 v[2:5], v1 offset:1440
	ds_load_b128 v[10:13], v1 offset:1456
	s_waitcnt vmcnt(3) lgkmcnt(1)
	v_mul_f64 v[44:45], v[2:3], v[28:29]
	v_mul_f64 v[28:29], v[4:5], v[28:29]
	v_add_f64 v[14:15], v[14:15], v[18:19]
	v_add_f64 v[16:17], v[20:21], v[42:43]
	s_waitcnt vmcnt(2) lgkmcnt(0)
	v_mul_f64 v[18:19], v[10:11], v[32:33]
	v_mul_f64 v[20:21], v[12:13], v[32:33]
	v_fma_f64 v[22:23], v[4:5], v[26:27], v[44:45]
	v_fma_f64 v[24:25], v[2:3], v[26:27], -v[28:29]
	v_add_f64 v[14:15], v[14:15], v[6:7]
	v_add_f64 v[16:17], v[16:17], v[8:9]
	ds_load_b128 v[2:5], v1 offset:1472
	ds_load_b128 v[6:9], v1 offset:1488
	v_fma_f64 v[12:13], v[12:13], v[30:31], v[18:19]
	v_fma_f64 v[10:11], v[10:11], v[30:31], -v[20:21]
	s_waitcnt vmcnt(1) lgkmcnt(1)
	v_mul_f64 v[26:27], v[2:3], v[36:37]
	v_mul_f64 v[28:29], v[4:5], v[36:37]
	s_waitcnt vmcnt(0) lgkmcnt(0)
	v_mul_f64 v[18:19], v[6:7], v[40:41]
	v_mul_f64 v[20:21], v[8:9], v[40:41]
	v_add_f64 v[14:15], v[14:15], v[24:25]
	v_add_f64 v[16:17], v[16:17], v[22:23]
	v_fma_f64 v[4:5], v[4:5], v[34:35], v[26:27]
	v_fma_f64 v[1:2], v[2:3], v[34:35], -v[28:29]
	v_fma_f64 v[8:9], v[8:9], v[38:39], v[18:19]
	v_fma_f64 v[6:7], v[6:7], v[38:39], -v[20:21]
	v_add_f64 v[10:11], v[14:15], v[10:11]
	v_add_f64 v[12:13], v[16:17], v[12:13]
	s_delay_alu instid0(VALU_DEP_2) | instskip(NEXT) | instid1(VALU_DEP_2)
	v_add_f64 v[1:2], v[10:11], v[1:2]
	v_add_f64 v[3:4], v[12:13], v[4:5]
	s_delay_alu instid0(VALU_DEP_2) | instskip(NEXT) | instid1(VALU_DEP_2)
	;; [unrolled: 3-line block ×3, first 2 shown]
	v_add_f64 v[1:2], v[188:189], -v[1:2]
	v_add_f64 v[3:4], v[190:191], -v[3:4]
	scratch_store_b128 off, v[1:4], off offset:256
	v_cmpx_lt_u32_e32 15, v140
	s_cbranch_execz .LBB110_265
; %bb.264:
	scratch_load_b128 v[1:4], v172, off
	v_mov_b32_e32 v5, 0
	s_delay_alu instid0(VALU_DEP_1)
	v_mov_b32_e32 v6, v5
	v_mov_b32_e32 v7, v5
	;; [unrolled: 1-line block ×3, first 2 shown]
	scratch_store_b128 off, v[5:8], off offset:240
	s_waitcnt vmcnt(0)
	ds_store_b128 v187, v[1:4]
.LBB110_265:
	s_or_b32 exec_lo, exec_lo, s2
	s_waitcnt lgkmcnt(0)
	s_waitcnt_vscnt null, 0x0
	s_barrier
	buffer_gl0_inv
	s_clause 0x7
	scratch_load_b128 v[2:5], off, off offset:256
	scratch_load_b128 v[6:9], off, off offset:272
	;; [unrolled: 1-line block ×8, first 2 shown]
	v_mov_b32_e32 v1, 0
	s_mov_b32 s2, exec_lo
	ds_load_b128 v[38:41], v1 offset:1008
	s_clause 0x1
	scratch_load_b128 v[34:37], off, off offset:384
	scratch_load_b128 v[42:45], off, off offset:240
	ds_load_b128 v[188:191], v1 offset:1024
	scratch_load_b128 v[192:195], off, off offset:400
	s_waitcnt vmcnt(10) lgkmcnt(1)
	v_mul_f64 v[196:197], v[40:41], v[4:5]
	v_mul_f64 v[4:5], v[38:39], v[4:5]
	s_delay_alu instid0(VALU_DEP_2) | instskip(NEXT) | instid1(VALU_DEP_2)
	v_fma_f64 v[202:203], v[38:39], v[2:3], -v[196:197]
	v_fma_f64 v[204:205], v[40:41], v[2:3], v[4:5]
	scratch_load_b128 v[38:41], off, off offset:416
	ds_load_b128 v[2:5], v1 offset:1040
	s_waitcnt vmcnt(10) lgkmcnt(1)
	v_mul_f64 v[200:201], v[188:189], v[8:9]
	v_mul_f64 v[8:9], v[190:191], v[8:9]
	ds_load_b128 v[196:199], v1 offset:1056
	s_waitcnt vmcnt(9) lgkmcnt(1)
	v_mul_f64 v[206:207], v[2:3], v[12:13]
	v_mul_f64 v[12:13], v[4:5], v[12:13]
	v_fma_f64 v[190:191], v[190:191], v[6:7], v[200:201]
	v_fma_f64 v[188:189], v[188:189], v[6:7], -v[8:9]
	v_add_f64 v[200:201], v[202:203], 0
	v_add_f64 v[202:203], v[204:205], 0
	scratch_load_b128 v[6:9], off, off offset:432
	v_fma_f64 v[206:207], v[4:5], v[10:11], v[206:207]
	v_fma_f64 v[208:209], v[2:3], v[10:11], -v[12:13]
	scratch_load_b128 v[10:13], off, off offset:448
	ds_load_b128 v[2:5], v1 offset:1072
	s_waitcnt vmcnt(10) lgkmcnt(1)
	v_mul_f64 v[204:205], v[196:197], v[16:17]
	v_mul_f64 v[16:17], v[198:199], v[16:17]
	v_add_f64 v[200:201], v[200:201], v[188:189]
	v_add_f64 v[202:203], v[202:203], v[190:191]
	s_waitcnt vmcnt(9) lgkmcnt(0)
	v_mul_f64 v[210:211], v[2:3], v[20:21]
	v_mul_f64 v[20:21], v[4:5], v[20:21]
	ds_load_b128 v[188:191], v1 offset:1088
	v_fma_f64 v[198:199], v[198:199], v[14:15], v[204:205]
	v_fma_f64 v[196:197], v[196:197], v[14:15], -v[16:17]
	scratch_load_b128 v[14:17], off, off offset:464
	v_add_f64 v[200:201], v[200:201], v[208:209]
	v_add_f64 v[202:203], v[202:203], v[206:207]
	v_fma_f64 v[206:207], v[4:5], v[18:19], v[210:211]
	v_fma_f64 v[208:209], v[2:3], v[18:19], -v[20:21]
	scratch_load_b128 v[18:21], off, off offset:480
	ds_load_b128 v[2:5], v1 offset:1104
	s_waitcnt vmcnt(10) lgkmcnt(1)
	v_mul_f64 v[204:205], v[188:189], v[24:25]
	v_mul_f64 v[24:25], v[190:191], v[24:25]
	s_waitcnt vmcnt(9) lgkmcnt(0)
	v_mul_f64 v[210:211], v[2:3], v[28:29]
	v_mul_f64 v[28:29], v[4:5], v[28:29]
	v_add_f64 v[200:201], v[200:201], v[196:197]
	v_add_f64 v[202:203], v[202:203], v[198:199]
	ds_load_b128 v[196:199], v1 offset:1120
	v_fma_f64 v[190:191], v[190:191], v[22:23], v[204:205]
	v_fma_f64 v[188:189], v[188:189], v[22:23], -v[24:25]
	scratch_load_b128 v[22:25], off, off offset:496
	v_add_f64 v[200:201], v[200:201], v[208:209]
	v_add_f64 v[202:203], v[202:203], v[206:207]
	v_fma_f64 v[206:207], v[4:5], v[26:27], v[210:211]
	v_fma_f64 v[208:209], v[2:3], v[26:27], -v[28:29]
	scratch_load_b128 v[26:29], off, off offset:512
	ds_load_b128 v[2:5], v1 offset:1136
	s_waitcnt vmcnt(10) lgkmcnt(1)
	v_mul_f64 v[204:205], v[196:197], v[32:33]
	v_mul_f64 v[32:33], v[198:199], v[32:33]
	s_waitcnt vmcnt(9) lgkmcnt(0)
	v_mul_f64 v[210:211], v[2:3], v[36:37]
	v_mul_f64 v[36:37], v[4:5], v[36:37]
	v_add_f64 v[200:201], v[200:201], v[188:189]
	v_add_f64 v[202:203], v[202:203], v[190:191]
	ds_load_b128 v[188:191], v1 offset:1152
	v_fma_f64 v[198:199], v[198:199], v[30:31], v[204:205]
	v_fma_f64 v[196:197], v[196:197], v[30:31], -v[32:33]
	scratch_load_b128 v[30:33], off, off offset:528
	v_add_f64 v[200:201], v[200:201], v[208:209]
	v_add_f64 v[202:203], v[202:203], v[206:207]
	v_fma_f64 v[208:209], v[4:5], v[34:35], v[210:211]
	v_fma_f64 v[210:211], v[2:3], v[34:35], -v[36:37]
	scratch_load_b128 v[34:37], off, off offset:544
	ds_load_b128 v[2:5], v1 offset:1168
	s_waitcnt vmcnt(9) lgkmcnt(1)
	v_mul_f64 v[204:205], v[188:189], v[194:195]
	v_mul_f64 v[206:207], v[190:191], v[194:195]
	v_add_f64 v[200:201], v[200:201], v[196:197]
	v_add_f64 v[198:199], v[202:203], v[198:199]
	ds_load_b128 v[194:197], v1 offset:1184
	v_fma_f64 v[204:205], v[190:191], v[192:193], v[204:205]
	v_fma_f64 v[192:193], v[188:189], v[192:193], -v[206:207]
	scratch_load_b128 v[188:191], off, off offset:560
	s_waitcnt vmcnt(9) lgkmcnt(1)
	v_mul_f64 v[202:203], v[2:3], v[40:41]
	v_mul_f64 v[40:41], v[4:5], v[40:41]
	v_add_f64 v[200:201], v[200:201], v[210:211]
	v_add_f64 v[198:199], v[198:199], v[208:209]
	s_delay_alu instid0(VALU_DEP_4) | instskip(NEXT) | instid1(VALU_DEP_4)
	v_fma_f64 v[202:203], v[4:5], v[38:39], v[202:203]
	v_fma_f64 v[208:209], v[2:3], v[38:39], -v[40:41]
	scratch_load_b128 v[38:41], off, off offset:576
	ds_load_b128 v[2:5], v1 offset:1200
	s_waitcnt vmcnt(9) lgkmcnt(1)
	v_mul_f64 v[206:207], v[194:195], v[8:9]
	v_mul_f64 v[8:9], v[196:197], v[8:9]
	s_waitcnt vmcnt(8) lgkmcnt(0)
	v_mul_f64 v[210:211], v[2:3], v[12:13]
	v_mul_f64 v[12:13], v[4:5], v[12:13]
	v_add_f64 v[192:193], v[200:201], v[192:193]
	v_add_f64 v[204:205], v[198:199], v[204:205]
	ds_load_b128 v[198:201], v1 offset:1216
	v_fma_f64 v[196:197], v[196:197], v[6:7], v[206:207]
	v_fma_f64 v[194:195], v[194:195], v[6:7], -v[8:9]
	scratch_load_b128 v[6:9], off, off offset:592
	v_fma_f64 v[206:207], v[4:5], v[10:11], v[210:211]
	v_add_f64 v[192:193], v[192:193], v[208:209]
	v_add_f64 v[202:203], v[204:205], v[202:203]
	v_fma_f64 v[208:209], v[2:3], v[10:11], -v[12:13]
	scratch_load_b128 v[10:13], off, off offset:608
	ds_load_b128 v[2:5], v1 offset:1232
	s_waitcnt vmcnt(9) lgkmcnt(1)
	v_mul_f64 v[204:205], v[198:199], v[16:17]
	v_mul_f64 v[16:17], v[200:201], v[16:17]
	v_add_f64 v[210:211], v[192:193], v[194:195]
	v_add_f64 v[196:197], v[202:203], v[196:197]
	s_waitcnt vmcnt(8) lgkmcnt(0)
	v_mul_f64 v[202:203], v[2:3], v[20:21]
	v_mul_f64 v[20:21], v[4:5], v[20:21]
	ds_load_b128 v[192:195], v1 offset:1248
	v_fma_f64 v[200:201], v[200:201], v[14:15], v[204:205]
	v_fma_f64 v[198:199], v[198:199], v[14:15], -v[16:17]
	scratch_load_b128 v[14:17], off, off offset:624
	v_add_f64 v[204:205], v[210:211], v[208:209]
	v_add_f64 v[196:197], v[196:197], v[206:207]
	v_fma_f64 v[202:203], v[4:5], v[18:19], v[202:203]
	v_fma_f64 v[208:209], v[2:3], v[18:19], -v[20:21]
	scratch_load_b128 v[18:21], off, off offset:640
	ds_load_b128 v[2:5], v1 offset:1264
	s_waitcnt vmcnt(9) lgkmcnt(1)
	v_mul_f64 v[206:207], v[192:193], v[24:25]
	v_mul_f64 v[24:25], v[194:195], v[24:25]
	s_waitcnt vmcnt(8) lgkmcnt(0)
	v_mul_f64 v[210:211], v[2:3], v[28:29]
	v_mul_f64 v[28:29], v[4:5], v[28:29]
	v_add_f64 v[204:205], v[204:205], v[198:199]
	v_add_f64 v[200:201], v[196:197], v[200:201]
	ds_load_b128 v[196:199], v1 offset:1280
	v_fma_f64 v[194:195], v[194:195], v[22:23], v[206:207]
	v_fma_f64 v[192:193], v[192:193], v[22:23], -v[24:25]
	scratch_load_b128 v[22:25], off, off offset:656
	v_fma_f64 v[206:207], v[4:5], v[26:27], v[210:211]
	v_add_f64 v[204:205], v[204:205], v[208:209]
	v_add_f64 v[200:201], v[200:201], v[202:203]
	v_fma_f64 v[208:209], v[2:3], v[26:27], -v[28:29]
	scratch_load_b128 v[26:29], off, off offset:672
	ds_load_b128 v[2:5], v1 offset:1296
	s_waitcnt vmcnt(9) lgkmcnt(1)
	v_mul_f64 v[202:203], v[196:197], v[32:33]
	v_mul_f64 v[32:33], v[198:199], v[32:33]
	s_waitcnt vmcnt(8) lgkmcnt(0)
	v_mul_f64 v[210:211], v[2:3], v[36:37]
	v_mul_f64 v[36:37], v[4:5], v[36:37]
	v_add_f64 v[204:205], v[204:205], v[192:193]
	v_add_f64 v[200:201], v[200:201], v[194:195]
	ds_load_b128 v[192:195], v1 offset:1312
	v_fma_f64 v[198:199], v[198:199], v[30:31], v[202:203]
	v_fma_f64 v[196:197], v[196:197], v[30:31], -v[32:33]
	scratch_load_b128 v[30:33], off, off offset:688
	v_add_f64 v[202:203], v[204:205], v[208:209]
	v_add_f64 v[200:201], v[200:201], v[206:207]
	v_fma_f64 v[206:207], v[4:5], v[34:35], v[210:211]
	v_fma_f64 v[208:209], v[2:3], v[34:35], -v[36:37]
	scratch_load_b128 v[34:37], off, off offset:704
	ds_load_b128 v[2:5], v1 offset:1328
	s_waitcnt vmcnt(9) lgkmcnt(1)
	v_mul_f64 v[204:205], v[192:193], v[190:191]
	v_mul_f64 v[190:191], v[194:195], v[190:191]
	s_waitcnt vmcnt(8) lgkmcnt(0)
	v_mul_f64 v[210:211], v[2:3], v[40:41]
	v_mul_f64 v[40:41], v[4:5], v[40:41]
	v_add_f64 v[202:203], v[202:203], v[196:197]
	v_add_f64 v[200:201], v[200:201], v[198:199]
	ds_load_b128 v[196:199], v1 offset:1344
	v_fma_f64 v[194:195], v[194:195], v[188:189], v[204:205]
	v_fma_f64 v[192:193], v[192:193], v[188:189], -v[190:191]
	scratch_load_b128 v[188:191], off, off offset:720
	v_add_f64 v[202:203], v[202:203], v[208:209]
	v_add_f64 v[200:201], v[200:201], v[206:207]
	v_fma_f64 v[206:207], v[4:5], v[38:39], v[210:211]
	v_fma_f64 v[208:209], v[2:3], v[38:39], -v[40:41]
	scratch_load_b128 v[38:41], off, off offset:736
	ds_load_b128 v[2:5], v1 offset:1360
	s_waitcnt vmcnt(9) lgkmcnt(1)
	v_mul_f64 v[204:205], v[196:197], v[8:9]
	v_mul_f64 v[8:9], v[198:199], v[8:9]
	s_waitcnt vmcnt(8) lgkmcnt(0)
	v_mul_f64 v[210:211], v[2:3], v[12:13]
	v_mul_f64 v[12:13], v[4:5], v[12:13]
	v_add_f64 v[202:203], v[202:203], v[192:193]
	v_add_f64 v[200:201], v[200:201], v[194:195]
	ds_load_b128 v[192:195], v1 offset:1376
	v_fma_f64 v[198:199], v[198:199], v[6:7], v[204:205]
	v_fma_f64 v[6:7], v[196:197], v[6:7], -v[8:9]
	v_add_f64 v[8:9], v[202:203], v[208:209]
	v_add_f64 v[196:197], v[200:201], v[206:207]
	s_waitcnt vmcnt(7) lgkmcnt(0)
	v_mul_f64 v[200:201], v[192:193], v[16:17]
	v_mul_f64 v[16:17], v[194:195], v[16:17]
	v_fma_f64 v[202:203], v[4:5], v[10:11], v[210:211]
	v_fma_f64 v[10:11], v[2:3], v[10:11], -v[12:13]
	v_add_f64 v[12:13], v[8:9], v[6:7]
	v_add_f64 v[196:197], v[196:197], v[198:199]
	ds_load_b128 v[2:5], v1 offset:1392
	ds_load_b128 v[6:9], v1 offset:1408
	v_fma_f64 v[194:195], v[194:195], v[14:15], v[200:201]
	v_fma_f64 v[14:15], v[192:193], v[14:15], -v[16:17]
	s_waitcnt vmcnt(6) lgkmcnt(1)
	v_mul_f64 v[198:199], v[2:3], v[20:21]
	v_mul_f64 v[20:21], v[4:5], v[20:21]
	s_waitcnt vmcnt(5) lgkmcnt(0)
	v_mul_f64 v[16:17], v[6:7], v[24:25]
	v_mul_f64 v[24:25], v[8:9], v[24:25]
	v_add_f64 v[10:11], v[12:13], v[10:11]
	v_add_f64 v[12:13], v[196:197], v[202:203]
	v_fma_f64 v[192:193], v[4:5], v[18:19], v[198:199]
	v_fma_f64 v[18:19], v[2:3], v[18:19], -v[20:21]
	v_fma_f64 v[8:9], v[8:9], v[22:23], v[16:17]
	v_fma_f64 v[6:7], v[6:7], v[22:23], -v[24:25]
	v_add_f64 v[14:15], v[10:11], v[14:15]
	v_add_f64 v[20:21], v[12:13], v[194:195]
	ds_load_b128 v[2:5], v1 offset:1424
	ds_load_b128 v[10:13], v1 offset:1440
	s_waitcnt vmcnt(4) lgkmcnt(1)
	v_mul_f64 v[194:195], v[2:3], v[28:29]
	v_mul_f64 v[28:29], v[4:5], v[28:29]
	v_add_f64 v[14:15], v[14:15], v[18:19]
	v_add_f64 v[16:17], v[20:21], v[192:193]
	s_waitcnt vmcnt(3) lgkmcnt(0)
	v_mul_f64 v[18:19], v[10:11], v[32:33]
	v_mul_f64 v[20:21], v[12:13], v[32:33]
	v_fma_f64 v[22:23], v[4:5], v[26:27], v[194:195]
	v_fma_f64 v[24:25], v[2:3], v[26:27], -v[28:29]
	v_add_f64 v[14:15], v[14:15], v[6:7]
	v_add_f64 v[16:17], v[16:17], v[8:9]
	ds_load_b128 v[2:5], v1 offset:1456
	ds_load_b128 v[6:9], v1 offset:1472
	v_fma_f64 v[12:13], v[12:13], v[30:31], v[18:19]
	v_fma_f64 v[10:11], v[10:11], v[30:31], -v[20:21]
	s_waitcnt vmcnt(2) lgkmcnt(1)
	v_mul_f64 v[26:27], v[2:3], v[36:37]
	v_mul_f64 v[28:29], v[4:5], v[36:37]
	s_waitcnt vmcnt(1) lgkmcnt(0)
	v_mul_f64 v[18:19], v[6:7], v[190:191]
	v_mul_f64 v[20:21], v[8:9], v[190:191]
	v_add_f64 v[14:15], v[14:15], v[24:25]
	v_add_f64 v[16:17], v[16:17], v[22:23]
	v_fma_f64 v[22:23], v[4:5], v[34:35], v[26:27]
	v_fma_f64 v[24:25], v[2:3], v[34:35], -v[28:29]
	ds_load_b128 v[2:5], v1 offset:1488
	v_fma_f64 v[8:9], v[8:9], v[188:189], v[18:19]
	v_fma_f64 v[6:7], v[6:7], v[188:189], -v[20:21]
	v_add_f64 v[10:11], v[14:15], v[10:11]
	v_add_f64 v[12:13], v[16:17], v[12:13]
	s_waitcnt vmcnt(0) lgkmcnt(0)
	v_mul_f64 v[14:15], v[2:3], v[40:41]
	v_mul_f64 v[16:17], v[4:5], v[40:41]
	s_delay_alu instid0(VALU_DEP_4) | instskip(NEXT) | instid1(VALU_DEP_4)
	v_add_f64 v[10:11], v[10:11], v[24:25]
	v_add_f64 v[12:13], v[12:13], v[22:23]
	s_delay_alu instid0(VALU_DEP_4) | instskip(NEXT) | instid1(VALU_DEP_4)
	v_fma_f64 v[4:5], v[4:5], v[38:39], v[14:15]
	v_fma_f64 v[2:3], v[2:3], v[38:39], -v[16:17]
	s_delay_alu instid0(VALU_DEP_4) | instskip(NEXT) | instid1(VALU_DEP_4)
	v_add_f64 v[6:7], v[10:11], v[6:7]
	v_add_f64 v[8:9], v[12:13], v[8:9]
	s_delay_alu instid0(VALU_DEP_2) | instskip(NEXT) | instid1(VALU_DEP_2)
	v_add_f64 v[2:3], v[6:7], v[2:3]
	v_add_f64 v[4:5], v[8:9], v[4:5]
	s_delay_alu instid0(VALU_DEP_2) | instskip(NEXT) | instid1(VALU_DEP_2)
	v_add_f64 v[2:3], v[42:43], -v[2:3]
	v_add_f64 v[4:5], v[44:45], -v[4:5]
	scratch_store_b128 off, v[2:5], off offset:240
	v_cmpx_lt_u32_e32 14, v140
	s_cbranch_execz .LBB110_267
; %bb.266:
	scratch_load_b128 v[5:8], v173, off
	v_mov_b32_e32 v2, v1
	v_mov_b32_e32 v3, v1
	;; [unrolled: 1-line block ×3, first 2 shown]
	scratch_store_b128 off, v[1:4], off offset:224
	s_waitcnt vmcnt(0)
	ds_store_b128 v187, v[5:8]
.LBB110_267:
	s_or_b32 exec_lo, exec_lo, s2
	s_waitcnt lgkmcnt(0)
	s_waitcnt_vscnt null, 0x0
	s_barrier
	buffer_gl0_inv
	s_clause 0x8
	scratch_load_b128 v[2:5], off, off offset:240
	scratch_load_b128 v[6:9], off, off offset:256
	;; [unrolled: 1-line block ×9, first 2 shown]
	ds_load_b128 v[42:45], v1 offset:992
	ds_load_b128 v[38:41], v1 offset:1008
	s_clause 0x1
	scratch_load_b128 v[188:191], off, off offset:224
	scratch_load_b128 v[192:195], off, off offset:384
	s_mov_b32 s2, exec_lo
	s_waitcnt vmcnt(10) lgkmcnt(1)
	v_mul_f64 v[196:197], v[44:45], v[4:5]
	v_mul_f64 v[4:5], v[42:43], v[4:5]
	s_waitcnt vmcnt(9) lgkmcnt(0)
	v_mul_f64 v[200:201], v[38:39], v[8:9]
	v_mul_f64 v[8:9], v[40:41], v[8:9]
	s_delay_alu instid0(VALU_DEP_4) | instskip(NEXT) | instid1(VALU_DEP_4)
	v_fma_f64 v[202:203], v[42:43], v[2:3], -v[196:197]
	v_fma_f64 v[204:205], v[44:45], v[2:3], v[4:5]
	ds_load_b128 v[2:5], v1 offset:1024
	ds_load_b128 v[196:199], v1 offset:1040
	scratch_load_b128 v[42:45], off, off offset:400
	v_fma_f64 v[40:41], v[40:41], v[6:7], v[200:201]
	v_fma_f64 v[38:39], v[38:39], v[6:7], -v[8:9]
	scratch_load_b128 v[6:9], off, off offset:416
	s_waitcnt vmcnt(10) lgkmcnt(1)
	v_mul_f64 v[206:207], v[2:3], v[12:13]
	v_mul_f64 v[12:13], v[4:5], v[12:13]
	v_add_f64 v[200:201], v[202:203], 0
	v_add_f64 v[202:203], v[204:205], 0
	s_waitcnt vmcnt(9) lgkmcnt(0)
	v_mul_f64 v[204:205], v[196:197], v[16:17]
	v_mul_f64 v[16:17], v[198:199], v[16:17]
	v_fma_f64 v[206:207], v[4:5], v[10:11], v[206:207]
	v_fma_f64 v[208:209], v[2:3], v[10:11], -v[12:13]
	ds_load_b128 v[2:5], v1 offset:1056
	scratch_load_b128 v[10:13], off, off offset:432
	v_add_f64 v[200:201], v[200:201], v[38:39]
	v_add_f64 v[202:203], v[202:203], v[40:41]
	ds_load_b128 v[38:41], v1 offset:1072
	v_fma_f64 v[198:199], v[198:199], v[14:15], v[204:205]
	v_fma_f64 v[196:197], v[196:197], v[14:15], -v[16:17]
	scratch_load_b128 v[14:17], off, off offset:448
	s_waitcnt vmcnt(10) lgkmcnt(1)
	v_mul_f64 v[210:211], v[2:3], v[20:21]
	v_mul_f64 v[20:21], v[4:5], v[20:21]
	s_waitcnt vmcnt(9) lgkmcnt(0)
	v_mul_f64 v[204:205], v[38:39], v[24:25]
	v_mul_f64 v[24:25], v[40:41], v[24:25]
	v_add_f64 v[200:201], v[200:201], v[208:209]
	v_add_f64 v[202:203], v[202:203], v[206:207]
	v_fma_f64 v[206:207], v[4:5], v[18:19], v[210:211]
	v_fma_f64 v[208:209], v[2:3], v[18:19], -v[20:21]
	ds_load_b128 v[2:5], v1 offset:1088
	scratch_load_b128 v[18:21], off, off offset:464
	v_fma_f64 v[40:41], v[40:41], v[22:23], v[204:205]
	v_fma_f64 v[38:39], v[38:39], v[22:23], -v[24:25]
	scratch_load_b128 v[22:25], off, off offset:480
	v_add_f64 v[200:201], v[200:201], v[196:197]
	v_add_f64 v[202:203], v[202:203], v[198:199]
	ds_load_b128 v[196:199], v1 offset:1104
	s_waitcnt vmcnt(10) lgkmcnt(1)
	v_mul_f64 v[210:211], v[2:3], v[28:29]
	v_mul_f64 v[28:29], v[4:5], v[28:29]
	s_waitcnt vmcnt(9) lgkmcnt(0)
	v_mul_f64 v[204:205], v[196:197], v[32:33]
	v_mul_f64 v[32:33], v[198:199], v[32:33]
	v_add_f64 v[200:201], v[200:201], v[208:209]
	v_add_f64 v[202:203], v[202:203], v[206:207]
	v_fma_f64 v[206:207], v[4:5], v[26:27], v[210:211]
	v_fma_f64 v[208:209], v[2:3], v[26:27], -v[28:29]
	ds_load_b128 v[2:5], v1 offset:1120
	scratch_load_b128 v[26:29], off, off offset:496
	v_fma_f64 v[198:199], v[198:199], v[30:31], v[204:205]
	v_fma_f64 v[196:197], v[196:197], v[30:31], -v[32:33]
	scratch_load_b128 v[30:33], off, off offset:512
	v_add_f64 v[200:201], v[200:201], v[38:39]
	v_add_f64 v[202:203], v[202:203], v[40:41]
	ds_load_b128 v[38:41], v1 offset:1136
	s_waitcnt vmcnt(10) lgkmcnt(1)
	v_mul_f64 v[210:211], v[2:3], v[36:37]
	v_mul_f64 v[36:37], v[4:5], v[36:37]
	s_waitcnt vmcnt(8) lgkmcnt(0)
	v_mul_f64 v[204:205], v[38:39], v[194:195]
	v_add_f64 v[200:201], v[200:201], v[208:209]
	v_add_f64 v[202:203], v[202:203], v[206:207]
	v_mul_f64 v[206:207], v[40:41], v[194:195]
	v_fma_f64 v[208:209], v[4:5], v[34:35], v[210:211]
	v_fma_f64 v[210:211], v[2:3], v[34:35], -v[36:37]
	ds_load_b128 v[2:5], v1 offset:1152
	scratch_load_b128 v[34:37], off, off offset:528
	v_fma_f64 v[204:205], v[40:41], v[192:193], v[204:205]
	v_add_f64 v[200:201], v[200:201], v[196:197]
	v_add_f64 v[198:199], v[202:203], v[198:199]
	ds_load_b128 v[194:197], v1 offset:1168
	v_fma_f64 v[192:193], v[38:39], v[192:193], -v[206:207]
	scratch_load_b128 v[38:41], off, off offset:544
	s_waitcnt vmcnt(9) lgkmcnt(1)
	v_mul_f64 v[202:203], v[2:3], v[44:45]
	v_mul_f64 v[44:45], v[4:5], v[44:45]
	s_waitcnt vmcnt(8) lgkmcnt(0)
	v_mul_f64 v[206:207], v[194:195], v[8:9]
	v_mul_f64 v[8:9], v[196:197], v[8:9]
	v_add_f64 v[200:201], v[200:201], v[210:211]
	v_add_f64 v[198:199], v[198:199], v[208:209]
	v_fma_f64 v[202:203], v[4:5], v[42:43], v[202:203]
	v_fma_f64 v[208:209], v[2:3], v[42:43], -v[44:45]
	ds_load_b128 v[2:5], v1 offset:1184
	scratch_load_b128 v[42:45], off, off offset:560
	v_fma_f64 v[196:197], v[196:197], v[6:7], v[206:207]
	v_fma_f64 v[194:195], v[194:195], v[6:7], -v[8:9]
	scratch_load_b128 v[6:9], off, off offset:576
	v_add_f64 v[192:193], v[200:201], v[192:193]
	v_add_f64 v[204:205], v[198:199], v[204:205]
	ds_load_b128 v[198:201], v1 offset:1200
	s_waitcnt vmcnt(9) lgkmcnt(1)
	v_mul_f64 v[210:211], v[2:3], v[12:13]
	v_mul_f64 v[12:13], v[4:5], v[12:13]
	v_add_f64 v[192:193], v[192:193], v[208:209]
	v_add_f64 v[202:203], v[204:205], v[202:203]
	s_waitcnt vmcnt(8) lgkmcnt(0)
	v_mul_f64 v[204:205], v[198:199], v[16:17]
	v_mul_f64 v[16:17], v[200:201], v[16:17]
	v_fma_f64 v[206:207], v[4:5], v[10:11], v[210:211]
	v_fma_f64 v[208:209], v[2:3], v[10:11], -v[12:13]
	ds_load_b128 v[2:5], v1 offset:1216
	scratch_load_b128 v[10:13], off, off offset:592
	v_add_f64 v[210:211], v[192:193], v[194:195]
	v_add_f64 v[196:197], v[202:203], v[196:197]
	ds_load_b128 v[192:195], v1 offset:1232
	s_waitcnt vmcnt(8) lgkmcnt(1)
	v_mul_f64 v[202:203], v[2:3], v[20:21]
	v_mul_f64 v[20:21], v[4:5], v[20:21]
	v_fma_f64 v[200:201], v[200:201], v[14:15], v[204:205]
	v_fma_f64 v[198:199], v[198:199], v[14:15], -v[16:17]
	scratch_load_b128 v[14:17], off, off offset:608
	v_add_f64 v[204:205], v[210:211], v[208:209]
	v_add_f64 v[196:197], v[196:197], v[206:207]
	s_waitcnt vmcnt(8) lgkmcnt(0)
	v_mul_f64 v[206:207], v[192:193], v[24:25]
	v_mul_f64 v[24:25], v[194:195], v[24:25]
	v_fma_f64 v[202:203], v[4:5], v[18:19], v[202:203]
	v_fma_f64 v[208:209], v[2:3], v[18:19], -v[20:21]
	ds_load_b128 v[2:5], v1 offset:1248
	scratch_load_b128 v[18:21], off, off offset:624
	v_add_f64 v[204:205], v[204:205], v[198:199]
	v_add_f64 v[200:201], v[196:197], v[200:201]
	ds_load_b128 v[196:199], v1 offset:1264
	s_waitcnt vmcnt(8) lgkmcnt(1)
	v_mul_f64 v[210:211], v[2:3], v[28:29]
	v_mul_f64 v[28:29], v[4:5], v[28:29]
	v_fma_f64 v[194:195], v[194:195], v[22:23], v[206:207]
	v_fma_f64 v[192:193], v[192:193], v[22:23], -v[24:25]
	scratch_load_b128 v[22:25], off, off offset:640
	;; [unrolled: 18-line block ×4, first 2 shown]
	s_waitcnt vmcnt(8) lgkmcnt(0)
	v_mul_f64 v[204:205], v[196:197], v[8:9]
	v_mul_f64 v[8:9], v[198:199], v[8:9]
	v_add_f64 v[202:203], v[202:203], v[208:209]
	v_add_f64 v[200:201], v[200:201], v[206:207]
	v_fma_f64 v[206:207], v[4:5], v[42:43], v[210:211]
	v_fma_f64 v[208:209], v[2:3], v[42:43], -v[44:45]
	ds_load_b128 v[2:5], v1 offset:1344
	scratch_load_b128 v[42:45], off, off offset:720
	v_fma_f64 v[198:199], v[198:199], v[6:7], v[204:205]
	v_fma_f64 v[196:197], v[196:197], v[6:7], -v[8:9]
	scratch_load_b128 v[6:9], off, off offset:736
	v_add_f64 v[202:203], v[202:203], v[192:193]
	v_add_f64 v[200:201], v[200:201], v[194:195]
	ds_load_b128 v[192:195], v1 offset:1360
	s_waitcnt vmcnt(9) lgkmcnt(1)
	v_mul_f64 v[210:211], v[2:3], v[12:13]
	v_mul_f64 v[12:13], v[4:5], v[12:13]
	s_waitcnt vmcnt(8) lgkmcnt(0)
	v_mul_f64 v[204:205], v[192:193], v[16:17]
	v_mul_f64 v[16:17], v[194:195], v[16:17]
	v_add_f64 v[202:203], v[202:203], v[208:209]
	v_add_f64 v[200:201], v[200:201], v[206:207]
	v_fma_f64 v[206:207], v[4:5], v[10:11], v[210:211]
	v_fma_f64 v[208:209], v[2:3], v[10:11], -v[12:13]
	ds_load_b128 v[2:5], v1 offset:1376
	ds_load_b128 v[10:13], v1 offset:1392
	v_fma_f64 v[194:195], v[194:195], v[14:15], v[204:205]
	v_fma_f64 v[14:15], v[192:193], v[14:15], -v[16:17]
	v_add_f64 v[196:197], v[202:203], v[196:197]
	v_add_f64 v[198:199], v[200:201], v[198:199]
	s_waitcnt vmcnt(7) lgkmcnt(1)
	v_mul_f64 v[200:201], v[2:3], v[20:21]
	v_mul_f64 v[20:21], v[4:5], v[20:21]
	s_delay_alu instid0(VALU_DEP_4) | instskip(NEXT) | instid1(VALU_DEP_4)
	v_add_f64 v[16:17], v[196:197], v[208:209]
	v_add_f64 v[192:193], v[198:199], v[206:207]
	s_waitcnt vmcnt(6) lgkmcnt(0)
	v_mul_f64 v[196:197], v[10:11], v[24:25]
	v_mul_f64 v[24:25], v[12:13], v[24:25]
	v_fma_f64 v[198:199], v[4:5], v[18:19], v[200:201]
	v_fma_f64 v[18:19], v[2:3], v[18:19], -v[20:21]
	v_add_f64 v[20:21], v[16:17], v[14:15]
	v_add_f64 v[192:193], v[192:193], v[194:195]
	ds_load_b128 v[2:5], v1 offset:1408
	ds_load_b128 v[14:17], v1 offset:1424
	v_fma_f64 v[12:13], v[12:13], v[22:23], v[196:197]
	v_fma_f64 v[10:11], v[10:11], v[22:23], -v[24:25]
	s_waitcnt vmcnt(5) lgkmcnt(1)
	v_mul_f64 v[194:195], v[2:3], v[28:29]
	v_mul_f64 v[28:29], v[4:5], v[28:29]
	s_waitcnt vmcnt(4) lgkmcnt(0)
	v_mul_f64 v[22:23], v[14:15], v[32:33]
	v_mul_f64 v[24:25], v[16:17], v[32:33]
	v_add_f64 v[18:19], v[20:21], v[18:19]
	v_add_f64 v[20:21], v[192:193], v[198:199]
	v_fma_f64 v[32:33], v[4:5], v[26:27], v[194:195]
	v_fma_f64 v[26:27], v[2:3], v[26:27], -v[28:29]
	v_fma_f64 v[16:17], v[16:17], v[30:31], v[22:23]
	v_fma_f64 v[14:15], v[14:15], v[30:31], -v[24:25]
	v_add_f64 v[18:19], v[18:19], v[10:11]
	v_add_f64 v[20:21], v[20:21], v[12:13]
	ds_load_b128 v[2:5], v1 offset:1440
	ds_load_b128 v[10:13], v1 offset:1456
	s_waitcnt vmcnt(3) lgkmcnt(1)
	v_mul_f64 v[28:29], v[2:3], v[36:37]
	v_mul_f64 v[36:37], v[4:5], v[36:37]
	s_waitcnt vmcnt(2) lgkmcnt(0)
	v_mul_f64 v[22:23], v[10:11], v[40:41]
	v_mul_f64 v[24:25], v[12:13], v[40:41]
	v_add_f64 v[18:19], v[18:19], v[26:27]
	v_add_f64 v[20:21], v[20:21], v[32:33]
	v_fma_f64 v[26:27], v[4:5], v[34:35], v[28:29]
	v_fma_f64 v[28:29], v[2:3], v[34:35], -v[36:37]
	v_fma_f64 v[12:13], v[12:13], v[38:39], v[22:23]
	v_fma_f64 v[10:11], v[10:11], v[38:39], -v[24:25]
	v_add_f64 v[18:19], v[18:19], v[14:15]
	v_add_f64 v[20:21], v[20:21], v[16:17]
	ds_load_b128 v[2:5], v1 offset:1472
	ds_load_b128 v[14:17], v1 offset:1488
	s_waitcnt vmcnt(1) lgkmcnt(1)
	v_mul_f64 v[30:31], v[2:3], v[44:45]
	v_mul_f64 v[32:33], v[4:5], v[44:45]
	s_waitcnt vmcnt(0) lgkmcnt(0)
	v_mul_f64 v[22:23], v[14:15], v[8:9]
	v_mul_f64 v[8:9], v[16:17], v[8:9]
	v_add_f64 v[18:19], v[18:19], v[28:29]
	v_add_f64 v[20:21], v[20:21], v[26:27]
	v_fma_f64 v[4:5], v[4:5], v[42:43], v[30:31]
	v_fma_f64 v[1:2], v[2:3], v[42:43], -v[32:33]
	v_fma_f64 v[16:17], v[16:17], v[6:7], v[22:23]
	v_fma_f64 v[6:7], v[14:15], v[6:7], -v[8:9]
	v_add_f64 v[10:11], v[18:19], v[10:11]
	v_add_f64 v[12:13], v[20:21], v[12:13]
	s_delay_alu instid0(VALU_DEP_2) | instskip(NEXT) | instid1(VALU_DEP_2)
	v_add_f64 v[1:2], v[10:11], v[1:2]
	v_add_f64 v[3:4], v[12:13], v[4:5]
	s_delay_alu instid0(VALU_DEP_2) | instskip(NEXT) | instid1(VALU_DEP_2)
	;; [unrolled: 3-line block ×3, first 2 shown]
	v_add_f64 v[1:2], v[188:189], -v[1:2]
	v_add_f64 v[3:4], v[190:191], -v[3:4]
	scratch_store_b128 off, v[1:4], off offset:224
	v_cmpx_lt_u32_e32 13, v140
	s_cbranch_execz .LBB110_269
; %bb.268:
	scratch_load_b128 v[1:4], v174, off
	v_mov_b32_e32 v5, 0
	s_delay_alu instid0(VALU_DEP_1)
	v_mov_b32_e32 v6, v5
	v_mov_b32_e32 v7, v5
	;; [unrolled: 1-line block ×3, first 2 shown]
	scratch_store_b128 off, v[5:8], off offset:208
	s_waitcnt vmcnt(0)
	ds_store_b128 v187, v[1:4]
.LBB110_269:
	s_or_b32 exec_lo, exec_lo, s2
	s_waitcnt lgkmcnt(0)
	s_waitcnt_vscnt null, 0x0
	s_barrier
	buffer_gl0_inv
	s_clause 0x7
	scratch_load_b128 v[2:5], off, off offset:224
	scratch_load_b128 v[6:9], off, off offset:240
	;; [unrolled: 1-line block ×8, first 2 shown]
	v_mov_b32_e32 v1, 0
	s_mov_b32 s2, exec_lo
	ds_load_b128 v[38:41], v1 offset:976
	s_clause 0x1
	scratch_load_b128 v[34:37], off, off offset:352
	scratch_load_b128 v[42:45], off, off offset:208
	ds_load_b128 v[188:191], v1 offset:992
	scratch_load_b128 v[192:195], off, off offset:368
	s_waitcnt vmcnt(10) lgkmcnt(1)
	v_mul_f64 v[196:197], v[40:41], v[4:5]
	v_mul_f64 v[4:5], v[38:39], v[4:5]
	s_delay_alu instid0(VALU_DEP_2) | instskip(NEXT) | instid1(VALU_DEP_2)
	v_fma_f64 v[202:203], v[38:39], v[2:3], -v[196:197]
	v_fma_f64 v[204:205], v[40:41], v[2:3], v[4:5]
	scratch_load_b128 v[38:41], off, off offset:384
	ds_load_b128 v[2:5], v1 offset:1008
	s_waitcnt vmcnt(10) lgkmcnt(1)
	v_mul_f64 v[200:201], v[188:189], v[8:9]
	v_mul_f64 v[8:9], v[190:191], v[8:9]
	ds_load_b128 v[196:199], v1 offset:1024
	s_waitcnt vmcnt(9) lgkmcnt(1)
	v_mul_f64 v[206:207], v[2:3], v[12:13]
	v_mul_f64 v[12:13], v[4:5], v[12:13]
	v_fma_f64 v[190:191], v[190:191], v[6:7], v[200:201]
	v_fma_f64 v[188:189], v[188:189], v[6:7], -v[8:9]
	v_add_f64 v[200:201], v[202:203], 0
	v_add_f64 v[202:203], v[204:205], 0
	scratch_load_b128 v[6:9], off, off offset:400
	v_fma_f64 v[206:207], v[4:5], v[10:11], v[206:207]
	v_fma_f64 v[208:209], v[2:3], v[10:11], -v[12:13]
	scratch_load_b128 v[10:13], off, off offset:416
	ds_load_b128 v[2:5], v1 offset:1040
	s_waitcnt vmcnt(10) lgkmcnt(1)
	v_mul_f64 v[204:205], v[196:197], v[16:17]
	v_mul_f64 v[16:17], v[198:199], v[16:17]
	v_add_f64 v[200:201], v[200:201], v[188:189]
	v_add_f64 v[202:203], v[202:203], v[190:191]
	s_waitcnt vmcnt(9) lgkmcnt(0)
	v_mul_f64 v[210:211], v[2:3], v[20:21]
	v_mul_f64 v[20:21], v[4:5], v[20:21]
	ds_load_b128 v[188:191], v1 offset:1056
	v_fma_f64 v[198:199], v[198:199], v[14:15], v[204:205]
	v_fma_f64 v[196:197], v[196:197], v[14:15], -v[16:17]
	scratch_load_b128 v[14:17], off, off offset:432
	v_add_f64 v[200:201], v[200:201], v[208:209]
	v_add_f64 v[202:203], v[202:203], v[206:207]
	v_fma_f64 v[206:207], v[4:5], v[18:19], v[210:211]
	v_fma_f64 v[208:209], v[2:3], v[18:19], -v[20:21]
	scratch_load_b128 v[18:21], off, off offset:448
	ds_load_b128 v[2:5], v1 offset:1072
	s_waitcnt vmcnt(10) lgkmcnt(1)
	v_mul_f64 v[204:205], v[188:189], v[24:25]
	v_mul_f64 v[24:25], v[190:191], v[24:25]
	s_waitcnt vmcnt(9) lgkmcnt(0)
	v_mul_f64 v[210:211], v[2:3], v[28:29]
	v_mul_f64 v[28:29], v[4:5], v[28:29]
	v_add_f64 v[200:201], v[200:201], v[196:197]
	v_add_f64 v[202:203], v[202:203], v[198:199]
	ds_load_b128 v[196:199], v1 offset:1088
	v_fma_f64 v[190:191], v[190:191], v[22:23], v[204:205]
	v_fma_f64 v[188:189], v[188:189], v[22:23], -v[24:25]
	scratch_load_b128 v[22:25], off, off offset:464
	v_add_f64 v[200:201], v[200:201], v[208:209]
	v_add_f64 v[202:203], v[202:203], v[206:207]
	v_fma_f64 v[206:207], v[4:5], v[26:27], v[210:211]
	v_fma_f64 v[208:209], v[2:3], v[26:27], -v[28:29]
	scratch_load_b128 v[26:29], off, off offset:480
	ds_load_b128 v[2:5], v1 offset:1104
	s_waitcnt vmcnt(10) lgkmcnt(1)
	v_mul_f64 v[204:205], v[196:197], v[32:33]
	v_mul_f64 v[32:33], v[198:199], v[32:33]
	s_waitcnt vmcnt(9) lgkmcnt(0)
	v_mul_f64 v[210:211], v[2:3], v[36:37]
	v_mul_f64 v[36:37], v[4:5], v[36:37]
	v_add_f64 v[200:201], v[200:201], v[188:189]
	v_add_f64 v[202:203], v[202:203], v[190:191]
	ds_load_b128 v[188:191], v1 offset:1120
	v_fma_f64 v[198:199], v[198:199], v[30:31], v[204:205]
	v_fma_f64 v[196:197], v[196:197], v[30:31], -v[32:33]
	scratch_load_b128 v[30:33], off, off offset:496
	v_add_f64 v[200:201], v[200:201], v[208:209]
	v_add_f64 v[202:203], v[202:203], v[206:207]
	v_fma_f64 v[208:209], v[4:5], v[34:35], v[210:211]
	v_fma_f64 v[210:211], v[2:3], v[34:35], -v[36:37]
	scratch_load_b128 v[34:37], off, off offset:512
	ds_load_b128 v[2:5], v1 offset:1136
	s_waitcnt vmcnt(9) lgkmcnt(1)
	v_mul_f64 v[204:205], v[188:189], v[194:195]
	v_mul_f64 v[206:207], v[190:191], v[194:195]
	v_add_f64 v[200:201], v[200:201], v[196:197]
	v_add_f64 v[198:199], v[202:203], v[198:199]
	ds_load_b128 v[194:197], v1 offset:1152
	v_fma_f64 v[204:205], v[190:191], v[192:193], v[204:205]
	v_fma_f64 v[192:193], v[188:189], v[192:193], -v[206:207]
	scratch_load_b128 v[188:191], off, off offset:528
	s_waitcnt vmcnt(9) lgkmcnt(1)
	v_mul_f64 v[202:203], v[2:3], v[40:41]
	v_mul_f64 v[40:41], v[4:5], v[40:41]
	v_add_f64 v[200:201], v[200:201], v[210:211]
	v_add_f64 v[198:199], v[198:199], v[208:209]
	s_delay_alu instid0(VALU_DEP_4) | instskip(NEXT) | instid1(VALU_DEP_4)
	v_fma_f64 v[202:203], v[4:5], v[38:39], v[202:203]
	v_fma_f64 v[208:209], v[2:3], v[38:39], -v[40:41]
	scratch_load_b128 v[38:41], off, off offset:544
	ds_load_b128 v[2:5], v1 offset:1168
	s_waitcnt vmcnt(9) lgkmcnt(1)
	v_mul_f64 v[206:207], v[194:195], v[8:9]
	v_mul_f64 v[8:9], v[196:197], v[8:9]
	s_waitcnt vmcnt(8) lgkmcnt(0)
	v_mul_f64 v[210:211], v[2:3], v[12:13]
	v_mul_f64 v[12:13], v[4:5], v[12:13]
	v_add_f64 v[192:193], v[200:201], v[192:193]
	v_add_f64 v[204:205], v[198:199], v[204:205]
	ds_load_b128 v[198:201], v1 offset:1184
	v_fma_f64 v[196:197], v[196:197], v[6:7], v[206:207]
	v_fma_f64 v[194:195], v[194:195], v[6:7], -v[8:9]
	scratch_load_b128 v[6:9], off, off offset:560
	v_fma_f64 v[206:207], v[4:5], v[10:11], v[210:211]
	v_add_f64 v[192:193], v[192:193], v[208:209]
	v_add_f64 v[202:203], v[204:205], v[202:203]
	v_fma_f64 v[208:209], v[2:3], v[10:11], -v[12:13]
	scratch_load_b128 v[10:13], off, off offset:576
	ds_load_b128 v[2:5], v1 offset:1200
	s_waitcnt vmcnt(9) lgkmcnt(1)
	v_mul_f64 v[204:205], v[198:199], v[16:17]
	v_mul_f64 v[16:17], v[200:201], v[16:17]
	v_add_f64 v[210:211], v[192:193], v[194:195]
	v_add_f64 v[196:197], v[202:203], v[196:197]
	s_waitcnt vmcnt(8) lgkmcnt(0)
	v_mul_f64 v[202:203], v[2:3], v[20:21]
	v_mul_f64 v[20:21], v[4:5], v[20:21]
	ds_load_b128 v[192:195], v1 offset:1216
	v_fma_f64 v[200:201], v[200:201], v[14:15], v[204:205]
	v_fma_f64 v[198:199], v[198:199], v[14:15], -v[16:17]
	scratch_load_b128 v[14:17], off, off offset:592
	v_add_f64 v[204:205], v[210:211], v[208:209]
	v_add_f64 v[196:197], v[196:197], v[206:207]
	v_fma_f64 v[202:203], v[4:5], v[18:19], v[202:203]
	v_fma_f64 v[208:209], v[2:3], v[18:19], -v[20:21]
	scratch_load_b128 v[18:21], off, off offset:608
	ds_load_b128 v[2:5], v1 offset:1232
	s_waitcnt vmcnt(9) lgkmcnt(1)
	v_mul_f64 v[206:207], v[192:193], v[24:25]
	v_mul_f64 v[24:25], v[194:195], v[24:25]
	s_waitcnt vmcnt(8) lgkmcnt(0)
	v_mul_f64 v[210:211], v[2:3], v[28:29]
	v_mul_f64 v[28:29], v[4:5], v[28:29]
	v_add_f64 v[204:205], v[204:205], v[198:199]
	v_add_f64 v[200:201], v[196:197], v[200:201]
	ds_load_b128 v[196:199], v1 offset:1248
	v_fma_f64 v[194:195], v[194:195], v[22:23], v[206:207]
	v_fma_f64 v[192:193], v[192:193], v[22:23], -v[24:25]
	scratch_load_b128 v[22:25], off, off offset:624
	v_fma_f64 v[206:207], v[4:5], v[26:27], v[210:211]
	v_add_f64 v[204:205], v[204:205], v[208:209]
	v_add_f64 v[200:201], v[200:201], v[202:203]
	v_fma_f64 v[208:209], v[2:3], v[26:27], -v[28:29]
	scratch_load_b128 v[26:29], off, off offset:640
	ds_load_b128 v[2:5], v1 offset:1264
	s_waitcnt vmcnt(9) lgkmcnt(1)
	v_mul_f64 v[202:203], v[196:197], v[32:33]
	v_mul_f64 v[32:33], v[198:199], v[32:33]
	s_waitcnt vmcnt(8) lgkmcnt(0)
	v_mul_f64 v[210:211], v[2:3], v[36:37]
	v_mul_f64 v[36:37], v[4:5], v[36:37]
	v_add_f64 v[204:205], v[204:205], v[192:193]
	v_add_f64 v[200:201], v[200:201], v[194:195]
	ds_load_b128 v[192:195], v1 offset:1280
	v_fma_f64 v[198:199], v[198:199], v[30:31], v[202:203]
	v_fma_f64 v[196:197], v[196:197], v[30:31], -v[32:33]
	scratch_load_b128 v[30:33], off, off offset:656
	v_add_f64 v[202:203], v[204:205], v[208:209]
	v_add_f64 v[200:201], v[200:201], v[206:207]
	v_fma_f64 v[206:207], v[4:5], v[34:35], v[210:211]
	v_fma_f64 v[208:209], v[2:3], v[34:35], -v[36:37]
	scratch_load_b128 v[34:37], off, off offset:672
	ds_load_b128 v[2:5], v1 offset:1296
	s_waitcnt vmcnt(9) lgkmcnt(1)
	v_mul_f64 v[204:205], v[192:193], v[190:191]
	v_mul_f64 v[190:191], v[194:195], v[190:191]
	s_waitcnt vmcnt(8) lgkmcnt(0)
	v_mul_f64 v[210:211], v[2:3], v[40:41]
	v_mul_f64 v[40:41], v[4:5], v[40:41]
	v_add_f64 v[202:203], v[202:203], v[196:197]
	v_add_f64 v[200:201], v[200:201], v[198:199]
	ds_load_b128 v[196:199], v1 offset:1312
	v_fma_f64 v[194:195], v[194:195], v[188:189], v[204:205]
	v_fma_f64 v[192:193], v[192:193], v[188:189], -v[190:191]
	scratch_load_b128 v[188:191], off, off offset:688
	v_add_f64 v[202:203], v[202:203], v[208:209]
	v_add_f64 v[200:201], v[200:201], v[206:207]
	v_fma_f64 v[206:207], v[4:5], v[38:39], v[210:211]
	;; [unrolled: 18-line block ×3, first 2 shown]
	v_fma_f64 v[208:209], v[2:3], v[10:11], -v[12:13]
	scratch_load_b128 v[10:13], off, off offset:736
	ds_load_b128 v[2:5], v1 offset:1360
	s_waitcnt vmcnt(9) lgkmcnt(1)
	v_mul_f64 v[204:205], v[192:193], v[16:17]
	v_mul_f64 v[16:17], v[194:195], v[16:17]
	s_waitcnt vmcnt(8) lgkmcnt(0)
	v_mul_f64 v[210:211], v[2:3], v[20:21]
	v_mul_f64 v[20:21], v[4:5], v[20:21]
	v_add_f64 v[202:203], v[202:203], v[196:197]
	v_add_f64 v[200:201], v[200:201], v[198:199]
	ds_load_b128 v[196:199], v1 offset:1376
	v_fma_f64 v[194:195], v[194:195], v[14:15], v[204:205]
	v_fma_f64 v[14:15], v[192:193], v[14:15], -v[16:17]
	v_add_f64 v[16:17], v[202:203], v[208:209]
	v_add_f64 v[192:193], v[200:201], v[206:207]
	s_waitcnt vmcnt(7) lgkmcnt(0)
	v_mul_f64 v[200:201], v[196:197], v[24:25]
	v_mul_f64 v[24:25], v[198:199], v[24:25]
	v_fma_f64 v[202:203], v[4:5], v[18:19], v[210:211]
	v_fma_f64 v[18:19], v[2:3], v[18:19], -v[20:21]
	v_add_f64 v[20:21], v[16:17], v[14:15]
	v_add_f64 v[192:193], v[192:193], v[194:195]
	ds_load_b128 v[2:5], v1 offset:1392
	ds_load_b128 v[14:17], v1 offset:1408
	v_fma_f64 v[198:199], v[198:199], v[22:23], v[200:201]
	v_fma_f64 v[22:23], v[196:197], v[22:23], -v[24:25]
	s_waitcnt vmcnt(6) lgkmcnt(1)
	v_mul_f64 v[194:195], v[2:3], v[28:29]
	v_mul_f64 v[28:29], v[4:5], v[28:29]
	s_waitcnt vmcnt(5) lgkmcnt(0)
	v_mul_f64 v[24:25], v[14:15], v[32:33]
	v_mul_f64 v[32:33], v[16:17], v[32:33]
	v_add_f64 v[18:19], v[20:21], v[18:19]
	v_add_f64 v[20:21], v[192:193], v[202:203]
	v_fma_f64 v[192:193], v[4:5], v[26:27], v[194:195]
	v_fma_f64 v[26:27], v[2:3], v[26:27], -v[28:29]
	v_fma_f64 v[16:17], v[16:17], v[30:31], v[24:25]
	v_fma_f64 v[14:15], v[14:15], v[30:31], -v[32:33]
	v_add_f64 v[22:23], v[18:19], v[22:23]
	v_add_f64 v[28:29], v[20:21], v[198:199]
	ds_load_b128 v[2:5], v1 offset:1424
	ds_load_b128 v[18:21], v1 offset:1440
	s_waitcnt vmcnt(4) lgkmcnt(1)
	v_mul_f64 v[194:195], v[2:3], v[36:37]
	v_mul_f64 v[36:37], v[4:5], v[36:37]
	v_add_f64 v[22:23], v[22:23], v[26:27]
	v_add_f64 v[24:25], v[28:29], v[192:193]
	s_waitcnt vmcnt(3) lgkmcnt(0)
	v_mul_f64 v[26:27], v[18:19], v[190:191]
	v_mul_f64 v[28:29], v[20:21], v[190:191]
	v_fma_f64 v[30:31], v[4:5], v[34:35], v[194:195]
	v_fma_f64 v[32:33], v[2:3], v[34:35], -v[36:37]
	v_add_f64 v[22:23], v[22:23], v[14:15]
	v_add_f64 v[24:25], v[24:25], v[16:17]
	ds_load_b128 v[2:5], v1 offset:1456
	ds_load_b128 v[14:17], v1 offset:1472
	v_fma_f64 v[20:21], v[20:21], v[188:189], v[26:27]
	v_fma_f64 v[18:19], v[18:19], v[188:189], -v[28:29]
	s_waitcnt vmcnt(2) lgkmcnt(1)
	v_mul_f64 v[34:35], v[2:3], v[40:41]
	v_mul_f64 v[36:37], v[4:5], v[40:41]
	s_waitcnt vmcnt(1) lgkmcnt(0)
	v_mul_f64 v[26:27], v[14:15], v[8:9]
	v_mul_f64 v[8:9], v[16:17], v[8:9]
	v_add_f64 v[22:23], v[22:23], v[32:33]
	v_add_f64 v[24:25], v[24:25], v[30:31]
	v_fma_f64 v[28:29], v[4:5], v[38:39], v[34:35]
	v_fma_f64 v[30:31], v[2:3], v[38:39], -v[36:37]
	ds_load_b128 v[2:5], v1 offset:1488
	v_fma_f64 v[16:17], v[16:17], v[6:7], v[26:27]
	v_fma_f64 v[6:7], v[14:15], v[6:7], -v[8:9]
	v_add_f64 v[18:19], v[22:23], v[18:19]
	v_add_f64 v[20:21], v[24:25], v[20:21]
	s_waitcnt vmcnt(0) lgkmcnt(0)
	v_mul_f64 v[22:23], v[2:3], v[12:13]
	v_mul_f64 v[12:13], v[4:5], v[12:13]
	s_delay_alu instid0(VALU_DEP_4) | instskip(NEXT) | instid1(VALU_DEP_4)
	v_add_f64 v[8:9], v[18:19], v[30:31]
	v_add_f64 v[14:15], v[20:21], v[28:29]
	s_delay_alu instid0(VALU_DEP_4) | instskip(NEXT) | instid1(VALU_DEP_4)
	v_fma_f64 v[4:5], v[4:5], v[10:11], v[22:23]
	v_fma_f64 v[2:3], v[2:3], v[10:11], -v[12:13]
	s_delay_alu instid0(VALU_DEP_4) | instskip(NEXT) | instid1(VALU_DEP_4)
	v_add_f64 v[6:7], v[8:9], v[6:7]
	v_add_f64 v[8:9], v[14:15], v[16:17]
	s_delay_alu instid0(VALU_DEP_2) | instskip(NEXT) | instid1(VALU_DEP_2)
	v_add_f64 v[2:3], v[6:7], v[2:3]
	v_add_f64 v[4:5], v[8:9], v[4:5]
	s_delay_alu instid0(VALU_DEP_2) | instskip(NEXT) | instid1(VALU_DEP_2)
	v_add_f64 v[2:3], v[42:43], -v[2:3]
	v_add_f64 v[4:5], v[44:45], -v[4:5]
	scratch_store_b128 off, v[2:5], off offset:208
	v_cmpx_lt_u32_e32 12, v140
	s_cbranch_execz .LBB110_271
; %bb.270:
	scratch_load_b128 v[5:8], v175, off
	v_mov_b32_e32 v2, v1
	v_mov_b32_e32 v3, v1
	;; [unrolled: 1-line block ×3, first 2 shown]
	scratch_store_b128 off, v[1:4], off offset:192
	s_waitcnt vmcnt(0)
	ds_store_b128 v187, v[5:8]
.LBB110_271:
	s_or_b32 exec_lo, exec_lo, s2
	s_waitcnt lgkmcnt(0)
	s_waitcnt_vscnt null, 0x0
	s_barrier
	buffer_gl0_inv
	s_clause 0x8
	scratch_load_b128 v[2:5], off, off offset:208
	scratch_load_b128 v[6:9], off, off offset:224
	scratch_load_b128 v[10:13], off, off offset:240
	scratch_load_b128 v[14:17], off, off offset:256
	scratch_load_b128 v[18:21], off, off offset:272
	scratch_load_b128 v[22:25], off, off offset:288
	scratch_load_b128 v[26:29], off, off offset:304
	scratch_load_b128 v[30:33], off, off offset:320
	scratch_load_b128 v[34:37], off, off offset:336
	ds_load_b128 v[42:45], v1 offset:960
	ds_load_b128 v[38:41], v1 offset:976
	s_clause 0x1
	scratch_load_b128 v[188:191], off, off offset:192
	scratch_load_b128 v[192:195], off, off offset:352
	s_mov_b32 s2, exec_lo
	s_waitcnt vmcnt(10) lgkmcnt(1)
	v_mul_f64 v[196:197], v[44:45], v[4:5]
	v_mul_f64 v[4:5], v[42:43], v[4:5]
	s_waitcnt vmcnt(9) lgkmcnt(0)
	v_mul_f64 v[200:201], v[38:39], v[8:9]
	v_mul_f64 v[8:9], v[40:41], v[8:9]
	s_delay_alu instid0(VALU_DEP_4) | instskip(NEXT) | instid1(VALU_DEP_4)
	v_fma_f64 v[202:203], v[42:43], v[2:3], -v[196:197]
	v_fma_f64 v[204:205], v[44:45], v[2:3], v[4:5]
	ds_load_b128 v[2:5], v1 offset:992
	ds_load_b128 v[196:199], v1 offset:1008
	scratch_load_b128 v[42:45], off, off offset:368
	v_fma_f64 v[40:41], v[40:41], v[6:7], v[200:201]
	v_fma_f64 v[38:39], v[38:39], v[6:7], -v[8:9]
	scratch_load_b128 v[6:9], off, off offset:384
	s_waitcnt vmcnt(10) lgkmcnt(1)
	v_mul_f64 v[206:207], v[2:3], v[12:13]
	v_mul_f64 v[12:13], v[4:5], v[12:13]
	v_add_f64 v[200:201], v[202:203], 0
	v_add_f64 v[202:203], v[204:205], 0
	s_waitcnt vmcnt(9) lgkmcnt(0)
	v_mul_f64 v[204:205], v[196:197], v[16:17]
	v_mul_f64 v[16:17], v[198:199], v[16:17]
	v_fma_f64 v[206:207], v[4:5], v[10:11], v[206:207]
	v_fma_f64 v[208:209], v[2:3], v[10:11], -v[12:13]
	ds_load_b128 v[2:5], v1 offset:1024
	scratch_load_b128 v[10:13], off, off offset:400
	v_add_f64 v[200:201], v[200:201], v[38:39]
	v_add_f64 v[202:203], v[202:203], v[40:41]
	ds_load_b128 v[38:41], v1 offset:1040
	v_fma_f64 v[198:199], v[198:199], v[14:15], v[204:205]
	v_fma_f64 v[196:197], v[196:197], v[14:15], -v[16:17]
	scratch_load_b128 v[14:17], off, off offset:416
	s_waitcnt vmcnt(10) lgkmcnt(1)
	v_mul_f64 v[210:211], v[2:3], v[20:21]
	v_mul_f64 v[20:21], v[4:5], v[20:21]
	s_waitcnt vmcnt(9) lgkmcnt(0)
	v_mul_f64 v[204:205], v[38:39], v[24:25]
	v_mul_f64 v[24:25], v[40:41], v[24:25]
	v_add_f64 v[200:201], v[200:201], v[208:209]
	v_add_f64 v[202:203], v[202:203], v[206:207]
	v_fma_f64 v[206:207], v[4:5], v[18:19], v[210:211]
	v_fma_f64 v[208:209], v[2:3], v[18:19], -v[20:21]
	ds_load_b128 v[2:5], v1 offset:1056
	scratch_load_b128 v[18:21], off, off offset:432
	v_fma_f64 v[40:41], v[40:41], v[22:23], v[204:205]
	v_fma_f64 v[38:39], v[38:39], v[22:23], -v[24:25]
	scratch_load_b128 v[22:25], off, off offset:448
	v_add_f64 v[200:201], v[200:201], v[196:197]
	v_add_f64 v[202:203], v[202:203], v[198:199]
	ds_load_b128 v[196:199], v1 offset:1072
	s_waitcnt vmcnt(10) lgkmcnt(1)
	v_mul_f64 v[210:211], v[2:3], v[28:29]
	v_mul_f64 v[28:29], v[4:5], v[28:29]
	s_waitcnt vmcnt(9) lgkmcnt(0)
	v_mul_f64 v[204:205], v[196:197], v[32:33]
	v_mul_f64 v[32:33], v[198:199], v[32:33]
	v_add_f64 v[200:201], v[200:201], v[208:209]
	v_add_f64 v[202:203], v[202:203], v[206:207]
	v_fma_f64 v[206:207], v[4:5], v[26:27], v[210:211]
	v_fma_f64 v[208:209], v[2:3], v[26:27], -v[28:29]
	ds_load_b128 v[2:5], v1 offset:1088
	scratch_load_b128 v[26:29], off, off offset:464
	v_fma_f64 v[198:199], v[198:199], v[30:31], v[204:205]
	v_fma_f64 v[196:197], v[196:197], v[30:31], -v[32:33]
	scratch_load_b128 v[30:33], off, off offset:480
	v_add_f64 v[200:201], v[200:201], v[38:39]
	v_add_f64 v[202:203], v[202:203], v[40:41]
	ds_load_b128 v[38:41], v1 offset:1104
	s_waitcnt vmcnt(10) lgkmcnt(1)
	v_mul_f64 v[210:211], v[2:3], v[36:37]
	v_mul_f64 v[36:37], v[4:5], v[36:37]
	s_waitcnt vmcnt(8) lgkmcnt(0)
	v_mul_f64 v[204:205], v[38:39], v[194:195]
	v_add_f64 v[200:201], v[200:201], v[208:209]
	v_add_f64 v[202:203], v[202:203], v[206:207]
	v_mul_f64 v[206:207], v[40:41], v[194:195]
	v_fma_f64 v[208:209], v[4:5], v[34:35], v[210:211]
	v_fma_f64 v[210:211], v[2:3], v[34:35], -v[36:37]
	ds_load_b128 v[2:5], v1 offset:1120
	scratch_load_b128 v[34:37], off, off offset:496
	v_fma_f64 v[204:205], v[40:41], v[192:193], v[204:205]
	v_add_f64 v[200:201], v[200:201], v[196:197]
	v_add_f64 v[198:199], v[202:203], v[198:199]
	ds_load_b128 v[194:197], v1 offset:1136
	v_fma_f64 v[192:193], v[38:39], v[192:193], -v[206:207]
	scratch_load_b128 v[38:41], off, off offset:512
	s_waitcnt vmcnt(9) lgkmcnt(1)
	v_mul_f64 v[202:203], v[2:3], v[44:45]
	v_mul_f64 v[44:45], v[4:5], v[44:45]
	s_waitcnt vmcnt(8) lgkmcnt(0)
	v_mul_f64 v[206:207], v[194:195], v[8:9]
	v_mul_f64 v[8:9], v[196:197], v[8:9]
	v_add_f64 v[200:201], v[200:201], v[210:211]
	v_add_f64 v[198:199], v[198:199], v[208:209]
	v_fma_f64 v[202:203], v[4:5], v[42:43], v[202:203]
	v_fma_f64 v[208:209], v[2:3], v[42:43], -v[44:45]
	ds_load_b128 v[2:5], v1 offset:1152
	scratch_load_b128 v[42:45], off, off offset:528
	v_fma_f64 v[196:197], v[196:197], v[6:7], v[206:207]
	v_fma_f64 v[194:195], v[194:195], v[6:7], -v[8:9]
	scratch_load_b128 v[6:9], off, off offset:544
	v_add_f64 v[192:193], v[200:201], v[192:193]
	v_add_f64 v[204:205], v[198:199], v[204:205]
	ds_load_b128 v[198:201], v1 offset:1168
	s_waitcnt vmcnt(9) lgkmcnt(1)
	v_mul_f64 v[210:211], v[2:3], v[12:13]
	v_mul_f64 v[12:13], v[4:5], v[12:13]
	v_add_f64 v[192:193], v[192:193], v[208:209]
	v_add_f64 v[202:203], v[204:205], v[202:203]
	s_waitcnt vmcnt(8) lgkmcnt(0)
	v_mul_f64 v[204:205], v[198:199], v[16:17]
	v_mul_f64 v[16:17], v[200:201], v[16:17]
	v_fma_f64 v[206:207], v[4:5], v[10:11], v[210:211]
	v_fma_f64 v[208:209], v[2:3], v[10:11], -v[12:13]
	ds_load_b128 v[2:5], v1 offset:1184
	scratch_load_b128 v[10:13], off, off offset:560
	v_add_f64 v[210:211], v[192:193], v[194:195]
	v_add_f64 v[196:197], v[202:203], v[196:197]
	ds_load_b128 v[192:195], v1 offset:1200
	s_waitcnt vmcnt(8) lgkmcnt(1)
	v_mul_f64 v[202:203], v[2:3], v[20:21]
	v_mul_f64 v[20:21], v[4:5], v[20:21]
	v_fma_f64 v[200:201], v[200:201], v[14:15], v[204:205]
	v_fma_f64 v[198:199], v[198:199], v[14:15], -v[16:17]
	scratch_load_b128 v[14:17], off, off offset:576
	v_add_f64 v[204:205], v[210:211], v[208:209]
	v_add_f64 v[196:197], v[196:197], v[206:207]
	s_waitcnt vmcnt(8) lgkmcnt(0)
	v_mul_f64 v[206:207], v[192:193], v[24:25]
	v_mul_f64 v[24:25], v[194:195], v[24:25]
	v_fma_f64 v[202:203], v[4:5], v[18:19], v[202:203]
	v_fma_f64 v[208:209], v[2:3], v[18:19], -v[20:21]
	ds_load_b128 v[2:5], v1 offset:1216
	scratch_load_b128 v[18:21], off, off offset:592
	v_add_f64 v[204:205], v[204:205], v[198:199]
	v_add_f64 v[200:201], v[196:197], v[200:201]
	ds_load_b128 v[196:199], v1 offset:1232
	s_waitcnt vmcnt(8) lgkmcnt(1)
	v_mul_f64 v[210:211], v[2:3], v[28:29]
	v_mul_f64 v[28:29], v[4:5], v[28:29]
	v_fma_f64 v[194:195], v[194:195], v[22:23], v[206:207]
	v_fma_f64 v[192:193], v[192:193], v[22:23], -v[24:25]
	scratch_load_b128 v[22:25], off, off offset:608
	;; [unrolled: 18-line block ×4, first 2 shown]
	s_waitcnt vmcnt(8) lgkmcnt(0)
	v_mul_f64 v[204:205], v[196:197], v[8:9]
	v_mul_f64 v[8:9], v[198:199], v[8:9]
	v_add_f64 v[202:203], v[202:203], v[208:209]
	v_add_f64 v[200:201], v[200:201], v[206:207]
	v_fma_f64 v[206:207], v[4:5], v[42:43], v[210:211]
	v_fma_f64 v[208:209], v[2:3], v[42:43], -v[44:45]
	ds_load_b128 v[2:5], v1 offset:1312
	scratch_load_b128 v[42:45], off, off offset:688
	v_fma_f64 v[198:199], v[198:199], v[6:7], v[204:205]
	v_fma_f64 v[196:197], v[196:197], v[6:7], -v[8:9]
	scratch_load_b128 v[6:9], off, off offset:704
	v_add_f64 v[202:203], v[202:203], v[192:193]
	v_add_f64 v[200:201], v[200:201], v[194:195]
	ds_load_b128 v[192:195], v1 offset:1328
	s_waitcnt vmcnt(9) lgkmcnt(1)
	v_mul_f64 v[210:211], v[2:3], v[12:13]
	v_mul_f64 v[12:13], v[4:5], v[12:13]
	s_waitcnt vmcnt(8) lgkmcnt(0)
	v_mul_f64 v[204:205], v[192:193], v[16:17]
	v_mul_f64 v[16:17], v[194:195], v[16:17]
	v_add_f64 v[202:203], v[202:203], v[208:209]
	v_add_f64 v[200:201], v[200:201], v[206:207]
	v_fma_f64 v[206:207], v[4:5], v[10:11], v[210:211]
	v_fma_f64 v[208:209], v[2:3], v[10:11], -v[12:13]
	ds_load_b128 v[2:5], v1 offset:1344
	scratch_load_b128 v[10:13], off, off offset:720
	v_fma_f64 v[194:195], v[194:195], v[14:15], v[204:205]
	v_fma_f64 v[192:193], v[192:193], v[14:15], -v[16:17]
	scratch_load_b128 v[14:17], off, off offset:736
	v_add_f64 v[202:203], v[202:203], v[196:197]
	v_add_f64 v[200:201], v[200:201], v[198:199]
	ds_load_b128 v[196:199], v1 offset:1360
	s_waitcnt vmcnt(9) lgkmcnt(1)
	v_mul_f64 v[210:211], v[2:3], v[20:21]
	v_mul_f64 v[20:21], v[4:5], v[20:21]
	s_waitcnt vmcnt(8) lgkmcnt(0)
	v_mul_f64 v[204:205], v[196:197], v[24:25]
	v_mul_f64 v[24:25], v[198:199], v[24:25]
	v_add_f64 v[202:203], v[202:203], v[208:209]
	v_add_f64 v[200:201], v[200:201], v[206:207]
	v_fma_f64 v[206:207], v[4:5], v[18:19], v[210:211]
	v_fma_f64 v[208:209], v[2:3], v[18:19], -v[20:21]
	ds_load_b128 v[2:5], v1 offset:1376
	ds_load_b128 v[18:21], v1 offset:1392
	v_fma_f64 v[198:199], v[198:199], v[22:23], v[204:205]
	v_fma_f64 v[22:23], v[196:197], v[22:23], -v[24:25]
	v_add_f64 v[192:193], v[202:203], v[192:193]
	v_add_f64 v[194:195], v[200:201], v[194:195]
	s_waitcnt vmcnt(7) lgkmcnt(1)
	v_mul_f64 v[200:201], v[2:3], v[28:29]
	v_mul_f64 v[28:29], v[4:5], v[28:29]
	s_delay_alu instid0(VALU_DEP_4) | instskip(NEXT) | instid1(VALU_DEP_4)
	v_add_f64 v[24:25], v[192:193], v[208:209]
	v_add_f64 v[192:193], v[194:195], v[206:207]
	s_waitcnt vmcnt(6) lgkmcnt(0)
	v_mul_f64 v[194:195], v[18:19], v[32:33]
	v_mul_f64 v[32:33], v[20:21], v[32:33]
	v_fma_f64 v[196:197], v[4:5], v[26:27], v[200:201]
	v_fma_f64 v[26:27], v[2:3], v[26:27], -v[28:29]
	v_add_f64 v[28:29], v[24:25], v[22:23]
	v_add_f64 v[192:193], v[192:193], v[198:199]
	ds_load_b128 v[2:5], v1 offset:1408
	ds_load_b128 v[22:25], v1 offset:1424
	v_fma_f64 v[20:21], v[20:21], v[30:31], v[194:195]
	v_fma_f64 v[18:19], v[18:19], v[30:31], -v[32:33]
	s_waitcnt vmcnt(5) lgkmcnt(1)
	v_mul_f64 v[198:199], v[2:3], v[36:37]
	v_mul_f64 v[36:37], v[4:5], v[36:37]
	s_waitcnt vmcnt(4) lgkmcnt(0)
	v_mul_f64 v[30:31], v[22:23], v[40:41]
	v_mul_f64 v[32:33], v[24:25], v[40:41]
	v_add_f64 v[26:27], v[28:29], v[26:27]
	v_add_f64 v[28:29], v[192:193], v[196:197]
	v_fma_f64 v[40:41], v[4:5], v[34:35], v[198:199]
	v_fma_f64 v[34:35], v[2:3], v[34:35], -v[36:37]
	v_fma_f64 v[24:25], v[24:25], v[38:39], v[30:31]
	v_fma_f64 v[22:23], v[22:23], v[38:39], -v[32:33]
	v_add_f64 v[26:27], v[26:27], v[18:19]
	v_add_f64 v[28:29], v[28:29], v[20:21]
	ds_load_b128 v[2:5], v1 offset:1440
	ds_load_b128 v[18:21], v1 offset:1456
	s_waitcnt vmcnt(3) lgkmcnt(1)
	v_mul_f64 v[36:37], v[2:3], v[44:45]
	v_mul_f64 v[44:45], v[4:5], v[44:45]
	s_waitcnt vmcnt(2) lgkmcnt(0)
	v_mul_f64 v[30:31], v[18:19], v[8:9]
	v_mul_f64 v[8:9], v[20:21], v[8:9]
	v_add_f64 v[26:27], v[26:27], v[34:35]
	v_add_f64 v[28:29], v[28:29], v[40:41]
	v_fma_f64 v[32:33], v[4:5], v[42:43], v[36:37]
	v_fma_f64 v[34:35], v[2:3], v[42:43], -v[44:45]
	v_fma_f64 v[20:21], v[20:21], v[6:7], v[30:31]
	v_fma_f64 v[6:7], v[18:19], v[6:7], -v[8:9]
	v_add_f64 v[26:27], v[26:27], v[22:23]
	v_add_f64 v[28:29], v[28:29], v[24:25]
	ds_load_b128 v[2:5], v1 offset:1472
	ds_load_b128 v[22:25], v1 offset:1488
	s_waitcnt vmcnt(1) lgkmcnt(1)
	v_mul_f64 v[36:37], v[2:3], v[12:13]
	v_mul_f64 v[12:13], v[4:5], v[12:13]
	v_add_f64 v[8:9], v[26:27], v[34:35]
	v_add_f64 v[18:19], v[28:29], v[32:33]
	s_waitcnt vmcnt(0) lgkmcnt(0)
	v_mul_f64 v[26:27], v[22:23], v[16:17]
	v_mul_f64 v[16:17], v[24:25], v[16:17]
	v_fma_f64 v[4:5], v[4:5], v[10:11], v[36:37]
	v_fma_f64 v[1:2], v[2:3], v[10:11], -v[12:13]
	v_add_f64 v[6:7], v[8:9], v[6:7]
	v_add_f64 v[8:9], v[18:19], v[20:21]
	v_fma_f64 v[10:11], v[24:25], v[14:15], v[26:27]
	v_fma_f64 v[12:13], v[22:23], v[14:15], -v[16:17]
	s_delay_alu instid0(VALU_DEP_4) | instskip(NEXT) | instid1(VALU_DEP_4)
	v_add_f64 v[1:2], v[6:7], v[1:2]
	v_add_f64 v[3:4], v[8:9], v[4:5]
	s_delay_alu instid0(VALU_DEP_2) | instskip(NEXT) | instid1(VALU_DEP_2)
	v_add_f64 v[1:2], v[1:2], v[12:13]
	v_add_f64 v[3:4], v[3:4], v[10:11]
	s_delay_alu instid0(VALU_DEP_2) | instskip(NEXT) | instid1(VALU_DEP_2)
	v_add_f64 v[1:2], v[188:189], -v[1:2]
	v_add_f64 v[3:4], v[190:191], -v[3:4]
	scratch_store_b128 off, v[1:4], off offset:192
	v_cmpx_lt_u32_e32 11, v140
	s_cbranch_execz .LBB110_273
; %bb.272:
	scratch_load_b128 v[1:4], v176, off
	v_mov_b32_e32 v5, 0
	s_delay_alu instid0(VALU_DEP_1)
	v_mov_b32_e32 v6, v5
	v_mov_b32_e32 v7, v5
	;; [unrolled: 1-line block ×3, first 2 shown]
	scratch_store_b128 off, v[5:8], off offset:176
	s_waitcnt vmcnt(0)
	ds_store_b128 v187, v[1:4]
.LBB110_273:
	s_or_b32 exec_lo, exec_lo, s2
	s_waitcnt lgkmcnt(0)
	s_waitcnt_vscnt null, 0x0
	s_barrier
	buffer_gl0_inv
	s_clause 0x7
	scratch_load_b128 v[2:5], off, off offset:192
	scratch_load_b128 v[6:9], off, off offset:208
	;; [unrolled: 1-line block ×8, first 2 shown]
	v_mov_b32_e32 v1, 0
	s_mov_b32 s2, exec_lo
	ds_load_b128 v[38:41], v1 offset:944
	s_clause 0x1
	scratch_load_b128 v[34:37], off, off offset:320
	scratch_load_b128 v[42:45], off, off offset:176
	ds_load_b128 v[188:191], v1 offset:960
	scratch_load_b128 v[192:195], off, off offset:336
	s_waitcnt vmcnt(10) lgkmcnt(1)
	v_mul_f64 v[196:197], v[40:41], v[4:5]
	v_mul_f64 v[4:5], v[38:39], v[4:5]
	s_delay_alu instid0(VALU_DEP_2) | instskip(NEXT) | instid1(VALU_DEP_2)
	v_fma_f64 v[202:203], v[38:39], v[2:3], -v[196:197]
	v_fma_f64 v[204:205], v[40:41], v[2:3], v[4:5]
	scratch_load_b128 v[38:41], off, off offset:352
	ds_load_b128 v[2:5], v1 offset:976
	s_waitcnt vmcnt(10) lgkmcnt(1)
	v_mul_f64 v[200:201], v[188:189], v[8:9]
	v_mul_f64 v[8:9], v[190:191], v[8:9]
	ds_load_b128 v[196:199], v1 offset:992
	s_waitcnt vmcnt(9) lgkmcnt(1)
	v_mul_f64 v[206:207], v[2:3], v[12:13]
	v_mul_f64 v[12:13], v[4:5], v[12:13]
	v_fma_f64 v[190:191], v[190:191], v[6:7], v[200:201]
	v_fma_f64 v[188:189], v[188:189], v[6:7], -v[8:9]
	v_add_f64 v[200:201], v[202:203], 0
	v_add_f64 v[202:203], v[204:205], 0
	scratch_load_b128 v[6:9], off, off offset:368
	v_fma_f64 v[206:207], v[4:5], v[10:11], v[206:207]
	v_fma_f64 v[208:209], v[2:3], v[10:11], -v[12:13]
	scratch_load_b128 v[10:13], off, off offset:384
	ds_load_b128 v[2:5], v1 offset:1008
	s_waitcnt vmcnt(10) lgkmcnt(1)
	v_mul_f64 v[204:205], v[196:197], v[16:17]
	v_mul_f64 v[16:17], v[198:199], v[16:17]
	v_add_f64 v[200:201], v[200:201], v[188:189]
	v_add_f64 v[202:203], v[202:203], v[190:191]
	s_waitcnt vmcnt(9) lgkmcnt(0)
	v_mul_f64 v[210:211], v[2:3], v[20:21]
	v_mul_f64 v[20:21], v[4:5], v[20:21]
	ds_load_b128 v[188:191], v1 offset:1024
	v_fma_f64 v[198:199], v[198:199], v[14:15], v[204:205]
	v_fma_f64 v[196:197], v[196:197], v[14:15], -v[16:17]
	scratch_load_b128 v[14:17], off, off offset:400
	v_add_f64 v[200:201], v[200:201], v[208:209]
	v_add_f64 v[202:203], v[202:203], v[206:207]
	v_fma_f64 v[206:207], v[4:5], v[18:19], v[210:211]
	v_fma_f64 v[208:209], v[2:3], v[18:19], -v[20:21]
	scratch_load_b128 v[18:21], off, off offset:416
	ds_load_b128 v[2:5], v1 offset:1040
	s_waitcnt vmcnt(10) lgkmcnt(1)
	v_mul_f64 v[204:205], v[188:189], v[24:25]
	v_mul_f64 v[24:25], v[190:191], v[24:25]
	s_waitcnt vmcnt(9) lgkmcnt(0)
	v_mul_f64 v[210:211], v[2:3], v[28:29]
	v_mul_f64 v[28:29], v[4:5], v[28:29]
	v_add_f64 v[200:201], v[200:201], v[196:197]
	v_add_f64 v[202:203], v[202:203], v[198:199]
	ds_load_b128 v[196:199], v1 offset:1056
	v_fma_f64 v[190:191], v[190:191], v[22:23], v[204:205]
	v_fma_f64 v[188:189], v[188:189], v[22:23], -v[24:25]
	scratch_load_b128 v[22:25], off, off offset:432
	v_add_f64 v[200:201], v[200:201], v[208:209]
	v_add_f64 v[202:203], v[202:203], v[206:207]
	v_fma_f64 v[206:207], v[4:5], v[26:27], v[210:211]
	v_fma_f64 v[208:209], v[2:3], v[26:27], -v[28:29]
	scratch_load_b128 v[26:29], off, off offset:448
	ds_load_b128 v[2:5], v1 offset:1072
	s_waitcnt vmcnt(10) lgkmcnt(1)
	v_mul_f64 v[204:205], v[196:197], v[32:33]
	v_mul_f64 v[32:33], v[198:199], v[32:33]
	s_waitcnt vmcnt(9) lgkmcnt(0)
	v_mul_f64 v[210:211], v[2:3], v[36:37]
	v_mul_f64 v[36:37], v[4:5], v[36:37]
	v_add_f64 v[200:201], v[200:201], v[188:189]
	v_add_f64 v[202:203], v[202:203], v[190:191]
	ds_load_b128 v[188:191], v1 offset:1088
	v_fma_f64 v[198:199], v[198:199], v[30:31], v[204:205]
	v_fma_f64 v[196:197], v[196:197], v[30:31], -v[32:33]
	scratch_load_b128 v[30:33], off, off offset:464
	v_add_f64 v[200:201], v[200:201], v[208:209]
	v_add_f64 v[202:203], v[202:203], v[206:207]
	v_fma_f64 v[208:209], v[4:5], v[34:35], v[210:211]
	v_fma_f64 v[210:211], v[2:3], v[34:35], -v[36:37]
	scratch_load_b128 v[34:37], off, off offset:480
	ds_load_b128 v[2:5], v1 offset:1104
	s_waitcnt vmcnt(9) lgkmcnt(1)
	v_mul_f64 v[204:205], v[188:189], v[194:195]
	v_mul_f64 v[206:207], v[190:191], v[194:195]
	v_add_f64 v[200:201], v[200:201], v[196:197]
	v_add_f64 v[198:199], v[202:203], v[198:199]
	ds_load_b128 v[194:197], v1 offset:1120
	v_fma_f64 v[204:205], v[190:191], v[192:193], v[204:205]
	v_fma_f64 v[192:193], v[188:189], v[192:193], -v[206:207]
	scratch_load_b128 v[188:191], off, off offset:496
	s_waitcnt vmcnt(9) lgkmcnt(1)
	v_mul_f64 v[202:203], v[2:3], v[40:41]
	v_mul_f64 v[40:41], v[4:5], v[40:41]
	v_add_f64 v[200:201], v[200:201], v[210:211]
	v_add_f64 v[198:199], v[198:199], v[208:209]
	s_delay_alu instid0(VALU_DEP_4) | instskip(NEXT) | instid1(VALU_DEP_4)
	v_fma_f64 v[202:203], v[4:5], v[38:39], v[202:203]
	v_fma_f64 v[208:209], v[2:3], v[38:39], -v[40:41]
	scratch_load_b128 v[38:41], off, off offset:512
	ds_load_b128 v[2:5], v1 offset:1136
	s_waitcnt vmcnt(9) lgkmcnt(1)
	v_mul_f64 v[206:207], v[194:195], v[8:9]
	v_mul_f64 v[8:9], v[196:197], v[8:9]
	s_waitcnt vmcnt(8) lgkmcnt(0)
	v_mul_f64 v[210:211], v[2:3], v[12:13]
	v_mul_f64 v[12:13], v[4:5], v[12:13]
	v_add_f64 v[192:193], v[200:201], v[192:193]
	v_add_f64 v[204:205], v[198:199], v[204:205]
	ds_load_b128 v[198:201], v1 offset:1152
	v_fma_f64 v[196:197], v[196:197], v[6:7], v[206:207]
	v_fma_f64 v[194:195], v[194:195], v[6:7], -v[8:9]
	scratch_load_b128 v[6:9], off, off offset:528
	v_fma_f64 v[206:207], v[4:5], v[10:11], v[210:211]
	v_add_f64 v[192:193], v[192:193], v[208:209]
	v_add_f64 v[202:203], v[204:205], v[202:203]
	v_fma_f64 v[208:209], v[2:3], v[10:11], -v[12:13]
	scratch_load_b128 v[10:13], off, off offset:544
	ds_load_b128 v[2:5], v1 offset:1168
	s_waitcnt vmcnt(9) lgkmcnt(1)
	v_mul_f64 v[204:205], v[198:199], v[16:17]
	v_mul_f64 v[16:17], v[200:201], v[16:17]
	v_add_f64 v[210:211], v[192:193], v[194:195]
	v_add_f64 v[196:197], v[202:203], v[196:197]
	s_waitcnt vmcnt(8) lgkmcnt(0)
	v_mul_f64 v[202:203], v[2:3], v[20:21]
	v_mul_f64 v[20:21], v[4:5], v[20:21]
	ds_load_b128 v[192:195], v1 offset:1184
	v_fma_f64 v[200:201], v[200:201], v[14:15], v[204:205]
	v_fma_f64 v[198:199], v[198:199], v[14:15], -v[16:17]
	scratch_load_b128 v[14:17], off, off offset:560
	v_add_f64 v[204:205], v[210:211], v[208:209]
	v_add_f64 v[196:197], v[196:197], v[206:207]
	v_fma_f64 v[202:203], v[4:5], v[18:19], v[202:203]
	v_fma_f64 v[208:209], v[2:3], v[18:19], -v[20:21]
	scratch_load_b128 v[18:21], off, off offset:576
	ds_load_b128 v[2:5], v1 offset:1200
	s_waitcnt vmcnt(9) lgkmcnt(1)
	v_mul_f64 v[206:207], v[192:193], v[24:25]
	v_mul_f64 v[24:25], v[194:195], v[24:25]
	s_waitcnt vmcnt(8) lgkmcnt(0)
	v_mul_f64 v[210:211], v[2:3], v[28:29]
	v_mul_f64 v[28:29], v[4:5], v[28:29]
	v_add_f64 v[204:205], v[204:205], v[198:199]
	v_add_f64 v[200:201], v[196:197], v[200:201]
	ds_load_b128 v[196:199], v1 offset:1216
	v_fma_f64 v[194:195], v[194:195], v[22:23], v[206:207]
	v_fma_f64 v[192:193], v[192:193], v[22:23], -v[24:25]
	scratch_load_b128 v[22:25], off, off offset:592
	v_fma_f64 v[206:207], v[4:5], v[26:27], v[210:211]
	v_add_f64 v[204:205], v[204:205], v[208:209]
	v_add_f64 v[200:201], v[200:201], v[202:203]
	v_fma_f64 v[208:209], v[2:3], v[26:27], -v[28:29]
	scratch_load_b128 v[26:29], off, off offset:608
	ds_load_b128 v[2:5], v1 offset:1232
	s_waitcnt vmcnt(9) lgkmcnt(1)
	v_mul_f64 v[202:203], v[196:197], v[32:33]
	v_mul_f64 v[32:33], v[198:199], v[32:33]
	s_waitcnt vmcnt(8) lgkmcnt(0)
	v_mul_f64 v[210:211], v[2:3], v[36:37]
	v_mul_f64 v[36:37], v[4:5], v[36:37]
	v_add_f64 v[204:205], v[204:205], v[192:193]
	v_add_f64 v[200:201], v[200:201], v[194:195]
	ds_load_b128 v[192:195], v1 offset:1248
	v_fma_f64 v[198:199], v[198:199], v[30:31], v[202:203]
	v_fma_f64 v[196:197], v[196:197], v[30:31], -v[32:33]
	scratch_load_b128 v[30:33], off, off offset:624
	v_add_f64 v[202:203], v[204:205], v[208:209]
	v_add_f64 v[200:201], v[200:201], v[206:207]
	v_fma_f64 v[206:207], v[4:5], v[34:35], v[210:211]
	v_fma_f64 v[208:209], v[2:3], v[34:35], -v[36:37]
	scratch_load_b128 v[34:37], off, off offset:640
	ds_load_b128 v[2:5], v1 offset:1264
	s_waitcnt vmcnt(9) lgkmcnt(1)
	v_mul_f64 v[204:205], v[192:193], v[190:191]
	v_mul_f64 v[190:191], v[194:195], v[190:191]
	s_waitcnt vmcnt(8) lgkmcnt(0)
	v_mul_f64 v[210:211], v[2:3], v[40:41]
	v_mul_f64 v[40:41], v[4:5], v[40:41]
	v_add_f64 v[202:203], v[202:203], v[196:197]
	v_add_f64 v[200:201], v[200:201], v[198:199]
	ds_load_b128 v[196:199], v1 offset:1280
	v_fma_f64 v[194:195], v[194:195], v[188:189], v[204:205]
	v_fma_f64 v[192:193], v[192:193], v[188:189], -v[190:191]
	scratch_load_b128 v[188:191], off, off offset:656
	v_add_f64 v[202:203], v[202:203], v[208:209]
	v_add_f64 v[200:201], v[200:201], v[206:207]
	v_fma_f64 v[206:207], v[4:5], v[38:39], v[210:211]
	;; [unrolled: 18-line block ×4, first 2 shown]
	v_fma_f64 v[208:209], v[2:3], v[18:19], -v[20:21]
	scratch_load_b128 v[18:21], off, off offset:736
	ds_load_b128 v[2:5], v1 offset:1360
	s_waitcnt vmcnt(9) lgkmcnt(1)
	v_mul_f64 v[204:205], v[196:197], v[24:25]
	v_mul_f64 v[24:25], v[198:199], v[24:25]
	s_waitcnt vmcnt(8) lgkmcnt(0)
	v_mul_f64 v[210:211], v[2:3], v[28:29]
	v_mul_f64 v[28:29], v[4:5], v[28:29]
	v_add_f64 v[202:203], v[202:203], v[192:193]
	v_add_f64 v[200:201], v[200:201], v[194:195]
	ds_load_b128 v[192:195], v1 offset:1376
	v_fma_f64 v[198:199], v[198:199], v[22:23], v[204:205]
	v_fma_f64 v[22:23], v[196:197], v[22:23], -v[24:25]
	v_add_f64 v[24:25], v[202:203], v[208:209]
	v_add_f64 v[196:197], v[200:201], v[206:207]
	s_waitcnt vmcnt(7) lgkmcnt(0)
	v_mul_f64 v[200:201], v[192:193], v[32:33]
	v_mul_f64 v[32:33], v[194:195], v[32:33]
	v_fma_f64 v[202:203], v[4:5], v[26:27], v[210:211]
	v_fma_f64 v[26:27], v[2:3], v[26:27], -v[28:29]
	v_add_f64 v[28:29], v[24:25], v[22:23]
	v_add_f64 v[196:197], v[196:197], v[198:199]
	ds_load_b128 v[2:5], v1 offset:1392
	ds_load_b128 v[22:25], v1 offset:1408
	v_fma_f64 v[194:195], v[194:195], v[30:31], v[200:201]
	v_fma_f64 v[30:31], v[192:193], v[30:31], -v[32:33]
	s_waitcnt vmcnt(6) lgkmcnt(1)
	v_mul_f64 v[198:199], v[2:3], v[36:37]
	v_mul_f64 v[36:37], v[4:5], v[36:37]
	s_waitcnt vmcnt(5) lgkmcnt(0)
	v_mul_f64 v[32:33], v[22:23], v[190:191]
	v_mul_f64 v[190:191], v[24:25], v[190:191]
	v_add_f64 v[26:27], v[28:29], v[26:27]
	v_add_f64 v[28:29], v[196:197], v[202:203]
	v_fma_f64 v[192:193], v[4:5], v[34:35], v[198:199]
	v_fma_f64 v[34:35], v[2:3], v[34:35], -v[36:37]
	v_fma_f64 v[24:25], v[24:25], v[188:189], v[32:33]
	v_fma_f64 v[22:23], v[22:23], v[188:189], -v[190:191]
	v_add_f64 v[30:31], v[26:27], v[30:31]
	v_add_f64 v[36:37], v[28:29], v[194:195]
	ds_load_b128 v[2:5], v1 offset:1424
	ds_load_b128 v[26:29], v1 offset:1440
	s_waitcnt vmcnt(4) lgkmcnt(1)
	v_mul_f64 v[194:195], v[2:3], v[40:41]
	v_mul_f64 v[40:41], v[4:5], v[40:41]
	v_add_f64 v[30:31], v[30:31], v[34:35]
	v_add_f64 v[32:33], v[36:37], v[192:193]
	s_waitcnt vmcnt(3) lgkmcnt(0)
	v_mul_f64 v[34:35], v[26:27], v[8:9]
	v_mul_f64 v[8:9], v[28:29], v[8:9]
	v_fma_f64 v[36:37], v[4:5], v[38:39], v[194:195]
	v_fma_f64 v[38:39], v[2:3], v[38:39], -v[40:41]
	v_add_f64 v[30:31], v[30:31], v[22:23]
	v_add_f64 v[32:33], v[32:33], v[24:25]
	ds_load_b128 v[2:5], v1 offset:1456
	ds_load_b128 v[22:25], v1 offset:1472
	v_fma_f64 v[28:29], v[28:29], v[6:7], v[34:35]
	v_fma_f64 v[6:7], v[26:27], v[6:7], -v[8:9]
	s_waitcnt vmcnt(2) lgkmcnt(1)
	v_mul_f64 v[40:41], v[2:3], v[12:13]
	v_mul_f64 v[12:13], v[4:5], v[12:13]
	v_add_f64 v[8:9], v[30:31], v[38:39]
	v_add_f64 v[26:27], v[32:33], v[36:37]
	s_waitcnt vmcnt(1) lgkmcnt(0)
	v_mul_f64 v[30:31], v[22:23], v[16:17]
	v_mul_f64 v[16:17], v[24:25], v[16:17]
	v_fma_f64 v[32:33], v[4:5], v[10:11], v[40:41]
	v_fma_f64 v[10:11], v[2:3], v[10:11], -v[12:13]
	ds_load_b128 v[2:5], v1 offset:1488
	v_add_f64 v[6:7], v[8:9], v[6:7]
	v_add_f64 v[8:9], v[26:27], v[28:29]
	v_fma_f64 v[24:25], v[24:25], v[14:15], v[30:31]
	v_fma_f64 v[14:15], v[22:23], v[14:15], -v[16:17]
	s_waitcnt vmcnt(0) lgkmcnt(0)
	v_mul_f64 v[12:13], v[2:3], v[20:21]
	v_mul_f64 v[20:21], v[4:5], v[20:21]
	v_add_f64 v[6:7], v[6:7], v[10:11]
	v_add_f64 v[8:9], v[8:9], v[32:33]
	s_delay_alu instid0(VALU_DEP_4) | instskip(NEXT) | instid1(VALU_DEP_4)
	v_fma_f64 v[4:5], v[4:5], v[18:19], v[12:13]
	v_fma_f64 v[2:3], v[2:3], v[18:19], -v[20:21]
	s_delay_alu instid0(VALU_DEP_4) | instskip(NEXT) | instid1(VALU_DEP_4)
	v_add_f64 v[6:7], v[6:7], v[14:15]
	v_add_f64 v[8:9], v[8:9], v[24:25]
	s_delay_alu instid0(VALU_DEP_2) | instskip(NEXT) | instid1(VALU_DEP_2)
	v_add_f64 v[2:3], v[6:7], v[2:3]
	v_add_f64 v[4:5], v[8:9], v[4:5]
	s_delay_alu instid0(VALU_DEP_2) | instskip(NEXT) | instid1(VALU_DEP_2)
	v_add_f64 v[2:3], v[42:43], -v[2:3]
	v_add_f64 v[4:5], v[44:45], -v[4:5]
	scratch_store_b128 off, v[2:5], off offset:176
	v_cmpx_lt_u32_e32 10, v140
	s_cbranch_execz .LBB110_275
; %bb.274:
	scratch_load_b128 v[5:8], v177, off
	v_mov_b32_e32 v2, v1
	v_mov_b32_e32 v3, v1
	v_mov_b32_e32 v4, v1
	scratch_store_b128 off, v[1:4], off offset:160
	s_waitcnt vmcnt(0)
	ds_store_b128 v187, v[5:8]
.LBB110_275:
	s_or_b32 exec_lo, exec_lo, s2
	s_waitcnt lgkmcnt(0)
	s_waitcnt_vscnt null, 0x0
	s_barrier
	buffer_gl0_inv
	s_clause 0x8
	scratch_load_b128 v[2:5], off, off offset:176
	scratch_load_b128 v[6:9], off, off offset:192
	;; [unrolled: 1-line block ×9, first 2 shown]
	ds_load_b128 v[42:45], v1 offset:928
	ds_load_b128 v[38:41], v1 offset:944
	s_clause 0x1
	scratch_load_b128 v[188:191], off, off offset:160
	scratch_load_b128 v[192:195], off, off offset:320
	s_mov_b32 s2, exec_lo
	s_waitcnt vmcnt(10) lgkmcnt(1)
	v_mul_f64 v[196:197], v[44:45], v[4:5]
	v_mul_f64 v[4:5], v[42:43], v[4:5]
	s_waitcnt vmcnt(9) lgkmcnt(0)
	v_mul_f64 v[200:201], v[38:39], v[8:9]
	v_mul_f64 v[8:9], v[40:41], v[8:9]
	s_delay_alu instid0(VALU_DEP_4) | instskip(NEXT) | instid1(VALU_DEP_4)
	v_fma_f64 v[202:203], v[42:43], v[2:3], -v[196:197]
	v_fma_f64 v[204:205], v[44:45], v[2:3], v[4:5]
	ds_load_b128 v[2:5], v1 offset:960
	ds_load_b128 v[196:199], v1 offset:976
	scratch_load_b128 v[42:45], off, off offset:336
	v_fma_f64 v[40:41], v[40:41], v[6:7], v[200:201]
	v_fma_f64 v[38:39], v[38:39], v[6:7], -v[8:9]
	scratch_load_b128 v[6:9], off, off offset:352
	s_waitcnt vmcnt(10) lgkmcnt(1)
	v_mul_f64 v[206:207], v[2:3], v[12:13]
	v_mul_f64 v[12:13], v[4:5], v[12:13]
	v_add_f64 v[200:201], v[202:203], 0
	v_add_f64 v[202:203], v[204:205], 0
	s_waitcnt vmcnt(9) lgkmcnt(0)
	v_mul_f64 v[204:205], v[196:197], v[16:17]
	v_mul_f64 v[16:17], v[198:199], v[16:17]
	v_fma_f64 v[206:207], v[4:5], v[10:11], v[206:207]
	v_fma_f64 v[208:209], v[2:3], v[10:11], -v[12:13]
	ds_load_b128 v[2:5], v1 offset:992
	scratch_load_b128 v[10:13], off, off offset:368
	v_add_f64 v[200:201], v[200:201], v[38:39]
	v_add_f64 v[202:203], v[202:203], v[40:41]
	ds_load_b128 v[38:41], v1 offset:1008
	v_fma_f64 v[198:199], v[198:199], v[14:15], v[204:205]
	v_fma_f64 v[196:197], v[196:197], v[14:15], -v[16:17]
	scratch_load_b128 v[14:17], off, off offset:384
	s_waitcnt vmcnt(10) lgkmcnt(1)
	v_mul_f64 v[210:211], v[2:3], v[20:21]
	v_mul_f64 v[20:21], v[4:5], v[20:21]
	s_waitcnt vmcnt(9) lgkmcnt(0)
	v_mul_f64 v[204:205], v[38:39], v[24:25]
	v_mul_f64 v[24:25], v[40:41], v[24:25]
	v_add_f64 v[200:201], v[200:201], v[208:209]
	v_add_f64 v[202:203], v[202:203], v[206:207]
	v_fma_f64 v[206:207], v[4:5], v[18:19], v[210:211]
	v_fma_f64 v[208:209], v[2:3], v[18:19], -v[20:21]
	ds_load_b128 v[2:5], v1 offset:1024
	scratch_load_b128 v[18:21], off, off offset:400
	v_fma_f64 v[40:41], v[40:41], v[22:23], v[204:205]
	v_fma_f64 v[38:39], v[38:39], v[22:23], -v[24:25]
	scratch_load_b128 v[22:25], off, off offset:416
	v_add_f64 v[200:201], v[200:201], v[196:197]
	v_add_f64 v[202:203], v[202:203], v[198:199]
	ds_load_b128 v[196:199], v1 offset:1040
	s_waitcnt vmcnt(10) lgkmcnt(1)
	v_mul_f64 v[210:211], v[2:3], v[28:29]
	v_mul_f64 v[28:29], v[4:5], v[28:29]
	s_waitcnt vmcnt(9) lgkmcnt(0)
	v_mul_f64 v[204:205], v[196:197], v[32:33]
	v_mul_f64 v[32:33], v[198:199], v[32:33]
	v_add_f64 v[200:201], v[200:201], v[208:209]
	v_add_f64 v[202:203], v[202:203], v[206:207]
	v_fma_f64 v[206:207], v[4:5], v[26:27], v[210:211]
	v_fma_f64 v[208:209], v[2:3], v[26:27], -v[28:29]
	ds_load_b128 v[2:5], v1 offset:1056
	scratch_load_b128 v[26:29], off, off offset:432
	v_fma_f64 v[198:199], v[198:199], v[30:31], v[204:205]
	v_fma_f64 v[196:197], v[196:197], v[30:31], -v[32:33]
	scratch_load_b128 v[30:33], off, off offset:448
	v_add_f64 v[200:201], v[200:201], v[38:39]
	v_add_f64 v[202:203], v[202:203], v[40:41]
	ds_load_b128 v[38:41], v1 offset:1072
	s_waitcnt vmcnt(10) lgkmcnt(1)
	v_mul_f64 v[210:211], v[2:3], v[36:37]
	v_mul_f64 v[36:37], v[4:5], v[36:37]
	s_waitcnt vmcnt(8) lgkmcnt(0)
	v_mul_f64 v[204:205], v[38:39], v[194:195]
	v_add_f64 v[200:201], v[200:201], v[208:209]
	v_add_f64 v[202:203], v[202:203], v[206:207]
	v_mul_f64 v[206:207], v[40:41], v[194:195]
	v_fma_f64 v[208:209], v[4:5], v[34:35], v[210:211]
	v_fma_f64 v[210:211], v[2:3], v[34:35], -v[36:37]
	ds_load_b128 v[2:5], v1 offset:1088
	scratch_load_b128 v[34:37], off, off offset:464
	v_fma_f64 v[204:205], v[40:41], v[192:193], v[204:205]
	v_add_f64 v[200:201], v[200:201], v[196:197]
	v_add_f64 v[198:199], v[202:203], v[198:199]
	ds_load_b128 v[194:197], v1 offset:1104
	v_fma_f64 v[192:193], v[38:39], v[192:193], -v[206:207]
	scratch_load_b128 v[38:41], off, off offset:480
	s_waitcnt vmcnt(9) lgkmcnt(1)
	v_mul_f64 v[202:203], v[2:3], v[44:45]
	v_mul_f64 v[44:45], v[4:5], v[44:45]
	s_waitcnt vmcnt(8) lgkmcnt(0)
	v_mul_f64 v[206:207], v[194:195], v[8:9]
	v_mul_f64 v[8:9], v[196:197], v[8:9]
	v_add_f64 v[200:201], v[200:201], v[210:211]
	v_add_f64 v[198:199], v[198:199], v[208:209]
	v_fma_f64 v[202:203], v[4:5], v[42:43], v[202:203]
	v_fma_f64 v[208:209], v[2:3], v[42:43], -v[44:45]
	ds_load_b128 v[2:5], v1 offset:1120
	scratch_load_b128 v[42:45], off, off offset:496
	v_fma_f64 v[196:197], v[196:197], v[6:7], v[206:207]
	v_fma_f64 v[194:195], v[194:195], v[6:7], -v[8:9]
	scratch_load_b128 v[6:9], off, off offset:512
	v_add_f64 v[192:193], v[200:201], v[192:193]
	v_add_f64 v[204:205], v[198:199], v[204:205]
	ds_load_b128 v[198:201], v1 offset:1136
	s_waitcnt vmcnt(9) lgkmcnt(1)
	v_mul_f64 v[210:211], v[2:3], v[12:13]
	v_mul_f64 v[12:13], v[4:5], v[12:13]
	v_add_f64 v[192:193], v[192:193], v[208:209]
	v_add_f64 v[202:203], v[204:205], v[202:203]
	s_waitcnt vmcnt(8) lgkmcnt(0)
	v_mul_f64 v[204:205], v[198:199], v[16:17]
	v_mul_f64 v[16:17], v[200:201], v[16:17]
	v_fma_f64 v[206:207], v[4:5], v[10:11], v[210:211]
	v_fma_f64 v[208:209], v[2:3], v[10:11], -v[12:13]
	ds_load_b128 v[2:5], v1 offset:1152
	scratch_load_b128 v[10:13], off, off offset:528
	v_add_f64 v[210:211], v[192:193], v[194:195]
	v_add_f64 v[196:197], v[202:203], v[196:197]
	ds_load_b128 v[192:195], v1 offset:1168
	s_waitcnt vmcnt(8) lgkmcnt(1)
	v_mul_f64 v[202:203], v[2:3], v[20:21]
	v_mul_f64 v[20:21], v[4:5], v[20:21]
	v_fma_f64 v[200:201], v[200:201], v[14:15], v[204:205]
	v_fma_f64 v[198:199], v[198:199], v[14:15], -v[16:17]
	scratch_load_b128 v[14:17], off, off offset:544
	v_add_f64 v[204:205], v[210:211], v[208:209]
	v_add_f64 v[196:197], v[196:197], v[206:207]
	s_waitcnt vmcnt(8) lgkmcnt(0)
	v_mul_f64 v[206:207], v[192:193], v[24:25]
	v_mul_f64 v[24:25], v[194:195], v[24:25]
	v_fma_f64 v[202:203], v[4:5], v[18:19], v[202:203]
	v_fma_f64 v[208:209], v[2:3], v[18:19], -v[20:21]
	ds_load_b128 v[2:5], v1 offset:1184
	scratch_load_b128 v[18:21], off, off offset:560
	v_add_f64 v[204:205], v[204:205], v[198:199]
	v_add_f64 v[200:201], v[196:197], v[200:201]
	ds_load_b128 v[196:199], v1 offset:1200
	s_waitcnt vmcnt(8) lgkmcnt(1)
	v_mul_f64 v[210:211], v[2:3], v[28:29]
	v_mul_f64 v[28:29], v[4:5], v[28:29]
	v_fma_f64 v[194:195], v[194:195], v[22:23], v[206:207]
	v_fma_f64 v[192:193], v[192:193], v[22:23], -v[24:25]
	scratch_load_b128 v[22:25], off, off offset:576
	;; [unrolled: 18-line block ×4, first 2 shown]
	s_waitcnt vmcnt(8) lgkmcnt(0)
	v_mul_f64 v[204:205], v[196:197], v[8:9]
	v_mul_f64 v[8:9], v[198:199], v[8:9]
	v_add_f64 v[202:203], v[202:203], v[208:209]
	v_add_f64 v[200:201], v[200:201], v[206:207]
	v_fma_f64 v[206:207], v[4:5], v[42:43], v[210:211]
	v_fma_f64 v[208:209], v[2:3], v[42:43], -v[44:45]
	ds_load_b128 v[2:5], v1 offset:1280
	scratch_load_b128 v[42:45], off, off offset:656
	v_fma_f64 v[198:199], v[198:199], v[6:7], v[204:205]
	v_fma_f64 v[196:197], v[196:197], v[6:7], -v[8:9]
	scratch_load_b128 v[6:9], off, off offset:672
	v_add_f64 v[202:203], v[202:203], v[192:193]
	v_add_f64 v[200:201], v[200:201], v[194:195]
	ds_load_b128 v[192:195], v1 offset:1296
	s_waitcnt vmcnt(9) lgkmcnt(1)
	v_mul_f64 v[210:211], v[2:3], v[12:13]
	v_mul_f64 v[12:13], v[4:5], v[12:13]
	s_waitcnt vmcnt(8) lgkmcnt(0)
	v_mul_f64 v[204:205], v[192:193], v[16:17]
	v_mul_f64 v[16:17], v[194:195], v[16:17]
	v_add_f64 v[202:203], v[202:203], v[208:209]
	v_add_f64 v[200:201], v[200:201], v[206:207]
	v_fma_f64 v[206:207], v[4:5], v[10:11], v[210:211]
	v_fma_f64 v[208:209], v[2:3], v[10:11], -v[12:13]
	ds_load_b128 v[2:5], v1 offset:1312
	scratch_load_b128 v[10:13], off, off offset:688
	v_fma_f64 v[194:195], v[194:195], v[14:15], v[204:205]
	v_fma_f64 v[192:193], v[192:193], v[14:15], -v[16:17]
	scratch_load_b128 v[14:17], off, off offset:704
	v_add_f64 v[202:203], v[202:203], v[196:197]
	v_add_f64 v[200:201], v[200:201], v[198:199]
	ds_load_b128 v[196:199], v1 offset:1328
	s_waitcnt vmcnt(9) lgkmcnt(1)
	v_mul_f64 v[210:211], v[2:3], v[20:21]
	v_mul_f64 v[20:21], v[4:5], v[20:21]
	;; [unrolled: 18-line block ×3, first 2 shown]
	s_waitcnt vmcnt(8) lgkmcnt(0)
	v_mul_f64 v[204:205], v[192:193], v[32:33]
	v_mul_f64 v[32:33], v[194:195], v[32:33]
	v_add_f64 v[202:203], v[202:203], v[208:209]
	v_add_f64 v[200:201], v[200:201], v[206:207]
	v_fma_f64 v[206:207], v[4:5], v[26:27], v[210:211]
	v_fma_f64 v[208:209], v[2:3], v[26:27], -v[28:29]
	ds_load_b128 v[2:5], v1 offset:1376
	ds_load_b128 v[26:29], v1 offset:1392
	v_fma_f64 v[194:195], v[194:195], v[30:31], v[204:205]
	v_fma_f64 v[30:31], v[192:193], v[30:31], -v[32:33]
	v_add_f64 v[196:197], v[202:203], v[196:197]
	v_add_f64 v[198:199], v[200:201], v[198:199]
	s_waitcnt vmcnt(7) lgkmcnt(1)
	v_mul_f64 v[200:201], v[2:3], v[36:37]
	v_mul_f64 v[36:37], v[4:5], v[36:37]
	s_delay_alu instid0(VALU_DEP_4) | instskip(NEXT) | instid1(VALU_DEP_4)
	v_add_f64 v[32:33], v[196:197], v[208:209]
	v_add_f64 v[192:193], v[198:199], v[206:207]
	s_waitcnt vmcnt(6) lgkmcnt(0)
	v_mul_f64 v[196:197], v[26:27], v[40:41]
	v_mul_f64 v[40:41], v[28:29], v[40:41]
	v_fma_f64 v[198:199], v[4:5], v[34:35], v[200:201]
	v_fma_f64 v[34:35], v[2:3], v[34:35], -v[36:37]
	v_add_f64 v[36:37], v[32:33], v[30:31]
	v_add_f64 v[192:193], v[192:193], v[194:195]
	ds_load_b128 v[2:5], v1 offset:1408
	ds_load_b128 v[30:33], v1 offset:1424
	v_fma_f64 v[28:29], v[28:29], v[38:39], v[196:197]
	v_fma_f64 v[26:27], v[26:27], v[38:39], -v[40:41]
	s_waitcnt vmcnt(5) lgkmcnt(1)
	v_mul_f64 v[194:195], v[2:3], v[44:45]
	v_mul_f64 v[44:45], v[4:5], v[44:45]
	s_waitcnt vmcnt(4) lgkmcnt(0)
	v_mul_f64 v[38:39], v[30:31], v[8:9]
	v_mul_f64 v[8:9], v[32:33], v[8:9]
	v_add_f64 v[34:35], v[36:37], v[34:35]
	v_add_f64 v[36:37], v[192:193], v[198:199]
	v_fma_f64 v[40:41], v[4:5], v[42:43], v[194:195]
	v_fma_f64 v[42:43], v[2:3], v[42:43], -v[44:45]
	v_fma_f64 v[32:33], v[32:33], v[6:7], v[38:39]
	v_fma_f64 v[6:7], v[30:31], v[6:7], -v[8:9]
	v_add_f64 v[34:35], v[34:35], v[26:27]
	v_add_f64 v[36:37], v[36:37], v[28:29]
	ds_load_b128 v[2:5], v1 offset:1440
	ds_load_b128 v[26:29], v1 offset:1456
	s_waitcnt vmcnt(3) lgkmcnt(1)
	v_mul_f64 v[44:45], v[2:3], v[12:13]
	v_mul_f64 v[12:13], v[4:5], v[12:13]
	v_add_f64 v[8:9], v[34:35], v[42:43]
	v_add_f64 v[30:31], v[36:37], v[40:41]
	s_waitcnt vmcnt(2) lgkmcnt(0)
	v_mul_f64 v[34:35], v[26:27], v[16:17]
	v_mul_f64 v[16:17], v[28:29], v[16:17]
	v_fma_f64 v[36:37], v[4:5], v[10:11], v[44:45]
	v_fma_f64 v[10:11], v[2:3], v[10:11], -v[12:13]
	v_add_f64 v[12:13], v[8:9], v[6:7]
	v_add_f64 v[30:31], v[30:31], v[32:33]
	ds_load_b128 v[2:5], v1 offset:1472
	ds_load_b128 v[6:9], v1 offset:1488
	v_fma_f64 v[28:29], v[28:29], v[14:15], v[34:35]
	v_fma_f64 v[14:15], v[26:27], v[14:15], -v[16:17]
	s_waitcnt vmcnt(1) lgkmcnt(1)
	v_mul_f64 v[32:33], v[2:3], v[20:21]
	v_mul_f64 v[20:21], v[4:5], v[20:21]
	s_waitcnt vmcnt(0) lgkmcnt(0)
	v_mul_f64 v[16:17], v[6:7], v[24:25]
	v_mul_f64 v[24:25], v[8:9], v[24:25]
	v_add_f64 v[10:11], v[12:13], v[10:11]
	v_add_f64 v[12:13], v[30:31], v[36:37]
	v_fma_f64 v[4:5], v[4:5], v[18:19], v[32:33]
	v_fma_f64 v[1:2], v[2:3], v[18:19], -v[20:21]
	v_fma_f64 v[8:9], v[8:9], v[22:23], v[16:17]
	v_fma_f64 v[6:7], v[6:7], v[22:23], -v[24:25]
	v_add_f64 v[10:11], v[10:11], v[14:15]
	v_add_f64 v[12:13], v[12:13], v[28:29]
	s_delay_alu instid0(VALU_DEP_2) | instskip(NEXT) | instid1(VALU_DEP_2)
	v_add_f64 v[1:2], v[10:11], v[1:2]
	v_add_f64 v[3:4], v[12:13], v[4:5]
	s_delay_alu instid0(VALU_DEP_2) | instskip(NEXT) | instid1(VALU_DEP_2)
	;; [unrolled: 3-line block ×3, first 2 shown]
	v_add_f64 v[1:2], v[188:189], -v[1:2]
	v_add_f64 v[3:4], v[190:191], -v[3:4]
	scratch_store_b128 off, v[1:4], off offset:160
	v_cmpx_lt_u32_e32 9, v140
	s_cbranch_execz .LBB110_277
; %bb.276:
	scratch_load_b128 v[1:4], v178, off
	v_mov_b32_e32 v5, 0
	s_delay_alu instid0(VALU_DEP_1)
	v_mov_b32_e32 v6, v5
	v_mov_b32_e32 v7, v5
	;; [unrolled: 1-line block ×3, first 2 shown]
	scratch_store_b128 off, v[5:8], off offset:144
	s_waitcnt vmcnt(0)
	ds_store_b128 v187, v[1:4]
.LBB110_277:
	s_or_b32 exec_lo, exec_lo, s2
	s_waitcnt lgkmcnt(0)
	s_waitcnt_vscnt null, 0x0
	s_barrier
	buffer_gl0_inv
	s_clause 0x7
	scratch_load_b128 v[2:5], off, off offset:160
	scratch_load_b128 v[6:9], off, off offset:176
	;; [unrolled: 1-line block ×8, first 2 shown]
	v_mov_b32_e32 v1, 0
	s_mov_b32 s2, exec_lo
	ds_load_b128 v[38:41], v1 offset:912
	s_clause 0x1
	scratch_load_b128 v[34:37], off, off offset:288
	scratch_load_b128 v[42:45], off, off offset:144
	ds_load_b128 v[188:191], v1 offset:928
	scratch_load_b128 v[192:195], off, off offset:304
	s_waitcnt vmcnt(10) lgkmcnt(1)
	v_mul_f64 v[196:197], v[40:41], v[4:5]
	v_mul_f64 v[4:5], v[38:39], v[4:5]
	s_delay_alu instid0(VALU_DEP_2) | instskip(NEXT) | instid1(VALU_DEP_2)
	v_fma_f64 v[202:203], v[38:39], v[2:3], -v[196:197]
	v_fma_f64 v[204:205], v[40:41], v[2:3], v[4:5]
	scratch_load_b128 v[38:41], off, off offset:320
	ds_load_b128 v[2:5], v1 offset:944
	s_waitcnt vmcnt(10) lgkmcnt(1)
	v_mul_f64 v[200:201], v[188:189], v[8:9]
	v_mul_f64 v[8:9], v[190:191], v[8:9]
	ds_load_b128 v[196:199], v1 offset:960
	s_waitcnt vmcnt(9) lgkmcnt(1)
	v_mul_f64 v[206:207], v[2:3], v[12:13]
	v_mul_f64 v[12:13], v[4:5], v[12:13]
	v_fma_f64 v[190:191], v[190:191], v[6:7], v[200:201]
	v_fma_f64 v[188:189], v[188:189], v[6:7], -v[8:9]
	v_add_f64 v[200:201], v[202:203], 0
	v_add_f64 v[202:203], v[204:205], 0
	scratch_load_b128 v[6:9], off, off offset:336
	v_fma_f64 v[206:207], v[4:5], v[10:11], v[206:207]
	v_fma_f64 v[208:209], v[2:3], v[10:11], -v[12:13]
	scratch_load_b128 v[10:13], off, off offset:352
	ds_load_b128 v[2:5], v1 offset:976
	s_waitcnt vmcnt(10) lgkmcnt(1)
	v_mul_f64 v[204:205], v[196:197], v[16:17]
	v_mul_f64 v[16:17], v[198:199], v[16:17]
	v_add_f64 v[200:201], v[200:201], v[188:189]
	v_add_f64 v[202:203], v[202:203], v[190:191]
	s_waitcnt vmcnt(9) lgkmcnt(0)
	v_mul_f64 v[210:211], v[2:3], v[20:21]
	v_mul_f64 v[20:21], v[4:5], v[20:21]
	ds_load_b128 v[188:191], v1 offset:992
	v_fma_f64 v[198:199], v[198:199], v[14:15], v[204:205]
	v_fma_f64 v[196:197], v[196:197], v[14:15], -v[16:17]
	scratch_load_b128 v[14:17], off, off offset:368
	v_add_f64 v[200:201], v[200:201], v[208:209]
	v_add_f64 v[202:203], v[202:203], v[206:207]
	v_fma_f64 v[206:207], v[4:5], v[18:19], v[210:211]
	v_fma_f64 v[208:209], v[2:3], v[18:19], -v[20:21]
	scratch_load_b128 v[18:21], off, off offset:384
	ds_load_b128 v[2:5], v1 offset:1008
	s_waitcnt vmcnt(10) lgkmcnt(1)
	v_mul_f64 v[204:205], v[188:189], v[24:25]
	v_mul_f64 v[24:25], v[190:191], v[24:25]
	s_waitcnt vmcnt(9) lgkmcnt(0)
	v_mul_f64 v[210:211], v[2:3], v[28:29]
	v_mul_f64 v[28:29], v[4:5], v[28:29]
	v_add_f64 v[200:201], v[200:201], v[196:197]
	v_add_f64 v[202:203], v[202:203], v[198:199]
	ds_load_b128 v[196:199], v1 offset:1024
	v_fma_f64 v[190:191], v[190:191], v[22:23], v[204:205]
	v_fma_f64 v[188:189], v[188:189], v[22:23], -v[24:25]
	scratch_load_b128 v[22:25], off, off offset:400
	v_add_f64 v[200:201], v[200:201], v[208:209]
	v_add_f64 v[202:203], v[202:203], v[206:207]
	v_fma_f64 v[206:207], v[4:5], v[26:27], v[210:211]
	v_fma_f64 v[208:209], v[2:3], v[26:27], -v[28:29]
	scratch_load_b128 v[26:29], off, off offset:416
	ds_load_b128 v[2:5], v1 offset:1040
	s_waitcnt vmcnt(10) lgkmcnt(1)
	v_mul_f64 v[204:205], v[196:197], v[32:33]
	v_mul_f64 v[32:33], v[198:199], v[32:33]
	s_waitcnt vmcnt(9) lgkmcnt(0)
	v_mul_f64 v[210:211], v[2:3], v[36:37]
	v_mul_f64 v[36:37], v[4:5], v[36:37]
	v_add_f64 v[200:201], v[200:201], v[188:189]
	v_add_f64 v[202:203], v[202:203], v[190:191]
	ds_load_b128 v[188:191], v1 offset:1056
	v_fma_f64 v[198:199], v[198:199], v[30:31], v[204:205]
	v_fma_f64 v[196:197], v[196:197], v[30:31], -v[32:33]
	scratch_load_b128 v[30:33], off, off offset:432
	v_add_f64 v[200:201], v[200:201], v[208:209]
	v_add_f64 v[202:203], v[202:203], v[206:207]
	v_fma_f64 v[208:209], v[4:5], v[34:35], v[210:211]
	v_fma_f64 v[210:211], v[2:3], v[34:35], -v[36:37]
	scratch_load_b128 v[34:37], off, off offset:448
	ds_load_b128 v[2:5], v1 offset:1072
	s_waitcnt vmcnt(9) lgkmcnt(1)
	v_mul_f64 v[204:205], v[188:189], v[194:195]
	v_mul_f64 v[206:207], v[190:191], v[194:195]
	v_add_f64 v[200:201], v[200:201], v[196:197]
	v_add_f64 v[198:199], v[202:203], v[198:199]
	ds_load_b128 v[194:197], v1 offset:1088
	v_fma_f64 v[204:205], v[190:191], v[192:193], v[204:205]
	v_fma_f64 v[192:193], v[188:189], v[192:193], -v[206:207]
	scratch_load_b128 v[188:191], off, off offset:464
	s_waitcnt vmcnt(9) lgkmcnt(1)
	v_mul_f64 v[202:203], v[2:3], v[40:41]
	v_mul_f64 v[40:41], v[4:5], v[40:41]
	v_add_f64 v[200:201], v[200:201], v[210:211]
	v_add_f64 v[198:199], v[198:199], v[208:209]
	s_delay_alu instid0(VALU_DEP_4) | instskip(NEXT) | instid1(VALU_DEP_4)
	v_fma_f64 v[202:203], v[4:5], v[38:39], v[202:203]
	v_fma_f64 v[208:209], v[2:3], v[38:39], -v[40:41]
	scratch_load_b128 v[38:41], off, off offset:480
	ds_load_b128 v[2:5], v1 offset:1104
	s_waitcnt vmcnt(9) lgkmcnt(1)
	v_mul_f64 v[206:207], v[194:195], v[8:9]
	v_mul_f64 v[8:9], v[196:197], v[8:9]
	s_waitcnt vmcnt(8) lgkmcnt(0)
	v_mul_f64 v[210:211], v[2:3], v[12:13]
	v_mul_f64 v[12:13], v[4:5], v[12:13]
	v_add_f64 v[192:193], v[200:201], v[192:193]
	v_add_f64 v[204:205], v[198:199], v[204:205]
	ds_load_b128 v[198:201], v1 offset:1120
	v_fma_f64 v[196:197], v[196:197], v[6:7], v[206:207]
	v_fma_f64 v[194:195], v[194:195], v[6:7], -v[8:9]
	scratch_load_b128 v[6:9], off, off offset:496
	v_fma_f64 v[206:207], v[4:5], v[10:11], v[210:211]
	v_add_f64 v[192:193], v[192:193], v[208:209]
	v_add_f64 v[202:203], v[204:205], v[202:203]
	v_fma_f64 v[208:209], v[2:3], v[10:11], -v[12:13]
	scratch_load_b128 v[10:13], off, off offset:512
	ds_load_b128 v[2:5], v1 offset:1136
	s_waitcnt vmcnt(9) lgkmcnt(1)
	v_mul_f64 v[204:205], v[198:199], v[16:17]
	v_mul_f64 v[16:17], v[200:201], v[16:17]
	v_add_f64 v[210:211], v[192:193], v[194:195]
	v_add_f64 v[196:197], v[202:203], v[196:197]
	s_waitcnt vmcnt(8) lgkmcnt(0)
	v_mul_f64 v[202:203], v[2:3], v[20:21]
	v_mul_f64 v[20:21], v[4:5], v[20:21]
	ds_load_b128 v[192:195], v1 offset:1152
	v_fma_f64 v[200:201], v[200:201], v[14:15], v[204:205]
	v_fma_f64 v[198:199], v[198:199], v[14:15], -v[16:17]
	scratch_load_b128 v[14:17], off, off offset:528
	v_add_f64 v[204:205], v[210:211], v[208:209]
	v_add_f64 v[196:197], v[196:197], v[206:207]
	v_fma_f64 v[202:203], v[4:5], v[18:19], v[202:203]
	v_fma_f64 v[208:209], v[2:3], v[18:19], -v[20:21]
	scratch_load_b128 v[18:21], off, off offset:544
	ds_load_b128 v[2:5], v1 offset:1168
	s_waitcnt vmcnt(9) lgkmcnt(1)
	v_mul_f64 v[206:207], v[192:193], v[24:25]
	v_mul_f64 v[24:25], v[194:195], v[24:25]
	s_waitcnt vmcnt(8) lgkmcnt(0)
	v_mul_f64 v[210:211], v[2:3], v[28:29]
	v_mul_f64 v[28:29], v[4:5], v[28:29]
	v_add_f64 v[204:205], v[204:205], v[198:199]
	v_add_f64 v[200:201], v[196:197], v[200:201]
	ds_load_b128 v[196:199], v1 offset:1184
	v_fma_f64 v[194:195], v[194:195], v[22:23], v[206:207]
	v_fma_f64 v[192:193], v[192:193], v[22:23], -v[24:25]
	scratch_load_b128 v[22:25], off, off offset:560
	v_fma_f64 v[206:207], v[4:5], v[26:27], v[210:211]
	v_add_f64 v[204:205], v[204:205], v[208:209]
	v_add_f64 v[200:201], v[200:201], v[202:203]
	v_fma_f64 v[208:209], v[2:3], v[26:27], -v[28:29]
	scratch_load_b128 v[26:29], off, off offset:576
	ds_load_b128 v[2:5], v1 offset:1200
	s_waitcnt vmcnt(9) lgkmcnt(1)
	v_mul_f64 v[202:203], v[196:197], v[32:33]
	v_mul_f64 v[32:33], v[198:199], v[32:33]
	s_waitcnt vmcnt(8) lgkmcnt(0)
	v_mul_f64 v[210:211], v[2:3], v[36:37]
	v_mul_f64 v[36:37], v[4:5], v[36:37]
	v_add_f64 v[204:205], v[204:205], v[192:193]
	v_add_f64 v[200:201], v[200:201], v[194:195]
	ds_load_b128 v[192:195], v1 offset:1216
	v_fma_f64 v[198:199], v[198:199], v[30:31], v[202:203]
	v_fma_f64 v[196:197], v[196:197], v[30:31], -v[32:33]
	scratch_load_b128 v[30:33], off, off offset:592
	v_add_f64 v[202:203], v[204:205], v[208:209]
	v_add_f64 v[200:201], v[200:201], v[206:207]
	v_fma_f64 v[206:207], v[4:5], v[34:35], v[210:211]
	v_fma_f64 v[208:209], v[2:3], v[34:35], -v[36:37]
	scratch_load_b128 v[34:37], off, off offset:608
	ds_load_b128 v[2:5], v1 offset:1232
	s_waitcnt vmcnt(9) lgkmcnt(1)
	v_mul_f64 v[204:205], v[192:193], v[190:191]
	v_mul_f64 v[190:191], v[194:195], v[190:191]
	s_waitcnt vmcnt(8) lgkmcnt(0)
	v_mul_f64 v[210:211], v[2:3], v[40:41]
	v_mul_f64 v[40:41], v[4:5], v[40:41]
	v_add_f64 v[202:203], v[202:203], v[196:197]
	v_add_f64 v[200:201], v[200:201], v[198:199]
	ds_load_b128 v[196:199], v1 offset:1248
	v_fma_f64 v[194:195], v[194:195], v[188:189], v[204:205]
	v_fma_f64 v[192:193], v[192:193], v[188:189], -v[190:191]
	scratch_load_b128 v[188:191], off, off offset:624
	v_add_f64 v[202:203], v[202:203], v[208:209]
	v_add_f64 v[200:201], v[200:201], v[206:207]
	v_fma_f64 v[206:207], v[4:5], v[38:39], v[210:211]
	;; [unrolled: 18-line block ×5, first 2 shown]
	v_fma_f64 v[208:209], v[2:3], v[26:27], -v[28:29]
	scratch_load_b128 v[26:29], off, off offset:736
	ds_load_b128 v[2:5], v1 offset:1360
	s_waitcnt vmcnt(9) lgkmcnt(1)
	v_mul_f64 v[204:205], v[192:193], v[32:33]
	v_mul_f64 v[32:33], v[194:195], v[32:33]
	s_waitcnt vmcnt(8) lgkmcnt(0)
	v_mul_f64 v[210:211], v[2:3], v[36:37]
	v_mul_f64 v[36:37], v[4:5], v[36:37]
	v_add_f64 v[202:203], v[202:203], v[196:197]
	v_add_f64 v[200:201], v[200:201], v[198:199]
	ds_load_b128 v[196:199], v1 offset:1376
	v_fma_f64 v[194:195], v[194:195], v[30:31], v[204:205]
	v_fma_f64 v[30:31], v[192:193], v[30:31], -v[32:33]
	v_add_f64 v[32:33], v[202:203], v[208:209]
	v_add_f64 v[192:193], v[200:201], v[206:207]
	s_waitcnt vmcnt(7) lgkmcnt(0)
	v_mul_f64 v[200:201], v[196:197], v[190:191]
	v_mul_f64 v[190:191], v[198:199], v[190:191]
	v_fma_f64 v[202:203], v[4:5], v[34:35], v[210:211]
	v_fma_f64 v[34:35], v[2:3], v[34:35], -v[36:37]
	v_add_f64 v[36:37], v[32:33], v[30:31]
	v_add_f64 v[192:193], v[192:193], v[194:195]
	ds_load_b128 v[2:5], v1 offset:1392
	ds_load_b128 v[30:33], v1 offset:1408
	v_fma_f64 v[198:199], v[198:199], v[188:189], v[200:201]
	v_fma_f64 v[188:189], v[196:197], v[188:189], -v[190:191]
	s_waitcnt vmcnt(6) lgkmcnt(1)
	v_mul_f64 v[194:195], v[2:3], v[40:41]
	v_mul_f64 v[40:41], v[4:5], v[40:41]
	s_waitcnt vmcnt(5) lgkmcnt(0)
	v_mul_f64 v[190:191], v[30:31], v[8:9]
	v_mul_f64 v[8:9], v[32:33], v[8:9]
	v_add_f64 v[34:35], v[36:37], v[34:35]
	v_add_f64 v[36:37], v[192:193], v[202:203]
	v_fma_f64 v[192:193], v[4:5], v[38:39], v[194:195]
	v_fma_f64 v[38:39], v[2:3], v[38:39], -v[40:41]
	v_fma_f64 v[32:33], v[32:33], v[6:7], v[190:191]
	v_fma_f64 v[6:7], v[30:31], v[6:7], -v[8:9]
	v_add_f64 v[40:41], v[34:35], v[188:189]
	v_add_f64 v[188:189], v[36:37], v[198:199]
	ds_load_b128 v[2:5], v1 offset:1424
	ds_load_b128 v[34:37], v1 offset:1440
	s_waitcnt vmcnt(4) lgkmcnt(1)
	v_mul_f64 v[194:195], v[2:3], v[12:13]
	v_mul_f64 v[12:13], v[4:5], v[12:13]
	v_add_f64 v[8:9], v[40:41], v[38:39]
	v_add_f64 v[30:31], v[188:189], v[192:193]
	s_waitcnt vmcnt(3) lgkmcnt(0)
	v_mul_f64 v[38:39], v[34:35], v[16:17]
	v_mul_f64 v[16:17], v[36:37], v[16:17]
	v_fma_f64 v[40:41], v[4:5], v[10:11], v[194:195]
	v_fma_f64 v[10:11], v[2:3], v[10:11], -v[12:13]
	v_add_f64 v[12:13], v[8:9], v[6:7]
	v_add_f64 v[30:31], v[30:31], v[32:33]
	ds_load_b128 v[2:5], v1 offset:1456
	ds_load_b128 v[6:9], v1 offset:1472
	v_fma_f64 v[36:37], v[36:37], v[14:15], v[38:39]
	v_fma_f64 v[14:15], v[34:35], v[14:15], -v[16:17]
	s_waitcnt vmcnt(2) lgkmcnt(1)
	v_mul_f64 v[32:33], v[2:3], v[20:21]
	v_mul_f64 v[20:21], v[4:5], v[20:21]
	s_waitcnt vmcnt(1) lgkmcnt(0)
	v_mul_f64 v[16:17], v[6:7], v[24:25]
	v_mul_f64 v[24:25], v[8:9], v[24:25]
	v_add_f64 v[10:11], v[12:13], v[10:11]
	v_add_f64 v[12:13], v[30:31], v[40:41]
	v_fma_f64 v[30:31], v[4:5], v[18:19], v[32:33]
	v_fma_f64 v[18:19], v[2:3], v[18:19], -v[20:21]
	ds_load_b128 v[2:5], v1 offset:1488
	v_fma_f64 v[8:9], v[8:9], v[22:23], v[16:17]
	v_fma_f64 v[6:7], v[6:7], v[22:23], -v[24:25]
	v_add_f64 v[10:11], v[10:11], v[14:15]
	v_add_f64 v[12:13], v[12:13], v[36:37]
	s_waitcnt vmcnt(0) lgkmcnt(0)
	v_mul_f64 v[14:15], v[2:3], v[28:29]
	v_mul_f64 v[20:21], v[4:5], v[28:29]
	s_delay_alu instid0(VALU_DEP_4) | instskip(NEXT) | instid1(VALU_DEP_4)
	v_add_f64 v[10:11], v[10:11], v[18:19]
	v_add_f64 v[12:13], v[12:13], v[30:31]
	s_delay_alu instid0(VALU_DEP_4) | instskip(NEXT) | instid1(VALU_DEP_4)
	v_fma_f64 v[4:5], v[4:5], v[26:27], v[14:15]
	v_fma_f64 v[2:3], v[2:3], v[26:27], -v[20:21]
	s_delay_alu instid0(VALU_DEP_4) | instskip(NEXT) | instid1(VALU_DEP_4)
	v_add_f64 v[6:7], v[10:11], v[6:7]
	v_add_f64 v[8:9], v[12:13], v[8:9]
	s_delay_alu instid0(VALU_DEP_2) | instskip(NEXT) | instid1(VALU_DEP_2)
	v_add_f64 v[2:3], v[6:7], v[2:3]
	v_add_f64 v[4:5], v[8:9], v[4:5]
	s_delay_alu instid0(VALU_DEP_2) | instskip(NEXT) | instid1(VALU_DEP_2)
	v_add_f64 v[2:3], v[42:43], -v[2:3]
	v_add_f64 v[4:5], v[44:45], -v[4:5]
	scratch_store_b128 off, v[2:5], off offset:144
	v_cmpx_lt_u32_e32 8, v140
	s_cbranch_execz .LBB110_279
; %bb.278:
	scratch_load_b128 v[5:8], v179, off
	v_mov_b32_e32 v2, v1
	v_mov_b32_e32 v3, v1
	;; [unrolled: 1-line block ×3, first 2 shown]
	scratch_store_b128 off, v[1:4], off offset:128
	s_waitcnt vmcnt(0)
	ds_store_b128 v187, v[5:8]
.LBB110_279:
	s_or_b32 exec_lo, exec_lo, s2
	s_waitcnt lgkmcnt(0)
	s_waitcnt_vscnt null, 0x0
	s_barrier
	buffer_gl0_inv
	s_clause 0x8
	scratch_load_b128 v[2:5], off, off offset:144
	scratch_load_b128 v[6:9], off, off offset:160
	;; [unrolled: 1-line block ×9, first 2 shown]
	ds_load_b128 v[42:45], v1 offset:896
	ds_load_b128 v[38:41], v1 offset:912
	s_clause 0x1
	scratch_load_b128 v[188:191], off, off offset:128
	scratch_load_b128 v[192:195], off, off offset:288
	s_mov_b32 s2, exec_lo
	s_waitcnt vmcnt(10) lgkmcnt(1)
	v_mul_f64 v[196:197], v[44:45], v[4:5]
	v_mul_f64 v[4:5], v[42:43], v[4:5]
	s_waitcnt vmcnt(9) lgkmcnt(0)
	v_mul_f64 v[200:201], v[38:39], v[8:9]
	v_mul_f64 v[8:9], v[40:41], v[8:9]
	s_delay_alu instid0(VALU_DEP_4) | instskip(NEXT) | instid1(VALU_DEP_4)
	v_fma_f64 v[202:203], v[42:43], v[2:3], -v[196:197]
	v_fma_f64 v[204:205], v[44:45], v[2:3], v[4:5]
	ds_load_b128 v[2:5], v1 offset:928
	ds_load_b128 v[196:199], v1 offset:944
	scratch_load_b128 v[42:45], off, off offset:304
	v_fma_f64 v[40:41], v[40:41], v[6:7], v[200:201]
	v_fma_f64 v[38:39], v[38:39], v[6:7], -v[8:9]
	scratch_load_b128 v[6:9], off, off offset:320
	s_waitcnt vmcnt(10) lgkmcnt(1)
	v_mul_f64 v[206:207], v[2:3], v[12:13]
	v_mul_f64 v[12:13], v[4:5], v[12:13]
	v_add_f64 v[200:201], v[202:203], 0
	v_add_f64 v[202:203], v[204:205], 0
	s_waitcnt vmcnt(9) lgkmcnt(0)
	v_mul_f64 v[204:205], v[196:197], v[16:17]
	v_mul_f64 v[16:17], v[198:199], v[16:17]
	v_fma_f64 v[206:207], v[4:5], v[10:11], v[206:207]
	v_fma_f64 v[208:209], v[2:3], v[10:11], -v[12:13]
	ds_load_b128 v[2:5], v1 offset:960
	scratch_load_b128 v[10:13], off, off offset:336
	v_add_f64 v[200:201], v[200:201], v[38:39]
	v_add_f64 v[202:203], v[202:203], v[40:41]
	ds_load_b128 v[38:41], v1 offset:976
	v_fma_f64 v[198:199], v[198:199], v[14:15], v[204:205]
	v_fma_f64 v[196:197], v[196:197], v[14:15], -v[16:17]
	scratch_load_b128 v[14:17], off, off offset:352
	s_waitcnt vmcnt(10) lgkmcnt(1)
	v_mul_f64 v[210:211], v[2:3], v[20:21]
	v_mul_f64 v[20:21], v[4:5], v[20:21]
	s_waitcnt vmcnt(9) lgkmcnt(0)
	v_mul_f64 v[204:205], v[38:39], v[24:25]
	v_mul_f64 v[24:25], v[40:41], v[24:25]
	v_add_f64 v[200:201], v[200:201], v[208:209]
	v_add_f64 v[202:203], v[202:203], v[206:207]
	v_fma_f64 v[206:207], v[4:5], v[18:19], v[210:211]
	v_fma_f64 v[208:209], v[2:3], v[18:19], -v[20:21]
	ds_load_b128 v[2:5], v1 offset:992
	scratch_load_b128 v[18:21], off, off offset:368
	v_fma_f64 v[40:41], v[40:41], v[22:23], v[204:205]
	v_fma_f64 v[38:39], v[38:39], v[22:23], -v[24:25]
	scratch_load_b128 v[22:25], off, off offset:384
	v_add_f64 v[200:201], v[200:201], v[196:197]
	v_add_f64 v[202:203], v[202:203], v[198:199]
	ds_load_b128 v[196:199], v1 offset:1008
	s_waitcnt vmcnt(10) lgkmcnt(1)
	v_mul_f64 v[210:211], v[2:3], v[28:29]
	v_mul_f64 v[28:29], v[4:5], v[28:29]
	s_waitcnt vmcnt(9) lgkmcnt(0)
	v_mul_f64 v[204:205], v[196:197], v[32:33]
	v_mul_f64 v[32:33], v[198:199], v[32:33]
	v_add_f64 v[200:201], v[200:201], v[208:209]
	v_add_f64 v[202:203], v[202:203], v[206:207]
	v_fma_f64 v[206:207], v[4:5], v[26:27], v[210:211]
	v_fma_f64 v[208:209], v[2:3], v[26:27], -v[28:29]
	ds_load_b128 v[2:5], v1 offset:1024
	scratch_load_b128 v[26:29], off, off offset:400
	v_fma_f64 v[198:199], v[198:199], v[30:31], v[204:205]
	v_fma_f64 v[196:197], v[196:197], v[30:31], -v[32:33]
	scratch_load_b128 v[30:33], off, off offset:416
	v_add_f64 v[200:201], v[200:201], v[38:39]
	v_add_f64 v[202:203], v[202:203], v[40:41]
	ds_load_b128 v[38:41], v1 offset:1040
	s_waitcnt vmcnt(10) lgkmcnt(1)
	v_mul_f64 v[210:211], v[2:3], v[36:37]
	v_mul_f64 v[36:37], v[4:5], v[36:37]
	s_waitcnt vmcnt(8) lgkmcnt(0)
	v_mul_f64 v[204:205], v[38:39], v[194:195]
	v_add_f64 v[200:201], v[200:201], v[208:209]
	v_add_f64 v[202:203], v[202:203], v[206:207]
	v_mul_f64 v[206:207], v[40:41], v[194:195]
	v_fma_f64 v[208:209], v[4:5], v[34:35], v[210:211]
	v_fma_f64 v[210:211], v[2:3], v[34:35], -v[36:37]
	ds_load_b128 v[2:5], v1 offset:1056
	scratch_load_b128 v[34:37], off, off offset:432
	v_fma_f64 v[204:205], v[40:41], v[192:193], v[204:205]
	v_add_f64 v[200:201], v[200:201], v[196:197]
	v_add_f64 v[198:199], v[202:203], v[198:199]
	ds_load_b128 v[194:197], v1 offset:1072
	v_fma_f64 v[192:193], v[38:39], v[192:193], -v[206:207]
	scratch_load_b128 v[38:41], off, off offset:448
	s_waitcnt vmcnt(9) lgkmcnt(1)
	v_mul_f64 v[202:203], v[2:3], v[44:45]
	v_mul_f64 v[44:45], v[4:5], v[44:45]
	s_waitcnt vmcnt(8) lgkmcnt(0)
	v_mul_f64 v[206:207], v[194:195], v[8:9]
	v_mul_f64 v[8:9], v[196:197], v[8:9]
	v_add_f64 v[200:201], v[200:201], v[210:211]
	v_add_f64 v[198:199], v[198:199], v[208:209]
	v_fma_f64 v[202:203], v[4:5], v[42:43], v[202:203]
	v_fma_f64 v[208:209], v[2:3], v[42:43], -v[44:45]
	ds_load_b128 v[2:5], v1 offset:1088
	scratch_load_b128 v[42:45], off, off offset:464
	v_fma_f64 v[196:197], v[196:197], v[6:7], v[206:207]
	v_fma_f64 v[194:195], v[194:195], v[6:7], -v[8:9]
	scratch_load_b128 v[6:9], off, off offset:480
	v_add_f64 v[192:193], v[200:201], v[192:193]
	v_add_f64 v[204:205], v[198:199], v[204:205]
	ds_load_b128 v[198:201], v1 offset:1104
	s_waitcnt vmcnt(9) lgkmcnt(1)
	v_mul_f64 v[210:211], v[2:3], v[12:13]
	v_mul_f64 v[12:13], v[4:5], v[12:13]
	v_add_f64 v[192:193], v[192:193], v[208:209]
	v_add_f64 v[202:203], v[204:205], v[202:203]
	s_waitcnt vmcnt(8) lgkmcnt(0)
	v_mul_f64 v[204:205], v[198:199], v[16:17]
	v_mul_f64 v[16:17], v[200:201], v[16:17]
	v_fma_f64 v[206:207], v[4:5], v[10:11], v[210:211]
	v_fma_f64 v[208:209], v[2:3], v[10:11], -v[12:13]
	ds_load_b128 v[2:5], v1 offset:1120
	scratch_load_b128 v[10:13], off, off offset:496
	v_add_f64 v[210:211], v[192:193], v[194:195]
	v_add_f64 v[196:197], v[202:203], v[196:197]
	ds_load_b128 v[192:195], v1 offset:1136
	s_waitcnt vmcnt(8) lgkmcnt(1)
	v_mul_f64 v[202:203], v[2:3], v[20:21]
	v_mul_f64 v[20:21], v[4:5], v[20:21]
	v_fma_f64 v[200:201], v[200:201], v[14:15], v[204:205]
	v_fma_f64 v[198:199], v[198:199], v[14:15], -v[16:17]
	scratch_load_b128 v[14:17], off, off offset:512
	v_add_f64 v[204:205], v[210:211], v[208:209]
	v_add_f64 v[196:197], v[196:197], v[206:207]
	s_waitcnt vmcnt(8) lgkmcnt(0)
	v_mul_f64 v[206:207], v[192:193], v[24:25]
	v_mul_f64 v[24:25], v[194:195], v[24:25]
	v_fma_f64 v[202:203], v[4:5], v[18:19], v[202:203]
	v_fma_f64 v[208:209], v[2:3], v[18:19], -v[20:21]
	ds_load_b128 v[2:5], v1 offset:1152
	scratch_load_b128 v[18:21], off, off offset:528
	v_add_f64 v[204:205], v[204:205], v[198:199]
	v_add_f64 v[200:201], v[196:197], v[200:201]
	ds_load_b128 v[196:199], v1 offset:1168
	s_waitcnt vmcnt(8) lgkmcnt(1)
	v_mul_f64 v[210:211], v[2:3], v[28:29]
	v_mul_f64 v[28:29], v[4:5], v[28:29]
	v_fma_f64 v[194:195], v[194:195], v[22:23], v[206:207]
	v_fma_f64 v[192:193], v[192:193], v[22:23], -v[24:25]
	scratch_load_b128 v[22:25], off, off offset:544
	;; [unrolled: 18-line block ×4, first 2 shown]
	s_waitcnt vmcnt(8) lgkmcnt(0)
	v_mul_f64 v[204:205], v[196:197], v[8:9]
	v_mul_f64 v[8:9], v[198:199], v[8:9]
	v_add_f64 v[202:203], v[202:203], v[208:209]
	v_add_f64 v[200:201], v[200:201], v[206:207]
	v_fma_f64 v[206:207], v[4:5], v[42:43], v[210:211]
	v_fma_f64 v[208:209], v[2:3], v[42:43], -v[44:45]
	ds_load_b128 v[2:5], v1 offset:1248
	scratch_load_b128 v[42:45], off, off offset:624
	v_fma_f64 v[198:199], v[198:199], v[6:7], v[204:205]
	v_fma_f64 v[196:197], v[196:197], v[6:7], -v[8:9]
	scratch_load_b128 v[6:9], off, off offset:640
	v_add_f64 v[202:203], v[202:203], v[192:193]
	v_add_f64 v[200:201], v[200:201], v[194:195]
	ds_load_b128 v[192:195], v1 offset:1264
	s_waitcnt vmcnt(9) lgkmcnt(1)
	v_mul_f64 v[210:211], v[2:3], v[12:13]
	v_mul_f64 v[12:13], v[4:5], v[12:13]
	s_waitcnt vmcnt(8) lgkmcnt(0)
	v_mul_f64 v[204:205], v[192:193], v[16:17]
	v_mul_f64 v[16:17], v[194:195], v[16:17]
	v_add_f64 v[202:203], v[202:203], v[208:209]
	v_add_f64 v[200:201], v[200:201], v[206:207]
	v_fma_f64 v[206:207], v[4:5], v[10:11], v[210:211]
	v_fma_f64 v[208:209], v[2:3], v[10:11], -v[12:13]
	ds_load_b128 v[2:5], v1 offset:1280
	scratch_load_b128 v[10:13], off, off offset:656
	v_fma_f64 v[194:195], v[194:195], v[14:15], v[204:205]
	v_fma_f64 v[192:193], v[192:193], v[14:15], -v[16:17]
	scratch_load_b128 v[14:17], off, off offset:672
	v_add_f64 v[202:203], v[202:203], v[196:197]
	v_add_f64 v[200:201], v[200:201], v[198:199]
	ds_load_b128 v[196:199], v1 offset:1296
	s_waitcnt vmcnt(9) lgkmcnt(1)
	v_mul_f64 v[210:211], v[2:3], v[20:21]
	v_mul_f64 v[20:21], v[4:5], v[20:21]
	;; [unrolled: 18-line block ×4, first 2 shown]
	s_waitcnt vmcnt(8) lgkmcnt(0)
	v_mul_f64 v[204:205], v[196:197], v[40:41]
	v_mul_f64 v[40:41], v[198:199], v[40:41]
	v_add_f64 v[202:203], v[202:203], v[208:209]
	v_add_f64 v[200:201], v[200:201], v[206:207]
	v_fma_f64 v[206:207], v[4:5], v[34:35], v[210:211]
	v_fma_f64 v[208:209], v[2:3], v[34:35], -v[36:37]
	ds_load_b128 v[2:5], v1 offset:1376
	ds_load_b128 v[34:37], v1 offset:1392
	v_fma_f64 v[198:199], v[198:199], v[38:39], v[204:205]
	v_fma_f64 v[38:39], v[196:197], v[38:39], -v[40:41]
	v_add_f64 v[192:193], v[202:203], v[192:193]
	v_add_f64 v[194:195], v[200:201], v[194:195]
	s_waitcnt vmcnt(7) lgkmcnt(1)
	v_mul_f64 v[200:201], v[2:3], v[44:45]
	v_mul_f64 v[44:45], v[4:5], v[44:45]
	s_delay_alu instid0(VALU_DEP_4) | instskip(NEXT) | instid1(VALU_DEP_4)
	v_add_f64 v[40:41], v[192:193], v[208:209]
	v_add_f64 v[192:193], v[194:195], v[206:207]
	s_waitcnt vmcnt(6) lgkmcnt(0)
	v_mul_f64 v[194:195], v[34:35], v[8:9]
	v_mul_f64 v[8:9], v[36:37], v[8:9]
	v_fma_f64 v[196:197], v[4:5], v[42:43], v[200:201]
	v_fma_f64 v[42:43], v[2:3], v[42:43], -v[44:45]
	v_add_f64 v[44:45], v[40:41], v[38:39]
	v_add_f64 v[192:193], v[192:193], v[198:199]
	ds_load_b128 v[2:5], v1 offset:1408
	ds_load_b128 v[38:41], v1 offset:1424
	v_fma_f64 v[36:37], v[36:37], v[6:7], v[194:195]
	v_fma_f64 v[6:7], v[34:35], v[6:7], -v[8:9]
	s_waitcnt vmcnt(5) lgkmcnt(1)
	v_mul_f64 v[198:199], v[2:3], v[12:13]
	v_mul_f64 v[12:13], v[4:5], v[12:13]
	v_add_f64 v[8:9], v[44:45], v[42:43]
	v_add_f64 v[34:35], v[192:193], v[196:197]
	s_waitcnt vmcnt(4) lgkmcnt(0)
	v_mul_f64 v[42:43], v[38:39], v[16:17]
	v_mul_f64 v[16:17], v[40:41], v[16:17]
	v_fma_f64 v[44:45], v[4:5], v[10:11], v[198:199]
	v_fma_f64 v[10:11], v[2:3], v[10:11], -v[12:13]
	v_add_f64 v[12:13], v[8:9], v[6:7]
	v_add_f64 v[34:35], v[34:35], v[36:37]
	ds_load_b128 v[2:5], v1 offset:1440
	ds_load_b128 v[6:9], v1 offset:1456
	v_fma_f64 v[40:41], v[40:41], v[14:15], v[42:43]
	v_fma_f64 v[14:15], v[38:39], v[14:15], -v[16:17]
	s_waitcnt vmcnt(3) lgkmcnt(1)
	v_mul_f64 v[36:37], v[2:3], v[20:21]
	v_mul_f64 v[20:21], v[4:5], v[20:21]
	s_waitcnt vmcnt(2) lgkmcnt(0)
	v_mul_f64 v[16:17], v[6:7], v[24:25]
	v_mul_f64 v[24:25], v[8:9], v[24:25]
	v_add_f64 v[10:11], v[12:13], v[10:11]
	v_add_f64 v[12:13], v[34:35], v[44:45]
	v_fma_f64 v[34:35], v[4:5], v[18:19], v[36:37]
	v_fma_f64 v[18:19], v[2:3], v[18:19], -v[20:21]
	v_fma_f64 v[8:9], v[8:9], v[22:23], v[16:17]
	v_fma_f64 v[6:7], v[6:7], v[22:23], -v[24:25]
	v_add_f64 v[14:15], v[10:11], v[14:15]
	v_add_f64 v[20:21], v[12:13], v[40:41]
	ds_load_b128 v[2:5], v1 offset:1472
	ds_load_b128 v[10:13], v1 offset:1488
	s_waitcnt vmcnt(1) lgkmcnt(1)
	v_mul_f64 v[36:37], v[2:3], v[28:29]
	v_mul_f64 v[28:29], v[4:5], v[28:29]
	v_add_f64 v[14:15], v[14:15], v[18:19]
	v_add_f64 v[16:17], v[20:21], v[34:35]
	s_waitcnt vmcnt(0) lgkmcnt(0)
	v_mul_f64 v[18:19], v[10:11], v[32:33]
	v_mul_f64 v[20:21], v[12:13], v[32:33]
	v_fma_f64 v[4:5], v[4:5], v[26:27], v[36:37]
	v_fma_f64 v[1:2], v[2:3], v[26:27], -v[28:29]
	v_add_f64 v[6:7], v[14:15], v[6:7]
	v_add_f64 v[8:9], v[16:17], v[8:9]
	v_fma_f64 v[12:13], v[12:13], v[30:31], v[18:19]
	v_fma_f64 v[10:11], v[10:11], v[30:31], -v[20:21]
	s_delay_alu instid0(VALU_DEP_4) | instskip(NEXT) | instid1(VALU_DEP_4)
	v_add_f64 v[1:2], v[6:7], v[1:2]
	v_add_f64 v[3:4], v[8:9], v[4:5]
	s_delay_alu instid0(VALU_DEP_2) | instskip(NEXT) | instid1(VALU_DEP_2)
	v_add_f64 v[1:2], v[1:2], v[10:11]
	v_add_f64 v[3:4], v[3:4], v[12:13]
	s_delay_alu instid0(VALU_DEP_2) | instskip(NEXT) | instid1(VALU_DEP_2)
	v_add_f64 v[1:2], v[188:189], -v[1:2]
	v_add_f64 v[3:4], v[190:191], -v[3:4]
	scratch_store_b128 off, v[1:4], off offset:128
	v_cmpx_lt_u32_e32 7, v140
	s_cbranch_execz .LBB110_281
; %bb.280:
	scratch_load_b128 v[1:4], v180, off
	v_mov_b32_e32 v5, 0
	s_delay_alu instid0(VALU_DEP_1)
	v_mov_b32_e32 v6, v5
	v_mov_b32_e32 v7, v5
	;; [unrolled: 1-line block ×3, first 2 shown]
	scratch_store_b128 off, v[5:8], off offset:112
	s_waitcnt vmcnt(0)
	ds_store_b128 v187, v[1:4]
.LBB110_281:
	s_or_b32 exec_lo, exec_lo, s2
	s_waitcnt lgkmcnt(0)
	s_waitcnt_vscnt null, 0x0
	s_barrier
	buffer_gl0_inv
	s_clause 0x7
	scratch_load_b128 v[2:5], off, off offset:128
	scratch_load_b128 v[6:9], off, off offset:144
	;; [unrolled: 1-line block ×8, first 2 shown]
	v_mov_b32_e32 v1, 0
	s_mov_b32 s2, exec_lo
	ds_load_b128 v[38:41], v1 offset:880
	s_clause 0x1
	scratch_load_b128 v[34:37], off, off offset:256
	scratch_load_b128 v[42:45], off, off offset:112
	ds_load_b128 v[188:191], v1 offset:896
	scratch_load_b128 v[192:195], off, off offset:272
	s_waitcnt vmcnt(10) lgkmcnt(1)
	v_mul_f64 v[196:197], v[40:41], v[4:5]
	v_mul_f64 v[4:5], v[38:39], v[4:5]
	s_delay_alu instid0(VALU_DEP_2) | instskip(NEXT) | instid1(VALU_DEP_2)
	v_fma_f64 v[202:203], v[38:39], v[2:3], -v[196:197]
	v_fma_f64 v[204:205], v[40:41], v[2:3], v[4:5]
	scratch_load_b128 v[38:41], off, off offset:288
	ds_load_b128 v[2:5], v1 offset:912
	s_waitcnt vmcnt(10) lgkmcnt(1)
	v_mul_f64 v[200:201], v[188:189], v[8:9]
	v_mul_f64 v[8:9], v[190:191], v[8:9]
	ds_load_b128 v[196:199], v1 offset:928
	s_waitcnt vmcnt(9) lgkmcnt(1)
	v_mul_f64 v[206:207], v[2:3], v[12:13]
	v_mul_f64 v[12:13], v[4:5], v[12:13]
	v_fma_f64 v[190:191], v[190:191], v[6:7], v[200:201]
	v_fma_f64 v[188:189], v[188:189], v[6:7], -v[8:9]
	v_add_f64 v[200:201], v[202:203], 0
	v_add_f64 v[202:203], v[204:205], 0
	scratch_load_b128 v[6:9], off, off offset:304
	v_fma_f64 v[206:207], v[4:5], v[10:11], v[206:207]
	v_fma_f64 v[208:209], v[2:3], v[10:11], -v[12:13]
	scratch_load_b128 v[10:13], off, off offset:320
	ds_load_b128 v[2:5], v1 offset:944
	s_waitcnt vmcnt(10) lgkmcnt(1)
	v_mul_f64 v[204:205], v[196:197], v[16:17]
	v_mul_f64 v[16:17], v[198:199], v[16:17]
	v_add_f64 v[200:201], v[200:201], v[188:189]
	v_add_f64 v[202:203], v[202:203], v[190:191]
	s_waitcnt vmcnt(9) lgkmcnt(0)
	v_mul_f64 v[210:211], v[2:3], v[20:21]
	v_mul_f64 v[20:21], v[4:5], v[20:21]
	ds_load_b128 v[188:191], v1 offset:960
	v_fma_f64 v[198:199], v[198:199], v[14:15], v[204:205]
	v_fma_f64 v[196:197], v[196:197], v[14:15], -v[16:17]
	scratch_load_b128 v[14:17], off, off offset:336
	v_add_f64 v[200:201], v[200:201], v[208:209]
	v_add_f64 v[202:203], v[202:203], v[206:207]
	v_fma_f64 v[206:207], v[4:5], v[18:19], v[210:211]
	v_fma_f64 v[208:209], v[2:3], v[18:19], -v[20:21]
	scratch_load_b128 v[18:21], off, off offset:352
	ds_load_b128 v[2:5], v1 offset:976
	s_waitcnt vmcnt(10) lgkmcnt(1)
	v_mul_f64 v[204:205], v[188:189], v[24:25]
	v_mul_f64 v[24:25], v[190:191], v[24:25]
	s_waitcnt vmcnt(9) lgkmcnt(0)
	v_mul_f64 v[210:211], v[2:3], v[28:29]
	v_mul_f64 v[28:29], v[4:5], v[28:29]
	v_add_f64 v[200:201], v[200:201], v[196:197]
	v_add_f64 v[202:203], v[202:203], v[198:199]
	ds_load_b128 v[196:199], v1 offset:992
	v_fma_f64 v[190:191], v[190:191], v[22:23], v[204:205]
	v_fma_f64 v[188:189], v[188:189], v[22:23], -v[24:25]
	scratch_load_b128 v[22:25], off, off offset:368
	v_add_f64 v[200:201], v[200:201], v[208:209]
	v_add_f64 v[202:203], v[202:203], v[206:207]
	v_fma_f64 v[206:207], v[4:5], v[26:27], v[210:211]
	v_fma_f64 v[208:209], v[2:3], v[26:27], -v[28:29]
	scratch_load_b128 v[26:29], off, off offset:384
	ds_load_b128 v[2:5], v1 offset:1008
	s_waitcnt vmcnt(10) lgkmcnt(1)
	v_mul_f64 v[204:205], v[196:197], v[32:33]
	v_mul_f64 v[32:33], v[198:199], v[32:33]
	s_waitcnt vmcnt(9) lgkmcnt(0)
	v_mul_f64 v[210:211], v[2:3], v[36:37]
	v_mul_f64 v[36:37], v[4:5], v[36:37]
	v_add_f64 v[200:201], v[200:201], v[188:189]
	v_add_f64 v[202:203], v[202:203], v[190:191]
	ds_load_b128 v[188:191], v1 offset:1024
	v_fma_f64 v[198:199], v[198:199], v[30:31], v[204:205]
	v_fma_f64 v[196:197], v[196:197], v[30:31], -v[32:33]
	scratch_load_b128 v[30:33], off, off offset:400
	v_add_f64 v[200:201], v[200:201], v[208:209]
	v_add_f64 v[202:203], v[202:203], v[206:207]
	v_fma_f64 v[208:209], v[4:5], v[34:35], v[210:211]
	v_fma_f64 v[210:211], v[2:3], v[34:35], -v[36:37]
	scratch_load_b128 v[34:37], off, off offset:416
	ds_load_b128 v[2:5], v1 offset:1040
	s_waitcnt vmcnt(9) lgkmcnt(1)
	v_mul_f64 v[204:205], v[188:189], v[194:195]
	v_mul_f64 v[206:207], v[190:191], v[194:195]
	v_add_f64 v[200:201], v[200:201], v[196:197]
	v_add_f64 v[198:199], v[202:203], v[198:199]
	ds_load_b128 v[194:197], v1 offset:1056
	v_fma_f64 v[204:205], v[190:191], v[192:193], v[204:205]
	v_fma_f64 v[192:193], v[188:189], v[192:193], -v[206:207]
	scratch_load_b128 v[188:191], off, off offset:432
	s_waitcnt vmcnt(9) lgkmcnt(1)
	v_mul_f64 v[202:203], v[2:3], v[40:41]
	v_mul_f64 v[40:41], v[4:5], v[40:41]
	v_add_f64 v[200:201], v[200:201], v[210:211]
	v_add_f64 v[198:199], v[198:199], v[208:209]
	s_delay_alu instid0(VALU_DEP_4) | instskip(NEXT) | instid1(VALU_DEP_4)
	v_fma_f64 v[202:203], v[4:5], v[38:39], v[202:203]
	v_fma_f64 v[208:209], v[2:3], v[38:39], -v[40:41]
	scratch_load_b128 v[38:41], off, off offset:448
	ds_load_b128 v[2:5], v1 offset:1072
	s_waitcnt vmcnt(9) lgkmcnt(1)
	v_mul_f64 v[206:207], v[194:195], v[8:9]
	v_mul_f64 v[8:9], v[196:197], v[8:9]
	s_waitcnt vmcnt(8) lgkmcnt(0)
	v_mul_f64 v[210:211], v[2:3], v[12:13]
	v_mul_f64 v[12:13], v[4:5], v[12:13]
	v_add_f64 v[192:193], v[200:201], v[192:193]
	v_add_f64 v[204:205], v[198:199], v[204:205]
	ds_load_b128 v[198:201], v1 offset:1088
	v_fma_f64 v[196:197], v[196:197], v[6:7], v[206:207]
	v_fma_f64 v[194:195], v[194:195], v[6:7], -v[8:9]
	scratch_load_b128 v[6:9], off, off offset:464
	v_fma_f64 v[206:207], v[4:5], v[10:11], v[210:211]
	v_add_f64 v[192:193], v[192:193], v[208:209]
	v_add_f64 v[202:203], v[204:205], v[202:203]
	v_fma_f64 v[208:209], v[2:3], v[10:11], -v[12:13]
	scratch_load_b128 v[10:13], off, off offset:480
	ds_load_b128 v[2:5], v1 offset:1104
	s_waitcnt vmcnt(9) lgkmcnt(1)
	v_mul_f64 v[204:205], v[198:199], v[16:17]
	v_mul_f64 v[16:17], v[200:201], v[16:17]
	v_add_f64 v[210:211], v[192:193], v[194:195]
	v_add_f64 v[196:197], v[202:203], v[196:197]
	s_waitcnt vmcnt(8) lgkmcnt(0)
	v_mul_f64 v[202:203], v[2:3], v[20:21]
	v_mul_f64 v[20:21], v[4:5], v[20:21]
	ds_load_b128 v[192:195], v1 offset:1120
	v_fma_f64 v[200:201], v[200:201], v[14:15], v[204:205]
	v_fma_f64 v[198:199], v[198:199], v[14:15], -v[16:17]
	scratch_load_b128 v[14:17], off, off offset:496
	v_add_f64 v[204:205], v[210:211], v[208:209]
	v_add_f64 v[196:197], v[196:197], v[206:207]
	v_fma_f64 v[202:203], v[4:5], v[18:19], v[202:203]
	v_fma_f64 v[208:209], v[2:3], v[18:19], -v[20:21]
	scratch_load_b128 v[18:21], off, off offset:512
	ds_load_b128 v[2:5], v1 offset:1136
	s_waitcnt vmcnt(9) lgkmcnt(1)
	v_mul_f64 v[206:207], v[192:193], v[24:25]
	v_mul_f64 v[24:25], v[194:195], v[24:25]
	s_waitcnt vmcnt(8) lgkmcnt(0)
	v_mul_f64 v[210:211], v[2:3], v[28:29]
	v_mul_f64 v[28:29], v[4:5], v[28:29]
	v_add_f64 v[204:205], v[204:205], v[198:199]
	v_add_f64 v[200:201], v[196:197], v[200:201]
	ds_load_b128 v[196:199], v1 offset:1152
	v_fma_f64 v[194:195], v[194:195], v[22:23], v[206:207]
	v_fma_f64 v[192:193], v[192:193], v[22:23], -v[24:25]
	scratch_load_b128 v[22:25], off, off offset:528
	v_fma_f64 v[206:207], v[4:5], v[26:27], v[210:211]
	v_add_f64 v[204:205], v[204:205], v[208:209]
	v_add_f64 v[200:201], v[200:201], v[202:203]
	v_fma_f64 v[208:209], v[2:3], v[26:27], -v[28:29]
	scratch_load_b128 v[26:29], off, off offset:544
	ds_load_b128 v[2:5], v1 offset:1168
	s_waitcnt vmcnt(9) lgkmcnt(1)
	v_mul_f64 v[202:203], v[196:197], v[32:33]
	v_mul_f64 v[32:33], v[198:199], v[32:33]
	s_waitcnt vmcnt(8) lgkmcnt(0)
	v_mul_f64 v[210:211], v[2:3], v[36:37]
	v_mul_f64 v[36:37], v[4:5], v[36:37]
	v_add_f64 v[204:205], v[204:205], v[192:193]
	v_add_f64 v[200:201], v[200:201], v[194:195]
	ds_load_b128 v[192:195], v1 offset:1184
	v_fma_f64 v[198:199], v[198:199], v[30:31], v[202:203]
	v_fma_f64 v[196:197], v[196:197], v[30:31], -v[32:33]
	scratch_load_b128 v[30:33], off, off offset:560
	v_add_f64 v[202:203], v[204:205], v[208:209]
	v_add_f64 v[200:201], v[200:201], v[206:207]
	v_fma_f64 v[206:207], v[4:5], v[34:35], v[210:211]
	v_fma_f64 v[208:209], v[2:3], v[34:35], -v[36:37]
	scratch_load_b128 v[34:37], off, off offset:576
	ds_load_b128 v[2:5], v1 offset:1200
	s_waitcnt vmcnt(9) lgkmcnt(1)
	v_mul_f64 v[204:205], v[192:193], v[190:191]
	v_mul_f64 v[190:191], v[194:195], v[190:191]
	s_waitcnt vmcnt(8) lgkmcnt(0)
	v_mul_f64 v[210:211], v[2:3], v[40:41]
	v_mul_f64 v[40:41], v[4:5], v[40:41]
	v_add_f64 v[202:203], v[202:203], v[196:197]
	v_add_f64 v[200:201], v[200:201], v[198:199]
	ds_load_b128 v[196:199], v1 offset:1216
	v_fma_f64 v[194:195], v[194:195], v[188:189], v[204:205]
	v_fma_f64 v[192:193], v[192:193], v[188:189], -v[190:191]
	scratch_load_b128 v[188:191], off, off offset:592
	v_add_f64 v[202:203], v[202:203], v[208:209]
	v_add_f64 v[200:201], v[200:201], v[206:207]
	v_fma_f64 v[206:207], v[4:5], v[38:39], v[210:211]
	;; [unrolled: 18-line block ×6, first 2 shown]
	v_fma_f64 v[210:211], v[2:3], v[34:35], -v[36:37]
	scratch_load_b128 v[34:37], off, off offset:736
	ds_load_b128 v[2:5], v1 offset:1360
	s_waitcnt vmcnt(9) lgkmcnt(1)
	v_mul_f64 v[204:205], v[196:197], v[190:191]
	v_mul_f64 v[206:207], v[198:199], v[190:191]
	v_add_f64 v[202:203], v[202:203], v[192:193]
	v_add_f64 v[194:195], v[200:201], v[194:195]
	s_waitcnt vmcnt(8) lgkmcnt(0)
	v_mul_f64 v[200:201], v[2:3], v[40:41]
	v_mul_f64 v[40:41], v[4:5], v[40:41]
	ds_load_b128 v[190:193], v1 offset:1376
	v_fma_f64 v[198:199], v[198:199], v[188:189], v[204:205]
	v_fma_f64 v[188:189], v[196:197], v[188:189], -v[206:207]
	v_add_f64 v[196:197], v[202:203], v[210:211]
	v_add_f64 v[194:195], v[194:195], v[208:209]
	s_waitcnt vmcnt(7) lgkmcnt(0)
	v_mul_f64 v[202:203], v[190:191], v[8:9]
	v_mul_f64 v[8:9], v[192:193], v[8:9]
	v_fma_f64 v[200:201], v[4:5], v[38:39], v[200:201]
	v_fma_f64 v[204:205], v[2:3], v[38:39], -v[40:41]
	ds_load_b128 v[2:5], v1 offset:1392
	ds_load_b128 v[38:41], v1 offset:1408
	v_add_f64 v[188:189], v[196:197], v[188:189]
	v_add_f64 v[194:195], v[194:195], v[198:199]
	s_waitcnt vmcnt(6) lgkmcnt(1)
	v_mul_f64 v[196:197], v[2:3], v[12:13]
	v_mul_f64 v[12:13], v[4:5], v[12:13]
	v_fma_f64 v[192:193], v[192:193], v[6:7], v[202:203]
	v_fma_f64 v[6:7], v[190:191], v[6:7], -v[8:9]
	s_waitcnt vmcnt(5) lgkmcnt(0)
	v_mul_f64 v[190:191], v[38:39], v[16:17]
	v_mul_f64 v[16:17], v[40:41], v[16:17]
	v_add_f64 v[8:9], v[188:189], v[204:205]
	v_add_f64 v[188:189], v[194:195], v[200:201]
	v_fma_f64 v[194:195], v[4:5], v[10:11], v[196:197]
	v_fma_f64 v[10:11], v[2:3], v[10:11], -v[12:13]
	v_fma_f64 v[40:41], v[40:41], v[14:15], v[190:191]
	v_fma_f64 v[14:15], v[38:39], v[14:15], -v[16:17]
	v_add_f64 v[12:13], v[8:9], v[6:7]
	v_add_f64 v[188:189], v[188:189], v[192:193]
	ds_load_b128 v[2:5], v1 offset:1424
	ds_load_b128 v[6:9], v1 offset:1440
	s_waitcnt vmcnt(4) lgkmcnt(1)
	v_mul_f64 v[192:193], v[2:3], v[20:21]
	v_mul_f64 v[20:21], v[4:5], v[20:21]
	s_waitcnt vmcnt(3) lgkmcnt(0)
	v_mul_f64 v[16:17], v[6:7], v[24:25]
	v_mul_f64 v[24:25], v[8:9], v[24:25]
	v_add_f64 v[10:11], v[12:13], v[10:11]
	v_add_f64 v[12:13], v[188:189], v[194:195]
	v_fma_f64 v[38:39], v[4:5], v[18:19], v[192:193]
	v_fma_f64 v[18:19], v[2:3], v[18:19], -v[20:21]
	v_fma_f64 v[8:9], v[8:9], v[22:23], v[16:17]
	v_fma_f64 v[6:7], v[6:7], v[22:23], -v[24:25]
	v_add_f64 v[14:15], v[10:11], v[14:15]
	v_add_f64 v[20:21], v[12:13], v[40:41]
	ds_load_b128 v[2:5], v1 offset:1456
	ds_load_b128 v[10:13], v1 offset:1472
	s_waitcnt vmcnt(2) lgkmcnt(1)
	v_mul_f64 v[40:41], v[2:3], v[28:29]
	v_mul_f64 v[28:29], v[4:5], v[28:29]
	v_add_f64 v[14:15], v[14:15], v[18:19]
	v_add_f64 v[16:17], v[20:21], v[38:39]
	s_waitcnt vmcnt(1) lgkmcnt(0)
	v_mul_f64 v[18:19], v[10:11], v[32:33]
	v_mul_f64 v[20:21], v[12:13], v[32:33]
	v_fma_f64 v[22:23], v[4:5], v[26:27], v[40:41]
	v_fma_f64 v[24:25], v[2:3], v[26:27], -v[28:29]
	ds_load_b128 v[2:5], v1 offset:1488
	v_add_f64 v[6:7], v[14:15], v[6:7]
	v_add_f64 v[8:9], v[16:17], v[8:9]
	v_fma_f64 v[12:13], v[12:13], v[30:31], v[18:19]
	v_fma_f64 v[10:11], v[10:11], v[30:31], -v[20:21]
	s_waitcnt vmcnt(0) lgkmcnt(0)
	v_mul_f64 v[14:15], v[2:3], v[36:37]
	v_mul_f64 v[16:17], v[4:5], v[36:37]
	v_add_f64 v[6:7], v[6:7], v[24:25]
	v_add_f64 v[8:9], v[8:9], v[22:23]
	s_delay_alu instid0(VALU_DEP_4) | instskip(NEXT) | instid1(VALU_DEP_4)
	v_fma_f64 v[4:5], v[4:5], v[34:35], v[14:15]
	v_fma_f64 v[2:3], v[2:3], v[34:35], -v[16:17]
	s_delay_alu instid0(VALU_DEP_4) | instskip(NEXT) | instid1(VALU_DEP_4)
	v_add_f64 v[6:7], v[6:7], v[10:11]
	v_add_f64 v[8:9], v[8:9], v[12:13]
	s_delay_alu instid0(VALU_DEP_2) | instskip(NEXT) | instid1(VALU_DEP_2)
	v_add_f64 v[2:3], v[6:7], v[2:3]
	v_add_f64 v[4:5], v[8:9], v[4:5]
	s_delay_alu instid0(VALU_DEP_2) | instskip(NEXT) | instid1(VALU_DEP_2)
	v_add_f64 v[2:3], v[42:43], -v[2:3]
	v_add_f64 v[4:5], v[44:45], -v[4:5]
	scratch_store_b128 off, v[2:5], off offset:112
	v_cmpx_lt_u32_e32 6, v140
	s_cbranch_execz .LBB110_283
; %bb.282:
	scratch_load_b128 v[5:8], v181, off
	v_mov_b32_e32 v2, v1
	v_mov_b32_e32 v3, v1
	v_mov_b32_e32 v4, v1
	scratch_store_b128 off, v[1:4], off offset:96
	s_waitcnt vmcnt(0)
	ds_store_b128 v187, v[5:8]
.LBB110_283:
	s_or_b32 exec_lo, exec_lo, s2
	s_waitcnt lgkmcnt(0)
	s_waitcnt_vscnt null, 0x0
	s_barrier
	buffer_gl0_inv
	s_clause 0x8
	scratch_load_b128 v[2:5], off, off offset:112
	scratch_load_b128 v[6:9], off, off offset:128
	;; [unrolled: 1-line block ×9, first 2 shown]
	ds_load_b128 v[42:45], v1 offset:864
	ds_load_b128 v[38:41], v1 offset:880
	s_clause 0x1
	scratch_load_b128 v[188:191], off, off offset:96
	scratch_load_b128 v[192:195], off, off offset:256
	s_mov_b32 s2, exec_lo
	s_waitcnt vmcnt(10) lgkmcnt(1)
	v_mul_f64 v[196:197], v[44:45], v[4:5]
	v_mul_f64 v[4:5], v[42:43], v[4:5]
	s_waitcnt vmcnt(9) lgkmcnt(0)
	v_mul_f64 v[200:201], v[38:39], v[8:9]
	v_mul_f64 v[8:9], v[40:41], v[8:9]
	s_delay_alu instid0(VALU_DEP_4) | instskip(NEXT) | instid1(VALU_DEP_4)
	v_fma_f64 v[202:203], v[42:43], v[2:3], -v[196:197]
	v_fma_f64 v[204:205], v[44:45], v[2:3], v[4:5]
	ds_load_b128 v[2:5], v1 offset:896
	ds_load_b128 v[196:199], v1 offset:912
	scratch_load_b128 v[42:45], off, off offset:272
	v_fma_f64 v[40:41], v[40:41], v[6:7], v[200:201]
	v_fma_f64 v[38:39], v[38:39], v[6:7], -v[8:9]
	scratch_load_b128 v[6:9], off, off offset:288
	s_waitcnt vmcnt(10) lgkmcnt(1)
	v_mul_f64 v[206:207], v[2:3], v[12:13]
	v_mul_f64 v[12:13], v[4:5], v[12:13]
	v_add_f64 v[200:201], v[202:203], 0
	v_add_f64 v[202:203], v[204:205], 0
	s_waitcnt vmcnt(9) lgkmcnt(0)
	v_mul_f64 v[204:205], v[196:197], v[16:17]
	v_mul_f64 v[16:17], v[198:199], v[16:17]
	v_fma_f64 v[206:207], v[4:5], v[10:11], v[206:207]
	v_fma_f64 v[208:209], v[2:3], v[10:11], -v[12:13]
	ds_load_b128 v[2:5], v1 offset:928
	scratch_load_b128 v[10:13], off, off offset:304
	v_add_f64 v[200:201], v[200:201], v[38:39]
	v_add_f64 v[202:203], v[202:203], v[40:41]
	ds_load_b128 v[38:41], v1 offset:944
	v_fma_f64 v[198:199], v[198:199], v[14:15], v[204:205]
	v_fma_f64 v[196:197], v[196:197], v[14:15], -v[16:17]
	scratch_load_b128 v[14:17], off, off offset:320
	s_waitcnt vmcnt(10) lgkmcnt(1)
	v_mul_f64 v[210:211], v[2:3], v[20:21]
	v_mul_f64 v[20:21], v[4:5], v[20:21]
	s_waitcnt vmcnt(9) lgkmcnt(0)
	v_mul_f64 v[204:205], v[38:39], v[24:25]
	v_mul_f64 v[24:25], v[40:41], v[24:25]
	v_add_f64 v[200:201], v[200:201], v[208:209]
	v_add_f64 v[202:203], v[202:203], v[206:207]
	v_fma_f64 v[206:207], v[4:5], v[18:19], v[210:211]
	v_fma_f64 v[208:209], v[2:3], v[18:19], -v[20:21]
	ds_load_b128 v[2:5], v1 offset:960
	scratch_load_b128 v[18:21], off, off offset:336
	v_fma_f64 v[40:41], v[40:41], v[22:23], v[204:205]
	v_fma_f64 v[38:39], v[38:39], v[22:23], -v[24:25]
	scratch_load_b128 v[22:25], off, off offset:352
	v_add_f64 v[200:201], v[200:201], v[196:197]
	v_add_f64 v[202:203], v[202:203], v[198:199]
	ds_load_b128 v[196:199], v1 offset:976
	s_waitcnt vmcnt(10) lgkmcnt(1)
	v_mul_f64 v[210:211], v[2:3], v[28:29]
	v_mul_f64 v[28:29], v[4:5], v[28:29]
	s_waitcnt vmcnt(9) lgkmcnt(0)
	v_mul_f64 v[204:205], v[196:197], v[32:33]
	v_mul_f64 v[32:33], v[198:199], v[32:33]
	v_add_f64 v[200:201], v[200:201], v[208:209]
	v_add_f64 v[202:203], v[202:203], v[206:207]
	v_fma_f64 v[206:207], v[4:5], v[26:27], v[210:211]
	v_fma_f64 v[208:209], v[2:3], v[26:27], -v[28:29]
	ds_load_b128 v[2:5], v1 offset:992
	scratch_load_b128 v[26:29], off, off offset:368
	v_fma_f64 v[198:199], v[198:199], v[30:31], v[204:205]
	v_fma_f64 v[196:197], v[196:197], v[30:31], -v[32:33]
	scratch_load_b128 v[30:33], off, off offset:384
	v_add_f64 v[200:201], v[200:201], v[38:39]
	v_add_f64 v[202:203], v[202:203], v[40:41]
	ds_load_b128 v[38:41], v1 offset:1008
	s_waitcnt vmcnt(10) lgkmcnt(1)
	v_mul_f64 v[210:211], v[2:3], v[36:37]
	v_mul_f64 v[36:37], v[4:5], v[36:37]
	s_waitcnt vmcnt(8) lgkmcnt(0)
	v_mul_f64 v[204:205], v[38:39], v[194:195]
	v_add_f64 v[200:201], v[200:201], v[208:209]
	v_add_f64 v[202:203], v[202:203], v[206:207]
	v_mul_f64 v[206:207], v[40:41], v[194:195]
	v_fma_f64 v[208:209], v[4:5], v[34:35], v[210:211]
	v_fma_f64 v[210:211], v[2:3], v[34:35], -v[36:37]
	ds_load_b128 v[2:5], v1 offset:1024
	scratch_load_b128 v[34:37], off, off offset:400
	v_fma_f64 v[204:205], v[40:41], v[192:193], v[204:205]
	v_add_f64 v[200:201], v[200:201], v[196:197]
	v_add_f64 v[198:199], v[202:203], v[198:199]
	ds_load_b128 v[194:197], v1 offset:1040
	v_fma_f64 v[192:193], v[38:39], v[192:193], -v[206:207]
	scratch_load_b128 v[38:41], off, off offset:416
	s_waitcnt vmcnt(9) lgkmcnt(1)
	v_mul_f64 v[202:203], v[2:3], v[44:45]
	v_mul_f64 v[44:45], v[4:5], v[44:45]
	s_waitcnt vmcnt(8) lgkmcnt(0)
	v_mul_f64 v[206:207], v[194:195], v[8:9]
	v_mul_f64 v[8:9], v[196:197], v[8:9]
	v_add_f64 v[200:201], v[200:201], v[210:211]
	v_add_f64 v[198:199], v[198:199], v[208:209]
	v_fma_f64 v[202:203], v[4:5], v[42:43], v[202:203]
	v_fma_f64 v[208:209], v[2:3], v[42:43], -v[44:45]
	ds_load_b128 v[2:5], v1 offset:1056
	scratch_load_b128 v[42:45], off, off offset:432
	v_fma_f64 v[196:197], v[196:197], v[6:7], v[206:207]
	v_fma_f64 v[194:195], v[194:195], v[6:7], -v[8:9]
	scratch_load_b128 v[6:9], off, off offset:448
	v_add_f64 v[192:193], v[200:201], v[192:193]
	v_add_f64 v[204:205], v[198:199], v[204:205]
	ds_load_b128 v[198:201], v1 offset:1072
	s_waitcnt vmcnt(9) lgkmcnt(1)
	v_mul_f64 v[210:211], v[2:3], v[12:13]
	v_mul_f64 v[12:13], v[4:5], v[12:13]
	v_add_f64 v[192:193], v[192:193], v[208:209]
	v_add_f64 v[202:203], v[204:205], v[202:203]
	s_waitcnt vmcnt(8) lgkmcnt(0)
	v_mul_f64 v[204:205], v[198:199], v[16:17]
	v_mul_f64 v[16:17], v[200:201], v[16:17]
	v_fma_f64 v[206:207], v[4:5], v[10:11], v[210:211]
	v_fma_f64 v[208:209], v[2:3], v[10:11], -v[12:13]
	ds_load_b128 v[2:5], v1 offset:1088
	scratch_load_b128 v[10:13], off, off offset:464
	v_add_f64 v[210:211], v[192:193], v[194:195]
	v_add_f64 v[196:197], v[202:203], v[196:197]
	ds_load_b128 v[192:195], v1 offset:1104
	s_waitcnt vmcnt(8) lgkmcnt(1)
	v_mul_f64 v[202:203], v[2:3], v[20:21]
	v_mul_f64 v[20:21], v[4:5], v[20:21]
	v_fma_f64 v[200:201], v[200:201], v[14:15], v[204:205]
	v_fma_f64 v[198:199], v[198:199], v[14:15], -v[16:17]
	scratch_load_b128 v[14:17], off, off offset:480
	v_add_f64 v[204:205], v[210:211], v[208:209]
	v_add_f64 v[196:197], v[196:197], v[206:207]
	s_waitcnt vmcnt(8) lgkmcnt(0)
	v_mul_f64 v[206:207], v[192:193], v[24:25]
	v_mul_f64 v[24:25], v[194:195], v[24:25]
	v_fma_f64 v[202:203], v[4:5], v[18:19], v[202:203]
	v_fma_f64 v[208:209], v[2:3], v[18:19], -v[20:21]
	ds_load_b128 v[2:5], v1 offset:1120
	scratch_load_b128 v[18:21], off, off offset:496
	v_add_f64 v[204:205], v[204:205], v[198:199]
	v_add_f64 v[200:201], v[196:197], v[200:201]
	ds_load_b128 v[196:199], v1 offset:1136
	s_waitcnt vmcnt(8) lgkmcnt(1)
	v_mul_f64 v[210:211], v[2:3], v[28:29]
	v_mul_f64 v[28:29], v[4:5], v[28:29]
	v_fma_f64 v[194:195], v[194:195], v[22:23], v[206:207]
	v_fma_f64 v[192:193], v[192:193], v[22:23], -v[24:25]
	scratch_load_b128 v[22:25], off, off offset:512
	;; [unrolled: 18-line block ×4, first 2 shown]
	s_waitcnt vmcnt(8) lgkmcnt(0)
	v_mul_f64 v[204:205], v[196:197], v[8:9]
	v_mul_f64 v[8:9], v[198:199], v[8:9]
	v_add_f64 v[202:203], v[202:203], v[208:209]
	v_add_f64 v[200:201], v[200:201], v[206:207]
	v_fma_f64 v[206:207], v[4:5], v[42:43], v[210:211]
	v_fma_f64 v[208:209], v[2:3], v[42:43], -v[44:45]
	ds_load_b128 v[2:5], v1 offset:1216
	scratch_load_b128 v[42:45], off, off offset:592
	v_fma_f64 v[198:199], v[198:199], v[6:7], v[204:205]
	v_fma_f64 v[196:197], v[196:197], v[6:7], -v[8:9]
	scratch_load_b128 v[6:9], off, off offset:608
	v_add_f64 v[202:203], v[202:203], v[192:193]
	v_add_f64 v[200:201], v[200:201], v[194:195]
	ds_load_b128 v[192:195], v1 offset:1232
	s_waitcnt vmcnt(9) lgkmcnt(1)
	v_mul_f64 v[210:211], v[2:3], v[12:13]
	v_mul_f64 v[12:13], v[4:5], v[12:13]
	s_waitcnt vmcnt(8) lgkmcnt(0)
	v_mul_f64 v[204:205], v[192:193], v[16:17]
	v_mul_f64 v[16:17], v[194:195], v[16:17]
	v_add_f64 v[202:203], v[202:203], v[208:209]
	v_add_f64 v[200:201], v[200:201], v[206:207]
	v_fma_f64 v[206:207], v[4:5], v[10:11], v[210:211]
	v_fma_f64 v[208:209], v[2:3], v[10:11], -v[12:13]
	ds_load_b128 v[2:5], v1 offset:1248
	scratch_load_b128 v[10:13], off, off offset:624
	v_fma_f64 v[194:195], v[194:195], v[14:15], v[204:205]
	v_fma_f64 v[192:193], v[192:193], v[14:15], -v[16:17]
	scratch_load_b128 v[14:17], off, off offset:640
	v_add_f64 v[202:203], v[202:203], v[196:197]
	v_add_f64 v[200:201], v[200:201], v[198:199]
	ds_load_b128 v[196:199], v1 offset:1264
	s_waitcnt vmcnt(9) lgkmcnt(1)
	v_mul_f64 v[210:211], v[2:3], v[20:21]
	v_mul_f64 v[20:21], v[4:5], v[20:21]
	;; [unrolled: 18-line block ×5, first 2 shown]
	s_waitcnt vmcnt(8) lgkmcnt(0)
	v_mul_f64 v[204:205], v[192:193], v[8:9]
	v_mul_f64 v[8:9], v[194:195], v[8:9]
	v_add_f64 v[202:203], v[202:203], v[208:209]
	v_add_f64 v[200:201], v[200:201], v[206:207]
	v_fma_f64 v[206:207], v[4:5], v[42:43], v[210:211]
	v_fma_f64 v[208:209], v[2:3], v[42:43], -v[44:45]
	ds_load_b128 v[2:5], v1 offset:1376
	ds_load_b128 v[42:45], v1 offset:1392
	v_fma_f64 v[194:195], v[194:195], v[6:7], v[204:205]
	v_fma_f64 v[6:7], v[192:193], v[6:7], -v[8:9]
	v_add_f64 v[196:197], v[202:203], v[196:197]
	v_add_f64 v[198:199], v[200:201], v[198:199]
	s_waitcnt vmcnt(7) lgkmcnt(1)
	v_mul_f64 v[200:201], v[2:3], v[12:13]
	v_mul_f64 v[12:13], v[4:5], v[12:13]
	s_delay_alu instid0(VALU_DEP_4) | instskip(NEXT) | instid1(VALU_DEP_4)
	v_add_f64 v[8:9], v[196:197], v[208:209]
	v_add_f64 v[192:193], v[198:199], v[206:207]
	s_waitcnt vmcnt(6) lgkmcnt(0)
	v_mul_f64 v[196:197], v[42:43], v[16:17]
	v_mul_f64 v[16:17], v[44:45], v[16:17]
	v_fma_f64 v[198:199], v[4:5], v[10:11], v[200:201]
	v_fma_f64 v[10:11], v[2:3], v[10:11], -v[12:13]
	v_add_f64 v[12:13], v[8:9], v[6:7]
	v_add_f64 v[192:193], v[192:193], v[194:195]
	ds_load_b128 v[2:5], v1 offset:1408
	ds_load_b128 v[6:9], v1 offset:1424
	v_fma_f64 v[44:45], v[44:45], v[14:15], v[196:197]
	v_fma_f64 v[14:15], v[42:43], v[14:15], -v[16:17]
	s_waitcnt vmcnt(5) lgkmcnt(1)
	v_mul_f64 v[194:195], v[2:3], v[20:21]
	v_mul_f64 v[20:21], v[4:5], v[20:21]
	s_waitcnt vmcnt(4) lgkmcnt(0)
	v_mul_f64 v[16:17], v[6:7], v[24:25]
	v_mul_f64 v[24:25], v[8:9], v[24:25]
	v_add_f64 v[10:11], v[12:13], v[10:11]
	v_add_f64 v[12:13], v[192:193], v[198:199]
	v_fma_f64 v[42:43], v[4:5], v[18:19], v[194:195]
	v_fma_f64 v[18:19], v[2:3], v[18:19], -v[20:21]
	v_fma_f64 v[8:9], v[8:9], v[22:23], v[16:17]
	v_fma_f64 v[6:7], v[6:7], v[22:23], -v[24:25]
	v_add_f64 v[14:15], v[10:11], v[14:15]
	v_add_f64 v[20:21], v[12:13], v[44:45]
	ds_load_b128 v[2:5], v1 offset:1440
	ds_load_b128 v[10:13], v1 offset:1456
	s_waitcnt vmcnt(3) lgkmcnt(1)
	v_mul_f64 v[44:45], v[2:3], v[28:29]
	v_mul_f64 v[28:29], v[4:5], v[28:29]
	v_add_f64 v[14:15], v[14:15], v[18:19]
	v_add_f64 v[16:17], v[20:21], v[42:43]
	s_waitcnt vmcnt(2) lgkmcnt(0)
	v_mul_f64 v[18:19], v[10:11], v[32:33]
	v_mul_f64 v[20:21], v[12:13], v[32:33]
	v_fma_f64 v[22:23], v[4:5], v[26:27], v[44:45]
	v_fma_f64 v[24:25], v[2:3], v[26:27], -v[28:29]
	v_add_f64 v[14:15], v[14:15], v[6:7]
	v_add_f64 v[16:17], v[16:17], v[8:9]
	ds_load_b128 v[2:5], v1 offset:1472
	ds_load_b128 v[6:9], v1 offset:1488
	v_fma_f64 v[12:13], v[12:13], v[30:31], v[18:19]
	v_fma_f64 v[10:11], v[10:11], v[30:31], -v[20:21]
	s_waitcnt vmcnt(1) lgkmcnt(1)
	v_mul_f64 v[26:27], v[2:3], v[36:37]
	v_mul_f64 v[28:29], v[4:5], v[36:37]
	s_waitcnt vmcnt(0) lgkmcnt(0)
	v_mul_f64 v[18:19], v[6:7], v[40:41]
	v_mul_f64 v[20:21], v[8:9], v[40:41]
	v_add_f64 v[14:15], v[14:15], v[24:25]
	v_add_f64 v[16:17], v[16:17], v[22:23]
	v_fma_f64 v[4:5], v[4:5], v[34:35], v[26:27]
	v_fma_f64 v[1:2], v[2:3], v[34:35], -v[28:29]
	v_fma_f64 v[8:9], v[8:9], v[38:39], v[18:19]
	v_fma_f64 v[6:7], v[6:7], v[38:39], -v[20:21]
	v_add_f64 v[10:11], v[14:15], v[10:11]
	v_add_f64 v[12:13], v[16:17], v[12:13]
	s_delay_alu instid0(VALU_DEP_2) | instskip(NEXT) | instid1(VALU_DEP_2)
	v_add_f64 v[1:2], v[10:11], v[1:2]
	v_add_f64 v[3:4], v[12:13], v[4:5]
	s_delay_alu instid0(VALU_DEP_2) | instskip(NEXT) | instid1(VALU_DEP_2)
	;; [unrolled: 3-line block ×3, first 2 shown]
	v_add_f64 v[1:2], v[188:189], -v[1:2]
	v_add_f64 v[3:4], v[190:191], -v[3:4]
	scratch_store_b128 off, v[1:4], off offset:96
	v_cmpx_lt_u32_e32 5, v140
	s_cbranch_execz .LBB110_285
; %bb.284:
	scratch_load_b128 v[1:4], v182, off
	v_mov_b32_e32 v5, 0
	s_delay_alu instid0(VALU_DEP_1)
	v_mov_b32_e32 v6, v5
	v_mov_b32_e32 v7, v5
	;; [unrolled: 1-line block ×3, first 2 shown]
	scratch_store_b128 off, v[5:8], off offset:80
	s_waitcnt vmcnt(0)
	ds_store_b128 v187, v[1:4]
.LBB110_285:
	s_or_b32 exec_lo, exec_lo, s2
	s_waitcnt lgkmcnt(0)
	s_waitcnt_vscnt null, 0x0
	s_barrier
	buffer_gl0_inv
	s_clause 0x7
	scratch_load_b128 v[2:5], off, off offset:96
	scratch_load_b128 v[6:9], off, off offset:112
	;; [unrolled: 1-line block ×8, first 2 shown]
	v_mov_b32_e32 v1, 0
	s_mov_b32 s2, exec_lo
	ds_load_b128 v[38:41], v1 offset:848
	s_clause 0x1
	scratch_load_b128 v[34:37], off, off offset:224
	scratch_load_b128 v[42:45], off, off offset:80
	ds_load_b128 v[188:191], v1 offset:864
	scratch_load_b128 v[192:195], off, off offset:240
	s_waitcnt vmcnt(10) lgkmcnt(1)
	v_mul_f64 v[196:197], v[40:41], v[4:5]
	v_mul_f64 v[4:5], v[38:39], v[4:5]
	s_delay_alu instid0(VALU_DEP_2) | instskip(NEXT) | instid1(VALU_DEP_2)
	v_fma_f64 v[202:203], v[38:39], v[2:3], -v[196:197]
	v_fma_f64 v[204:205], v[40:41], v[2:3], v[4:5]
	scratch_load_b128 v[38:41], off, off offset:256
	ds_load_b128 v[2:5], v1 offset:880
	s_waitcnt vmcnt(10) lgkmcnt(1)
	v_mul_f64 v[200:201], v[188:189], v[8:9]
	v_mul_f64 v[8:9], v[190:191], v[8:9]
	ds_load_b128 v[196:199], v1 offset:896
	s_waitcnt vmcnt(9) lgkmcnt(1)
	v_mul_f64 v[206:207], v[2:3], v[12:13]
	v_mul_f64 v[12:13], v[4:5], v[12:13]
	v_fma_f64 v[190:191], v[190:191], v[6:7], v[200:201]
	v_fma_f64 v[188:189], v[188:189], v[6:7], -v[8:9]
	v_add_f64 v[200:201], v[202:203], 0
	v_add_f64 v[202:203], v[204:205], 0
	scratch_load_b128 v[6:9], off, off offset:272
	v_fma_f64 v[206:207], v[4:5], v[10:11], v[206:207]
	v_fma_f64 v[208:209], v[2:3], v[10:11], -v[12:13]
	scratch_load_b128 v[10:13], off, off offset:288
	ds_load_b128 v[2:5], v1 offset:912
	s_waitcnt vmcnt(10) lgkmcnt(1)
	v_mul_f64 v[204:205], v[196:197], v[16:17]
	v_mul_f64 v[16:17], v[198:199], v[16:17]
	v_add_f64 v[200:201], v[200:201], v[188:189]
	v_add_f64 v[202:203], v[202:203], v[190:191]
	s_waitcnt vmcnt(9) lgkmcnt(0)
	v_mul_f64 v[210:211], v[2:3], v[20:21]
	v_mul_f64 v[20:21], v[4:5], v[20:21]
	ds_load_b128 v[188:191], v1 offset:928
	v_fma_f64 v[198:199], v[198:199], v[14:15], v[204:205]
	v_fma_f64 v[196:197], v[196:197], v[14:15], -v[16:17]
	scratch_load_b128 v[14:17], off, off offset:304
	v_add_f64 v[200:201], v[200:201], v[208:209]
	v_add_f64 v[202:203], v[202:203], v[206:207]
	v_fma_f64 v[206:207], v[4:5], v[18:19], v[210:211]
	v_fma_f64 v[208:209], v[2:3], v[18:19], -v[20:21]
	scratch_load_b128 v[18:21], off, off offset:320
	ds_load_b128 v[2:5], v1 offset:944
	s_waitcnt vmcnt(10) lgkmcnt(1)
	v_mul_f64 v[204:205], v[188:189], v[24:25]
	v_mul_f64 v[24:25], v[190:191], v[24:25]
	s_waitcnt vmcnt(9) lgkmcnt(0)
	v_mul_f64 v[210:211], v[2:3], v[28:29]
	v_mul_f64 v[28:29], v[4:5], v[28:29]
	v_add_f64 v[200:201], v[200:201], v[196:197]
	v_add_f64 v[202:203], v[202:203], v[198:199]
	ds_load_b128 v[196:199], v1 offset:960
	v_fma_f64 v[190:191], v[190:191], v[22:23], v[204:205]
	v_fma_f64 v[188:189], v[188:189], v[22:23], -v[24:25]
	scratch_load_b128 v[22:25], off, off offset:336
	v_add_f64 v[200:201], v[200:201], v[208:209]
	v_add_f64 v[202:203], v[202:203], v[206:207]
	v_fma_f64 v[206:207], v[4:5], v[26:27], v[210:211]
	v_fma_f64 v[208:209], v[2:3], v[26:27], -v[28:29]
	scratch_load_b128 v[26:29], off, off offset:352
	ds_load_b128 v[2:5], v1 offset:976
	s_waitcnt vmcnt(10) lgkmcnt(1)
	v_mul_f64 v[204:205], v[196:197], v[32:33]
	v_mul_f64 v[32:33], v[198:199], v[32:33]
	s_waitcnt vmcnt(9) lgkmcnt(0)
	v_mul_f64 v[210:211], v[2:3], v[36:37]
	v_mul_f64 v[36:37], v[4:5], v[36:37]
	v_add_f64 v[200:201], v[200:201], v[188:189]
	v_add_f64 v[202:203], v[202:203], v[190:191]
	ds_load_b128 v[188:191], v1 offset:992
	v_fma_f64 v[198:199], v[198:199], v[30:31], v[204:205]
	v_fma_f64 v[196:197], v[196:197], v[30:31], -v[32:33]
	scratch_load_b128 v[30:33], off, off offset:368
	v_add_f64 v[200:201], v[200:201], v[208:209]
	v_add_f64 v[202:203], v[202:203], v[206:207]
	v_fma_f64 v[208:209], v[4:5], v[34:35], v[210:211]
	v_fma_f64 v[210:211], v[2:3], v[34:35], -v[36:37]
	scratch_load_b128 v[34:37], off, off offset:384
	ds_load_b128 v[2:5], v1 offset:1008
	s_waitcnt vmcnt(9) lgkmcnt(1)
	v_mul_f64 v[204:205], v[188:189], v[194:195]
	v_mul_f64 v[206:207], v[190:191], v[194:195]
	v_add_f64 v[200:201], v[200:201], v[196:197]
	v_add_f64 v[198:199], v[202:203], v[198:199]
	ds_load_b128 v[194:197], v1 offset:1024
	v_fma_f64 v[204:205], v[190:191], v[192:193], v[204:205]
	v_fma_f64 v[192:193], v[188:189], v[192:193], -v[206:207]
	scratch_load_b128 v[188:191], off, off offset:400
	s_waitcnt vmcnt(9) lgkmcnt(1)
	v_mul_f64 v[202:203], v[2:3], v[40:41]
	v_mul_f64 v[40:41], v[4:5], v[40:41]
	v_add_f64 v[200:201], v[200:201], v[210:211]
	v_add_f64 v[198:199], v[198:199], v[208:209]
	s_delay_alu instid0(VALU_DEP_4) | instskip(NEXT) | instid1(VALU_DEP_4)
	v_fma_f64 v[202:203], v[4:5], v[38:39], v[202:203]
	v_fma_f64 v[208:209], v[2:3], v[38:39], -v[40:41]
	scratch_load_b128 v[38:41], off, off offset:416
	ds_load_b128 v[2:5], v1 offset:1040
	s_waitcnt vmcnt(9) lgkmcnt(1)
	v_mul_f64 v[206:207], v[194:195], v[8:9]
	v_mul_f64 v[8:9], v[196:197], v[8:9]
	s_waitcnt vmcnt(8) lgkmcnt(0)
	v_mul_f64 v[210:211], v[2:3], v[12:13]
	v_mul_f64 v[12:13], v[4:5], v[12:13]
	v_add_f64 v[192:193], v[200:201], v[192:193]
	v_add_f64 v[204:205], v[198:199], v[204:205]
	ds_load_b128 v[198:201], v1 offset:1056
	v_fma_f64 v[196:197], v[196:197], v[6:7], v[206:207]
	v_fma_f64 v[194:195], v[194:195], v[6:7], -v[8:9]
	scratch_load_b128 v[6:9], off, off offset:432
	v_fma_f64 v[206:207], v[4:5], v[10:11], v[210:211]
	v_add_f64 v[192:193], v[192:193], v[208:209]
	v_add_f64 v[202:203], v[204:205], v[202:203]
	v_fma_f64 v[208:209], v[2:3], v[10:11], -v[12:13]
	scratch_load_b128 v[10:13], off, off offset:448
	ds_load_b128 v[2:5], v1 offset:1072
	s_waitcnt vmcnt(9) lgkmcnt(1)
	v_mul_f64 v[204:205], v[198:199], v[16:17]
	v_mul_f64 v[16:17], v[200:201], v[16:17]
	v_add_f64 v[210:211], v[192:193], v[194:195]
	v_add_f64 v[196:197], v[202:203], v[196:197]
	s_waitcnt vmcnt(8) lgkmcnt(0)
	v_mul_f64 v[202:203], v[2:3], v[20:21]
	v_mul_f64 v[20:21], v[4:5], v[20:21]
	ds_load_b128 v[192:195], v1 offset:1088
	v_fma_f64 v[200:201], v[200:201], v[14:15], v[204:205]
	v_fma_f64 v[198:199], v[198:199], v[14:15], -v[16:17]
	scratch_load_b128 v[14:17], off, off offset:464
	v_add_f64 v[204:205], v[210:211], v[208:209]
	v_add_f64 v[196:197], v[196:197], v[206:207]
	v_fma_f64 v[202:203], v[4:5], v[18:19], v[202:203]
	v_fma_f64 v[208:209], v[2:3], v[18:19], -v[20:21]
	scratch_load_b128 v[18:21], off, off offset:480
	ds_load_b128 v[2:5], v1 offset:1104
	s_waitcnt vmcnt(9) lgkmcnt(1)
	v_mul_f64 v[206:207], v[192:193], v[24:25]
	v_mul_f64 v[24:25], v[194:195], v[24:25]
	s_waitcnt vmcnt(8) lgkmcnt(0)
	v_mul_f64 v[210:211], v[2:3], v[28:29]
	v_mul_f64 v[28:29], v[4:5], v[28:29]
	v_add_f64 v[204:205], v[204:205], v[198:199]
	v_add_f64 v[200:201], v[196:197], v[200:201]
	ds_load_b128 v[196:199], v1 offset:1120
	v_fma_f64 v[194:195], v[194:195], v[22:23], v[206:207]
	v_fma_f64 v[192:193], v[192:193], v[22:23], -v[24:25]
	scratch_load_b128 v[22:25], off, off offset:496
	v_fma_f64 v[206:207], v[4:5], v[26:27], v[210:211]
	v_add_f64 v[204:205], v[204:205], v[208:209]
	v_add_f64 v[200:201], v[200:201], v[202:203]
	v_fma_f64 v[208:209], v[2:3], v[26:27], -v[28:29]
	scratch_load_b128 v[26:29], off, off offset:512
	ds_load_b128 v[2:5], v1 offset:1136
	s_waitcnt vmcnt(9) lgkmcnt(1)
	v_mul_f64 v[202:203], v[196:197], v[32:33]
	v_mul_f64 v[32:33], v[198:199], v[32:33]
	s_waitcnt vmcnt(8) lgkmcnt(0)
	v_mul_f64 v[210:211], v[2:3], v[36:37]
	v_mul_f64 v[36:37], v[4:5], v[36:37]
	v_add_f64 v[204:205], v[204:205], v[192:193]
	v_add_f64 v[200:201], v[200:201], v[194:195]
	ds_load_b128 v[192:195], v1 offset:1152
	v_fma_f64 v[198:199], v[198:199], v[30:31], v[202:203]
	v_fma_f64 v[196:197], v[196:197], v[30:31], -v[32:33]
	scratch_load_b128 v[30:33], off, off offset:528
	v_add_f64 v[202:203], v[204:205], v[208:209]
	v_add_f64 v[200:201], v[200:201], v[206:207]
	v_fma_f64 v[206:207], v[4:5], v[34:35], v[210:211]
	v_fma_f64 v[208:209], v[2:3], v[34:35], -v[36:37]
	scratch_load_b128 v[34:37], off, off offset:544
	ds_load_b128 v[2:5], v1 offset:1168
	s_waitcnt vmcnt(9) lgkmcnt(1)
	v_mul_f64 v[204:205], v[192:193], v[190:191]
	v_mul_f64 v[190:191], v[194:195], v[190:191]
	s_waitcnt vmcnt(8) lgkmcnt(0)
	v_mul_f64 v[210:211], v[2:3], v[40:41]
	v_mul_f64 v[40:41], v[4:5], v[40:41]
	v_add_f64 v[202:203], v[202:203], v[196:197]
	v_add_f64 v[200:201], v[200:201], v[198:199]
	ds_load_b128 v[196:199], v1 offset:1184
	v_fma_f64 v[194:195], v[194:195], v[188:189], v[204:205]
	v_fma_f64 v[192:193], v[192:193], v[188:189], -v[190:191]
	scratch_load_b128 v[188:191], off, off offset:560
	v_add_f64 v[202:203], v[202:203], v[208:209]
	v_add_f64 v[200:201], v[200:201], v[206:207]
	v_fma_f64 v[206:207], v[4:5], v[38:39], v[210:211]
	;; [unrolled: 18-line block ×6, first 2 shown]
	v_fma_f64 v[210:211], v[2:3], v[34:35], -v[36:37]
	scratch_load_b128 v[34:37], off, off offset:704
	ds_load_b128 v[2:5], v1 offset:1328
	s_waitcnt vmcnt(9) lgkmcnt(1)
	v_mul_f64 v[204:205], v[196:197], v[190:191]
	v_mul_f64 v[206:207], v[198:199], v[190:191]
	v_add_f64 v[202:203], v[202:203], v[192:193]
	v_add_f64 v[194:195], v[200:201], v[194:195]
	s_waitcnt vmcnt(8) lgkmcnt(0)
	v_mul_f64 v[200:201], v[2:3], v[40:41]
	v_mul_f64 v[40:41], v[4:5], v[40:41]
	ds_load_b128 v[190:193], v1 offset:1344
	v_fma_f64 v[198:199], v[198:199], v[188:189], v[204:205]
	v_fma_f64 v[188:189], v[196:197], v[188:189], -v[206:207]
	v_add_f64 v[202:203], v[202:203], v[210:211]
	v_add_f64 v[204:205], v[194:195], v[208:209]
	scratch_load_b128 v[194:197], off, off offset:720
	v_fma_f64 v[208:209], v[4:5], v[38:39], v[200:201]
	v_fma_f64 v[210:211], v[2:3], v[38:39], -v[40:41]
	scratch_load_b128 v[38:41], off, off offset:736
	ds_load_b128 v[2:5], v1 offset:1360
	s_waitcnt vmcnt(9) lgkmcnt(1)
	v_mul_f64 v[206:207], v[190:191], v[8:9]
	v_mul_f64 v[8:9], v[192:193], v[8:9]
	v_add_f64 v[188:189], v[202:203], v[188:189]
	v_add_f64 v[202:203], v[204:205], v[198:199]
	s_waitcnt vmcnt(8) lgkmcnt(0)
	v_mul_f64 v[204:205], v[2:3], v[12:13]
	v_mul_f64 v[12:13], v[4:5], v[12:13]
	ds_load_b128 v[198:201], v1 offset:1376
	v_fma_f64 v[192:193], v[192:193], v[6:7], v[206:207]
	v_fma_f64 v[6:7], v[190:191], v[6:7], -v[8:9]
	s_waitcnt vmcnt(7) lgkmcnt(0)
	v_mul_f64 v[190:191], v[198:199], v[16:17]
	v_mul_f64 v[16:17], v[200:201], v[16:17]
	v_add_f64 v[8:9], v[188:189], v[210:211]
	v_add_f64 v[188:189], v[202:203], v[208:209]
	v_fma_f64 v[202:203], v[4:5], v[10:11], v[204:205]
	v_fma_f64 v[10:11], v[2:3], v[10:11], -v[12:13]
	v_fma_f64 v[190:191], v[200:201], v[14:15], v[190:191]
	v_fma_f64 v[14:15], v[198:199], v[14:15], -v[16:17]
	v_add_f64 v[12:13], v[8:9], v[6:7]
	v_add_f64 v[188:189], v[188:189], v[192:193]
	ds_load_b128 v[2:5], v1 offset:1392
	ds_load_b128 v[6:9], v1 offset:1408
	s_waitcnt vmcnt(6) lgkmcnt(1)
	v_mul_f64 v[192:193], v[2:3], v[20:21]
	v_mul_f64 v[20:21], v[4:5], v[20:21]
	s_waitcnt vmcnt(5) lgkmcnt(0)
	v_mul_f64 v[16:17], v[6:7], v[24:25]
	v_mul_f64 v[24:25], v[8:9], v[24:25]
	v_add_f64 v[10:11], v[12:13], v[10:11]
	v_add_f64 v[12:13], v[188:189], v[202:203]
	v_fma_f64 v[188:189], v[4:5], v[18:19], v[192:193]
	v_fma_f64 v[18:19], v[2:3], v[18:19], -v[20:21]
	v_fma_f64 v[8:9], v[8:9], v[22:23], v[16:17]
	v_fma_f64 v[6:7], v[6:7], v[22:23], -v[24:25]
	v_add_f64 v[14:15], v[10:11], v[14:15]
	v_add_f64 v[20:21], v[12:13], v[190:191]
	ds_load_b128 v[2:5], v1 offset:1424
	ds_load_b128 v[10:13], v1 offset:1440
	s_waitcnt vmcnt(4) lgkmcnt(1)
	v_mul_f64 v[190:191], v[2:3], v[28:29]
	v_mul_f64 v[28:29], v[4:5], v[28:29]
	v_add_f64 v[14:15], v[14:15], v[18:19]
	v_add_f64 v[16:17], v[20:21], v[188:189]
	s_waitcnt vmcnt(3) lgkmcnt(0)
	v_mul_f64 v[18:19], v[10:11], v[32:33]
	v_mul_f64 v[20:21], v[12:13], v[32:33]
	v_fma_f64 v[22:23], v[4:5], v[26:27], v[190:191]
	v_fma_f64 v[24:25], v[2:3], v[26:27], -v[28:29]
	v_add_f64 v[14:15], v[14:15], v[6:7]
	v_add_f64 v[16:17], v[16:17], v[8:9]
	ds_load_b128 v[2:5], v1 offset:1456
	ds_load_b128 v[6:9], v1 offset:1472
	v_fma_f64 v[12:13], v[12:13], v[30:31], v[18:19]
	v_fma_f64 v[10:11], v[10:11], v[30:31], -v[20:21]
	s_waitcnt vmcnt(2) lgkmcnt(1)
	v_mul_f64 v[26:27], v[2:3], v[36:37]
	v_mul_f64 v[28:29], v[4:5], v[36:37]
	v_add_f64 v[14:15], v[14:15], v[24:25]
	v_add_f64 v[16:17], v[16:17], v[22:23]
	s_waitcnt vmcnt(1) lgkmcnt(0)
	v_mul_f64 v[18:19], v[6:7], v[196:197]
	v_mul_f64 v[20:21], v[8:9], v[196:197]
	v_fma_f64 v[22:23], v[4:5], v[34:35], v[26:27]
	v_fma_f64 v[24:25], v[2:3], v[34:35], -v[28:29]
	ds_load_b128 v[2:5], v1 offset:1488
	v_add_f64 v[10:11], v[14:15], v[10:11]
	v_add_f64 v[12:13], v[16:17], v[12:13]
	s_waitcnt vmcnt(0) lgkmcnt(0)
	v_mul_f64 v[14:15], v[2:3], v[40:41]
	v_mul_f64 v[16:17], v[4:5], v[40:41]
	v_fma_f64 v[8:9], v[8:9], v[194:195], v[18:19]
	v_fma_f64 v[6:7], v[6:7], v[194:195], -v[20:21]
	v_add_f64 v[10:11], v[10:11], v[24:25]
	v_add_f64 v[12:13], v[12:13], v[22:23]
	v_fma_f64 v[4:5], v[4:5], v[38:39], v[14:15]
	v_fma_f64 v[2:3], v[2:3], v[38:39], -v[16:17]
	s_delay_alu instid0(VALU_DEP_4) | instskip(NEXT) | instid1(VALU_DEP_4)
	v_add_f64 v[6:7], v[10:11], v[6:7]
	v_add_f64 v[8:9], v[12:13], v[8:9]
	s_delay_alu instid0(VALU_DEP_2) | instskip(NEXT) | instid1(VALU_DEP_2)
	v_add_f64 v[2:3], v[6:7], v[2:3]
	v_add_f64 v[4:5], v[8:9], v[4:5]
	s_delay_alu instid0(VALU_DEP_2) | instskip(NEXT) | instid1(VALU_DEP_2)
	v_add_f64 v[2:3], v[42:43], -v[2:3]
	v_add_f64 v[4:5], v[44:45], -v[4:5]
	scratch_store_b128 off, v[2:5], off offset:80
	v_cmpx_lt_u32_e32 4, v140
	s_cbranch_execz .LBB110_287
; %bb.286:
	scratch_load_b128 v[5:8], v183, off
	v_mov_b32_e32 v2, v1
	v_mov_b32_e32 v3, v1
	;; [unrolled: 1-line block ×3, first 2 shown]
	scratch_store_b128 off, v[1:4], off offset:64
	s_waitcnt vmcnt(0)
	ds_store_b128 v187, v[5:8]
.LBB110_287:
	s_or_b32 exec_lo, exec_lo, s2
	s_waitcnt lgkmcnt(0)
	s_waitcnt_vscnt null, 0x0
	s_barrier
	buffer_gl0_inv
	s_clause 0x8
	scratch_load_b128 v[2:5], off, off offset:80
	scratch_load_b128 v[6:9], off, off offset:96
	;; [unrolled: 1-line block ×9, first 2 shown]
	ds_load_b128 v[42:45], v1 offset:832
	ds_load_b128 v[38:41], v1 offset:848
	s_clause 0x1
	scratch_load_b128 v[188:191], off, off offset:64
	scratch_load_b128 v[192:195], off, off offset:224
	s_mov_b32 s2, exec_lo
	s_waitcnt vmcnt(10) lgkmcnt(1)
	v_mul_f64 v[196:197], v[44:45], v[4:5]
	v_mul_f64 v[4:5], v[42:43], v[4:5]
	s_waitcnt vmcnt(9) lgkmcnt(0)
	v_mul_f64 v[200:201], v[38:39], v[8:9]
	v_mul_f64 v[8:9], v[40:41], v[8:9]
	s_delay_alu instid0(VALU_DEP_4) | instskip(NEXT) | instid1(VALU_DEP_4)
	v_fma_f64 v[202:203], v[42:43], v[2:3], -v[196:197]
	v_fma_f64 v[204:205], v[44:45], v[2:3], v[4:5]
	ds_load_b128 v[2:5], v1 offset:864
	ds_load_b128 v[196:199], v1 offset:880
	scratch_load_b128 v[42:45], off, off offset:240
	v_fma_f64 v[40:41], v[40:41], v[6:7], v[200:201]
	v_fma_f64 v[38:39], v[38:39], v[6:7], -v[8:9]
	scratch_load_b128 v[6:9], off, off offset:256
	s_waitcnt vmcnt(10) lgkmcnt(1)
	v_mul_f64 v[206:207], v[2:3], v[12:13]
	v_mul_f64 v[12:13], v[4:5], v[12:13]
	v_add_f64 v[200:201], v[202:203], 0
	v_add_f64 v[202:203], v[204:205], 0
	s_waitcnt vmcnt(9) lgkmcnt(0)
	v_mul_f64 v[204:205], v[196:197], v[16:17]
	v_mul_f64 v[16:17], v[198:199], v[16:17]
	v_fma_f64 v[206:207], v[4:5], v[10:11], v[206:207]
	v_fma_f64 v[208:209], v[2:3], v[10:11], -v[12:13]
	ds_load_b128 v[2:5], v1 offset:896
	scratch_load_b128 v[10:13], off, off offset:272
	v_add_f64 v[200:201], v[200:201], v[38:39]
	v_add_f64 v[202:203], v[202:203], v[40:41]
	ds_load_b128 v[38:41], v1 offset:912
	v_fma_f64 v[198:199], v[198:199], v[14:15], v[204:205]
	v_fma_f64 v[196:197], v[196:197], v[14:15], -v[16:17]
	scratch_load_b128 v[14:17], off, off offset:288
	s_waitcnt vmcnt(10) lgkmcnt(1)
	v_mul_f64 v[210:211], v[2:3], v[20:21]
	v_mul_f64 v[20:21], v[4:5], v[20:21]
	s_waitcnt vmcnt(9) lgkmcnt(0)
	v_mul_f64 v[204:205], v[38:39], v[24:25]
	v_mul_f64 v[24:25], v[40:41], v[24:25]
	v_add_f64 v[200:201], v[200:201], v[208:209]
	v_add_f64 v[202:203], v[202:203], v[206:207]
	v_fma_f64 v[206:207], v[4:5], v[18:19], v[210:211]
	v_fma_f64 v[208:209], v[2:3], v[18:19], -v[20:21]
	ds_load_b128 v[2:5], v1 offset:928
	scratch_load_b128 v[18:21], off, off offset:304
	v_fma_f64 v[40:41], v[40:41], v[22:23], v[204:205]
	v_fma_f64 v[38:39], v[38:39], v[22:23], -v[24:25]
	scratch_load_b128 v[22:25], off, off offset:320
	v_add_f64 v[200:201], v[200:201], v[196:197]
	v_add_f64 v[202:203], v[202:203], v[198:199]
	ds_load_b128 v[196:199], v1 offset:944
	s_waitcnt vmcnt(10) lgkmcnt(1)
	v_mul_f64 v[210:211], v[2:3], v[28:29]
	v_mul_f64 v[28:29], v[4:5], v[28:29]
	s_waitcnt vmcnt(9) lgkmcnt(0)
	v_mul_f64 v[204:205], v[196:197], v[32:33]
	v_mul_f64 v[32:33], v[198:199], v[32:33]
	v_add_f64 v[200:201], v[200:201], v[208:209]
	v_add_f64 v[202:203], v[202:203], v[206:207]
	v_fma_f64 v[206:207], v[4:5], v[26:27], v[210:211]
	v_fma_f64 v[208:209], v[2:3], v[26:27], -v[28:29]
	ds_load_b128 v[2:5], v1 offset:960
	scratch_load_b128 v[26:29], off, off offset:336
	v_fma_f64 v[198:199], v[198:199], v[30:31], v[204:205]
	v_fma_f64 v[196:197], v[196:197], v[30:31], -v[32:33]
	scratch_load_b128 v[30:33], off, off offset:352
	v_add_f64 v[200:201], v[200:201], v[38:39]
	v_add_f64 v[202:203], v[202:203], v[40:41]
	ds_load_b128 v[38:41], v1 offset:976
	s_waitcnt vmcnt(10) lgkmcnt(1)
	v_mul_f64 v[210:211], v[2:3], v[36:37]
	v_mul_f64 v[36:37], v[4:5], v[36:37]
	s_waitcnt vmcnt(8) lgkmcnt(0)
	v_mul_f64 v[204:205], v[38:39], v[194:195]
	v_add_f64 v[200:201], v[200:201], v[208:209]
	v_add_f64 v[202:203], v[202:203], v[206:207]
	v_mul_f64 v[206:207], v[40:41], v[194:195]
	v_fma_f64 v[208:209], v[4:5], v[34:35], v[210:211]
	v_fma_f64 v[210:211], v[2:3], v[34:35], -v[36:37]
	ds_load_b128 v[2:5], v1 offset:992
	scratch_load_b128 v[34:37], off, off offset:368
	v_fma_f64 v[204:205], v[40:41], v[192:193], v[204:205]
	v_add_f64 v[200:201], v[200:201], v[196:197]
	v_add_f64 v[198:199], v[202:203], v[198:199]
	ds_load_b128 v[194:197], v1 offset:1008
	v_fma_f64 v[192:193], v[38:39], v[192:193], -v[206:207]
	scratch_load_b128 v[38:41], off, off offset:384
	s_waitcnt vmcnt(9) lgkmcnt(1)
	v_mul_f64 v[202:203], v[2:3], v[44:45]
	v_mul_f64 v[44:45], v[4:5], v[44:45]
	s_waitcnt vmcnt(8) lgkmcnt(0)
	v_mul_f64 v[206:207], v[194:195], v[8:9]
	v_mul_f64 v[8:9], v[196:197], v[8:9]
	v_add_f64 v[200:201], v[200:201], v[210:211]
	v_add_f64 v[198:199], v[198:199], v[208:209]
	v_fma_f64 v[202:203], v[4:5], v[42:43], v[202:203]
	v_fma_f64 v[208:209], v[2:3], v[42:43], -v[44:45]
	ds_load_b128 v[2:5], v1 offset:1024
	scratch_load_b128 v[42:45], off, off offset:400
	v_fma_f64 v[196:197], v[196:197], v[6:7], v[206:207]
	v_fma_f64 v[194:195], v[194:195], v[6:7], -v[8:9]
	scratch_load_b128 v[6:9], off, off offset:416
	v_add_f64 v[192:193], v[200:201], v[192:193]
	v_add_f64 v[204:205], v[198:199], v[204:205]
	ds_load_b128 v[198:201], v1 offset:1040
	s_waitcnt vmcnt(9) lgkmcnt(1)
	v_mul_f64 v[210:211], v[2:3], v[12:13]
	v_mul_f64 v[12:13], v[4:5], v[12:13]
	v_add_f64 v[192:193], v[192:193], v[208:209]
	v_add_f64 v[202:203], v[204:205], v[202:203]
	s_waitcnt vmcnt(8) lgkmcnt(0)
	v_mul_f64 v[204:205], v[198:199], v[16:17]
	v_mul_f64 v[16:17], v[200:201], v[16:17]
	v_fma_f64 v[206:207], v[4:5], v[10:11], v[210:211]
	v_fma_f64 v[208:209], v[2:3], v[10:11], -v[12:13]
	ds_load_b128 v[2:5], v1 offset:1056
	scratch_load_b128 v[10:13], off, off offset:432
	v_add_f64 v[210:211], v[192:193], v[194:195]
	v_add_f64 v[196:197], v[202:203], v[196:197]
	ds_load_b128 v[192:195], v1 offset:1072
	s_waitcnt vmcnt(8) lgkmcnt(1)
	v_mul_f64 v[202:203], v[2:3], v[20:21]
	v_mul_f64 v[20:21], v[4:5], v[20:21]
	v_fma_f64 v[200:201], v[200:201], v[14:15], v[204:205]
	v_fma_f64 v[198:199], v[198:199], v[14:15], -v[16:17]
	scratch_load_b128 v[14:17], off, off offset:448
	v_add_f64 v[204:205], v[210:211], v[208:209]
	v_add_f64 v[196:197], v[196:197], v[206:207]
	s_waitcnt vmcnt(8) lgkmcnt(0)
	v_mul_f64 v[206:207], v[192:193], v[24:25]
	v_mul_f64 v[24:25], v[194:195], v[24:25]
	v_fma_f64 v[202:203], v[4:5], v[18:19], v[202:203]
	v_fma_f64 v[208:209], v[2:3], v[18:19], -v[20:21]
	ds_load_b128 v[2:5], v1 offset:1088
	scratch_load_b128 v[18:21], off, off offset:464
	v_add_f64 v[204:205], v[204:205], v[198:199]
	v_add_f64 v[200:201], v[196:197], v[200:201]
	ds_load_b128 v[196:199], v1 offset:1104
	s_waitcnt vmcnt(8) lgkmcnt(1)
	v_mul_f64 v[210:211], v[2:3], v[28:29]
	v_mul_f64 v[28:29], v[4:5], v[28:29]
	v_fma_f64 v[194:195], v[194:195], v[22:23], v[206:207]
	v_fma_f64 v[192:193], v[192:193], v[22:23], -v[24:25]
	scratch_load_b128 v[22:25], off, off offset:480
	;; [unrolled: 18-line block ×4, first 2 shown]
	s_waitcnt vmcnt(8) lgkmcnt(0)
	v_mul_f64 v[204:205], v[196:197], v[8:9]
	v_mul_f64 v[8:9], v[198:199], v[8:9]
	v_add_f64 v[202:203], v[202:203], v[208:209]
	v_add_f64 v[200:201], v[200:201], v[206:207]
	v_fma_f64 v[206:207], v[4:5], v[42:43], v[210:211]
	v_fma_f64 v[208:209], v[2:3], v[42:43], -v[44:45]
	ds_load_b128 v[2:5], v1 offset:1184
	scratch_load_b128 v[42:45], off, off offset:560
	v_fma_f64 v[198:199], v[198:199], v[6:7], v[204:205]
	v_fma_f64 v[196:197], v[196:197], v[6:7], -v[8:9]
	scratch_load_b128 v[6:9], off, off offset:576
	v_add_f64 v[202:203], v[202:203], v[192:193]
	v_add_f64 v[200:201], v[200:201], v[194:195]
	ds_load_b128 v[192:195], v1 offset:1200
	s_waitcnt vmcnt(9) lgkmcnt(1)
	v_mul_f64 v[210:211], v[2:3], v[12:13]
	v_mul_f64 v[12:13], v[4:5], v[12:13]
	s_waitcnt vmcnt(8) lgkmcnt(0)
	v_mul_f64 v[204:205], v[192:193], v[16:17]
	v_mul_f64 v[16:17], v[194:195], v[16:17]
	v_add_f64 v[202:203], v[202:203], v[208:209]
	v_add_f64 v[200:201], v[200:201], v[206:207]
	v_fma_f64 v[206:207], v[4:5], v[10:11], v[210:211]
	v_fma_f64 v[208:209], v[2:3], v[10:11], -v[12:13]
	ds_load_b128 v[2:5], v1 offset:1216
	scratch_load_b128 v[10:13], off, off offset:592
	v_fma_f64 v[194:195], v[194:195], v[14:15], v[204:205]
	v_fma_f64 v[192:193], v[192:193], v[14:15], -v[16:17]
	scratch_load_b128 v[14:17], off, off offset:608
	v_add_f64 v[202:203], v[202:203], v[196:197]
	v_add_f64 v[200:201], v[200:201], v[198:199]
	ds_load_b128 v[196:199], v1 offset:1232
	s_waitcnt vmcnt(9) lgkmcnt(1)
	v_mul_f64 v[210:211], v[2:3], v[20:21]
	v_mul_f64 v[20:21], v[4:5], v[20:21]
	;; [unrolled: 18-line block ×6, first 2 shown]
	s_waitcnt vmcnt(8) lgkmcnt(0)
	v_mul_f64 v[204:205], v[196:197], v[16:17]
	v_mul_f64 v[16:17], v[198:199], v[16:17]
	v_add_f64 v[202:203], v[202:203], v[208:209]
	v_add_f64 v[200:201], v[200:201], v[206:207]
	v_fma_f64 v[206:207], v[4:5], v[10:11], v[210:211]
	v_fma_f64 v[208:209], v[2:3], v[10:11], -v[12:13]
	ds_load_b128 v[2:5], v1 offset:1376
	ds_load_b128 v[10:13], v1 offset:1392
	v_fma_f64 v[198:199], v[198:199], v[14:15], v[204:205]
	v_fma_f64 v[14:15], v[196:197], v[14:15], -v[16:17]
	v_add_f64 v[192:193], v[202:203], v[192:193]
	v_add_f64 v[194:195], v[200:201], v[194:195]
	s_waitcnt vmcnt(7) lgkmcnt(1)
	v_mul_f64 v[200:201], v[2:3], v[20:21]
	v_mul_f64 v[20:21], v[4:5], v[20:21]
	s_delay_alu instid0(VALU_DEP_4) | instskip(NEXT) | instid1(VALU_DEP_4)
	v_add_f64 v[16:17], v[192:193], v[208:209]
	v_add_f64 v[192:193], v[194:195], v[206:207]
	s_waitcnt vmcnt(6) lgkmcnt(0)
	v_mul_f64 v[194:195], v[10:11], v[24:25]
	v_mul_f64 v[24:25], v[12:13], v[24:25]
	v_fma_f64 v[196:197], v[4:5], v[18:19], v[200:201]
	v_fma_f64 v[18:19], v[2:3], v[18:19], -v[20:21]
	v_add_f64 v[20:21], v[16:17], v[14:15]
	v_add_f64 v[192:193], v[192:193], v[198:199]
	ds_load_b128 v[2:5], v1 offset:1408
	ds_load_b128 v[14:17], v1 offset:1424
	v_fma_f64 v[12:13], v[12:13], v[22:23], v[194:195]
	v_fma_f64 v[10:11], v[10:11], v[22:23], -v[24:25]
	s_waitcnt vmcnt(5) lgkmcnt(1)
	v_mul_f64 v[198:199], v[2:3], v[28:29]
	v_mul_f64 v[28:29], v[4:5], v[28:29]
	s_waitcnt vmcnt(4) lgkmcnt(0)
	v_mul_f64 v[22:23], v[14:15], v[32:33]
	v_mul_f64 v[24:25], v[16:17], v[32:33]
	v_add_f64 v[18:19], v[20:21], v[18:19]
	v_add_f64 v[20:21], v[192:193], v[196:197]
	v_fma_f64 v[32:33], v[4:5], v[26:27], v[198:199]
	v_fma_f64 v[26:27], v[2:3], v[26:27], -v[28:29]
	v_fma_f64 v[16:17], v[16:17], v[30:31], v[22:23]
	v_fma_f64 v[14:15], v[14:15], v[30:31], -v[24:25]
	v_add_f64 v[18:19], v[18:19], v[10:11]
	v_add_f64 v[20:21], v[20:21], v[12:13]
	ds_load_b128 v[2:5], v1 offset:1440
	ds_load_b128 v[10:13], v1 offset:1456
	s_waitcnt vmcnt(3) lgkmcnt(1)
	v_mul_f64 v[28:29], v[2:3], v[36:37]
	v_mul_f64 v[36:37], v[4:5], v[36:37]
	s_waitcnt vmcnt(2) lgkmcnt(0)
	v_mul_f64 v[22:23], v[10:11], v[40:41]
	v_mul_f64 v[24:25], v[12:13], v[40:41]
	v_add_f64 v[18:19], v[18:19], v[26:27]
	v_add_f64 v[20:21], v[20:21], v[32:33]
	v_fma_f64 v[26:27], v[4:5], v[34:35], v[28:29]
	v_fma_f64 v[28:29], v[2:3], v[34:35], -v[36:37]
	v_fma_f64 v[12:13], v[12:13], v[38:39], v[22:23]
	v_fma_f64 v[10:11], v[10:11], v[38:39], -v[24:25]
	v_add_f64 v[18:19], v[18:19], v[14:15]
	v_add_f64 v[20:21], v[20:21], v[16:17]
	ds_load_b128 v[2:5], v1 offset:1472
	ds_load_b128 v[14:17], v1 offset:1488
	s_waitcnt vmcnt(1) lgkmcnt(1)
	v_mul_f64 v[30:31], v[2:3], v[44:45]
	v_mul_f64 v[32:33], v[4:5], v[44:45]
	s_waitcnt vmcnt(0) lgkmcnt(0)
	v_mul_f64 v[22:23], v[14:15], v[8:9]
	v_mul_f64 v[8:9], v[16:17], v[8:9]
	v_add_f64 v[18:19], v[18:19], v[28:29]
	v_add_f64 v[20:21], v[20:21], v[26:27]
	v_fma_f64 v[4:5], v[4:5], v[42:43], v[30:31]
	v_fma_f64 v[1:2], v[2:3], v[42:43], -v[32:33]
	v_fma_f64 v[16:17], v[16:17], v[6:7], v[22:23]
	v_fma_f64 v[6:7], v[14:15], v[6:7], -v[8:9]
	v_add_f64 v[10:11], v[18:19], v[10:11]
	v_add_f64 v[12:13], v[20:21], v[12:13]
	s_delay_alu instid0(VALU_DEP_2) | instskip(NEXT) | instid1(VALU_DEP_2)
	v_add_f64 v[1:2], v[10:11], v[1:2]
	v_add_f64 v[3:4], v[12:13], v[4:5]
	s_delay_alu instid0(VALU_DEP_2) | instskip(NEXT) | instid1(VALU_DEP_2)
	;; [unrolled: 3-line block ×3, first 2 shown]
	v_add_f64 v[1:2], v[188:189], -v[1:2]
	v_add_f64 v[3:4], v[190:191], -v[3:4]
	scratch_store_b128 off, v[1:4], off offset:64
	v_cmpx_lt_u32_e32 3, v140
	s_cbranch_execz .LBB110_289
; %bb.288:
	scratch_load_b128 v[1:4], v184, off
	v_mov_b32_e32 v5, 0
	s_delay_alu instid0(VALU_DEP_1)
	v_mov_b32_e32 v6, v5
	v_mov_b32_e32 v7, v5
	;; [unrolled: 1-line block ×3, first 2 shown]
	scratch_store_b128 off, v[5:8], off offset:48
	s_waitcnt vmcnt(0)
	ds_store_b128 v187, v[1:4]
.LBB110_289:
	s_or_b32 exec_lo, exec_lo, s2
	s_waitcnt lgkmcnt(0)
	s_waitcnt_vscnt null, 0x0
	s_barrier
	buffer_gl0_inv
	s_clause 0x7
	scratch_load_b128 v[2:5], off, off offset:64
	scratch_load_b128 v[6:9], off, off offset:80
	;; [unrolled: 1-line block ×8, first 2 shown]
	v_mov_b32_e32 v1, 0
	s_mov_b32 s2, exec_lo
	ds_load_b128 v[38:41], v1 offset:816
	s_clause 0x1
	scratch_load_b128 v[34:37], off, off offset:192
	scratch_load_b128 v[42:45], off, off offset:48
	ds_load_b128 v[188:191], v1 offset:832
	scratch_load_b128 v[192:195], off, off offset:208
	s_waitcnt vmcnt(10) lgkmcnt(1)
	v_mul_f64 v[196:197], v[40:41], v[4:5]
	v_mul_f64 v[4:5], v[38:39], v[4:5]
	s_delay_alu instid0(VALU_DEP_2) | instskip(NEXT) | instid1(VALU_DEP_2)
	v_fma_f64 v[202:203], v[38:39], v[2:3], -v[196:197]
	v_fma_f64 v[204:205], v[40:41], v[2:3], v[4:5]
	scratch_load_b128 v[38:41], off, off offset:224
	ds_load_b128 v[2:5], v1 offset:848
	s_waitcnt vmcnt(10) lgkmcnt(1)
	v_mul_f64 v[200:201], v[188:189], v[8:9]
	v_mul_f64 v[8:9], v[190:191], v[8:9]
	ds_load_b128 v[196:199], v1 offset:864
	s_waitcnt vmcnt(9) lgkmcnt(1)
	v_mul_f64 v[206:207], v[2:3], v[12:13]
	v_mul_f64 v[12:13], v[4:5], v[12:13]
	v_fma_f64 v[190:191], v[190:191], v[6:7], v[200:201]
	v_fma_f64 v[188:189], v[188:189], v[6:7], -v[8:9]
	v_add_f64 v[200:201], v[202:203], 0
	v_add_f64 v[202:203], v[204:205], 0
	scratch_load_b128 v[6:9], off, off offset:240
	v_fma_f64 v[206:207], v[4:5], v[10:11], v[206:207]
	v_fma_f64 v[208:209], v[2:3], v[10:11], -v[12:13]
	scratch_load_b128 v[10:13], off, off offset:256
	ds_load_b128 v[2:5], v1 offset:880
	s_waitcnt vmcnt(10) lgkmcnt(1)
	v_mul_f64 v[204:205], v[196:197], v[16:17]
	v_mul_f64 v[16:17], v[198:199], v[16:17]
	v_add_f64 v[200:201], v[200:201], v[188:189]
	v_add_f64 v[202:203], v[202:203], v[190:191]
	s_waitcnt vmcnt(9) lgkmcnt(0)
	v_mul_f64 v[210:211], v[2:3], v[20:21]
	v_mul_f64 v[20:21], v[4:5], v[20:21]
	ds_load_b128 v[188:191], v1 offset:896
	v_fma_f64 v[198:199], v[198:199], v[14:15], v[204:205]
	v_fma_f64 v[196:197], v[196:197], v[14:15], -v[16:17]
	scratch_load_b128 v[14:17], off, off offset:272
	v_add_f64 v[200:201], v[200:201], v[208:209]
	v_add_f64 v[202:203], v[202:203], v[206:207]
	v_fma_f64 v[206:207], v[4:5], v[18:19], v[210:211]
	v_fma_f64 v[208:209], v[2:3], v[18:19], -v[20:21]
	scratch_load_b128 v[18:21], off, off offset:288
	ds_load_b128 v[2:5], v1 offset:912
	s_waitcnt vmcnt(10) lgkmcnt(1)
	v_mul_f64 v[204:205], v[188:189], v[24:25]
	v_mul_f64 v[24:25], v[190:191], v[24:25]
	s_waitcnt vmcnt(9) lgkmcnt(0)
	v_mul_f64 v[210:211], v[2:3], v[28:29]
	v_mul_f64 v[28:29], v[4:5], v[28:29]
	v_add_f64 v[200:201], v[200:201], v[196:197]
	v_add_f64 v[202:203], v[202:203], v[198:199]
	ds_load_b128 v[196:199], v1 offset:928
	v_fma_f64 v[190:191], v[190:191], v[22:23], v[204:205]
	v_fma_f64 v[188:189], v[188:189], v[22:23], -v[24:25]
	scratch_load_b128 v[22:25], off, off offset:304
	v_add_f64 v[200:201], v[200:201], v[208:209]
	v_add_f64 v[202:203], v[202:203], v[206:207]
	v_fma_f64 v[206:207], v[4:5], v[26:27], v[210:211]
	v_fma_f64 v[208:209], v[2:3], v[26:27], -v[28:29]
	scratch_load_b128 v[26:29], off, off offset:320
	ds_load_b128 v[2:5], v1 offset:944
	s_waitcnt vmcnt(10) lgkmcnt(1)
	v_mul_f64 v[204:205], v[196:197], v[32:33]
	v_mul_f64 v[32:33], v[198:199], v[32:33]
	s_waitcnt vmcnt(9) lgkmcnt(0)
	v_mul_f64 v[210:211], v[2:3], v[36:37]
	v_mul_f64 v[36:37], v[4:5], v[36:37]
	v_add_f64 v[200:201], v[200:201], v[188:189]
	v_add_f64 v[202:203], v[202:203], v[190:191]
	ds_load_b128 v[188:191], v1 offset:960
	v_fma_f64 v[198:199], v[198:199], v[30:31], v[204:205]
	v_fma_f64 v[196:197], v[196:197], v[30:31], -v[32:33]
	scratch_load_b128 v[30:33], off, off offset:336
	v_add_f64 v[200:201], v[200:201], v[208:209]
	v_add_f64 v[202:203], v[202:203], v[206:207]
	v_fma_f64 v[208:209], v[4:5], v[34:35], v[210:211]
	v_fma_f64 v[210:211], v[2:3], v[34:35], -v[36:37]
	scratch_load_b128 v[34:37], off, off offset:352
	ds_load_b128 v[2:5], v1 offset:976
	s_waitcnt vmcnt(9) lgkmcnt(1)
	v_mul_f64 v[204:205], v[188:189], v[194:195]
	v_mul_f64 v[206:207], v[190:191], v[194:195]
	v_add_f64 v[200:201], v[200:201], v[196:197]
	v_add_f64 v[198:199], v[202:203], v[198:199]
	ds_load_b128 v[194:197], v1 offset:992
	v_fma_f64 v[204:205], v[190:191], v[192:193], v[204:205]
	v_fma_f64 v[192:193], v[188:189], v[192:193], -v[206:207]
	scratch_load_b128 v[188:191], off, off offset:368
	s_waitcnt vmcnt(9) lgkmcnt(1)
	v_mul_f64 v[202:203], v[2:3], v[40:41]
	v_mul_f64 v[40:41], v[4:5], v[40:41]
	v_add_f64 v[200:201], v[200:201], v[210:211]
	v_add_f64 v[198:199], v[198:199], v[208:209]
	s_delay_alu instid0(VALU_DEP_4) | instskip(NEXT) | instid1(VALU_DEP_4)
	v_fma_f64 v[202:203], v[4:5], v[38:39], v[202:203]
	v_fma_f64 v[208:209], v[2:3], v[38:39], -v[40:41]
	scratch_load_b128 v[38:41], off, off offset:384
	ds_load_b128 v[2:5], v1 offset:1008
	s_waitcnt vmcnt(9) lgkmcnt(1)
	v_mul_f64 v[206:207], v[194:195], v[8:9]
	v_mul_f64 v[8:9], v[196:197], v[8:9]
	s_waitcnt vmcnt(8) lgkmcnt(0)
	v_mul_f64 v[210:211], v[2:3], v[12:13]
	v_mul_f64 v[12:13], v[4:5], v[12:13]
	v_add_f64 v[192:193], v[200:201], v[192:193]
	v_add_f64 v[204:205], v[198:199], v[204:205]
	ds_load_b128 v[198:201], v1 offset:1024
	v_fma_f64 v[196:197], v[196:197], v[6:7], v[206:207]
	v_fma_f64 v[194:195], v[194:195], v[6:7], -v[8:9]
	scratch_load_b128 v[6:9], off, off offset:400
	v_fma_f64 v[206:207], v[4:5], v[10:11], v[210:211]
	v_add_f64 v[192:193], v[192:193], v[208:209]
	v_add_f64 v[202:203], v[204:205], v[202:203]
	v_fma_f64 v[208:209], v[2:3], v[10:11], -v[12:13]
	scratch_load_b128 v[10:13], off, off offset:416
	ds_load_b128 v[2:5], v1 offset:1040
	s_waitcnt vmcnt(9) lgkmcnt(1)
	v_mul_f64 v[204:205], v[198:199], v[16:17]
	v_mul_f64 v[16:17], v[200:201], v[16:17]
	v_add_f64 v[210:211], v[192:193], v[194:195]
	v_add_f64 v[196:197], v[202:203], v[196:197]
	s_waitcnt vmcnt(8) lgkmcnt(0)
	v_mul_f64 v[202:203], v[2:3], v[20:21]
	v_mul_f64 v[20:21], v[4:5], v[20:21]
	ds_load_b128 v[192:195], v1 offset:1056
	v_fma_f64 v[200:201], v[200:201], v[14:15], v[204:205]
	v_fma_f64 v[198:199], v[198:199], v[14:15], -v[16:17]
	scratch_load_b128 v[14:17], off, off offset:432
	v_add_f64 v[204:205], v[210:211], v[208:209]
	v_add_f64 v[196:197], v[196:197], v[206:207]
	v_fma_f64 v[202:203], v[4:5], v[18:19], v[202:203]
	v_fma_f64 v[208:209], v[2:3], v[18:19], -v[20:21]
	scratch_load_b128 v[18:21], off, off offset:448
	ds_load_b128 v[2:5], v1 offset:1072
	s_waitcnt vmcnt(9) lgkmcnt(1)
	v_mul_f64 v[206:207], v[192:193], v[24:25]
	v_mul_f64 v[24:25], v[194:195], v[24:25]
	s_waitcnt vmcnt(8) lgkmcnt(0)
	v_mul_f64 v[210:211], v[2:3], v[28:29]
	v_mul_f64 v[28:29], v[4:5], v[28:29]
	v_add_f64 v[204:205], v[204:205], v[198:199]
	v_add_f64 v[200:201], v[196:197], v[200:201]
	ds_load_b128 v[196:199], v1 offset:1088
	v_fma_f64 v[194:195], v[194:195], v[22:23], v[206:207]
	v_fma_f64 v[192:193], v[192:193], v[22:23], -v[24:25]
	scratch_load_b128 v[22:25], off, off offset:464
	v_fma_f64 v[206:207], v[4:5], v[26:27], v[210:211]
	v_add_f64 v[204:205], v[204:205], v[208:209]
	v_add_f64 v[200:201], v[200:201], v[202:203]
	v_fma_f64 v[208:209], v[2:3], v[26:27], -v[28:29]
	scratch_load_b128 v[26:29], off, off offset:480
	ds_load_b128 v[2:5], v1 offset:1104
	s_waitcnt vmcnt(9) lgkmcnt(1)
	v_mul_f64 v[202:203], v[196:197], v[32:33]
	v_mul_f64 v[32:33], v[198:199], v[32:33]
	s_waitcnt vmcnt(8) lgkmcnt(0)
	v_mul_f64 v[210:211], v[2:3], v[36:37]
	v_mul_f64 v[36:37], v[4:5], v[36:37]
	v_add_f64 v[204:205], v[204:205], v[192:193]
	v_add_f64 v[200:201], v[200:201], v[194:195]
	ds_load_b128 v[192:195], v1 offset:1120
	v_fma_f64 v[198:199], v[198:199], v[30:31], v[202:203]
	v_fma_f64 v[196:197], v[196:197], v[30:31], -v[32:33]
	scratch_load_b128 v[30:33], off, off offset:496
	v_add_f64 v[202:203], v[204:205], v[208:209]
	v_add_f64 v[200:201], v[200:201], v[206:207]
	v_fma_f64 v[206:207], v[4:5], v[34:35], v[210:211]
	v_fma_f64 v[208:209], v[2:3], v[34:35], -v[36:37]
	scratch_load_b128 v[34:37], off, off offset:512
	ds_load_b128 v[2:5], v1 offset:1136
	s_waitcnt vmcnt(9) lgkmcnt(1)
	v_mul_f64 v[204:205], v[192:193], v[190:191]
	v_mul_f64 v[190:191], v[194:195], v[190:191]
	s_waitcnt vmcnt(8) lgkmcnt(0)
	v_mul_f64 v[210:211], v[2:3], v[40:41]
	v_mul_f64 v[40:41], v[4:5], v[40:41]
	v_add_f64 v[202:203], v[202:203], v[196:197]
	v_add_f64 v[200:201], v[200:201], v[198:199]
	ds_load_b128 v[196:199], v1 offset:1152
	v_fma_f64 v[194:195], v[194:195], v[188:189], v[204:205]
	v_fma_f64 v[192:193], v[192:193], v[188:189], -v[190:191]
	scratch_load_b128 v[188:191], off, off offset:528
	v_add_f64 v[202:203], v[202:203], v[208:209]
	v_add_f64 v[200:201], v[200:201], v[206:207]
	v_fma_f64 v[206:207], v[4:5], v[38:39], v[210:211]
	;; [unrolled: 18-line block ×6, first 2 shown]
	v_fma_f64 v[210:211], v[2:3], v[34:35], -v[36:37]
	scratch_load_b128 v[34:37], off, off offset:672
	ds_load_b128 v[2:5], v1 offset:1296
	s_waitcnt vmcnt(9) lgkmcnt(1)
	v_mul_f64 v[204:205], v[196:197], v[190:191]
	v_mul_f64 v[206:207], v[198:199], v[190:191]
	v_add_f64 v[202:203], v[202:203], v[192:193]
	v_add_f64 v[194:195], v[200:201], v[194:195]
	s_waitcnt vmcnt(8) lgkmcnt(0)
	v_mul_f64 v[200:201], v[2:3], v[40:41]
	v_mul_f64 v[40:41], v[4:5], v[40:41]
	ds_load_b128 v[190:193], v1 offset:1312
	v_fma_f64 v[198:199], v[198:199], v[188:189], v[204:205]
	v_fma_f64 v[188:189], v[196:197], v[188:189], -v[206:207]
	v_add_f64 v[202:203], v[202:203], v[210:211]
	v_add_f64 v[204:205], v[194:195], v[208:209]
	scratch_load_b128 v[194:197], off, off offset:688
	v_fma_f64 v[208:209], v[4:5], v[38:39], v[200:201]
	v_fma_f64 v[210:211], v[2:3], v[38:39], -v[40:41]
	scratch_load_b128 v[38:41], off, off offset:704
	ds_load_b128 v[2:5], v1 offset:1328
	s_waitcnt vmcnt(9) lgkmcnt(1)
	v_mul_f64 v[206:207], v[190:191], v[8:9]
	v_mul_f64 v[8:9], v[192:193], v[8:9]
	v_add_f64 v[188:189], v[202:203], v[188:189]
	v_add_f64 v[202:203], v[204:205], v[198:199]
	s_waitcnt vmcnt(8) lgkmcnt(0)
	v_mul_f64 v[204:205], v[2:3], v[12:13]
	v_mul_f64 v[12:13], v[4:5], v[12:13]
	ds_load_b128 v[198:201], v1 offset:1344
	v_fma_f64 v[192:193], v[192:193], v[6:7], v[206:207]
	v_fma_f64 v[190:191], v[190:191], v[6:7], -v[8:9]
	scratch_load_b128 v[6:9], off, off offset:720
	v_add_f64 v[188:189], v[188:189], v[210:211]
	v_add_f64 v[202:203], v[202:203], v[208:209]
	v_fma_f64 v[204:205], v[4:5], v[10:11], v[204:205]
	v_fma_f64 v[208:209], v[2:3], v[10:11], -v[12:13]
	scratch_load_b128 v[10:13], off, off offset:736
	ds_load_b128 v[2:5], v1 offset:1360
	s_waitcnt vmcnt(9) lgkmcnt(1)
	v_mul_f64 v[206:207], v[198:199], v[16:17]
	v_mul_f64 v[16:17], v[200:201], v[16:17]
	v_add_f64 v[210:211], v[188:189], v[190:191]
	v_add_f64 v[192:193], v[202:203], v[192:193]
	s_waitcnt vmcnt(8) lgkmcnt(0)
	v_mul_f64 v[202:203], v[2:3], v[20:21]
	v_mul_f64 v[20:21], v[4:5], v[20:21]
	ds_load_b128 v[188:191], v1 offset:1376
	v_fma_f64 v[200:201], v[200:201], v[14:15], v[206:207]
	v_fma_f64 v[14:15], v[198:199], v[14:15], -v[16:17]
	s_waitcnt vmcnt(7) lgkmcnt(0)
	v_mul_f64 v[198:199], v[188:189], v[24:25]
	v_mul_f64 v[24:25], v[190:191], v[24:25]
	v_add_f64 v[16:17], v[210:211], v[208:209]
	v_add_f64 v[192:193], v[192:193], v[204:205]
	v_fma_f64 v[202:203], v[4:5], v[18:19], v[202:203]
	v_fma_f64 v[18:19], v[2:3], v[18:19], -v[20:21]
	v_fma_f64 v[190:191], v[190:191], v[22:23], v[198:199]
	v_fma_f64 v[22:23], v[188:189], v[22:23], -v[24:25]
	v_add_f64 v[20:21], v[16:17], v[14:15]
	v_add_f64 v[192:193], v[192:193], v[200:201]
	ds_load_b128 v[2:5], v1 offset:1392
	ds_load_b128 v[14:17], v1 offset:1408
	s_waitcnt vmcnt(6) lgkmcnt(1)
	v_mul_f64 v[200:201], v[2:3], v[28:29]
	v_mul_f64 v[28:29], v[4:5], v[28:29]
	s_waitcnt vmcnt(5) lgkmcnt(0)
	v_mul_f64 v[24:25], v[14:15], v[32:33]
	v_mul_f64 v[32:33], v[16:17], v[32:33]
	v_add_f64 v[18:19], v[20:21], v[18:19]
	v_add_f64 v[20:21], v[192:193], v[202:203]
	v_fma_f64 v[188:189], v[4:5], v[26:27], v[200:201]
	v_fma_f64 v[26:27], v[2:3], v[26:27], -v[28:29]
	v_fma_f64 v[16:17], v[16:17], v[30:31], v[24:25]
	v_fma_f64 v[14:15], v[14:15], v[30:31], -v[32:33]
	v_add_f64 v[22:23], v[18:19], v[22:23]
	v_add_f64 v[28:29], v[20:21], v[190:191]
	ds_load_b128 v[2:5], v1 offset:1424
	ds_load_b128 v[18:21], v1 offset:1440
	s_waitcnt vmcnt(4) lgkmcnt(1)
	v_mul_f64 v[190:191], v[2:3], v[36:37]
	v_mul_f64 v[36:37], v[4:5], v[36:37]
	v_add_f64 v[22:23], v[22:23], v[26:27]
	v_add_f64 v[24:25], v[28:29], v[188:189]
	s_waitcnt vmcnt(3) lgkmcnt(0)
	v_mul_f64 v[26:27], v[18:19], v[196:197]
	v_mul_f64 v[28:29], v[20:21], v[196:197]
	v_fma_f64 v[30:31], v[4:5], v[34:35], v[190:191]
	v_fma_f64 v[32:33], v[2:3], v[34:35], -v[36:37]
	v_add_f64 v[22:23], v[22:23], v[14:15]
	v_add_f64 v[24:25], v[24:25], v[16:17]
	ds_load_b128 v[2:5], v1 offset:1456
	ds_load_b128 v[14:17], v1 offset:1472
	v_fma_f64 v[20:21], v[20:21], v[194:195], v[26:27]
	v_fma_f64 v[18:19], v[18:19], v[194:195], -v[28:29]
	s_waitcnt vmcnt(2) lgkmcnt(1)
	v_mul_f64 v[34:35], v[2:3], v[40:41]
	v_mul_f64 v[36:37], v[4:5], v[40:41]
	s_waitcnt vmcnt(1) lgkmcnt(0)
	v_mul_f64 v[26:27], v[14:15], v[8:9]
	v_mul_f64 v[8:9], v[16:17], v[8:9]
	v_add_f64 v[22:23], v[22:23], v[32:33]
	v_add_f64 v[24:25], v[24:25], v[30:31]
	v_fma_f64 v[28:29], v[4:5], v[38:39], v[34:35]
	v_fma_f64 v[30:31], v[2:3], v[38:39], -v[36:37]
	ds_load_b128 v[2:5], v1 offset:1488
	v_fma_f64 v[16:17], v[16:17], v[6:7], v[26:27]
	v_fma_f64 v[6:7], v[14:15], v[6:7], -v[8:9]
	v_add_f64 v[18:19], v[22:23], v[18:19]
	v_add_f64 v[20:21], v[24:25], v[20:21]
	s_waitcnt vmcnt(0) lgkmcnt(0)
	v_mul_f64 v[22:23], v[2:3], v[12:13]
	v_mul_f64 v[12:13], v[4:5], v[12:13]
	s_delay_alu instid0(VALU_DEP_4) | instskip(NEXT) | instid1(VALU_DEP_4)
	v_add_f64 v[8:9], v[18:19], v[30:31]
	v_add_f64 v[14:15], v[20:21], v[28:29]
	s_delay_alu instid0(VALU_DEP_4) | instskip(NEXT) | instid1(VALU_DEP_4)
	v_fma_f64 v[4:5], v[4:5], v[10:11], v[22:23]
	v_fma_f64 v[2:3], v[2:3], v[10:11], -v[12:13]
	s_delay_alu instid0(VALU_DEP_4) | instskip(NEXT) | instid1(VALU_DEP_4)
	v_add_f64 v[6:7], v[8:9], v[6:7]
	v_add_f64 v[8:9], v[14:15], v[16:17]
	s_delay_alu instid0(VALU_DEP_2) | instskip(NEXT) | instid1(VALU_DEP_2)
	v_add_f64 v[2:3], v[6:7], v[2:3]
	v_add_f64 v[4:5], v[8:9], v[4:5]
	s_delay_alu instid0(VALU_DEP_2) | instskip(NEXT) | instid1(VALU_DEP_2)
	v_add_f64 v[2:3], v[42:43], -v[2:3]
	v_add_f64 v[4:5], v[44:45], -v[4:5]
	scratch_store_b128 off, v[2:5], off offset:48
	v_cmpx_lt_u32_e32 2, v140
	s_cbranch_execz .LBB110_291
; %bb.290:
	scratch_load_b128 v[5:8], v185, off
	v_mov_b32_e32 v2, v1
	v_mov_b32_e32 v3, v1
	;; [unrolled: 1-line block ×3, first 2 shown]
	scratch_store_b128 off, v[1:4], off offset:32
	s_waitcnt vmcnt(0)
	ds_store_b128 v187, v[5:8]
.LBB110_291:
	s_or_b32 exec_lo, exec_lo, s2
	s_waitcnt lgkmcnt(0)
	s_waitcnt_vscnt null, 0x0
	s_barrier
	buffer_gl0_inv
	s_clause 0x8
	scratch_load_b128 v[2:5], off, off offset:48
	scratch_load_b128 v[6:9], off, off offset:64
	;; [unrolled: 1-line block ×9, first 2 shown]
	ds_load_b128 v[42:45], v1 offset:800
	ds_load_b128 v[38:41], v1 offset:816
	s_clause 0x1
	scratch_load_b128 v[188:191], off, off offset:32
	scratch_load_b128 v[192:195], off, off offset:192
	s_mov_b32 s2, exec_lo
	s_waitcnt vmcnt(10) lgkmcnt(1)
	v_mul_f64 v[196:197], v[44:45], v[4:5]
	v_mul_f64 v[4:5], v[42:43], v[4:5]
	s_waitcnt vmcnt(9) lgkmcnt(0)
	v_mul_f64 v[200:201], v[38:39], v[8:9]
	v_mul_f64 v[8:9], v[40:41], v[8:9]
	s_delay_alu instid0(VALU_DEP_4) | instskip(NEXT) | instid1(VALU_DEP_4)
	v_fma_f64 v[202:203], v[42:43], v[2:3], -v[196:197]
	v_fma_f64 v[204:205], v[44:45], v[2:3], v[4:5]
	ds_load_b128 v[2:5], v1 offset:832
	ds_load_b128 v[196:199], v1 offset:848
	scratch_load_b128 v[42:45], off, off offset:208
	v_fma_f64 v[40:41], v[40:41], v[6:7], v[200:201]
	v_fma_f64 v[38:39], v[38:39], v[6:7], -v[8:9]
	scratch_load_b128 v[6:9], off, off offset:224
	s_waitcnt vmcnt(10) lgkmcnt(1)
	v_mul_f64 v[206:207], v[2:3], v[12:13]
	v_mul_f64 v[12:13], v[4:5], v[12:13]
	v_add_f64 v[200:201], v[202:203], 0
	v_add_f64 v[202:203], v[204:205], 0
	s_waitcnt vmcnt(9) lgkmcnt(0)
	v_mul_f64 v[204:205], v[196:197], v[16:17]
	v_mul_f64 v[16:17], v[198:199], v[16:17]
	v_fma_f64 v[206:207], v[4:5], v[10:11], v[206:207]
	v_fma_f64 v[208:209], v[2:3], v[10:11], -v[12:13]
	ds_load_b128 v[2:5], v1 offset:864
	scratch_load_b128 v[10:13], off, off offset:240
	v_add_f64 v[200:201], v[200:201], v[38:39]
	v_add_f64 v[202:203], v[202:203], v[40:41]
	ds_load_b128 v[38:41], v1 offset:880
	v_fma_f64 v[198:199], v[198:199], v[14:15], v[204:205]
	v_fma_f64 v[196:197], v[196:197], v[14:15], -v[16:17]
	scratch_load_b128 v[14:17], off, off offset:256
	s_waitcnt vmcnt(10) lgkmcnt(1)
	v_mul_f64 v[210:211], v[2:3], v[20:21]
	v_mul_f64 v[20:21], v[4:5], v[20:21]
	s_waitcnt vmcnt(9) lgkmcnt(0)
	v_mul_f64 v[204:205], v[38:39], v[24:25]
	v_mul_f64 v[24:25], v[40:41], v[24:25]
	v_add_f64 v[200:201], v[200:201], v[208:209]
	v_add_f64 v[202:203], v[202:203], v[206:207]
	v_fma_f64 v[206:207], v[4:5], v[18:19], v[210:211]
	v_fma_f64 v[208:209], v[2:3], v[18:19], -v[20:21]
	ds_load_b128 v[2:5], v1 offset:896
	scratch_load_b128 v[18:21], off, off offset:272
	v_fma_f64 v[40:41], v[40:41], v[22:23], v[204:205]
	v_fma_f64 v[38:39], v[38:39], v[22:23], -v[24:25]
	scratch_load_b128 v[22:25], off, off offset:288
	v_add_f64 v[200:201], v[200:201], v[196:197]
	v_add_f64 v[202:203], v[202:203], v[198:199]
	ds_load_b128 v[196:199], v1 offset:912
	s_waitcnt vmcnt(10) lgkmcnt(1)
	v_mul_f64 v[210:211], v[2:3], v[28:29]
	v_mul_f64 v[28:29], v[4:5], v[28:29]
	s_waitcnt vmcnt(9) lgkmcnt(0)
	v_mul_f64 v[204:205], v[196:197], v[32:33]
	v_mul_f64 v[32:33], v[198:199], v[32:33]
	v_add_f64 v[200:201], v[200:201], v[208:209]
	v_add_f64 v[202:203], v[202:203], v[206:207]
	v_fma_f64 v[206:207], v[4:5], v[26:27], v[210:211]
	v_fma_f64 v[208:209], v[2:3], v[26:27], -v[28:29]
	ds_load_b128 v[2:5], v1 offset:928
	scratch_load_b128 v[26:29], off, off offset:304
	v_fma_f64 v[198:199], v[198:199], v[30:31], v[204:205]
	v_fma_f64 v[196:197], v[196:197], v[30:31], -v[32:33]
	scratch_load_b128 v[30:33], off, off offset:320
	v_add_f64 v[200:201], v[200:201], v[38:39]
	v_add_f64 v[202:203], v[202:203], v[40:41]
	ds_load_b128 v[38:41], v1 offset:944
	s_waitcnt vmcnt(10) lgkmcnt(1)
	v_mul_f64 v[210:211], v[2:3], v[36:37]
	v_mul_f64 v[36:37], v[4:5], v[36:37]
	s_waitcnt vmcnt(8) lgkmcnt(0)
	v_mul_f64 v[204:205], v[38:39], v[194:195]
	v_add_f64 v[200:201], v[200:201], v[208:209]
	v_add_f64 v[202:203], v[202:203], v[206:207]
	v_mul_f64 v[206:207], v[40:41], v[194:195]
	v_fma_f64 v[208:209], v[4:5], v[34:35], v[210:211]
	v_fma_f64 v[210:211], v[2:3], v[34:35], -v[36:37]
	ds_load_b128 v[2:5], v1 offset:960
	scratch_load_b128 v[34:37], off, off offset:336
	v_fma_f64 v[204:205], v[40:41], v[192:193], v[204:205]
	v_add_f64 v[200:201], v[200:201], v[196:197]
	v_add_f64 v[198:199], v[202:203], v[198:199]
	ds_load_b128 v[194:197], v1 offset:976
	v_fma_f64 v[192:193], v[38:39], v[192:193], -v[206:207]
	scratch_load_b128 v[38:41], off, off offset:352
	s_waitcnt vmcnt(9) lgkmcnt(1)
	v_mul_f64 v[202:203], v[2:3], v[44:45]
	v_mul_f64 v[44:45], v[4:5], v[44:45]
	s_waitcnt vmcnt(8) lgkmcnt(0)
	v_mul_f64 v[206:207], v[194:195], v[8:9]
	v_mul_f64 v[8:9], v[196:197], v[8:9]
	v_add_f64 v[200:201], v[200:201], v[210:211]
	v_add_f64 v[198:199], v[198:199], v[208:209]
	v_fma_f64 v[202:203], v[4:5], v[42:43], v[202:203]
	v_fma_f64 v[208:209], v[2:3], v[42:43], -v[44:45]
	ds_load_b128 v[2:5], v1 offset:992
	scratch_load_b128 v[42:45], off, off offset:368
	v_fma_f64 v[196:197], v[196:197], v[6:7], v[206:207]
	v_fma_f64 v[194:195], v[194:195], v[6:7], -v[8:9]
	scratch_load_b128 v[6:9], off, off offset:384
	v_add_f64 v[192:193], v[200:201], v[192:193]
	v_add_f64 v[204:205], v[198:199], v[204:205]
	ds_load_b128 v[198:201], v1 offset:1008
	s_waitcnt vmcnt(9) lgkmcnt(1)
	v_mul_f64 v[210:211], v[2:3], v[12:13]
	v_mul_f64 v[12:13], v[4:5], v[12:13]
	v_add_f64 v[192:193], v[192:193], v[208:209]
	v_add_f64 v[202:203], v[204:205], v[202:203]
	s_waitcnt vmcnt(8) lgkmcnt(0)
	v_mul_f64 v[204:205], v[198:199], v[16:17]
	v_mul_f64 v[16:17], v[200:201], v[16:17]
	v_fma_f64 v[206:207], v[4:5], v[10:11], v[210:211]
	v_fma_f64 v[208:209], v[2:3], v[10:11], -v[12:13]
	ds_load_b128 v[2:5], v1 offset:1024
	scratch_load_b128 v[10:13], off, off offset:400
	v_add_f64 v[210:211], v[192:193], v[194:195]
	v_add_f64 v[196:197], v[202:203], v[196:197]
	ds_load_b128 v[192:195], v1 offset:1040
	s_waitcnt vmcnt(8) lgkmcnt(1)
	v_mul_f64 v[202:203], v[2:3], v[20:21]
	v_mul_f64 v[20:21], v[4:5], v[20:21]
	v_fma_f64 v[200:201], v[200:201], v[14:15], v[204:205]
	v_fma_f64 v[198:199], v[198:199], v[14:15], -v[16:17]
	scratch_load_b128 v[14:17], off, off offset:416
	v_add_f64 v[204:205], v[210:211], v[208:209]
	v_add_f64 v[196:197], v[196:197], v[206:207]
	s_waitcnt vmcnt(8) lgkmcnt(0)
	v_mul_f64 v[206:207], v[192:193], v[24:25]
	v_mul_f64 v[24:25], v[194:195], v[24:25]
	v_fma_f64 v[202:203], v[4:5], v[18:19], v[202:203]
	v_fma_f64 v[208:209], v[2:3], v[18:19], -v[20:21]
	ds_load_b128 v[2:5], v1 offset:1056
	scratch_load_b128 v[18:21], off, off offset:432
	v_add_f64 v[204:205], v[204:205], v[198:199]
	v_add_f64 v[200:201], v[196:197], v[200:201]
	ds_load_b128 v[196:199], v1 offset:1072
	s_waitcnt vmcnt(8) lgkmcnt(1)
	v_mul_f64 v[210:211], v[2:3], v[28:29]
	v_mul_f64 v[28:29], v[4:5], v[28:29]
	v_fma_f64 v[194:195], v[194:195], v[22:23], v[206:207]
	v_fma_f64 v[192:193], v[192:193], v[22:23], -v[24:25]
	scratch_load_b128 v[22:25], off, off offset:448
	;; [unrolled: 18-line block ×4, first 2 shown]
	s_waitcnt vmcnt(8) lgkmcnt(0)
	v_mul_f64 v[204:205], v[196:197], v[8:9]
	v_mul_f64 v[8:9], v[198:199], v[8:9]
	v_add_f64 v[202:203], v[202:203], v[208:209]
	v_add_f64 v[200:201], v[200:201], v[206:207]
	v_fma_f64 v[206:207], v[4:5], v[42:43], v[210:211]
	v_fma_f64 v[208:209], v[2:3], v[42:43], -v[44:45]
	ds_load_b128 v[2:5], v1 offset:1152
	scratch_load_b128 v[42:45], off, off offset:528
	v_fma_f64 v[198:199], v[198:199], v[6:7], v[204:205]
	v_fma_f64 v[196:197], v[196:197], v[6:7], -v[8:9]
	scratch_load_b128 v[6:9], off, off offset:544
	v_add_f64 v[202:203], v[202:203], v[192:193]
	v_add_f64 v[200:201], v[200:201], v[194:195]
	ds_load_b128 v[192:195], v1 offset:1168
	s_waitcnt vmcnt(9) lgkmcnt(1)
	v_mul_f64 v[210:211], v[2:3], v[12:13]
	v_mul_f64 v[12:13], v[4:5], v[12:13]
	s_waitcnt vmcnt(8) lgkmcnt(0)
	v_mul_f64 v[204:205], v[192:193], v[16:17]
	v_mul_f64 v[16:17], v[194:195], v[16:17]
	v_add_f64 v[202:203], v[202:203], v[208:209]
	v_add_f64 v[200:201], v[200:201], v[206:207]
	v_fma_f64 v[206:207], v[4:5], v[10:11], v[210:211]
	v_fma_f64 v[208:209], v[2:3], v[10:11], -v[12:13]
	ds_load_b128 v[2:5], v1 offset:1184
	scratch_load_b128 v[10:13], off, off offset:560
	v_fma_f64 v[194:195], v[194:195], v[14:15], v[204:205]
	v_fma_f64 v[192:193], v[192:193], v[14:15], -v[16:17]
	scratch_load_b128 v[14:17], off, off offset:576
	v_add_f64 v[202:203], v[202:203], v[196:197]
	v_add_f64 v[200:201], v[200:201], v[198:199]
	ds_load_b128 v[196:199], v1 offset:1200
	s_waitcnt vmcnt(9) lgkmcnt(1)
	v_mul_f64 v[210:211], v[2:3], v[20:21]
	v_mul_f64 v[20:21], v[4:5], v[20:21]
	;; [unrolled: 18-line block ×7, first 2 shown]
	s_waitcnt vmcnt(8) lgkmcnt(0)
	v_mul_f64 v[204:205], v[192:193], v[24:25]
	v_mul_f64 v[24:25], v[194:195], v[24:25]
	v_add_f64 v[202:203], v[202:203], v[208:209]
	v_add_f64 v[200:201], v[200:201], v[206:207]
	v_fma_f64 v[206:207], v[4:5], v[18:19], v[210:211]
	v_fma_f64 v[208:209], v[2:3], v[18:19], -v[20:21]
	ds_load_b128 v[2:5], v1 offset:1376
	ds_load_b128 v[18:21], v1 offset:1392
	v_fma_f64 v[194:195], v[194:195], v[22:23], v[204:205]
	v_fma_f64 v[22:23], v[192:193], v[22:23], -v[24:25]
	v_add_f64 v[196:197], v[202:203], v[196:197]
	v_add_f64 v[198:199], v[200:201], v[198:199]
	s_waitcnt vmcnt(7) lgkmcnt(1)
	v_mul_f64 v[200:201], v[2:3], v[28:29]
	v_mul_f64 v[28:29], v[4:5], v[28:29]
	s_delay_alu instid0(VALU_DEP_4) | instskip(NEXT) | instid1(VALU_DEP_4)
	v_add_f64 v[24:25], v[196:197], v[208:209]
	v_add_f64 v[192:193], v[198:199], v[206:207]
	s_waitcnt vmcnt(6) lgkmcnt(0)
	v_mul_f64 v[196:197], v[18:19], v[32:33]
	v_mul_f64 v[32:33], v[20:21], v[32:33]
	v_fma_f64 v[198:199], v[4:5], v[26:27], v[200:201]
	v_fma_f64 v[26:27], v[2:3], v[26:27], -v[28:29]
	v_add_f64 v[28:29], v[24:25], v[22:23]
	v_add_f64 v[192:193], v[192:193], v[194:195]
	ds_load_b128 v[2:5], v1 offset:1408
	ds_load_b128 v[22:25], v1 offset:1424
	v_fma_f64 v[20:21], v[20:21], v[30:31], v[196:197]
	v_fma_f64 v[18:19], v[18:19], v[30:31], -v[32:33]
	s_waitcnt vmcnt(5) lgkmcnt(1)
	v_mul_f64 v[194:195], v[2:3], v[36:37]
	v_mul_f64 v[36:37], v[4:5], v[36:37]
	s_waitcnt vmcnt(4) lgkmcnt(0)
	v_mul_f64 v[30:31], v[22:23], v[40:41]
	v_mul_f64 v[32:33], v[24:25], v[40:41]
	v_add_f64 v[26:27], v[28:29], v[26:27]
	v_add_f64 v[28:29], v[192:193], v[198:199]
	v_fma_f64 v[40:41], v[4:5], v[34:35], v[194:195]
	v_fma_f64 v[34:35], v[2:3], v[34:35], -v[36:37]
	v_fma_f64 v[24:25], v[24:25], v[38:39], v[30:31]
	v_fma_f64 v[22:23], v[22:23], v[38:39], -v[32:33]
	v_add_f64 v[26:27], v[26:27], v[18:19]
	v_add_f64 v[28:29], v[28:29], v[20:21]
	ds_load_b128 v[2:5], v1 offset:1440
	ds_load_b128 v[18:21], v1 offset:1456
	s_waitcnt vmcnt(3) lgkmcnt(1)
	v_mul_f64 v[36:37], v[2:3], v[44:45]
	v_mul_f64 v[44:45], v[4:5], v[44:45]
	s_waitcnt vmcnt(2) lgkmcnt(0)
	v_mul_f64 v[30:31], v[18:19], v[8:9]
	v_mul_f64 v[8:9], v[20:21], v[8:9]
	v_add_f64 v[26:27], v[26:27], v[34:35]
	v_add_f64 v[28:29], v[28:29], v[40:41]
	v_fma_f64 v[32:33], v[4:5], v[42:43], v[36:37]
	v_fma_f64 v[34:35], v[2:3], v[42:43], -v[44:45]
	v_fma_f64 v[20:21], v[20:21], v[6:7], v[30:31]
	v_fma_f64 v[6:7], v[18:19], v[6:7], -v[8:9]
	v_add_f64 v[26:27], v[26:27], v[22:23]
	v_add_f64 v[28:29], v[28:29], v[24:25]
	ds_load_b128 v[2:5], v1 offset:1472
	ds_load_b128 v[22:25], v1 offset:1488
	s_waitcnt vmcnt(1) lgkmcnt(1)
	v_mul_f64 v[36:37], v[2:3], v[12:13]
	v_mul_f64 v[12:13], v[4:5], v[12:13]
	v_add_f64 v[8:9], v[26:27], v[34:35]
	v_add_f64 v[18:19], v[28:29], v[32:33]
	s_waitcnt vmcnt(0) lgkmcnt(0)
	v_mul_f64 v[26:27], v[22:23], v[16:17]
	v_mul_f64 v[16:17], v[24:25], v[16:17]
	v_fma_f64 v[4:5], v[4:5], v[10:11], v[36:37]
	v_fma_f64 v[1:2], v[2:3], v[10:11], -v[12:13]
	v_add_f64 v[6:7], v[8:9], v[6:7]
	v_add_f64 v[8:9], v[18:19], v[20:21]
	v_fma_f64 v[10:11], v[24:25], v[14:15], v[26:27]
	v_fma_f64 v[12:13], v[22:23], v[14:15], -v[16:17]
	s_delay_alu instid0(VALU_DEP_4) | instskip(NEXT) | instid1(VALU_DEP_4)
	v_add_f64 v[1:2], v[6:7], v[1:2]
	v_add_f64 v[3:4], v[8:9], v[4:5]
	s_delay_alu instid0(VALU_DEP_2) | instskip(NEXT) | instid1(VALU_DEP_2)
	v_add_f64 v[1:2], v[1:2], v[12:13]
	v_add_f64 v[3:4], v[3:4], v[10:11]
	s_delay_alu instid0(VALU_DEP_2) | instskip(NEXT) | instid1(VALU_DEP_2)
	v_add_f64 v[1:2], v[188:189], -v[1:2]
	v_add_f64 v[3:4], v[190:191], -v[3:4]
	scratch_store_b128 off, v[1:4], off offset:32
	v_cmpx_lt_u32_e32 1, v140
	s_cbranch_execz .LBB110_293
; %bb.292:
	scratch_load_b128 v[1:4], v186, off
	v_mov_b32_e32 v5, 0
	s_delay_alu instid0(VALU_DEP_1)
	v_mov_b32_e32 v6, v5
	v_mov_b32_e32 v7, v5
	;; [unrolled: 1-line block ×3, first 2 shown]
	scratch_store_b128 off, v[5:8], off offset:16
	s_waitcnt vmcnt(0)
	ds_store_b128 v187, v[1:4]
.LBB110_293:
	s_or_b32 exec_lo, exec_lo, s2
	s_waitcnt lgkmcnt(0)
	s_waitcnt_vscnt null, 0x0
	s_barrier
	buffer_gl0_inv
	s_clause 0x7
	scratch_load_b128 v[2:5], off, off offset:32
	scratch_load_b128 v[6:9], off, off offset:48
	;; [unrolled: 1-line block ×8, first 2 shown]
	v_mov_b32_e32 v1, 0
	s_mov_b32 s2, exec_lo
	ds_load_b128 v[38:41], v1 offset:784
	s_clause 0x1
	scratch_load_b128 v[34:37], off, off offset:160
	scratch_load_b128 v[42:45], off, off offset:16
	ds_load_b128 v[188:191], v1 offset:800
	scratch_load_b128 v[192:195], off, off offset:176
	s_waitcnt vmcnt(10) lgkmcnt(1)
	v_mul_f64 v[196:197], v[40:41], v[4:5]
	v_mul_f64 v[4:5], v[38:39], v[4:5]
	s_delay_alu instid0(VALU_DEP_2) | instskip(NEXT) | instid1(VALU_DEP_2)
	v_fma_f64 v[202:203], v[38:39], v[2:3], -v[196:197]
	v_fma_f64 v[204:205], v[40:41], v[2:3], v[4:5]
	scratch_load_b128 v[38:41], off, off offset:192
	ds_load_b128 v[2:5], v1 offset:816
	s_waitcnt vmcnt(10) lgkmcnt(1)
	v_mul_f64 v[200:201], v[188:189], v[8:9]
	v_mul_f64 v[8:9], v[190:191], v[8:9]
	ds_load_b128 v[196:199], v1 offset:832
	s_waitcnt vmcnt(9) lgkmcnt(1)
	v_mul_f64 v[206:207], v[2:3], v[12:13]
	v_mul_f64 v[12:13], v[4:5], v[12:13]
	v_fma_f64 v[190:191], v[190:191], v[6:7], v[200:201]
	v_fma_f64 v[188:189], v[188:189], v[6:7], -v[8:9]
	v_add_f64 v[200:201], v[202:203], 0
	v_add_f64 v[202:203], v[204:205], 0
	scratch_load_b128 v[6:9], off, off offset:208
	v_fma_f64 v[206:207], v[4:5], v[10:11], v[206:207]
	v_fma_f64 v[208:209], v[2:3], v[10:11], -v[12:13]
	scratch_load_b128 v[10:13], off, off offset:224
	ds_load_b128 v[2:5], v1 offset:848
	s_waitcnt vmcnt(10) lgkmcnt(1)
	v_mul_f64 v[204:205], v[196:197], v[16:17]
	v_mul_f64 v[16:17], v[198:199], v[16:17]
	v_add_f64 v[200:201], v[200:201], v[188:189]
	v_add_f64 v[202:203], v[202:203], v[190:191]
	s_waitcnt vmcnt(9) lgkmcnt(0)
	v_mul_f64 v[210:211], v[2:3], v[20:21]
	v_mul_f64 v[20:21], v[4:5], v[20:21]
	ds_load_b128 v[188:191], v1 offset:864
	v_fma_f64 v[198:199], v[198:199], v[14:15], v[204:205]
	v_fma_f64 v[196:197], v[196:197], v[14:15], -v[16:17]
	scratch_load_b128 v[14:17], off, off offset:240
	v_add_f64 v[200:201], v[200:201], v[208:209]
	v_add_f64 v[202:203], v[202:203], v[206:207]
	v_fma_f64 v[206:207], v[4:5], v[18:19], v[210:211]
	v_fma_f64 v[208:209], v[2:3], v[18:19], -v[20:21]
	scratch_load_b128 v[18:21], off, off offset:256
	ds_load_b128 v[2:5], v1 offset:880
	s_waitcnt vmcnt(10) lgkmcnt(1)
	v_mul_f64 v[204:205], v[188:189], v[24:25]
	v_mul_f64 v[24:25], v[190:191], v[24:25]
	s_waitcnt vmcnt(9) lgkmcnt(0)
	v_mul_f64 v[210:211], v[2:3], v[28:29]
	v_mul_f64 v[28:29], v[4:5], v[28:29]
	v_add_f64 v[200:201], v[200:201], v[196:197]
	v_add_f64 v[202:203], v[202:203], v[198:199]
	ds_load_b128 v[196:199], v1 offset:896
	v_fma_f64 v[190:191], v[190:191], v[22:23], v[204:205]
	v_fma_f64 v[188:189], v[188:189], v[22:23], -v[24:25]
	scratch_load_b128 v[22:25], off, off offset:272
	v_add_f64 v[200:201], v[200:201], v[208:209]
	v_add_f64 v[202:203], v[202:203], v[206:207]
	v_fma_f64 v[206:207], v[4:5], v[26:27], v[210:211]
	v_fma_f64 v[208:209], v[2:3], v[26:27], -v[28:29]
	scratch_load_b128 v[26:29], off, off offset:288
	ds_load_b128 v[2:5], v1 offset:912
	s_waitcnt vmcnt(10) lgkmcnt(1)
	v_mul_f64 v[204:205], v[196:197], v[32:33]
	v_mul_f64 v[32:33], v[198:199], v[32:33]
	s_waitcnt vmcnt(9) lgkmcnt(0)
	v_mul_f64 v[210:211], v[2:3], v[36:37]
	v_mul_f64 v[36:37], v[4:5], v[36:37]
	v_add_f64 v[200:201], v[200:201], v[188:189]
	v_add_f64 v[202:203], v[202:203], v[190:191]
	ds_load_b128 v[188:191], v1 offset:928
	v_fma_f64 v[198:199], v[198:199], v[30:31], v[204:205]
	v_fma_f64 v[196:197], v[196:197], v[30:31], -v[32:33]
	scratch_load_b128 v[30:33], off, off offset:304
	v_add_f64 v[200:201], v[200:201], v[208:209]
	v_add_f64 v[202:203], v[202:203], v[206:207]
	v_fma_f64 v[208:209], v[4:5], v[34:35], v[210:211]
	v_fma_f64 v[210:211], v[2:3], v[34:35], -v[36:37]
	scratch_load_b128 v[34:37], off, off offset:320
	ds_load_b128 v[2:5], v1 offset:944
	s_waitcnt vmcnt(9) lgkmcnt(1)
	v_mul_f64 v[204:205], v[188:189], v[194:195]
	v_mul_f64 v[206:207], v[190:191], v[194:195]
	v_add_f64 v[200:201], v[200:201], v[196:197]
	v_add_f64 v[198:199], v[202:203], v[198:199]
	ds_load_b128 v[194:197], v1 offset:960
	v_fma_f64 v[204:205], v[190:191], v[192:193], v[204:205]
	v_fma_f64 v[192:193], v[188:189], v[192:193], -v[206:207]
	scratch_load_b128 v[188:191], off, off offset:336
	s_waitcnt vmcnt(9) lgkmcnt(1)
	v_mul_f64 v[202:203], v[2:3], v[40:41]
	v_mul_f64 v[40:41], v[4:5], v[40:41]
	v_add_f64 v[200:201], v[200:201], v[210:211]
	v_add_f64 v[198:199], v[198:199], v[208:209]
	s_delay_alu instid0(VALU_DEP_4) | instskip(NEXT) | instid1(VALU_DEP_4)
	v_fma_f64 v[202:203], v[4:5], v[38:39], v[202:203]
	v_fma_f64 v[208:209], v[2:3], v[38:39], -v[40:41]
	scratch_load_b128 v[38:41], off, off offset:352
	ds_load_b128 v[2:5], v1 offset:976
	s_waitcnt vmcnt(9) lgkmcnt(1)
	v_mul_f64 v[206:207], v[194:195], v[8:9]
	v_mul_f64 v[8:9], v[196:197], v[8:9]
	s_waitcnt vmcnt(8) lgkmcnt(0)
	v_mul_f64 v[210:211], v[2:3], v[12:13]
	v_mul_f64 v[12:13], v[4:5], v[12:13]
	v_add_f64 v[192:193], v[200:201], v[192:193]
	v_add_f64 v[204:205], v[198:199], v[204:205]
	ds_load_b128 v[198:201], v1 offset:992
	v_fma_f64 v[196:197], v[196:197], v[6:7], v[206:207]
	v_fma_f64 v[194:195], v[194:195], v[6:7], -v[8:9]
	scratch_load_b128 v[6:9], off, off offset:368
	v_fma_f64 v[206:207], v[4:5], v[10:11], v[210:211]
	v_add_f64 v[192:193], v[192:193], v[208:209]
	v_add_f64 v[202:203], v[204:205], v[202:203]
	v_fma_f64 v[208:209], v[2:3], v[10:11], -v[12:13]
	scratch_load_b128 v[10:13], off, off offset:384
	ds_load_b128 v[2:5], v1 offset:1008
	s_waitcnt vmcnt(9) lgkmcnt(1)
	v_mul_f64 v[204:205], v[198:199], v[16:17]
	v_mul_f64 v[16:17], v[200:201], v[16:17]
	v_add_f64 v[210:211], v[192:193], v[194:195]
	v_add_f64 v[196:197], v[202:203], v[196:197]
	s_waitcnt vmcnt(8) lgkmcnt(0)
	v_mul_f64 v[202:203], v[2:3], v[20:21]
	v_mul_f64 v[20:21], v[4:5], v[20:21]
	ds_load_b128 v[192:195], v1 offset:1024
	v_fma_f64 v[200:201], v[200:201], v[14:15], v[204:205]
	v_fma_f64 v[198:199], v[198:199], v[14:15], -v[16:17]
	scratch_load_b128 v[14:17], off, off offset:400
	v_add_f64 v[204:205], v[210:211], v[208:209]
	v_add_f64 v[196:197], v[196:197], v[206:207]
	v_fma_f64 v[202:203], v[4:5], v[18:19], v[202:203]
	v_fma_f64 v[208:209], v[2:3], v[18:19], -v[20:21]
	scratch_load_b128 v[18:21], off, off offset:416
	ds_load_b128 v[2:5], v1 offset:1040
	s_waitcnt vmcnt(9) lgkmcnt(1)
	v_mul_f64 v[206:207], v[192:193], v[24:25]
	v_mul_f64 v[24:25], v[194:195], v[24:25]
	s_waitcnt vmcnt(8) lgkmcnt(0)
	v_mul_f64 v[210:211], v[2:3], v[28:29]
	v_mul_f64 v[28:29], v[4:5], v[28:29]
	v_add_f64 v[204:205], v[204:205], v[198:199]
	v_add_f64 v[200:201], v[196:197], v[200:201]
	ds_load_b128 v[196:199], v1 offset:1056
	v_fma_f64 v[194:195], v[194:195], v[22:23], v[206:207]
	v_fma_f64 v[192:193], v[192:193], v[22:23], -v[24:25]
	scratch_load_b128 v[22:25], off, off offset:432
	v_fma_f64 v[206:207], v[4:5], v[26:27], v[210:211]
	v_add_f64 v[204:205], v[204:205], v[208:209]
	v_add_f64 v[200:201], v[200:201], v[202:203]
	v_fma_f64 v[208:209], v[2:3], v[26:27], -v[28:29]
	scratch_load_b128 v[26:29], off, off offset:448
	ds_load_b128 v[2:5], v1 offset:1072
	s_waitcnt vmcnt(9) lgkmcnt(1)
	v_mul_f64 v[202:203], v[196:197], v[32:33]
	v_mul_f64 v[32:33], v[198:199], v[32:33]
	s_waitcnt vmcnt(8) lgkmcnt(0)
	v_mul_f64 v[210:211], v[2:3], v[36:37]
	v_mul_f64 v[36:37], v[4:5], v[36:37]
	v_add_f64 v[204:205], v[204:205], v[192:193]
	v_add_f64 v[200:201], v[200:201], v[194:195]
	ds_load_b128 v[192:195], v1 offset:1088
	v_fma_f64 v[198:199], v[198:199], v[30:31], v[202:203]
	v_fma_f64 v[196:197], v[196:197], v[30:31], -v[32:33]
	scratch_load_b128 v[30:33], off, off offset:464
	v_add_f64 v[202:203], v[204:205], v[208:209]
	v_add_f64 v[200:201], v[200:201], v[206:207]
	v_fma_f64 v[206:207], v[4:5], v[34:35], v[210:211]
	v_fma_f64 v[208:209], v[2:3], v[34:35], -v[36:37]
	scratch_load_b128 v[34:37], off, off offset:480
	ds_load_b128 v[2:5], v1 offset:1104
	s_waitcnt vmcnt(9) lgkmcnt(1)
	v_mul_f64 v[204:205], v[192:193], v[190:191]
	v_mul_f64 v[190:191], v[194:195], v[190:191]
	s_waitcnt vmcnt(8) lgkmcnt(0)
	v_mul_f64 v[210:211], v[2:3], v[40:41]
	v_mul_f64 v[40:41], v[4:5], v[40:41]
	v_add_f64 v[202:203], v[202:203], v[196:197]
	v_add_f64 v[200:201], v[200:201], v[198:199]
	ds_load_b128 v[196:199], v1 offset:1120
	v_fma_f64 v[194:195], v[194:195], v[188:189], v[204:205]
	v_fma_f64 v[192:193], v[192:193], v[188:189], -v[190:191]
	scratch_load_b128 v[188:191], off, off offset:496
	v_add_f64 v[202:203], v[202:203], v[208:209]
	v_add_f64 v[200:201], v[200:201], v[206:207]
	v_fma_f64 v[206:207], v[4:5], v[38:39], v[210:211]
	;; [unrolled: 18-line block ×6, first 2 shown]
	v_fma_f64 v[210:211], v[2:3], v[34:35], -v[36:37]
	scratch_load_b128 v[34:37], off, off offset:640
	ds_load_b128 v[2:5], v1 offset:1264
	s_waitcnt vmcnt(9) lgkmcnt(1)
	v_mul_f64 v[204:205], v[196:197], v[190:191]
	v_mul_f64 v[206:207], v[198:199], v[190:191]
	v_add_f64 v[202:203], v[202:203], v[192:193]
	v_add_f64 v[194:195], v[200:201], v[194:195]
	s_waitcnt vmcnt(8) lgkmcnt(0)
	v_mul_f64 v[200:201], v[2:3], v[40:41]
	v_mul_f64 v[40:41], v[4:5], v[40:41]
	ds_load_b128 v[190:193], v1 offset:1280
	v_fma_f64 v[198:199], v[198:199], v[188:189], v[204:205]
	v_fma_f64 v[188:189], v[196:197], v[188:189], -v[206:207]
	v_add_f64 v[202:203], v[202:203], v[210:211]
	v_add_f64 v[204:205], v[194:195], v[208:209]
	scratch_load_b128 v[194:197], off, off offset:656
	v_fma_f64 v[208:209], v[4:5], v[38:39], v[200:201]
	v_fma_f64 v[210:211], v[2:3], v[38:39], -v[40:41]
	scratch_load_b128 v[38:41], off, off offset:672
	ds_load_b128 v[2:5], v1 offset:1296
	s_waitcnt vmcnt(9) lgkmcnt(1)
	v_mul_f64 v[206:207], v[190:191], v[8:9]
	v_mul_f64 v[8:9], v[192:193], v[8:9]
	v_add_f64 v[188:189], v[202:203], v[188:189]
	v_add_f64 v[202:203], v[204:205], v[198:199]
	s_waitcnt vmcnt(8) lgkmcnt(0)
	v_mul_f64 v[204:205], v[2:3], v[12:13]
	v_mul_f64 v[12:13], v[4:5], v[12:13]
	ds_load_b128 v[198:201], v1 offset:1312
	v_fma_f64 v[192:193], v[192:193], v[6:7], v[206:207]
	v_fma_f64 v[190:191], v[190:191], v[6:7], -v[8:9]
	scratch_load_b128 v[6:9], off, off offset:688
	v_add_f64 v[188:189], v[188:189], v[210:211]
	v_add_f64 v[202:203], v[202:203], v[208:209]
	v_fma_f64 v[204:205], v[4:5], v[10:11], v[204:205]
	v_fma_f64 v[208:209], v[2:3], v[10:11], -v[12:13]
	scratch_load_b128 v[10:13], off, off offset:704
	ds_load_b128 v[2:5], v1 offset:1328
	s_waitcnt vmcnt(9) lgkmcnt(1)
	v_mul_f64 v[206:207], v[198:199], v[16:17]
	v_mul_f64 v[16:17], v[200:201], v[16:17]
	v_add_f64 v[210:211], v[188:189], v[190:191]
	v_add_f64 v[192:193], v[202:203], v[192:193]
	s_waitcnt vmcnt(8) lgkmcnt(0)
	v_mul_f64 v[202:203], v[2:3], v[20:21]
	v_mul_f64 v[20:21], v[4:5], v[20:21]
	ds_load_b128 v[188:191], v1 offset:1344
	v_fma_f64 v[200:201], v[200:201], v[14:15], v[206:207]
	v_fma_f64 v[198:199], v[198:199], v[14:15], -v[16:17]
	scratch_load_b128 v[14:17], off, off offset:720
	v_add_f64 v[206:207], v[210:211], v[208:209]
	v_add_f64 v[192:193], v[192:193], v[204:205]
	v_fma_f64 v[202:203], v[4:5], v[18:19], v[202:203]
	v_fma_f64 v[208:209], v[2:3], v[18:19], -v[20:21]
	scratch_load_b128 v[18:21], off, off offset:736
	ds_load_b128 v[2:5], v1 offset:1360
	s_waitcnt vmcnt(9) lgkmcnt(1)
	v_mul_f64 v[204:205], v[188:189], v[24:25]
	v_mul_f64 v[24:25], v[190:191], v[24:25]
	s_waitcnt vmcnt(8) lgkmcnt(0)
	v_mul_f64 v[210:211], v[2:3], v[28:29]
	v_mul_f64 v[28:29], v[4:5], v[28:29]
	v_add_f64 v[206:207], v[206:207], v[198:199]
	v_add_f64 v[192:193], v[192:193], v[200:201]
	ds_load_b128 v[198:201], v1 offset:1376
	v_fma_f64 v[190:191], v[190:191], v[22:23], v[204:205]
	v_fma_f64 v[22:23], v[188:189], v[22:23], -v[24:25]
	v_add_f64 v[24:25], v[206:207], v[208:209]
	v_add_f64 v[188:189], v[192:193], v[202:203]
	s_waitcnt vmcnt(7) lgkmcnt(0)
	v_mul_f64 v[192:193], v[198:199], v[32:33]
	v_mul_f64 v[32:33], v[200:201], v[32:33]
	v_fma_f64 v[202:203], v[4:5], v[26:27], v[210:211]
	v_fma_f64 v[26:27], v[2:3], v[26:27], -v[28:29]
	v_add_f64 v[28:29], v[24:25], v[22:23]
	v_add_f64 v[188:189], v[188:189], v[190:191]
	ds_load_b128 v[2:5], v1 offset:1392
	ds_load_b128 v[22:25], v1 offset:1408
	v_fma_f64 v[192:193], v[200:201], v[30:31], v[192:193]
	v_fma_f64 v[30:31], v[198:199], v[30:31], -v[32:33]
	s_waitcnt vmcnt(6) lgkmcnt(1)
	v_mul_f64 v[190:191], v[2:3], v[36:37]
	v_mul_f64 v[36:37], v[4:5], v[36:37]
	v_add_f64 v[26:27], v[28:29], v[26:27]
	v_add_f64 v[28:29], v[188:189], v[202:203]
	s_waitcnt vmcnt(5) lgkmcnt(0)
	v_mul_f64 v[32:33], v[22:23], v[196:197]
	v_mul_f64 v[188:189], v[24:25], v[196:197]
	v_fma_f64 v[190:191], v[4:5], v[34:35], v[190:191]
	v_fma_f64 v[34:35], v[2:3], v[34:35], -v[36:37]
	v_add_f64 v[30:31], v[26:27], v[30:31]
	v_add_f64 v[36:37], v[28:29], v[192:193]
	ds_load_b128 v[2:5], v1 offset:1424
	ds_load_b128 v[26:29], v1 offset:1440
	v_fma_f64 v[24:25], v[24:25], v[194:195], v[32:33]
	v_fma_f64 v[22:23], v[22:23], v[194:195], -v[188:189]
	s_waitcnt vmcnt(4) lgkmcnt(1)
	v_mul_f64 v[192:193], v[2:3], v[40:41]
	v_mul_f64 v[40:41], v[4:5], v[40:41]
	;; [unrolled: 16-line block ×3, first 2 shown]
	v_add_f64 v[8:9], v[30:31], v[38:39]
	v_add_f64 v[26:27], v[32:33], v[36:37]
	s_waitcnt vmcnt(1) lgkmcnt(0)
	v_mul_f64 v[30:31], v[22:23], v[16:17]
	v_mul_f64 v[16:17], v[24:25], v[16:17]
	v_fma_f64 v[32:33], v[4:5], v[10:11], v[40:41]
	v_fma_f64 v[10:11], v[2:3], v[10:11], -v[12:13]
	ds_load_b128 v[2:5], v1 offset:1488
	v_add_f64 v[6:7], v[8:9], v[6:7]
	v_add_f64 v[8:9], v[26:27], v[28:29]
	v_fma_f64 v[24:25], v[24:25], v[14:15], v[30:31]
	v_fma_f64 v[14:15], v[22:23], v[14:15], -v[16:17]
	s_waitcnt vmcnt(0) lgkmcnt(0)
	v_mul_f64 v[12:13], v[2:3], v[20:21]
	v_mul_f64 v[20:21], v[4:5], v[20:21]
	v_add_f64 v[6:7], v[6:7], v[10:11]
	v_add_f64 v[8:9], v[8:9], v[32:33]
	s_delay_alu instid0(VALU_DEP_4) | instskip(NEXT) | instid1(VALU_DEP_4)
	v_fma_f64 v[4:5], v[4:5], v[18:19], v[12:13]
	v_fma_f64 v[2:3], v[2:3], v[18:19], -v[20:21]
	s_delay_alu instid0(VALU_DEP_4) | instskip(NEXT) | instid1(VALU_DEP_4)
	v_add_f64 v[6:7], v[6:7], v[14:15]
	v_add_f64 v[8:9], v[8:9], v[24:25]
	s_delay_alu instid0(VALU_DEP_2) | instskip(NEXT) | instid1(VALU_DEP_2)
	v_add_f64 v[2:3], v[6:7], v[2:3]
	v_add_f64 v[4:5], v[8:9], v[4:5]
	s_delay_alu instid0(VALU_DEP_2) | instskip(NEXT) | instid1(VALU_DEP_2)
	v_add_f64 v[2:3], v[42:43], -v[2:3]
	v_add_f64 v[4:5], v[44:45], -v[4:5]
	scratch_store_b128 off, v[2:5], off offset:16
	v_cmpx_ne_u32_e32 0, v140
	s_cbranch_execz .LBB110_295
; %bb.294:
	scratch_load_b128 v[5:8], off, off
	v_mov_b32_e32 v2, v1
	v_mov_b32_e32 v3, v1
	;; [unrolled: 1-line block ×3, first 2 shown]
	scratch_store_b128 off, v[1:4], off
	s_waitcnt vmcnt(0)
	ds_store_b128 v187, v[5:8]
.LBB110_295:
	s_or_b32 exec_lo, exec_lo, s2
	s_waitcnt lgkmcnt(0)
	s_waitcnt_vscnt null, 0x0
	s_barrier
	buffer_gl0_inv
	s_clause 0x8
	scratch_load_b128 v[2:5], off, off offset:16
	scratch_load_b128 v[6:9], off, off offset:32
	;; [unrolled: 1-line block ×9, first 2 shown]
	ds_load_b128 v[42:45], v1 offset:768
	ds_load_b128 v[38:41], v1 offset:784
	s_clause 0x1
	scratch_load_b128 v[187:190], off, off
	scratch_load_b128 v[191:194], off, off offset:160
	s_and_b32 vcc_lo, exec_lo, s14
	s_waitcnt vmcnt(10) lgkmcnt(1)
	v_mul_f64 v[195:196], v[44:45], v[4:5]
	v_mul_f64 v[4:5], v[42:43], v[4:5]
	s_waitcnt vmcnt(9) lgkmcnt(0)
	v_mul_f64 v[199:200], v[38:39], v[8:9]
	v_mul_f64 v[8:9], v[40:41], v[8:9]
	s_delay_alu instid0(VALU_DEP_4) | instskip(NEXT) | instid1(VALU_DEP_4)
	v_fma_f64 v[201:202], v[42:43], v[2:3], -v[195:196]
	v_fma_f64 v[203:204], v[44:45], v[2:3], v[4:5]
	ds_load_b128 v[2:5], v1 offset:800
	ds_load_b128 v[195:198], v1 offset:816
	scratch_load_b128 v[42:45], off, off offset:176
	v_fma_f64 v[40:41], v[40:41], v[6:7], v[199:200]
	v_fma_f64 v[38:39], v[38:39], v[6:7], -v[8:9]
	scratch_load_b128 v[6:9], off, off offset:192
	s_waitcnt vmcnt(10) lgkmcnt(1)
	v_mul_f64 v[205:206], v[2:3], v[12:13]
	v_mul_f64 v[12:13], v[4:5], v[12:13]
	v_add_f64 v[199:200], v[201:202], 0
	v_add_f64 v[201:202], v[203:204], 0
	s_waitcnt vmcnt(9) lgkmcnt(0)
	v_mul_f64 v[203:204], v[195:196], v[16:17]
	v_mul_f64 v[16:17], v[197:198], v[16:17]
	v_fma_f64 v[205:206], v[4:5], v[10:11], v[205:206]
	v_fma_f64 v[207:208], v[2:3], v[10:11], -v[12:13]
	ds_load_b128 v[2:5], v1 offset:832
	scratch_load_b128 v[10:13], off, off offset:208
	v_add_f64 v[199:200], v[199:200], v[38:39]
	v_add_f64 v[201:202], v[201:202], v[40:41]
	ds_load_b128 v[38:41], v1 offset:848
	v_fma_f64 v[197:198], v[197:198], v[14:15], v[203:204]
	v_fma_f64 v[195:196], v[195:196], v[14:15], -v[16:17]
	scratch_load_b128 v[14:17], off, off offset:224
	s_waitcnt vmcnt(10) lgkmcnt(1)
	v_mul_f64 v[209:210], v[2:3], v[20:21]
	v_mul_f64 v[20:21], v[4:5], v[20:21]
	s_waitcnt vmcnt(9) lgkmcnt(0)
	v_mul_f64 v[203:204], v[38:39], v[24:25]
	v_mul_f64 v[24:25], v[40:41], v[24:25]
	v_add_f64 v[199:200], v[199:200], v[207:208]
	v_add_f64 v[201:202], v[201:202], v[205:206]
	v_fma_f64 v[205:206], v[4:5], v[18:19], v[209:210]
	v_fma_f64 v[207:208], v[2:3], v[18:19], -v[20:21]
	ds_load_b128 v[2:5], v1 offset:864
	scratch_load_b128 v[18:21], off, off offset:240
	v_fma_f64 v[40:41], v[40:41], v[22:23], v[203:204]
	v_fma_f64 v[38:39], v[38:39], v[22:23], -v[24:25]
	scratch_load_b128 v[22:25], off, off offset:256
	v_add_f64 v[199:200], v[199:200], v[195:196]
	v_add_f64 v[201:202], v[201:202], v[197:198]
	ds_load_b128 v[195:198], v1 offset:880
	s_waitcnt vmcnt(10) lgkmcnt(1)
	v_mul_f64 v[209:210], v[2:3], v[28:29]
	v_mul_f64 v[28:29], v[4:5], v[28:29]
	s_waitcnt vmcnt(9) lgkmcnt(0)
	v_mul_f64 v[203:204], v[195:196], v[32:33]
	v_mul_f64 v[32:33], v[197:198], v[32:33]
	v_add_f64 v[199:200], v[199:200], v[207:208]
	v_add_f64 v[201:202], v[201:202], v[205:206]
	v_fma_f64 v[205:206], v[4:5], v[26:27], v[209:210]
	v_fma_f64 v[207:208], v[2:3], v[26:27], -v[28:29]
	ds_load_b128 v[2:5], v1 offset:896
	scratch_load_b128 v[26:29], off, off offset:272
	v_fma_f64 v[197:198], v[197:198], v[30:31], v[203:204]
	v_fma_f64 v[195:196], v[195:196], v[30:31], -v[32:33]
	scratch_load_b128 v[30:33], off, off offset:288
	v_add_f64 v[199:200], v[199:200], v[38:39]
	v_add_f64 v[201:202], v[201:202], v[40:41]
	ds_load_b128 v[38:41], v1 offset:912
	s_waitcnt vmcnt(10) lgkmcnt(1)
	v_mul_f64 v[209:210], v[2:3], v[36:37]
	v_mul_f64 v[36:37], v[4:5], v[36:37]
	s_waitcnt vmcnt(8) lgkmcnt(0)
	v_mul_f64 v[203:204], v[38:39], v[193:194]
	v_add_f64 v[199:200], v[199:200], v[207:208]
	v_add_f64 v[201:202], v[201:202], v[205:206]
	v_mul_f64 v[205:206], v[40:41], v[193:194]
	v_fma_f64 v[207:208], v[4:5], v[34:35], v[209:210]
	v_fma_f64 v[209:210], v[2:3], v[34:35], -v[36:37]
	ds_load_b128 v[2:5], v1 offset:928
	scratch_load_b128 v[34:37], off, off offset:304
	v_fma_f64 v[203:204], v[40:41], v[191:192], v[203:204]
	v_add_f64 v[199:200], v[199:200], v[195:196]
	v_add_f64 v[197:198], v[201:202], v[197:198]
	ds_load_b128 v[193:196], v1 offset:944
	v_fma_f64 v[191:192], v[38:39], v[191:192], -v[205:206]
	scratch_load_b128 v[38:41], off, off offset:320
	s_waitcnt vmcnt(9) lgkmcnt(1)
	v_mul_f64 v[201:202], v[2:3], v[44:45]
	v_mul_f64 v[44:45], v[4:5], v[44:45]
	s_waitcnt vmcnt(8) lgkmcnt(0)
	v_mul_f64 v[205:206], v[193:194], v[8:9]
	v_mul_f64 v[8:9], v[195:196], v[8:9]
	v_add_f64 v[199:200], v[199:200], v[209:210]
	v_add_f64 v[197:198], v[197:198], v[207:208]
	v_fma_f64 v[201:202], v[4:5], v[42:43], v[201:202]
	v_fma_f64 v[207:208], v[2:3], v[42:43], -v[44:45]
	ds_load_b128 v[2:5], v1 offset:960
	scratch_load_b128 v[42:45], off, off offset:336
	v_fma_f64 v[195:196], v[195:196], v[6:7], v[205:206]
	v_fma_f64 v[193:194], v[193:194], v[6:7], -v[8:9]
	scratch_load_b128 v[6:9], off, off offset:352
	v_add_f64 v[191:192], v[199:200], v[191:192]
	v_add_f64 v[203:204], v[197:198], v[203:204]
	ds_load_b128 v[197:200], v1 offset:976
	s_waitcnt vmcnt(9) lgkmcnt(1)
	v_mul_f64 v[209:210], v[2:3], v[12:13]
	v_mul_f64 v[12:13], v[4:5], v[12:13]
	v_add_f64 v[191:192], v[191:192], v[207:208]
	v_add_f64 v[201:202], v[203:204], v[201:202]
	s_waitcnt vmcnt(8) lgkmcnt(0)
	v_mul_f64 v[203:204], v[197:198], v[16:17]
	v_mul_f64 v[16:17], v[199:200], v[16:17]
	v_fma_f64 v[205:206], v[4:5], v[10:11], v[209:210]
	v_fma_f64 v[207:208], v[2:3], v[10:11], -v[12:13]
	ds_load_b128 v[2:5], v1 offset:992
	scratch_load_b128 v[10:13], off, off offset:368
	v_add_f64 v[209:210], v[191:192], v[193:194]
	v_add_f64 v[195:196], v[201:202], v[195:196]
	ds_load_b128 v[191:194], v1 offset:1008
	s_waitcnt vmcnt(8) lgkmcnt(1)
	v_mul_f64 v[201:202], v[2:3], v[20:21]
	v_mul_f64 v[20:21], v[4:5], v[20:21]
	v_fma_f64 v[199:200], v[199:200], v[14:15], v[203:204]
	v_fma_f64 v[197:198], v[197:198], v[14:15], -v[16:17]
	scratch_load_b128 v[14:17], off, off offset:384
	v_add_f64 v[203:204], v[209:210], v[207:208]
	v_add_f64 v[195:196], v[195:196], v[205:206]
	s_waitcnt vmcnt(8) lgkmcnt(0)
	v_mul_f64 v[205:206], v[191:192], v[24:25]
	v_mul_f64 v[24:25], v[193:194], v[24:25]
	v_fma_f64 v[201:202], v[4:5], v[18:19], v[201:202]
	v_fma_f64 v[207:208], v[2:3], v[18:19], -v[20:21]
	ds_load_b128 v[2:5], v1 offset:1024
	scratch_load_b128 v[18:21], off, off offset:400
	v_add_f64 v[203:204], v[203:204], v[197:198]
	v_add_f64 v[199:200], v[195:196], v[199:200]
	ds_load_b128 v[195:198], v1 offset:1040
	s_waitcnt vmcnt(8) lgkmcnt(1)
	v_mul_f64 v[209:210], v[2:3], v[28:29]
	v_mul_f64 v[28:29], v[4:5], v[28:29]
	v_fma_f64 v[193:194], v[193:194], v[22:23], v[205:206]
	v_fma_f64 v[191:192], v[191:192], v[22:23], -v[24:25]
	scratch_load_b128 v[22:25], off, off offset:416
	;; [unrolled: 18-line block ×4, first 2 shown]
	s_waitcnt vmcnt(8) lgkmcnt(0)
	v_mul_f64 v[203:204], v[195:196], v[8:9]
	v_mul_f64 v[8:9], v[197:198], v[8:9]
	v_add_f64 v[201:202], v[201:202], v[207:208]
	v_add_f64 v[199:200], v[199:200], v[205:206]
	v_fma_f64 v[205:206], v[4:5], v[42:43], v[209:210]
	v_fma_f64 v[207:208], v[2:3], v[42:43], -v[44:45]
	ds_load_b128 v[2:5], v1 offset:1120
	scratch_load_b128 v[42:45], off, off offset:496
	v_fma_f64 v[197:198], v[197:198], v[6:7], v[203:204]
	v_fma_f64 v[195:196], v[195:196], v[6:7], -v[8:9]
	scratch_load_b128 v[6:9], off, off offset:512
	v_add_f64 v[201:202], v[201:202], v[191:192]
	v_add_f64 v[199:200], v[199:200], v[193:194]
	ds_load_b128 v[191:194], v1 offset:1136
	s_waitcnt vmcnt(9) lgkmcnt(1)
	v_mul_f64 v[209:210], v[2:3], v[12:13]
	v_mul_f64 v[12:13], v[4:5], v[12:13]
	s_waitcnt vmcnt(8) lgkmcnt(0)
	v_mul_f64 v[203:204], v[191:192], v[16:17]
	v_mul_f64 v[16:17], v[193:194], v[16:17]
	v_add_f64 v[201:202], v[201:202], v[207:208]
	v_add_f64 v[199:200], v[199:200], v[205:206]
	v_fma_f64 v[205:206], v[4:5], v[10:11], v[209:210]
	v_fma_f64 v[207:208], v[2:3], v[10:11], -v[12:13]
	ds_load_b128 v[2:5], v1 offset:1152
	scratch_load_b128 v[10:13], off, off offset:528
	v_fma_f64 v[193:194], v[193:194], v[14:15], v[203:204]
	v_fma_f64 v[191:192], v[191:192], v[14:15], -v[16:17]
	scratch_load_b128 v[14:17], off, off offset:544
	v_add_f64 v[201:202], v[201:202], v[195:196]
	v_add_f64 v[199:200], v[199:200], v[197:198]
	ds_load_b128 v[195:198], v1 offset:1168
	s_waitcnt vmcnt(9) lgkmcnt(1)
	v_mul_f64 v[209:210], v[2:3], v[20:21]
	v_mul_f64 v[20:21], v[4:5], v[20:21]
	;; [unrolled: 18-line block ×8, first 2 shown]
	s_waitcnt vmcnt(8) lgkmcnt(0)
	v_mul_f64 v[203:204], v[195:196], v[32:33]
	v_mul_f64 v[32:33], v[197:198], v[32:33]
	v_add_f64 v[201:202], v[201:202], v[207:208]
	v_add_f64 v[199:200], v[199:200], v[205:206]
	v_fma_f64 v[205:206], v[4:5], v[26:27], v[209:210]
	v_fma_f64 v[207:208], v[2:3], v[26:27], -v[28:29]
	ds_load_b128 v[2:5], v1 offset:1376
	ds_load_b128 v[26:29], v1 offset:1392
	v_fma_f64 v[197:198], v[197:198], v[30:31], v[203:204]
	v_fma_f64 v[30:31], v[195:196], v[30:31], -v[32:33]
	v_add_f64 v[191:192], v[201:202], v[191:192]
	v_add_f64 v[193:194], v[199:200], v[193:194]
	s_waitcnt vmcnt(7) lgkmcnt(1)
	v_mul_f64 v[199:200], v[2:3], v[36:37]
	v_mul_f64 v[36:37], v[4:5], v[36:37]
	s_delay_alu instid0(VALU_DEP_4) | instskip(NEXT) | instid1(VALU_DEP_4)
	v_add_f64 v[32:33], v[191:192], v[207:208]
	v_add_f64 v[191:192], v[193:194], v[205:206]
	s_waitcnt vmcnt(6) lgkmcnt(0)
	v_mul_f64 v[193:194], v[26:27], v[40:41]
	v_mul_f64 v[40:41], v[28:29], v[40:41]
	v_fma_f64 v[195:196], v[4:5], v[34:35], v[199:200]
	v_fma_f64 v[34:35], v[2:3], v[34:35], -v[36:37]
	v_add_f64 v[36:37], v[32:33], v[30:31]
	v_add_f64 v[191:192], v[191:192], v[197:198]
	ds_load_b128 v[2:5], v1 offset:1408
	ds_load_b128 v[30:33], v1 offset:1424
	v_fma_f64 v[28:29], v[28:29], v[38:39], v[193:194]
	v_fma_f64 v[26:27], v[26:27], v[38:39], -v[40:41]
	s_waitcnt vmcnt(5) lgkmcnt(1)
	v_mul_f64 v[197:198], v[2:3], v[44:45]
	v_mul_f64 v[44:45], v[4:5], v[44:45]
	s_waitcnt vmcnt(4) lgkmcnt(0)
	v_mul_f64 v[38:39], v[30:31], v[8:9]
	v_mul_f64 v[8:9], v[32:33], v[8:9]
	v_add_f64 v[34:35], v[36:37], v[34:35]
	v_add_f64 v[36:37], v[191:192], v[195:196]
	v_fma_f64 v[40:41], v[4:5], v[42:43], v[197:198]
	v_fma_f64 v[42:43], v[2:3], v[42:43], -v[44:45]
	v_fma_f64 v[32:33], v[32:33], v[6:7], v[38:39]
	v_fma_f64 v[6:7], v[30:31], v[6:7], -v[8:9]
	v_add_f64 v[34:35], v[34:35], v[26:27]
	v_add_f64 v[36:37], v[36:37], v[28:29]
	ds_load_b128 v[2:5], v1 offset:1440
	ds_load_b128 v[26:29], v1 offset:1456
	s_waitcnt vmcnt(3) lgkmcnt(1)
	v_mul_f64 v[44:45], v[2:3], v[12:13]
	v_mul_f64 v[12:13], v[4:5], v[12:13]
	v_add_f64 v[8:9], v[34:35], v[42:43]
	v_add_f64 v[30:31], v[36:37], v[40:41]
	s_waitcnt vmcnt(2) lgkmcnt(0)
	v_mul_f64 v[34:35], v[26:27], v[16:17]
	v_mul_f64 v[16:17], v[28:29], v[16:17]
	v_fma_f64 v[36:37], v[4:5], v[10:11], v[44:45]
	v_fma_f64 v[10:11], v[2:3], v[10:11], -v[12:13]
	v_add_f64 v[12:13], v[8:9], v[6:7]
	v_add_f64 v[30:31], v[30:31], v[32:33]
	ds_load_b128 v[2:5], v1 offset:1472
	ds_load_b128 v[6:9], v1 offset:1488
	v_fma_f64 v[28:29], v[28:29], v[14:15], v[34:35]
	v_fma_f64 v[14:15], v[26:27], v[14:15], -v[16:17]
	s_waitcnt vmcnt(1) lgkmcnt(1)
	v_mul_f64 v[32:33], v[2:3], v[20:21]
	v_mul_f64 v[20:21], v[4:5], v[20:21]
	s_waitcnt vmcnt(0) lgkmcnt(0)
	v_mul_f64 v[16:17], v[6:7], v[24:25]
	v_mul_f64 v[24:25], v[8:9], v[24:25]
	v_add_f64 v[10:11], v[12:13], v[10:11]
	v_add_f64 v[12:13], v[30:31], v[36:37]
	v_fma_f64 v[4:5], v[4:5], v[18:19], v[32:33]
	v_fma_f64 v[1:2], v[2:3], v[18:19], -v[20:21]
	v_fma_f64 v[8:9], v[8:9], v[22:23], v[16:17]
	v_fma_f64 v[6:7], v[6:7], v[22:23], -v[24:25]
	v_add_f64 v[10:11], v[10:11], v[14:15]
	v_add_f64 v[12:13], v[12:13], v[28:29]
	s_delay_alu instid0(VALU_DEP_2) | instskip(NEXT) | instid1(VALU_DEP_2)
	v_add_f64 v[1:2], v[10:11], v[1:2]
	v_add_f64 v[3:4], v[12:13], v[4:5]
	s_delay_alu instid0(VALU_DEP_2) | instskip(NEXT) | instid1(VALU_DEP_2)
	;; [unrolled: 3-line block ×3, first 2 shown]
	v_add_f64 v[1:2], v[187:188], -v[1:2]
	v_add_f64 v[3:4], v[189:190], -v[3:4]
	scratch_store_b128 off, v[1:4], off
	s_cbranch_vccz .LBB110_389
; %bb.296:
	v_dual_mov_b32 v1, s8 :: v_dual_mov_b32 v2, s9
	s_load_b64 s[0:1], s[0:1], 0x4
	flat_load_b32 v1, v[1:2] offset:180
	v_bfe_u32 v2, v0, 10, 10
	v_bfe_u32 v0, v0, 20, 10
	s_waitcnt lgkmcnt(0)
	s_lshr_b32 s0, s0, 16
	s_delay_alu instid0(VALU_DEP_2) | instskip(SKIP_1) | instid1(SALU_CYCLE_1)
	v_mul_u32_u24_e32 v2, s1, v2
	s_mul_i32 s0, s0, s1
	v_mul_u32_u24_e32 v3, s0, v140
	s_mov_b32 s0, exec_lo
	s_delay_alu instid0(VALU_DEP_1) | instskip(NEXT) | instid1(VALU_DEP_1)
	v_add3_u32 v0, v3, v2, v0
	v_lshl_add_u32 v0, v0, 4, 0x5e8
	s_waitcnt vmcnt(0)
	v_cmpx_ne_u32_e32 46, v1
	s_cbranch_execz .LBB110_298
; %bb.297:
	v_lshl_add_u32 v9, v1, 4, 0
	s_clause 0x1
	scratch_load_b128 v[1:4], v143, off
	scratch_load_b128 v[5:8], v9, off offset:-16
	s_waitcnt vmcnt(1)
	ds_store_2addr_b64 v0, v[1:2], v[3:4] offset1:1
	s_waitcnt vmcnt(0)
	s_clause 0x1
	scratch_store_b128 v143, v[5:8], off
	scratch_store_b128 v9, v[1:4], off offset:-16
.LBB110_298:
	s_or_b32 exec_lo, exec_lo, s0
	v_dual_mov_b32 v1, s8 :: v_dual_mov_b32 v2, s9
	s_mov_b32 s0, exec_lo
	flat_load_b32 v1, v[1:2] offset:176
	s_waitcnt vmcnt(0) lgkmcnt(0)
	v_cmpx_ne_u32_e32 45, v1
	s_cbranch_execz .LBB110_300
; %bb.299:
	v_lshl_add_u32 v9, v1, 4, 0
	s_clause 0x1
	scratch_load_b128 v[1:4], v146, off
	scratch_load_b128 v[5:8], v9, off offset:-16
	s_waitcnt vmcnt(1)
	ds_store_2addr_b64 v0, v[1:2], v[3:4] offset1:1
	s_waitcnt vmcnt(0)
	s_clause 0x1
	scratch_store_b128 v146, v[5:8], off
	scratch_store_b128 v9, v[1:4], off offset:-16
.LBB110_300:
	s_or_b32 exec_lo, exec_lo, s0
	v_dual_mov_b32 v1, s8 :: v_dual_mov_b32 v2, s9
	s_mov_b32 s0, exec_lo
	flat_load_b32 v1, v[1:2] offset:172
	s_waitcnt vmcnt(0) lgkmcnt(0)
	;; [unrolled: 19-line block ×44, first 2 shown]
	v_cmpx_ne_u32_e32 2, v1
	s_cbranch_execz .LBB110_386
; %bb.385:
	v_lshl_add_u32 v9, v1, 4, 0
	s_clause 0x1
	scratch_load_b128 v[1:4], v186, off
	scratch_load_b128 v[5:8], v9, off offset:-16
	s_waitcnt vmcnt(1)
	ds_store_2addr_b64 v0, v[1:2], v[3:4] offset1:1
	s_waitcnt vmcnt(0)
	s_clause 0x1
	scratch_store_b128 v186, v[5:8], off
	scratch_store_b128 v9, v[1:4], off offset:-16
.LBB110_386:
	s_or_b32 exec_lo, exec_lo, s0
	v_dual_mov_b32 v1, s8 :: v_dual_mov_b32 v2, s9
	s_mov_b32 s0, exec_lo
	flat_load_b32 v1, v[1:2]
	s_waitcnt vmcnt(0) lgkmcnt(0)
	v_cmpx_ne_u32_e32 1, v1
	s_cbranch_execz .LBB110_388
; %bb.387:
	v_lshl_add_u32 v9, v1, 4, 0
	scratch_load_b128 v[1:4], off, off
	scratch_load_b128 v[5:8], v9, off offset:-16
	s_waitcnt vmcnt(1)
	ds_store_2addr_b64 v0, v[1:2], v[3:4] offset1:1
	s_waitcnt vmcnt(0)
	scratch_store_b128 off, v[5:8], off
	scratch_store_b128 v9, v[1:4], off offset:-16
.LBB110_388:
	s_or_b32 exec_lo, exec_lo, s0
.LBB110_389:
	scratch_load_b128 v[0:3], off, off
	s_clause 0x15
	scratch_load_b128 v[4:7], v186, off
	scratch_load_b128 v[8:11], v185, off
	;; [unrolled: 1-line block ×22, first 2 shown]
	s_waitcnt vmcnt(22)
	global_store_b128 v[46:47], v[0:3], off
	s_clause 0x1
	scratch_load_b128 v[0:3], v163, off
	scratch_load_b128 v[44:47], v162, off
	s_waitcnt vmcnt(23)
	global_store_b128 v[48:49], v[4:7], off
	s_clause 0x1
	scratch_load_b128 v[4:7], v160, off
	scratch_load_b128 v[216:219], v158, off
	;; [unrolled: 5-line block ×12, first 2 shown]
	s_waitcnt vmcnt(34)
	global_store_b128 v[70:71], v[180:183], off
	s_waitcnt vmcnt(33)
	global_store_b128 v[72:73], v[184:187], off
	;; [unrolled: 2-line block ×35, first 2 shown]
	s_endpgm
	.section	.rodata,"a",@progbits
	.p2align	6, 0x0
	.amdhsa_kernel _ZN9rocsolver6v33100L18getri_kernel_smallILi47E19rocblas_complex_numIdEPKPS3_EEvT1_iilPiilS8_bb
		.amdhsa_group_segment_fixed_size 2536
		.amdhsa_private_segment_fixed_size 768
		.amdhsa_kernarg_size 60
		.amdhsa_user_sgpr_count 15
		.amdhsa_user_sgpr_dispatch_ptr 1
		.amdhsa_user_sgpr_queue_ptr 0
		.amdhsa_user_sgpr_kernarg_segment_ptr 1
		.amdhsa_user_sgpr_dispatch_id 0
		.amdhsa_user_sgpr_private_segment_size 0
		.amdhsa_wavefront_size32 1
		.amdhsa_uses_dynamic_stack 0
		.amdhsa_enable_private_segment 1
		.amdhsa_system_sgpr_workgroup_id_x 1
		.amdhsa_system_sgpr_workgroup_id_y 0
		.amdhsa_system_sgpr_workgroup_id_z 0
		.amdhsa_system_sgpr_workgroup_info 0
		.amdhsa_system_vgpr_workitem_id 2
		.amdhsa_next_free_vgpr 251
		.amdhsa_next_free_sgpr 53
		.amdhsa_reserve_vcc 1
		.amdhsa_float_round_mode_32 0
		.amdhsa_float_round_mode_16_64 0
		.amdhsa_float_denorm_mode_32 3
		.amdhsa_float_denorm_mode_16_64 3
		.amdhsa_dx10_clamp 1
		.amdhsa_ieee_mode 1
		.amdhsa_fp16_overflow 0
		.amdhsa_workgroup_processor_mode 1
		.amdhsa_memory_ordered 1
		.amdhsa_forward_progress 0
		.amdhsa_shared_vgpr_count 0
		.amdhsa_exception_fp_ieee_invalid_op 0
		.amdhsa_exception_fp_denorm_src 0
		.amdhsa_exception_fp_ieee_div_zero 0
		.amdhsa_exception_fp_ieee_overflow 0
		.amdhsa_exception_fp_ieee_underflow 0
		.amdhsa_exception_fp_ieee_inexact 0
		.amdhsa_exception_int_div_zero 0
	.end_amdhsa_kernel
	.section	.text._ZN9rocsolver6v33100L18getri_kernel_smallILi47E19rocblas_complex_numIdEPKPS3_EEvT1_iilPiilS8_bb,"axG",@progbits,_ZN9rocsolver6v33100L18getri_kernel_smallILi47E19rocblas_complex_numIdEPKPS3_EEvT1_iilPiilS8_bb,comdat
.Lfunc_end110:
	.size	_ZN9rocsolver6v33100L18getri_kernel_smallILi47E19rocblas_complex_numIdEPKPS3_EEvT1_iilPiilS8_bb, .Lfunc_end110-_ZN9rocsolver6v33100L18getri_kernel_smallILi47E19rocblas_complex_numIdEPKPS3_EEvT1_iilPiilS8_bb
                                        ; -- End function
	.section	.AMDGPU.csdata,"",@progbits
; Kernel info:
; codeLenInByte = 102732
; NumSgprs: 55
; NumVgprs: 251
; ScratchSize: 768
; MemoryBound: 0
; FloatMode: 240
; IeeeMode: 1
; LDSByteSize: 2536 bytes/workgroup (compile time only)
; SGPRBlocks: 6
; VGPRBlocks: 31
; NumSGPRsForWavesPerEU: 55
; NumVGPRsForWavesPerEU: 251
; Occupancy: 5
; WaveLimiterHint : 1
; COMPUTE_PGM_RSRC2:SCRATCH_EN: 1
; COMPUTE_PGM_RSRC2:USER_SGPR: 15
; COMPUTE_PGM_RSRC2:TRAP_HANDLER: 0
; COMPUTE_PGM_RSRC2:TGID_X_EN: 1
; COMPUTE_PGM_RSRC2:TGID_Y_EN: 0
; COMPUTE_PGM_RSRC2:TGID_Z_EN: 0
; COMPUTE_PGM_RSRC2:TIDIG_COMP_CNT: 2
	.section	.text._ZN9rocsolver6v33100L18getri_kernel_smallILi48E19rocblas_complex_numIdEPKPS3_EEvT1_iilPiilS8_bb,"axG",@progbits,_ZN9rocsolver6v33100L18getri_kernel_smallILi48E19rocblas_complex_numIdEPKPS3_EEvT1_iilPiilS8_bb,comdat
	.globl	_ZN9rocsolver6v33100L18getri_kernel_smallILi48E19rocblas_complex_numIdEPKPS3_EEvT1_iilPiilS8_bb ; -- Begin function _ZN9rocsolver6v33100L18getri_kernel_smallILi48E19rocblas_complex_numIdEPKPS3_EEvT1_iilPiilS8_bb
	.p2align	8
	.type	_ZN9rocsolver6v33100L18getri_kernel_smallILi48E19rocblas_complex_numIdEPKPS3_EEvT1_iilPiilS8_bb,@function
_ZN9rocsolver6v33100L18getri_kernel_smallILi48E19rocblas_complex_numIdEPKPS3_EEvT1_iilPiilS8_bb: ; @_ZN9rocsolver6v33100L18getri_kernel_smallILi48E19rocblas_complex_numIdEPKPS3_EEvT1_iilPiilS8_bb
; %bb.0:
	v_and_b32_e32 v138, 0x3ff, v0
	s_mov_b32 s4, exec_lo
	s_delay_alu instid0(VALU_DEP_1)
	v_cmpx_gt_u32_e32 48, v138
	s_cbranch_execz .LBB111_206
; %bb.1:
	s_mov_b32 s10, s15
	s_clause 0x2
	s_load_b32 s15, s[2:3], 0x38
	s_load_b64 s[8:9], s[2:3], 0x0
	s_load_b128 s[4:7], s[2:3], 0x28
	s_waitcnt lgkmcnt(0)
	s_bitcmp1_b32 s15, 8
	s_cselect_b32 s14, -1, 0
	s_ashr_i32 s11, s10, 31
	s_delay_alu instid0(SALU_CYCLE_1) | instskip(NEXT) | instid1(SALU_CYCLE_1)
	s_lshl_b64 s[12:13], s[10:11], 3
	s_add_u32 s8, s8, s12
	s_addc_u32 s9, s9, s13
	s_load_b64 s[12:13], s[8:9], 0x0
	s_bfe_u32 s8, s15, 0x10008
	s_delay_alu instid0(SALU_CYCLE_1)
	s_cmp_eq_u32 s8, 0
                                        ; implicit-def: $sgpr8_sgpr9
	s_cbranch_scc1 .LBB111_3
; %bb.2:
	s_clause 0x1
	s_load_b32 s8, s[2:3], 0x20
	s_load_b64 s[16:17], s[2:3], 0x18
	s_mul_i32 s5, s10, s5
	s_mul_hi_u32 s9, s10, s4
	s_mul_i32 s18, s11, s4
	s_add_i32 s5, s9, s5
	s_mul_i32 s4, s10, s4
	s_add_i32 s5, s5, s18
	s_delay_alu instid0(SALU_CYCLE_1)
	s_lshl_b64 s[4:5], s[4:5], 2
	s_waitcnt lgkmcnt(0)
	s_ashr_i32 s9, s8, 31
	s_add_u32 s16, s16, s4
	s_addc_u32 s17, s17, s5
	s_lshl_b64 s[4:5], s[8:9], 2
	s_delay_alu instid0(SALU_CYCLE_1)
	s_add_u32 s8, s16, s4
	s_addc_u32 s9, s17, s5
.LBB111_3:
	s_load_b64 s[2:3], s[2:3], 0x8
	v_lshlrev_b32_e32 v13, 4, v138
	s_movk_i32 s18, 0xd0
	s_movk_i32 s19, 0xe0
	;; [unrolled: 1-line block ×18, first 2 shown]
	s_waitcnt lgkmcnt(0)
	v_add3_u32 v1, s3, s3, v138
	s_ashr_i32 s5, s2, 31
	s_mov_b32 s4, s2
	s_mov_b32 s16, s3
	s_lshl_b64 s[4:5], s[4:5], 4
	v_add_nc_u32_e32 v7, s3, v1
	v_ashrrev_i32_e32 v2, 31, v1
	s_add_u32 s4, s12, s4
	s_addc_u32 s5, s13, s5
	v_add_co_u32 v42, s2, s4, v13
	v_add_nc_u32_e32 v11, s3, v7
	s_ashr_i32 s17, s3, 31
	v_add_co_ci_u32_e64 v43, null, s5, 0, s2
	v_lshlrev_b64 v[1:2], 4, v[1:2]
	s_lshl_b64 s[12:13], s[16:17], 4
	v_add_nc_u32_e32 v18, s3, v11
	v_ashrrev_i32_e32 v8, 31, v7
	v_add_co_u32 v44, vcc_lo, v42, s12
	v_add_co_ci_u32_e32 v45, vcc_lo, s13, v43, vcc_lo
	v_ashrrev_i32_e32 v12, 31, v11
	v_add_co_u32 v46, vcc_lo, s4, v1
	v_add_nc_u32_e32 v1, s3, v18
	v_lshlrev_b64 v[14:15], 4, v[7:8]
	s_delay_alu instid0(VALU_DEP_4) | instskip(SKIP_1) | instid1(VALU_DEP_4)
	v_lshlrev_b64 v[11:12], 4, v[11:12]
	v_add_co_ci_u32_e32 v47, vcc_lo, s5, v2, vcc_lo
	v_add_nc_u32_e32 v26, s3, v1
	v_ashrrev_i32_e32 v19, 31, v18
	v_add_co_u32 v48, vcc_lo, s4, v14
	v_add_co_ci_u32_e32 v49, vcc_lo, s5, v15, vcc_lo
	v_ashrrev_i32_e32 v2, 31, v1
	v_add_co_u32 v50, vcc_lo, s4, v11
	v_add_nc_u32_e32 v11, s3, v26
	v_lshlrev_b64 v[22:23], 4, v[18:19]
	s_delay_alu instid0(VALU_DEP_4) | instskip(SKIP_1) | instid1(VALU_DEP_4)
	v_lshlrev_b64 v[1:2], 4, v[1:2]
	v_add_co_ci_u32_e32 v51, vcc_lo, s5, v12, vcc_lo
	;; [unrolled: 11-line block ×3, first 2 shown]
	v_add_nc_u32_e32 v62, s3, v1
	v_ashrrev_i32_e32 v35, 31, v34
	v_add_co_u32 v56, vcc_lo, s4, v30
	v_add_co_ci_u32_e32 v57, vcc_lo, s5, v31, vcc_lo
	v_ashrrev_i32_e32 v2, 31, v1
	v_add_co_u32 v58, vcc_lo, s4, v11
	v_add_nc_u32_e32 v11, s3, v62
	v_lshlrev_b64 v[38:39], 4, v[34:35]
	s_delay_alu instid0(VALU_DEP_4)
	v_lshlrev_b64 v[1:2], 4, v[1:2]
	v_ashrrev_i32_e32 v63, 31, v62
	v_add_co_ci_u32_e32 v59, vcc_lo, s5, v12, vcc_lo
	v_add_nc_u32_e32 v66, s3, v11
	v_add_co_u32 v60, vcc_lo, s4, v38
	v_add_co_ci_u32_e32 v61, vcc_lo, s5, v39, vcc_lo
	v_ashrrev_i32_e32 v12, 31, v11
	v_lshlrev_b64 v[64:65], 4, v[62:63]
	v_add_co_u32 v62, vcc_lo, s4, v1
	v_add_nc_u32_e32 v1, s3, v66
	s_delay_alu instid0(VALU_DEP_4) | instskip(SKIP_2) | instid1(VALU_DEP_4)
	v_lshlrev_b64 v[11:12], 4, v[11:12]
	v_ashrrev_i32_e32 v67, 31, v66
	v_add_co_ci_u32_e32 v63, vcc_lo, s5, v2, vcc_lo
	v_add_nc_u32_e32 v70, s3, v1
	v_add_co_u32 v64, vcc_lo, s4, v64
	s_clause 0x3
	global_load_b128 v[3:6], v13, s[4:5]
	global_load_b128 v[7:10], v[44:45], off
	global_load_b128 v[14:17], v[46:47], off
	;; [unrolled: 1-line block ×3, first 2 shown]
	v_add_co_ci_u32_e32 v65, vcc_lo, s5, v65, vcc_lo
	v_ashrrev_i32_e32 v2, 31, v1
	s_clause 0x1
	global_load_b128 v[22:25], v[50:51], off
	global_load_b128 v[26:29], v[52:53], off
	v_lshlrev_b64 v[68:69], 4, v[66:67]
	v_add_co_u32 v66, vcc_lo, s4, v11
	v_add_nc_u32_e32 v11, s3, v70
	s_clause 0x3
	global_load_b128 v[30:33], v[54:55], off
	global_load_b128 v[34:37], v[56:57], off
	;; [unrolled: 1-line block ×4, first 2 shown]
	v_ashrrev_i32_e32 v71, 31, v70
	v_lshlrev_b64 v[1:2], 4, v[1:2]
	v_add_co_ci_u32_e32 v67, vcc_lo, s5, v12, vcc_lo
	v_ashrrev_i32_e32 v12, 31, v11
	v_add_nc_u32_e32 v76, s3, v11
	v_add_co_u32 v68, vcc_lo, s4, v68
	v_lshlrev_b64 v[72:73], 4, v[70:71]
	v_add_co_ci_u32_e32 v69, vcc_lo, s5, v69, vcc_lo
	s_clause 0x1
	global_load_b128 v[122:125], v[62:63], off
	global_load_b128 v[126:129], v[64:65], off
	v_add_co_u32 v70, vcc_lo, s4, v1
	v_lshlrev_b64 v[11:12], 4, v[11:12]
	v_add_nc_u32_e32 v1, s3, v76
	v_add_co_ci_u32_e32 v71, vcc_lo, s5, v2, vcc_lo
	v_add_co_u32 v72, vcc_lo, s4, v72
	v_ashrrev_i32_e32 v77, 31, v76
	v_add_co_ci_u32_e32 v73, vcc_lo, s5, v73, vcc_lo
	s_clause 0x1
	global_load_b128 v[130:133], v[66:67], off
	global_load_b128 v[134:137], v[68:69], off
	v_ashrrev_i32_e32 v2, 31, v1
	v_add_co_u32 v74, vcc_lo, s4, v11
	v_add_co_ci_u32_e32 v75, vcc_lo, s5, v12, vcc_lo
	v_lshlrev_b64 v[11:12], 4, v[76:77]
	v_add_nc_u32_e32 v82, s3, v1
	v_lshlrev_b64 v[1:2], 4, v[1:2]
	s_clause 0x2
	global_load_b128 v[139:142], v[70:71], off
	global_load_b128 v[143:146], v[72:73], off
	;; [unrolled: 1-line block ×3, first 2 shown]
	v_add_co_u32 v76, vcc_lo, s4, v11
	v_add_co_ci_u32_e32 v77, vcc_lo, s5, v12, vcc_lo
	v_add_co_u32 v78, vcc_lo, s4, v1
	v_add_co_ci_u32_e32 v79, vcc_lo, s5, v2, vcc_lo
	s_clause 0x1
	global_load_b128 v[151:154], v[76:77], off
	global_load_b128 v[155:158], v[78:79], off
	v_ashrrev_i32_e32 v83, 31, v82
	s_movk_i32 s2, 0x50
	s_movk_i32 s12, 0x90
	;; [unrolled: 1-line block ×4, first 2 shown]
	v_lshlrev_b64 v[1:2], 4, v[82:83]
	s_movk_i32 s17, 0xc0
	s_movk_i32 s37, 0x1f0
	;; [unrolled: 1-line block ×5, first 2 shown]
	v_add_co_u32 v80, vcc_lo, s4, v1
	v_add_nc_u32_e32 v1, s3, v82
	v_add_co_ci_u32_e32 v81, vcc_lo, s5, v2, vcc_lo
	s_movk_i32 s41, 0x230
	s_movk_i32 s42, 0x240
	s_delay_alu instid0(VALU_DEP_2)
	v_add_nc_u32_e32 v11, s3, v1
	v_ashrrev_i32_e32 v2, 31, v1
	global_load_b128 v[159:162], v[80:81], off
	s_movk_i32 s43, 0x250
	s_movk_i32 s44, 0x260
	v_add_nc_u32_e32 v84, s3, v11
	v_lshlrev_b64 v[1:2], 4, v[1:2]
	v_ashrrev_i32_e32 v12, 31, v11
	s_movk_i32 s45, 0x270
	s_movk_i32 s46, 0x280
	v_add_nc_u32_e32 v86, s3, v84
	v_ashrrev_i32_e32 v85, 31, v84
	v_add_co_u32 v82, vcc_lo, s4, v1
	v_add_co_ci_u32_e32 v83, vcc_lo, s5, v2, vcc_lo
	s_delay_alu instid0(VALU_DEP_4)
	v_add_nc_u32_e32 v88, s3, v86
	v_lshlrev_b64 v[1:2], 4, v[11:12]
	v_ashrrev_i32_e32 v87, 31, v86
	global_load_b128 v[163:166], v[82:83], off
	v_lshlrev_b64 v[11:12], 4, v[84:85]
	v_add_nc_u32_e32 v90, s3, v88
	v_ashrrev_i32_e32 v89, 31, v88
	v_add_co_u32 v84, vcc_lo, s4, v1
	v_add_co_ci_u32_e32 v85, vcc_lo, s5, v2, vcc_lo
	s_delay_alu instid0(VALU_DEP_4) | instskip(SKIP_3) | instid1(VALU_DEP_4)
	v_add_nc_u32_e32 v92, s3, v90
	v_lshlrev_b64 v[1:2], 4, v[86:87]
	v_add_co_u32 v86, vcc_lo, s4, v11
	v_ashrrev_i32_e32 v91, 31, v90
	v_add_nc_u32_e32 v94, s3, v92
	v_add_co_ci_u32_e32 v87, vcc_lo, s5, v12, vcc_lo
	v_lshlrev_b64 v[11:12], 4, v[88:89]
	v_add_co_u32 v88, vcc_lo, s4, v1
	s_delay_alu instid0(VALU_DEP_4) | instskip(SKIP_3) | instid1(VALU_DEP_4)
	v_add_nc_u32_e32 v98, s3, v94
	v_add_co_ci_u32_e32 v89, vcc_lo, s5, v2, vcc_lo
	v_lshlrev_b64 v[1:2], 4, v[90:91]
	v_ashrrev_i32_e32 v93, 31, v92
	v_add_nc_u32_e32 v100, s3, v98
	v_add_co_u32 v90, vcc_lo, s4, v11
	v_ashrrev_i32_e32 v95, 31, v94
	v_add_co_ci_u32_e32 v91, vcc_lo, s5, v12, vcc_lo
	s_delay_alu instid0(VALU_DEP_4) | instskip(SKIP_3) | instid1(VALU_DEP_4)
	v_add_nc_u32_e32 v102, s3, v100
	v_lshlrev_b64 v[11:12], 4, v[92:93]
	v_add_co_u32 v92, vcc_lo, s4, v1
	v_add_co_ci_u32_e32 v93, vcc_lo, s5, v2, vcc_lo
	v_add_nc_u32_e32 v104, s3, v102
	v_lshlrev_b64 v[1:2], 4, v[94:95]
	v_ashrrev_i32_e32 v99, 31, v98
	v_add_co_u32 v96, vcc_lo, s4, v11
	s_delay_alu instid0(VALU_DEP_4) | instskip(SKIP_3) | instid1(VALU_DEP_4)
	v_add_nc_u32_e32 v106, s3, v104
	v_ashrrev_i32_e32 v101, 31, v100
	v_add_co_ci_u32_e32 v97, vcc_lo, s5, v12, vcc_lo
	v_lshlrev_b64 v[11:12], 4, v[98:99]
	v_add_nc_u32_e32 v108, s3, v106
	v_add_co_u32 v98, vcc_lo, s4, v1
	v_add_co_ci_u32_e32 v99, vcc_lo, s5, v2, vcc_lo
	s_delay_alu instid0(VALU_DEP_3)
	v_add_nc_u32_e32 v110, s3, v108
	v_lshlrev_b64 v[184:185], 4, v[100:101]
	v_ashrrev_i32_e32 v103, 31, v102
	v_ashrrev_i32_e32 v105, 31, v104
	;; [unrolled: 1-line block ×3, first 2 shown]
	v_add_nc_u32_e32 v112, s3, v110
	v_ashrrev_i32_e32 v109, 31, v108
	v_ashrrev_i32_e32 v111, 31, v110
	s_clause 0x1
	global_load_b128 v[167:170], v[84:85], off
	global_load_b128 v[171:174], v[86:87], off
	v_lshlrev_b64 v[206:207], 4, v[106:107]
	v_add_nc_u32_e32 v114, s3, v112
	v_ashrrev_i32_e32 v113, 31, v112
	s_clause 0x3
	global_load_b128 v[186:189], v[88:89], off
	global_load_b128 v[190:193], v[90:91], off
	;; [unrolled: 1-line block ×4, first 2 shown]
	s_movk_i32 s47, 0x290
	v_add_nc_u32_e32 v116, s3, v114
	v_ashrrev_i32_e32 v115, 31, v114
	s_movk_i32 s48, 0x2a0
	s_movk_i32 s49, 0x2b0
	;; [unrolled: 1-line block ×3, first 2 shown]
	v_add_nc_u32_e32 v175, s3, v116
	v_ashrrev_i32_e32 v117, 31, v116
	s_movk_i32 s51, 0x2d0
	s_movk_i32 s52, 0x2e0
	;; [unrolled: 1-line block ×3, first 2 shown]
	v_add_nc_u32_e32 v177, s3, v175
	v_ashrrev_i32_e32 v176, 31, v175
	s_bitcmp0_b32 s15, 0
	s_delay_alu instid0(VALU_DEP_2) | instskip(NEXT) | instid1(VALU_DEP_2)
	v_add_nc_u32_e32 v179, s3, v177
	v_lshlrev_b64 v[175:176], 4, v[175:176]
	v_ashrrev_i32_e32 v178, 31, v177
	s_delay_alu instid0(VALU_DEP_3) | instskip(SKIP_1) | instid1(VALU_DEP_3)
	v_add_nc_u32_e32 v181, s3, v179
	v_ashrrev_i32_e32 v180, 31, v179
	v_lshlrev_b64 v[177:178], 4, v[177:178]
	s_delay_alu instid0(VALU_DEP_3) | instskip(SKIP_1) | instid1(VALU_DEP_2)
	v_add_nc_u32_e32 v183, s3, v181
	v_ashrrev_i32_e32 v182, 31, v181
	v_add_nc_u32_e32 v222, s3, v183
	s_delay_alu instid0(VALU_DEP_1) | instskip(SKIP_1) | instid1(VALU_DEP_2)
	v_add_nc_u32_e32 v224, s3, v222
	v_ashrrev_i32_e32 v223, 31, v222
	v_add_nc_u32_e32 v230, s3, v224
	v_ashrrev_i32_e32 v225, 31, v224
	s_delay_alu instid0(VALU_DEP_2) | instskip(SKIP_1) | instid1(VALU_DEP_2)
	v_add_nc_u32_e32 v232, s3, v230
	v_ashrrev_i32_e32 v231, 31, v230
	v_add_nc_u32_e32 v94, s3, v232
	v_ashrrev_i32_e32 v233, 31, v232
	s_movk_i32 s3, 0x60
	s_delay_alu instid0(VALU_DEP_2) | instskip(NEXT) | instid1(VALU_DEP_1)
	v_ashrrev_i32_e32 v95, 31, v94
	v_lshlrev_b64 v[94:95], 4, v[94:95]
	s_delay_alu instid0(VALU_DEP_1) | instskip(NEXT) | instid1(VALU_DEP_2)
	v_add_co_u32 v94, vcc_lo, s4, v94
	v_add_co_ci_u32_e32 v95, vcc_lo, s5, v95, vcc_lo
	v_add_co_u32 v100, vcc_lo, s4, v11
	v_add_co_ci_u32_e32 v101, vcc_lo, s5, v12, vcc_lo
	v_lshlrev_b64 v[11:12], 4, v[102:103]
	v_add_co_u32 v102, vcc_lo, s4, v184
	v_add_co_ci_u32_e32 v103, vcc_lo, s5, v185, vcc_lo
	v_lshlrev_b64 v[184:185], 4, v[104:105]
	s_delay_alu instid0(VALU_DEP_4)
	v_add_co_u32 v104, vcc_lo, s4, v11
	v_add_co_ci_u32_e32 v105, vcc_lo, s5, v12, vcc_lo
	global_load_b128 v[202:205], v[94:95], off
	v_add_co_u32 v106, vcc_lo, s4, v184
	v_add_co_ci_u32_e32 v107, vcc_lo, s5, v185, vcc_lo
	v_lshlrev_b64 v[184:185], 4, v[108:109]
	v_add_co_u32 v108, vcc_lo, s4, v206
	v_add_co_ci_u32_e32 v109, vcc_lo, s5, v207, vcc_lo
	v_lshlrev_b64 v[206:207], 4, v[110:111]
	s_delay_alu instid0(VALU_DEP_4) | instskip(SKIP_2) | instid1(VALU_DEP_4)
	v_add_co_u32 v110, vcc_lo, s4, v184
	v_add_co_ci_u32_e32 v111, vcc_lo, s5, v185, vcc_lo
	v_lshlrev_b64 v[184:185], 4, v[112:113]
	v_add_co_u32 v112, vcc_lo, s4, v206
	v_add_co_ci_u32_e32 v113, vcc_lo, s5, v207, vcc_lo
	v_lshlrev_b64 v[206:207], 4, v[114:115]
	s_delay_alu instid0(VALU_DEP_4)
	v_add_co_u32 v114, vcc_lo, s4, v184
	v_add_co_ci_u32_e32 v115, vcc_lo, s5, v185, vcc_lo
	v_lshlrev_b64 v[184:185], 4, v[116:117]
	s_waitcnt vmcnt(27)
	scratch_store_b128 off, v[3:6], off
	s_waitcnt vmcnt(26)
	scratch_store_b128 off, v[7:10], off offset:16
	s_clause 0x1
	global_load_b128 v[1:4], v[98:99], off
	global_load_b128 v[5:8], v[100:101], off
	s_waitcnt vmcnt(27)
	scratch_store_b128 off, v[14:17], off offset:32
	s_waitcnt vmcnt(26)
	scratch_store_b128 off, v[18:21], off offset:48
	v_add_co_u32 v116, vcc_lo, s4, v206
	s_clause 0x1
	global_load_b128 v[9:12], v[102:103], off
	global_load_b128 v[14:17], v[104:105], off
	s_waitcnt vmcnt(27)
	scratch_store_b128 off, v[22:25], off offset:64
	s_waitcnt vmcnt(26)
	scratch_store_b128 off, v[26:29], off offset:80
	s_clause 0x1
	global_load_b128 v[18:21], v[106:107], off
	global_load_b128 v[22:25], v[108:109], off
	s_waitcnt vmcnt(27)
	scratch_store_b128 off, v[30:33], off offset:96
	s_waitcnt vmcnt(26)
	scratch_store_b128 off, v[34:37], off offset:112
	v_add_co_ci_u32_e32 v117, vcc_lo, s5, v207, vcc_lo
	s_clause 0x1
	global_load_b128 v[26:29], v[110:111], off
	global_load_b128 v[30:33], v[112:113], off
	s_waitcnt vmcnt(27)
	scratch_store_b128 off, v[38:41], off offset:128
	s_waitcnt vmcnt(26)
	scratch_store_b128 off, v[118:121], off offset:144
	v_add_co_u32 v118, vcc_lo, s4, v184
	v_add_co_ci_u32_e32 v119, vcc_lo, s5, v185, vcc_lo
	v_add_co_u32 v120, vcc_lo, s4, v175
	v_add_co_ci_u32_e32 v121, vcc_lo, s5, v176, vcc_lo
	v_lshlrev_b64 v[175:176], 4, v[179:180]
	v_ashrrev_i32_e32 v184, 31, v183
	s_clause 0x1
	global_load_b128 v[34:37], v[114:115], off
	global_load_b128 v[38:41], v[116:117], off
	s_waitcnt vmcnt(27)
	scratch_store_b128 off, v[122:125], off offset:160
	s_waitcnt vmcnt(26)
	scratch_store_b128 off, v[126:129], off offset:176
	v_add_co_u32 v122, vcc_lo, s4, v177
	v_lshlrev_b64 v[126:127], 4, v[181:182]
	v_add_co_ci_u32_e32 v123, vcc_lo, s5, v178, vcc_lo
	v_add_co_u32 v124, vcc_lo, s4, v175
	v_lshlrev_b64 v[128:129], 4, v[183:184]
	v_add_co_ci_u32_e32 v125, vcc_lo, s5, v176, vcc_lo
	s_clause 0x1
	global_load_b128 v[206:209], v[118:119], off
	global_load_b128 v[210:213], v[120:121], off
	s_waitcnt vmcnt(27)
	scratch_store_b128 off, v[130:133], off offset:192
	s_waitcnt vmcnt(26)
	scratch_store_b128 off, v[134:137], off offset:208
	v_add_co_u32 v126, vcc_lo, s4, v126
	v_lshlrev_b64 v[130:131], 4, v[222:223]
	v_add_co_ci_u32_e32 v127, vcc_lo, s5, v127, vcc_lo
	v_add_co_u32 v128, vcc_lo, s4, v128
	v_lshlrev_b64 v[132:133], 4, v[224:225]
	v_add_co_ci_u32_e32 v129, vcc_lo, s5, v129, vcc_lo
	;; [unrolled: 3-line block ×4, first 2 shown]
	v_add_co_u32 v134, vcc_lo, s4, v134
	v_add_co_ci_u32_e32 v135, vcc_lo, s5, v135, vcc_lo
	s_clause 0x1
	global_load_b128 v[214:217], v[122:123], off
	global_load_b128 v[218:221], v[124:125], off
	s_waitcnt vmcnt(27)
	scratch_store_b128 off, v[139:142], off offset:224
	s_waitcnt vmcnt(26)
	scratch_store_b128 off, v[143:146], off offset:240
	v_add_co_u32 v136, vcc_lo, s4, v136
	s_clause 0x1
	global_load_b128 v[222:225], v[126:127], off
	global_load_b128 v[226:229], v[128:129], off
	s_waitcnt vmcnt(27)
	scratch_store_b128 off, v[147:150], off offset:256
	s_waitcnt vmcnt(26)
	scratch_store_b128 off, v[151:154], off offset:272
	s_clause 0x1
	global_load_b128 v[144:147], v[130:131], off
	global_load_b128 v[230:233], v[132:133], off
	v_add_co_ci_u32_e32 v137, vcc_lo, s5, v137, vcc_lo
	global_load_b128 v[234:237], v[134:135], off
	s_movk_i32 s4, 0x70
	s_movk_i32 s5, 0x80
	global_load_b128 v[238:241], v[136:137], off
	s_waitcnt vmcnt(29)
	scratch_store_b128 off, v[155:158], off offset:288
	v_add_nc_u32_e64 v185, 0, 16
	v_add_nc_u32_e64 v184, 0, 32
	;; [unrolled: 1-line block ×5, first 2 shown]
	s_waitcnt vmcnt(28)
	scratch_store_b128 off, v[159:162], off offset:304
	v_add_nc_u32_e64 v180, s3, 0
	v_add_nc_u32_e64 v179, s4, 0
	;; [unrolled: 1-line block ×16, first 2 shown]
	s_waitcnt vmcnt(27)
	scratch_store_b128 off, v[163:166], off offset:320
	v_add_nc_u32_e64 v166, s25, 0
	v_add_nc_u32_e64 v165, s26, 0
	;; [unrolled: 1-line block ×14, first 2 shown]
	s_mov_b32 s3, -1
	s_waitcnt vmcnt(26)
	scratch_store_b128 off, v[167:170], off offset:336
	s_waitcnt vmcnt(25)
	scratch_store_b128 off, v[171:174], off offset:352
	v_add_nc_u32_e64 v174, s17, 0
	v_add_nc_u32_e64 v173, s18, 0
	s_waitcnt vmcnt(24)
	scratch_store_b128 off, v[186:189], off offset:368
	v_add_nc_u32_e64 v172, s19, 0
	v_add_nc_u32_e64 v171, s20, 0
	;; [unrolled: 1-line block ×5, first 2 shown]
	s_waitcnt vmcnt(23)
	scratch_store_b128 off, v[190:193], off offset:384
	s_waitcnt vmcnt(22)
	scratch_store_b128 off, v[194:197], off offset:400
	v_add_nc_u32_e64 v167, s24, 0
	s_waitcnt vmcnt(21)
	scratch_store_b128 off, v[198:201], off offset:416
	s_waitcnt vmcnt(19)
	scratch_store_b128 off, v[1:4], off offset:432
	;; [unrolled: 2-line block ×20, first 2 shown]
	v_add_nc_u32_e64 v147, s50, 0
	v_add_nc_u32_e64 v146, s51, 0
	;; [unrolled: 1-line block ×4, first 2 shown]
	s_waitcnt vmcnt(0)
	s_clause 0x1
	scratch_store_b128 off, v[238:241], off offset:736
	scratch_store_b128 off, v[202:205], off offset:752
	s_cbranch_scc1 .LBB111_204
; %bb.4:
	v_cmp_eq_u32_e64 s2, 0, v138
	s_delay_alu instid0(VALU_DEP_1)
	s_and_saveexec_b32 s3, s2
	s_cbranch_execz .LBB111_6
; %bb.5:
	v_mov_b32_e32 v1, 0
	ds_store_b32 v1, v1 offset:1536
.LBB111_6:
	s_or_b32 exec_lo, exec_lo, s3
	s_waitcnt lgkmcnt(0)
	s_waitcnt_vscnt null, 0x0
	s_barrier
	buffer_gl0_inv
	scratch_load_b128 v[1:4], v13, off
	s_waitcnt vmcnt(0)
	v_cmp_eq_f64_e32 vcc_lo, 0, v[1:2]
	v_cmp_eq_f64_e64 s3, 0, v[3:4]
	s_delay_alu instid0(VALU_DEP_1) | instskip(NEXT) | instid1(SALU_CYCLE_1)
	s_and_b32 s3, vcc_lo, s3
	s_and_saveexec_b32 s4, s3
	s_cbranch_execz .LBB111_10
; %bb.7:
	v_mov_b32_e32 v1, 0
	s_mov_b32 s5, 0
	ds_load_b32 v2, v1 offset:1536
	s_waitcnt lgkmcnt(0)
	v_readfirstlane_b32 s3, v2
	v_add_nc_u32_e32 v2, 1, v138
	s_delay_alu instid0(VALU_DEP_2) | instskip(NEXT) | instid1(VALU_DEP_1)
	s_cmp_eq_u32 s3, 0
	v_cmp_gt_i32_e32 vcc_lo, s3, v2
	s_cselect_b32 s12, -1, 0
	s_delay_alu instid0(SALU_CYCLE_1) | instskip(NEXT) | instid1(SALU_CYCLE_1)
	s_or_b32 s12, s12, vcc_lo
	s_and_b32 exec_lo, exec_lo, s12
	s_cbranch_execz .LBB111_10
; %bb.8:
	v_mov_b32_e32 v3, s3
.LBB111_9:                              ; =>This Inner Loop Header: Depth=1
	ds_cmpstore_rtn_b32 v3, v1, v2, v3 offset:1536
	s_waitcnt lgkmcnt(0)
	v_cmp_ne_u32_e32 vcc_lo, 0, v3
	v_cmp_le_i32_e64 s3, v3, v2
	s_delay_alu instid0(VALU_DEP_1) | instskip(NEXT) | instid1(SALU_CYCLE_1)
	s_and_b32 s3, vcc_lo, s3
	s_and_b32 s3, exec_lo, s3
	s_delay_alu instid0(SALU_CYCLE_1) | instskip(NEXT) | instid1(SALU_CYCLE_1)
	s_or_b32 s5, s3, s5
	s_and_not1_b32 exec_lo, exec_lo, s5
	s_cbranch_execnz .LBB111_9
.LBB111_10:
	s_or_b32 exec_lo, exec_lo, s4
	v_mov_b32_e32 v1, 0
	s_barrier
	buffer_gl0_inv
	ds_load_b32 v2, v1 offset:1536
	s_and_saveexec_b32 s3, s2
	s_cbranch_execz .LBB111_12
; %bb.11:
	s_lshl_b64 s[4:5], s[10:11], 2
	s_delay_alu instid0(SALU_CYCLE_1)
	s_add_u32 s4, s6, s4
	s_addc_u32 s5, s7, s5
	s_waitcnt lgkmcnt(0)
	global_store_b32 v1, v2, s[4:5]
.LBB111_12:
	s_or_b32 exec_lo, exec_lo, s3
	s_waitcnt lgkmcnt(0)
	v_cmp_ne_u32_e32 vcc_lo, 0, v2
	s_mov_b32 s3, 0
	s_cbranch_vccnz .LBB111_204
; %bb.13:
	v_add_nc_u32_e32 v14, 0, v13
                                        ; implicit-def: $vgpr9_vgpr10
	scratch_load_b128 v[1:4], v14, off
	s_waitcnt vmcnt(0)
	v_mov_b32_e32 v5, v1
	v_cmp_gt_f64_e32 vcc_lo, 0, v[1:2]
	v_xor_b32_e32 v6, 0x80000000, v2
	v_xor_b32_e32 v7, 0x80000000, v4
	s_delay_alu instid0(VALU_DEP_2) | instskip(SKIP_1) | instid1(VALU_DEP_3)
	v_cndmask_b32_e32 v6, v2, v6, vcc_lo
	v_cmp_gt_f64_e32 vcc_lo, 0, v[3:4]
	v_dual_cndmask_b32 v8, v4, v7 :: v_dual_mov_b32 v7, v3
	s_delay_alu instid0(VALU_DEP_1) | instskip(SKIP_1) | instid1(SALU_CYCLE_1)
	v_cmp_ngt_f64_e32 vcc_lo, v[5:6], v[7:8]
                                        ; implicit-def: $vgpr5_vgpr6
	s_and_saveexec_b32 s3, vcc_lo
	s_xor_b32 s3, exec_lo, s3
	s_cbranch_execz .LBB111_15
; %bb.14:
	v_div_scale_f64 v[5:6], null, v[3:4], v[3:4], v[1:2]
	v_div_scale_f64 v[11:12], vcc_lo, v[1:2], v[3:4], v[1:2]
	s_delay_alu instid0(VALU_DEP_2) | instskip(SKIP_2) | instid1(VALU_DEP_1)
	v_rcp_f64_e32 v[7:8], v[5:6]
	s_waitcnt_depctr 0xfff
	v_fma_f64 v[9:10], -v[5:6], v[7:8], 1.0
	v_fma_f64 v[7:8], v[7:8], v[9:10], v[7:8]
	s_delay_alu instid0(VALU_DEP_1) | instskip(NEXT) | instid1(VALU_DEP_1)
	v_fma_f64 v[9:10], -v[5:6], v[7:8], 1.0
	v_fma_f64 v[7:8], v[7:8], v[9:10], v[7:8]
	s_delay_alu instid0(VALU_DEP_1) | instskip(NEXT) | instid1(VALU_DEP_1)
	v_mul_f64 v[9:10], v[11:12], v[7:8]
	v_fma_f64 v[5:6], -v[5:6], v[9:10], v[11:12]
	s_delay_alu instid0(VALU_DEP_1) | instskip(NEXT) | instid1(VALU_DEP_1)
	v_div_fmas_f64 v[5:6], v[5:6], v[7:8], v[9:10]
	v_div_fixup_f64 v[5:6], v[5:6], v[3:4], v[1:2]
	s_delay_alu instid0(VALU_DEP_1) | instskip(NEXT) | instid1(VALU_DEP_1)
	v_fma_f64 v[1:2], v[1:2], v[5:6], v[3:4]
	v_div_scale_f64 v[3:4], null, v[1:2], v[1:2], 1.0
	v_div_scale_f64 v[11:12], vcc_lo, 1.0, v[1:2], 1.0
	s_delay_alu instid0(VALU_DEP_2) | instskip(SKIP_2) | instid1(VALU_DEP_1)
	v_rcp_f64_e32 v[7:8], v[3:4]
	s_waitcnt_depctr 0xfff
	v_fma_f64 v[9:10], -v[3:4], v[7:8], 1.0
	v_fma_f64 v[7:8], v[7:8], v[9:10], v[7:8]
	s_delay_alu instid0(VALU_DEP_1) | instskip(NEXT) | instid1(VALU_DEP_1)
	v_fma_f64 v[9:10], -v[3:4], v[7:8], 1.0
	v_fma_f64 v[7:8], v[7:8], v[9:10], v[7:8]
	s_delay_alu instid0(VALU_DEP_1) | instskip(NEXT) | instid1(VALU_DEP_1)
	v_mul_f64 v[9:10], v[11:12], v[7:8]
	v_fma_f64 v[3:4], -v[3:4], v[9:10], v[11:12]
	s_delay_alu instid0(VALU_DEP_1) | instskip(NEXT) | instid1(VALU_DEP_1)
	v_div_fmas_f64 v[3:4], v[3:4], v[7:8], v[9:10]
	v_div_fixup_f64 v[7:8], v[3:4], v[1:2], 1.0
                                        ; implicit-def: $vgpr1_vgpr2
	s_delay_alu instid0(VALU_DEP_1) | instskip(SKIP_1) | instid1(VALU_DEP_2)
	v_mul_f64 v[5:6], v[5:6], v[7:8]
	v_xor_b32_e32 v8, 0x80000000, v8
	v_xor_b32_e32 v10, 0x80000000, v6
	s_delay_alu instid0(VALU_DEP_3)
	v_mov_b32_e32 v9, v5
.LBB111_15:
	s_and_not1_saveexec_b32 s3, s3
	s_cbranch_execz .LBB111_17
; %bb.16:
	v_div_scale_f64 v[5:6], null, v[1:2], v[1:2], v[3:4]
	v_div_scale_f64 v[11:12], vcc_lo, v[3:4], v[1:2], v[3:4]
	s_delay_alu instid0(VALU_DEP_2) | instskip(SKIP_2) | instid1(VALU_DEP_1)
	v_rcp_f64_e32 v[7:8], v[5:6]
	s_waitcnt_depctr 0xfff
	v_fma_f64 v[9:10], -v[5:6], v[7:8], 1.0
	v_fma_f64 v[7:8], v[7:8], v[9:10], v[7:8]
	s_delay_alu instid0(VALU_DEP_1) | instskip(NEXT) | instid1(VALU_DEP_1)
	v_fma_f64 v[9:10], -v[5:6], v[7:8], 1.0
	v_fma_f64 v[7:8], v[7:8], v[9:10], v[7:8]
	s_delay_alu instid0(VALU_DEP_1) | instskip(NEXT) | instid1(VALU_DEP_1)
	v_mul_f64 v[9:10], v[11:12], v[7:8]
	v_fma_f64 v[5:6], -v[5:6], v[9:10], v[11:12]
	s_delay_alu instid0(VALU_DEP_1) | instskip(NEXT) | instid1(VALU_DEP_1)
	v_div_fmas_f64 v[5:6], v[5:6], v[7:8], v[9:10]
	v_div_fixup_f64 v[7:8], v[5:6], v[1:2], v[3:4]
	s_delay_alu instid0(VALU_DEP_1) | instskip(NEXT) | instid1(VALU_DEP_1)
	v_fma_f64 v[1:2], v[3:4], v[7:8], v[1:2]
	v_div_scale_f64 v[3:4], null, v[1:2], v[1:2], 1.0
	s_delay_alu instid0(VALU_DEP_1) | instskip(SKIP_2) | instid1(VALU_DEP_1)
	v_rcp_f64_e32 v[5:6], v[3:4]
	s_waitcnt_depctr 0xfff
	v_fma_f64 v[9:10], -v[3:4], v[5:6], 1.0
	v_fma_f64 v[5:6], v[5:6], v[9:10], v[5:6]
	s_delay_alu instid0(VALU_DEP_1) | instskip(NEXT) | instid1(VALU_DEP_1)
	v_fma_f64 v[9:10], -v[3:4], v[5:6], 1.0
	v_fma_f64 v[5:6], v[5:6], v[9:10], v[5:6]
	v_div_scale_f64 v[9:10], vcc_lo, 1.0, v[1:2], 1.0
	s_delay_alu instid0(VALU_DEP_1) | instskip(NEXT) | instid1(VALU_DEP_1)
	v_mul_f64 v[11:12], v[9:10], v[5:6]
	v_fma_f64 v[3:4], -v[3:4], v[11:12], v[9:10]
	s_delay_alu instid0(VALU_DEP_1) | instskip(NEXT) | instid1(VALU_DEP_1)
	v_div_fmas_f64 v[3:4], v[3:4], v[5:6], v[11:12]
	v_div_fixup_f64 v[5:6], v[3:4], v[1:2], 1.0
	s_delay_alu instid0(VALU_DEP_1)
	v_mul_f64 v[7:8], v[7:8], -v[5:6]
	v_xor_b32_e32 v10, 0x80000000, v6
	v_mov_b32_e32 v9, v5
.LBB111_17:
	s_or_b32 exec_lo, exec_lo, s3
	scratch_store_b128 v14, v[5:8], off
	scratch_load_b128 v[1:4], v185, off
	v_xor_b32_e32 v12, 0x80000000, v8
	v_mov_b32_e32 v11, v7
	v_add_nc_u32_e32 v5, 0x300, v13
	ds_store_b128 v13, v[9:12]
	s_waitcnt vmcnt(0)
	ds_store_b128 v13, v[1:4] offset:768
	s_waitcnt lgkmcnt(0)
	s_waitcnt_vscnt null, 0x0
	s_barrier
	buffer_gl0_inv
	s_and_saveexec_b32 s3, s2
	s_cbranch_execz .LBB111_19
; %bb.18:
	scratch_load_b128 v[1:4], v14, off
	ds_load_b128 v[6:9], v5
	v_mov_b32_e32 v10, 0
	ds_load_b128 v[15:18], v10 offset:16
	s_waitcnt vmcnt(0) lgkmcnt(1)
	v_mul_f64 v[10:11], v[6:7], v[3:4]
	v_mul_f64 v[3:4], v[8:9], v[3:4]
	s_delay_alu instid0(VALU_DEP_2) | instskip(NEXT) | instid1(VALU_DEP_2)
	v_fma_f64 v[8:9], v[8:9], v[1:2], v[10:11]
	v_fma_f64 v[1:2], v[6:7], v[1:2], -v[3:4]
	s_delay_alu instid0(VALU_DEP_2) | instskip(NEXT) | instid1(VALU_DEP_2)
	v_add_f64 v[3:4], v[8:9], 0
	v_add_f64 v[1:2], v[1:2], 0
	s_waitcnt lgkmcnt(0)
	s_delay_alu instid0(VALU_DEP_2) | instskip(NEXT) | instid1(VALU_DEP_2)
	v_mul_f64 v[6:7], v[3:4], v[17:18]
	v_mul_f64 v[8:9], v[1:2], v[17:18]
	s_delay_alu instid0(VALU_DEP_2) | instskip(NEXT) | instid1(VALU_DEP_2)
	v_fma_f64 v[1:2], v[1:2], v[15:16], -v[6:7]
	v_fma_f64 v[3:4], v[3:4], v[15:16], v[8:9]
	scratch_store_b128 off, v[1:4], off offset:16
.LBB111_19:
	s_or_b32 exec_lo, exec_lo, s3
	s_waitcnt_vscnt null, 0x0
	s_barrier
	buffer_gl0_inv
	scratch_load_b128 v[1:4], v184, off
	s_mov_b32 s3, exec_lo
	s_waitcnt vmcnt(0)
	ds_store_b128 v5, v[1:4]
	s_waitcnt lgkmcnt(0)
	s_barrier
	buffer_gl0_inv
	v_cmpx_gt_u32_e32 2, v138
	s_cbranch_execz .LBB111_23
; %bb.20:
	scratch_load_b128 v[1:4], v14, off
	ds_load_b128 v[6:9], v5
	s_waitcnt vmcnt(0) lgkmcnt(0)
	v_mul_f64 v[10:11], v[8:9], v[3:4]
	v_mul_f64 v[3:4], v[6:7], v[3:4]
	s_delay_alu instid0(VALU_DEP_2) | instskip(NEXT) | instid1(VALU_DEP_2)
	v_fma_f64 v[6:7], v[6:7], v[1:2], -v[10:11]
	v_fma_f64 v[3:4], v[8:9], v[1:2], v[3:4]
	s_delay_alu instid0(VALU_DEP_2) | instskip(NEXT) | instid1(VALU_DEP_2)
	v_add_f64 v[1:2], v[6:7], 0
	v_add_f64 v[3:4], v[3:4], 0
	s_and_saveexec_b32 s4, s2
	s_cbranch_execz .LBB111_22
; %bb.21:
	scratch_load_b128 v[6:9], off, off offset:16
	v_mov_b32_e32 v10, 0
	ds_load_b128 v[15:18], v10 offset:784
	s_waitcnt vmcnt(0) lgkmcnt(0)
	v_mul_f64 v[10:11], v[15:16], v[8:9]
	v_mul_f64 v[8:9], v[17:18], v[8:9]
	s_delay_alu instid0(VALU_DEP_2) | instskip(NEXT) | instid1(VALU_DEP_2)
	v_fma_f64 v[10:11], v[17:18], v[6:7], v[10:11]
	v_fma_f64 v[6:7], v[15:16], v[6:7], -v[8:9]
	s_delay_alu instid0(VALU_DEP_2) | instskip(NEXT) | instid1(VALU_DEP_2)
	v_add_f64 v[3:4], v[3:4], v[10:11]
	v_add_f64 v[1:2], v[1:2], v[6:7]
.LBB111_22:
	s_or_b32 exec_lo, exec_lo, s4
	v_mov_b32_e32 v6, 0
	ds_load_b128 v[6:9], v6 offset:32
	s_waitcnt lgkmcnt(0)
	v_mul_f64 v[10:11], v[3:4], v[8:9]
	v_mul_f64 v[8:9], v[1:2], v[8:9]
	s_delay_alu instid0(VALU_DEP_2) | instskip(NEXT) | instid1(VALU_DEP_2)
	v_fma_f64 v[1:2], v[1:2], v[6:7], -v[10:11]
	v_fma_f64 v[3:4], v[3:4], v[6:7], v[8:9]
	scratch_store_b128 off, v[1:4], off offset:32
.LBB111_23:
	s_or_b32 exec_lo, exec_lo, s3
	s_waitcnt_vscnt null, 0x0
	s_barrier
	buffer_gl0_inv
	scratch_load_b128 v[1:4], v183, off
	v_add_nc_u32_e32 v6, -1, v138
	s_mov_b32 s2, exec_lo
	s_waitcnt vmcnt(0)
	ds_store_b128 v5, v[1:4]
	s_waitcnt lgkmcnt(0)
	s_barrier
	buffer_gl0_inv
	v_cmpx_gt_u32_e32 3, v138
	s_cbranch_execz .LBB111_27
; %bb.24:
	v_dual_mov_b32 v1, 0 :: v_dual_add_nc_u32 v8, 0x300, v13
	v_dual_mov_b32 v2, 0 :: v_dual_add_nc_u32 v7, -1, v138
	v_or_b32_e32 v9, 8, v14
	s_mov_b32 s3, 0
	s_delay_alu instid0(VALU_DEP_2)
	v_dual_mov_b32 v4, v2 :: v_dual_mov_b32 v3, v1
	.p2align	6
.LBB111_25:                             ; =>This Inner Loop Header: Depth=1
	scratch_load_b128 v[15:18], v9, off offset:-8
	ds_load_b128 v[19:22], v8
	v_add_nc_u32_e32 v7, 1, v7
	v_add_nc_u32_e32 v8, 16, v8
	;; [unrolled: 1-line block ×3, first 2 shown]
	s_delay_alu instid0(VALU_DEP_3) | instskip(SKIP_4) | instid1(VALU_DEP_2)
	v_cmp_lt_u32_e32 vcc_lo, 1, v7
	s_or_b32 s3, vcc_lo, s3
	s_waitcnt vmcnt(0) lgkmcnt(0)
	v_mul_f64 v[10:11], v[21:22], v[17:18]
	v_mul_f64 v[17:18], v[19:20], v[17:18]
	v_fma_f64 v[10:11], v[19:20], v[15:16], -v[10:11]
	s_delay_alu instid0(VALU_DEP_2) | instskip(NEXT) | instid1(VALU_DEP_2)
	v_fma_f64 v[15:16], v[21:22], v[15:16], v[17:18]
	v_add_f64 v[3:4], v[3:4], v[10:11]
	s_delay_alu instid0(VALU_DEP_2)
	v_add_f64 v[1:2], v[1:2], v[15:16]
	s_and_not1_b32 exec_lo, exec_lo, s3
	s_cbranch_execnz .LBB111_25
; %bb.26:
	s_or_b32 exec_lo, exec_lo, s3
	v_mov_b32_e32 v7, 0
	ds_load_b128 v[7:10], v7 offset:48
	s_waitcnt lgkmcnt(0)
	v_mul_f64 v[11:12], v[1:2], v[9:10]
	v_mul_f64 v[15:16], v[3:4], v[9:10]
	s_delay_alu instid0(VALU_DEP_2) | instskip(NEXT) | instid1(VALU_DEP_2)
	v_fma_f64 v[9:10], v[3:4], v[7:8], -v[11:12]
	v_fma_f64 v[11:12], v[1:2], v[7:8], v[15:16]
	scratch_store_b128 off, v[9:12], off offset:48
.LBB111_27:
	s_or_b32 exec_lo, exec_lo, s2
	s_waitcnt_vscnt null, 0x0
	s_barrier
	buffer_gl0_inv
	scratch_load_b128 v[1:4], v182, off
	s_mov_b32 s2, exec_lo
	s_waitcnt vmcnt(0)
	ds_store_b128 v5, v[1:4]
	s_waitcnt lgkmcnt(0)
	s_barrier
	buffer_gl0_inv
	v_cmpx_gt_u32_e32 4, v138
	s_cbranch_execz .LBB111_31
; %bb.28:
	v_dual_mov_b32 v1, 0 :: v_dual_add_nc_u32 v8, 0x300, v13
	v_dual_mov_b32 v2, 0 :: v_dual_add_nc_u32 v7, -1, v138
	v_or_b32_e32 v9, 8, v14
	s_mov_b32 s3, 0
	s_delay_alu instid0(VALU_DEP_2)
	v_dual_mov_b32 v4, v2 :: v_dual_mov_b32 v3, v1
	.p2align	6
.LBB111_29:                             ; =>This Inner Loop Header: Depth=1
	scratch_load_b128 v[15:18], v9, off offset:-8
	ds_load_b128 v[19:22], v8
	v_add_nc_u32_e32 v7, 1, v7
	v_add_nc_u32_e32 v8, 16, v8
	;; [unrolled: 1-line block ×3, first 2 shown]
	s_delay_alu instid0(VALU_DEP_3) | instskip(SKIP_4) | instid1(VALU_DEP_2)
	v_cmp_lt_u32_e32 vcc_lo, 2, v7
	s_or_b32 s3, vcc_lo, s3
	s_waitcnt vmcnt(0) lgkmcnt(0)
	v_mul_f64 v[10:11], v[21:22], v[17:18]
	v_mul_f64 v[17:18], v[19:20], v[17:18]
	v_fma_f64 v[10:11], v[19:20], v[15:16], -v[10:11]
	s_delay_alu instid0(VALU_DEP_2) | instskip(NEXT) | instid1(VALU_DEP_2)
	v_fma_f64 v[15:16], v[21:22], v[15:16], v[17:18]
	v_add_f64 v[3:4], v[3:4], v[10:11]
	s_delay_alu instid0(VALU_DEP_2)
	v_add_f64 v[1:2], v[1:2], v[15:16]
	s_and_not1_b32 exec_lo, exec_lo, s3
	s_cbranch_execnz .LBB111_29
; %bb.30:
	s_or_b32 exec_lo, exec_lo, s3
	v_mov_b32_e32 v7, 0
	ds_load_b128 v[7:10], v7 offset:64
	s_waitcnt lgkmcnt(0)
	v_mul_f64 v[11:12], v[1:2], v[9:10]
	v_mul_f64 v[15:16], v[3:4], v[9:10]
	s_delay_alu instid0(VALU_DEP_2) | instskip(NEXT) | instid1(VALU_DEP_2)
	v_fma_f64 v[9:10], v[3:4], v[7:8], -v[11:12]
	v_fma_f64 v[11:12], v[1:2], v[7:8], v[15:16]
	scratch_store_b128 off, v[9:12], off offset:64
.LBB111_31:
	s_or_b32 exec_lo, exec_lo, s2
	s_waitcnt_vscnt null, 0x0
	s_barrier
	buffer_gl0_inv
	scratch_load_b128 v[1:4], v181, off
	s_mov_b32 s2, exec_lo
	s_waitcnt vmcnt(0)
	ds_store_b128 v5, v[1:4]
	s_waitcnt lgkmcnt(0)
	s_barrier
	buffer_gl0_inv
	v_cmpx_gt_u32_e32 5, v138
	s_cbranch_execz .LBB111_35
; %bb.32:
	v_dual_mov_b32 v1, 0 :: v_dual_add_nc_u32 v8, 0x300, v13
	v_dual_mov_b32 v2, 0 :: v_dual_add_nc_u32 v7, -1, v138
	v_or_b32_e32 v9, 8, v14
	s_mov_b32 s3, 0
	s_delay_alu instid0(VALU_DEP_2)
	v_dual_mov_b32 v4, v2 :: v_dual_mov_b32 v3, v1
	.p2align	6
.LBB111_33:                             ; =>This Inner Loop Header: Depth=1
	scratch_load_b128 v[15:18], v9, off offset:-8
	ds_load_b128 v[19:22], v8
	v_add_nc_u32_e32 v7, 1, v7
	v_add_nc_u32_e32 v8, 16, v8
	;; [unrolled: 1-line block ×3, first 2 shown]
	s_delay_alu instid0(VALU_DEP_3) | instskip(SKIP_4) | instid1(VALU_DEP_2)
	v_cmp_lt_u32_e32 vcc_lo, 3, v7
	s_or_b32 s3, vcc_lo, s3
	s_waitcnt vmcnt(0) lgkmcnt(0)
	v_mul_f64 v[10:11], v[21:22], v[17:18]
	v_mul_f64 v[17:18], v[19:20], v[17:18]
	v_fma_f64 v[10:11], v[19:20], v[15:16], -v[10:11]
	s_delay_alu instid0(VALU_DEP_2) | instskip(NEXT) | instid1(VALU_DEP_2)
	v_fma_f64 v[15:16], v[21:22], v[15:16], v[17:18]
	v_add_f64 v[3:4], v[3:4], v[10:11]
	s_delay_alu instid0(VALU_DEP_2)
	v_add_f64 v[1:2], v[1:2], v[15:16]
	s_and_not1_b32 exec_lo, exec_lo, s3
	s_cbranch_execnz .LBB111_33
; %bb.34:
	s_or_b32 exec_lo, exec_lo, s3
	v_mov_b32_e32 v7, 0
	ds_load_b128 v[7:10], v7 offset:80
	s_waitcnt lgkmcnt(0)
	v_mul_f64 v[11:12], v[1:2], v[9:10]
	v_mul_f64 v[15:16], v[3:4], v[9:10]
	s_delay_alu instid0(VALU_DEP_2) | instskip(NEXT) | instid1(VALU_DEP_2)
	v_fma_f64 v[9:10], v[3:4], v[7:8], -v[11:12]
	v_fma_f64 v[11:12], v[1:2], v[7:8], v[15:16]
	scratch_store_b128 off, v[9:12], off offset:80
.LBB111_35:
	s_or_b32 exec_lo, exec_lo, s2
	s_waitcnt_vscnt null, 0x0
	s_barrier
	buffer_gl0_inv
	scratch_load_b128 v[1:4], v180, off
	s_mov_b32 s2, exec_lo
	s_waitcnt vmcnt(0)
	ds_store_b128 v5, v[1:4]
	s_waitcnt lgkmcnt(0)
	s_barrier
	buffer_gl0_inv
	v_cmpx_gt_u32_e32 6, v138
	s_cbranch_execz .LBB111_39
; %bb.36:
	v_dual_mov_b32 v1, 0 :: v_dual_add_nc_u32 v8, 0x300, v13
	v_dual_mov_b32 v2, 0 :: v_dual_add_nc_u32 v7, -1, v138
	v_or_b32_e32 v9, 8, v14
	s_mov_b32 s3, 0
	s_delay_alu instid0(VALU_DEP_2)
	v_dual_mov_b32 v4, v2 :: v_dual_mov_b32 v3, v1
	.p2align	6
.LBB111_37:                             ; =>This Inner Loop Header: Depth=1
	scratch_load_b128 v[15:18], v9, off offset:-8
	ds_load_b128 v[19:22], v8
	v_add_nc_u32_e32 v7, 1, v7
	v_add_nc_u32_e32 v8, 16, v8
	;; [unrolled: 1-line block ×3, first 2 shown]
	s_delay_alu instid0(VALU_DEP_3) | instskip(SKIP_4) | instid1(VALU_DEP_2)
	v_cmp_lt_u32_e32 vcc_lo, 4, v7
	s_or_b32 s3, vcc_lo, s3
	s_waitcnt vmcnt(0) lgkmcnt(0)
	v_mul_f64 v[10:11], v[21:22], v[17:18]
	v_mul_f64 v[17:18], v[19:20], v[17:18]
	v_fma_f64 v[10:11], v[19:20], v[15:16], -v[10:11]
	s_delay_alu instid0(VALU_DEP_2) | instskip(NEXT) | instid1(VALU_DEP_2)
	v_fma_f64 v[15:16], v[21:22], v[15:16], v[17:18]
	v_add_f64 v[3:4], v[3:4], v[10:11]
	s_delay_alu instid0(VALU_DEP_2)
	v_add_f64 v[1:2], v[1:2], v[15:16]
	s_and_not1_b32 exec_lo, exec_lo, s3
	s_cbranch_execnz .LBB111_37
; %bb.38:
	s_or_b32 exec_lo, exec_lo, s3
	v_mov_b32_e32 v7, 0
	ds_load_b128 v[7:10], v7 offset:96
	s_waitcnt lgkmcnt(0)
	v_mul_f64 v[11:12], v[1:2], v[9:10]
	v_mul_f64 v[15:16], v[3:4], v[9:10]
	s_delay_alu instid0(VALU_DEP_2) | instskip(NEXT) | instid1(VALU_DEP_2)
	v_fma_f64 v[9:10], v[3:4], v[7:8], -v[11:12]
	v_fma_f64 v[11:12], v[1:2], v[7:8], v[15:16]
	scratch_store_b128 off, v[9:12], off offset:96
.LBB111_39:
	s_or_b32 exec_lo, exec_lo, s2
	s_waitcnt_vscnt null, 0x0
	s_barrier
	buffer_gl0_inv
	scratch_load_b128 v[1:4], v179, off
	s_mov_b32 s2, exec_lo
	s_waitcnt vmcnt(0)
	ds_store_b128 v5, v[1:4]
	s_waitcnt lgkmcnt(0)
	s_barrier
	buffer_gl0_inv
	v_cmpx_gt_u32_e32 7, v138
	s_cbranch_execz .LBB111_43
; %bb.40:
	v_dual_mov_b32 v1, 0 :: v_dual_add_nc_u32 v8, 0x300, v13
	v_dual_mov_b32 v2, 0 :: v_dual_add_nc_u32 v7, -1, v138
	v_or_b32_e32 v9, 8, v14
	s_mov_b32 s3, 0
	s_delay_alu instid0(VALU_DEP_2)
	v_dual_mov_b32 v4, v2 :: v_dual_mov_b32 v3, v1
	.p2align	6
.LBB111_41:                             ; =>This Inner Loop Header: Depth=1
	scratch_load_b128 v[15:18], v9, off offset:-8
	ds_load_b128 v[19:22], v8
	v_add_nc_u32_e32 v7, 1, v7
	v_add_nc_u32_e32 v8, 16, v8
	;; [unrolled: 1-line block ×3, first 2 shown]
	s_delay_alu instid0(VALU_DEP_3) | instskip(SKIP_4) | instid1(VALU_DEP_2)
	v_cmp_lt_u32_e32 vcc_lo, 5, v7
	s_or_b32 s3, vcc_lo, s3
	s_waitcnt vmcnt(0) lgkmcnt(0)
	v_mul_f64 v[10:11], v[21:22], v[17:18]
	v_mul_f64 v[17:18], v[19:20], v[17:18]
	v_fma_f64 v[10:11], v[19:20], v[15:16], -v[10:11]
	s_delay_alu instid0(VALU_DEP_2) | instskip(NEXT) | instid1(VALU_DEP_2)
	v_fma_f64 v[15:16], v[21:22], v[15:16], v[17:18]
	v_add_f64 v[3:4], v[3:4], v[10:11]
	s_delay_alu instid0(VALU_DEP_2)
	v_add_f64 v[1:2], v[1:2], v[15:16]
	s_and_not1_b32 exec_lo, exec_lo, s3
	s_cbranch_execnz .LBB111_41
; %bb.42:
	s_or_b32 exec_lo, exec_lo, s3
	v_mov_b32_e32 v7, 0
	ds_load_b128 v[7:10], v7 offset:112
	s_waitcnt lgkmcnt(0)
	v_mul_f64 v[11:12], v[1:2], v[9:10]
	v_mul_f64 v[15:16], v[3:4], v[9:10]
	s_delay_alu instid0(VALU_DEP_2) | instskip(NEXT) | instid1(VALU_DEP_2)
	v_fma_f64 v[9:10], v[3:4], v[7:8], -v[11:12]
	v_fma_f64 v[11:12], v[1:2], v[7:8], v[15:16]
	scratch_store_b128 off, v[9:12], off offset:112
.LBB111_43:
	s_or_b32 exec_lo, exec_lo, s2
	s_waitcnt_vscnt null, 0x0
	s_barrier
	buffer_gl0_inv
	scratch_load_b128 v[1:4], v178, off
	s_mov_b32 s2, exec_lo
	s_waitcnt vmcnt(0)
	ds_store_b128 v5, v[1:4]
	s_waitcnt lgkmcnt(0)
	s_barrier
	buffer_gl0_inv
	v_cmpx_gt_u32_e32 8, v138
	s_cbranch_execz .LBB111_47
; %bb.44:
	v_dual_mov_b32 v1, 0 :: v_dual_add_nc_u32 v8, 0x300, v13
	v_dual_mov_b32 v2, 0 :: v_dual_add_nc_u32 v7, -1, v138
	v_or_b32_e32 v9, 8, v14
	s_mov_b32 s3, 0
	s_delay_alu instid0(VALU_DEP_2)
	v_dual_mov_b32 v4, v2 :: v_dual_mov_b32 v3, v1
	.p2align	6
.LBB111_45:                             ; =>This Inner Loop Header: Depth=1
	scratch_load_b128 v[15:18], v9, off offset:-8
	ds_load_b128 v[19:22], v8
	v_add_nc_u32_e32 v7, 1, v7
	v_add_nc_u32_e32 v8, 16, v8
	;; [unrolled: 1-line block ×3, first 2 shown]
	s_delay_alu instid0(VALU_DEP_3) | instskip(SKIP_4) | instid1(VALU_DEP_2)
	v_cmp_lt_u32_e32 vcc_lo, 6, v7
	s_or_b32 s3, vcc_lo, s3
	s_waitcnt vmcnt(0) lgkmcnt(0)
	v_mul_f64 v[10:11], v[21:22], v[17:18]
	v_mul_f64 v[17:18], v[19:20], v[17:18]
	v_fma_f64 v[10:11], v[19:20], v[15:16], -v[10:11]
	s_delay_alu instid0(VALU_DEP_2) | instskip(NEXT) | instid1(VALU_DEP_2)
	v_fma_f64 v[15:16], v[21:22], v[15:16], v[17:18]
	v_add_f64 v[3:4], v[3:4], v[10:11]
	s_delay_alu instid0(VALU_DEP_2)
	v_add_f64 v[1:2], v[1:2], v[15:16]
	s_and_not1_b32 exec_lo, exec_lo, s3
	s_cbranch_execnz .LBB111_45
; %bb.46:
	s_or_b32 exec_lo, exec_lo, s3
	v_mov_b32_e32 v7, 0
	ds_load_b128 v[7:10], v7 offset:128
	s_waitcnt lgkmcnt(0)
	v_mul_f64 v[11:12], v[1:2], v[9:10]
	v_mul_f64 v[15:16], v[3:4], v[9:10]
	s_delay_alu instid0(VALU_DEP_2) | instskip(NEXT) | instid1(VALU_DEP_2)
	v_fma_f64 v[9:10], v[3:4], v[7:8], -v[11:12]
	v_fma_f64 v[11:12], v[1:2], v[7:8], v[15:16]
	scratch_store_b128 off, v[9:12], off offset:128
.LBB111_47:
	s_or_b32 exec_lo, exec_lo, s2
	s_waitcnt_vscnt null, 0x0
	s_barrier
	buffer_gl0_inv
	scratch_load_b128 v[1:4], v177, off
	s_mov_b32 s2, exec_lo
	s_waitcnt vmcnt(0)
	ds_store_b128 v5, v[1:4]
	s_waitcnt lgkmcnt(0)
	s_barrier
	buffer_gl0_inv
	v_cmpx_gt_u32_e32 9, v138
	s_cbranch_execz .LBB111_51
; %bb.48:
	v_dual_mov_b32 v1, 0 :: v_dual_add_nc_u32 v8, 0x300, v13
	v_dual_mov_b32 v2, 0 :: v_dual_add_nc_u32 v7, -1, v138
	v_or_b32_e32 v9, 8, v14
	s_mov_b32 s3, 0
	s_delay_alu instid0(VALU_DEP_2)
	v_dual_mov_b32 v4, v2 :: v_dual_mov_b32 v3, v1
	.p2align	6
.LBB111_49:                             ; =>This Inner Loop Header: Depth=1
	scratch_load_b128 v[15:18], v9, off offset:-8
	ds_load_b128 v[19:22], v8
	v_add_nc_u32_e32 v7, 1, v7
	v_add_nc_u32_e32 v8, 16, v8
	;; [unrolled: 1-line block ×3, first 2 shown]
	s_delay_alu instid0(VALU_DEP_3) | instskip(SKIP_4) | instid1(VALU_DEP_2)
	v_cmp_lt_u32_e32 vcc_lo, 7, v7
	s_or_b32 s3, vcc_lo, s3
	s_waitcnt vmcnt(0) lgkmcnt(0)
	v_mul_f64 v[10:11], v[21:22], v[17:18]
	v_mul_f64 v[17:18], v[19:20], v[17:18]
	v_fma_f64 v[10:11], v[19:20], v[15:16], -v[10:11]
	s_delay_alu instid0(VALU_DEP_2) | instskip(NEXT) | instid1(VALU_DEP_2)
	v_fma_f64 v[15:16], v[21:22], v[15:16], v[17:18]
	v_add_f64 v[3:4], v[3:4], v[10:11]
	s_delay_alu instid0(VALU_DEP_2)
	v_add_f64 v[1:2], v[1:2], v[15:16]
	s_and_not1_b32 exec_lo, exec_lo, s3
	s_cbranch_execnz .LBB111_49
; %bb.50:
	s_or_b32 exec_lo, exec_lo, s3
	v_mov_b32_e32 v7, 0
	ds_load_b128 v[7:10], v7 offset:144
	s_waitcnt lgkmcnt(0)
	v_mul_f64 v[11:12], v[1:2], v[9:10]
	v_mul_f64 v[15:16], v[3:4], v[9:10]
	s_delay_alu instid0(VALU_DEP_2) | instskip(NEXT) | instid1(VALU_DEP_2)
	v_fma_f64 v[9:10], v[3:4], v[7:8], -v[11:12]
	v_fma_f64 v[11:12], v[1:2], v[7:8], v[15:16]
	scratch_store_b128 off, v[9:12], off offset:144
.LBB111_51:
	s_or_b32 exec_lo, exec_lo, s2
	s_waitcnt_vscnt null, 0x0
	s_barrier
	buffer_gl0_inv
	scratch_load_b128 v[1:4], v176, off
	s_mov_b32 s2, exec_lo
	s_waitcnt vmcnt(0)
	ds_store_b128 v5, v[1:4]
	s_waitcnt lgkmcnt(0)
	s_barrier
	buffer_gl0_inv
	v_cmpx_gt_u32_e32 10, v138
	s_cbranch_execz .LBB111_55
; %bb.52:
	v_dual_mov_b32 v1, 0 :: v_dual_add_nc_u32 v8, 0x300, v13
	v_dual_mov_b32 v2, 0 :: v_dual_add_nc_u32 v7, -1, v138
	v_or_b32_e32 v9, 8, v14
	s_mov_b32 s3, 0
	s_delay_alu instid0(VALU_DEP_2)
	v_dual_mov_b32 v4, v2 :: v_dual_mov_b32 v3, v1
	.p2align	6
.LBB111_53:                             ; =>This Inner Loop Header: Depth=1
	scratch_load_b128 v[15:18], v9, off offset:-8
	ds_load_b128 v[19:22], v8
	v_add_nc_u32_e32 v7, 1, v7
	v_add_nc_u32_e32 v8, 16, v8
	;; [unrolled: 1-line block ×3, first 2 shown]
	s_delay_alu instid0(VALU_DEP_3) | instskip(SKIP_4) | instid1(VALU_DEP_2)
	v_cmp_lt_u32_e32 vcc_lo, 8, v7
	s_or_b32 s3, vcc_lo, s3
	s_waitcnt vmcnt(0) lgkmcnt(0)
	v_mul_f64 v[10:11], v[21:22], v[17:18]
	v_mul_f64 v[17:18], v[19:20], v[17:18]
	v_fma_f64 v[10:11], v[19:20], v[15:16], -v[10:11]
	s_delay_alu instid0(VALU_DEP_2) | instskip(NEXT) | instid1(VALU_DEP_2)
	v_fma_f64 v[15:16], v[21:22], v[15:16], v[17:18]
	v_add_f64 v[3:4], v[3:4], v[10:11]
	s_delay_alu instid0(VALU_DEP_2)
	v_add_f64 v[1:2], v[1:2], v[15:16]
	s_and_not1_b32 exec_lo, exec_lo, s3
	s_cbranch_execnz .LBB111_53
; %bb.54:
	s_or_b32 exec_lo, exec_lo, s3
	v_mov_b32_e32 v7, 0
	ds_load_b128 v[7:10], v7 offset:160
	s_waitcnt lgkmcnt(0)
	v_mul_f64 v[11:12], v[1:2], v[9:10]
	v_mul_f64 v[15:16], v[3:4], v[9:10]
	s_delay_alu instid0(VALU_DEP_2) | instskip(NEXT) | instid1(VALU_DEP_2)
	v_fma_f64 v[9:10], v[3:4], v[7:8], -v[11:12]
	v_fma_f64 v[11:12], v[1:2], v[7:8], v[15:16]
	scratch_store_b128 off, v[9:12], off offset:160
.LBB111_55:
	s_or_b32 exec_lo, exec_lo, s2
	s_waitcnt_vscnt null, 0x0
	s_barrier
	buffer_gl0_inv
	scratch_load_b128 v[1:4], v175, off
	s_mov_b32 s2, exec_lo
	s_waitcnt vmcnt(0)
	ds_store_b128 v5, v[1:4]
	s_waitcnt lgkmcnt(0)
	s_barrier
	buffer_gl0_inv
	v_cmpx_gt_u32_e32 11, v138
	s_cbranch_execz .LBB111_59
; %bb.56:
	v_dual_mov_b32 v1, 0 :: v_dual_add_nc_u32 v8, 0x300, v13
	v_dual_mov_b32 v2, 0 :: v_dual_add_nc_u32 v7, -1, v138
	v_or_b32_e32 v9, 8, v14
	s_mov_b32 s3, 0
	s_delay_alu instid0(VALU_DEP_2)
	v_dual_mov_b32 v4, v2 :: v_dual_mov_b32 v3, v1
	.p2align	6
.LBB111_57:                             ; =>This Inner Loop Header: Depth=1
	scratch_load_b128 v[15:18], v9, off offset:-8
	ds_load_b128 v[19:22], v8
	v_add_nc_u32_e32 v7, 1, v7
	v_add_nc_u32_e32 v8, 16, v8
	;; [unrolled: 1-line block ×3, first 2 shown]
	s_delay_alu instid0(VALU_DEP_3) | instskip(SKIP_4) | instid1(VALU_DEP_2)
	v_cmp_lt_u32_e32 vcc_lo, 9, v7
	s_or_b32 s3, vcc_lo, s3
	s_waitcnt vmcnt(0) lgkmcnt(0)
	v_mul_f64 v[10:11], v[21:22], v[17:18]
	v_mul_f64 v[17:18], v[19:20], v[17:18]
	v_fma_f64 v[10:11], v[19:20], v[15:16], -v[10:11]
	s_delay_alu instid0(VALU_DEP_2) | instskip(NEXT) | instid1(VALU_DEP_2)
	v_fma_f64 v[15:16], v[21:22], v[15:16], v[17:18]
	v_add_f64 v[3:4], v[3:4], v[10:11]
	s_delay_alu instid0(VALU_DEP_2)
	v_add_f64 v[1:2], v[1:2], v[15:16]
	s_and_not1_b32 exec_lo, exec_lo, s3
	s_cbranch_execnz .LBB111_57
; %bb.58:
	s_or_b32 exec_lo, exec_lo, s3
	v_mov_b32_e32 v7, 0
	ds_load_b128 v[7:10], v7 offset:176
	s_waitcnt lgkmcnt(0)
	v_mul_f64 v[11:12], v[1:2], v[9:10]
	v_mul_f64 v[15:16], v[3:4], v[9:10]
	s_delay_alu instid0(VALU_DEP_2) | instskip(NEXT) | instid1(VALU_DEP_2)
	v_fma_f64 v[9:10], v[3:4], v[7:8], -v[11:12]
	v_fma_f64 v[11:12], v[1:2], v[7:8], v[15:16]
	scratch_store_b128 off, v[9:12], off offset:176
.LBB111_59:
	s_or_b32 exec_lo, exec_lo, s2
	s_waitcnt_vscnt null, 0x0
	s_barrier
	buffer_gl0_inv
	scratch_load_b128 v[1:4], v174, off
	s_mov_b32 s2, exec_lo
	s_waitcnt vmcnt(0)
	ds_store_b128 v5, v[1:4]
	s_waitcnt lgkmcnt(0)
	s_barrier
	buffer_gl0_inv
	v_cmpx_gt_u32_e32 12, v138
	s_cbranch_execz .LBB111_63
; %bb.60:
	v_dual_mov_b32 v1, 0 :: v_dual_add_nc_u32 v8, 0x300, v13
	v_dual_mov_b32 v2, 0 :: v_dual_add_nc_u32 v7, -1, v138
	v_or_b32_e32 v9, 8, v14
	s_mov_b32 s3, 0
	s_delay_alu instid0(VALU_DEP_2)
	v_dual_mov_b32 v4, v2 :: v_dual_mov_b32 v3, v1
	.p2align	6
.LBB111_61:                             ; =>This Inner Loop Header: Depth=1
	scratch_load_b128 v[15:18], v9, off offset:-8
	ds_load_b128 v[19:22], v8
	v_add_nc_u32_e32 v7, 1, v7
	v_add_nc_u32_e32 v8, 16, v8
	;; [unrolled: 1-line block ×3, first 2 shown]
	s_delay_alu instid0(VALU_DEP_3) | instskip(SKIP_4) | instid1(VALU_DEP_2)
	v_cmp_lt_u32_e32 vcc_lo, 10, v7
	s_or_b32 s3, vcc_lo, s3
	s_waitcnt vmcnt(0) lgkmcnt(0)
	v_mul_f64 v[10:11], v[21:22], v[17:18]
	v_mul_f64 v[17:18], v[19:20], v[17:18]
	v_fma_f64 v[10:11], v[19:20], v[15:16], -v[10:11]
	s_delay_alu instid0(VALU_DEP_2) | instskip(NEXT) | instid1(VALU_DEP_2)
	v_fma_f64 v[15:16], v[21:22], v[15:16], v[17:18]
	v_add_f64 v[3:4], v[3:4], v[10:11]
	s_delay_alu instid0(VALU_DEP_2)
	v_add_f64 v[1:2], v[1:2], v[15:16]
	s_and_not1_b32 exec_lo, exec_lo, s3
	s_cbranch_execnz .LBB111_61
; %bb.62:
	s_or_b32 exec_lo, exec_lo, s3
	v_mov_b32_e32 v7, 0
	ds_load_b128 v[7:10], v7 offset:192
	s_waitcnt lgkmcnt(0)
	v_mul_f64 v[11:12], v[1:2], v[9:10]
	v_mul_f64 v[15:16], v[3:4], v[9:10]
	s_delay_alu instid0(VALU_DEP_2) | instskip(NEXT) | instid1(VALU_DEP_2)
	v_fma_f64 v[9:10], v[3:4], v[7:8], -v[11:12]
	v_fma_f64 v[11:12], v[1:2], v[7:8], v[15:16]
	scratch_store_b128 off, v[9:12], off offset:192
.LBB111_63:
	s_or_b32 exec_lo, exec_lo, s2
	s_waitcnt_vscnt null, 0x0
	s_barrier
	buffer_gl0_inv
	scratch_load_b128 v[1:4], v173, off
	s_mov_b32 s2, exec_lo
	s_waitcnt vmcnt(0)
	ds_store_b128 v5, v[1:4]
	s_waitcnt lgkmcnt(0)
	s_barrier
	buffer_gl0_inv
	v_cmpx_gt_u32_e32 13, v138
	s_cbranch_execz .LBB111_67
; %bb.64:
	v_dual_mov_b32 v1, 0 :: v_dual_add_nc_u32 v8, 0x300, v13
	v_dual_mov_b32 v2, 0 :: v_dual_add_nc_u32 v7, -1, v138
	v_or_b32_e32 v9, 8, v14
	s_mov_b32 s3, 0
	s_delay_alu instid0(VALU_DEP_2)
	v_dual_mov_b32 v4, v2 :: v_dual_mov_b32 v3, v1
	.p2align	6
.LBB111_65:                             ; =>This Inner Loop Header: Depth=1
	scratch_load_b128 v[15:18], v9, off offset:-8
	ds_load_b128 v[19:22], v8
	v_add_nc_u32_e32 v7, 1, v7
	v_add_nc_u32_e32 v8, 16, v8
	;; [unrolled: 1-line block ×3, first 2 shown]
	s_delay_alu instid0(VALU_DEP_3) | instskip(SKIP_4) | instid1(VALU_DEP_2)
	v_cmp_lt_u32_e32 vcc_lo, 11, v7
	s_or_b32 s3, vcc_lo, s3
	s_waitcnt vmcnt(0) lgkmcnt(0)
	v_mul_f64 v[10:11], v[21:22], v[17:18]
	v_mul_f64 v[17:18], v[19:20], v[17:18]
	v_fma_f64 v[10:11], v[19:20], v[15:16], -v[10:11]
	s_delay_alu instid0(VALU_DEP_2) | instskip(NEXT) | instid1(VALU_DEP_2)
	v_fma_f64 v[15:16], v[21:22], v[15:16], v[17:18]
	v_add_f64 v[3:4], v[3:4], v[10:11]
	s_delay_alu instid0(VALU_DEP_2)
	v_add_f64 v[1:2], v[1:2], v[15:16]
	s_and_not1_b32 exec_lo, exec_lo, s3
	s_cbranch_execnz .LBB111_65
; %bb.66:
	s_or_b32 exec_lo, exec_lo, s3
	v_mov_b32_e32 v7, 0
	ds_load_b128 v[7:10], v7 offset:208
	s_waitcnt lgkmcnt(0)
	v_mul_f64 v[11:12], v[1:2], v[9:10]
	v_mul_f64 v[15:16], v[3:4], v[9:10]
	s_delay_alu instid0(VALU_DEP_2) | instskip(NEXT) | instid1(VALU_DEP_2)
	v_fma_f64 v[9:10], v[3:4], v[7:8], -v[11:12]
	v_fma_f64 v[11:12], v[1:2], v[7:8], v[15:16]
	scratch_store_b128 off, v[9:12], off offset:208
.LBB111_67:
	s_or_b32 exec_lo, exec_lo, s2
	s_waitcnt_vscnt null, 0x0
	s_barrier
	buffer_gl0_inv
	scratch_load_b128 v[1:4], v172, off
	s_mov_b32 s2, exec_lo
	s_waitcnt vmcnt(0)
	ds_store_b128 v5, v[1:4]
	s_waitcnt lgkmcnt(0)
	s_barrier
	buffer_gl0_inv
	v_cmpx_gt_u32_e32 14, v138
	s_cbranch_execz .LBB111_71
; %bb.68:
	v_dual_mov_b32 v1, 0 :: v_dual_add_nc_u32 v8, 0x300, v13
	v_dual_mov_b32 v2, 0 :: v_dual_add_nc_u32 v7, -1, v138
	v_or_b32_e32 v9, 8, v14
	s_mov_b32 s3, 0
	s_delay_alu instid0(VALU_DEP_2)
	v_dual_mov_b32 v4, v2 :: v_dual_mov_b32 v3, v1
	.p2align	6
.LBB111_69:                             ; =>This Inner Loop Header: Depth=1
	scratch_load_b128 v[15:18], v9, off offset:-8
	ds_load_b128 v[19:22], v8
	v_add_nc_u32_e32 v7, 1, v7
	v_add_nc_u32_e32 v8, 16, v8
	v_add_nc_u32_e32 v9, 16, v9
	s_delay_alu instid0(VALU_DEP_3) | instskip(SKIP_4) | instid1(VALU_DEP_2)
	v_cmp_lt_u32_e32 vcc_lo, 12, v7
	s_or_b32 s3, vcc_lo, s3
	s_waitcnt vmcnt(0) lgkmcnt(0)
	v_mul_f64 v[10:11], v[21:22], v[17:18]
	v_mul_f64 v[17:18], v[19:20], v[17:18]
	v_fma_f64 v[10:11], v[19:20], v[15:16], -v[10:11]
	s_delay_alu instid0(VALU_DEP_2) | instskip(NEXT) | instid1(VALU_DEP_2)
	v_fma_f64 v[15:16], v[21:22], v[15:16], v[17:18]
	v_add_f64 v[3:4], v[3:4], v[10:11]
	s_delay_alu instid0(VALU_DEP_2)
	v_add_f64 v[1:2], v[1:2], v[15:16]
	s_and_not1_b32 exec_lo, exec_lo, s3
	s_cbranch_execnz .LBB111_69
; %bb.70:
	s_or_b32 exec_lo, exec_lo, s3
	v_mov_b32_e32 v7, 0
	ds_load_b128 v[7:10], v7 offset:224
	s_waitcnt lgkmcnt(0)
	v_mul_f64 v[11:12], v[1:2], v[9:10]
	v_mul_f64 v[15:16], v[3:4], v[9:10]
	s_delay_alu instid0(VALU_DEP_2) | instskip(NEXT) | instid1(VALU_DEP_2)
	v_fma_f64 v[9:10], v[3:4], v[7:8], -v[11:12]
	v_fma_f64 v[11:12], v[1:2], v[7:8], v[15:16]
	scratch_store_b128 off, v[9:12], off offset:224
.LBB111_71:
	s_or_b32 exec_lo, exec_lo, s2
	s_waitcnt_vscnt null, 0x0
	s_barrier
	buffer_gl0_inv
	scratch_load_b128 v[1:4], v171, off
	s_mov_b32 s2, exec_lo
	s_waitcnt vmcnt(0)
	ds_store_b128 v5, v[1:4]
	s_waitcnt lgkmcnt(0)
	s_barrier
	buffer_gl0_inv
	v_cmpx_gt_u32_e32 15, v138
	s_cbranch_execz .LBB111_75
; %bb.72:
	v_dual_mov_b32 v1, 0 :: v_dual_add_nc_u32 v8, 0x300, v13
	v_dual_mov_b32 v2, 0 :: v_dual_add_nc_u32 v7, -1, v138
	v_or_b32_e32 v9, 8, v14
	s_mov_b32 s3, 0
	s_delay_alu instid0(VALU_DEP_2)
	v_dual_mov_b32 v4, v2 :: v_dual_mov_b32 v3, v1
	.p2align	6
.LBB111_73:                             ; =>This Inner Loop Header: Depth=1
	scratch_load_b128 v[15:18], v9, off offset:-8
	ds_load_b128 v[19:22], v8
	v_add_nc_u32_e32 v7, 1, v7
	v_add_nc_u32_e32 v8, 16, v8
	;; [unrolled: 1-line block ×3, first 2 shown]
	s_delay_alu instid0(VALU_DEP_3) | instskip(SKIP_4) | instid1(VALU_DEP_2)
	v_cmp_lt_u32_e32 vcc_lo, 13, v7
	s_or_b32 s3, vcc_lo, s3
	s_waitcnt vmcnt(0) lgkmcnt(0)
	v_mul_f64 v[10:11], v[21:22], v[17:18]
	v_mul_f64 v[17:18], v[19:20], v[17:18]
	v_fma_f64 v[10:11], v[19:20], v[15:16], -v[10:11]
	s_delay_alu instid0(VALU_DEP_2) | instskip(NEXT) | instid1(VALU_DEP_2)
	v_fma_f64 v[15:16], v[21:22], v[15:16], v[17:18]
	v_add_f64 v[3:4], v[3:4], v[10:11]
	s_delay_alu instid0(VALU_DEP_2)
	v_add_f64 v[1:2], v[1:2], v[15:16]
	s_and_not1_b32 exec_lo, exec_lo, s3
	s_cbranch_execnz .LBB111_73
; %bb.74:
	s_or_b32 exec_lo, exec_lo, s3
	v_mov_b32_e32 v7, 0
	ds_load_b128 v[7:10], v7 offset:240
	s_waitcnt lgkmcnt(0)
	v_mul_f64 v[11:12], v[1:2], v[9:10]
	v_mul_f64 v[15:16], v[3:4], v[9:10]
	s_delay_alu instid0(VALU_DEP_2) | instskip(NEXT) | instid1(VALU_DEP_2)
	v_fma_f64 v[9:10], v[3:4], v[7:8], -v[11:12]
	v_fma_f64 v[11:12], v[1:2], v[7:8], v[15:16]
	scratch_store_b128 off, v[9:12], off offset:240
.LBB111_75:
	s_or_b32 exec_lo, exec_lo, s2
	s_waitcnt_vscnt null, 0x0
	s_barrier
	buffer_gl0_inv
	scratch_load_b128 v[1:4], v170, off
	s_mov_b32 s2, exec_lo
	s_waitcnt vmcnt(0)
	ds_store_b128 v5, v[1:4]
	s_waitcnt lgkmcnt(0)
	s_barrier
	buffer_gl0_inv
	v_cmpx_gt_u32_e32 16, v138
	s_cbranch_execz .LBB111_79
; %bb.76:
	v_dual_mov_b32 v1, 0 :: v_dual_add_nc_u32 v8, 0x300, v13
	v_dual_mov_b32 v2, 0 :: v_dual_add_nc_u32 v7, -1, v138
	v_or_b32_e32 v9, 8, v14
	s_mov_b32 s3, 0
	s_delay_alu instid0(VALU_DEP_2)
	v_dual_mov_b32 v4, v2 :: v_dual_mov_b32 v3, v1
	.p2align	6
.LBB111_77:                             ; =>This Inner Loop Header: Depth=1
	scratch_load_b128 v[15:18], v9, off offset:-8
	ds_load_b128 v[19:22], v8
	v_add_nc_u32_e32 v7, 1, v7
	v_add_nc_u32_e32 v8, 16, v8
	;; [unrolled: 1-line block ×3, first 2 shown]
	s_delay_alu instid0(VALU_DEP_3) | instskip(SKIP_4) | instid1(VALU_DEP_2)
	v_cmp_lt_u32_e32 vcc_lo, 14, v7
	s_or_b32 s3, vcc_lo, s3
	s_waitcnt vmcnt(0) lgkmcnt(0)
	v_mul_f64 v[10:11], v[21:22], v[17:18]
	v_mul_f64 v[17:18], v[19:20], v[17:18]
	v_fma_f64 v[10:11], v[19:20], v[15:16], -v[10:11]
	s_delay_alu instid0(VALU_DEP_2) | instskip(NEXT) | instid1(VALU_DEP_2)
	v_fma_f64 v[15:16], v[21:22], v[15:16], v[17:18]
	v_add_f64 v[3:4], v[3:4], v[10:11]
	s_delay_alu instid0(VALU_DEP_2)
	v_add_f64 v[1:2], v[1:2], v[15:16]
	s_and_not1_b32 exec_lo, exec_lo, s3
	s_cbranch_execnz .LBB111_77
; %bb.78:
	s_or_b32 exec_lo, exec_lo, s3
	v_mov_b32_e32 v7, 0
	ds_load_b128 v[7:10], v7 offset:256
	s_waitcnt lgkmcnt(0)
	v_mul_f64 v[11:12], v[1:2], v[9:10]
	v_mul_f64 v[15:16], v[3:4], v[9:10]
	s_delay_alu instid0(VALU_DEP_2) | instskip(NEXT) | instid1(VALU_DEP_2)
	v_fma_f64 v[9:10], v[3:4], v[7:8], -v[11:12]
	v_fma_f64 v[11:12], v[1:2], v[7:8], v[15:16]
	scratch_store_b128 off, v[9:12], off offset:256
.LBB111_79:
	s_or_b32 exec_lo, exec_lo, s2
	s_waitcnt_vscnt null, 0x0
	s_barrier
	buffer_gl0_inv
	scratch_load_b128 v[1:4], v169, off
	s_mov_b32 s2, exec_lo
	s_waitcnt vmcnt(0)
	ds_store_b128 v5, v[1:4]
	s_waitcnt lgkmcnt(0)
	s_barrier
	buffer_gl0_inv
	v_cmpx_gt_u32_e32 17, v138
	s_cbranch_execz .LBB111_83
; %bb.80:
	v_dual_mov_b32 v1, 0 :: v_dual_add_nc_u32 v8, 0x300, v13
	v_dual_mov_b32 v2, 0 :: v_dual_add_nc_u32 v7, -1, v138
	v_or_b32_e32 v9, 8, v14
	s_mov_b32 s3, 0
	s_delay_alu instid0(VALU_DEP_2)
	v_dual_mov_b32 v4, v2 :: v_dual_mov_b32 v3, v1
	.p2align	6
.LBB111_81:                             ; =>This Inner Loop Header: Depth=1
	scratch_load_b128 v[15:18], v9, off offset:-8
	ds_load_b128 v[19:22], v8
	v_add_nc_u32_e32 v7, 1, v7
	v_add_nc_u32_e32 v8, 16, v8
	;; [unrolled: 1-line block ×3, first 2 shown]
	s_delay_alu instid0(VALU_DEP_3) | instskip(SKIP_4) | instid1(VALU_DEP_2)
	v_cmp_lt_u32_e32 vcc_lo, 15, v7
	s_or_b32 s3, vcc_lo, s3
	s_waitcnt vmcnt(0) lgkmcnt(0)
	v_mul_f64 v[10:11], v[21:22], v[17:18]
	v_mul_f64 v[17:18], v[19:20], v[17:18]
	v_fma_f64 v[10:11], v[19:20], v[15:16], -v[10:11]
	s_delay_alu instid0(VALU_DEP_2) | instskip(NEXT) | instid1(VALU_DEP_2)
	v_fma_f64 v[15:16], v[21:22], v[15:16], v[17:18]
	v_add_f64 v[3:4], v[3:4], v[10:11]
	s_delay_alu instid0(VALU_DEP_2)
	v_add_f64 v[1:2], v[1:2], v[15:16]
	s_and_not1_b32 exec_lo, exec_lo, s3
	s_cbranch_execnz .LBB111_81
; %bb.82:
	s_or_b32 exec_lo, exec_lo, s3
	v_mov_b32_e32 v7, 0
	ds_load_b128 v[7:10], v7 offset:272
	s_waitcnt lgkmcnt(0)
	v_mul_f64 v[11:12], v[1:2], v[9:10]
	v_mul_f64 v[15:16], v[3:4], v[9:10]
	s_delay_alu instid0(VALU_DEP_2) | instskip(NEXT) | instid1(VALU_DEP_2)
	v_fma_f64 v[9:10], v[3:4], v[7:8], -v[11:12]
	v_fma_f64 v[11:12], v[1:2], v[7:8], v[15:16]
	scratch_store_b128 off, v[9:12], off offset:272
.LBB111_83:
	s_or_b32 exec_lo, exec_lo, s2
	s_waitcnt_vscnt null, 0x0
	s_barrier
	buffer_gl0_inv
	scratch_load_b128 v[1:4], v168, off
	s_mov_b32 s2, exec_lo
	s_waitcnt vmcnt(0)
	ds_store_b128 v5, v[1:4]
	s_waitcnt lgkmcnt(0)
	s_barrier
	buffer_gl0_inv
	v_cmpx_gt_u32_e32 18, v138
	s_cbranch_execz .LBB111_87
; %bb.84:
	v_dual_mov_b32 v1, 0 :: v_dual_add_nc_u32 v8, 0x300, v13
	v_dual_mov_b32 v2, 0 :: v_dual_add_nc_u32 v7, -1, v138
	v_or_b32_e32 v9, 8, v14
	s_mov_b32 s3, 0
	s_delay_alu instid0(VALU_DEP_2)
	v_dual_mov_b32 v4, v2 :: v_dual_mov_b32 v3, v1
	.p2align	6
.LBB111_85:                             ; =>This Inner Loop Header: Depth=1
	scratch_load_b128 v[15:18], v9, off offset:-8
	ds_load_b128 v[19:22], v8
	v_add_nc_u32_e32 v7, 1, v7
	v_add_nc_u32_e32 v8, 16, v8
	;; [unrolled: 1-line block ×3, first 2 shown]
	s_delay_alu instid0(VALU_DEP_3) | instskip(SKIP_4) | instid1(VALU_DEP_2)
	v_cmp_lt_u32_e32 vcc_lo, 16, v7
	s_or_b32 s3, vcc_lo, s3
	s_waitcnt vmcnt(0) lgkmcnt(0)
	v_mul_f64 v[10:11], v[21:22], v[17:18]
	v_mul_f64 v[17:18], v[19:20], v[17:18]
	v_fma_f64 v[10:11], v[19:20], v[15:16], -v[10:11]
	s_delay_alu instid0(VALU_DEP_2) | instskip(NEXT) | instid1(VALU_DEP_2)
	v_fma_f64 v[15:16], v[21:22], v[15:16], v[17:18]
	v_add_f64 v[3:4], v[3:4], v[10:11]
	s_delay_alu instid0(VALU_DEP_2)
	v_add_f64 v[1:2], v[1:2], v[15:16]
	s_and_not1_b32 exec_lo, exec_lo, s3
	s_cbranch_execnz .LBB111_85
; %bb.86:
	s_or_b32 exec_lo, exec_lo, s3
	v_mov_b32_e32 v7, 0
	ds_load_b128 v[7:10], v7 offset:288
	s_waitcnt lgkmcnt(0)
	v_mul_f64 v[11:12], v[1:2], v[9:10]
	v_mul_f64 v[15:16], v[3:4], v[9:10]
	s_delay_alu instid0(VALU_DEP_2) | instskip(NEXT) | instid1(VALU_DEP_2)
	v_fma_f64 v[9:10], v[3:4], v[7:8], -v[11:12]
	v_fma_f64 v[11:12], v[1:2], v[7:8], v[15:16]
	scratch_store_b128 off, v[9:12], off offset:288
.LBB111_87:
	s_or_b32 exec_lo, exec_lo, s2
	s_waitcnt_vscnt null, 0x0
	s_barrier
	buffer_gl0_inv
	scratch_load_b128 v[1:4], v167, off
	s_mov_b32 s2, exec_lo
	s_waitcnt vmcnt(0)
	ds_store_b128 v5, v[1:4]
	s_waitcnt lgkmcnt(0)
	s_barrier
	buffer_gl0_inv
	v_cmpx_gt_u32_e32 19, v138
	s_cbranch_execz .LBB111_91
; %bb.88:
	v_dual_mov_b32 v1, 0 :: v_dual_add_nc_u32 v8, 0x300, v13
	v_dual_mov_b32 v2, 0 :: v_dual_add_nc_u32 v7, -1, v138
	v_or_b32_e32 v9, 8, v14
	s_mov_b32 s3, 0
	s_delay_alu instid0(VALU_DEP_2)
	v_dual_mov_b32 v4, v2 :: v_dual_mov_b32 v3, v1
	.p2align	6
.LBB111_89:                             ; =>This Inner Loop Header: Depth=1
	scratch_load_b128 v[15:18], v9, off offset:-8
	ds_load_b128 v[19:22], v8
	v_add_nc_u32_e32 v7, 1, v7
	v_add_nc_u32_e32 v8, 16, v8
	;; [unrolled: 1-line block ×3, first 2 shown]
	s_delay_alu instid0(VALU_DEP_3) | instskip(SKIP_4) | instid1(VALU_DEP_2)
	v_cmp_lt_u32_e32 vcc_lo, 17, v7
	s_or_b32 s3, vcc_lo, s3
	s_waitcnt vmcnt(0) lgkmcnt(0)
	v_mul_f64 v[10:11], v[21:22], v[17:18]
	v_mul_f64 v[17:18], v[19:20], v[17:18]
	v_fma_f64 v[10:11], v[19:20], v[15:16], -v[10:11]
	s_delay_alu instid0(VALU_DEP_2) | instskip(NEXT) | instid1(VALU_DEP_2)
	v_fma_f64 v[15:16], v[21:22], v[15:16], v[17:18]
	v_add_f64 v[3:4], v[3:4], v[10:11]
	s_delay_alu instid0(VALU_DEP_2)
	v_add_f64 v[1:2], v[1:2], v[15:16]
	s_and_not1_b32 exec_lo, exec_lo, s3
	s_cbranch_execnz .LBB111_89
; %bb.90:
	s_or_b32 exec_lo, exec_lo, s3
	v_mov_b32_e32 v7, 0
	ds_load_b128 v[7:10], v7 offset:304
	s_waitcnt lgkmcnt(0)
	v_mul_f64 v[11:12], v[1:2], v[9:10]
	v_mul_f64 v[15:16], v[3:4], v[9:10]
	s_delay_alu instid0(VALU_DEP_2) | instskip(NEXT) | instid1(VALU_DEP_2)
	v_fma_f64 v[9:10], v[3:4], v[7:8], -v[11:12]
	v_fma_f64 v[11:12], v[1:2], v[7:8], v[15:16]
	scratch_store_b128 off, v[9:12], off offset:304
.LBB111_91:
	s_or_b32 exec_lo, exec_lo, s2
	s_waitcnt_vscnt null, 0x0
	s_barrier
	buffer_gl0_inv
	scratch_load_b128 v[1:4], v166, off
	s_mov_b32 s2, exec_lo
	s_waitcnt vmcnt(0)
	ds_store_b128 v5, v[1:4]
	s_waitcnt lgkmcnt(0)
	s_barrier
	buffer_gl0_inv
	v_cmpx_gt_u32_e32 20, v138
	s_cbranch_execz .LBB111_95
; %bb.92:
	v_dual_mov_b32 v1, 0 :: v_dual_add_nc_u32 v8, 0x300, v13
	v_dual_mov_b32 v2, 0 :: v_dual_add_nc_u32 v7, -1, v138
	v_or_b32_e32 v9, 8, v14
	s_mov_b32 s3, 0
	s_delay_alu instid0(VALU_DEP_2)
	v_dual_mov_b32 v4, v2 :: v_dual_mov_b32 v3, v1
	.p2align	6
.LBB111_93:                             ; =>This Inner Loop Header: Depth=1
	scratch_load_b128 v[15:18], v9, off offset:-8
	ds_load_b128 v[19:22], v8
	v_add_nc_u32_e32 v7, 1, v7
	v_add_nc_u32_e32 v8, 16, v8
	;; [unrolled: 1-line block ×3, first 2 shown]
	s_delay_alu instid0(VALU_DEP_3) | instskip(SKIP_4) | instid1(VALU_DEP_2)
	v_cmp_lt_u32_e32 vcc_lo, 18, v7
	s_or_b32 s3, vcc_lo, s3
	s_waitcnt vmcnt(0) lgkmcnt(0)
	v_mul_f64 v[10:11], v[21:22], v[17:18]
	v_mul_f64 v[17:18], v[19:20], v[17:18]
	v_fma_f64 v[10:11], v[19:20], v[15:16], -v[10:11]
	s_delay_alu instid0(VALU_DEP_2) | instskip(NEXT) | instid1(VALU_DEP_2)
	v_fma_f64 v[15:16], v[21:22], v[15:16], v[17:18]
	v_add_f64 v[3:4], v[3:4], v[10:11]
	s_delay_alu instid0(VALU_DEP_2)
	v_add_f64 v[1:2], v[1:2], v[15:16]
	s_and_not1_b32 exec_lo, exec_lo, s3
	s_cbranch_execnz .LBB111_93
; %bb.94:
	s_or_b32 exec_lo, exec_lo, s3
	v_mov_b32_e32 v7, 0
	ds_load_b128 v[7:10], v7 offset:320
	s_waitcnt lgkmcnt(0)
	v_mul_f64 v[11:12], v[1:2], v[9:10]
	v_mul_f64 v[15:16], v[3:4], v[9:10]
	s_delay_alu instid0(VALU_DEP_2) | instskip(NEXT) | instid1(VALU_DEP_2)
	v_fma_f64 v[9:10], v[3:4], v[7:8], -v[11:12]
	v_fma_f64 v[11:12], v[1:2], v[7:8], v[15:16]
	scratch_store_b128 off, v[9:12], off offset:320
.LBB111_95:
	s_or_b32 exec_lo, exec_lo, s2
	s_waitcnt_vscnt null, 0x0
	s_barrier
	buffer_gl0_inv
	scratch_load_b128 v[1:4], v165, off
	s_mov_b32 s2, exec_lo
	s_waitcnt vmcnt(0)
	ds_store_b128 v5, v[1:4]
	s_waitcnt lgkmcnt(0)
	s_barrier
	buffer_gl0_inv
	v_cmpx_gt_u32_e32 21, v138
	s_cbranch_execz .LBB111_99
; %bb.96:
	v_dual_mov_b32 v1, 0 :: v_dual_add_nc_u32 v8, 0x300, v13
	v_dual_mov_b32 v2, 0 :: v_dual_add_nc_u32 v7, -1, v138
	v_or_b32_e32 v9, 8, v14
	s_mov_b32 s3, 0
	s_delay_alu instid0(VALU_DEP_2)
	v_dual_mov_b32 v4, v2 :: v_dual_mov_b32 v3, v1
	.p2align	6
.LBB111_97:                             ; =>This Inner Loop Header: Depth=1
	scratch_load_b128 v[15:18], v9, off offset:-8
	ds_load_b128 v[19:22], v8
	v_add_nc_u32_e32 v7, 1, v7
	v_add_nc_u32_e32 v8, 16, v8
	;; [unrolled: 1-line block ×3, first 2 shown]
	s_delay_alu instid0(VALU_DEP_3) | instskip(SKIP_4) | instid1(VALU_DEP_2)
	v_cmp_lt_u32_e32 vcc_lo, 19, v7
	s_or_b32 s3, vcc_lo, s3
	s_waitcnt vmcnt(0) lgkmcnt(0)
	v_mul_f64 v[10:11], v[21:22], v[17:18]
	v_mul_f64 v[17:18], v[19:20], v[17:18]
	v_fma_f64 v[10:11], v[19:20], v[15:16], -v[10:11]
	s_delay_alu instid0(VALU_DEP_2) | instskip(NEXT) | instid1(VALU_DEP_2)
	v_fma_f64 v[15:16], v[21:22], v[15:16], v[17:18]
	v_add_f64 v[3:4], v[3:4], v[10:11]
	s_delay_alu instid0(VALU_DEP_2)
	v_add_f64 v[1:2], v[1:2], v[15:16]
	s_and_not1_b32 exec_lo, exec_lo, s3
	s_cbranch_execnz .LBB111_97
; %bb.98:
	s_or_b32 exec_lo, exec_lo, s3
	v_mov_b32_e32 v7, 0
	ds_load_b128 v[7:10], v7 offset:336
	s_waitcnt lgkmcnt(0)
	v_mul_f64 v[11:12], v[1:2], v[9:10]
	v_mul_f64 v[15:16], v[3:4], v[9:10]
	s_delay_alu instid0(VALU_DEP_2) | instskip(NEXT) | instid1(VALU_DEP_2)
	v_fma_f64 v[9:10], v[3:4], v[7:8], -v[11:12]
	v_fma_f64 v[11:12], v[1:2], v[7:8], v[15:16]
	scratch_store_b128 off, v[9:12], off offset:336
.LBB111_99:
	s_or_b32 exec_lo, exec_lo, s2
	s_waitcnt_vscnt null, 0x0
	s_barrier
	buffer_gl0_inv
	scratch_load_b128 v[1:4], v163, off
	s_mov_b32 s2, exec_lo
	s_waitcnt vmcnt(0)
	ds_store_b128 v5, v[1:4]
	s_waitcnt lgkmcnt(0)
	s_barrier
	buffer_gl0_inv
	v_cmpx_gt_u32_e32 22, v138
	s_cbranch_execz .LBB111_103
; %bb.100:
	v_dual_mov_b32 v1, 0 :: v_dual_add_nc_u32 v8, 0x300, v13
	v_dual_mov_b32 v2, 0 :: v_dual_add_nc_u32 v7, -1, v138
	v_or_b32_e32 v9, 8, v14
	s_mov_b32 s3, 0
	s_delay_alu instid0(VALU_DEP_2)
	v_dual_mov_b32 v4, v2 :: v_dual_mov_b32 v3, v1
	.p2align	6
.LBB111_101:                            ; =>This Inner Loop Header: Depth=1
	scratch_load_b128 v[15:18], v9, off offset:-8
	ds_load_b128 v[19:22], v8
	v_add_nc_u32_e32 v7, 1, v7
	v_add_nc_u32_e32 v8, 16, v8
	;; [unrolled: 1-line block ×3, first 2 shown]
	s_delay_alu instid0(VALU_DEP_3) | instskip(SKIP_4) | instid1(VALU_DEP_2)
	v_cmp_lt_u32_e32 vcc_lo, 20, v7
	s_or_b32 s3, vcc_lo, s3
	s_waitcnt vmcnt(0) lgkmcnt(0)
	v_mul_f64 v[10:11], v[21:22], v[17:18]
	v_mul_f64 v[17:18], v[19:20], v[17:18]
	v_fma_f64 v[10:11], v[19:20], v[15:16], -v[10:11]
	s_delay_alu instid0(VALU_DEP_2) | instskip(NEXT) | instid1(VALU_DEP_2)
	v_fma_f64 v[15:16], v[21:22], v[15:16], v[17:18]
	v_add_f64 v[3:4], v[3:4], v[10:11]
	s_delay_alu instid0(VALU_DEP_2)
	v_add_f64 v[1:2], v[1:2], v[15:16]
	s_and_not1_b32 exec_lo, exec_lo, s3
	s_cbranch_execnz .LBB111_101
; %bb.102:
	s_or_b32 exec_lo, exec_lo, s3
	v_mov_b32_e32 v7, 0
	ds_load_b128 v[7:10], v7 offset:352
	s_waitcnt lgkmcnt(0)
	v_mul_f64 v[11:12], v[1:2], v[9:10]
	v_mul_f64 v[15:16], v[3:4], v[9:10]
	s_delay_alu instid0(VALU_DEP_2) | instskip(NEXT) | instid1(VALU_DEP_2)
	v_fma_f64 v[9:10], v[3:4], v[7:8], -v[11:12]
	v_fma_f64 v[11:12], v[1:2], v[7:8], v[15:16]
	scratch_store_b128 off, v[9:12], off offset:352
.LBB111_103:
	s_or_b32 exec_lo, exec_lo, s2
	s_waitcnt_vscnt null, 0x0
	s_barrier
	buffer_gl0_inv
	scratch_load_b128 v[1:4], v164, off
	s_mov_b32 s2, exec_lo
	s_waitcnt vmcnt(0)
	ds_store_b128 v5, v[1:4]
	s_waitcnt lgkmcnt(0)
	s_barrier
	buffer_gl0_inv
	v_cmpx_gt_u32_e32 23, v138
	s_cbranch_execz .LBB111_107
; %bb.104:
	v_dual_mov_b32 v1, 0 :: v_dual_add_nc_u32 v8, 0x300, v13
	v_dual_mov_b32 v2, 0 :: v_dual_add_nc_u32 v7, -1, v138
	v_or_b32_e32 v9, 8, v14
	s_mov_b32 s3, 0
	s_delay_alu instid0(VALU_DEP_2)
	v_dual_mov_b32 v4, v2 :: v_dual_mov_b32 v3, v1
	.p2align	6
.LBB111_105:                            ; =>This Inner Loop Header: Depth=1
	scratch_load_b128 v[15:18], v9, off offset:-8
	ds_load_b128 v[19:22], v8
	v_add_nc_u32_e32 v7, 1, v7
	v_add_nc_u32_e32 v8, 16, v8
	v_add_nc_u32_e32 v9, 16, v9
	s_delay_alu instid0(VALU_DEP_3) | instskip(SKIP_4) | instid1(VALU_DEP_2)
	v_cmp_lt_u32_e32 vcc_lo, 21, v7
	s_or_b32 s3, vcc_lo, s3
	s_waitcnt vmcnt(0) lgkmcnt(0)
	v_mul_f64 v[10:11], v[21:22], v[17:18]
	v_mul_f64 v[17:18], v[19:20], v[17:18]
	v_fma_f64 v[10:11], v[19:20], v[15:16], -v[10:11]
	s_delay_alu instid0(VALU_DEP_2) | instskip(NEXT) | instid1(VALU_DEP_2)
	v_fma_f64 v[15:16], v[21:22], v[15:16], v[17:18]
	v_add_f64 v[3:4], v[3:4], v[10:11]
	s_delay_alu instid0(VALU_DEP_2)
	v_add_f64 v[1:2], v[1:2], v[15:16]
	s_and_not1_b32 exec_lo, exec_lo, s3
	s_cbranch_execnz .LBB111_105
; %bb.106:
	s_or_b32 exec_lo, exec_lo, s3
	v_mov_b32_e32 v7, 0
	ds_load_b128 v[7:10], v7 offset:368
	s_waitcnt lgkmcnt(0)
	v_mul_f64 v[11:12], v[1:2], v[9:10]
	v_mul_f64 v[15:16], v[3:4], v[9:10]
	s_delay_alu instid0(VALU_DEP_2) | instskip(NEXT) | instid1(VALU_DEP_2)
	v_fma_f64 v[9:10], v[3:4], v[7:8], -v[11:12]
	v_fma_f64 v[11:12], v[1:2], v[7:8], v[15:16]
	scratch_store_b128 off, v[9:12], off offset:368
.LBB111_107:
	s_or_b32 exec_lo, exec_lo, s2
	s_waitcnt_vscnt null, 0x0
	s_barrier
	buffer_gl0_inv
	scratch_load_b128 v[1:4], v162, off
	s_mov_b32 s2, exec_lo
	s_waitcnt vmcnt(0)
	ds_store_b128 v5, v[1:4]
	s_waitcnt lgkmcnt(0)
	s_barrier
	buffer_gl0_inv
	v_cmpx_gt_u32_e32 24, v138
	s_cbranch_execz .LBB111_111
; %bb.108:
	v_dual_mov_b32 v1, 0 :: v_dual_add_nc_u32 v8, 0x300, v13
	v_dual_mov_b32 v2, 0 :: v_dual_add_nc_u32 v7, -1, v138
	v_or_b32_e32 v9, 8, v14
	s_mov_b32 s3, 0
	s_delay_alu instid0(VALU_DEP_2)
	v_dual_mov_b32 v4, v2 :: v_dual_mov_b32 v3, v1
	.p2align	6
.LBB111_109:                            ; =>This Inner Loop Header: Depth=1
	scratch_load_b128 v[15:18], v9, off offset:-8
	ds_load_b128 v[19:22], v8
	v_add_nc_u32_e32 v7, 1, v7
	v_add_nc_u32_e32 v8, 16, v8
	;; [unrolled: 1-line block ×3, first 2 shown]
	s_delay_alu instid0(VALU_DEP_3) | instskip(SKIP_4) | instid1(VALU_DEP_2)
	v_cmp_lt_u32_e32 vcc_lo, 22, v7
	s_or_b32 s3, vcc_lo, s3
	s_waitcnt vmcnt(0) lgkmcnt(0)
	v_mul_f64 v[10:11], v[21:22], v[17:18]
	v_mul_f64 v[17:18], v[19:20], v[17:18]
	v_fma_f64 v[10:11], v[19:20], v[15:16], -v[10:11]
	s_delay_alu instid0(VALU_DEP_2) | instskip(NEXT) | instid1(VALU_DEP_2)
	v_fma_f64 v[15:16], v[21:22], v[15:16], v[17:18]
	v_add_f64 v[3:4], v[3:4], v[10:11]
	s_delay_alu instid0(VALU_DEP_2)
	v_add_f64 v[1:2], v[1:2], v[15:16]
	s_and_not1_b32 exec_lo, exec_lo, s3
	s_cbranch_execnz .LBB111_109
; %bb.110:
	s_or_b32 exec_lo, exec_lo, s3
	v_mov_b32_e32 v7, 0
	ds_load_b128 v[7:10], v7 offset:384
	s_waitcnt lgkmcnt(0)
	v_mul_f64 v[11:12], v[1:2], v[9:10]
	v_mul_f64 v[15:16], v[3:4], v[9:10]
	s_delay_alu instid0(VALU_DEP_2) | instskip(NEXT) | instid1(VALU_DEP_2)
	v_fma_f64 v[9:10], v[3:4], v[7:8], -v[11:12]
	v_fma_f64 v[11:12], v[1:2], v[7:8], v[15:16]
	scratch_store_b128 off, v[9:12], off offset:384
.LBB111_111:
	s_or_b32 exec_lo, exec_lo, s2
	s_waitcnt_vscnt null, 0x0
	s_barrier
	buffer_gl0_inv
	scratch_load_b128 v[1:4], v161, off
	s_mov_b32 s2, exec_lo
	s_waitcnt vmcnt(0)
	ds_store_b128 v5, v[1:4]
	s_waitcnt lgkmcnt(0)
	s_barrier
	buffer_gl0_inv
	v_cmpx_gt_u32_e32 25, v138
	s_cbranch_execz .LBB111_115
; %bb.112:
	v_dual_mov_b32 v1, 0 :: v_dual_add_nc_u32 v8, 0x300, v13
	v_dual_mov_b32 v2, 0 :: v_dual_add_nc_u32 v7, -1, v138
	v_or_b32_e32 v9, 8, v14
	s_mov_b32 s3, 0
	s_delay_alu instid0(VALU_DEP_2)
	v_dual_mov_b32 v4, v2 :: v_dual_mov_b32 v3, v1
	.p2align	6
.LBB111_113:                            ; =>This Inner Loop Header: Depth=1
	scratch_load_b128 v[15:18], v9, off offset:-8
	ds_load_b128 v[19:22], v8
	v_add_nc_u32_e32 v7, 1, v7
	v_add_nc_u32_e32 v8, 16, v8
	;; [unrolled: 1-line block ×3, first 2 shown]
	s_delay_alu instid0(VALU_DEP_3) | instskip(SKIP_4) | instid1(VALU_DEP_2)
	v_cmp_lt_u32_e32 vcc_lo, 23, v7
	s_or_b32 s3, vcc_lo, s3
	s_waitcnt vmcnt(0) lgkmcnt(0)
	v_mul_f64 v[10:11], v[21:22], v[17:18]
	v_mul_f64 v[17:18], v[19:20], v[17:18]
	v_fma_f64 v[10:11], v[19:20], v[15:16], -v[10:11]
	s_delay_alu instid0(VALU_DEP_2) | instskip(NEXT) | instid1(VALU_DEP_2)
	v_fma_f64 v[15:16], v[21:22], v[15:16], v[17:18]
	v_add_f64 v[3:4], v[3:4], v[10:11]
	s_delay_alu instid0(VALU_DEP_2)
	v_add_f64 v[1:2], v[1:2], v[15:16]
	s_and_not1_b32 exec_lo, exec_lo, s3
	s_cbranch_execnz .LBB111_113
; %bb.114:
	s_or_b32 exec_lo, exec_lo, s3
	v_mov_b32_e32 v7, 0
	ds_load_b128 v[7:10], v7 offset:400
	s_waitcnt lgkmcnt(0)
	v_mul_f64 v[11:12], v[1:2], v[9:10]
	v_mul_f64 v[15:16], v[3:4], v[9:10]
	s_delay_alu instid0(VALU_DEP_2) | instskip(NEXT) | instid1(VALU_DEP_2)
	v_fma_f64 v[9:10], v[3:4], v[7:8], -v[11:12]
	v_fma_f64 v[11:12], v[1:2], v[7:8], v[15:16]
	scratch_store_b128 off, v[9:12], off offset:400
.LBB111_115:
	s_or_b32 exec_lo, exec_lo, s2
	s_waitcnt_vscnt null, 0x0
	s_barrier
	buffer_gl0_inv
	scratch_load_b128 v[1:4], v159, off
	s_mov_b32 s2, exec_lo
	s_waitcnt vmcnt(0)
	ds_store_b128 v5, v[1:4]
	s_waitcnt lgkmcnt(0)
	s_barrier
	buffer_gl0_inv
	v_cmpx_gt_u32_e32 26, v138
	s_cbranch_execz .LBB111_119
; %bb.116:
	v_dual_mov_b32 v1, 0 :: v_dual_add_nc_u32 v8, 0x300, v13
	v_dual_mov_b32 v2, 0 :: v_dual_add_nc_u32 v7, -1, v138
	v_or_b32_e32 v9, 8, v14
	s_mov_b32 s3, 0
	s_delay_alu instid0(VALU_DEP_2)
	v_dual_mov_b32 v4, v2 :: v_dual_mov_b32 v3, v1
	.p2align	6
.LBB111_117:                            ; =>This Inner Loop Header: Depth=1
	scratch_load_b128 v[15:18], v9, off offset:-8
	ds_load_b128 v[19:22], v8
	v_add_nc_u32_e32 v7, 1, v7
	v_add_nc_u32_e32 v8, 16, v8
	;; [unrolled: 1-line block ×3, first 2 shown]
	s_delay_alu instid0(VALU_DEP_3) | instskip(SKIP_4) | instid1(VALU_DEP_2)
	v_cmp_lt_u32_e32 vcc_lo, 24, v7
	s_or_b32 s3, vcc_lo, s3
	s_waitcnt vmcnt(0) lgkmcnt(0)
	v_mul_f64 v[10:11], v[21:22], v[17:18]
	v_mul_f64 v[17:18], v[19:20], v[17:18]
	v_fma_f64 v[10:11], v[19:20], v[15:16], -v[10:11]
	s_delay_alu instid0(VALU_DEP_2) | instskip(NEXT) | instid1(VALU_DEP_2)
	v_fma_f64 v[15:16], v[21:22], v[15:16], v[17:18]
	v_add_f64 v[3:4], v[3:4], v[10:11]
	s_delay_alu instid0(VALU_DEP_2)
	v_add_f64 v[1:2], v[1:2], v[15:16]
	s_and_not1_b32 exec_lo, exec_lo, s3
	s_cbranch_execnz .LBB111_117
; %bb.118:
	s_or_b32 exec_lo, exec_lo, s3
	v_mov_b32_e32 v7, 0
	ds_load_b128 v[7:10], v7 offset:416
	s_waitcnt lgkmcnt(0)
	v_mul_f64 v[11:12], v[1:2], v[9:10]
	v_mul_f64 v[15:16], v[3:4], v[9:10]
	s_delay_alu instid0(VALU_DEP_2) | instskip(NEXT) | instid1(VALU_DEP_2)
	v_fma_f64 v[9:10], v[3:4], v[7:8], -v[11:12]
	v_fma_f64 v[11:12], v[1:2], v[7:8], v[15:16]
	scratch_store_b128 off, v[9:12], off offset:416
.LBB111_119:
	s_or_b32 exec_lo, exec_lo, s2
	s_waitcnt_vscnt null, 0x0
	s_barrier
	buffer_gl0_inv
	scratch_load_b128 v[1:4], v160, off
	s_mov_b32 s2, exec_lo
	s_waitcnt vmcnt(0)
	ds_store_b128 v5, v[1:4]
	s_waitcnt lgkmcnt(0)
	s_barrier
	buffer_gl0_inv
	v_cmpx_gt_u32_e32 27, v138
	s_cbranch_execz .LBB111_123
; %bb.120:
	v_dual_mov_b32 v1, 0 :: v_dual_add_nc_u32 v8, 0x300, v13
	v_dual_mov_b32 v2, 0 :: v_dual_add_nc_u32 v7, -1, v138
	v_or_b32_e32 v9, 8, v14
	s_mov_b32 s3, 0
	s_delay_alu instid0(VALU_DEP_2)
	v_dual_mov_b32 v4, v2 :: v_dual_mov_b32 v3, v1
	.p2align	6
.LBB111_121:                            ; =>This Inner Loop Header: Depth=1
	scratch_load_b128 v[15:18], v9, off offset:-8
	ds_load_b128 v[19:22], v8
	v_add_nc_u32_e32 v7, 1, v7
	v_add_nc_u32_e32 v8, 16, v8
	;; [unrolled: 1-line block ×3, first 2 shown]
	s_delay_alu instid0(VALU_DEP_3) | instskip(SKIP_4) | instid1(VALU_DEP_2)
	v_cmp_lt_u32_e32 vcc_lo, 25, v7
	s_or_b32 s3, vcc_lo, s3
	s_waitcnt vmcnt(0) lgkmcnt(0)
	v_mul_f64 v[10:11], v[21:22], v[17:18]
	v_mul_f64 v[17:18], v[19:20], v[17:18]
	v_fma_f64 v[10:11], v[19:20], v[15:16], -v[10:11]
	s_delay_alu instid0(VALU_DEP_2) | instskip(NEXT) | instid1(VALU_DEP_2)
	v_fma_f64 v[15:16], v[21:22], v[15:16], v[17:18]
	v_add_f64 v[3:4], v[3:4], v[10:11]
	s_delay_alu instid0(VALU_DEP_2)
	v_add_f64 v[1:2], v[1:2], v[15:16]
	s_and_not1_b32 exec_lo, exec_lo, s3
	s_cbranch_execnz .LBB111_121
; %bb.122:
	s_or_b32 exec_lo, exec_lo, s3
	v_mov_b32_e32 v7, 0
	ds_load_b128 v[7:10], v7 offset:432
	s_waitcnt lgkmcnt(0)
	v_mul_f64 v[11:12], v[1:2], v[9:10]
	v_mul_f64 v[15:16], v[3:4], v[9:10]
	s_delay_alu instid0(VALU_DEP_2) | instskip(NEXT) | instid1(VALU_DEP_2)
	v_fma_f64 v[9:10], v[3:4], v[7:8], -v[11:12]
	v_fma_f64 v[11:12], v[1:2], v[7:8], v[15:16]
	scratch_store_b128 off, v[9:12], off offset:432
.LBB111_123:
	s_or_b32 exec_lo, exec_lo, s2
	s_waitcnt_vscnt null, 0x0
	s_barrier
	buffer_gl0_inv
	scratch_load_b128 v[1:4], v158, off
	s_mov_b32 s2, exec_lo
	s_waitcnt vmcnt(0)
	ds_store_b128 v5, v[1:4]
	s_waitcnt lgkmcnt(0)
	s_barrier
	buffer_gl0_inv
	v_cmpx_gt_u32_e32 28, v138
	s_cbranch_execz .LBB111_127
; %bb.124:
	v_dual_mov_b32 v1, 0 :: v_dual_add_nc_u32 v8, 0x300, v13
	v_dual_mov_b32 v2, 0 :: v_dual_add_nc_u32 v7, -1, v138
	v_or_b32_e32 v9, 8, v14
	s_mov_b32 s3, 0
	s_delay_alu instid0(VALU_DEP_2)
	v_dual_mov_b32 v4, v2 :: v_dual_mov_b32 v3, v1
	.p2align	6
.LBB111_125:                            ; =>This Inner Loop Header: Depth=1
	scratch_load_b128 v[15:18], v9, off offset:-8
	ds_load_b128 v[19:22], v8
	v_add_nc_u32_e32 v7, 1, v7
	v_add_nc_u32_e32 v8, 16, v8
	;; [unrolled: 1-line block ×3, first 2 shown]
	s_delay_alu instid0(VALU_DEP_3) | instskip(SKIP_4) | instid1(VALU_DEP_2)
	v_cmp_lt_u32_e32 vcc_lo, 26, v7
	s_or_b32 s3, vcc_lo, s3
	s_waitcnt vmcnt(0) lgkmcnt(0)
	v_mul_f64 v[10:11], v[21:22], v[17:18]
	v_mul_f64 v[17:18], v[19:20], v[17:18]
	v_fma_f64 v[10:11], v[19:20], v[15:16], -v[10:11]
	s_delay_alu instid0(VALU_DEP_2) | instskip(NEXT) | instid1(VALU_DEP_2)
	v_fma_f64 v[15:16], v[21:22], v[15:16], v[17:18]
	v_add_f64 v[3:4], v[3:4], v[10:11]
	s_delay_alu instid0(VALU_DEP_2)
	v_add_f64 v[1:2], v[1:2], v[15:16]
	s_and_not1_b32 exec_lo, exec_lo, s3
	s_cbranch_execnz .LBB111_125
; %bb.126:
	s_or_b32 exec_lo, exec_lo, s3
	v_mov_b32_e32 v7, 0
	ds_load_b128 v[7:10], v7 offset:448
	s_waitcnt lgkmcnt(0)
	v_mul_f64 v[11:12], v[1:2], v[9:10]
	v_mul_f64 v[15:16], v[3:4], v[9:10]
	s_delay_alu instid0(VALU_DEP_2) | instskip(NEXT) | instid1(VALU_DEP_2)
	v_fma_f64 v[9:10], v[3:4], v[7:8], -v[11:12]
	v_fma_f64 v[11:12], v[1:2], v[7:8], v[15:16]
	scratch_store_b128 off, v[9:12], off offset:448
.LBB111_127:
	s_or_b32 exec_lo, exec_lo, s2
	s_waitcnt_vscnt null, 0x0
	s_barrier
	buffer_gl0_inv
	scratch_load_b128 v[1:4], v157, off
	s_mov_b32 s2, exec_lo
	s_waitcnt vmcnt(0)
	ds_store_b128 v5, v[1:4]
	s_waitcnt lgkmcnt(0)
	s_barrier
	buffer_gl0_inv
	v_cmpx_gt_u32_e32 29, v138
	s_cbranch_execz .LBB111_131
; %bb.128:
	v_dual_mov_b32 v1, 0 :: v_dual_add_nc_u32 v8, 0x300, v13
	v_dual_mov_b32 v2, 0 :: v_dual_add_nc_u32 v7, -1, v138
	v_or_b32_e32 v9, 8, v14
	s_mov_b32 s3, 0
	s_delay_alu instid0(VALU_DEP_2)
	v_dual_mov_b32 v4, v2 :: v_dual_mov_b32 v3, v1
	.p2align	6
.LBB111_129:                            ; =>This Inner Loop Header: Depth=1
	scratch_load_b128 v[15:18], v9, off offset:-8
	ds_load_b128 v[19:22], v8
	v_add_nc_u32_e32 v7, 1, v7
	v_add_nc_u32_e32 v8, 16, v8
	;; [unrolled: 1-line block ×3, first 2 shown]
	s_delay_alu instid0(VALU_DEP_3) | instskip(SKIP_4) | instid1(VALU_DEP_2)
	v_cmp_lt_u32_e32 vcc_lo, 27, v7
	s_or_b32 s3, vcc_lo, s3
	s_waitcnt vmcnt(0) lgkmcnt(0)
	v_mul_f64 v[10:11], v[21:22], v[17:18]
	v_mul_f64 v[17:18], v[19:20], v[17:18]
	v_fma_f64 v[10:11], v[19:20], v[15:16], -v[10:11]
	s_delay_alu instid0(VALU_DEP_2) | instskip(NEXT) | instid1(VALU_DEP_2)
	v_fma_f64 v[15:16], v[21:22], v[15:16], v[17:18]
	v_add_f64 v[3:4], v[3:4], v[10:11]
	s_delay_alu instid0(VALU_DEP_2)
	v_add_f64 v[1:2], v[1:2], v[15:16]
	s_and_not1_b32 exec_lo, exec_lo, s3
	s_cbranch_execnz .LBB111_129
; %bb.130:
	s_or_b32 exec_lo, exec_lo, s3
	v_mov_b32_e32 v7, 0
	ds_load_b128 v[7:10], v7 offset:464
	s_waitcnt lgkmcnt(0)
	v_mul_f64 v[11:12], v[1:2], v[9:10]
	v_mul_f64 v[15:16], v[3:4], v[9:10]
	s_delay_alu instid0(VALU_DEP_2) | instskip(NEXT) | instid1(VALU_DEP_2)
	v_fma_f64 v[9:10], v[3:4], v[7:8], -v[11:12]
	v_fma_f64 v[11:12], v[1:2], v[7:8], v[15:16]
	scratch_store_b128 off, v[9:12], off offset:464
.LBB111_131:
	s_or_b32 exec_lo, exec_lo, s2
	s_waitcnt_vscnt null, 0x0
	s_barrier
	buffer_gl0_inv
	scratch_load_b128 v[1:4], v155, off
	s_mov_b32 s2, exec_lo
	s_waitcnt vmcnt(0)
	ds_store_b128 v5, v[1:4]
	s_waitcnt lgkmcnt(0)
	s_barrier
	buffer_gl0_inv
	v_cmpx_gt_u32_e32 30, v138
	s_cbranch_execz .LBB111_135
; %bb.132:
	v_dual_mov_b32 v1, 0 :: v_dual_add_nc_u32 v8, 0x300, v13
	v_dual_mov_b32 v2, 0 :: v_dual_add_nc_u32 v7, -1, v138
	v_or_b32_e32 v9, 8, v14
	s_mov_b32 s3, 0
	s_delay_alu instid0(VALU_DEP_2)
	v_dual_mov_b32 v4, v2 :: v_dual_mov_b32 v3, v1
	.p2align	6
.LBB111_133:                            ; =>This Inner Loop Header: Depth=1
	scratch_load_b128 v[15:18], v9, off offset:-8
	ds_load_b128 v[19:22], v8
	v_add_nc_u32_e32 v7, 1, v7
	v_add_nc_u32_e32 v8, 16, v8
	v_add_nc_u32_e32 v9, 16, v9
	s_delay_alu instid0(VALU_DEP_3) | instskip(SKIP_4) | instid1(VALU_DEP_2)
	v_cmp_lt_u32_e32 vcc_lo, 28, v7
	s_or_b32 s3, vcc_lo, s3
	s_waitcnt vmcnt(0) lgkmcnt(0)
	v_mul_f64 v[10:11], v[21:22], v[17:18]
	v_mul_f64 v[17:18], v[19:20], v[17:18]
	v_fma_f64 v[10:11], v[19:20], v[15:16], -v[10:11]
	s_delay_alu instid0(VALU_DEP_2) | instskip(NEXT) | instid1(VALU_DEP_2)
	v_fma_f64 v[15:16], v[21:22], v[15:16], v[17:18]
	v_add_f64 v[3:4], v[3:4], v[10:11]
	s_delay_alu instid0(VALU_DEP_2)
	v_add_f64 v[1:2], v[1:2], v[15:16]
	s_and_not1_b32 exec_lo, exec_lo, s3
	s_cbranch_execnz .LBB111_133
; %bb.134:
	s_or_b32 exec_lo, exec_lo, s3
	v_mov_b32_e32 v7, 0
	ds_load_b128 v[7:10], v7 offset:480
	s_waitcnt lgkmcnt(0)
	v_mul_f64 v[11:12], v[1:2], v[9:10]
	v_mul_f64 v[15:16], v[3:4], v[9:10]
	s_delay_alu instid0(VALU_DEP_2) | instskip(NEXT) | instid1(VALU_DEP_2)
	v_fma_f64 v[9:10], v[3:4], v[7:8], -v[11:12]
	v_fma_f64 v[11:12], v[1:2], v[7:8], v[15:16]
	scratch_store_b128 off, v[9:12], off offset:480
.LBB111_135:
	s_or_b32 exec_lo, exec_lo, s2
	s_waitcnt_vscnt null, 0x0
	s_barrier
	buffer_gl0_inv
	scratch_load_b128 v[1:4], v156, off
	s_mov_b32 s2, exec_lo
	s_waitcnt vmcnt(0)
	ds_store_b128 v5, v[1:4]
	s_waitcnt lgkmcnt(0)
	s_barrier
	buffer_gl0_inv
	v_cmpx_gt_u32_e32 31, v138
	s_cbranch_execz .LBB111_139
; %bb.136:
	v_dual_mov_b32 v1, 0 :: v_dual_add_nc_u32 v8, 0x300, v13
	v_dual_mov_b32 v2, 0 :: v_dual_add_nc_u32 v7, -1, v138
	v_or_b32_e32 v9, 8, v14
	s_mov_b32 s3, 0
	s_delay_alu instid0(VALU_DEP_2)
	v_dual_mov_b32 v4, v2 :: v_dual_mov_b32 v3, v1
	.p2align	6
.LBB111_137:                            ; =>This Inner Loop Header: Depth=1
	scratch_load_b128 v[15:18], v9, off offset:-8
	ds_load_b128 v[19:22], v8
	v_add_nc_u32_e32 v7, 1, v7
	v_add_nc_u32_e32 v8, 16, v8
	;; [unrolled: 1-line block ×3, first 2 shown]
	s_delay_alu instid0(VALU_DEP_3) | instskip(SKIP_4) | instid1(VALU_DEP_2)
	v_cmp_lt_u32_e32 vcc_lo, 29, v7
	s_or_b32 s3, vcc_lo, s3
	s_waitcnt vmcnt(0) lgkmcnt(0)
	v_mul_f64 v[10:11], v[21:22], v[17:18]
	v_mul_f64 v[17:18], v[19:20], v[17:18]
	v_fma_f64 v[10:11], v[19:20], v[15:16], -v[10:11]
	s_delay_alu instid0(VALU_DEP_2) | instskip(NEXT) | instid1(VALU_DEP_2)
	v_fma_f64 v[15:16], v[21:22], v[15:16], v[17:18]
	v_add_f64 v[3:4], v[3:4], v[10:11]
	s_delay_alu instid0(VALU_DEP_2)
	v_add_f64 v[1:2], v[1:2], v[15:16]
	s_and_not1_b32 exec_lo, exec_lo, s3
	s_cbranch_execnz .LBB111_137
; %bb.138:
	s_or_b32 exec_lo, exec_lo, s3
	v_mov_b32_e32 v7, 0
	ds_load_b128 v[7:10], v7 offset:496
	s_waitcnt lgkmcnt(0)
	v_mul_f64 v[11:12], v[1:2], v[9:10]
	v_mul_f64 v[15:16], v[3:4], v[9:10]
	s_delay_alu instid0(VALU_DEP_2) | instskip(NEXT) | instid1(VALU_DEP_2)
	v_fma_f64 v[9:10], v[3:4], v[7:8], -v[11:12]
	v_fma_f64 v[11:12], v[1:2], v[7:8], v[15:16]
	scratch_store_b128 off, v[9:12], off offset:496
.LBB111_139:
	s_or_b32 exec_lo, exec_lo, s2
	s_waitcnt_vscnt null, 0x0
	s_barrier
	buffer_gl0_inv
	scratch_load_b128 v[1:4], v154, off
	s_mov_b32 s2, exec_lo
	s_waitcnt vmcnt(0)
	ds_store_b128 v5, v[1:4]
	s_waitcnt lgkmcnt(0)
	s_barrier
	buffer_gl0_inv
	v_cmpx_gt_u32_e32 32, v138
	s_cbranch_execz .LBB111_143
; %bb.140:
	v_dual_mov_b32 v1, 0 :: v_dual_add_nc_u32 v8, 0x300, v13
	v_dual_mov_b32 v2, 0 :: v_dual_add_nc_u32 v7, -1, v138
	v_or_b32_e32 v9, 8, v14
	s_mov_b32 s3, 0
	s_delay_alu instid0(VALU_DEP_2)
	v_dual_mov_b32 v4, v2 :: v_dual_mov_b32 v3, v1
	.p2align	6
.LBB111_141:                            ; =>This Inner Loop Header: Depth=1
	scratch_load_b128 v[15:18], v9, off offset:-8
	ds_load_b128 v[19:22], v8
	v_add_nc_u32_e32 v7, 1, v7
	v_add_nc_u32_e32 v8, 16, v8
	;; [unrolled: 1-line block ×3, first 2 shown]
	s_delay_alu instid0(VALU_DEP_3) | instskip(SKIP_4) | instid1(VALU_DEP_2)
	v_cmp_lt_u32_e32 vcc_lo, 30, v7
	s_or_b32 s3, vcc_lo, s3
	s_waitcnt vmcnt(0) lgkmcnt(0)
	v_mul_f64 v[10:11], v[21:22], v[17:18]
	v_mul_f64 v[17:18], v[19:20], v[17:18]
	v_fma_f64 v[10:11], v[19:20], v[15:16], -v[10:11]
	s_delay_alu instid0(VALU_DEP_2) | instskip(NEXT) | instid1(VALU_DEP_2)
	v_fma_f64 v[15:16], v[21:22], v[15:16], v[17:18]
	v_add_f64 v[3:4], v[3:4], v[10:11]
	s_delay_alu instid0(VALU_DEP_2)
	v_add_f64 v[1:2], v[1:2], v[15:16]
	s_and_not1_b32 exec_lo, exec_lo, s3
	s_cbranch_execnz .LBB111_141
; %bb.142:
	s_or_b32 exec_lo, exec_lo, s3
	v_mov_b32_e32 v7, 0
	ds_load_b128 v[7:10], v7 offset:512
	s_waitcnt lgkmcnt(0)
	v_mul_f64 v[11:12], v[1:2], v[9:10]
	v_mul_f64 v[15:16], v[3:4], v[9:10]
	s_delay_alu instid0(VALU_DEP_2) | instskip(NEXT) | instid1(VALU_DEP_2)
	v_fma_f64 v[9:10], v[3:4], v[7:8], -v[11:12]
	v_fma_f64 v[11:12], v[1:2], v[7:8], v[15:16]
	scratch_store_b128 off, v[9:12], off offset:512
.LBB111_143:
	s_or_b32 exec_lo, exec_lo, s2
	s_waitcnt_vscnt null, 0x0
	s_barrier
	buffer_gl0_inv
	scratch_load_b128 v[1:4], v153, off
	s_mov_b32 s2, exec_lo
	s_waitcnt vmcnt(0)
	ds_store_b128 v5, v[1:4]
	s_waitcnt lgkmcnt(0)
	s_barrier
	buffer_gl0_inv
	v_cmpx_gt_u32_e32 33, v138
	s_cbranch_execz .LBB111_147
; %bb.144:
	v_dual_mov_b32 v1, 0 :: v_dual_add_nc_u32 v8, 0x300, v13
	v_dual_mov_b32 v2, 0 :: v_dual_add_nc_u32 v7, -1, v138
	v_or_b32_e32 v9, 8, v14
	s_mov_b32 s3, 0
	s_delay_alu instid0(VALU_DEP_2)
	v_dual_mov_b32 v4, v2 :: v_dual_mov_b32 v3, v1
	.p2align	6
.LBB111_145:                            ; =>This Inner Loop Header: Depth=1
	scratch_load_b128 v[15:18], v9, off offset:-8
	ds_load_b128 v[19:22], v8
	v_add_nc_u32_e32 v7, 1, v7
	v_add_nc_u32_e32 v8, 16, v8
	v_add_nc_u32_e32 v9, 16, v9
	s_delay_alu instid0(VALU_DEP_3) | instskip(SKIP_4) | instid1(VALU_DEP_2)
	v_cmp_lt_u32_e32 vcc_lo, 31, v7
	s_or_b32 s3, vcc_lo, s3
	s_waitcnt vmcnt(0) lgkmcnt(0)
	v_mul_f64 v[10:11], v[21:22], v[17:18]
	v_mul_f64 v[17:18], v[19:20], v[17:18]
	v_fma_f64 v[10:11], v[19:20], v[15:16], -v[10:11]
	s_delay_alu instid0(VALU_DEP_2) | instskip(NEXT) | instid1(VALU_DEP_2)
	v_fma_f64 v[15:16], v[21:22], v[15:16], v[17:18]
	v_add_f64 v[3:4], v[3:4], v[10:11]
	s_delay_alu instid0(VALU_DEP_2)
	v_add_f64 v[1:2], v[1:2], v[15:16]
	s_and_not1_b32 exec_lo, exec_lo, s3
	s_cbranch_execnz .LBB111_145
; %bb.146:
	s_or_b32 exec_lo, exec_lo, s3
	v_mov_b32_e32 v7, 0
	ds_load_b128 v[7:10], v7 offset:528
	s_waitcnt lgkmcnt(0)
	v_mul_f64 v[11:12], v[1:2], v[9:10]
	v_mul_f64 v[15:16], v[3:4], v[9:10]
	s_delay_alu instid0(VALU_DEP_2) | instskip(NEXT) | instid1(VALU_DEP_2)
	v_fma_f64 v[9:10], v[3:4], v[7:8], -v[11:12]
	v_fma_f64 v[11:12], v[1:2], v[7:8], v[15:16]
	scratch_store_b128 off, v[9:12], off offset:528
.LBB111_147:
	s_or_b32 exec_lo, exec_lo, s2
	s_waitcnt_vscnt null, 0x0
	s_barrier
	buffer_gl0_inv
	scratch_load_b128 v[1:4], v148, off
	s_mov_b32 s2, exec_lo
	s_waitcnt vmcnt(0)
	ds_store_b128 v5, v[1:4]
	s_waitcnt lgkmcnt(0)
	s_barrier
	buffer_gl0_inv
	v_cmpx_gt_u32_e32 34, v138
	s_cbranch_execz .LBB111_151
; %bb.148:
	v_dual_mov_b32 v1, 0 :: v_dual_add_nc_u32 v8, 0x300, v13
	v_dual_mov_b32 v2, 0 :: v_dual_add_nc_u32 v7, -1, v138
	v_or_b32_e32 v9, 8, v14
	s_mov_b32 s3, 0
	s_delay_alu instid0(VALU_DEP_2)
	v_dual_mov_b32 v4, v2 :: v_dual_mov_b32 v3, v1
	.p2align	6
.LBB111_149:                            ; =>This Inner Loop Header: Depth=1
	scratch_load_b128 v[15:18], v9, off offset:-8
	ds_load_b128 v[19:22], v8
	v_add_nc_u32_e32 v7, 1, v7
	v_add_nc_u32_e32 v8, 16, v8
	;; [unrolled: 1-line block ×3, first 2 shown]
	s_delay_alu instid0(VALU_DEP_3) | instskip(SKIP_4) | instid1(VALU_DEP_2)
	v_cmp_lt_u32_e32 vcc_lo, 32, v7
	s_or_b32 s3, vcc_lo, s3
	s_waitcnt vmcnt(0) lgkmcnt(0)
	v_mul_f64 v[10:11], v[21:22], v[17:18]
	v_mul_f64 v[17:18], v[19:20], v[17:18]
	v_fma_f64 v[10:11], v[19:20], v[15:16], -v[10:11]
	s_delay_alu instid0(VALU_DEP_2) | instskip(NEXT) | instid1(VALU_DEP_2)
	v_fma_f64 v[15:16], v[21:22], v[15:16], v[17:18]
	v_add_f64 v[3:4], v[3:4], v[10:11]
	s_delay_alu instid0(VALU_DEP_2)
	v_add_f64 v[1:2], v[1:2], v[15:16]
	s_and_not1_b32 exec_lo, exec_lo, s3
	s_cbranch_execnz .LBB111_149
; %bb.150:
	s_or_b32 exec_lo, exec_lo, s3
	v_mov_b32_e32 v7, 0
	ds_load_b128 v[7:10], v7 offset:544
	s_waitcnt lgkmcnt(0)
	v_mul_f64 v[11:12], v[1:2], v[9:10]
	v_mul_f64 v[15:16], v[3:4], v[9:10]
	s_delay_alu instid0(VALU_DEP_2) | instskip(NEXT) | instid1(VALU_DEP_2)
	v_fma_f64 v[9:10], v[3:4], v[7:8], -v[11:12]
	v_fma_f64 v[11:12], v[1:2], v[7:8], v[15:16]
	scratch_store_b128 off, v[9:12], off offset:544
.LBB111_151:
	s_or_b32 exec_lo, exec_lo, s2
	s_waitcnt_vscnt null, 0x0
	s_barrier
	buffer_gl0_inv
	scratch_load_b128 v[1:4], v149, off
	s_mov_b32 s2, exec_lo
	s_waitcnt vmcnt(0)
	ds_store_b128 v5, v[1:4]
	s_waitcnt lgkmcnt(0)
	s_barrier
	buffer_gl0_inv
	v_cmpx_gt_u32_e32 35, v138
	s_cbranch_execz .LBB111_155
; %bb.152:
	v_dual_mov_b32 v1, 0 :: v_dual_add_nc_u32 v8, 0x300, v13
	v_dual_mov_b32 v2, 0 :: v_dual_add_nc_u32 v7, -1, v138
	v_or_b32_e32 v9, 8, v14
	s_mov_b32 s3, 0
	s_delay_alu instid0(VALU_DEP_2)
	v_dual_mov_b32 v4, v2 :: v_dual_mov_b32 v3, v1
	.p2align	6
.LBB111_153:                            ; =>This Inner Loop Header: Depth=1
	scratch_load_b128 v[15:18], v9, off offset:-8
	ds_load_b128 v[19:22], v8
	v_add_nc_u32_e32 v7, 1, v7
	v_add_nc_u32_e32 v8, 16, v8
	;; [unrolled: 1-line block ×3, first 2 shown]
	s_delay_alu instid0(VALU_DEP_3) | instskip(SKIP_4) | instid1(VALU_DEP_2)
	v_cmp_lt_u32_e32 vcc_lo, 33, v7
	s_or_b32 s3, vcc_lo, s3
	s_waitcnt vmcnt(0) lgkmcnt(0)
	v_mul_f64 v[10:11], v[21:22], v[17:18]
	v_mul_f64 v[17:18], v[19:20], v[17:18]
	v_fma_f64 v[10:11], v[19:20], v[15:16], -v[10:11]
	s_delay_alu instid0(VALU_DEP_2) | instskip(NEXT) | instid1(VALU_DEP_2)
	v_fma_f64 v[15:16], v[21:22], v[15:16], v[17:18]
	v_add_f64 v[3:4], v[3:4], v[10:11]
	s_delay_alu instid0(VALU_DEP_2)
	v_add_f64 v[1:2], v[1:2], v[15:16]
	s_and_not1_b32 exec_lo, exec_lo, s3
	s_cbranch_execnz .LBB111_153
; %bb.154:
	s_or_b32 exec_lo, exec_lo, s3
	v_mov_b32_e32 v7, 0
	ds_load_b128 v[7:10], v7 offset:560
	s_waitcnt lgkmcnt(0)
	v_mul_f64 v[11:12], v[1:2], v[9:10]
	v_mul_f64 v[15:16], v[3:4], v[9:10]
	s_delay_alu instid0(VALU_DEP_2) | instskip(NEXT) | instid1(VALU_DEP_2)
	v_fma_f64 v[9:10], v[3:4], v[7:8], -v[11:12]
	v_fma_f64 v[11:12], v[1:2], v[7:8], v[15:16]
	scratch_store_b128 off, v[9:12], off offset:560
.LBB111_155:
	s_or_b32 exec_lo, exec_lo, s2
	s_waitcnt_vscnt null, 0x0
	s_barrier
	buffer_gl0_inv
	scratch_load_b128 v[1:4], v143, off
	s_mov_b32 s2, exec_lo
	s_waitcnt vmcnt(0)
	ds_store_b128 v5, v[1:4]
	s_waitcnt lgkmcnt(0)
	s_barrier
	buffer_gl0_inv
	v_cmpx_gt_u32_e32 36, v138
	s_cbranch_execz .LBB111_159
; %bb.156:
	v_dual_mov_b32 v1, 0 :: v_dual_add_nc_u32 v8, 0x300, v13
	v_dual_mov_b32 v2, 0 :: v_dual_add_nc_u32 v7, -1, v138
	v_or_b32_e32 v9, 8, v14
	s_mov_b32 s3, 0
	s_delay_alu instid0(VALU_DEP_2)
	v_dual_mov_b32 v4, v2 :: v_dual_mov_b32 v3, v1
	.p2align	6
.LBB111_157:                            ; =>This Inner Loop Header: Depth=1
	scratch_load_b128 v[15:18], v9, off offset:-8
	ds_load_b128 v[19:22], v8
	v_add_nc_u32_e32 v7, 1, v7
	v_add_nc_u32_e32 v8, 16, v8
	;; [unrolled: 1-line block ×3, first 2 shown]
	s_delay_alu instid0(VALU_DEP_3) | instskip(SKIP_4) | instid1(VALU_DEP_2)
	v_cmp_lt_u32_e32 vcc_lo, 34, v7
	s_or_b32 s3, vcc_lo, s3
	s_waitcnt vmcnt(0) lgkmcnt(0)
	v_mul_f64 v[10:11], v[21:22], v[17:18]
	v_mul_f64 v[17:18], v[19:20], v[17:18]
	v_fma_f64 v[10:11], v[19:20], v[15:16], -v[10:11]
	s_delay_alu instid0(VALU_DEP_2) | instskip(NEXT) | instid1(VALU_DEP_2)
	v_fma_f64 v[15:16], v[21:22], v[15:16], v[17:18]
	v_add_f64 v[3:4], v[3:4], v[10:11]
	s_delay_alu instid0(VALU_DEP_2)
	v_add_f64 v[1:2], v[1:2], v[15:16]
	s_and_not1_b32 exec_lo, exec_lo, s3
	s_cbranch_execnz .LBB111_157
; %bb.158:
	s_or_b32 exec_lo, exec_lo, s3
	v_mov_b32_e32 v7, 0
	ds_load_b128 v[7:10], v7 offset:576
	s_waitcnt lgkmcnt(0)
	v_mul_f64 v[11:12], v[1:2], v[9:10]
	v_mul_f64 v[15:16], v[3:4], v[9:10]
	s_delay_alu instid0(VALU_DEP_2) | instskip(NEXT) | instid1(VALU_DEP_2)
	v_fma_f64 v[9:10], v[3:4], v[7:8], -v[11:12]
	v_fma_f64 v[11:12], v[1:2], v[7:8], v[15:16]
	scratch_store_b128 off, v[9:12], off offset:576
.LBB111_159:
	s_or_b32 exec_lo, exec_lo, s2
	s_waitcnt_vscnt null, 0x0
	s_barrier
	buffer_gl0_inv
	scratch_load_b128 v[1:4], v142, off
	s_mov_b32 s2, exec_lo
	s_waitcnt vmcnt(0)
	ds_store_b128 v5, v[1:4]
	s_waitcnt lgkmcnt(0)
	s_barrier
	buffer_gl0_inv
	v_cmpx_gt_u32_e32 37, v138
	s_cbranch_execz .LBB111_163
; %bb.160:
	v_dual_mov_b32 v1, 0 :: v_dual_add_nc_u32 v8, 0x300, v13
	v_dual_mov_b32 v2, 0 :: v_dual_add_nc_u32 v7, -1, v138
	v_or_b32_e32 v9, 8, v14
	s_mov_b32 s3, 0
	s_delay_alu instid0(VALU_DEP_2)
	v_dual_mov_b32 v4, v2 :: v_dual_mov_b32 v3, v1
	.p2align	6
.LBB111_161:                            ; =>This Inner Loop Header: Depth=1
	scratch_load_b128 v[15:18], v9, off offset:-8
	ds_load_b128 v[19:22], v8
	v_add_nc_u32_e32 v7, 1, v7
	v_add_nc_u32_e32 v8, 16, v8
	;; [unrolled: 1-line block ×3, first 2 shown]
	s_delay_alu instid0(VALU_DEP_3) | instskip(SKIP_4) | instid1(VALU_DEP_2)
	v_cmp_lt_u32_e32 vcc_lo, 35, v7
	s_or_b32 s3, vcc_lo, s3
	s_waitcnt vmcnt(0) lgkmcnt(0)
	v_mul_f64 v[10:11], v[21:22], v[17:18]
	v_mul_f64 v[17:18], v[19:20], v[17:18]
	v_fma_f64 v[10:11], v[19:20], v[15:16], -v[10:11]
	s_delay_alu instid0(VALU_DEP_2) | instskip(NEXT) | instid1(VALU_DEP_2)
	v_fma_f64 v[15:16], v[21:22], v[15:16], v[17:18]
	v_add_f64 v[3:4], v[3:4], v[10:11]
	s_delay_alu instid0(VALU_DEP_2)
	v_add_f64 v[1:2], v[1:2], v[15:16]
	s_and_not1_b32 exec_lo, exec_lo, s3
	s_cbranch_execnz .LBB111_161
; %bb.162:
	s_or_b32 exec_lo, exec_lo, s3
	v_mov_b32_e32 v7, 0
	ds_load_b128 v[7:10], v7 offset:592
	s_waitcnt lgkmcnt(0)
	v_mul_f64 v[11:12], v[1:2], v[9:10]
	v_mul_f64 v[15:16], v[3:4], v[9:10]
	s_delay_alu instid0(VALU_DEP_2) | instskip(NEXT) | instid1(VALU_DEP_2)
	v_fma_f64 v[9:10], v[3:4], v[7:8], -v[11:12]
	v_fma_f64 v[11:12], v[1:2], v[7:8], v[15:16]
	scratch_store_b128 off, v[9:12], off offset:592
.LBB111_163:
	s_or_b32 exec_lo, exec_lo, s2
	s_waitcnt_vscnt null, 0x0
	s_barrier
	buffer_gl0_inv
	scratch_load_b128 v[1:4], v140, off
	s_mov_b32 s2, exec_lo
	s_waitcnt vmcnt(0)
	ds_store_b128 v5, v[1:4]
	s_waitcnt lgkmcnt(0)
	s_barrier
	buffer_gl0_inv
	v_cmpx_gt_u32_e32 38, v138
	s_cbranch_execz .LBB111_167
; %bb.164:
	v_dual_mov_b32 v1, 0 :: v_dual_add_nc_u32 v8, 0x300, v13
	v_dual_mov_b32 v2, 0 :: v_dual_add_nc_u32 v7, -1, v138
	v_or_b32_e32 v9, 8, v14
	s_mov_b32 s3, 0
	s_delay_alu instid0(VALU_DEP_2)
	v_dual_mov_b32 v4, v2 :: v_dual_mov_b32 v3, v1
	.p2align	6
.LBB111_165:                            ; =>This Inner Loop Header: Depth=1
	scratch_load_b128 v[15:18], v9, off offset:-8
	ds_load_b128 v[19:22], v8
	v_add_nc_u32_e32 v7, 1, v7
	v_add_nc_u32_e32 v8, 16, v8
	;; [unrolled: 1-line block ×3, first 2 shown]
	s_delay_alu instid0(VALU_DEP_3) | instskip(SKIP_4) | instid1(VALU_DEP_2)
	v_cmp_lt_u32_e32 vcc_lo, 36, v7
	s_or_b32 s3, vcc_lo, s3
	s_waitcnt vmcnt(0) lgkmcnt(0)
	v_mul_f64 v[10:11], v[21:22], v[17:18]
	v_mul_f64 v[17:18], v[19:20], v[17:18]
	v_fma_f64 v[10:11], v[19:20], v[15:16], -v[10:11]
	s_delay_alu instid0(VALU_DEP_2) | instskip(NEXT) | instid1(VALU_DEP_2)
	v_fma_f64 v[15:16], v[21:22], v[15:16], v[17:18]
	v_add_f64 v[3:4], v[3:4], v[10:11]
	s_delay_alu instid0(VALU_DEP_2)
	v_add_f64 v[1:2], v[1:2], v[15:16]
	s_and_not1_b32 exec_lo, exec_lo, s3
	s_cbranch_execnz .LBB111_165
; %bb.166:
	s_or_b32 exec_lo, exec_lo, s3
	v_mov_b32_e32 v7, 0
	ds_load_b128 v[7:10], v7 offset:608
	s_waitcnt lgkmcnt(0)
	v_mul_f64 v[11:12], v[1:2], v[9:10]
	v_mul_f64 v[15:16], v[3:4], v[9:10]
	s_delay_alu instid0(VALU_DEP_2) | instskip(NEXT) | instid1(VALU_DEP_2)
	v_fma_f64 v[9:10], v[3:4], v[7:8], -v[11:12]
	v_fma_f64 v[11:12], v[1:2], v[7:8], v[15:16]
	scratch_store_b128 off, v[9:12], off offset:608
.LBB111_167:
	s_or_b32 exec_lo, exec_lo, s2
	s_waitcnt_vscnt null, 0x0
	s_barrier
	buffer_gl0_inv
	scratch_load_b128 v[1:4], v141, off
	s_mov_b32 s2, exec_lo
	s_waitcnt vmcnt(0)
	ds_store_b128 v5, v[1:4]
	s_waitcnt lgkmcnt(0)
	s_barrier
	buffer_gl0_inv
	v_cmpx_gt_u32_e32 39, v138
	s_cbranch_execz .LBB111_171
; %bb.168:
	v_dual_mov_b32 v1, 0 :: v_dual_add_nc_u32 v8, 0x300, v13
	v_dual_mov_b32 v2, 0 :: v_dual_add_nc_u32 v7, -1, v138
	v_or_b32_e32 v9, 8, v14
	s_mov_b32 s3, 0
	s_delay_alu instid0(VALU_DEP_2)
	v_dual_mov_b32 v4, v2 :: v_dual_mov_b32 v3, v1
	.p2align	6
.LBB111_169:                            ; =>This Inner Loop Header: Depth=1
	scratch_load_b128 v[15:18], v9, off offset:-8
	ds_load_b128 v[19:22], v8
	v_add_nc_u32_e32 v7, 1, v7
	v_add_nc_u32_e32 v8, 16, v8
	;; [unrolled: 1-line block ×3, first 2 shown]
	s_delay_alu instid0(VALU_DEP_3) | instskip(SKIP_4) | instid1(VALU_DEP_2)
	v_cmp_lt_u32_e32 vcc_lo, 37, v7
	s_or_b32 s3, vcc_lo, s3
	s_waitcnt vmcnt(0) lgkmcnt(0)
	v_mul_f64 v[10:11], v[21:22], v[17:18]
	v_mul_f64 v[17:18], v[19:20], v[17:18]
	v_fma_f64 v[10:11], v[19:20], v[15:16], -v[10:11]
	s_delay_alu instid0(VALU_DEP_2) | instskip(NEXT) | instid1(VALU_DEP_2)
	v_fma_f64 v[15:16], v[21:22], v[15:16], v[17:18]
	v_add_f64 v[3:4], v[3:4], v[10:11]
	s_delay_alu instid0(VALU_DEP_2)
	v_add_f64 v[1:2], v[1:2], v[15:16]
	s_and_not1_b32 exec_lo, exec_lo, s3
	s_cbranch_execnz .LBB111_169
; %bb.170:
	s_or_b32 exec_lo, exec_lo, s3
	v_mov_b32_e32 v7, 0
	ds_load_b128 v[7:10], v7 offset:624
	s_waitcnt lgkmcnt(0)
	v_mul_f64 v[11:12], v[1:2], v[9:10]
	v_mul_f64 v[15:16], v[3:4], v[9:10]
	s_delay_alu instid0(VALU_DEP_2) | instskip(NEXT) | instid1(VALU_DEP_2)
	v_fma_f64 v[9:10], v[3:4], v[7:8], -v[11:12]
	v_fma_f64 v[11:12], v[1:2], v[7:8], v[15:16]
	scratch_store_b128 off, v[9:12], off offset:624
.LBB111_171:
	s_or_b32 exec_lo, exec_lo, s2
	s_waitcnt_vscnt null, 0x0
	s_barrier
	buffer_gl0_inv
	scratch_load_b128 v[1:4], v139, off
	s_mov_b32 s2, exec_lo
	s_waitcnt vmcnt(0)
	ds_store_b128 v5, v[1:4]
	s_waitcnt lgkmcnt(0)
	s_barrier
	buffer_gl0_inv
	v_cmpx_gt_u32_e32 40, v138
	s_cbranch_execz .LBB111_175
; %bb.172:
	v_dual_mov_b32 v1, 0 :: v_dual_add_nc_u32 v8, 0x300, v13
	v_dual_mov_b32 v2, 0 :: v_dual_add_nc_u32 v7, -1, v138
	v_or_b32_e32 v9, 8, v14
	s_mov_b32 s3, 0
	s_delay_alu instid0(VALU_DEP_2)
	v_dual_mov_b32 v4, v2 :: v_dual_mov_b32 v3, v1
	.p2align	6
.LBB111_173:                            ; =>This Inner Loop Header: Depth=1
	scratch_load_b128 v[15:18], v9, off offset:-8
	ds_load_b128 v[19:22], v8
	v_add_nc_u32_e32 v7, 1, v7
	v_add_nc_u32_e32 v8, 16, v8
	;; [unrolled: 1-line block ×3, first 2 shown]
	s_delay_alu instid0(VALU_DEP_3) | instskip(SKIP_4) | instid1(VALU_DEP_2)
	v_cmp_lt_u32_e32 vcc_lo, 38, v7
	s_or_b32 s3, vcc_lo, s3
	s_waitcnt vmcnt(0) lgkmcnt(0)
	v_mul_f64 v[10:11], v[21:22], v[17:18]
	v_mul_f64 v[17:18], v[19:20], v[17:18]
	v_fma_f64 v[10:11], v[19:20], v[15:16], -v[10:11]
	s_delay_alu instid0(VALU_DEP_2) | instskip(NEXT) | instid1(VALU_DEP_2)
	v_fma_f64 v[15:16], v[21:22], v[15:16], v[17:18]
	v_add_f64 v[3:4], v[3:4], v[10:11]
	s_delay_alu instid0(VALU_DEP_2)
	v_add_f64 v[1:2], v[1:2], v[15:16]
	s_and_not1_b32 exec_lo, exec_lo, s3
	s_cbranch_execnz .LBB111_173
; %bb.174:
	s_or_b32 exec_lo, exec_lo, s3
	v_mov_b32_e32 v7, 0
	ds_load_b128 v[7:10], v7 offset:640
	s_waitcnt lgkmcnt(0)
	v_mul_f64 v[11:12], v[1:2], v[9:10]
	v_mul_f64 v[15:16], v[3:4], v[9:10]
	s_delay_alu instid0(VALU_DEP_2) | instskip(NEXT) | instid1(VALU_DEP_2)
	v_fma_f64 v[9:10], v[3:4], v[7:8], -v[11:12]
	v_fma_f64 v[11:12], v[1:2], v[7:8], v[15:16]
	scratch_store_b128 off, v[9:12], off offset:640
.LBB111_175:
	s_or_b32 exec_lo, exec_lo, s2
	s_waitcnt_vscnt null, 0x0
	s_barrier
	buffer_gl0_inv
	scratch_load_b128 v[1:4], v152, off
	s_mov_b32 s2, exec_lo
	s_waitcnt vmcnt(0)
	ds_store_b128 v5, v[1:4]
	s_waitcnt lgkmcnt(0)
	s_barrier
	buffer_gl0_inv
	v_cmpx_gt_u32_e32 41, v138
	s_cbranch_execz .LBB111_179
; %bb.176:
	v_dual_mov_b32 v1, 0 :: v_dual_add_nc_u32 v8, 0x300, v13
	v_dual_mov_b32 v2, 0 :: v_dual_add_nc_u32 v7, -1, v138
	v_or_b32_e32 v9, 8, v14
	s_mov_b32 s3, 0
	s_delay_alu instid0(VALU_DEP_2)
	v_dual_mov_b32 v4, v2 :: v_dual_mov_b32 v3, v1
	.p2align	6
.LBB111_177:                            ; =>This Inner Loop Header: Depth=1
	scratch_load_b128 v[15:18], v9, off offset:-8
	ds_load_b128 v[19:22], v8
	v_add_nc_u32_e32 v7, 1, v7
	v_add_nc_u32_e32 v8, 16, v8
	;; [unrolled: 1-line block ×3, first 2 shown]
	s_delay_alu instid0(VALU_DEP_3) | instskip(SKIP_4) | instid1(VALU_DEP_2)
	v_cmp_lt_u32_e32 vcc_lo, 39, v7
	s_or_b32 s3, vcc_lo, s3
	s_waitcnt vmcnt(0) lgkmcnt(0)
	v_mul_f64 v[10:11], v[21:22], v[17:18]
	v_mul_f64 v[17:18], v[19:20], v[17:18]
	v_fma_f64 v[10:11], v[19:20], v[15:16], -v[10:11]
	s_delay_alu instid0(VALU_DEP_2) | instskip(NEXT) | instid1(VALU_DEP_2)
	v_fma_f64 v[15:16], v[21:22], v[15:16], v[17:18]
	v_add_f64 v[3:4], v[3:4], v[10:11]
	s_delay_alu instid0(VALU_DEP_2)
	v_add_f64 v[1:2], v[1:2], v[15:16]
	s_and_not1_b32 exec_lo, exec_lo, s3
	s_cbranch_execnz .LBB111_177
; %bb.178:
	s_or_b32 exec_lo, exec_lo, s3
	v_mov_b32_e32 v7, 0
	ds_load_b128 v[7:10], v7 offset:656
	s_waitcnt lgkmcnt(0)
	v_mul_f64 v[11:12], v[1:2], v[9:10]
	v_mul_f64 v[15:16], v[3:4], v[9:10]
	s_delay_alu instid0(VALU_DEP_2) | instskip(NEXT) | instid1(VALU_DEP_2)
	v_fma_f64 v[9:10], v[3:4], v[7:8], -v[11:12]
	v_fma_f64 v[11:12], v[1:2], v[7:8], v[15:16]
	scratch_store_b128 off, v[9:12], off offset:656
.LBB111_179:
	s_or_b32 exec_lo, exec_lo, s2
	s_waitcnt_vscnt null, 0x0
	s_barrier
	buffer_gl0_inv
	scratch_load_b128 v[1:4], v151, off
	s_mov_b32 s2, exec_lo
	s_waitcnt vmcnt(0)
	ds_store_b128 v5, v[1:4]
	s_waitcnt lgkmcnt(0)
	s_barrier
	buffer_gl0_inv
	v_cmpx_gt_u32_e32 42, v138
	s_cbranch_execz .LBB111_183
; %bb.180:
	v_dual_mov_b32 v1, 0 :: v_dual_add_nc_u32 v8, 0x300, v13
	v_dual_mov_b32 v2, 0 :: v_dual_add_nc_u32 v7, -1, v138
	v_or_b32_e32 v9, 8, v14
	s_mov_b32 s3, 0
	s_delay_alu instid0(VALU_DEP_2)
	v_dual_mov_b32 v4, v2 :: v_dual_mov_b32 v3, v1
	.p2align	6
.LBB111_181:                            ; =>This Inner Loop Header: Depth=1
	scratch_load_b128 v[15:18], v9, off offset:-8
	ds_load_b128 v[19:22], v8
	v_add_nc_u32_e32 v7, 1, v7
	v_add_nc_u32_e32 v8, 16, v8
	;; [unrolled: 1-line block ×3, first 2 shown]
	s_delay_alu instid0(VALU_DEP_3) | instskip(SKIP_4) | instid1(VALU_DEP_2)
	v_cmp_lt_u32_e32 vcc_lo, 40, v7
	s_or_b32 s3, vcc_lo, s3
	s_waitcnt vmcnt(0) lgkmcnt(0)
	v_mul_f64 v[10:11], v[21:22], v[17:18]
	v_mul_f64 v[17:18], v[19:20], v[17:18]
	v_fma_f64 v[10:11], v[19:20], v[15:16], -v[10:11]
	s_delay_alu instid0(VALU_DEP_2) | instskip(NEXT) | instid1(VALU_DEP_2)
	v_fma_f64 v[15:16], v[21:22], v[15:16], v[17:18]
	v_add_f64 v[3:4], v[3:4], v[10:11]
	s_delay_alu instid0(VALU_DEP_2)
	v_add_f64 v[1:2], v[1:2], v[15:16]
	s_and_not1_b32 exec_lo, exec_lo, s3
	s_cbranch_execnz .LBB111_181
; %bb.182:
	s_or_b32 exec_lo, exec_lo, s3
	v_mov_b32_e32 v7, 0
	ds_load_b128 v[7:10], v7 offset:672
	s_waitcnt lgkmcnt(0)
	v_mul_f64 v[11:12], v[1:2], v[9:10]
	v_mul_f64 v[15:16], v[3:4], v[9:10]
	s_delay_alu instid0(VALU_DEP_2) | instskip(NEXT) | instid1(VALU_DEP_2)
	v_fma_f64 v[9:10], v[3:4], v[7:8], -v[11:12]
	v_fma_f64 v[11:12], v[1:2], v[7:8], v[15:16]
	scratch_store_b128 off, v[9:12], off offset:672
.LBB111_183:
	s_or_b32 exec_lo, exec_lo, s2
	s_waitcnt_vscnt null, 0x0
	s_barrier
	buffer_gl0_inv
	scratch_load_b128 v[1:4], v150, off
	s_mov_b32 s2, exec_lo
	s_waitcnt vmcnt(0)
	ds_store_b128 v5, v[1:4]
	s_waitcnt lgkmcnt(0)
	s_barrier
	buffer_gl0_inv
	v_cmpx_gt_u32_e32 43, v138
	s_cbranch_execz .LBB111_187
; %bb.184:
	v_dual_mov_b32 v1, 0 :: v_dual_add_nc_u32 v8, 0x300, v13
	v_dual_mov_b32 v2, 0 :: v_dual_add_nc_u32 v7, -1, v138
	v_or_b32_e32 v9, 8, v14
	s_mov_b32 s3, 0
	s_delay_alu instid0(VALU_DEP_2)
	v_dual_mov_b32 v4, v2 :: v_dual_mov_b32 v3, v1
	.p2align	6
.LBB111_185:                            ; =>This Inner Loop Header: Depth=1
	scratch_load_b128 v[15:18], v9, off offset:-8
	ds_load_b128 v[19:22], v8
	v_add_nc_u32_e32 v7, 1, v7
	v_add_nc_u32_e32 v8, 16, v8
	;; [unrolled: 1-line block ×3, first 2 shown]
	s_delay_alu instid0(VALU_DEP_3) | instskip(SKIP_4) | instid1(VALU_DEP_2)
	v_cmp_lt_u32_e32 vcc_lo, 41, v7
	s_or_b32 s3, vcc_lo, s3
	s_waitcnt vmcnt(0) lgkmcnt(0)
	v_mul_f64 v[10:11], v[21:22], v[17:18]
	v_mul_f64 v[17:18], v[19:20], v[17:18]
	v_fma_f64 v[10:11], v[19:20], v[15:16], -v[10:11]
	s_delay_alu instid0(VALU_DEP_2) | instskip(NEXT) | instid1(VALU_DEP_2)
	v_fma_f64 v[15:16], v[21:22], v[15:16], v[17:18]
	v_add_f64 v[3:4], v[3:4], v[10:11]
	s_delay_alu instid0(VALU_DEP_2)
	v_add_f64 v[1:2], v[1:2], v[15:16]
	s_and_not1_b32 exec_lo, exec_lo, s3
	s_cbranch_execnz .LBB111_185
; %bb.186:
	s_or_b32 exec_lo, exec_lo, s3
	v_mov_b32_e32 v7, 0
	ds_load_b128 v[7:10], v7 offset:688
	s_waitcnt lgkmcnt(0)
	v_mul_f64 v[11:12], v[1:2], v[9:10]
	v_mul_f64 v[15:16], v[3:4], v[9:10]
	s_delay_alu instid0(VALU_DEP_2) | instskip(NEXT) | instid1(VALU_DEP_2)
	v_fma_f64 v[9:10], v[3:4], v[7:8], -v[11:12]
	v_fma_f64 v[11:12], v[1:2], v[7:8], v[15:16]
	scratch_store_b128 off, v[9:12], off offset:688
.LBB111_187:
	s_or_b32 exec_lo, exec_lo, s2
	s_waitcnt_vscnt null, 0x0
	s_barrier
	buffer_gl0_inv
	scratch_load_b128 v[1:4], v147, off
	s_mov_b32 s2, exec_lo
	s_waitcnt vmcnt(0)
	ds_store_b128 v5, v[1:4]
	s_waitcnt lgkmcnt(0)
	s_barrier
	buffer_gl0_inv
	v_cmpx_gt_u32_e32 44, v138
	s_cbranch_execz .LBB111_191
; %bb.188:
	v_dual_mov_b32 v1, 0 :: v_dual_add_nc_u32 v8, 0x300, v13
	v_dual_mov_b32 v2, 0 :: v_dual_add_nc_u32 v7, -1, v138
	v_or_b32_e32 v9, 8, v14
	s_mov_b32 s3, 0
	s_delay_alu instid0(VALU_DEP_2)
	v_dual_mov_b32 v4, v2 :: v_dual_mov_b32 v3, v1
	.p2align	6
.LBB111_189:                            ; =>This Inner Loop Header: Depth=1
	scratch_load_b128 v[15:18], v9, off offset:-8
	ds_load_b128 v[19:22], v8
	v_add_nc_u32_e32 v7, 1, v7
	v_add_nc_u32_e32 v8, 16, v8
	;; [unrolled: 1-line block ×3, first 2 shown]
	s_delay_alu instid0(VALU_DEP_3) | instskip(SKIP_4) | instid1(VALU_DEP_2)
	v_cmp_lt_u32_e32 vcc_lo, 42, v7
	s_or_b32 s3, vcc_lo, s3
	s_waitcnt vmcnt(0) lgkmcnt(0)
	v_mul_f64 v[10:11], v[21:22], v[17:18]
	v_mul_f64 v[17:18], v[19:20], v[17:18]
	v_fma_f64 v[10:11], v[19:20], v[15:16], -v[10:11]
	s_delay_alu instid0(VALU_DEP_2) | instskip(NEXT) | instid1(VALU_DEP_2)
	v_fma_f64 v[15:16], v[21:22], v[15:16], v[17:18]
	v_add_f64 v[3:4], v[3:4], v[10:11]
	s_delay_alu instid0(VALU_DEP_2)
	v_add_f64 v[1:2], v[1:2], v[15:16]
	s_and_not1_b32 exec_lo, exec_lo, s3
	s_cbranch_execnz .LBB111_189
; %bb.190:
	s_or_b32 exec_lo, exec_lo, s3
	v_mov_b32_e32 v7, 0
	ds_load_b128 v[7:10], v7 offset:704
	s_waitcnt lgkmcnt(0)
	v_mul_f64 v[11:12], v[1:2], v[9:10]
	v_mul_f64 v[15:16], v[3:4], v[9:10]
	s_delay_alu instid0(VALU_DEP_2) | instskip(NEXT) | instid1(VALU_DEP_2)
	v_fma_f64 v[9:10], v[3:4], v[7:8], -v[11:12]
	v_fma_f64 v[11:12], v[1:2], v[7:8], v[15:16]
	scratch_store_b128 off, v[9:12], off offset:704
.LBB111_191:
	s_or_b32 exec_lo, exec_lo, s2
	s_waitcnt_vscnt null, 0x0
	s_barrier
	buffer_gl0_inv
	scratch_load_b128 v[1:4], v146, off
	s_mov_b32 s2, exec_lo
	s_waitcnt vmcnt(0)
	ds_store_b128 v5, v[1:4]
	s_waitcnt lgkmcnt(0)
	s_barrier
	buffer_gl0_inv
	v_cmpx_gt_u32_e32 45, v138
	s_cbranch_execz .LBB111_195
; %bb.192:
	v_dual_mov_b32 v1, 0 :: v_dual_add_nc_u32 v8, 0x300, v13
	v_dual_mov_b32 v2, 0 :: v_dual_add_nc_u32 v7, -1, v138
	v_or_b32_e32 v9, 8, v14
	s_mov_b32 s3, 0
	s_delay_alu instid0(VALU_DEP_2)
	v_dual_mov_b32 v4, v2 :: v_dual_mov_b32 v3, v1
	.p2align	6
.LBB111_193:                            ; =>This Inner Loop Header: Depth=1
	scratch_load_b128 v[15:18], v9, off offset:-8
	ds_load_b128 v[19:22], v8
	v_add_nc_u32_e32 v7, 1, v7
	v_add_nc_u32_e32 v8, 16, v8
	;; [unrolled: 1-line block ×3, first 2 shown]
	s_delay_alu instid0(VALU_DEP_3) | instskip(SKIP_4) | instid1(VALU_DEP_2)
	v_cmp_lt_u32_e32 vcc_lo, 43, v7
	s_or_b32 s3, vcc_lo, s3
	s_waitcnt vmcnt(0) lgkmcnt(0)
	v_mul_f64 v[10:11], v[21:22], v[17:18]
	v_mul_f64 v[17:18], v[19:20], v[17:18]
	v_fma_f64 v[10:11], v[19:20], v[15:16], -v[10:11]
	s_delay_alu instid0(VALU_DEP_2) | instskip(NEXT) | instid1(VALU_DEP_2)
	v_fma_f64 v[15:16], v[21:22], v[15:16], v[17:18]
	v_add_f64 v[3:4], v[3:4], v[10:11]
	s_delay_alu instid0(VALU_DEP_2)
	v_add_f64 v[1:2], v[1:2], v[15:16]
	s_and_not1_b32 exec_lo, exec_lo, s3
	s_cbranch_execnz .LBB111_193
; %bb.194:
	s_or_b32 exec_lo, exec_lo, s3
	v_mov_b32_e32 v7, 0
	ds_load_b128 v[7:10], v7 offset:720
	s_waitcnt lgkmcnt(0)
	v_mul_f64 v[11:12], v[1:2], v[9:10]
	v_mul_f64 v[15:16], v[3:4], v[9:10]
	s_delay_alu instid0(VALU_DEP_2) | instskip(NEXT) | instid1(VALU_DEP_2)
	v_fma_f64 v[9:10], v[3:4], v[7:8], -v[11:12]
	v_fma_f64 v[11:12], v[1:2], v[7:8], v[15:16]
	scratch_store_b128 off, v[9:12], off offset:720
.LBB111_195:
	s_or_b32 exec_lo, exec_lo, s2
	s_waitcnt_vscnt null, 0x0
	s_barrier
	buffer_gl0_inv
	scratch_load_b128 v[1:4], v145, off
	s_mov_b32 s2, exec_lo
	s_waitcnt vmcnt(0)
	ds_store_b128 v5, v[1:4]
	s_waitcnt lgkmcnt(0)
	s_barrier
	buffer_gl0_inv
	v_cmpx_gt_u32_e32 46, v138
	s_cbranch_execz .LBB111_199
; %bb.196:
	v_dual_mov_b32 v1, 0 :: v_dual_add_nc_u32 v8, 0x300, v13
	v_dual_mov_b32 v2, 0 :: v_dual_add_nc_u32 v7, -1, v138
	v_or_b32_e32 v9, 8, v14
	s_mov_b32 s3, 0
	s_delay_alu instid0(VALU_DEP_2)
	v_dual_mov_b32 v4, v2 :: v_dual_mov_b32 v3, v1
	.p2align	6
.LBB111_197:                            ; =>This Inner Loop Header: Depth=1
	scratch_load_b128 v[10:13], v9, off offset:-8
	ds_load_b128 v[15:18], v8
	v_add_nc_u32_e32 v7, 1, v7
	v_add_nc_u32_e32 v8, 16, v8
	;; [unrolled: 1-line block ×3, first 2 shown]
	s_delay_alu instid0(VALU_DEP_3) | instskip(SKIP_4) | instid1(VALU_DEP_2)
	v_cmp_lt_u32_e32 vcc_lo, 44, v7
	s_or_b32 s3, vcc_lo, s3
	s_waitcnt vmcnt(0) lgkmcnt(0)
	v_mul_f64 v[19:20], v[17:18], v[12:13]
	v_mul_f64 v[12:13], v[15:16], v[12:13]
	v_fma_f64 v[15:16], v[15:16], v[10:11], -v[19:20]
	s_delay_alu instid0(VALU_DEP_2) | instskip(NEXT) | instid1(VALU_DEP_2)
	v_fma_f64 v[10:11], v[17:18], v[10:11], v[12:13]
	v_add_f64 v[3:4], v[3:4], v[15:16]
	s_delay_alu instid0(VALU_DEP_2)
	v_add_f64 v[1:2], v[1:2], v[10:11]
	s_and_not1_b32 exec_lo, exec_lo, s3
	s_cbranch_execnz .LBB111_197
; %bb.198:
	s_or_b32 exec_lo, exec_lo, s3
	v_mov_b32_e32 v7, 0
	ds_load_b128 v[7:10], v7 offset:736
	s_waitcnt lgkmcnt(0)
	v_mul_f64 v[11:12], v[1:2], v[9:10]
	v_mul_f64 v[15:16], v[3:4], v[9:10]
	s_delay_alu instid0(VALU_DEP_2) | instskip(NEXT) | instid1(VALU_DEP_2)
	v_fma_f64 v[9:10], v[3:4], v[7:8], -v[11:12]
	v_fma_f64 v[11:12], v[1:2], v[7:8], v[15:16]
	scratch_store_b128 off, v[9:12], off offset:736
.LBB111_199:
	s_or_b32 exec_lo, exec_lo, s2
	s_waitcnt_vscnt null, 0x0
	s_barrier
	buffer_gl0_inv
	scratch_load_b128 v[1:4], v144, off
	s_mov_b32 s2, exec_lo
	s_waitcnt vmcnt(0)
	ds_store_b128 v5, v[1:4]
	s_waitcnt lgkmcnt(0)
	s_barrier
	buffer_gl0_inv
	v_cmpx_ne_u32_e32 47, v138
	s_cbranch_execz .LBB111_203
; %bb.200:
	v_mov_b32_e32 v1, 0
	v_mov_b32_e32 v2, 0
	v_or_b32_e32 v7, 8, v14
	s_mov_b32 s3, 0
	s_delay_alu instid0(VALU_DEP_2)
	v_dual_mov_b32 v4, v2 :: v_dual_mov_b32 v3, v1
	.p2align	6
.LBB111_201:                            ; =>This Inner Loop Header: Depth=1
	scratch_load_b128 v[8:11], v7, off offset:-8
	ds_load_b128 v[12:15], v5
	v_add_nc_u32_e32 v6, 1, v6
	v_add_nc_u32_e32 v5, 16, v5
	;; [unrolled: 1-line block ×3, first 2 shown]
	s_delay_alu instid0(VALU_DEP_3) | instskip(SKIP_4) | instid1(VALU_DEP_2)
	v_cmp_lt_u32_e32 vcc_lo, 45, v6
	s_or_b32 s3, vcc_lo, s3
	s_waitcnt vmcnt(0) lgkmcnt(0)
	v_mul_f64 v[16:17], v[14:15], v[10:11]
	v_mul_f64 v[10:11], v[12:13], v[10:11]
	v_fma_f64 v[12:13], v[12:13], v[8:9], -v[16:17]
	s_delay_alu instid0(VALU_DEP_2) | instskip(NEXT) | instid1(VALU_DEP_2)
	v_fma_f64 v[8:9], v[14:15], v[8:9], v[10:11]
	v_add_f64 v[3:4], v[3:4], v[12:13]
	s_delay_alu instid0(VALU_DEP_2)
	v_add_f64 v[1:2], v[1:2], v[8:9]
	s_and_not1_b32 exec_lo, exec_lo, s3
	s_cbranch_execnz .LBB111_201
; %bb.202:
	s_or_b32 exec_lo, exec_lo, s3
	v_mov_b32_e32 v5, 0
	ds_load_b128 v[5:8], v5 offset:752
	s_waitcnt lgkmcnt(0)
	v_mul_f64 v[9:10], v[1:2], v[7:8]
	v_mul_f64 v[7:8], v[3:4], v[7:8]
	s_delay_alu instid0(VALU_DEP_2) | instskip(NEXT) | instid1(VALU_DEP_2)
	v_fma_f64 v[3:4], v[3:4], v[5:6], -v[9:10]
	v_fma_f64 v[5:6], v[1:2], v[5:6], v[7:8]
	scratch_store_b128 off, v[3:6], off offset:752
.LBB111_203:
	s_or_b32 exec_lo, exec_lo, s2
	s_mov_b32 s3, -1
	s_waitcnt_vscnt null, 0x0
	s_barrier
	buffer_gl0_inv
.LBB111_204:
	s_and_b32 vcc_lo, exec_lo, s3
	s_cbranch_vccz .LBB111_206
; %bb.205:
	s_lshl_b64 s[2:3], s[10:11], 2
	v_mov_b32_e32 v1, 0
	s_add_u32 s2, s6, s2
	s_addc_u32 s3, s7, s3
	global_load_b32 v1, v1, s[2:3]
	s_waitcnt vmcnt(0)
	v_cmp_ne_u32_e32 vcc_lo, 0, v1
	s_cbranch_vccz .LBB111_207
.LBB111_206:
	s_endpgm
.LBB111_207:
	v_lshl_add_u32 v186, v138, 4, 0x300
	s_mov_b32 s2, exec_lo
	v_cmpx_eq_u32_e32 47, v138
	s_cbranch_execz .LBB111_209
; %bb.208:
	scratch_load_b128 v[1:4], v145, off
	v_mov_b32_e32 v5, 0
	s_delay_alu instid0(VALU_DEP_1)
	v_mov_b32_e32 v6, v5
	v_mov_b32_e32 v7, v5
	;; [unrolled: 1-line block ×3, first 2 shown]
	scratch_store_b128 off, v[5:8], off offset:736
	s_waitcnt vmcnt(0)
	ds_store_b128 v186, v[1:4]
.LBB111_209:
	s_or_b32 exec_lo, exec_lo, s2
	s_waitcnt lgkmcnt(0)
	s_waitcnt_vscnt null, 0x0
	s_barrier
	buffer_gl0_inv
	s_clause 0x1
	scratch_load_b128 v[2:5], off, off offset:752
	scratch_load_b128 v[6:9], off, off offset:736
	v_mov_b32_e32 v1, 0
	s_mov_b32 s2, exec_lo
	ds_load_b128 v[10:13], v1 offset:1520
	s_waitcnt vmcnt(1) lgkmcnt(0)
	v_mul_f64 v[14:15], v[12:13], v[4:5]
	v_mul_f64 v[4:5], v[10:11], v[4:5]
	s_delay_alu instid0(VALU_DEP_2) | instskip(NEXT) | instid1(VALU_DEP_2)
	v_fma_f64 v[10:11], v[10:11], v[2:3], -v[14:15]
	v_fma_f64 v[2:3], v[12:13], v[2:3], v[4:5]
	s_delay_alu instid0(VALU_DEP_2) | instskip(NEXT) | instid1(VALU_DEP_2)
	v_add_f64 v[4:5], v[10:11], 0
	v_add_f64 v[10:11], v[2:3], 0
	s_waitcnt vmcnt(0)
	s_delay_alu instid0(VALU_DEP_2) | instskip(NEXT) | instid1(VALU_DEP_2)
	v_add_f64 v[2:3], v[6:7], -v[4:5]
	v_add_f64 v[4:5], v[8:9], -v[10:11]
	scratch_store_b128 off, v[2:5], off offset:736
	v_cmpx_lt_u32_e32 45, v138
	s_cbranch_execz .LBB111_211
; %bb.210:
	scratch_load_b128 v[5:8], v146, off
	v_mov_b32_e32 v2, v1
	v_mov_b32_e32 v3, v1
	v_mov_b32_e32 v4, v1
	scratch_store_b128 off, v[1:4], off offset:720
	s_waitcnt vmcnt(0)
	ds_store_b128 v186, v[5:8]
.LBB111_211:
	s_or_b32 exec_lo, exec_lo, s2
	s_waitcnt lgkmcnt(0)
	s_waitcnt_vscnt null, 0x0
	s_barrier
	buffer_gl0_inv
	s_clause 0x2
	scratch_load_b128 v[2:5], off, off offset:736
	scratch_load_b128 v[6:9], off, off offset:752
	;; [unrolled: 1-line block ×3, first 2 shown]
	ds_load_b128 v[14:17], v1 offset:1504
	ds_load_b128 v[18:21], v1 offset:1520
	s_mov_b32 s2, exec_lo
	s_waitcnt vmcnt(2) lgkmcnt(1)
	v_mul_f64 v[22:23], v[16:17], v[4:5]
	v_mul_f64 v[4:5], v[14:15], v[4:5]
	s_waitcnt vmcnt(1) lgkmcnt(0)
	v_mul_f64 v[24:25], v[18:19], v[8:9]
	v_mul_f64 v[8:9], v[20:21], v[8:9]
	s_delay_alu instid0(VALU_DEP_4) | instskip(NEXT) | instid1(VALU_DEP_4)
	v_fma_f64 v[14:15], v[14:15], v[2:3], -v[22:23]
	v_fma_f64 v[1:2], v[16:17], v[2:3], v[4:5]
	s_delay_alu instid0(VALU_DEP_4) | instskip(NEXT) | instid1(VALU_DEP_4)
	v_fma_f64 v[3:4], v[20:21], v[6:7], v[24:25]
	v_fma_f64 v[5:6], v[18:19], v[6:7], -v[8:9]
	s_delay_alu instid0(VALU_DEP_4) | instskip(NEXT) | instid1(VALU_DEP_4)
	v_add_f64 v[7:8], v[14:15], 0
	v_add_f64 v[1:2], v[1:2], 0
	s_delay_alu instid0(VALU_DEP_2) | instskip(NEXT) | instid1(VALU_DEP_2)
	v_add_f64 v[5:6], v[7:8], v[5:6]
	v_add_f64 v[3:4], v[1:2], v[3:4]
	s_waitcnt vmcnt(0)
	s_delay_alu instid0(VALU_DEP_2) | instskip(NEXT) | instid1(VALU_DEP_2)
	v_add_f64 v[1:2], v[10:11], -v[5:6]
	v_add_f64 v[3:4], v[12:13], -v[3:4]
	scratch_store_b128 off, v[1:4], off offset:720
	v_cmpx_lt_u32_e32 44, v138
	s_cbranch_execz .LBB111_213
; %bb.212:
	scratch_load_b128 v[1:4], v147, off
	v_mov_b32_e32 v5, 0
	s_delay_alu instid0(VALU_DEP_1)
	v_mov_b32_e32 v6, v5
	v_mov_b32_e32 v7, v5
	;; [unrolled: 1-line block ×3, first 2 shown]
	scratch_store_b128 off, v[5:8], off offset:704
	s_waitcnt vmcnt(0)
	ds_store_b128 v186, v[1:4]
.LBB111_213:
	s_or_b32 exec_lo, exec_lo, s2
	s_waitcnt lgkmcnt(0)
	s_waitcnt_vscnt null, 0x0
	s_barrier
	buffer_gl0_inv
	s_clause 0x3
	scratch_load_b128 v[2:5], off, off offset:720
	scratch_load_b128 v[6:9], off, off offset:736
	;; [unrolled: 1-line block ×4, first 2 shown]
	v_mov_b32_e32 v1, 0
	ds_load_b128 v[18:21], v1 offset:1488
	ds_load_b128 v[22:25], v1 offset:1504
	s_mov_b32 s2, exec_lo
	s_waitcnt vmcnt(3) lgkmcnt(1)
	v_mul_f64 v[26:27], v[20:21], v[4:5]
	v_mul_f64 v[4:5], v[18:19], v[4:5]
	s_waitcnt vmcnt(2) lgkmcnt(0)
	v_mul_f64 v[28:29], v[22:23], v[8:9]
	v_mul_f64 v[8:9], v[24:25], v[8:9]
	s_delay_alu instid0(VALU_DEP_4) | instskip(NEXT) | instid1(VALU_DEP_4)
	v_fma_f64 v[18:19], v[18:19], v[2:3], -v[26:27]
	v_fma_f64 v[20:21], v[20:21], v[2:3], v[4:5]
	ds_load_b128 v[2:5], v1 offset:1520
	v_fma_f64 v[24:25], v[24:25], v[6:7], v[28:29]
	v_fma_f64 v[6:7], v[22:23], v[6:7], -v[8:9]
	s_waitcnt vmcnt(1) lgkmcnt(0)
	v_mul_f64 v[26:27], v[2:3], v[12:13]
	v_mul_f64 v[12:13], v[4:5], v[12:13]
	v_add_f64 v[8:9], v[18:19], 0
	v_add_f64 v[18:19], v[20:21], 0
	s_delay_alu instid0(VALU_DEP_4) | instskip(NEXT) | instid1(VALU_DEP_4)
	v_fma_f64 v[4:5], v[4:5], v[10:11], v[26:27]
	v_fma_f64 v[2:3], v[2:3], v[10:11], -v[12:13]
	s_delay_alu instid0(VALU_DEP_4) | instskip(NEXT) | instid1(VALU_DEP_4)
	v_add_f64 v[6:7], v[8:9], v[6:7]
	v_add_f64 v[8:9], v[18:19], v[24:25]
	s_delay_alu instid0(VALU_DEP_2) | instskip(NEXT) | instid1(VALU_DEP_2)
	v_add_f64 v[2:3], v[6:7], v[2:3]
	v_add_f64 v[4:5], v[8:9], v[4:5]
	s_waitcnt vmcnt(0)
	s_delay_alu instid0(VALU_DEP_2) | instskip(NEXT) | instid1(VALU_DEP_2)
	v_add_f64 v[2:3], v[14:15], -v[2:3]
	v_add_f64 v[4:5], v[16:17], -v[4:5]
	scratch_store_b128 off, v[2:5], off offset:704
	v_cmpx_lt_u32_e32 43, v138
	s_cbranch_execz .LBB111_215
; %bb.214:
	scratch_load_b128 v[5:8], v150, off
	v_mov_b32_e32 v2, v1
	v_mov_b32_e32 v3, v1
	;; [unrolled: 1-line block ×3, first 2 shown]
	scratch_store_b128 off, v[1:4], off offset:688
	s_waitcnt vmcnt(0)
	ds_store_b128 v186, v[5:8]
.LBB111_215:
	s_or_b32 exec_lo, exec_lo, s2
	s_waitcnt lgkmcnt(0)
	s_waitcnt_vscnt null, 0x0
	s_barrier
	buffer_gl0_inv
	s_clause 0x4
	scratch_load_b128 v[2:5], off, off offset:704
	scratch_load_b128 v[6:9], off, off offset:720
	scratch_load_b128 v[10:13], off, off offset:736
	scratch_load_b128 v[14:17], off, off offset:752
	scratch_load_b128 v[18:21], off, off offset:688
	ds_load_b128 v[22:25], v1 offset:1472
	ds_load_b128 v[26:29], v1 offset:1488
	s_mov_b32 s2, exec_lo
	s_waitcnt vmcnt(4) lgkmcnt(1)
	v_mul_f64 v[30:31], v[24:25], v[4:5]
	v_mul_f64 v[4:5], v[22:23], v[4:5]
	s_waitcnt vmcnt(3) lgkmcnt(0)
	v_mul_f64 v[32:33], v[26:27], v[8:9]
	v_mul_f64 v[8:9], v[28:29], v[8:9]
	s_delay_alu instid0(VALU_DEP_4) | instskip(NEXT) | instid1(VALU_DEP_4)
	v_fma_f64 v[30:31], v[22:23], v[2:3], -v[30:31]
	v_fma_f64 v[34:35], v[24:25], v[2:3], v[4:5]
	ds_load_b128 v[2:5], v1 offset:1504
	ds_load_b128 v[22:25], v1 offset:1520
	v_fma_f64 v[28:29], v[28:29], v[6:7], v[32:33]
	v_fma_f64 v[6:7], v[26:27], v[6:7], -v[8:9]
	s_waitcnt vmcnt(2) lgkmcnt(1)
	v_mul_f64 v[36:37], v[2:3], v[12:13]
	v_mul_f64 v[12:13], v[4:5], v[12:13]
	v_add_f64 v[8:9], v[30:31], 0
	v_add_f64 v[26:27], v[34:35], 0
	s_waitcnt vmcnt(1) lgkmcnt(0)
	v_mul_f64 v[30:31], v[22:23], v[16:17]
	v_mul_f64 v[16:17], v[24:25], v[16:17]
	v_fma_f64 v[4:5], v[4:5], v[10:11], v[36:37]
	v_fma_f64 v[1:2], v[2:3], v[10:11], -v[12:13]
	v_add_f64 v[6:7], v[8:9], v[6:7]
	v_add_f64 v[8:9], v[26:27], v[28:29]
	v_fma_f64 v[10:11], v[24:25], v[14:15], v[30:31]
	v_fma_f64 v[12:13], v[22:23], v[14:15], -v[16:17]
	s_delay_alu instid0(VALU_DEP_4) | instskip(NEXT) | instid1(VALU_DEP_4)
	v_add_f64 v[1:2], v[6:7], v[1:2]
	v_add_f64 v[3:4], v[8:9], v[4:5]
	s_delay_alu instid0(VALU_DEP_2) | instskip(NEXT) | instid1(VALU_DEP_2)
	v_add_f64 v[1:2], v[1:2], v[12:13]
	v_add_f64 v[3:4], v[3:4], v[10:11]
	s_waitcnt vmcnt(0)
	s_delay_alu instid0(VALU_DEP_2) | instskip(NEXT) | instid1(VALU_DEP_2)
	v_add_f64 v[1:2], v[18:19], -v[1:2]
	v_add_f64 v[3:4], v[20:21], -v[3:4]
	scratch_store_b128 off, v[1:4], off offset:688
	v_cmpx_lt_u32_e32 42, v138
	s_cbranch_execz .LBB111_217
; %bb.216:
	scratch_load_b128 v[1:4], v151, off
	v_mov_b32_e32 v5, 0
	s_delay_alu instid0(VALU_DEP_1)
	v_mov_b32_e32 v6, v5
	v_mov_b32_e32 v7, v5
	;; [unrolled: 1-line block ×3, first 2 shown]
	scratch_store_b128 off, v[5:8], off offset:672
	s_waitcnt vmcnt(0)
	ds_store_b128 v186, v[1:4]
.LBB111_217:
	s_or_b32 exec_lo, exec_lo, s2
	s_waitcnt lgkmcnt(0)
	s_waitcnt_vscnt null, 0x0
	s_barrier
	buffer_gl0_inv
	s_clause 0x5
	scratch_load_b128 v[2:5], off, off offset:688
	scratch_load_b128 v[6:9], off, off offset:704
	;; [unrolled: 1-line block ×6, first 2 shown]
	v_mov_b32_e32 v1, 0
	ds_load_b128 v[26:29], v1 offset:1456
	ds_load_b128 v[30:33], v1 offset:1472
	s_mov_b32 s2, exec_lo
	s_waitcnt vmcnt(5) lgkmcnt(1)
	v_mul_f64 v[34:35], v[28:29], v[4:5]
	v_mul_f64 v[4:5], v[26:27], v[4:5]
	s_waitcnt vmcnt(4) lgkmcnt(0)
	v_mul_f64 v[36:37], v[30:31], v[8:9]
	v_mul_f64 v[8:9], v[32:33], v[8:9]
	s_delay_alu instid0(VALU_DEP_4) | instskip(NEXT) | instid1(VALU_DEP_4)
	v_fma_f64 v[34:35], v[26:27], v[2:3], -v[34:35]
	v_fma_f64 v[38:39], v[28:29], v[2:3], v[4:5]
	ds_load_b128 v[2:5], v1 offset:1488
	ds_load_b128 v[26:29], v1 offset:1504
	v_fma_f64 v[32:33], v[32:33], v[6:7], v[36:37]
	v_fma_f64 v[6:7], v[30:31], v[6:7], -v[8:9]
	s_waitcnt vmcnt(3) lgkmcnt(1)
	v_mul_f64 v[40:41], v[2:3], v[12:13]
	v_mul_f64 v[12:13], v[4:5], v[12:13]
	v_add_f64 v[8:9], v[34:35], 0
	v_add_f64 v[30:31], v[38:39], 0
	s_waitcnt vmcnt(2) lgkmcnt(0)
	v_mul_f64 v[34:35], v[26:27], v[16:17]
	v_mul_f64 v[16:17], v[28:29], v[16:17]
	v_fma_f64 v[36:37], v[4:5], v[10:11], v[40:41]
	v_fma_f64 v[10:11], v[2:3], v[10:11], -v[12:13]
	ds_load_b128 v[2:5], v1 offset:1520
	v_add_f64 v[6:7], v[8:9], v[6:7]
	v_add_f64 v[8:9], v[30:31], v[32:33]
	v_fma_f64 v[28:29], v[28:29], v[14:15], v[34:35]
	v_fma_f64 v[14:15], v[26:27], v[14:15], -v[16:17]
	s_waitcnt vmcnt(1) lgkmcnt(0)
	v_mul_f64 v[12:13], v[2:3], v[20:21]
	v_mul_f64 v[20:21], v[4:5], v[20:21]
	v_add_f64 v[6:7], v[6:7], v[10:11]
	v_add_f64 v[8:9], v[8:9], v[36:37]
	s_delay_alu instid0(VALU_DEP_4) | instskip(NEXT) | instid1(VALU_DEP_4)
	v_fma_f64 v[4:5], v[4:5], v[18:19], v[12:13]
	v_fma_f64 v[2:3], v[2:3], v[18:19], -v[20:21]
	s_delay_alu instid0(VALU_DEP_4) | instskip(NEXT) | instid1(VALU_DEP_4)
	v_add_f64 v[6:7], v[6:7], v[14:15]
	v_add_f64 v[8:9], v[8:9], v[28:29]
	s_delay_alu instid0(VALU_DEP_2) | instskip(NEXT) | instid1(VALU_DEP_2)
	v_add_f64 v[2:3], v[6:7], v[2:3]
	v_add_f64 v[4:5], v[8:9], v[4:5]
	s_waitcnt vmcnt(0)
	s_delay_alu instid0(VALU_DEP_2) | instskip(NEXT) | instid1(VALU_DEP_2)
	v_add_f64 v[2:3], v[22:23], -v[2:3]
	v_add_f64 v[4:5], v[24:25], -v[4:5]
	scratch_store_b128 off, v[2:5], off offset:672
	v_cmpx_lt_u32_e32 41, v138
	s_cbranch_execz .LBB111_219
; %bb.218:
	scratch_load_b128 v[5:8], v152, off
	v_mov_b32_e32 v2, v1
	v_mov_b32_e32 v3, v1
	v_mov_b32_e32 v4, v1
	scratch_store_b128 off, v[1:4], off offset:656
	s_waitcnt vmcnt(0)
	ds_store_b128 v186, v[5:8]
.LBB111_219:
	s_or_b32 exec_lo, exec_lo, s2
	s_waitcnt lgkmcnt(0)
	s_waitcnt_vscnt null, 0x0
	s_barrier
	buffer_gl0_inv
	s_clause 0x5
	scratch_load_b128 v[2:5], off, off offset:672
	scratch_load_b128 v[6:9], off, off offset:688
	;; [unrolled: 1-line block ×6, first 2 shown]
	ds_load_b128 v[26:29], v1 offset:1440
	ds_load_b128 v[34:37], v1 offset:1456
	scratch_load_b128 v[30:33], off, off offset:656
	s_mov_b32 s2, exec_lo
	s_waitcnt vmcnt(6) lgkmcnt(1)
	v_mul_f64 v[38:39], v[28:29], v[4:5]
	v_mul_f64 v[4:5], v[26:27], v[4:5]
	s_waitcnt vmcnt(5) lgkmcnt(0)
	v_mul_f64 v[40:41], v[34:35], v[8:9]
	v_mul_f64 v[8:9], v[36:37], v[8:9]
	s_delay_alu instid0(VALU_DEP_4) | instskip(NEXT) | instid1(VALU_DEP_4)
	v_fma_f64 v[38:39], v[26:27], v[2:3], -v[38:39]
	v_fma_f64 v[187:188], v[28:29], v[2:3], v[4:5]
	ds_load_b128 v[2:5], v1 offset:1472
	ds_load_b128 v[26:29], v1 offset:1488
	v_fma_f64 v[36:37], v[36:37], v[6:7], v[40:41]
	v_fma_f64 v[6:7], v[34:35], v[6:7], -v[8:9]
	s_waitcnt vmcnt(4) lgkmcnt(1)
	v_mul_f64 v[189:190], v[2:3], v[12:13]
	v_mul_f64 v[12:13], v[4:5], v[12:13]
	v_add_f64 v[8:9], v[38:39], 0
	v_add_f64 v[34:35], v[187:188], 0
	s_waitcnt vmcnt(3) lgkmcnt(0)
	v_mul_f64 v[38:39], v[26:27], v[16:17]
	v_mul_f64 v[16:17], v[28:29], v[16:17]
	v_fma_f64 v[40:41], v[4:5], v[10:11], v[189:190]
	v_fma_f64 v[10:11], v[2:3], v[10:11], -v[12:13]
	v_add_f64 v[12:13], v[8:9], v[6:7]
	v_add_f64 v[34:35], v[34:35], v[36:37]
	ds_load_b128 v[2:5], v1 offset:1504
	ds_load_b128 v[6:9], v1 offset:1520
	v_fma_f64 v[28:29], v[28:29], v[14:15], v[38:39]
	v_fma_f64 v[14:15], v[26:27], v[14:15], -v[16:17]
	s_waitcnt vmcnt(2) lgkmcnt(1)
	v_mul_f64 v[36:37], v[2:3], v[20:21]
	v_mul_f64 v[20:21], v[4:5], v[20:21]
	s_waitcnt vmcnt(1) lgkmcnt(0)
	v_mul_f64 v[16:17], v[6:7], v[24:25]
	v_mul_f64 v[24:25], v[8:9], v[24:25]
	v_add_f64 v[10:11], v[12:13], v[10:11]
	v_add_f64 v[12:13], v[34:35], v[40:41]
	v_fma_f64 v[4:5], v[4:5], v[18:19], v[36:37]
	v_fma_f64 v[1:2], v[2:3], v[18:19], -v[20:21]
	v_fma_f64 v[8:9], v[8:9], v[22:23], v[16:17]
	v_fma_f64 v[6:7], v[6:7], v[22:23], -v[24:25]
	v_add_f64 v[10:11], v[10:11], v[14:15]
	v_add_f64 v[12:13], v[12:13], v[28:29]
	s_delay_alu instid0(VALU_DEP_2) | instskip(NEXT) | instid1(VALU_DEP_2)
	v_add_f64 v[1:2], v[10:11], v[1:2]
	v_add_f64 v[3:4], v[12:13], v[4:5]
	s_delay_alu instid0(VALU_DEP_2) | instskip(NEXT) | instid1(VALU_DEP_2)
	v_add_f64 v[1:2], v[1:2], v[6:7]
	v_add_f64 v[3:4], v[3:4], v[8:9]
	s_waitcnt vmcnt(0)
	s_delay_alu instid0(VALU_DEP_2) | instskip(NEXT) | instid1(VALU_DEP_2)
	v_add_f64 v[1:2], v[30:31], -v[1:2]
	v_add_f64 v[3:4], v[32:33], -v[3:4]
	scratch_store_b128 off, v[1:4], off offset:656
	v_cmpx_lt_u32_e32 40, v138
	s_cbranch_execz .LBB111_221
; %bb.220:
	scratch_load_b128 v[1:4], v139, off
	v_mov_b32_e32 v5, 0
	s_delay_alu instid0(VALU_DEP_1)
	v_mov_b32_e32 v6, v5
	v_mov_b32_e32 v7, v5
	;; [unrolled: 1-line block ×3, first 2 shown]
	scratch_store_b128 off, v[5:8], off offset:640
	s_waitcnt vmcnt(0)
	ds_store_b128 v186, v[1:4]
.LBB111_221:
	s_or_b32 exec_lo, exec_lo, s2
	s_waitcnt lgkmcnt(0)
	s_waitcnt_vscnt null, 0x0
	s_barrier
	buffer_gl0_inv
	s_clause 0x6
	scratch_load_b128 v[2:5], off, off offset:656
	scratch_load_b128 v[6:9], off, off offset:672
	scratch_load_b128 v[10:13], off, off offset:688
	scratch_load_b128 v[14:17], off, off offset:704
	scratch_load_b128 v[18:21], off, off offset:720
	scratch_load_b128 v[22:25], off, off offset:736
	scratch_load_b128 v[26:29], off, off offset:752
	v_mov_b32_e32 v1, 0
	scratch_load_b128 v[34:37], off, off offset:640
	s_mov_b32 s2, exec_lo
	ds_load_b128 v[30:33], v1 offset:1424
	ds_load_b128 v[38:41], v1 offset:1440
	s_waitcnt vmcnt(7) lgkmcnt(1)
	v_mul_f64 v[187:188], v[32:33], v[4:5]
	v_mul_f64 v[4:5], v[30:31], v[4:5]
	s_waitcnt vmcnt(6) lgkmcnt(0)
	v_mul_f64 v[189:190], v[38:39], v[8:9]
	v_mul_f64 v[8:9], v[40:41], v[8:9]
	s_delay_alu instid0(VALU_DEP_4) | instskip(NEXT) | instid1(VALU_DEP_4)
	v_fma_f64 v[187:188], v[30:31], v[2:3], -v[187:188]
	v_fma_f64 v[191:192], v[32:33], v[2:3], v[4:5]
	ds_load_b128 v[2:5], v1 offset:1456
	ds_load_b128 v[30:33], v1 offset:1472
	v_fma_f64 v[40:41], v[40:41], v[6:7], v[189:190]
	v_fma_f64 v[6:7], v[38:39], v[6:7], -v[8:9]
	s_waitcnt vmcnt(5) lgkmcnt(1)
	v_mul_f64 v[193:194], v[2:3], v[12:13]
	v_mul_f64 v[12:13], v[4:5], v[12:13]
	v_add_f64 v[8:9], v[187:188], 0
	v_add_f64 v[38:39], v[191:192], 0
	s_waitcnt vmcnt(4) lgkmcnt(0)
	v_mul_f64 v[187:188], v[30:31], v[16:17]
	v_mul_f64 v[16:17], v[32:33], v[16:17]
	v_fma_f64 v[189:190], v[4:5], v[10:11], v[193:194]
	v_fma_f64 v[10:11], v[2:3], v[10:11], -v[12:13]
	v_add_f64 v[12:13], v[8:9], v[6:7]
	v_add_f64 v[38:39], v[38:39], v[40:41]
	ds_load_b128 v[2:5], v1 offset:1488
	ds_load_b128 v[6:9], v1 offset:1504
	v_fma_f64 v[32:33], v[32:33], v[14:15], v[187:188]
	v_fma_f64 v[14:15], v[30:31], v[14:15], -v[16:17]
	s_waitcnt vmcnt(3) lgkmcnt(1)
	v_mul_f64 v[40:41], v[2:3], v[20:21]
	v_mul_f64 v[20:21], v[4:5], v[20:21]
	s_waitcnt vmcnt(2) lgkmcnt(0)
	v_mul_f64 v[16:17], v[6:7], v[24:25]
	v_mul_f64 v[24:25], v[8:9], v[24:25]
	v_add_f64 v[10:11], v[12:13], v[10:11]
	v_add_f64 v[12:13], v[38:39], v[189:190]
	v_fma_f64 v[30:31], v[4:5], v[18:19], v[40:41]
	v_fma_f64 v[18:19], v[2:3], v[18:19], -v[20:21]
	ds_load_b128 v[2:5], v1 offset:1520
	v_fma_f64 v[8:9], v[8:9], v[22:23], v[16:17]
	v_fma_f64 v[6:7], v[6:7], v[22:23], -v[24:25]
	v_add_f64 v[10:11], v[10:11], v[14:15]
	v_add_f64 v[12:13], v[12:13], v[32:33]
	s_waitcnt vmcnt(1) lgkmcnt(0)
	v_mul_f64 v[14:15], v[2:3], v[28:29]
	v_mul_f64 v[20:21], v[4:5], v[28:29]
	s_delay_alu instid0(VALU_DEP_4) | instskip(NEXT) | instid1(VALU_DEP_4)
	v_add_f64 v[10:11], v[10:11], v[18:19]
	v_add_f64 v[12:13], v[12:13], v[30:31]
	s_delay_alu instid0(VALU_DEP_4) | instskip(NEXT) | instid1(VALU_DEP_4)
	v_fma_f64 v[4:5], v[4:5], v[26:27], v[14:15]
	v_fma_f64 v[2:3], v[2:3], v[26:27], -v[20:21]
	s_delay_alu instid0(VALU_DEP_4) | instskip(NEXT) | instid1(VALU_DEP_4)
	v_add_f64 v[6:7], v[10:11], v[6:7]
	v_add_f64 v[8:9], v[12:13], v[8:9]
	s_delay_alu instid0(VALU_DEP_2) | instskip(NEXT) | instid1(VALU_DEP_2)
	v_add_f64 v[2:3], v[6:7], v[2:3]
	v_add_f64 v[4:5], v[8:9], v[4:5]
	s_waitcnt vmcnt(0)
	s_delay_alu instid0(VALU_DEP_2) | instskip(NEXT) | instid1(VALU_DEP_2)
	v_add_f64 v[2:3], v[34:35], -v[2:3]
	v_add_f64 v[4:5], v[36:37], -v[4:5]
	scratch_store_b128 off, v[2:5], off offset:640
	v_cmpx_lt_u32_e32 39, v138
	s_cbranch_execz .LBB111_223
; %bb.222:
	scratch_load_b128 v[5:8], v141, off
	v_mov_b32_e32 v2, v1
	v_mov_b32_e32 v3, v1
	;; [unrolled: 1-line block ×3, first 2 shown]
	scratch_store_b128 off, v[1:4], off offset:624
	s_waitcnt vmcnt(0)
	ds_store_b128 v186, v[5:8]
.LBB111_223:
	s_or_b32 exec_lo, exec_lo, s2
	s_waitcnt lgkmcnt(0)
	s_waitcnt_vscnt null, 0x0
	s_barrier
	buffer_gl0_inv
	s_clause 0x7
	scratch_load_b128 v[2:5], off, off offset:640
	scratch_load_b128 v[6:9], off, off offset:656
	;; [unrolled: 1-line block ×8, first 2 shown]
	ds_load_b128 v[34:37], v1 offset:1408
	ds_load_b128 v[38:41], v1 offset:1424
	scratch_load_b128 v[187:190], off, off offset:624
	s_mov_b32 s2, exec_lo
	s_waitcnt vmcnt(8) lgkmcnt(1)
	v_mul_f64 v[191:192], v[36:37], v[4:5]
	v_mul_f64 v[4:5], v[34:35], v[4:5]
	s_waitcnt vmcnt(7) lgkmcnt(0)
	v_mul_f64 v[193:194], v[38:39], v[8:9]
	v_mul_f64 v[8:9], v[40:41], v[8:9]
	s_delay_alu instid0(VALU_DEP_4) | instskip(NEXT) | instid1(VALU_DEP_4)
	v_fma_f64 v[191:192], v[34:35], v[2:3], -v[191:192]
	v_fma_f64 v[195:196], v[36:37], v[2:3], v[4:5]
	ds_load_b128 v[2:5], v1 offset:1440
	ds_load_b128 v[34:37], v1 offset:1456
	v_fma_f64 v[40:41], v[40:41], v[6:7], v[193:194]
	v_fma_f64 v[6:7], v[38:39], v[6:7], -v[8:9]
	s_waitcnt vmcnt(6) lgkmcnt(1)
	v_mul_f64 v[197:198], v[2:3], v[12:13]
	v_mul_f64 v[12:13], v[4:5], v[12:13]
	v_add_f64 v[8:9], v[191:192], 0
	v_add_f64 v[38:39], v[195:196], 0
	s_waitcnt vmcnt(5) lgkmcnt(0)
	v_mul_f64 v[191:192], v[34:35], v[16:17]
	v_mul_f64 v[16:17], v[36:37], v[16:17]
	v_fma_f64 v[193:194], v[4:5], v[10:11], v[197:198]
	v_fma_f64 v[10:11], v[2:3], v[10:11], -v[12:13]
	v_add_f64 v[12:13], v[8:9], v[6:7]
	v_add_f64 v[38:39], v[38:39], v[40:41]
	ds_load_b128 v[2:5], v1 offset:1472
	ds_load_b128 v[6:9], v1 offset:1488
	v_fma_f64 v[36:37], v[36:37], v[14:15], v[191:192]
	v_fma_f64 v[14:15], v[34:35], v[14:15], -v[16:17]
	s_waitcnt vmcnt(4) lgkmcnt(1)
	v_mul_f64 v[40:41], v[2:3], v[20:21]
	v_mul_f64 v[20:21], v[4:5], v[20:21]
	s_waitcnt vmcnt(3) lgkmcnt(0)
	v_mul_f64 v[16:17], v[6:7], v[24:25]
	v_mul_f64 v[24:25], v[8:9], v[24:25]
	v_add_f64 v[10:11], v[12:13], v[10:11]
	v_add_f64 v[12:13], v[38:39], v[193:194]
	v_fma_f64 v[34:35], v[4:5], v[18:19], v[40:41]
	v_fma_f64 v[18:19], v[2:3], v[18:19], -v[20:21]
	v_fma_f64 v[8:9], v[8:9], v[22:23], v[16:17]
	v_fma_f64 v[6:7], v[6:7], v[22:23], -v[24:25]
	v_add_f64 v[14:15], v[10:11], v[14:15]
	v_add_f64 v[20:21], v[12:13], v[36:37]
	ds_load_b128 v[2:5], v1 offset:1504
	ds_load_b128 v[10:13], v1 offset:1520
	s_waitcnt vmcnt(2) lgkmcnt(1)
	v_mul_f64 v[36:37], v[2:3], v[28:29]
	v_mul_f64 v[28:29], v[4:5], v[28:29]
	v_add_f64 v[14:15], v[14:15], v[18:19]
	v_add_f64 v[16:17], v[20:21], v[34:35]
	s_waitcnt vmcnt(1) lgkmcnt(0)
	v_mul_f64 v[18:19], v[10:11], v[32:33]
	v_mul_f64 v[20:21], v[12:13], v[32:33]
	v_fma_f64 v[4:5], v[4:5], v[26:27], v[36:37]
	v_fma_f64 v[1:2], v[2:3], v[26:27], -v[28:29]
	v_add_f64 v[6:7], v[14:15], v[6:7]
	v_add_f64 v[8:9], v[16:17], v[8:9]
	v_fma_f64 v[12:13], v[12:13], v[30:31], v[18:19]
	v_fma_f64 v[10:11], v[10:11], v[30:31], -v[20:21]
	s_delay_alu instid0(VALU_DEP_4) | instskip(NEXT) | instid1(VALU_DEP_4)
	v_add_f64 v[1:2], v[6:7], v[1:2]
	v_add_f64 v[3:4], v[8:9], v[4:5]
	s_delay_alu instid0(VALU_DEP_2) | instskip(NEXT) | instid1(VALU_DEP_2)
	v_add_f64 v[1:2], v[1:2], v[10:11]
	v_add_f64 v[3:4], v[3:4], v[12:13]
	s_waitcnt vmcnt(0)
	s_delay_alu instid0(VALU_DEP_2) | instskip(NEXT) | instid1(VALU_DEP_2)
	v_add_f64 v[1:2], v[187:188], -v[1:2]
	v_add_f64 v[3:4], v[189:190], -v[3:4]
	scratch_store_b128 off, v[1:4], off offset:624
	v_cmpx_lt_u32_e32 38, v138
	s_cbranch_execz .LBB111_225
; %bb.224:
	scratch_load_b128 v[1:4], v140, off
	v_mov_b32_e32 v5, 0
	s_delay_alu instid0(VALU_DEP_1)
	v_mov_b32_e32 v6, v5
	v_mov_b32_e32 v7, v5
	;; [unrolled: 1-line block ×3, first 2 shown]
	scratch_store_b128 off, v[5:8], off offset:608
	s_waitcnt vmcnt(0)
	ds_store_b128 v186, v[1:4]
.LBB111_225:
	s_or_b32 exec_lo, exec_lo, s2
	s_waitcnt lgkmcnt(0)
	s_waitcnt_vscnt null, 0x0
	s_barrier
	buffer_gl0_inv
	s_clause 0x7
	scratch_load_b128 v[2:5], off, off offset:624
	scratch_load_b128 v[6:9], off, off offset:640
	;; [unrolled: 1-line block ×8, first 2 shown]
	v_mov_b32_e32 v1, 0
	s_mov_b32 s2, exec_lo
	ds_load_b128 v[34:37], v1 offset:1392
	s_clause 0x1
	scratch_load_b128 v[38:41], off, off offset:752
	scratch_load_b128 v[187:190], off, off offset:608
	ds_load_b128 v[191:194], v1 offset:1408
	s_waitcnt vmcnt(9) lgkmcnt(1)
	v_mul_f64 v[195:196], v[36:37], v[4:5]
	v_mul_f64 v[4:5], v[34:35], v[4:5]
	s_waitcnt vmcnt(8) lgkmcnt(0)
	v_mul_f64 v[197:198], v[191:192], v[8:9]
	v_mul_f64 v[8:9], v[193:194], v[8:9]
	s_delay_alu instid0(VALU_DEP_4) | instskip(NEXT) | instid1(VALU_DEP_4)
	v_fma_f64 v[195:196], v[34:35], v[2:3], -v[195:196]
	v_fma_f64 v[199:200], v[36:37], v[2:3], v[4:5]
	ds_load_b128 v[2:5], v1 offset:1424
	ds_load_b128 v[34:37], v1 offset:1440
	v_fma_f64 v[193:194], v[193:194], v[6:7], v[197:198]
	v_fma_f64 v[6:7], v[191:192], v[6:7], -v[8:9]
	s_waitcnt vmcnt(7) lgkmcnt(1)
	v_mul_f64 v[201:202], v[2:3], v[12:13]
	v_mul_f64 v[12:13], v[4:5], v[12:13]
	v_add_f64 v[8:9], v[195:196], 0
	v_add_f64 v[191:192], v[199:200], 0
	s_waitcnt vmcnt(6) lgkmcnt(0)
	v_mul_f64 v[195:196], v[34:35], v[16:17]
	v_mul_f64 v[16:17], v[36:37], v[16:17]
	v_fma_f64 v[197:198], v[4:5], v[10:11], v[201:202]
	v_fma_f64 v[10:11], v[2:3], v[10:11], -v[12:13]
	v_add_f64 v[12:13], v[8:9], v[6:7]
	v_add_f64 v[191:192], v[191:192], v[193:194]
	ds_load_b128 v[2:5], v1 offset:1456
	ds_load_b128 v[6:9], v1 offset:1472
	v_fma_f64 v[36:37], v[36:37], v[14:15], v[195:196]
	v_fma_f64 v[14:15], v[34:35], v[14:15], -v[16:17]
	s_waitcnt vmcnt(5) lgkmcnt(1)
	v_mul_f64 v[193:194], v[2:3], v[20:21]
	v_mul_f64 v[20:21], v[4:5], v[20:21]
	s_waitcnt vmcnt(4) lgkmcnt(0)
	v_mul_f64 v[16:17], v[6:7], v[24:25]
	v_mul_f64 v[24:25], v[8:9], v[24:25]
	v_add_f64 v[10:11], v[12:13], v[10:11]
	v_add_f64 v[12:13], v[191:192], v[197:198]
	v_fma_f64 v[34:35], v[4:5], v[18:19], v[193:194]
	v_fma_f64 v[18:19], v[2:3], v[18:19], -v[20:21]
	v_fma_f64 v[8:9], v[8:9], v[22:23], v[16:17]
	v_fma_f64 v[6:7], v[6:7], v[22:23], -v[24:25]
	v_add_f64 v[14:15], v[10:11], v[14:15]
	v_add_f64 v[20:21], v[12:13], v[36:37]
	ds_load_b128 v[2:5], v1 offset:1488
	ds_load_b128 v[10:13], v1 offset:1504
	s_waitcnt vmcnt(3) lgkmcnt(1)
	v_mul_f64 v[36:37], v[2:3], v[28:29]
	v_mul_f64 v[28:29], v[4:5], v[28:29]
	v_add_f64 v[14:15], v[14:15], v[18:19]
	v_add_f64 v[16:17], v[20:21], v[34:35]
	s_waitcnt vmcnt(2) lgkmcnt(0)
	v_mul_f64 v[18:19], v[10:11], v[32:33]
	v_mul_f64 v[20:21], v[12:13], v[32:33]
	v_fma_f64 v[22:23], v[4:5], v[26:27], v[36:37]
	v_fma_f64 v[24:25], v[2:3], v[26:27], -v[28:29]
	ds_load_b128 v[2:5], v1 offset:1520
	v_add_f64 v[6:7], v[14:15], v[6:7]
	v_add_f64 v[8:9], v[16:17], v[8:9]
	v_fma_f64 v[12:13], v[12:13], v[30:31], v[18:19]
	v_fma_f64 v[10:11], v[10:11], v[30:31], -v[20:21]
	s_waitcnt vmcnt(1) lgkmcnt(0)
	v_mul_f64 v[14:15], v[2:3], v[40:41]
	v_mul_f64 v[16:17], v[4:5], v[40:41]
	v_add_f64 v[6:7], v[6:7], v[24:25]
	v_add_f64 v[8:9], v[8:9], v[22:23]
	s_delay_alu instid0(VALU_DEP_4) | instskip(NEXT) | instid1(VALU_DEP_4)
	v_fma_f64 v[4:5], v[4:5], v[38:39], v[14:15]
	v_fma_f64 v[2:3], v[2:3], v[38:39], -v[16:17]
	s_delay_alu instid0(VALU_DEP_4) | instskip(NEXT) | instid1(VALU_DEP_4)
	v_add_f64 v[6:7], v[6:7], v[10:11]
	v_add_f64 v[8:9], v[8:9], v[12:13]
	s_delay_alu instid0(VALU_DEP_2) | instskip(NEXT) | instid1(VALU_DEP_2)
	v_add_f64 v[2:3], v[6:7], v[2:3]
	v_add_f64 v[4:5], v[8:9], v[4:5]
	s_waitcnt vmcnt(0)
	s_delay_alu instid0(VALU_DEP_2) | instskip(NEXT) | instid1(VALU_DEP_2)
	v_add_f64 v[2:3], v[187:188], -v[2:3]
	v_add_f64 v[4:5], v[189:190], -v[4:5]
	scratch_store_b128 off, v[2:5], off offset:608
	v_cmpx_lt_u32_e32 37, v138
	s_cbranch_execz .LBB111_227
; %bb.226:
	scratch_load_b128 v[5:8], v142, off
	v_mov_b32_e32 v2, v1
	v_mov_b32_e32 v3, v1
	;; [unrolled: 1-line block ×3, first 2 shown]
	scratch_store_b128 off, v[1:4], off offset:592
	s_waitcnt vmcnt(0)
	ds_store_b128 v186, v[5:8]
.LBB111_227:
	s_or_b32 exec_lo, exec_lo, s2
	s_waitcnt lgkmcnt(0)
	s_waitcnt_vscnt null, 0x0
	s_barrier
	buffer_gl0_inv
	s_clause 0x8
	scratch_load_b128 v[2:5], off, off offset:608
	scratch_load_b128 v[6:9], off, off offset:624
	;; [unrolled: 1-line block ×9, first 2 shown]
	ds_load_b128 v[38:41], v1 offset:1376
	ds_load_b128 v[187:190], v1 offset:1392
	s_clause 0x1
	scratch_load_b128 v[191:194], off, off offset:592
	scratch_load_b128 v[195:198], off, off offset:752
	s_mov_b32 s2, exec_lo
	s_waitcnt vmcnt(10) lgkmcnt(1)
	v_mul_f64 v[199:200], v[40:41], v[4:5]
	v_mul_f64 v[4:5], v[38:39], v[4:5]
	s_waitcnt vmcnt(9) lgkmcnt(0)
	v_mul_f64 v[201:202], v[187:188], v[8:9]
	v_mul_f64 v[8:9], v[189:190], v[8:9]
	s_delay_alu instid0(VALU_DEP_4) | instskip(NEXT) | instid1(VALU_DEP_4)
	v_fma_f64 v[199:200], v[38:39], v[2:3], -v[199:200]
	v_fma_f64 v[203:204], v[40:41], v[2:3], v[4:5]
	ds_load_b128 v[2:5], v1 offset:1408
	ds_load_b128 v[38:41], v1 offset:1424
	v_fma_f64 v[189:190], v[189:190], v[6:7], v[201:202]
	v_fma_f64 v[6:7], v[187:188], v[6:7], -v[8:9]
	s_waitcnt vmcnt(8) lgkmcnt(1)
	v_mul_f64 v[205:206], v[2:3], v[12:13]
	v_mul_f64 v[12:13], v[4:5], v[12:13]
	v_add_f64 v[8:9], v[199:200], 0
	v_add_f64 v[187:188], v[203:204], 0
	s_waitcnt vmcnt(7) lgkmcnt(0)
	v_mul_f64 v[199:200], v[38:39], v[16:17]
	v_mul_f64 v[16:17], v[40:41], v[16:17]
	v_fma_f64 v[201:202], v[4:5], v[10:11], v[205:206]
	v_fma_f64 v[10:11], v[2:3], v[10:11], -v[12:13]
	v_add_f64 v[12:13], v[8:9], v[6:7]
	v_add_f64 v[187:188], v[187:188], v[189:190]
	ds_load_b128 v[2:5], v1 offset:1440
	ds_load_b128 v[6:9], v1 offset:1456
	v_fma_f64 v[40:41], v[40:41], v[14:15], v[199:200]
	v_fma_f64 v[14:15], v[38:39], v[14:15], -v[16:17]
	s_waitcnt vmcnt(6) lgkmcnt(1)
	v_mul_f64 v[189:190], v[2:3], v[20:21]
	v_mul_f64 v[20:21], v[4:5], v[20:21]
	s_waitcnt vmcnt(5) lgkmcnt(0)
	v_mul_f64 v[16:17], v[6:7], v[24:25]
	v_mul_f64 v[24:25], v[8:9], v[24:25]
	v_add_f64 v[10:11], v[12:13], v[10:11]
	v_add_f64 v[12:13], v[187:188], v[201:202]
	v_fma_f64 v[38:39], v[4:5], v[18:19], v[189:190]
	v_fma_f64 v[18:19], v[2:3], v[18:19], -v[20:21]
	v_fma_f64 v[8:9], v[8:9], v[22:23], v[16:17]
	v_fma_f64 v[6:7], v[6:7], v[22:23], -v[24:25]
	v_add_f64 v[14:15], v[10:11], v[14:15]
	v_add_f64 v[20:21], v[12:13], v[40:41]
	ds_load_b128 v[2:5], v1 offset:1472
	ds_load_b128 v[10:13], v1 offset:1488
	s_waitcnt vmcnt(4) lgkmcnt(1)
	v_mul_f64 v[40:41], v[2:3], v[28:29]
	v_mul_f64 v[28:29], v[4:5], v[28:29]
	v_add_f64 v[14:15], v[14:15], v[18:19]
	v_add_f64 v[16:17], v[20:21], v[38:39]
	s_waitcnt vmcnt(3) lgkmcnt(0)
	v_mul_f64 v[18:19], v[10:11], v[32:33]
	v_mul_f64 v[20:21], v[12:13], v[32:33]
	v_fma_f64 v[22:23], v[4:5], v[26:27], v[40:41]
	v_fma_f64 v[24:25], v[2:3], v[26:27], -v[28:29]
	v_add_f64 v[14:15], v[14:15], v[6:7]
	v_add_f64 v[16:17], v[16:17], v[8:9]
	ds_load_b128 v[2:5], v1 offset:1504
	ds_load_b128 v[6:9], v1 offset:1520
	v_fma_f64 v[12:13], v[12:13], v[30:31], v[18:19]
	v_fma_f64 v[10:11], v[10:11], v[30:31], -v[20:21]
	s_waitcnt vmcnt(2) lgkmcnt(1)
	v_mul_f64 v[26:27], v[2:3], v[36:37]
	v_mul_f64 v[28:29], v[4:5], v[36:37]
	s_waitcnt vmcnt(0) lgkmcnt(0)
	v_mul_f64 v[18:19], v[6:7], v[197:198]
	v_mul_f64 v[20:21], v[8:9], v[197:198]
	v_add_f64 v[14:15], v[14:15], v[24:25]
	v_add_f64 v[16:17], v[16:17], v[22:23]
	v_fma_f64 v[4:5], v[4:5], v[34:35], v[26:27]
	v_fma_f64 v[1:2], v[2:3], v[34:35], -v[28:29]
	v_fma_f64 v[8:9], v[8:9], v[195:196], v[18:19]
	v_fma_f64 v[6:7], v[6:7], v[195:196], -v[20:21]
	v_add_f64 v[10:11], v[14:15], v[10:11]
	v_add_f64 v[12:13], v[16:17], v[12:13]
	s_delay_alu instid0(VALU_DEP_2) | instskip(NEXT) | instid1(VALU_DEP_2)
	v_add_f64 v[1:2], v[10:11], v[1:2]
	v_add_f64 v[3:4], v[12:13], v[4:5]
	s_delay_alu instid0(VALU_DEP_2) | instskip(NEXT) | instid1(VALU_DEP_2)
	;; [unrolled: 3-line block ×3, first 2 shown]
	v_add_f64 v[1:2], v[191:192], -v[1:2]
	v_add_f64 v[3:4], v[193:194], -v[3:4]
	scratch_store_b128 off, v[1:4], off offset:592
	v_cmpx_lt_u32_e32 36, v138
	s_cbranch_execz .LBB111_229
; %bb.228:
	scratch_load_b128 v[1:4], v143, off
	v_mov_b32_e32 v5, 0
	s_delay_alu instid0(VALU_DEP_1)
	v_mov_b32_e32 v6, v5
	v_mov_b32_e32 v7, v5
	;; [unrolled: 1-line block ×3, first 2 shown]
	scratch_store_b128 off, v[5:8], off offset:576
	s_waitcnt vmcnt(0)
	ds_store_b128 v186, v[1:4]
.LBB111_229:
	s_or_b32 exec_lo, exec_lo, s2
	s_waitcnt lgkmcnt(0)
	s_waitcnt_vscnt null, 0x0
	s_barrier
	buffer_gl0_inv
	s_clause 0x7
	scratch_load_b128 v[2:5], off, off offset:592
	scratch_load_b128 v[6:9], off, off offset:608
	;; [unrolled: 1-line block ×8, first 2 shown]
	v_mov_b32_e32 v1, 0
	s_mov_b32 s2, exec_lo
	ds_load_b128 v[34:37], v1 offset:1360
	s_clause 0x1
	scratch_load_b128 v[38:41], off, off offset:720
	scratch_load_b128 v[187:190], off, off offset:576
	ds_load_b128 v[191:194], v1 offset:1376
	scratch_load_b128 v[195:198], off, off offset:736
	s_waitcnt vmcnt(10) lgkmcnt(1)
	v_mul_f64 v[199:200], v[36:37], v[4:5]
	v_mul_f64 v[4:5], v[34:35], v[4:5]
	s_delay_alu instid0(VALU_DEP_2) | instskip(NEXT) | instid1(VALU_DEP_2)
	v_fma_f64 v[205:206], v[34:35], v[2:3], -v[199:200]
	v_fma_f64 v[207:208], v[36:37], v[2:3], v[4:5]
	scratch_load_b128 v[34:37], off, off offset:752
	ds_load_b128 v[2:5], v1 offset:1392
	s_waitcnt vmcnt(10) lgkmcnt(1)
	v_mul_f64 v[203:204], v[191:192], v[8:9]
	v_mul_f64 v[8:9], v[193:194], v[8:9]
	ds_load_b128 v[199:202], v1 offset:1408
	s_waitcnt vmcnt(9) lgkmcnt(1)
	v_mul_f64 v[209:210], v[2:3], v[12:13]
	v_mul_f64 v[12:13], v[4:5], v[12:13]
	v_fma_f64 v[193:194], v[193:194], v[6:7], v[203:204]
	v_fma_f64 v[6:7], v[191:192], v[6:7], -v[8:9]
	v_add_f64 v[8:9], v[205:206], 0
	v_add_f64 v[191:192], v[207:208], 0
	s_waitcnt vmcnt(8) lgkmcnt(0)
	v_mul_f64 v[203:204], v[199:200], v[16:17]
	v_mul_f64 v[16:17], v[201:202], v[16:17]
	v_fma_f64 v[205:206], v[4:5], v[10:11], v[209:210]
	v_fma_f64 v[10:11], v[2:3], v[10:11], -v[12:13]
	v_add_f64 v[12:13], v[8:9], v[6:7]
	v_add_f64 v[191:192], v[191:192], v[193:194]
	ds_load_b128 v[2:5], v1 offset:1424
	ds_load_b128 v[6:9], v1 offset:1440
	v_fma_f64 v[201:202], v[201:202], v[14:15], v[203:204]
	v_fma_f64 v[14:15], v[199:200], v[14:15], -v[16:17]
	s_waitcnt vmcnt(7) lgkmcnt(1)
	v_mul_f64 v[193:194], v[2:3], v[20:21]
	v_mul_f64 v[20:21], v[4:5], v[20:21]
	s_waitcnt vmcnt(6) lgkmcnt(0)
	v_mul_f64 v[16:17], v[6:7], v[24:25]
	v_mul_f64 v[24:25], v[8:9], v[24:25]
	v_add_f64 v[10:11], v[12:13], v[10:11]
	v_add_f64 v[12:13], v[191:192], v[205:206]
	v_fma_f64 v[191:192], v[4:5], v[18:19], v[193:194]
	v_fma_f64 v[18:19], v[2:3], v[18:19], -v[20:21]
	v_fma_f64 v[8:9], v[8:9], v[22:23], v[16:17]
	v_fma_f64 v[6:7], v[6:7], v[22:23], -v[24:25]
	v_add_f64 v[14:15], v[10:11], v[14:15]
	v_add_f64 v[20:21], v[12:13], v[201:202]
	ds_load_b128 v[2:5], v1 offset:1456
	ds_load_b128 v[10:13], v1 offset:1472
	s_waitcnt vmcnt(5) lgkmcnt(1)
	v_mul_f64 v[193:194], v[2:3], v[28:29]
	v_mul_f64 v[28:29], v[4:5], v[28:29]
	v_add_f64 v[14:15], v[14:15], v[18:19]
	v_add_f64 v[16:17], v[20:21], v[191:192]
	s_waitcnt vmcnt(4) lgkmcnt(0)
	v_mul_f64 v[18:19], v[10:11], v[32:33]
	v_mul_f64 v[20:21], v[12:13], v[32:33]
	v_fma_f64 v[22:23], v[4:5], v[26:27], v[193:194]
	v_fma_f64 v[24:25], v[2:3], v[26:27], -v[28:29]
	v_add_f64 v[14:15], v[14:15], v[6:7]
	v_add_f64 v[16:17], v[16:17], v[8:9]
	ds_load_b128 v[2:5], v1 offset:1488
	ds_load_b128 v[6:9], v1 offset:1504
	v_fma_f64 v[12:13], v[12:13], v[30:31], v[18:19]
	v_fma_f64 v[10:11], v[10:11], v[30:31], -v[20:21]
	s_waitcnt vmcnt(3) lgkmcnt(1)
	v_mul_f64 v[26:27], v[2:3], v[40:41]
	v_mul_f64 v[28:29], v[4:5], v[40:41]
	s_waitcnt vmcnt(1) lgkmcnt(0)
	v_mul_f64 v[18:19], v[6:7], v[197:198]
	v_mul_f64 v[20:21], v[8:9], v[197:198]
	v_add_f64 v[14:15], v[14:15], v[24:25]
	v_add_f64 v[16:17], v[16:17], v[22:23]
	v_fma_f64 v[22:23], v[4:5], v[38:39], v[26:27]
	v_fma_f64 v[24:25], v[2:3], v[38:39], -v[28:29]
	ds_load_b128 v[2:5], v1 offset:1520
	v_fma_f64 v[8:9], v[8:9], v[195:196], v[18:19]
	v_fma_f64 v[6:7], v[6:7], v[195:196], -v[20:21]
	v_add_f64 v[10:11], v[14:15], v[10:11]
	v_add_f64 v[12:13], v[16:17], v[12:13]
	s_waitcnt vmcnt(0) lgkmcnt(0)
	v_mul_f64 v[14:15], v[2:3], v[36:37]
	v_mul_f64 v[16:17], v[4:5], v[36:37]
	s_delay_alu instid0(VALU_DEP_4) | instskip(NEXT) | instid1(VALU_DEP_4)
	v_add_f64 v[10:11], v[10:11], v[24:25]
	v_add_f64 v[12:13], v[12:13], v[22:23]
	s_delay_alu instid0(VALU_DEP_4) | instskip(NEXT) | instid1(VALU_DEP_4)
	v_fma_f64 v[4:5], v[4:5], v[34:35], v[14:15]
	v_fma_f64 v[2:3], v[2:3], v[34:35], -v[16:17]
	s_delay_alu instid0(VALU_DEP_4) | instskip(NEXT) | instid1(VALU_DEP_4)
	v_add_f64 v[6:7], v[10:11], v[6:7]
	v_add_f64 v[8:9], v[12:13], v[8:9]
	s_delay_alu instid0(VALU_DEP_2) | instskip(NEXT) | instid1(VALU_DEP_2)
	v_add_f64 v[2:3], v[6:7], v[2:3]
	v_add_f64 v[4:5], v[8:9], v[4:5]
	s_delay_alu instid0(VALU_DEP_2) | instskip(NEXT) | instid1(VALU_DEP_2)
	v_add_f64 v[2:3], v[187:188], -v[2:3]
	v_add_f64 v[4:5], v[189:190], -v[4:5]
	scratch_store_b128 off, v[2:5], off offset:576
	v_cmpx_lt_u32_e32 35, v138
	s_cbranch_execz .LBB111_231
; %bb.230:
	scratch_load_b128 v[5:8], v149, off
	v_mov_b32_e32 v2, v1
	v_mov_b32_e32 v3, v1
	;; [unrolled: 1-line block ×3, first 2 shown]
	scratch_store_b128 off, v[1:4], off offset:560
	s_waitcnt vmcnt(0)
	ds_store_b128 v186, v[5:8]
.LBB111_231:
	s_or_b32 exec_lo, exec_lo, s2
	s_waitcnt lgkmcnt(0)
	s_waitcnt_vscnt null, 0x0
	s_barrier
	buffer_gl0_inv
	s_clause 0x8
	scratch_load_b128 v[2:5], off, off offset:576
	scratch_load_b128 v[6:9], off, off offset:592
	;; [unrolled: 1-line block ×9, first 2 shown]
	ds_load_b128 v[38:41], v1 offset:1344
	ds_load_b128 v[187:190], v1 offset:1360
	s_clause 0x1
	scratch_load_b128 v[191:194], off, off offset:560
	scratch_load_b128 v[195:198], off, off offset:720
	s_mov_b32 s2, exec_lo
	s_waitcnt vmcnt(10) lgkmcnt(1)
	v_mul_f64 v[199:200], v[40:41], v[4:5]
	v_mul_f64 v[4:5], v[38:39], v[4:5]
	s_waitcnt vmcnt(9) lgkmcnt(0)
	v_mul_f64 v[203:204], v[187:188], v[8:9]
	v_mul_f64 v[8:9], v[189:190], v[8:9]
	s_delay_alu instid0(VALU_DEP_4) | instskip(NEXT) | instid1(VALU_DEP_4)
	v_fma_f64 v[205:206], v[38:39], v[2:3], -v[199:200]
	v_fma_f64 v[207:208], v[40:41], v[2:3], v[4:5]
	ds_load_b128 v[2:5], v1 offset:1376
	ds_load_b128 v[199:202], v1 offset:1392
	scratch_load_b128 v[38:41], off, off offset:736
	v_fma_f64 v[189:190], v[189:190], v[6:7], v[203:204]
	v_fma_f64 v[187:188], v[187:188], v[6:7], -v[8:9]
	scratch_load_b128 v[6:9], off, off offset:752
	s_waitcnt vmcnt(10) lgkmcnt(1)
	v_mul_f64 v[209:210], v[2:3], v[12:13]
	v_mul_f64 v[12:13], v[4:5], v[12:13]
	v_add_f64 v[203:204], v[205:206], 0
	v_add_f64 v[205:206], v[207:208], 0
	s_waitcnt vmcnt(9) lgkmcnt(0)
	v_mul_f64 v[207:208], v[199:200], v[16:17]
	v_mul_f64 v[16:17], v[201:202], v[16:17]
	v_fma_f64 v[209:210], v[4:5], v[10:11], v[209:210]
	v_fma_f64 v[211:212], v[2:3], v[10:11], -v[12:13]
	ds_load_b128 v[2:5], v1 offset:1408
	ds_load_b128 v[10:13], v1 offset:1424
	v_add_f64 v[187:188], v[203:204], v[187:188]
	v_add_f64 v[189:190], v[205:206], v[189:190]
	v_fma_f64 v[201:202], v[201:202], v[14:15], v[207:208]
	v_fma_f64 v[14:15], v[199:200], v[14:15], -v[16:17]
	s_waitcnt vmcnt(8) lgkmcnt(1)
	v_mul_f64 v[203:204], v[2:3], v[20:21]
	v_mul_f64 v[20:21], v[4:5], v[20:21]
	v_add_f64 v[16:17], v[187:188], v[211:212]
	v_add_f64 v[187:188], v[189:190], v[209:210]
	s_waitcnt vmcnt(7) lgkmcnt(0)
	v_mul_f64 v[189:190], v[10:11], v[24:25]
	v_mul_f64 v[24:25], v[12:13], v[24:25]
	v_fma_f64 v[199:200], v[4:5], v[18:19], v[203:204]
	v_fma_f64 v[18:19], v[2:3], v[18:19], -v[20:21]
	v_add_f64 v[20:21], v[16:17], v[14:15]
	v_add_f64 v[187:188], v[187:188], v[201:202]
	ds_load_b128 v[2:5], v1 offset:1440
	ds_load_b128 v[14:17], v1 offset:1456
	v_fma_f64 v[12:13], v[12:13], v[22:23], v[189:190]
	v_fma_f64 v[10:11], v[10:11], v[22:23], -v[24:25]
	s_waitcnt vmcnt(6) lgkmcnt(1)
	v_mul_f64 v[201:202], v[2:3], v[28:29]
	v_mul_f64 v[28:29], v[4:5], v[28:29]
	s_waitcnt vmcnt(5) lgkmcnt(0)
	v_mul_f64 v[22:23], v[14:15], v[32:33]
	v_mul_f64 v[24:25], v[16:17], v[32:33]
	v_add_f64 v[18:19], v[20:21], v[18:19]
	v_add_f64 v[20:21], v[187:188], v[199:200]
	v_fma_f64 v[32:33], v[4:5], v[26:27], v[201:202]
	v_fma_f64 v[26:27], v[2:3], v[26:27], -v[28:29]
	v_fma_f64 v[16:17], v[16:17], v[30:31], v[22:23]
	v_fma_f64 v[14:15], v[14:15], v[30:31], -v[24:25]
	v_add_f64 v[18:19], v[18:19], v[10:11]
	v_add_f64 v[20:21], v[20:21], v[12:13]
	ds_load_b128 v[2:5], v1 offset:1472
	ds_load_b128 v[10:13], v1 offset:1488
	s_waitcnt vmcnt(4) lgkmcnt(1)
	v_mul_f64 v[28:29], v[2:3], v[36:37]
	v_mul_f64 v[36:37], v[4:5], v[36:37]
	s_waitcnt vmcnt(2) lgkmcnt(0)
	v_mul_f64 v[22:23], v[10:11], v[197:198]
	v_mul_f64 v[24:25], v[12:13], v[197:198]
	v_add_f64 v[18:19], v[18:19], v[26:27]
	v_add_f64 v[20:21], v[20:21], v[32:33]
	v_fma_f64 v[26:27], v[4:5], v[34:35], v[28:29]
	v_fma_f64 v[28:29], v[2:3], v[34:35], -v[36:37]
	v_fma_f64 v[12:13], v[12:13], v[195:196], v[22:23]
	v_fma_f64 v[10:11], v[10:11], v[195:196], -v[24:25]
	v_add_f64 v[18:19], v[18:19], v[14:15]
	v_add_f64 v[20:21], v[20:21], v[16:17]
	ds_load_b128 v[2:5], v1 offset:1504
	ds_load_b128 v[14:17], v1 offset:1520
	s_waitcnt vmcnt(1) lgkmcnt(1)
	v_mul_f64 v[30:31], v[2:3], v[40:41]
	v_mul_f64 v[32:33], v[4:5], v[40:41]
	s_waitcnt vmcnt(0) lgkmcnt(0)
	v_mul_f64 v[22:23], v[14:15], v[8:9]
	v_mul_f64 v[8:9], v[16:17], v[8:9]
	v_add_f64 v[18:19], v[18:19], v[28:29]
	v_add_f64 v[20:21], v[20:21], v[26:27]
	v_fma_f64 v[4:5], v[4:5], v[38:39], v[30:31]
	v_fma_f64 v[1:2], v[2:3], v[38:39], -v[32:33]
	v_fma_f64 v[16:17], v[16:17], v[6:7], v[22:23]
	v_fma_f64 v[6:7], v[14:15], v[6:7], -v[8:9]
	v_add_f64 v[10:11], v[18:19], v[10:11]
	v_add_f64 v[12:13], v[20:21], v[12:13]
	s_delay_alu instid0(VALU_DEP_2) | instskip(NEXT) | instid1(VALU_DEP_2)
	v_add_f64 v[1:2], v[10:11], v[1:2]
	v_add_f64 v[3:4], v[12:13], v[4:5]
	s_delay_alu instid0(VALU_DEP_2) | instskip(NEXT) | instid1(VALU_DEP_2)
	;; [unrolled: 3-line block ×3, first 2 shown]
	v_add_f64 v[1:2], v[191:192], -v[1:2]
	v_add_f64 v[3:4], v[193:194], -v[3:4]
	scratch_store_b128 off, v[1:4], off offset:560
	v_cmpx_lt_u32_e32 34, v138
	s_cbranch_execz .LBB111_233
; %bb.232:
	scratch_load_b128 v[1:4], v148, off
	v_mov_b32_e32 v5, 0
	s_delay_alu instid0(VALU_DEP_1)
	v_mov_b32_e32 v6, v5
	v_mov_b32_e32 v7, v5
	;; [unrolled: 1-line block ×3, first 2 shown]
	scratch_store_b128 off, v[5:8], off offset:544
	s_waitcnt vmcnt(0)
	ds_store_b128 v186, v[1:4]
.LBB111_233:
	s_or_b32 exec_lo, exec_lo, s2
	s_waitcnt lgkmcnt(0)
	s_waitcnt_vscnt null, 0x0
	s_barrier
	buffer_gl0_inv
	s_clause 0x7
	scratch_load_b128 v[2:5], off, off offset:560
	scratch_load_b128 v[6:9], off, off offset:576
	;; [unrolled: 1-line block ×8, first 2 shown]
	v_mov_b32_e32 v1, 0
	s_clause 0x1
	scratch_load_b128 v[38:41], off, off offset:688
	scratch_load_b128 v[191:194], off, off offset:704
	s_mov_b32 s2, exec_lo
	ds_load_b128 v[34:37], v1 offset:1328
	ds_load_b128 v[187:190], v1 offset:1344
	s_waitcnt vmcnt(9) lgkmcnt(1)
	v_mul_f64 v[195:196], v[36:37], v[4:5]
	v_mul_f64 v[4:5], v[34:35], v[4:5]
	s_waitcnt vmcnt(8) lgkmcnt(0)
	v_mul_f64 v[197:198], v[187:188], v[8:9]
	v_mul_f64 v[8:9], v[189:190], v[8:9]
	s_delay_alu instid0(VALU_DEP_4) | instskip(NEXT) | instid1(VALU_DEP_4)
	v_fma_f64 v[195:196], v[34:35], v[2:3], -v[195:196]
	v_fma_f64 v[199:200], v[36:37], v[2:3], v[4:5]
	ds_load_b128 v[2:5], v1 offset:1360
	scratch_load_b128 v[34:37], off, off offset:720
	v_fma_f64 v[197:198], v[189:190], v[6:7], v[197:198]
	v_fma_f64 v[203:204], v[187:188], v[6:7], -v[8:9]
	ds_load_b128 v[6:9], v1 offset:1376
	scratch_load_b128 v[187:190], off, off offset:736
	s_waitcnt vmcnt(9) lgkmcnt(1)
	v_mul_f64 v[201:202], v[2:3], v[12:13]
	v_mul_f64 v[12:13], v[4:5], v[12:13]
	s_waitcnt vmcnt(8) lgkmcnt(0)
	v_mul_f64 v[205:206], v[6:7], v[16:17]
	v_mul_f64 v[16:17], v[8:9], v[16:17]
	v_add_f64 v[195:196], v[195:196], 0
	v_add_f64 v[199:200], v[199:200], 0
	v_fma_f64 v[201:202], v[4:5], v[10:11], v[201:202]
	v_fma_f64 v[207:208], v[2:3], v[10:11], -v[12:13]
	scratch_load_b128 v[10:13], off, off offset:752
	ds_load_b128 v[2:5], v1 offset:1392
	v_add_f64 v[195:196], v[195:196], v[203:204]
	v_add_f64 v[197:198], v[199:200], v[197:198]
	v_fma_f64 v[203:204], v[8:9], v[14:15], v[205:206]
	v_fma_f64 v[14:15], v[6:7], v[14:15], -v[16:17]
	ds_load_b128 v[6:9], v1 offset:1408
	s_waitcnt vmcnt(8) lgkmcnt(1)
	v_mul_f64 v[199:200], v[2:3], v[20:21]
	v_mul_f64 v[20:21], v[4:5], v[20:21]
	v_add_f64 v[16:17], v[195:196], v[207:208]
	v_add_f64 v[195:196], v[197:198], v[201:202]
	s_waitcnt vmcnt(7) lgkmcnt(0)
	v_mul_f64 v[197:198], v[6:7], v[24:25]
	v_mul_f64 v[24:25], v[8:9], v[24:25]
	v_fma_f64 v[199:200], v[4:5], v[18:19], v[199:200]
	v_fma_f64 v[18:19], v[2:3], v[18:19], -v[20:21]
	ds_load_b128 v[2:5], v1 offset:1424
	v_add_f64 v[14:15], v[16:17], v[14:15]
	v_add_f64 v[16:17], v[195:196], v[203:204]
	v_fma_f64 v[195:196], v[8:9], v[22:23], v[197:198]
	v_fma_f64 v[22:23], v[6:7], v[22:23], -v[24:25]
	ds_load_b128 v[6:9], v1 offset:1440
	s_waitcnt vmcnt(6) lgkmcnt(1)
	v_mul_f64 v[20:21], v[2:3], v[28:29]
	v_mul_f64 v[28:29], v[4:5], v[28:29]
	s_waitcnt vmcnt(5) lgkmcnt(0)
	v_mul_f64 v[197:198], v[6:7], v[32:33]
	v_mul_f64 v[32:33], v[8:9], v[32:33]
	v_add_f64 v[18:19], v[14:15], v[18:19]
	v_add_f64 v[24:25], v[16:17], v[199:200]
	scratch_load_b128 v[14:17], off, off offset:544
	v_fma_f64 v[20:21], v[4:5], v[26:27], v[20:21]
	v_fma_f64 v[26:27], v[2:3], v[26:27], -v[28:29]
	ds_load_b128 v[2:5], v1 offset:1456
	s_waitcnt vmcnt(5) lgkmcnt(0)
	v_mul_f64 v[28:29], v[4:5], v[40:41]
	v_add_f64 v[18:19], v[18:19], v[22:23]
	v_add_f64 v[22:23], v[24:25], v[195:196]
	v_mul_f64 v[24:25], v[2:3], v[40:41]
	v_fma_f64 v[40:41], v[8:9], v[30:31], v[197:198]
	v_fma_f64 v[30:31], v[6:7], v[30:31], -v[32:33]
	ds_load_b128 v[6:9], v1 offset:1472
	v_fma_f64 v[28:29], v[2:3], v[38:39], -v[28:29]
	v_add_f64 v[18:19], v[18:19], v[26:27]
	v_add_f64 v[20:21], v[22:23], v[20:21]
	v_fma_f64 v[24:25], v[4:5], v[38:39], v[24:25]
	ds_load_b128 v[2:5], v1 offset:1488
	s_waitcnt vmcnt(4) lgkmcnt(1)
	v_mul_f64 v[22:23], v[6:7], v[193:194]
	v_mul_f64 v[26:27], v[8:9], v[193:194]
	v_add_f64 v[18:19], v[18:19], v[30:31]
	v_add_f64 v[20:21], v[20:21], v[40:41]
	s_delay_alu instid0(VALU_DEP_4) | instskip(NEXT) | instid1(VALU_DEP_4)
	v_fma_f64 v[22:23], v[8:9], v[191:192], v[22:23]
	v_fma_f64 v[26:27], v[6:7], v[191:192], -v[26:27]
	ds_load_b128 v[6:9], v1 offset:1504
	s_waitcnt vmcnt(3) lgkmcnt(1)
	v_mul_f64 v[30:31], v[2:3], v[36:37]
	v_mul_f64 v[32:33], v[4:5], v[36:37]
	v_add_f64 v[18:19], v[18:19], v[28:29]
	v_add_f64 v[20:21], v[20:21], v[24:25]
	s_delay_alu instid0(VALU_DEP_4) | instskip(NEXT) | instid1(VALU_DEP_4)
	v_fma_f64 v[30:31], v[4:5], v[34:35], v[30:31]
	v_fma_f64 v[32:33], v[2:3], v[34:35], -v[32:33]
	ds_load_b128 v[2:5], v1 offset:1520
	s_waitcnt vmcnt(2) lgkmcnt(1)
	v_mul_f64 v[24:25], v[6:7], v[189:190]
	v_mul_f64 v[28:29], v[8:9], v[189:190]
	v_add_f64 v[18:19], v[18:19], v[26:27]
	v_add_f64 v[20:21], v[20:21], v[22:23]
	s_waitcnt vmcnt(1) lgkmcnt(0)
	v_mul_f64 v[22:23], v[2:3], v[12:13]
	v_mul_f64 v[12:13], v[4:5], v[12:13]
	v_fma_f64 v[8:9], v[8:9], v[187:188], v[24:25]
	v_fma_f64 v[6:7], v[6:7], v[187:188], -v[28:29]
	v_add_f64 v[18:19], v[18:19], v[32:33]
	v_add_f64 v[20:21], v[20:21], v[30:31]
	v_fma_f64 v[4:5], v[4:5], v[10:11], v[22:23]
	v_fma_f64 v[2:3], v[2:3], v[10:11], -v[12:13]
	s_delay_alu instid0(VALU_DEP_4) | instskip(NEXT) | instid1(VALU_DEP_4)
	v_add_f64 v[6:7], v[18:19], v[6:7]
	v_add_f64 v[8:9], v[20:21], v[8:9]
	s_delay_alu instid0(VALU_DEP_2) | instskip(NEXT) | instid1(VALU_DEP_2)
	v_add_f64 v[2:3], v[6:7], v[2:3]
	v_add_f64 v[4:5], v[8:9], v[4:5]
	s_waitcnt vmcnt(0)
	s_delay_alu instid0(VALU_DEP_2) | instskip(NEXT) | instid1(VALU_DEP_2)
	v_add_f64 v[2:3], v[14:15], -v[2:3]
	v_add_f64 v[4:5], v[16:17], -v[4:5]
	scratch_store_b128 off, v[2:5], off offset:544
	v_cmpx_lt_u32_e32 33, v138
	s_cbranch_execz .LBB111_235
; %bb.234:
	scratch_load_b128 v[5:8], v153, off
	v_mov_b32_e32 v2, v1
	v_mov_b32_e32 v3, v1
	;; [unrolled: 1-line block ×3, first 2 shown]
	scratch_store_b128 off, v[1:4], off offset:528
	s_waitcnt vmcnt(0)
	ds_store_b128 v186, v[5:8]
.LBB111_235:
	s_or_b32 exec_lo, exec_lo, s2
	s_waitcnt lgkmcnt(0)
	s_waitcnt_vscnt null, 0x0
	s_barrier
	buffer_gl0_inv
	s_clause 0x7
	scratch_load_b128 v[2:5], off, off offset:544
	scratch_load_b128 v[6:9], off, off offset:560
	;; [unrolled: 1-line block ×8, first 2 shown]
	ds_load_b128 v[34:37], v1 offset:1312
	ds_load_b128 v[187:190], v1 offset:1328
	s_clause 0x1
	scratch_load_b128 v[38:41], off, off offset:672
	scratch_load_b128 v[191:194], off, off offset:688
	s_mov_b32 s2, exec_lo
	s_waitcnt vmcnt(9) lgkmcnt(1)
	v_mul_f64 v[195:196], v[36:37], v[4:5]
	v_mul_f64 v[4:5], v[34:35], v[4:5]
	s_waitcnt vmcnt(8) lgkmcnt(0)
	v_mul_f64 v[197:198], v[187:188], v[8:9]
	v_mul_f64 v[8:9], v[189:190], v[8:9]
	s_delay_alu instid0(VALU_DEP_4) | instskip(NEXT) | instid1(VALU_DEP_4)
	v_fma_f64 v[195:196], v[34:35], v[2:3], -v[195:196]
	v_fma_f64 v[199:200], v[36:37], v[2:3], v[4:5]
	scratch_load_b128 v[34:37], off, off offset:704
	ds_load_b128 v[2:5], v1 offset:1344
	v_fma_f64 v[197:198], v[189:190], v[6:7], v[197:198]
	v_fma_f64 v[203:204], v[187:188], v[6:7], -v[8:9]
	ds_load_b128 v[6:9], v1 offset:1360
	scratch_load_b128 v[187:190], off, off offset:720
	s_waitcnt vmcnt(9) lgkmcnt(1)
	v_mul_f64 v[201:202], v[2:3], v[12:13]
	v_mul_f64 v[12:13], v[4:5], v[12:13]
	s_waitcnt vmcnt(8) lgkmcnt(0)
	v_mul_f64 v[205:206], v[6:7], v[16:17]
	v_mul_f64 v[16:17], v[8:9], v[16:17]
	v_add_f64 v[195:196], v[195:196], 0
	v_add_f64 v[199:200], v[199:200], 0
	v_fma_f64 v[201:202], v[4:5], v[10:11], v[201:202]
	v_fma_f64 v[207:208], v[2:3], v[10:11], -v[12:13]
	scratch_load_b128 v[10:13], off, off offset:736
	ds_load_b128 v[2:5], v1 offset:1376
	v_add_f64 v[195:196], v[195:196], v[203:204]
	v_add_f64 v[197:198], v[199:200], v[197:198]
	v_fma_f64 v[203:204], v[8:9], v[14:15], v[205:206]
	v_fma_f64 v[205:206], v[6:7], v[14:15], -v[16:17]
	ds_load_b128 v[6:9], v1 offset:1392
	scratch_load_b128 v[14:17], off, off offset:752
	s_waitcnt vmcnt(9) lgkmcnt(1)
	v_mul_f64 v[199:200], v[2:3], v[20:21]
	v_mul_f64 v[20:21], v[4:5], v[20:21]
	v_add_f64 v[195:196], v[195:196], v[207:208]
	v_add_f64 v[197:198], v[197:198], v[201:202]
	s_waitcnt vmcnt(8) lgkmcnt(0)
	v_mul_f64 v[201:202], v[6:7], v[24:25]
	v_mul_f64 v[24:25], v[8:9], v[24:25]
	v_fma_f64 v[199:200], v[4:5], v[18:19], v[199:200]
	v_fma_f64 v[18:19], v[2:3], v[18:19], -v[20:21]
	ds_load_b128 v[2:5], v1 offset:1408
	v_add_f64 v[20:21], v[195:196], v[205:206]
	v_add_f64 v[195:196], v[197:198], v[203:204]
	v_fma_f64 v[201:202], v[8:9], v[22:23], v[201:202]
	v_fma_f64 v[22:23], v[6:7], v[22:23], -v[24:25]
	ds_load_b128 v[6:9], v1 offset:1424
	s_waitcnt vmcnt(7) lgkmcnt(1)
	v_mul_f64 v[197:198], v[2:3], v[28:29]
	v_mul_f64 v[28:29], v[4:5], v[28:29]
	s_waitcnt vmcnt(6) lgkmcnt(0)
	v_mul_f64 v[24:25], v[6:7], v[32:33]
	v_mul_f64 v[32:33], v[8:9], v[32:33]
	v_add_f64 v[18:19], v[20:21], v[18:19]
	v_add_f64 v[20:21], v[195:196], v[199:200]
	v_fma_f64 v[195:196], v[4:5], v[26:27], v[197:198]
	v_fma_f64 v[26:27], v[2:3], v[26:27], -v[28:29]
	ds_load_b128 v[2:5], v1 offset:1440
	v_fma_f64 v[24:25], v[8:9], v[30:31], v[24:25]
	v_fma_f64 v[30:31], v[6:7], v[30:31], -v[32:33]
	ds_load_b128 v[6:9], v1 offset:1456
	v_add_f64 v[22:23], v[18:19], v[22:23]
	v_add_f64 v[28:29], v[20:21], v[201:202]
	scratch_load_b128 v[18:21], off, off offset:528
	s_waitcnt vmcnt(6) lgkmcnt(1)
	v_mul_f64 v[197:198], v[2:3], v[40:41]
	v_mul_f64 v[40:41], v[4:5], v[40:41]
	s_waitcnt vmcnt(5) lgkmcnt(0)
	v_mul_f64 v[32:33], v[8:9], v[193:194]
	v_add_f64 v[22:23], v[22:23], v[26:27]
	v_add_f64 v[26:27], v[28:29], v[195:196]
	v_mul_f64 v[28:29], v[6:7], v[193:194]
	v_fma_f64 v[193:194], v[4:5], v[38:39], v[197:198]
	v_fma_f64 v[38:39], v[2:3], v[38:39], -v[40:41]
	ds_load_b128 v[2:5], v1 offset:1472
	v_fma_f64 v[32:33], v[6:7], v[191:192], -v[32:33]
	v_add_f64 v[22:23], v[22:23], v[30:31]
	v_add_f64 v[24:25], v[26:27], v[24:25]
	v_fma_f64 v[28:29], v[8:9], v[191:192], v[28:29]
	ds_load_b128 v[6:9], v1 offset:1488
	s_waitcnt vmcnt(4) lgkmcnt(1)
	v_mul_f64 v[26:27], v[2:3], v[36:37]
	v_mul_f64 v[30:31], v[4:5], v[36:37]
	s_waitcnt vmcnt(3) lgkmcnt(0)
	v_mul_f64 v[36:37], v[6:7], v[189:190]
	v_add_f64 v[22:23], v[22:23], v[38:39]
	v_add_f64 v[24:25], v[24:25], v[193:194]
	v_mul_f64 v[38:39], v[8:9], v[189:190]
	v_fma_f64 v[26:27], v[4:5], v[34:35], v[26:27]
	v_fma_f64 v[30:31], v[2:3], v[34:35], -v[30:31]
	ds_load_b128 v[2:5], v1 offset:1504
	v_add_f64 v[22:23], v[22:23], v[32:33]
	v_add_f64 v[24:25], v[24:25], v[28:29]
	v_fma_f64 v[32:33], v[8:9], v[187:188], v[36:37]
	v_fma_f64 v[34:35], v[6:7], v[187:188], -v[38:39]
	ds_load_b128 v[6:9], v1 offset:1520
	s_waitcnt vmcnt(2) lgkmcnt(1)
	v_mul_f64 v[28:29], v[2:3], v[12:13]
	v_mul_f64 v[12:13], v[4:5], v[12:13]
	v_add_f64 v[22:23], v[22:23], v[30:31]
	v_add_f64 v[24:25], v[24:25], v[26:27]
	s_waitcnt vmcnt(1) lgkmcnt(0)
	v_mul_f64 v[26:27], v[6:7], v[16:17]
	v_mul_f64 v[16:17], v[8:9], v[16:17]
	v_fma_f64 v[4:5], v[4:5], v[10:11], v[28:29]
	v_fma_f64 v[1:2], v[2:3], v[10:11], -v[12:13]
	v_add_f64 v[10:11], v[22:23], v[34:35]
	v_add_f64 v[12:13], v[24:25], v[32:33]
	v_fma_f64 v[8:9], v[8:9], v[14:15], v[26:27]
	v_fma_f64 v[6:7], v[6:7], v[14:15], -v[16:17]
	s_delay_alu instid0(VALU_DEP_4) | instskip(NEXT) | instid1(VALU_DEP_4)
	v_add_f64 v[1:2], v[10:11], v[1:2]
	v_add_f64 v[3:4], v[12:13], v[4:5]
	s_delay_alu instid0(VALU_DEP_2) | instskip(NEXT) | instid1(VALU_DEP_2)
	v_add_f64 v[1:2], v[1:2], v[6:7]
	v_add_f64 v[3:4], v[3:4], v[8:9]
	s_waitcnt vmcnt(0)
	s_delay_alu instid0(VALU_DEP_2) | instskip(NEXT) | instid1(VALU_DEP_2)
	v_add_f64 v[1:2], v[18:19], -v[1:2]
	v_add_f64 v[3:4], v[20:21], -v[3:4]
	scratch_store_b128 off, v[1:4], off offset:528
	v_cmpx_lt_u32_e32 32, v138
	s_cbranch_execz .LBB111_237
; %bb.236:
	scratch_load_b128 v[1:4], v154, off
	v_mov_b32_e32 v5, 0
	s_delay_alu instid0(VALU_DEP_1)
	v_mov_b32_e32 v6, v5
	v_mov_b32_e32 v7, v5
	v_mov_b32_e32 v8, v5
	scratch_store_b128 off, v[5:8], off offset:512
	s_waitcnt vmcnt(0)
	ds_store_b128 v186, v[1:4]
.LBB111_237:
	s_or_b32 exec_lo, exec_lo, s2
	s_waitcnt lgkmcnt(0)
	s_waitcnt_vscnt null, 0x0
	s_barrier
	buffer_gl0_inv
	s_clause 0x7
	scratch_load_b128 v[2:5], off, off offset:528
	scratch_load_b128 v[6:9], off, off offset:544
	scratch_load_b128 v[10:13], off, off offset:560
	scratch_load_b128 v[14:17], off, off offset:576
	scratch_load_b128 v[18:21], off, off offset:592
	scratch_load_b128 v[22:25], off, off offset:608
	scratch_load_b128 v[26:29], off, off offset:624
	scratch_load_b128 v[30:33], off, off offset:640
	v_mov_b32_e32 v1, 0
	s_clause 0x1
	scratch_load_b128 v[38:41], off, off offset:656
	scratch_load_b128 v[191:194], off, off offset:672
	s_mov_b32 s2, exec_lo
	ds_load_b128 v[34:37], v1 offset:1296
	ds_load_b128 v[187:190], v1 offset:1312
	s_waitcnt vmcnt(9) lgkmcnt(1)
	v_mul_f64 v[195:196], v[36:37], v[4:5]
	v_mul_f64 v[4:5], v[34:35], v[4:5]
	s_waitcnt vmcnt(8) lgkmcnt(0)
	v_mul_f64 v[197:198], v[187:188], v[8:9]
	v_mul_f64 v[8:9], v[189:190], v[8:9]
	s_delay_alu instid0(VALU_DEP_4) | instskip(NEXT) | instid1(VALU_DEP_4)
	v_fma_f64 v[195:196], v[34:35], v[2:3], -v[195:196]
	v_fma_f64 v[199:200], v[36:37], v[2:3], v[4:5]
	ds_load_b128 v[2:5], v1 offset:1328
	scratch_load_b128 v[34:37], off, off offset:688
	v_fma_f64 v[197:198], v[189:190], v[6:7], v[197:198]
	v_fma_f64 v[203:204], v[187:188], v[6:7], -v[8:9]
	ds_load_b128 v[6:9], v1 offset:1344
	scratch_load_b128 v[187:190], off, off offset:704
	s_waitcnt vmcnt(9) lgkmcnt(1)
	v_mul_f64 v[201:202], v[2:3], v[12:13]
	v_mul_f64 v[12:13], v[4:5], v[12:13]
	s_waitcnt vmcnt(8) lgkmcnt(0)
	v_mul_f64 v[205:206], v[6:7], v[16:17]
	v_mul_f64 v[16:17], v[8:9], v[16:17]
	v_add_f64 v[195:196], v[195:196], 0
	v_add_f64 v[199:200], v[199:200], 0
	v_fma_f64 v[201:202], v[4:5], v[10:11], v[201:202]
	v_fma_f64 v[207:208], v[2:3], v[10:11], -v[12:13]
	scratch_load_b128 v[10:13], off, off offset:720
	ds_load_b128 v[2:5], v1 offset:1360
	v_add_f64 v[195:196], v[195:196], v[203:204]
	v_add_f64 v[197:198], v[199:200], v[197:198]
	v_fma_f64 v[203:204], v[8:9], v[14:15], v[205:206]
	v_fma_f64 v[205:206], v[6:7], v[14:15], -v[16:17]
	ds_load_b128 v[6:9], v1 offset:1376
	scratch_load_b128 v[14:17], off, off offset:736
	s_waitcnt vmcnt(9) lgkmcnt(1)
	v_mul_f64 v[199:200], v[2:3], v[20:21]
	v_mul_f64 v[20:21], v[4:5], v[20:21]
	v_add_f64 v[195:196], v[195:196], v[207:208]
	v_add_f64 v[197:198], v[197:198], v[201:202]
	s_waitcnt vmcnt(8) lgkmcnt(0)
	v_mul_f64 v[201:202], v[6:7], v[24:25]
	v_mul_f64 v[24:25], v[8:9], v[24:25]
	v_fma_f64 v[199:200], v[4:5], v[18:19], v[199:200]
	v_fma_f64 v[207:208], v[2:3], v[18:19], -v[20:21]
	scratch_load_b128 v[18:21], off, off offset:752
	ds_load_b128 v[2:5], v1 offset:1392
	v_add_f64 v[195:196], v[195:196], v[205:206]
	v_add_f64 v[197:198], v[197:198], v[203:204]
	v_fma_f64 v[201:202], v[8:9], v[22:23], v[201:202]
	v_fma_f64 v[22:23], v[6:7], v[22:23], -v[24:25]
	ds_load_b128 v[6:9], v1 offset:1408
	s_waitcnt vmcnt(8) lgkmcnt(1)
	v_mul_f64 v[203:204], v[2:3], v[28:29]
	v_mul_f64 v[28:29], v[4:5], v[28:29]
	v_add_f64 v[24:25], v[195:196], v[207:208]
	v_add_f64 v[195:196], v[197:198], v[199:200]
	s_waitcnt vmcnt(7) lgkmcnt(0)
	v_mul_f64 v[197:198], v[6:7], v[32:33]
	v_mul_f64 v[32:33], v[8:9], v[32:33]
	v_fma_f64 v[199:200], v[4:5], v[26:27], v[203:204]
	v_fma_f64 v[26:27], v[2:3], v[26:27], -v[28:29]
	ds_load_b128 v[2:5], v1 offset:1424
	v_add_f64 v[22:23], v[24:25], v[22:23]
	v_add_f64 v[24:25], v[195:196], v[201:202]
	v_fma_f64 v[195:196], v[8:9], v[30:31], v[197:198]
	v_fma_f64 v[30:31], v[6:7], v[30:31], -v[32:33]
	ds_load_b128 v[6:9], v1 offset:1440
	s_waitcnt vmcnt(5) lgkmcnt(0)
	v_mul_f64 v[197:198], v[6:7], v[193:194]
	v_mul_f64 v[193:194], v[8:9], v[193:194]
	v_add_f64 v[26:27], v[22:23], v[26:27]
	v_add_f64 v[32:33], v[24:25], v[199:200]
	scratch_load_b128 v[22:25], off, off offset:512
	v_mul_f64 v[28:29], v[2:3], v[40:41]
	v_mul_f64 v[40:41], v[4:5], v[40:41]
	v_add_f64 v[26:27], v[26:27], v[30:31]
	v_add_f64 v[30:31], v[32:33], v[195:196]
	s_delay_alu instid0(VALU_DEP_4) | instskip(NEXT) | instid1(VALU_DEP_4)
	v_fma_f64 v[28:29], v[4:5], v[38:39], v[28:29]
	v_fma_f64 v[38:39], v[2:3], v[38:39], -v[40:41]
	ds_load_b128 v[2:5], v1 offset:1456
	v_fma_f64 v[40:41], v[8:9], v[191:192], v[197:198]
	v_fma_f64 v[191:192], v[6:7], v[191:192], -v[193:194]
	ds_load_b128 v[6:9], v1 offset:1472
	s_waitcnt vmcnt(5) lgkmcnt(1)
	v_mul_f64 v[32:33], v[2:3], v[36:37]
	v_mul_f64 v[36:37], v[4:5], v[36:37]
	v_add_f64 v[28:29], v[30:31], v[28:29]
	v_add_f64 v[26:27], v[26:27], v[38:39]
	s_waitcnt vmcnt(4) lgkmcnt(0)
	v_mul_f64 v[30:31], v[6:7], v[189:190]
	v_mul_f64 v[38:39], v[8:9], v[189:190]
	v_fma_f64 v[32:33], v[4:5], v[34:35], v[32:33]
	v_fma_f64 v[34:35], v[2:3], v[34:35], -v[36:37]
	ds_load_b128 v[2:5], v1 offset:1488
	v_add_f64 v[28:29], v[28:29], v[40:41]
	v_add_f64 v[26:27], v[26:27], v[191:192]
	v_fma_f64 v[30:31], v[8:9], v[187:188], v[30:31]
	v_fma_f64 v[38:39], v[6:7], v[187:188], -v[38:39]
	ds_load_b128 v[6:9], v1 offset:1504
	s_waitcnt vmcnt(3) lgkmcnt(1)
	v_mul_f64 v[36:37], v[2:3], v[12:13]
	v_mul_f64 v[12:13], v[4:5], v[12:13]
	v_add_f64 v[28:29], v[28:29], v[32:33]
	v_add_f64 v[26:27], v[26:27], v[34:35]
	s_waitcnt vmcnt(2) lgkmcnt(0)
	v_mul_f64 v[32:33], v[6:7], v[16:17]
	v_mul_f64 v[16:17], v[8:9], v[16:17]
	v_fma_f64 v[34:35], v[4:5], v[10:11], v[36:37]
	v_fma_f64 v[10:11], v[2:3], v[10:11], -v[12:13]
	ds_load_b128 v[2:5], v1 offset:1520
	v_add_f64 v[12:13], v[26:27], v[38:39]
	v_add_f64 v[26:27], v[28:29], v[30:31]
	s_waitcnt vmcnt(1) lgkmcnt(0)
	v_mul_f64 v[28:29], v[2:3], v[20:21]
	v_mul_f64 v[20:21], v[4:5], v[20:21]
	v_fma_f64 v[8:9], v[8:9], v[14:15], v[32:33]
	v_fma_f64 v[6:7], v[6:7], v[14:15], -v[16:17]
	v_add_f64 v[10:11], v[12:13], v[10:11]
	v_add_f64 v[12:13], v[26:27], v[34:35]
	v_fma_f64 v[4:5], v[4:5], v[18:19], v[28:29]
	v_fma_f64 v[2:3], v[2:3], v[18:19], -v[20:21]
	s_delay_alu instid0(VALU_DEP_4) | instskip(NEXT) | instid1(VALU_DEP_4)
	v_add_f64 v[6:7], v[10:11], v[6:7]
	v_add_f64 v[8:9], v[12:13], v[8:9]
	s_delay_alu instid0(VALU_DEP_2) | instskip(NEXT) | instid1(VALU_DEP_2)
	v_add_f64 v[2:3], v[6:7], v[2:3]
	v_add_f64 v[4:5], v[8:9], v[4:5]
	s_waitcnt vmcnt(0)
	s_delay_alu instid0(VALU_DEP_2) | instskip(NEXT) | instid1(VALU_DEP_2)
	v_add_f64 v[2:3], v[22:23], -v[2:3]
	v_add_f64 v[4:5], v[24:25], -v[4:5]
	scratch_store_b128 off, v[2:5], off offset:512
	v_cmpx_lt_u32_e32 31, v138
	s_cbranch_execz .LBB111_239
; %bb.238:
	scratch_load_b128 v[5:8], v156, off
	v_mov_b32_e32 v2, v1
	v_mov_b32_e32 v3, v1
	;; [unrolled: 1-line block ×3, first 2 shown]
	scratch_store_b128 off, v[1:4], off offset:496
	s_waitcnt vmcnt(0)
	ds_store_b128 v186, v[5:8]
.LBB111_239:
	s_or_b32 exec_lo, exec_lo, s2
	s_waitcnt lgkmcnt(0)
	s_waitcnt_vscnt null, 0x0
	s_barrier
	buffer_gl0_inv
	s_clause 0x7
	scratch_load_b128 v[2:5], off, off offset:512
	scratch_load_b128 v[6:9], off, off offset:528
	;; [unrolled: 1-line block ×8, first 2 shown]
	ds_load_b128 v[34:37], v1 offset:1280
	ds_load_b128 v[187:190], v1 offset:1296
	s_clause 0x1
	scratch_load_b128 v[38:41], off, off offset:640
	scratch_load_b128 v[191:194], off, off offset:656
	s_mov_b32 s2, exec_lo
	s_waitcnt vmcnt(9) lgkmcnt(1)
	v_mul_f64 v[195:196], v[36:37], v[4:5]
	v_mul_f64 v[4:5], v[34:35], v[4:5]
	s_waitcnt vmcnt(8) lgkmcnt(0)
	v_mul_f64 v[197:198], v[187:188], v[8:9]
	v_mul_f64 v[8:9], v[189:190], v[8:9]
	s_delay_alu instid0(VALU_DEP_4) | instskip(NEXT) | instid1(VALU_DEP_4)
	v_fma_f64 v[195:196], v[34:35], v[2:3], -v[195:196]
	v_fma_f64 v[199:200], v[36:37], v[2:3], v[4:5]
	ds_load_b128 v[2:5], v1 offset:1312
	scratch_load_b128 v[34:37], off, off offset:672
	v_fma_f64 v[197:198], v[189:190], v[6:7], v[197:198]
	v_fma_f64 v[203:204], v[187:188], v[6:7], -v[8:9]
	ds_load_b128 v[6:9], v1 offset:1328
	scratch_load_b128 v[187:190], off, off offset:688
	s_waitcnt vmcnt(9) lgkmcnt(1)
	v_mul_f64 v[201:202], v[2:3], v[12:13]
	v_mul_f64 v[12:13], v[4:5], v[12:13]
	s_waitcnt vmcnt(8) lgkmcnt(0)
	v_mul_f64 v[205:206], v[6:7], v[16:17]
	v_mul_f64 v[16:17], v[8:9], v[16:17]
	v_add_f64 v[195:196], v[195:196], 0
	v_add_f64 v[199:200], v[199:200], 0
	v_fma_f64 v[201:202], v[4:5], v[10:11], v[201:202]
	v_fma_f64 v[207:208], v[2:3], v[10:11], -v[12:13]
	scratch_load_b128 v[10:13], off, off offset:704
	ds_load_b128 v[2:5], v1 offset:1344
	v_add_f64 v[195:196], v[195:196], v[203:204]
	v_add_f64 v[197:198], v[199:200], v[197:198]
	v_fma_f64 v[203:204], v[8:9], v[14:15], v[205:206]
	v_fma_f64 v[205:206], v[6:7], v[14:15], -v[16:17]
	ds_load_b128 v[6:9], v1 offset:1360
	scratch_load_b128 v[14:17], off, off offset:720
	s_waitcnt vmcnt(9) lgkmcnt(1)
	v_mul_f64 v[199:200], v[2:3], v[20:21]
	v_mul_f64 v[20:21], v[4:5], v[20:21]
	v_add_f64 v[195:196], v[195:196], v[207:208]
	v_add_f64 v[197:198], v[197:198], v[201:202]
	s_waitcnt vmcnt(8) lgkmcnt(0)
	v_mul_f64 v[201:202], v[6:7], v[24:25]
	v_mul_f64 v[24:25], v[8:9], v[24:25]
	v_fma_f64 v[199:200], v[4:5], v[18:19], v[199:200]
	v_fma_f64 v[207:208], v[2:3], v[18:19], -v[20:21]
	scratch_load_b128 v[18:21], off, off offset:736
	ds_load_b128 v[2:5], v1 offset:1376
	v_add_f64 v[195:196], v[195:196], v[205:206]
	v_add_f64 v[197:198], v[197:198], v[203:204]
	v_fma_f64 v[201:202], v[8:9], v[22:23], v[201:202]
	v_fma_f64 v[205:206], v[6:7], v[22:23], -v[24:25]
	ds_load_b128 v[6:9], v1 offset:1392
	s_waitcnt vmcnt(8) lgkmcnt(1)
	v_mul_f64 v[203:204], v[2:3], v[28:29]
	v_mul_f64 v[28:29], v[4:5], v[28:29]
	scratch_load_b128 v[22:25], off, off offset:752
	v_add_f64 v[195:196], v[195:196], v[207:208]
	v_add_f64 v[197:198], v[197:198], v[199:200]
	s_waitcnt vmcnt(8) lgkmcnt(0)
	v_mul_f64 v[199:200], v[6:7], v[32:33]
	v_mul_f64 v[32:33], v[8:9], v[32:33]
	v_fma_f64 v[203:204], v[4:5], v[26:27], v[203:204]
	v_fma_f64 v[26:27], v[2:3], v[26:27], -v[28:29]
	ds_load_b128 v[2:5], v1 offset:1408
	v_add_f64 v[28:29], v[195:196], v[205:206]
	v_add_f64 v[195:196], v[197:198], v[201:202]
	v_fma_f64 v[199:200], v[8:9], v[30:31], v[199:200]
	v_fma_f64 v[30:31], v[6:7], v[30:31], -v[32:33]
	ds_load_b128 v[6:9], v1 offset:1424
	s_waitcnt vmcnt(7) lgkmcnt(1)
	v_mul_f64 v[197:198], v[2:3], v[40:41]
	v_mul_f64 v[40:41], v[4:5], v[40:41]
	v_add_f64 v[26:27], v[28:29], v[26:27]
	v_add_f64 v[28:29], v[195:196], v[203:204]
	s_delay_alu instid0(VALU_DEP_4) | instskip(NEXT) | instid1(VALU_DEP_4)
	v_fma_f64 v[195:196], v[4:5], v[38:39], v[197:198]
	v_fma_f64 v[38:39], v[2:3], v[38:39], -v[40:41]
	ds_load_b128 v[2:5], v1 offset:1440
	v_add_f64 v[30:31], v[26:27], v[30:31]
	v_add_f64 v[40:41], v[28:29], v[199:200]
	scratch_load_b128 v[26:29], off, off offset:496
	s_waitcnt vmcnt(7) lgkmcnt(1)
	v_mul_f64 v[32:33], v[6:7], v[193:194]
	v_mul_f64 v[193:194], v[8:9], v[193:194]
	v_add_f64 v[30:31], v[30:31], v[38:39]
	v_add_f64 v[38:39], v[40:41], v[195:196]
	s_delay_alu instid0(VALU_DEP_4) | instskip(NEXT) | instid1(VALU_DEP_4)
	v_fma_f64 v[32:33], v[8:9], v[191:192], v[32:33]
	v_fma_f64 v[191:192], v[6:7], v[191:192], -v[193:194]
	ds_load_b128 v[6:9], v1 offset:1456
	s_waitcnt vmcnt(6) lgkmcnt(1)
	v_mul_f64 v[197:198], v[2:3], v[36:37]
	v_mul_f64 v[36:37], v[4:5], v[36:37]
	s_waitcnt vmcnt(5) lgkmcnt(0)
	v_mul_f64 v[40:41], v[6:7], v[189:190]
	v_mul_f64 v[189:190], v[8:9], v[189:190]
	v_add_f64 v[32:33], v[38:39], v[32:33]
	v_add_f64 v[30:31], v[30:31], v[191:192]
	v_fma_f64 v[193:194], v[4:5], v[34:35], v[197:198]
	v_fma_f64 v[34:35], v[2:3], v[34:35], -v[36:37]
	ds_load_b128 v[2:5], v1 offset:1472
	v_fma_f64 v[38:39], v[8:9], v[187:188], v[40:41]
	v_fma_f64 v[40:41], v[6:7], v[187:188], -v[189:190]
	ds_load_b128 v[6:9], v1 offset:1488
	s_waitcnt vmcnt(4) lgkmcnt(1)
	v_mul_f64 v[36:37], v[2:3], v[12:13]
	v_mul_f64 v[12:13], v[4:5], v[12:13]
	v_add_f64 v[32:33], v[32:33], v[193:194]
	v_add_f64 v[30:31], v[30:31], v[34:35]
	s_waitcnt vmcnt(3) lgkmcnt(0)
	v_mul_f64 v[34:35], v[6:7], v[16:17]
	v_mul_f64 v[16:17], v[8:9], v[16:17]
	v_fma_f64 v[36:37], v[4:5], v[10:11], v[36:37]
	v_fma_f64 v[10:11], v[2:3], v[10:11], -v[12:13]
	ds_load_b128 v[2:5], v1 offset:1504
	v_add_f64 v[12:13], v[30:31], v[40:41]
	v_add_f64 v[30:31], v[32:33], v[38:39]
	v_fma_f64 v[34:35], v[8:9], v[14:15], v[34:35]
	v_fma_f64 v[14:15], v[6:7], v[14:15], -v[16:17]
	ds_load_b128 v[6:9], v1 offset:1520
	s_waitcnt vmcnt(2) lgkmcnt(1)
	v_mul_f64 v[32:33], v[2:3], v[20:21]
	v_mul_f64 v[20:21], v[4:5], v[20:21]
	s_waitcnt vmcnt(1) lgkmcnt(0)
	v_mul_f64 v[16:17], v[6:7], v[24:25]
	v_mul_f64 v[24:25], v[8:9], v[24:25]
	v_add_f64 v[10:11], v[12:13], v[10:11]
	v_add_f64 v[12:13], v[30:31], v[36:37]
	v_fma_f64 v[4:5], v[4:5], v[18:19], v[32:33]
	v_fma_f64 v[1:2], v[2:3], v[18:19], -v[20:21]
	v_fma_f64 v[8:9], v[8:9], v[22:23], v[16:17]
	v_fma_f64 v[6:7], v[6:7], v[22:23], -v[24:25]
	v_add_f64 v[10:11], v[10:11], v[14:15]
	v_add_f64 v[12:13], v[12:13], v[34:35]
	s_delay_alu instid0(VALU_DEP_2) | instskip(NEXT) | instid1(VALU_DEP_2)
	v_add_f64 v[1:2], v[10:11], v[1:2]
	v_add_f64 v[3:4], v[12:13], v[4:5]
	s_delay_alu instid0(VALU_DEP_2) | instskip(NEXT) | instid1(VALU_DEP_2)
	v_add_f64 v[1:2], v[1:2], v[6:7]
	v_add_f64 v[3:4], v[3:4], v[8:9]
	s_waitcnt vmcnt(0)
	s_delay_alu instid0(VALU_DEP_2) | instskip(NEXT) | instid1(VALU_DEP_2)
	v_add_f64 v[1:2], v[26:27], -v[1:2]
	v_add_f64 v[3:4], v[28:29], -v[3:4]
	scratch_store_b128 off, v[1:4], off offset:496
	v_cmpx_lt_u32_e32 30, v138
	s_cbranch_execz .LBB111_241
; %bb.240:
	scratch_load_b128 v[1:4], v155, off
	v_mov_b32_e32 v5, 0
	s_delay_alu instid0(VALU_DEP_1)
	v_mov_b32_e32 v6, v5
	v_mov_b32_e32 v7, v5
	;; [unrolled: 1-line block ×3, first 2 shown]
	scratch_store_b128 off, v[5:8], off offset:480
	s_waitcnt vmcnt(0)
	ds_store_b128 v186, v[1:4]
.LBB111_241:
	s_or_b32 exec_lo, exec_lo, s2
	s_waitcnt lgkmcnt(0)
	s_waitcnt_vscnt null, 0x0
	s_barrier
	buffer_gl0_inv
	s_clause 0x7
	scratch_load_b128 v[2:5], off, off offset:496
	scratch_load_b128 v[6:9], off, off offset:512
	;; [unrolled: 1-line block ×8, first 2 shown]
	v_mov_b32_e32 v1, 0
	s_clause 0x1
	scratch_load_b128 v[38:41], off, off offset:624
	scratch_load_b128 v[191:194], off, off offset:640
	s_mov_b32 s2, exec_lo
	ds_load_b128 v[34:37], v1 offset:1264
	ds_load_b128 v[187:190], v1 offset:1280
	s_waitcnt vmcnt(9) lgkmcnt(1)
	v_mul_f64 v[195:196], v[36:37], v[4:5]
	v_mul_f64 v[4:5], v[34:35], v[4:5]
	s_waitcnt vmcnt(8) lgkmcnt(0)
	v_mul_f64 v[197:198], v[187:188], v[8:9]
	v_mul_f64 v[8:9], v[189:190], v[8:9]
	s_delay_alu instid0(VALU_DEP_4) | instskip(NEXT) | instid1(VALU_DEP_4)
	v_fma_f64 v[195:196], v[34:35], v[2:3], -v[195:196]
	v_fma_f64 v[199:200], v[36:37], v[2:3], v[4:5]
	ds_load_b128 v[2:5], v1 offset:1296
	scratch_load_b128 v[34:37], off, off offset:656
	v_fma_f64 v[197:198], v[189:190], v[6:7], v[197:198]
	v_fma_f64 v[203:204], v[187:188], v[6:7], -v[8:9]
	ds_load_b128 v[6:9], v1 offset:1312
	scratch_load_b128 v[187:190], off, off offset:672
	s_waitcnt vmcnt(9) lgkmcnt(1)
	v_mul_f64 v[201:202], v[2:3], v[12:13]
	v_mul_f64 v[12:13], v[4:5], v[12:13]
	s_waitcnt vmcnt(8) lgkmcnt(0)
	v_mul_f64 v[205:206], v[6:7], v[16:17]
	v_mul_f64 v[16:17], v[8:9], v[16:17]
	v_add_f64 v[195:196], v[195:196], 0
	v_add_f64 v[199:200], v[199:200], 0
	v_fma_f64 v[201:202], v[4:5], v[10:11], v[201:202]
	v_fma_f64 v[207:208], v[2:3], v[10:11], -v[12:13]
	scratch_load_b128 v[10:13], off, off offset:688
	ds_load_b128 v[2:5], v1 offset:1328
	v_add_f64 v[195:196], v[195:196], v[203:204]
	v_add_f64 v[197:198], v[199:200], v[197:198]
	v_fma_f64 v[203:204], v[8:9], v[14:15], v[205:206]
	v_fma_f64 v[205:206], v[6:7], v[14:15], -v[16:17]
	ds_load_b128 v[6:9], v1 offset:1344
	scratch_load_b128 v[14:17], off, off offset:704
	s_waitcnt vmcnt(9) lgkmcnt(1)
	v_mul_f64 v[199:200], v[2:3], v[20:21]
	v_mul_f64 v[20:21], v[4:5], v[20:21]
	v_add_f64 v[195:196], v[195:196], v[207:208]
	v_add_f64 v[197:198], v[197:198], v[201:202]
	s_waitcnt vmcnt(8) lgkmcnt(0)
	v_mul_f64 v[201:202], v[6:7], v[24:25]
	v_mul_f64 v[24:25], v[8:9], v[24:25]
	v_fma_f64 v[199:200], v[4:5], v[18:19], v[199:200]
	v_fma_f64 v[207:208], v[2:3], v[18:19], -v[20:21]
	scratch_load_b128 v[18:21], off, off offset:720
	ds_load_b128 v[2:5], v1 offset:1360
	v_add_f64 v[195:196], v[195:196], v[205:206]
	v_add_f64 v[197:198], v[197:198], v[203:204]
	v_fma_f64 v[201:202], v[8:9], v[22:23], v[201:202]
	v_fma_f64 v[205:206], v[6:7], v[22:23], -v[24:25]
	ds_load_b128 v[6:9], v1 offset:1376
	s_waitcnt vmcnt(8) lgkmcnt(1)
	v_mul_f64 v[203:204], v[2:3], v[28:29]
	v_mul_f64 v[28:29], v[4:5], v[28:29]
	scratch_load_b128 v[22:25], off, off offset:736
	v_add_f64 v[195:196], v[195:196], v[207:208]
	v_add_f64 v[197:198], v[197:198], v[199:200]
	s_waitcnt vmcnt(8) lgkmcnt(0)
	v_mul_f64 v[199:200], v[6:7], v[32:33]
	v_mul_f64 v[32:33], v[8:9], v[32:33]
	v_fma_f64 v[203:204], v[4:5], v[26:27], v[203:204]
	v_fma_f64 v[207:208], v[2:3], v[26:27], -v[28:29]
	scratch_load_b128 v[26:29], off, off offset:752
	ds_load_b128 v[2:5], v1 offset:1392
	v_add_f64 v[195:196], v[195:196], v[205:206]
	v_add_f64 v[197:198], v[197:198], v[201:202]
	v_fma_f64 v[199:200], v[8:9], v[30:31], v[199:200]
	v_fma_f64 v[30:31], v[6:7], v[30:31], -v[32:33]
	ds_load_b128 v[6:9], v1 offset:1408
	s_waitcnt vmcnt(8) lgkmcnt(1)
	v_mul_f64 v[201:202], v[2:3], v[40:41]
	v_mul_f64 v[40:41], v[4:5], v[40:41]
	v_add_f64 v[32:33], v[195:196], v[207:208]
	v_add_f64 v[195:196], v[197:198], v[203:204]
	s_waitcnt vmcnt(7) lgkmcnt(0)
	v_mul_f64 v[197:198], v[6:7], v[193:194]
	v_mul_f64 v[193:194], v[8:9], v[193:194]
	v_fma_f64 v[201:202], v[4:5], v[38:39], v[201:202]
	v_fma_f64 v[38:39], v[2:3], v[38:39], -v[40:41]
	ds_load_b128 v[2:5], v1 offset:1424
	v_add_f64 v[30:31], v[32:33], v[30:31]
	v_add_f64 v[32:33], v[195:196], v[199:200]
	v_fma_f64 v[195:196], v[8:9], v[191:192], v[197:198]
	v_fma_f64 v[191:192], v[6:7], v[191:192], -v[193:194]
	ds_load_b128 v[6:9], v1 offset:1440
	s_waitcnt vmcnt(5) lgkmcnt(0)
	v_mul_f64 v[197:198], v[6:7], v[189:190]
	v_mul_f64 v[189:190], v[8:9], v[189:190]
	v_add_f64 v[38:39], v[30:31], v[38:39]
	v_add_f64 v[193:194], v[32:33], v[201:202]
	scratch_load_b128 v[30:33], off, off offset:480
	v_mul_f64 v[40:41], v[2:3], v[36:37]
	v_mul_f64 v[36:37], v[4:5], v[36:37]
	s_delay_alu instid0(VALU_DEP_2) | instskip(NEXT) | instid1(VALU_DEP_2)
	v_fma_f64 v[40:41], v[4:5], v[34:35], v[40:41]
	v_fma_f64 v[34:35], v[2:3], v[34:35], -v[36:37]
	v_add_f64 v[36:37], v[38:39], v[191:192]
	v_add_f64 v[38:39], v[193:194], v[195:196]
	ds_load_b128 v[2:5], v1 offset:1456
	v_fma_f64 v[193:194], v[8:9], v[187:188], v[197:198]
	v_fma_f64 v[187:188], v[6:7], v[187:188], -v[189:190]
	ds_load_b128 v[6:9], v1 offset:1472
	s_waitcnt vmcnt(5) lgkmcnt(1)
	v_mul_f64 v[191:192], v[2:3], v[12:13]
	v_mul_f64 v[12:13], v[4:5], v[12:13]
	v_add_f64 v[34:35], v[36:37], v[34:35]
	v_add_f64 v[36:37], v[38:39], v[40:41]
	s_waitcnt vmcnt(4) lgkmcnt(0)
	v_mul_f64 v[38:39], v[6:7], v[16:17]
	v_mul_f64 v[16:17], v[8:9], v[16:17]
	v_fma_f64 v[40:41], v[4:5], v[10:11], v[191:192]
	v_fma_f64 v[10:11], v[2:3], v[10:11], -v[12:13]
	ds_load_b128 v[2:5], v1 offset:1488
	v_add_f64 v[12:13], v[34:35], v[187:188]
	v_add_f64 v[34:35], v[36:37], v[193:194]
	v_fma_f64 v[38:39], v[8:9], v[14:15], v[38:39]
	v_fma_f64 v[14:15], v[6:7], v[14:15], -v[16:17]
	ds_load_b128 v[6:9], v1 offset:1504
	s_waitcnt vmcnt(3) lgkmcnt(1)
	v_mul_f64 v[36:37], v[2:3], v[20:21]
	v_mul_f64 v[20:21], v[4:5], v[20:21]
	s_waitcnt vmcnt(2) lgkmcnt(0)
	v_mul_f64 v[16:17], v[6:7], v[24:25]
	v_mul_f64 v[24:25], v[8:9], v[24:25]
	v_add_f64 v[10:11], v[12:13], v[10:11]
	v_add_f64 v[12:13], v[34:35], v[40:41]
	v_fma_f64 v[34:35], v[4:5], v[18:19], v[36:37]
	v_fma_f64 v[18:19], v[2:3], v[18:19], -v[20:21]
	ds_load_b128 v[2:5], v1 offset:1520
	v_fma_f64 v[8:9], v[8:9], v[22:23], v[16:17]
	v_fma_f64 v[6:7], v[6:7], v[22:23], -v[24:25]
	s_waitcnt vmcnt(1) lgkmcnt(0)
	v_mul_f64 v[20:21], v[4:5], v[28:29]
	v_add_f64 v[10:11], v[10:11], v[14:15]
	v_add_f64 v[12:13], v[12:13], v[38:39]
	v_mul_f64 v[14:15], v[2:3], v[28:29]
	s_delay_alu instid0(VALU_DEP_4) | instskip(NEXT) | instid1(VALU_DEP_4)
	v_fma_f64 v[2:3], v[2:3], v[26:27], -v[20:21]
	v_add_f64 v[10:11], v[10:11], v[18:19]
	s_delay_alu instid0(VALU_DEP_4) | instskip(NEXT) | instid1(VALU_DEP_4)
	v_add_f64 v[12:13], v[12:13], v[34:35]
	v_fma_f64 v[4:5], v[4:5], v[26:27], v[14:15]
	s_delay_alu instid0(VALU_DEP_3) | instskip(NEXT) | instid1(VALU_DEP_3)
	v_add_f64 v[6:7], v[10:11], v[6:7]
	v_add_f64 v[8:9], v[12:13], v[8:9]
	s_delay_alu instid0(VALU_DEP_2) | instskip(NEXT) | instid1(VALU_DEP_2)
	v_add_f64 v[2:3], v[6:7], v[2:3]
	v_add_f64 v[4:5], v[8:9], v[4:5]
	s_waitcnt vmcnt(0)
	s_delay_alu instid0(VALU_DEP_2) | instskip(NEXT) | instid1(VALU_DEP_2)
	v_add_f64 v[2:3], v[30:31], -v[2:3]
	v_add_f64 v[4:5], v[32:33], -v[4:5]
	scratch_store_b128 off, v[2:5], off offset:480
	v_cmpx_lt_u32_e32 29, v138
	s_cbranch_execz .LBB111_243
; %bb.242:
	scratch_load_b128 v[5:8], v157, off
	v_mov_b32_e32 v2, v1
	v_mov_b32_e32 v3, v1
	;; [unrolled: 1-line block ×3, first 2 shown]
	scratch_store_b128 off, v[1:4], off offset:464
	s_waitcnt vmcnt(0)
	ds_store_b128 v186, v[5:8]
.LBB111_243:
	s_or_b32 exec_lo, exec_lo, s2
	s_waitcnt lgkmcnt(0)
	s_waitcnt_vscnt null, 0x0
	s_barrier
	buffer_gl0_inv
	s_clause 0x7
	scratch_load_b128 v[2:5], off, off offset:480
	scratch_load_b128 v[6:9], off, off offset:496
	;; [unrolled: 1-line block ×8, first 2 shown]
	ds_load_b128 v[34:37], v1 offset:1248
	ds_load_b128 v[187:190], v1 offset:1264
	s_clause 0x1
	scratch_load_b128 v[38:41], off, off offset:608
	scratch_load_b128 v[191:194], off, off offset:624
	s_mov_b32 s2, exec_lo
	s_waitcnt vmcnt(9) lgkmcnt(1)
	v_mul_f64 v[195:196], v[36:37], v[4:5]
	v_mul_f64 v[4:5], v[34:35], v[4:5]
	s_waitcnt vmcnt(8) lgkmcnt(0)
	v_mul_f64 v[197:198], v[187:188], v[8:9]
	v_mul_f64 v[8:9], v[189:190], v[8:9]
	s_delay_alu instid0(VALU_DEP_4) | instskip(NEXT) | instid1(VALU_DEP_4)
	v_fma_f64 v[195:196], v[34:35], v[2:3], -v[195:196]
	v_fma_f64 v[199:200], v[36:37], v[2:3], v[4:5]
	scratch_load_b128 v[34:37], off, off offset:640
	ds_load_b128 v[2:5], v1 offset:1280
	v_fma_f64 v[197:198], v[189:190], v[6:7], v[197:198]
	v_fma_f64 v[203:204], v[187:188], v[6:7], -v[8:9]
	ds_load_b128 v[6:9], v1 offset:1296
	scratch_load_b128 v[187:190], off, off offset:656
	s_waitcnt vmcnt(9) lgkmcnt(1)
	v_mul_f64 v[201:202], v[2:3], v[12:13]
	v_mul_f64 v[12:13], v[4:5], v[12:13]
	s_waitcnt vmcnt(8) lgkmcnt(0)
	v_mul_f64 v[205:206], v[6:7], v[16:17]
	v_mul_f64 v[16:17], v[8:9], v[16:17]
	v_add_f64 v[195:196], v[195:196], 0
	v_add_f64 v[199:200], v[199:200], 0
	v_fma_f64 v[201:202], v[4:5], v[10:11], v[201:202]
	v_fma_f64 v[207:208], v[2:3], v[10:11], -v[12:13]
	scratch_load_b128 v[10:13], off, off offset:672
	ds_load_b128 v[2:5], v1 offset:1312
	v_add_f64 v[195:196], v[195:196], v[203:204]
	v_add_f64 v[197:198], v[199:200], v[197:198]
	v_fma_f64 v[203:204], v[8:9], v[14:15], v[205:206]
	v_fma_f64 v[205:206], v[6:7], v[14:15], -v[16:17]
	ds_load_b128 v[6:9], v1 offset:1328
	scratch_load_b128 v[14:17], off, off offset:688
	s_waitcnt vmcnt(9) lgkmcnt(1)
	v_mul_f64 v[199:200], v[2:3], v[20:21]
	v_mul_f64 v[20:21], v[4:5], v[20:21]
	v_add_f64 v[195:196], v[195:196], v[207:208]
	v_add_f64 v[197:198], v[197:198], v[201:202]
	s_waitcnt vmcnt(8) lgkmcnt(0)
	v_mul_f64 v[201:202], v[6:7], v[24:25]
	v_mul_f64 v[24:25], v[8:9], v[24:25]
	v_fma_f64 v[199:200], v[4:5], v[18:19], v[199:200]
	v_fma_f64 v[207:208], v[2:3], v[18:19], -v[20:21]
	scratch_load_b128 v[18:21], off, off offset:704
	ds_load_b128 v[2:5], v1 offset:1344
	v_add_f64 v[195:196], v[195:196], v[205:206]
	v_add_f64 v[197:198], v[197:198], v[203:204]
	v_fma_f64 v[201:202], v[8:9], v[22:23], v[201:202]
	v_fma_f64 v[205:206], v[6:7], v[22:23], -v[24:25]
	ds_load_b128 v[6:9], v1 offset:1360
	s_waitcnt vmcnt(8) lgkmcnt(1)
	v_mul_f64 v[203:204], v[2:3], v[28:29]
	v_mul_f64 v[28:29], v[4:5], v[28:29]
	scratch_load_b128 v[22:25], off, off offset:720
	v_add_f64 v[195:196], v[195:196], v[207:208]
	v_add_f64 v[197:198], v[197:198], v[199:200]
	s_waitcnt vmcnt(8) lgkmcnt(0)
	v_mul_f64 v[199:200], v[6:7], v[32:33]
	v_mul_f64 v[32:33], v[8:9], v[32:33]
	v_fma_f64 v[203:204], v[4:5], v[26:27], v[203:204]
	v_fma_f64 v[207:208], v[2:3], v[26:27], -v[28:29]
	scratch_load_b128 v[26:29], off, off offset:736
	ds_load_b128 v[2:5], v1 offset:1376
	v_add_f64 v[195:196], v[195:196], v[205:206]
	v_add_f64 v[197:198], v[197:198], v[201:202]
	v_fma_f64 v[199:200], v[8:9], v[30:31], v[199:200]
	v_fma_f64 v[205:206], v[6:7], v[30:31], -v[32:33]
	ds_load_b128 v[6:9], v1 offset:1392
	s_waitcnt vmcnt(8) lgkmcnt(1)
	v_mul_f64 v[201:202], v[2:3], v[40:41]
	v_mul_f64 v[40:41], v[4:5], v[40:41]
	scratch_load_b128 v[30:33], off, off offset:752
	v_add_f64 v[195:196], v[195:196], v[207:208]
	v_add_f64 v[197:198], v[197:198], v[203:204]
	v_fma_f64 v[201:202], v[4:5], v[38:39], v[201:202]
	v_fma_f64 v[38:39], v[2:3], v[38:39], -v[40:41]
	ds_load_b128 v[2:5], v1 offset:1408
	v_add_f64 v[40:41], v[195:196], v[205:206]
	v_add_f64 v[195:196], v[197:198], v[199:200]
	s_waitcnt vmcnt(7) lgkmcnt(0)
	v_mul_f64 v[197:198], v[2:3], v[36:37]
	v_mul_f64 v[36:37], v[4:5], v[36:37]
	s_delay_alu instid0(VALU_DEP_4) | instskip(NEXT) | instid1(VALU_DEP_4)
	v_add_f64 v[38:39], v[40:41], v[38:39]
	v_add_f64 v[40:41], v[195:196], v[201:202]
	s_delay_alu instid0(VALU_DEP_4) | instskip(NEXT) | instid1(VALU_DEP_4)
	v_fma_f64 v[195:196], v[4:5], v[34:35], v[197:198]
	v_fma_f64 v[197:198], v[2:3], v[34:35], -v[36:37]
	scratch_load_b128 v[34:37], off, off offset:464
	v_mul_f64 v[203:204], v[6:7], v[193:194]
	v_mul_f64 v[193:194], v[8:9], v[193:194]
	ds_load_b128 v[2:5], v1 offset:1440
	v_fma_f64 v[199:200], v[8:9], v[191:192], v[203:204]
	v_fma_f64 v[191:192], v[6:7], v[191:192], -v[193:194]
	ds_load_b128 v[6:9], v1 offset:1424
	s_waitcnt vmcnt(7) lgkmcnt(0)
	v_mul_f64 v[193:194], v[6:7], v[189:190]
	v_mul_f64 v[189:190], v[8:9], v[189:190]
	v_add_f64 v[40:41], v[40:41], v[199:200]
	v_add_f64 v[38:39], v[38:39], v[191:192]
	s_waitcnt vmcnt(6)
	v_mul_f64 v[191:192], v[2:3], v[12:13]
	v_mul_f64 v[12:13], v[4:5], v[12:13]
	v_fma_f64 v[193:194], v[8:9], v[187:188], v[193:194]
	v_fma_f64 v[187:188], v[6:7], v[187:188], -v[189:190]
	ds_load_b128 v[6:9], v1 offset:1456
	v_add_f64 v[40:41], v[40:41], v[195:196]
	v_add_f64 v[38:39], v[38:39], v[197:198]
	v_fma_f64 v[191:192], v[4:5], v[10:11], v[191:192]
	v_fma_f64 v[10:11], v[2:3], v[10:11], -v[12:13]
	ds_load_b128 v[2:5], v1 offset:1472
	s_waitcnt vmcnt(5) lgkmcnt(1)
	v_mul_f64 v[189:190], v[6:7], v[16:17]
	v_mul_f64 v[16:17], v[8:9], v[16:17]
	v_add_f64 v[12:13], v[38:39], v[187:188]
	v_add_f64 v[38:39], v[40:41], v[193:194]
	s_waitcnt vmcnt(4) lgkmcnt(0)
	v_mul_f64 v[40:41], v[2:3], v[20:21]
	v_mul_f64 v[20:21], v[4:5], v[20:21]
	v_fma_f64 v[187:188], v[8:9], v[14:15], v[189:190]
	v_fma_f64 v[14:15], v[6:7], v[14:15], -v[16:17]
	ds_load_b128 v[6:9], v1 offset:1488
	v_add_f64 v[10:11], v[12:13], v[10:11]
	v_add_f64 v[12:13], v[38:39], v[191:192]
	v_fma_f64 v[38:39], v[4:5], v[18:19], v[40:41]
	v_fma_f64 v[18:19], v[2:3], v[18:19], -v[20:21]
	ds_load_b128 v[2:5], v1 offset:1504
	s_waitcnt vmcnt(3) lgkmcnt(1)
	v_mul_f64 v[16:17], v[6:7], v[24:25]
	v_mul_f64 v[24:25], v[8:9], v[24:25]
	s_waitcnt vmcnt(2) lgkmcnt(0)
	v_mul_f64 v[20:21], v[4:5], v[28:29]
	v_add_f64 v[10:11], v[10:11], v[14:15]
	v_add_f64 v[12:13], v[12:13], v[187:188]
	v_mul_f64 v[14:15], v[2:3], v[28:29]
	v_fma_f64 v[16:17], v[8:9], v[22:23], v[16:17]
	v_fma_f64 v[22:23], v[6:7], v[22:23], -v[24:25]
	ds_load_b128 v[6:9], v1 offset:1520
	v_fma_f64 v[1:2], v[2:3], v[26:27], -v[20:21]
	s_waitcnt vmcnt(1) lgkmcnt(0)
	v_mul_f64 v[24:25], v[8:9], v[32:33]
	v_add_f64 v[10:11], v[10:11], v[18:19]
	v_add_f64 v[12:13], v[12:13], v[38:39]
	v_mul_f64 v[18:19], v[6:7], v[32:33]
	v_fma_f64 v[4:5], v[4:5], v[26:27], v[14:15]
	v_fma_f64 v[6:7], v[6:7], v[30:31], -v[24:25]
	v_add_f64 v[10:11], v[10:11], v[22:23]
	v_add_f64 v[12:13], v[12:13], v[16:17]
	v_fma_f64 v[8:9], v[8:9], v[30:31], v[18:19]
	s_delay_alu instid0(VALU_DEP_3) | instskip(NEXT) | instid1(VALU_DEP_3)
	v_add_f64 v[1:2], v[10:11], v[1:2]
	v_add_f64 v[3:4], v[12:13], v[4:5]
	s_delay_alu instid0(VALU_DEP_2) | instskip(NEXT) | instid1(VALU_DEP_2)
	v_add_f64 v[1:2], v[1:2], v[6:7]
	v_add_f64 v[3:4], v[3:4], v[8:9]
	s_waitcnt vmcnt(0)
	s_delay_alu instid0(VALU_DEP_2) | instskip(NEXT) | instid1(VALU_DEP_2)
	v_add_f64 v[1:2], v[34:35], -v[1:2]
	v_add_f64 v[3:4], v[36:37], -v[3:4]
	scratch_store_b128 off, v[1:4], off offset:464
	v_cmpx_lt_u32_e32 28, v138
	s_cbranch_execz .LBB111_245
; %bb.244:
	scratch_load_b128 v[1:4], v158, off
	v_mov_b32_e32 v5, 0
	s_delay_alu instid0(VALU_DEP_1)
	v_mov_b32_e32 v6, v5
	v_mov_b32_e32 v7, v5
	v_mov_b32_e32 v8, v5
	scratch_store_b128 off, v[5:8], off offset:448
	s_waitcnt vmcnt(0)
	ds_store_b128 v186, v[1:4]
.LBB111_245:
	s_or_b32 exec_lo, exec_lo, s2
	s_waitcnt lgkmcnt(0)
	s_waitcnt_vscnt null, 0x0
	s_barrier
	buffer_gl0_inv
	s_clause 0x7
	scratch_load_b128 v[2:5], off, off offset:464
	scratch_load_b128 v[6:9], off, off offset:480
	scratch_load_b128 v[10:13], off, off offset:496
	scratch_load_b128 v[14:17], off, off offset:512
	scratch_load_b128 v[18:21], off, off offset:528
	scratch_load_b128 v[22:25], off, off offset:544
	scratch_load_b128 v[26:29], off, off offset:560
	scratch_load_b128 v[30:33], off, off offset:576
	v_mov_b32_e32 v1, 0
	s_clause 0x1
	scratch_load_b128 v[38:41], off, off offset:592
	scratch_load_b128 v[191:194], off, off offset:608
	s_mov_b32 s2, exec_lo
	ds_load_b128 v[34:37], v1 offset:1232
	ds_load_b128 v[187:190], v1 offset:1248
	s_waitcnt vmcnt(9) lgkmcnt(1)
	v_mul_f64 v[195:196], v[36:37], v[4:5]
	v_mul_f64 v[4:5], v[34:35], v[4:5]
	s_waitcnt vmcnt(8) lgkmcnt(0)
	v_mul_f64 v[197:198], v[187:188], v[8:9]
	v_mul_f64 v[8:9], v[189:190], v[8:9]
	s_delay_alu instid0(VALU_DEP_4) | instskip(NEXT) | instid1(VALU_DEP_4)
	v_fma_f64 v[195:196], v[34:35], v[2:3], -v[195:196]
	v_fma_f64 v[199:200], v[36:37], v[2:3], v[4:5]
	ds_load_b128 v[2:5], v1 offset:1264
	scratch_load_b128 v[34:37], off, off offset:624
	v_fma_f64 v[197:198], v[189:190], v[6:7], v[197:198]
	v_fma_f64 v[203:204], v[187:188], v[6:7], -v[8:9]
	scratch_load_b128 v[187:190], off, off offset:640
	ds_load_b128 v[6:9], v1 offset:1280
	s_waitcnt vmcnt(9) lgkmcnt(1)
	v_mul_f64 v[201:202], v[2:3], v[12:13]
	v_mul_f64 v[12:13], v[4:5], v[12:13]
	s_waitcnt vmcnt(8) lgkmcnt(0)
	v_mul_f64 v[205:206], v[6:7], v[16:17]
	v_mul_f64 v[16:17], v[8:9], v[16:17]
	v_add_f64 v[195:196], v[195:196], 0
	v_add_f64 v[199:200], v[199:200], 0
	v_fma_f64 v[201:202], v[4:5], v[10:11], v[201:202]
	v_fma_f64 v[207:208], v[2:3], v[10:11], -v[12:13]
	ds_load_b128 v[2:5], v1 offset:1296
	scratch_load_b128 v[10:13], off, off offset:656
	v_add_f64 v[195:196], v[195:196], v[203:204]
	v_add_f64 v[197:198], v[199:200], v[197:198]
	v_fma_f64 v[203:204], v[8:9], v[14:15], v[205:206]
	v_fma_f64 v[205:206], v[6:7], v[14:15], -v[16:17]
	ds_load_b128 v[6:9], v1 offset:1312
	scratch_load_b128 v[14:17], off, off offset:672
	s_waitcnt vmcnt(9) lgkmcnt(1)
	v_mul_f64 v[199:200], v[2:3], v[20:21]
	v_mul_f64 v[20:21], v[4:5], v[20:21]
	v_add_f64 v[195:196], v[195:196], v[207:208]
	v_add_f64 v[197:198], v[197:198], v[201:202]
	s_waitcnt vmcnt(8) lgkmcnt(0)
	v_mul_f64 v[201:202], v[6:7], v[24:25]
	v_mul_f64 v[24:25], v[8:9], v[24:25]
	v_fma_f64 v[199:200], v[4:5], v[18:19], v[199:200]
	v_fma_f64 v[207:208], v[2:3], v[18:19], -v[20:21]
	scratch_load_b128 v[18:21], off, off offset:688
	ds_load_b128 v[2:5], v1 offset:1328
	v_add_f64 v[195:196], v[195:196], v[205:206]
	v_add_f64 v[197:198], v[197:198], v[203:204]
	v_fma_f64 v[201:202], v[8:9], v[22:23], v[201:202]
	v_fma_f64 v[205:206], v[6:7], v[22:23], -v[24:25]
	ds_load_b128 v[6:9], v1 offset:1344
	s_waitcnt vmcnt(8) lgkmcnt(1)
	v_mul_f64 v[203:204], v[2:3], v[28:29]
	v_mul_f64 v[28:29], v[4:5], v[28:29]
	scratch_load_b128 v[22:25], off, off offset:704
	v_add_f64 v[195:196], v[195:196], v[207:208]
	v_add_f64 v[197:198], v[197:198], v[199:200]
	s_waitcnt vmcnt(8) lgkmcnt(0)
	v_mul_f64 v[199:200], v[6:7], v[32:33]
	v_mul_f64 v[32:33], v[8:9], v[32:33]
	v_fma_f64 v[203:204], v[4:5], v[26:27], v[203:204]
	v_fma_f64 v[207:208], v[2:3], v[26:27], -v[28:29]
	scratch_load_b128 v[26:29], off, off offset:720
	ds_load_b128 v[2:5], v1 offset:1360
	v_add_f64 v[195:196], v[195:196], v[205:206]
	v_add_f64 v[197:198], v[197:198], v[201:202]
	v_fma_f64 v[199:200], v[8:9], v[30:31], v[199:200]
	v_fma_f64 v[205:206], v[6:7], v[30:31], -v[32:33]
	ds_load_b128 v[6:9], v1 offset:1376
	s_waitcnt vmcnt(8) lgkmcnt(1)
	v_mul_f64 v[201:202], v[2:3], v[40:41]
	v_mul_f64 v[40:41], v[4:5], v[40:41]
	scratch_load_b128 v[30:33], off, off offset:736
	v_add_f64 v[195:196], v[195:196], v[207:208]
	v_add_f64 v[197:198], v[197:198], v[203:204]
	s_waitcnt vmcnt(8) lgkmcnt(0)
	v_mul_f64 v[203:204], v[6:7], v[193:194]
	v_mul_f64 v[193:194], v[8:9], v[193:194]
	v_fma_f64 v[201:202], v[4:5], v[38:39], v[201:202]
	v_fma_f64 v[207:208], v[2:3], v[38:39], -v[40:41]
	scratch_load_b128 v[38:41], off, off offset:752
	ds_load_b128 v[2:5], v1 offset:1392
	v_add_f64 v[195:196], v[195:196], v[205:206]
	v_add_f64 v[197:198], v[197:198], v[199:200]
	v_fma_f64 v[203:204], v[8:9], v[191:192], v[203:204]
	v_fma_f64 v[191:192], v[6:7], v[191:192], -v[193:194]
	ds_load_b128 v[6:9], v1 offset:1408
	s_waitcnt vmcnt(8) lgkmcnt(1)
	v_mul_f64 v[199:200], v[2:3], v[36:37]
	v_mul_f64 v[36:37], v[4:5], v[36:37]
	v_add_f64 v[193:194], v[195:196], v[207:208]
	v_add_f64 v[195:196], v[197:198], v[201:202]
	s_waitcnt vmcnt(7) lgkmcnt(0)
	v_mul_f64 v[197:198], v[6:7], v[189:190]
	v_mul_f64 v[189:190], v[8:9], v[189:190]
	v_fma_f64 v[199:200], v[4:5], v[34:35], v[199:200]
	v_fma_f64 v[34:35], v[2:3], v[34:35], -v[36:37]
	ds_load_b128 v[2:5], v1 offset:1424
	v_add_f64 v[36:37], v[193:194], v[191:192]
	v_add_f64 v[191:192], v[195:196], v[203:204]
	v_fma_f64 v[195:196], v[8:9], v[187:188], v[197:198]
	v_fma_f64 v[187:188], v[6:7], v[187:188], -v[189:190]
	ds_load_b128 v[6:9], v1 offset:1440
	s_waitcnt vmcnt(5) lgkmcnt(0)
	v_mul_f64 v[197:198], v[6:7], v[16:17]
	v_mul_f64 v[16:17], v[8:9], v[16:17]
	v_add_f64 v[189:190], v[36:37], v[34:35]
	v_add_f64 v[191:192], v[191:192], v[199:200]
	scratch_load_b128 v[34:37], off, off offset:448
	v_mul_f64 v[193:194], v[2:3], v[12:13]
	v_mul_f64 v[12:13], v[4:5], v[12:13]
	s_delay_alu instid0(VALU_DEP_2) | instskip(NEXT) | instid1(VALU_DEP_2)
	v_fma_f64 v[193:194], v[4:5], v[10:11], v[193:194]
	v_fma_f64 v[10:11], v[2:3], v[10:11], -v[12:13]
	v_add_f64 v[12:13], v[189:190], v[187:188]
	v_add_f64 v[187:188], v[191:192], v[195:196]
	ds_load_b128 v[2:5], v1 offset:1456
	v_fma_f64 v[191:192], v[8:9], v[14:15], v[197:198]
	v_fma_f64 v[14:15], v[6:7], v[14:15], -v[16:17]
	ds_load_b128 v[6:9], v1 offset:1472
	s_waitcnt vmcnt(5) lgkmcnt(1)
	v_mul_f64 v[189:190], v[2:3], v[20:21]
	v_mul_f64 v[20:21], v[4:5], v[20:21]
	s_waitcnt vmcnt(4) lgkmcnt(0)
	v_mul_f64 v[16:17], v[6:7], v[24:25]
	v_mul_f64 v[24:25], v[8:9], v[24:25]
	v_add_f64 v[10:11], v[12:13], v[10:11]
	v_add_f64 v[12:13], v[187:188], v[193:194]
	v_fma_f64 v[187:188], v[4:5], v[18:19], v[189:190]
	v_fma_f64 v[18:19], v[2:3], v[18:19], -v[20:21]
	ds_load_b128 v[2:5], v1 offset:1488
	v_fma_f64 v[16:17], v[8:9], v[22:23], v[16:17]
	v_fma_f64 v[22:23], v[6:7], v[22:23], -v[24:25]
	ds_load_b128 v[6:9], v1 offset:1504
	v_add_f64 v[10:11], v[10:11], v[14:15]
	v_add_f64 v[12:13], v[12:13], v[191:192]
	s_waitcnt vmcnt(3) lgkmcnt(1)
	v_mul_f64 v[14:15], v[2:3], v[28:29]
	v_mul_f64 v[20:21], v[4:5], v[28:29]
	s_waitcnt vmcnt(2) lgkmcnt(0)
	v_mul_f64 v[24:25], v[8:9], v[32:33]
	v_add_f64 v[10:11], v[10:11], v[18:19]
	v_add_f64 v[12:13], v[12:13], v[187:188]
	v_mul_f64 v[18:19], v[6:7], v[32:33]
	v_fma_f64 v[14:15], v[4:5], v[26:27], v[14:15]
	v_fma_f64 v[20:21], v[2:3], v[26:27], -v[20:21]
	ds_load_b128 v[2:5], v1 offset:1520
	v_fma_f64 v[6:7], v[6:7], v[30:31], -v[24:25]
	v_add_f64 v[10:11], v[10:11], v[22:23]
	v_add_f64 v[12:13], v[12:13], v[16:17]
	s_waitcnt vmcnt(1) lgkmcnt(0)
	v_mul_f64 v[16:17], v[2:3], v[40:41]
	v_mul_f64 v[22:23], v[4:5], v[40:41]
	v_fma_f64 v[8:9], v[8:9], v[30:31], v[18:19]
	v_add_f64 v[10:11], v[10:11], v[20:21]
	v_add_f64 v[12:13], v[12:13], v[14:15]
	v_fma_f64 v[4:5], v[4:5], v[38:39], v[16:17]
	v_fma_f64 v[2:3], v[2:3], v[38:39], -v[22:23]
	s_delay_alu instid0(VALU_DEP_4) | instskip(NEXT) | instid1(VALU_DEP_4)
	v_add_f64 v[6:7], v[10:11], v[6:7]
	v_add_f64 v[8:9], v[12:13], v[8:9]
	s_delay_alu instid0(VALU_DEP_2) | instskip(NEXT) | instid1(VALU_DEP_2)
	v_add_f64 v[2:3], v[6:7], v[2:3]
	v_add_f64 v[4:5], v[8:9], v[4:5]
	s_waitcnt vmcnt(0)
	s_delay_alu instid0(VALU_DEP_2) | instskip(NEXT) | instid1(VALU_DEP_2)
	v_add_f64 v[2:3], v[34:35], -v[2:3]
	v_add_f64 v[4:5], v[36:37], -v[4:5]
	scratch_store_b128 off, v[2:5], off offset:448
	v_cmpx_lt_u32_e32 27, v138
	s_cbranch_execz .LBB111_247
; %bb.246:
	scratch_load_b128 v[5:8], v160, off
	v_mov_b32_e32 v2, v1
	v_mov_b32_e32 v3, v1
	v_mov_b32_e32 v4, v1
	scratch_store_b128 off, v[1:4], off offset:432
	s_waitcnt vmcnt(0)
	ds_store_b128 v186, v[5:8]
.LBB111_247:
	s_or_b32 exec_lo, exec_lo, s2
	s_waitcnt lgkmcnt(0)
	s_waitcnt_vscnt null, 0x0
	s_barrier
	buffer_gl0_inv
	s_clause 0x7
	scratch_load_b128 v[2:5], off, off offset:448
	scratch_load_b128 v[6:9], off, off offset:464
	scratch_load_b128 v[10:13], off, off offset:480
	scratch_load_b128 v[14:17], off, off offset:496
	scratch_load_b128 v[18:21], off, off offset:512
	scratch_load_b128 v[22:25], off, off offset:528
	scratch_load_b128 v[26:29], off, off offset:544
	scratch_load_b128 v[30:33], off, off offset:560
	ds_load_b128 v[34:37], v1 offset:1216
	ds_load_b128 v[187:190], v1 offset:1232
	s_clause 0x1
	scratch_load_b128 v[38:41], off, off offset:576
	scratch_load_b128 v[191:194], off, off offset:592
	s_mov_b32 s2, exec_lo
	s_waitcnt vmcnt(9) lgkmcnt(1)
	v_mul_f64 v[195:196], v[36:37], v[4:5]
	v_mul_f64 v[4:5], v[34:35], v[4:5]
	s_waitcnt vmcnt(8) lgkmcnt(0)
	v_mul_f64 v[197:198], v[187:188], v[8:9]
	v_mul_f64 v[8:9], v[189:190], v[8:9]
	s_delay_alu instid0(VALU_DEP_4) | instskip(NEXT) | instid1(VALU_DEP_4)
	v_fma_f64 v[195:196], v[34:35], v[2:3], -v[195:196]
	v_fma_f64 v[199:200], v[36:37], v[2:3], v[4:5]
	ds_load_b128 v[2:5], v1 offset:1248
	scratch_load_b128 v[34:37], off, off offset:608
	v_fma_f64 v[197:198], v[189:190], v[6:7], v[197:198]
	v_fma_f64 v[203:204], v[187:188], v[6:7], -v[8:9]
	ds_load_b128 v[6:9], v1 offset:1264
	scratch_load_b128 v[187:190], off, off offset:624
	s_waitcnt vmcnt(9) lgkmcnt(1)
	v_mul_f64 v[201:202], v[2:3], v[12:13]
	v_mul_f64 v[12:13], v[4:5], v[12:13]
	s_waitcnt vmcnt(8) lgkmcnt(0)
	v_mul_f64 v[205:206], v[6:7], v[16:17]
	v_mul_f64 v[16:17], v[8:9], v[16:17]
	v_add_f64 v[195:196], v[195:196], 0
	v_add_f64 v[199:200], v[199:200], 0
	v_fma_f64 v[201:202], v[4:5], v[10:11], v[201:202]
	v_fma_f64 v[207:208], v[2:3], v[10:11], -v[12:13]
	scratch_load_b128 v[10:13], off, off offset:640
	ds_load_b128 v[2:5], v1 offset:1280
	v_add_f64 v[195:196], v[195:196], v[203:204]
	v_add_f64 v[197:198], v[199:200], v[197:198]
	v_fma_f64 v[203:204], v[8:9], v[14:15], v[205:206]
	v_fma_f64 v[205:206], v[6:7], v[14:15], -v[16:17]
	ds_load_b128 v[6:9], v1 offset:1296
	scratch_load_b128 v[14:17], off, off offset:656
	s_waitcnt vmcnt(9) lgkmcnt(1)
	v_mul_f64 v[199:200], v[2:3], v[20:21]
	v_mul_f64 v[20:21], v[4:5], v[20:21]
	v_add_f64 v[195:196], v[195:196], v[207:208]
	v_add_f64 v[197:198], v[197:198], v[201:202]
	s_waitcnt vmcnt(8) lgkmcnt(0)
	v_mul_f64 v[201:202], v[6:7], v[24:25]
	v_mul_f64 v[24:25], v[8:9], v[24:25]
	v_fma_f64 v[199:200], v[4:5], v[18:19], v[199:200]
	v_fma_f64 v[207:208], v[2:3], v[18:19], -v[20:21]
	scratch_load_b128 v[18:21], off, off offset:672
	ds_load_b128 v[2:5], v1 offset:1312
	v_add_f64 v[195:196], v[195:196], v[205:206]
	v_add_f64 v[197:198], v[197:198], v[203:204]
	v_fma_f64 v[201:202], v[8:9], v[22:23], v[201:202]
	v_fma_f64 v[205:206], v[6:7], v[22:23], -v[24:25]
	ds_load_b128 v[6:9], v1 offset:1328
	s_waitcnt vmcnt(8) lgkmcnt(1)
	v_mul_f64 v[203:204], v[2:3], v[28:29]
	v_mul_f64 v[28:29], v[4:5], v[28:29]
	scratch_load_b128 v[22:25], off, off offset:688
	v_add_f64 v[195:196], v[195:196], v[207:208]
	v_add_f64 v[197:198], v[197:198], v[199:200]
	s_waitcnt vmcnt(8) lgkmcnt(0)
	v_mul_f64 v[199:200], v[6:7], v[32:33]
	v_mul_f64 v[32:33], v[8:9], v[32:33]
	v_fma_f64 v[203:204], v[4:5], v[26:27], v[203:204]
	v_fma_f64 v[207:208], v[2:3], v[26:27], -v[28:29]
	scratch_load_b128 v[26:29], off, off offset:704
	ds_load_b128 v[2:5], v1 offset:1344
	v_add_f64 v[195:196], v[195:196], v[205:206]
	v_add_f64 v[197:198], v[197:198], v[201:202]
	v_fma_f64 v[199:200], v[8:9], v[30:31], v[199:200]
	v_fma_f64 v[205:206], v[6:7], v[30:31], -v[32:33]
	ds_load_b128 v[6:9], v1 offset:1360
	s_waitcnt vmcnt(8) lgkmcnt(1)
	v_mul_f64 v[201:202], v[2:3], v[40:41]
	v_mul_f64 v[40:41], v[4:5], v[40:41]
	scratch_load_b128 v[30:33], off, off offset:720
	v_add_f64 v[195:196], v[195:196], v[207:208]
	v_add_f64 v[197:198], v[197:198], v[203:204]
	s_waitcnt vmcnt(8) lgkmcnt(0)
	v_mul_f64 v[203:204], v[6:7], v[193:194]
	v_mul_f64 v[193:194], v[8:9], v[193:194]
	v_fma_f64 v[201:202], v[4:5], v[38:39], v[201:202]
	v_fma_f64 v[207:208], v[2:3], v[38:39], -v[40:41]
	scratch_load_b128 v[38:41], off, off offset:736
	ds_load_b128 v[2:5], v1 offset:1376
	v_add_f64 v[195:196], v[195:196], v[205:206]
	v_add_f64 v[197:198], v[197:198], v[199:200]
	v_fma_f64 v[203:204], v[8:9], v[191:192], v[203:204]
	v_fma_f64 v[205:206], v[6:7], v[191:192], -v[193:194]
	ds_load_b128 v[6:9], v1 offset:1392
	scratch_load_b128 v[191:194], off, off offset:752
	s_waitcnt vmcnt(9) lgkmcnt(1)
	v_mul_f64 v[199:200], v[2:3], v[36:37]
	v_mul_f64 v[36:37], v[4:5], v[36:37]
	v_add_f64 v[195:196], v[195:196], v[207:208]
	v_add_f64 v[197:198], v[197:198], v[201:202]
	s_delay_alu instid0(VALU_DEP_4) | instskip(NEXT) | instid1(VALU_DEP_4)
	v_fma_f64 v[199:200], v[4:5], v[34:35], v[199:200]
	v_fma_f64 v[34:35], v[2:3], v[34:35], -v[36:37]
	ds_load_b128 v[2:5], v1 offset:1408
	v_add_f64 v[36:37], v[195:196], v[205:206]
	v_add_f64 v[195:196], v[197:198], v[203:204]
	s_waitcnt vmcnt(7) lgkmcnt(0)
	v_mul_f64 v[197:198], v[2:3], v[12:13]
	v_mul_f64 v[12:13], v[4:5], v[12:13]
	s_delay_alu instid0(VALU_DEP_4) | instskip(NEXT) | instid1(VALU_DEP_4)
	v_add_f64 v[34:35], v[36:37], v[34:35]
	v_add_f64 v[36:37], v[195:196], v[199:200]
	s_delay_alu instid0(VALU_DEP_4) | instskip(NEXT) | instid1(VALU_DEP_4)
	v_fma_f64 v[195:196], v[4:5], v[10:11], v[197:198]
	v_fma_f64 v[197:198], v[2:3], v[10:11], -v[12:13]
	scratch_load_b128 v[10:13], off, off offset:432
	v_mul_f64 v[201:202], v[6:7], v[189:190]
	v_mul_f64 v[189:190], v[8:9], v[189:190]
	ds_load_b128 v[2:5], v1 offset:1440
	v_fma_f64 v[201:202], v[8:9], v[187:188], v[201:202]
	v_fma_f64 v[187:188], v[6:7], v[187:188], -v[189:190]
	ds_load_b128 v[6:9], v1 offset:1424
	s_waitcnt vmcnt(7) lgkmcnt(0)
	v_mul_f64 v[189:190], v[6:7], v[16:17]
	v_mul_f64 v[16:17], v[8:9], v[16:17]
	v_add_f64 v[36:37], v[36:37], v[201:202]
	v_add_f64 v[34:35], v[34:35], v[187:188]
	s_waitcnt vmcnt(6)
	v_mul_f64 v[187:188], v[2:3], v[20:21]
	v_mul_f64 v[20:21], v[4:5], v[20:21]
	v_fma_f64 v[189:190], v[8:9], v[14:15], v[189:190]
	v_fma_f64 v[14:15], v[6:7], v[14:15], -v[16:17]
	ds_load_b128 v[6:9], v1 offset:1456
	v_add_f64 v[16:17], v[34:35], v[197:198]
	v_add_f64 v[34:35], v[36:37], v[195:196]
	v_fma_f64 v[187:188], v[4:5], v[18:19], v[187:188]
	v_fma_f64 v[18:19], v[2:3], v[18:19], -v[20:21]
	ds_load_b128 v[2:5], v1 offset:1472
	s_waitcnt vmcnt(5) lgkmcnt(1)
	v_mul_f64 v[36:37], v[6:7], v[24:25]
	v_mul_f64 v[24:25], v[8:9], v[24:25]
	s_waitcnt vmcnt(4) lgkmcnt(0)
	v_mul_f64 v[20:21], v[2:3], v[28:29]
	v_mul_f64 v[28:29], v[4:5], v[28:29]
	v_add_f64 v[14:15], v[16:17], v[14:15]
	v_add_f64 v[16:17], v[34:35], v[189:190]
	v_fma_f64 v[34:35], v[8:9], v[22:23], v[36:37]
	v_fma_f64 v[22:23], v[6:7], v[22:23], -v[24:25]
	ds_load_b128 v[6:9], v1 offset:1488
	v_fma_f64 v[20:21], v[4:5], v[26:27], v[20:21]
	v_fma_f64 v[26:27], v[2:3], v[26:27], -v[28:29]
	ds_load_b128 v[2:5], v1 offset:1504
	s_waitcnt vmcnt(3) lgkmcnt(1)
	v_mul_f64 v[24:25], v[8:9], v[32:33]
	v_add_f64 v[14:15], v[14:15], v[18:19]
	v_add_f64 v[16:17], v[16:17], v[187:188]
	v_mul_f64 v[18:19], v[6:7], v[32:33]
	s_waitcnt vmcnt(2) lgkmcnt(0)
	v_mul_f64 v[28:29], v[4:5], v[40:41]
	v_fma_f64 v[24:25], v[6:7], v[30:31], -v[24:25]
	v_add_f64 v[14:15], v[14:15], v[22:23]
	v_add_f64 v[16:17], v[16:17], v[34:35]
	v_mul_f64 v[22:23], v[2:3], v[40:41]
	v_fma_f64 v[18:19], v[8:9], v[30:31], v[18:19]
	ds_load_b128 v[6:9], v1 offset:1520
	v_fma_f64 v[1:2], v[2:3], v[38:39], -v[28:29]
	v_add_f64 v[14:15], v[14:15], v[26:27]
	v_add_f64 v[16:17], v[16:17], v[20:21]
	s_waitcnt vmcnt(1) lgkmcnt(0)
	v_mul_f64 v[20:21], v[6:7], v[193:194]
	v_mul_f64 v[26:27], v[8:9], v[193:194]
	v_fma_f64 v[4:5], v[4:5], v[38:39], v[22:23]
	v_add_f64 v[14:15], v[14:15], v[24:25]
	v_add_f64 v[16:17], v[16:17], v[18:19]
	v_fma_f64 v[8:9], v[8:9], v[191:192], v[20:21]
	v_fma_f64 v[6:7], v[6:7], v[191:192], -v[26:27]
	s_delay_alu instid0(VALU_DEP_4) | instskip(NEXT) | instid1(VALU_DEP_4)
	v_add_f64 v[1:2], v[14:15], v[1:2]
	v_add_f64 v[3:4], v[16:17], v[4:5]
	s_delay_alu instid0(VALU_DEP_2) | instskip(NEXT) | instid1(VALU_DEP_2)
	v_add_f64 v[1:2], v[1:2], v[6:7]
	v_add_f64 v[3:4], v[3:4], v[8:9]
	s_waitcnt vmcnt(0)
	s_delay_alu instid0(VALU_DEP_2) | instskip(NEXT) | instid1(VALU_DEP_2)
	v_add_f64 v[1:2], v[10:11], -v[1:2]
	v_add_f64 v[3:4], v[12:13], -v[3:4]
	scratch_store_b128 off, v[1:4], off offset:432
	v_cmpx_lt_u32_e32 26, v138
	s_cbranch_execz .LBB111_249
; %bb.248:
	scratch_load_b128 v[1:4], v159, off
	v_mov_b32_e32 v5, 0
	s_delay_alu instid0(VALU_DEP_1)
	v_mov_b32_e32 v6, v5
	v_mov_b32_e32 v7, v5
	;; [unrolled: 1-line block ×3, first 2 shown]
	scratch_store_b128 off, v[5:8], off offset:416
	s_waitcnt vmcnt(0)
	ds_store_b128 v186, v[1:4]
.LBB111_249:
	s_or_b32 exec_lo, exec_lo, s2
	s_waitcnt lgkmcnt(0)
	s_waitcnt_vscnt null, 0x0
	s_barrier
	buffer_gl0_inv
	s_clause 0x7
	scratch_load_b128 v[2:5], off, off offset:432
	scratch_load_b128 v[6:9], off, off offset:448
	;; [unrolled: 1-line block ×8, first 2 shown]
	v_mov_b32_e32 v1, 0
	s_clause 0x1
	scratch_load_b128 v[38:41], off, off offset:560
	scratch_load_b128 v[191:194], off, off offset:576
	s_mov_b32 s2, exec_lo
	ds_load_b128 v[34:37], v1 offset:1200
	ds_load_b128 v[187:190], v1 offset:1216
	s_waitcnt vmcnt(9) lgkmcnt(1)
	v_mul_f64 v[195:196], v[36:37], v[4:5]
	v_mul_f64 v[4:5], v[34:35], v[4:5]
	s_waitcnt vmcnt(8) lgkmcnt(0)
	v_mul_f64 v[197:198], v[187:188], v[8:9]
	v_mul_f64 v[8:9], v[189:190], v[8:9]
	s_delay_alu instid0(VALU_DEP_4) | instskip(NEXT) | instid1(VALU_DEP_4)
	v_fma_f64 v[195:196], v[34:35], v[2:3], -v[195:196]
	v_fma_f64 v[199:200], v[36:37], v[2:3], v[4:5]
	ds_load_b128 v[2:5], v1 offset:1232
	scratch_load_b128 v[34:37], off, off offset:592
	v_fma_f64 v[197:198], v[189:190], v[6:7], v[197:198]
	v_fma_f64 v[203:204], v[187:188], v[6:7], -v[8:9]
	scratch_load_b128 v[187:190], off, off offset:608
	ds_load_b128 v[6:9], v1 offset:1248
	s_waitcnt vmcnt(9) lgkmcnt(1)
	v_mul_f64 v[201:202], v[2:3], v[12:13]
	v_mul_f64 v[12:13], v[4:5], v[12:13]
	s_waitcnt vmcnt(8) lgkmcnt(0)
	v_mul_f64 v[205:206], v[6:7], v[16:17]
	v_mul_f64 v[16:17], v[8:9], v[16:17]
	v_add_f64 v[195:196], v[195:196], 0
	v_add_f64 v[199:200], v[199:200], 0
	v_fma_f64 v[201:202], v[4:5], v[10:11], v[201:202]
	v_fma_f64 v[207:208], v[2:3], v[10:11], -v[12:13]
	ds_load_b128 v[2:5], v1 offset:1264
	scratch_load_b128 v[10:13], off, off offset:624
	v_add_f64 v[195:196], v[195:196], v[203:204]
	v_add_f64 v[197:198], v[199:200], v[197:198]
	v_fma_f64 v[203:204], v[8:9], v[14:15], v[205:206]
	v_fma_f64 v[205:206], v[6:7], v[14:15], -v[16:17]
	scratch_load_b128 v[14:17], off, off offset:640
	ds_load_b128 v[6:9], v1 offset:1280
	s_waitcnt vmcnt(9) lgkmcnt(1)
	v_mul_f64 v[199:200], v[2:3], v[20:21]
	v_mul_f64 v[20:21], v[4:5], v[20:21]
	v_add_f64 v[195:196], v[195:196], v[207:208]
	v_add_f64 v[197:198], v[197:198], v[201:202]
	s_waitcnt vmcnt(8) lgkmcnt(0)
	v_mul_f64 v[201:202], v[6:7], v[24:25]
	v_mul_f64 v[24:25], v[8:9], v[24:25]
	v_fma_f64 v[199:200], v[4:5], v[18:19], v[199:200]
	v_fma_f64 v[207:208], v[2:3], v[18:19], -v[20:21]
	ds_load_b128 v[2:5], v1 offset:1296
	scratch_load_b128 v[18:21], off, off offset:656
	v_add_f64 v[195:196], v[195:196], v[205:206]
	v_add_f64 v[197:198], v[197:198], v[203:204]
	v_fma_f64 v[201:202], v[8:9], v[22:23], v[201:202]
	v_fma_f64 v[205:206], v[6:7], v[22:23], -v[24:25]
	ds_load_b128 v[6:9], v1 offset:1312
	s_waitcnt vmcnt(8) lgkmcnt(1)
	v_mul_f64 v[203:204], v[2:3], v[28:29]
	v_mul_f64 v[28:29], v[4:5], v[28:29]
	scratch_load_b128 v[22:25], off, off offset:672
	v_add_f64 v[195:196], v[195:196], v[207:208]
	v_add_f64 v[197:198], v[197:198], v[199:200]
	s_waitcnt vmcnt(8) lgkmcnt(0)
	v_mul_f64 v[199:200], v[6:7], v[32:33]
	v_mul_f64 v[32:33], v[8:9], v[32:33]
	v_fma_f64 v[203:204], v[4:5], v[26:27], v[203:204]
	v_fma_f64 v[207:208], v[2:3], v[26:27], -v[28:29]
	scratch_load_b128 v[26:29], off, off offset:688
	ds_load_b128 v[2:5], v1 offset:1328
	v_add_f64 v[195:196], v[195:196], v[205:206]
	v_add_f64 v[197:198], v[197:198], v[201:202]
	v_fma_f64 v[199:200], v[8:9], v[30:31], v[199:200]
	v_fma_f64 v[205:206], v[6:7], v[30:31], -v[32:33]
	ds_load_b128 v[6:9], v1 offset:1344
	s_waitcnt vmcnt(8) lgkmcnt(1)
	v_mul_f64 v[201:202], v[2:3], v[40:41]
	v_mul_f64 v[40:41], v[4:5], v[40:41]
	scratch_load_b128 v[30:33], off, off offset:704
	v_add_f64 v[195:196], v[195:196], v[207:208]
	v_add_f64 v[197:198], v[197:198], v[203:204]
	s_waitcnt vmcnt(8) lgkmcnt(0)
	v_mul_f64 v[203:204], v[6:7], v[193:194]
	v_mul_f64 v[193:194], v[8:9], v[193:194]
	v_fma_f64 v[201:202], v[4:5], v[38:39], v[201:202]
	v_fma_f64 v[207:208], v[2:3], v[38:39], -v[40:41]
	scratch_load_b128 v[38:41], off, off offset:720
	ds_load_b128 v[2:5], v1 offset:1360
	v_add_f64 v[195:196], v[195:196], v[205:206]
	v_add_f64 v[197:198], v[197:198], v[199:200]
	v_fma_f64 v[203:204], v[8:9], v[191:192], v[203:204]
	v_fma_f64 v[205:206], v[6:7], v[191:192], -v[193:194]
	ds_load_b128 v[6:9], v1 offset:1376
	scratch_load_b128 v[191:194], off, off offset:736
	s_waitcnt vmcnt(9) lgkmcnt(1)
	v_mul_f64 v[199:200], v[2:3], v[36:37]
	v_mul_f64 v[36:37], v[4:5], v[36:37]
	v_add_f64 v[195:196], v[195:196], v[207:208]
	v_add_f64 v[197:198], v[197:198], v[201:202]
	s_waitcnt vmcnt(8) lgkmcnt(0)
	v_mul_f64 v[201:202], v[6:7], v[189:190]
	v_mul_f64 v[189:190], v[8:9], v[189:190]
	v_fma_f64 v[199:200], v[4:5], v[34:35], v[199:200]
	v_fma_f64 v[207:208], v[2:3], v[34:35], -v[36:37]
	scratch_load_b128 v[34:37], off, off offset:752
	ds_load_b128 v[2:5], v1 offset:1392
	v_add_f64 v[195:196], v[195:196], v[205:206]
	v_add_f64 v[197:198], v[197:198], v[203:204]
	v_fma_f64 v[201:202], v[8:9], v[187:188], v[201:202]
	v_fma_f64 v[187:188], v[6:7], v[187:188], -v[189:190]
	ds_load_b128 v[6:9], v1 offset:1408
	s_waitcnt vmcnt(8) lgkmcnt(1)
	v_mul_f64 v[203:204], v[2:3], v[12:13]
	v_mul_f64 v[12:13], v[4:5], v[12:13]
	v_add_f64 v[189:190], v[195:196], v[207:208]
	v_add_f64 v[195:196], v[197:198], v[199:200]
	s_waitcnt vmcnt(7) lgkmcnt(0)
	v_mul_f64 v[197:198], v[6:7], v[16:17]
	v_mul_f64 v[16:17], v[8:9], v[16:17]
	v_fma_f64 v[199:200], v[4:5], v[10:11], v[203:204]
	v_fma_f64 v[10:11], v[2:3], v[10:11], -v[12:13]
	ds_load_b128 v[2:5], v1 offset:1424
	v_add_f64 v[12:13], v[189:190], v[187:188]
	v_add_f64 v[187:188], v[195:196], v[201:202]
	v_fma_f64 v[195:196], v[8:9], v[14:15], v[197:198]
	v_fma_f64 v[14:15], v[6:7], v[14:15], -v[16:17]
	ds_load_b128 v[6:9], v1 offset:1440
	s_waitcnt vmcnt(5) lgkmcnt(0)
	v_mul_f64 v[197:198], v[6:7], v[24:25]
	v_mul_f64 v[24:25], v[8:9], v[24:25]
	v_add_f64 v[16:17], v[12:13], v[10:11]
	v_add_f64 v[187:188], v[187:188], v[199:200]
	scratch_load_b128 v[10:13], off, off offset:416
	v_mul_f64 v[189:190], v[2:3], v[20:21]
	v_mul_f64 v[20:21], v[4:5], v[20:21]
	v_add_f64 v[14:15], v[16:17], v[14:15]
	v_add_f64 v[16:17], v[187:188], v[195:196]
	v_fma_f64 v[187:188], v[8:9], v[22:23], v[197:198]
	v_fma_f64 v[189:190], v[4:5], v[18:19], v[189:190]
	v_fma_f64 v[18:19], v[2:3], v[18:19], -v[20:21]
	ds_load_b128 v[2:5], v1 offset:1456
	v_fma_f64 v[22:23], v[6:7], v[22:23], -v[24:25]
	ds_load_b128 v[6:9], v1 offset:1472
	s_waitcnt vmcnt(5) lgkmcnt(1)
	v_mul_f64 v[20:21], v[2:3], v[28:29]
	v_mul_f64 v[28:29], v[4:5], v[28:29]
	s_waitcnt vmcnt(4) lgkmcnt(0)
	v_mul_f64 v[24:25], v[8:9], v[32:33]
	v_add_f64 v[16:17], v[16:17], v[189:190]
	v_add_f64 v[14:15], v[14:15], v[18:19]
	v_mul_f64 v[18:19], v[6:7], v[32:33]
	v_fma_f64 v[20:21], v[4:5], v[26:27], v[20:21]
	v_fma_f64 v[26:27], v[2:3], v[26:27], -v[28:29]
	ds_load_b128 v[2:5], v1 offset:1488
	v_fma_f64 v[24:25], v[6:7], v[30:31], -v[24:25]
	v_add_f64 v[16:17], v[16:17], v[187:188]
	v_add_f64 v[14:15], v[14:15], v[22:23]
	v_fma_f64 v[18:19], v[8:9], v[30:31], v[18:19]
	ds_load_b128 v[6:9], v1 offset:1504
	s_waitcnt vmcnt(3) lgkmcnt(1)
	v_mul_f64 v[22:23], v[2:3], v[40:41]
	v_mul_f64 v[28:29], v[4:5], v[40:41]
	v_add_f64 v[16:17], v[16:17], v[20:21]
	v_add_f64 v[14:15], v[14:15], v[26:27]
	s_waitcnt vmcnt(2) lgkmcnt(0)
	v_mul_f64 v[20:21], v[6:7], v[193:194]
	v_mul_f64 v[26:27], v[8:9], v[193:194]
	v_fma_f64 v[22:23], v[4:5], v[38:39], v[22:23]
	v_fma_f64 v[28:29], v[2:3], v[38:39], -v[28:29]
	ds_load_b128 v[2:5], v1 offset:1520
	v_add_f64 v[16:17], v[16:17], v[18:19]
	v_add_f64 v[14:15], v[14:15], v[24:25]
	s_waitcnt vmcnt(1) lgkmcnt(0)
	v_mul_f64 v[18:19], v[2:3], v[36:37]
	v_mul_f64 v[24:25], v[4:5], v[36:37]
	v_fma_f64 v[8:9], v[8:9], v[191:192], v[20:21]
	v_fma_f64 v[6:7], v[6:7], v[191:192], -v[26:27]
	v_add_f64 v[16:17], v[16:17], v[22:23]
	v_add_f64 v[14:15], v[14:15], v[28:29]
	v_fma_f64 v[4:5], v[4:5], v[34:35], v[18:19]
	v_fma_f64 v[2:3], v[2:3], v[34:35], -v[24:25]
	s_delay_alu instid0(VALU_DEP_4) | instskip(NEXT) | instid1(VALU_DEP_4)
	v_add_f64 v[8:9], v[16:17], v[8:9]
	v_add_f64 v[6:7], v[14:15], v[6:7]
	s_delay_alu instid0(VALU_DEP_2) | instskip(NEXT) | instid1(VALU_DEP_2)
	v_add_f64 v[4:5], v[8:9], v[4:5]
	v_add_f64 v[2:3], v[6:7], v[2:3]
	s_waitcnt vmcnt(0)
	s_delay_alu instid0(VALU_DEP_2) | instskip(NEXT) | instid1(VALU_DEP_2)
	v_add_f64 v[4:5], v[12:13], -v[4:5]
	v_add_f64 v[2:3], v[10:11], -v[2:3]
	scratch_store_b128 off, v[2:5], off offset:416
	v_cmpx_lt_u32_e32 25, v138
	s_cbranch_execz .LBB111_251
; %bb.250:
	scratch_load_b128 v[5:8], v161, off
	v_mov_b32_e32 v2, v1
	v_mov_b32_e32 v3, v1
	;; [unrolled: 1-line block ×3, first 2 shown]
	scratch_store_b128 off, v[1:4], off offset:400
	s_waitcnt vmcnt(0)
	ds_store_b128 v186, v[5:8]
.LBB111_251:
	s_or_b32 exec_lo, exec_lo, s2
	s_waitcnt lgkmcnt(0)
	s_waitcnt_vscnt null, 0x0
	s_barrier
	buffer_gl0_inv
	s_clause 0x7
	scratch_load_b128 v[2:5], off, off offset:416
	scratch_load_b128 v[6:9], off, off offset:432
	;; [unrolled: 1-line block ×8, first 2 shown]
	ds_load_b128 v[34:37], v1 offset:1184
	ds_load_b128 v[187:190], v1 offset:1200
	s_clause 0x1
	scratch_load_b128 v[38:41], off, off offset:544
	scratch_load_b128 v[191:194], off, off offset:560
	s_mov_b32 s2, exec_lo
	s_waitcnt vmcnt(9) lgkmcnt(1)
	v_mul_f64 v[195:196], v[36:37], v[4:5]
	v_mul_f64 v[4:5], v[34:35], v[4:5]
	s_waitcnt vmcnt(8) lgkmcnt(0)
	v_mul_f64 v[197:198], v[187:188], v[8:9]
	v_mul_f64 v[8:9], v[189:190], v[8:9]
	s_delay_alu instid0(VALU_DEP_4) | instskip(NEXT) | instid1(VALU_DEP_4)
	v_fma_f64 v[195:196], v[34:35], v[2:3], -v[195:196]
	v_fma_f64 v[199:200], v[36:37], v[2:3], v[4:5]
	ds_load_b128 v[2:5], v1 offset:1216
	scratch_load_b128 v[34:37], off, off offset:576
	v_fma_f64 v[197:198], v[189:190], v[6:7], v[197:198]
	v_fma_f64 v[203:204], v[187:188], v[6:7], -v[8:9]
	scratch_load_b128 v[187:190], off, off offset:592
	ds_load_b128 v[6:9], v1 offset:1232
	s_waitcnt vmcnt(9) lgkmcnt(1)
	v_mul_f64 v[201:202], v[2:3], v[12:13]
	v_mul_f64 v[12:13], v[4:5], v[12:13]
	s_waitcnt vmcnt(8) lgkmcnt(0)
	v_mul_f64 v[205:206], v[6:7], v[16:17]
	v_mul_f64 v[16:17], v[8:9], v[16:17]
	v_add_f64 v[195:196], v[195:196], 0
	v_add_f64 v[199:200], v[199:200], 0
	v_fma_f64 v[201:202], v[4:5], v[10:11], v[201:202]
	v_fma_f64 v[207:208], v[2:3], v[10:11], -v[12:13]
	ds_load_b128 v[2:5], v1 offset:1248
	scratch_load_b128 v[10:13], off, off offset:608
	v_add_f64 v[195:196], v[195:196], v[203:204]
	v_add_f64 v[197:198], v[199:200], v[197:198]
	v_fma_f64 v[203:204], v[8:9], v[14:15], v[205:206]
	v_fma_f64 v[205:206], v[6:7], v[14:15], -v[16:17]
	scratch_load_b128 v[14:17], off, off offset:624
	ds_load_b128 v[6:9], v1 offset:1264
	s_waitcnt vmcnt(9) lgkmcnt(1)
	v_mul_f64 v[199:200], v[2:3], v[20:21]
	v_mul_f64 v[20:21], v[4:5], v[20:21]
	v_add_f64 v[195:196], v[195:196], v[207:208]
	v_add_f64 v[197:198], v[197:198], v[201:202]
	s_waitcnt vmcnt(8) lgkmcnt(0)
	v_mul_f64 v[201:202], v[6:7], v[24:25]
	v_mul_f64 v[24:25], v[8:9], v[24:25]
	v_fma_f64 v[199:200], v[4:5], v[18:19], v[199:200]
	v_fma_f64 v[207:208], v[2:3], v[18:19], -v[20:21]
	ds_load_b128 v[2:5], v1 offset:1280
	scratch_load_b128 v[18:21], off, off offset:640
	v_add_f64 v[195:196], v[195:196], v[205:206]
	v_add_f64 v[197:198], v[197:198], v[203:204]
	v_fma_f64 v[201:202], v[8:9], v[22:23], v[201:202]
	v_fma_f64 v[205:206], v[6:7], v[22:23], -v[24:25]
	ds_load_b128 v[6:9], v1 offset:1296
	s_waitcnt vmcnt(8) lgkmcnt(1)
	v_mul_f64 v[203:204], v[2:3], v[28:29]
	v_mul_f64 v[28:29], v[4:5], v[28:29]
	scratch_load_b128 v[22:25], off, off offset:656
	v_add_f64 v[195:196], v[195:196], v[207:208]
	v_add_f64 v[197:198], v[197:198], v[199:200]
	s_waitcnt vmcnt(8) lgkmcnt(0)
	v_mul_f64 v[199:200], v[6:7], v[32:33]
	v_mul_f64 v[32:33], v[8:9], v[32:33]
	v_fma_f64 v[203:204], v[4:5], v[26:27], v[203:204]
	v_fma_f64 v[207:208], v[2:3], v[26:27], -v[28:29]
	ds_load_b128 v[2:5], v1 offset:1312
	scratch_load_b128 v[26:29], off, off offset:672
	v_add_f64 v[195:196], v[195:196], v[205:206]
	v_add_f64 v[197:198], v[197:198], v[201:202]
	v_fma_f64 v[199:200], v[8:9], v[30:31], v[199:200]
	v_fma_f64 v[205:206], v[6:7], v[30:31], -v[32:33]
	ds_load_b128 v[6:9], v1 offset:1328
	s_waitcnt vmcnt(8) lgkmcnt(1)
	v_mul_f64 v[201:202], v[2:3], v[40:41]
	v_mul_f64 v[40:41], v[4:5], v[40:41]
	scratch_load_b128 v[30:33], off, off offset:688
	v_add_f64 v[195:196], v[195:196], v[207:208]
	v_add_f64 v[197:198], v[197:198], v[203:204]
	s_waitcnt vmcnt(8) lgkmcnt(0)
	v_mul_f64 v[203:204], v[6:7], v[193:194]
	v_mul_f64 v[193:194], v[8:9], v[193:194]
	v_fma_f64 v[201:202], v[4:5], v[38:39], v[201:202]
	v_fma_f64 v[207:208], v[2:3], v[38:39], -v[40:41]
	scratch_load_b128 v[38:41], off, off offset:704
	ds_load_b128 v[2:5], v1 offset:1344
	v_add_f64 v[195:196], v[195:196], v[205:206]
	v_add_f64 v[197:198], v[197:198], v[199:200]
	v_fma_f64 v[203:204], v[8:9], v[191:192], v[203:204]
	v_fma_f64 v[205:206], v[6:7], v[191:192], -v[193:194]
	ds_load_b128 v[6:9], v1 offset:1360
	scratch_load_b128 v[191:194], off, off offset:720
	s_waitcnt vmcnt(9) lgkmcnt(1)
	v_mul_f64 v[199:200], v[2:3], v[36:37]
	v_mul_f64 v[36:37], v[4:5], v[36:37]
	v_add_f64 v[195:196], v[195:196], v[207:208]
	v_add_f64 v[197:198], v[197:198], v[201:202]
	s_waitcnt vmcnt(8) lgkmcnt(0)
	v_mul_f64 v[201:202], v[6:7], v[189:190]
	v_mul_f64 v[189:190], v[8:9], v[189:190]
	v_fma_f64 v[199:200], v[4:5], v[34:35], v[199:200]
	v_fma_f64 v[207:208], v[2:3], v[34:35], -v[36:37]
	scratch_load_b128 v[34:37], off, off offset:736
	ds_load_b128 v[2:5], v1 offset:1376
	v_add_f64 v[195:196], v[195:196], v[205:206]
	v_add_f64 v[197:198], v[197:198], v[203:204]
	v_fma_f64 v[201:202], v[8:9], v[187:188], v[201:202]
	v_fma_f64 v[205:206], v[6:7], v[187:188], -v[189:190]
	ds_load_b128 v[6:9], v1 offset:1392
	s_waitcnt vmcnt(8) lgkmcnt(1)
	v_mul_f64 v[203:204], v[2:3], v[12:13]
	v_mul_f64 v[12:13], v[4:5], v[12:13]
	scratch_load_b128 v[187:190], off, off offset:752
	v_add_f64 v[195:196], v[195:196], v[207:208]
	v_add_f64 v[197:198], v[197:198], v[199:200]
	s_waitcnt vmcnt(8) lgkmcnt(0)
	v_mul_f64 v[199:200], v[6:7], v[16:17]
	v_mul_f64 v[16:17], v[8:9], v[16:17]
	v_fma_f64 v[203:204], v[4:5], v[10:11], v[203:204]
	v_fma_f64 v[10:11], v[2:3], v[10:11], -v[12:13]
	ds_load_b128 v[2:5], v1 offset:1408
	v_add_f64 v[12:13], v[195:196], v[205:206]
	v_add_f64 v[195:196], v[197:198], v[201:202]
	v_fma_f64 v[199:200], v[8:9], v[14:15], v[199:200]
	v_fma_f64 v[14:15], v[6:7], v[14:15], -v[16:17]
	ds_load_b128 v[6:9], v1 offset:1424
	s_waitcnt vmcnt(7) lgkmcnt(1)
	v_mul_f64 v[197:198], v[2:3], v[20:21]
	v_mul_f64 v[20:21], v[4:5], v[20:21]
	v_add_f64 v[10:11], v[12:13], v[10:11]
	v_add_f64 v[12:13], v[195:196], v[203:204]
	s_delay_alu instid0(VALU_DEP_4) | instskip(NEXT) | instid1(VALU_DEP_4)
	v_fma_f64 v[195:196], v[4:5], v[18:19], v[197:198]
	v_fma_f64 v[18:19], v[2:3], v[18:19], -v[20:21]
	ds_load_b128 v[2:5], v1 offset:1440
	v_add_f64 v[14:15], v[10:11], v[14:15]
	v_add_f64 v[20:21], v[12:13], v[199:200]
	scratch_load_b128 v[10:13], off, off offset:400
	s_waitcnt vmcnt(7) lgkmcnt(1)
	v_mul_f64 v[16:17], v[6:7], v[24:25]
	v_mul_f64 v[24:25], v[8:9], v[24:25]
	v_add_f64 v[14:15], v[14:15], v[18:19]
	v_add_f64 v[18:19], v[20:21], v[195:196]
	s_delay_alu instid0(VALU_DEP_4) | instskip(NEXT) | instid1(VALU_DEP_4)
	v_fma_f64 v[16:17], v[8:9], v[22:23], v[16:17]
	v_fma_f64 v[22:23], v[6:7], v[22:23], -v[24:25]
	ds_load_b128 v[6:9], v1 offset:1456
	s_waitcnt vmcnt(6) lgkmcnt(1)
	v_mul_f64 v[197:198], v[2:3], v[28:29]
	v_mul_f64 v[28:29], v[4:5], v[28:29]
	s_waitcnt vmcnt(5) lgkmcnt(0)
	v_mul_f64 v[20:21], v[6:7], v[32:33]
	v_mul_f64 v[24:25], v[8:9], v[32:33]
	v_add_f64 v[16:17], v[18:19], v[16:17]
	v_add_f64 v[14:15], v[14:15], v[22:23]
	v_fma_f64 v[32:33], v[4:5], v[26:27], v[197:198]
	v_fma_f64 v[26:27], v[2:3], v[26:27], -v[28:29]
	ds_load_b128 v[2:5], v1 offset:1472
	v_fma_f64 v[20:21], v[8:9], v[30:31], v[20:21]
	v_fma_f64 v[24:25], v[6:7], v[30:31], -v[24:25]
	ds_load_b128 v[6:9], v1 offset:1488
	s_waitcnt vmcnt(4) lgkmcnt(1)
	v_mul_f64 v[18:19], v[2:3], v[40:41]
	v_mul_f64 v[22:23], v[4:5], v[40:41]
	v_add_f64 v[16:17], v[16:17], v[32:33]
	v_add_f64 v[14:15], v[14:15], v[26:27]
	s_waitcnt vmcnt(3) lgkmcnt(0)
	v_mul_f64 v[26:27], v[6:7], v[193:194]
	v_mul_f64 v[28:29], v[8:9], v[193:194]
	v_fma_f64 v[18:19], v[4:5], v[38:39], v[18:19]
	v_fma_f64 v[22:23], v[2:3], v[38:39], -v[22:23]
	ds_load_b128 v[2:5], v1 offset:1504
	v_add_f64 v[16:17], v[16:17], v[20:21]
	v_add_f64 v[14:15], v[14:15], v[24:25]
	v_fma_f64 v[26:27], v[8:9], v[191:192], v[26:27]
	v_fma_f64 v[28:29], v[6:7], v[191:192], -v[28:29]
	ds_load_b128 v[6:9], v1 offset:1520
	s_waitcnt vmcnt(2) lgkmcnt(1)
	v_mul_f64 v[20:21], v[2:3], v[36:37]
	v_mul_f64 v[24:25], v[4:5], v[36:37]
	v_add_f64 v[16:17], v[16:17], v[18:19]
	v_add_f64 v[14:15], v[14:15], v[22:23]
	s_waitcnt vmcnt(1) lgkmcnt(0)
	v_mul_f64 v[18:19], v[6:7], v[189:190]
	v_mul_f64 v[22:23], v[8:9], v[189:190]
	v_fma_f64 v[4:5], v[4:5], v[34:35], v[20:21]
	v_fma_f64 v[1:2], v[2:3], v[34:35], -v[24:25]
	v_add_f64 v[16:17], v[16:17], v[26:27]
	v_add_f64 v[14:15], v[14:15], v[28:29]
	v_fma_f64 v[8:9], v[8:9], v[187:188], v[18:19]
	v_fma_f64 v[6:7], v[6:7], v[187:188], -v[22:23]
	s_delay_alu instid0(VALU_DEP_4) | instskip(NEXT) | instid1(VALU_DEP_4)
	v_add_f64 v[3:4], v[16:17], v[4:5]
	v_add_f64 v[1:2], v[14:15], v[1:2]
	s_delay_alu instid0(VALU_DEP_2) | instskip(NEXT) | instid1(VALU_DEP_2)
	v_add_f64 v[3:4], v[3:4], v[8:9]
	v_add_f64 v[1:2], v[1:2], v[6:7]
	s_waitcnt vmcnt(0)
	s_delay_alu instid0(VALU_DEP_2) | instskip(NEXT) | instid1(VALU_DEP_2)
	v_add_f64 v[3:4], v[12:13], -v[3:4]
	v_add_f64 v[1:2], v[10:11], -v[1:2]
	scratch_store_b128 off, v[1:4], off offset:400
	v_cmpx_lt_u32_e32 24, v138
	s_cbranch_execz .LBB111_253
; %bb.252:
	scratch_load_b128 v[1:4], v162, off
	v_mov_b32_e32 v5, 0
	s_delay_alu instid0(VALU_DEP_1)
	v_mov_b32_e32 v6, v5
	v_mov_b32_e32 v7, v5
	;; [unrolled: 1-line block ×3, first 2 shown]
	scratch_store_b128 off, v[5:8], off offset:384
	s_waitcnt vmcnt(0)
	ds_store_b128 v186, v[1:4]
.LBB111_253:
	s_or_b32 exec_lo, exec_lo, s2
	s_waitcnt lgkmcnt(0)
	s_waitcnt_vscnt null, 0x0
	s_barrier
	buffer_gl0_inv
	s_clause 0x7
	scratch_load_b128 v[2:5], off, off offset:400
	scratch_load_b128 v[6:9], off, off offset:416
	;; [unrolled: 1-line block ×8, first 2 shown]
	v_mov_b32_e32 v1, 0
	s_clause 0x1
	scratch_load_b128 v[38:41], off, off offset:528
	scratch_load_b128 v[191:194], off, off offset:544
	s_mov_b32 s2, exec_lo
	ds_load_b128 v[34:37], v1 offset:1168
	ds_load_b128 v[187:190], v1 offset:1184
	s_waitcnt vmcnt(9) lgkmcnt(1)
	v_mul_f64 v[195:196], v[36:37], v[4:5]
	v_mul_f64 v[4:5], v[34:35], v[4:5]
	s_waitcnt vmcnt(8) lgkmcnt(0)
	v_mul_f64 v[197:198], v[187:188], v[8:9]
	v_mul_f64 v[8:9], v[189:190], v[8:9]
	s_delay_alu instid0(VALU_DEP_4) | instskip(NEXT) | instid1(VALU_DEP_4)
	v_fma_f64 v[195:196], v[34:35], v[2:3], -v[195:196]
	v_fma_f64 v[199:200], v[36:37], v[2:3], v[4:5]
	ds_load_b128 v[2:5], v1 offset:1200
	scratch_load_b128 v[34:37], off, off offset:560
	v_fma_f64 v[197:198], v[189:190], v[6:7], v[197:198]
	v_fma_f64 v[203:204], v[187:188], v[6:7], -v[8:9]
	scratch_load_b128 v[187:190], off, off offset:576
	ds_load_b128 v[6:9], v1 offset:1216
	s_waitcnt vmcnt(9) lgkmcnt(1)
	v_mul_f64 v[201:202], v[2:3], v[12:13]
	v_mul_f64 v[12:13], v[4:5], v[12:13]
	s_waitcnt vmcnt(8) lgkmcnt(0)
	v_mul_f64 v[205:206], v[6:7], v[16:17]
	v_mul_f64 v[16:17], v[8:9], v[16:17]
	v_add_f64 v[195:196], v[195:196], 0
	v_add_f64 v[199:200], v[199:200], 0
	v_fma_f64 v[201:202], v[4:5], v[10:11], v[201:202]
	v_fma_f64 v[207:208], v[2:3], v[10:11], -v[12:13]
	ds_load_b128 v[2:5], v1 offset:1232
	scratch_load_b128 v[10:13], off, off offset:592
	v_add_f64 v[195:196], v[195:196], v[203:204]
	v_add_f64 v[197:198], v[199:200], v[197:198]
	v_fma_f64 v[203:204], v[8:9], v[14:15], v[205:206]
	v_fma_f64 v[205:206], v[6:7], v[14:15], -v[16:17]
	scratch_load_b128 v[14:17], off, off offset:608
	ds_load_b128 v[6:9], v1 offset:1248
	s_waitcnt vmcnt(9) lgkmcnt(1)
	v_mul_f64 v[199:200], v[2:3], v[20:21]
	v_mul_f64 v[20:21], v[4:5], v[20:21]
	v_add_f64 v[195:196], v[195:196], v[207:208]
	v_add_f64 v[197:198], v[197:198], v[201:202]
	s_waitcnt vmcnt(8) lgkmcnt(0)
	v_mul_f64 v[201:202], v[6:7], v[24:25]
	v_mul_f64 v[24:25], v[8:9], v[24:25]
	v_fma_f64 v[199:200], v[4:5], v[18:19], v[199:200]
	v_fma_f64 v[207:208], v[2:3], v[18:19], -v[20:21]
	ds_load_b128 v[2:5], v1 offset:1264
	scratch_load_b128 v[18:21], off, off offset:624
	v_add_f64 v[195:196], v[195:196], v[205:206]
	v_add_f64 v[197:198], v[197:198], v[203:204]
	v_fma_f64 v[201:202], v[8:9], v[22:23], v[201:202]
	v_fma_f64 v[205:206], v[6:7], v[22:23], -v[24:25]
	scratch_load_b128 v[22:25], off, off offset:640
	ds_load_b128 v[6:9], v1 offset:1280
	s_waitcnt vmcnt(9) lgkmcnt(1)
	v_mul_f64 v[203:204], v[2:3], v[28:29]
	v_mul_f64 v[28:29], v[4:5], v[28:29]
	v_add_f64 v[195:196], v[195:196], v[207:208]
	v_add_f64 v[197:198], v[197:198], v[199:200]
	s_waitcnt vmcnt(8) lgkmcnt(0)
	v_mul_f64 v[199:200], v[6:7], v[32:33]
	v_mul_f64 v[32:33], v[8:9], v[32:33]
	v_fma_f64 v[203:204], v[4:5], v[26:27], v[203:204]
	v_fma_f64 v[207:208], v[2:3], v[26:27], -v[28:29]
	ds_load_b128 v[2:5], v1 offset:1296
	scratch_load_b128 v[26:29], off, off offset:656
	v_add_f64 v[195:196], v[195:196], v[205:206]
	v_add_f64 v[197:198], v[197:198], v[201:202]
	v_fma_f64 v[199:200], v[8:9], v[30:31], v[199:200]
	v_fma_f64 v[205:206], v[6:7], v[30:31], -v[32:33]
	ds_load_b128 v[6:9], v1 offset:1312
	s_waitcnt vmcnt(8) lgkmcnt(1)
	v_mul_f64 v[201:202], v[2:3], v[40:41]
	v_mul_f64 v[40:41], v[4:5], v[40:41]
	scratch_load_b128 v[30:33], off, off offset:672
	v_add_f64 v[195:196], v[195:196], v[207:208]
	v_add_f64 v[197:198], v[197:198], v[203:204]
	s_waitcnt vmcnt(8) lgkmcnt(0)
	v_mul_f64 v[203:204], v[6:7], v[193:194]
	v_mul_f64 v[193:194], v[8:9], v[193:194]
	v_fma_f64 v[201:202], v[4:5], v[38:39], v[201:202]
	v_fma_f64 v[207:208], v[2:3], v[38:39], -v[40:41]
	scratch_load_b128 v[38:41], off, off offset:688
	ds_load_b128 v[2:5], v1 offset:1328
	v_add_f64 v[195:196], v[195:196], v[205:206]
	v_add_f64 v[197:198], v[197:198], v[199:200]
	v_fma_f64 v[203:204], v[8:9], v[191:192], v[203:204]
	v_fma_f64 v[205:206], v[6:7], v[191:192], -v[193:194]
	ds_load_b128 v[6:9], v1 offset:1344
	scratch_load_b128 v[191:194], off, off offset:704
	s_waitcnt vmcnt(9) lgkmcnt(1)
	v_mul_f64 v[199:200], v[2:3], v[36:37]
	v_mul_f64 v[36:37], v[4:5], v[36:37]
	v_add_f64 v[195:196], v[195:196], v[207:208]
	v_add_f64 v[197:198], v[197:198], v[201:202]
	s_waitcnt vmcnt(8) lgkmcnt(0)
	v_mul_f64 v[201:202], v[6:7], v[189:190]
	v_mul_f64 v[189:190], v[8:9], v[189:190]
	v_fma_f64 v[199:200], v[4:5], v[34:35], v[199:200]
	v_fma_f64 v[207:208], v[2:3], v[34:35], -v[36:37]
	scratch_load_b128 v[34:37], off, off offset:720
	ds_load_b128 v[2:5], v1 offset:1360
	v_add_f64 v[195:196], v[195:196], v[205:206]
	v_add_f64 v[197:198], v[197:198], v[203:204]
	v_fma_f64 v[201:202], v[8:9], v[187:188], v[201:202]
	v_fma_f64 v[205:206], v[6:7], v[187:188], -v[189:190]
	ds_load_b128 v[6:9], v1 offset:1376
	s_waitcnt vmcnt(8) lgkmcnt(1)
	v_mul_f64 v[203:204], v[2:3], v[12:13]
	v_mul_f64 v[12:13], v[4:5], v[12:13]
	scratch_load_b128 v[187:190], off, off offset:736
	v_add_f64 v[195:196], v[195:196], v[207:208]
	v_add_f64 v[197:198], v[197:198], v[199:200]
	s_waitcnt vmcnt(8) lgkmcnt(0)
	v_mul_f64 v[199:200], v[6:7], v[16:17]
	v_mul_f64 v[16:17], v[8:9], v[16:17]
	v_fma_f64 v[203:204], v[4:5], v[10:11], v[203:204]
	v_fma_f64 v[207:208], v[2:3], v[10:11], -v[12:13]
	scratch_load_b128 v[10:13], off, off offset:752
	ds_load_b128 v[2:5], v1 offset:1392
	v_add_f64 v[195:196], v[195:196], v[205:206]
	v_add_f64 v[197:198], v[197:198], v[201:202]
	v_fma_f64 v[199:200], v[8:9], v[14:15], v[199:200]
	v_fma_f64 v[14:15], v[6:7], v[14:15], -v[16:17]
	ds_load_b128 v[6:9], v1 offset:1408
	s_waitcnt vmcnt(8) lgkmcnt(1)
	v_mul_f64 v[201:202], v[2:3], v[20:21]
	v_mul_f64 v[20:21], v[4:5], v[20:21]
	v_add_f64 v[16:17], v[195:196], v[207:208]
	v_add_f64 v[195:196], v[197:198], v[203:204]
	s_waitcnt vmcnt(7) lgkmcnt(0)
	v_mul_f64 v[197:198], v[6:7], v[24:25]
	v_mul_f64 v[24:25], v[8:9], v[24:25]
	v_fma_f64 v[201:202], v[4:5], v[18:19], v[201:202]
	v_fma_f64 v[18:19], v[2:3], v[18:19], -v[20:21]
	ds_load_b128 v[2:5], v1 offset:1424
	v_add_f64 v[14:15], v[16:17], v[14:15]
	v_add_f64 v[16:17], v[195:196], v[199:200]
	v_fma_f64 v[195:196], v[8:9], v[22:23], v[197:198]
	v_fma_f64 v[22:23], v[6:7], v[22:23], -v[24:25]
	ds_load_b128 v[6:9], v1 offset:1440
	s_waitcnt vmcnt(5) lgkmcnt(0)
	v_mul_f64 v[197:198], v[6:7], v[32:33]
	v_mul_f64 v[32:33], v[8:9], v[32:33]
	v_add_f64 v[18:19], v[14:15], v[18:19]
	v_add_f64 v[24:25], v[16:17], v[201:202]
	scratch_load_b128 v[14:17], off, off offset:384
	v_mul_f64 v[20:21], v[2:3], v[28:29]
	v_mul_f64 v[28:29], v[4:5], v[28:29]
	v_add_f64 v[18:19], v[18:19], v[22:23]
	v_add_f64 v[22:23], v[24:25], v[195:196]
	s_delay_alu instid0(VALU_DEP_4) | instskip(NEXT) | instid1(VALU_DEP_4)
	v_fma_f64 v[20:21], v[4:5], v[26:27], v[20:21]
	v_fma_f64 v[26:27], v[2:3], v[26:27], -v[28:29]
	ds_load_b128 v[2:5], v1 offset:1456
	s_waitcnt vmcnt(5) lgkmcnt(0)
	v_mul_f64 v[24:25], v[2:3], v[40:41]
	v_mul_f64 v[28:29], v[4:5], v[40:41]
	v_fma_f64 v[40:41], v[8:9], v[30:31], v[197:198]
	v_fma_f64 v[30:31], v[6:7], v[30:31], -v[32:33]
	ds_load_b128 v[6:9], v1 offset:1472
	v_add_f64 v[20:21], v[22:23], v[20:21]
	v_add_f64 v[18:19], v[18:19], v[26:27]
	v_fma_f64 v[24:25], v[4:5], v[38:39], v[24:25]
	v_fma_f64 v[28:29], v[2:3], v[38:39], -v[28:29]
	ds_load_b128 v[2:5], v1 offset:1488
	s_waitcnt vmcnt(4) lgkmcnt(1)
	v_mul_f64 v[22:23], v[6:7], v[193:194]
	v_mul_f64 v[26:27], v[8:9], v[193:194]
	v_add_f64 v[20:21], v[20:21], v[40:41]
	v_add_f64 v[18:19], v[18:19], v[30:31]
	s_waitcnt vmcnt(3) lgkmcnt(0)
	v_mul_f64 v[30:31], v[2:3], v[36:37]
	v_mul_f64 v[32:33], v[4:5], v[36:37]
	v_fma_f64 v[22:23], v[8:9], v[191:192], v[22:23]
	v_fma_f64 v[26:27], v[6:7], v[191:192], -v[26:27]
	ds_load_b128 v[6:9], v1 offset:1504
	v_add_f64 v[20:21], v[20:21], v[24:25]
	v_add_f64 v[18:19], v[18:19], v[28:29]
	v_fma_f64 v[30:31], v[4:5], v[34:35], v[30:31]
	v_fma_f64 v[32:33], v[2:3], v[34:35], -v[32:33]
	ds_load_b128 v[2:5], v1 offset:1520
	s_waitcnt vmcnt(2) lgkmcnt(1)
	v_mul_f64 v[24:25], v[6:7], v[189:190]
	v_mul_f64 v[28:29], v[8:9], v[189:190]
	v_add_f64 v[20:21], v[20:21], v[22:23]
	v_add_f64 v[18:19], v[18:19], v[26:27]
	s_waitcnt vmcnt(1) lgkmcnt(0)
	v_mul_f64 v[22:23], v[2:3], v[12:13]
	v_mul_f64 v[12:13], v[4:5], v[12:13]
	v_fma_f64 v[8:9], v[8:9], v[187:188], v[24:25]
	v_fma_f64 v[6:7], v[6:7], v[187:188], -v[28:29]
	v_add_f64 v[20:21], v[20:21], v[30:31]
	v_add_f64 v[18:19], v[18:19], v[32:33]
	v_fma_f64 v[4:5], v[4:5], v[10:11], v[22:23]
	v_fma_f64 v[2:3], v[2:3], v[10:11], -v[12:13]
	s_delay_alu instid0(VALU_DEP_4) | instskip(NEXT) | instid1(VALU_DEP_4)
	v_add_f64 v[8:9], v[20:21], v[8:9]
	v_add_f64 v[6:7], v[18:19], v[6:7]
	s_delay_alu instid0(VALU_DEP_2) | instskip(NEXT) | instid1(VALU_DEP_2)
	v_add_f64 v[4:5], v[8:9], v[4:5]
	v_add_f64 v[2:3], v[6:7], v[2:3]
	s_waitcnt vmcnt(0)
	s_delay_alu instid0(VALU_DEP_2) | instskip(NEXT) | instid1(VALU_DEP_2)
	v_add_f64 v[4:5], v[16:17], -v[4:5]
	v_add_f64 v[2:3], v[14:15], -v[2:3]
	scratch_store_b128 off, v[2:5], off offset:384
	v_cmpx_lt_u32_e32 23, v138
	s_cbranch_execz .LBB111_255
; %bb.254:
	scratch_load_b128 v[5:8], v164, off
	v_mov_b32_e32 v2, v1
	v_mov_b32_e32 v3, v1
	;; [unrolled: 1-line block ×3, first 2 shown]
	scratch_store_b128 off, v[1:4], off offset:368
	s_waitcnt vmcnt(0)
	ds_store_b128 v186, v[5:8]
.LBB111_255:
	s_or_b32 exec_lo, exec_lo, s2
	s_waitcnt lgkmcnt(0)
	s_waitcnt_vscnt null, 0x0
	s_barrier
	buffer_gl0_inv
	s_clause 0x7
	scratch_load_b128 v[2:5], off, off offset:384
	scratch_load_b128 v[6:9], off, off offset:400
	;; [unrolled: 1-line block ×8, first 2 shown]
	ds_load_b128 v[34:37], v1 offset:1152
	ds_load_b128 v[187:190], v1 offset:1168
	s_clause 0x1
	scratch_load_b128 v[38:41], off, off offset:512
	scratch_load_b128 v[191:194], off, off offset:528
	s_mov_b32 s2, exec_lo
	s_waitcnt vmcnt(9) lgkmcnt(1)
	v_mul_f64 v[195:196], v[36:37], v[4:5]
	v_mul_f64 v[4:5], v[34:35], v[4:5]
	s_waitcnt vmcnt(8) lgkmcnt(0)
	v_mul_f64 v[197:198], v[187:188], v[8:9]
	v_mul_f64 v[8:9], v[189:190], v[8:9]
	s_delay_alu instid0(VALU_DEP_4) | instskip(NEXT) | instid1(VALU_DEP_4)
	v_fma_f64 v[195:196], v[34:35], v[2:3], -v[195:196]
	v_fma_f64 v[199:200], v[36:37], v[2:3], v[4:5]
	ds_load_b128 v[2:5], v1 offset:1184
	scratch_load_b128 v[34:37], off, off offset:544
	v_fma_f64 v[197:198], v[189:190], v[6:7], v[197:198]
	v_fma_f64 v[203:204], v[187:188], v[6:7], -v[8:9]
	scratch_load_b128 v[187:190], off, off offset:560
	ds_load_b128 v[6:9], v1 offset:1200
	s_waitcnt vmcnt(9) lgkmcnt(1)
	v_mul_f64 v[201:202], v[2:3], v[12:13]
	v_mul_f64 v[12:13], v[4:5], v[12:13]
	s_waitcnt vmcnt(8) lgkmcnt(0)
	v_mul_f64 v[205:206], v[6:7], v[16:17]
	v_mul_f64 v[16:17], v[8:9], v[16:17]
	v_add_f64 v[195:196], v[195:196], 0
	v_add_f64 v[199:200], v[199:200], 0
	v_fma_f64 v[201:202], v[4:5], v[10:11], v[201:202]
	v_fma_f64 v[207:208], v[2:3], v[10:11], -v[12:13]
	ds_load_b128 v[2:5], v1 offset:1216
	scratch_load_b128 v[10:13], off, off offset:576
	v_add_f64 v[195:196], v[195:196], v[203:204]
	v_add_f64 v[197:198], v[199:200], v[197:198]
	v_fma_f64 v[203:204], v[8:9], v[14:15], v[205:206]
	v_fma_f64 v[205:206], v[6:7], v[14:15], -v[16:17]
	scratch_load_b128 v[14:17], off, off offset:592
	ds_load_b128 v[6:9], v1 offset:1232
	s_waitcnt vmcnt(9) lgkmcnt(1)
	v_mul_f64 v[199:200], v[2:3], v[20:21]
	v_mul_f64 v[20:21], v[4:5], v[20:21]
	v_add_f64 v[195:196], v[195:196], v[207:208]
	v_add_f64 v[197:198], v[197:198], v[201:202]
	s_waitcnt vmcnt(8) lgkmcnt(0)
	v_mul_f64 v[201:202], v[6:7], v[24:25]
	v_mul_f64 v[24:25], v[8:9], v[24:25]
	v_fma_f64 v[199:200], v[4:5], v[18:19], v[199:200]
	v_fma_f64 v[207:208], v[2:3], v[18:19], -v[20:21]
	ds_load_b128 v[2:5], v1 offset:1248
	scratch_load_b128 v[18:21], off, off offset:608
	v_add_f64 v[195:196], v[195:196], v[205:206]
	v_add_f64 v[197:198], v[197:198], v[203:204]
	v_fma_f64 v[201:202], v[8:9], v[22:23], v[201:202]
	v_fma_f64 v[205:206], v[6:7], v[22:23], -v[24:25]
	scratch_load_b128 v[22:25], off, off offset:624
	ds_load_b128 v[6:9], v1 offset:1264
	s_waitcnt vmcnt(9) lgkmcnt(1)
	v_mul_f64 v[203:204], v[2:3], v[28:29]
	v_mul_f64 v[28:29], v[4:5], v[28:29]
	v_add_f64 v[195:196], v[195:196], v[207:208]
	v_add_f64 v[197:198], v[197:198], v[199:200]
	s_waitcnt vmcnt(8) lgkmcnt(0)
	v_mul_f64 v[199:200], v[6:7], v[32:33]
	v_mul_f64 v[32:33], v[8:9], v[32:33]
	v_fma_f64 v[203:204], v[4:5], v[26:27], v[203:204]
	v_fma_f64 v[207:208], v[2:3], v[26:27], -v[28:29]
	ds_load_b128 v[2:5], v1 offset:1280
	scratch_load_b128 v[26:29], off, off offset:640
	v_add_f64 v[195:196], v[195:196], v[205:206]
	v_add_f64 v[197:198], v[197:198], v[201:202]
	v_fma_f64 v[199:200], v[8:9], v[30:31], v[199:200]
	v_fma_f64 v[205:206], v[6:7], v[30:31], -v[32:33]
	ds_load_b128 v[6:9], v1 offset:1296
	s_waitcnt vmcnt(8) lgkmcnt(1)
	v_mul_f64 v[201:202], v[2:3], v[40:41]
	v_mul_f64 v[40:41], v[4:5], v[40:41]
	scratch_load_b128 v[30:33], off, off offset:656
	v_add_f64 v[195:196], v[195:196], v[207:208]
	v_add_f64 v[197:198], v[197:198], v[203:204]
	s_waitcnt vmcnt(8) lgkmcnt(0)
	v_mul_f64 v[203:204], v[6:7], v[193:194]
	v_mul_f64 v[193:194], v[8:9], v[193:194]
	v_fma_f64 v[201:202], v[4:5], v[38:39], v[201:202]
	v_fma_f64 v[207:208], v[2:3], v[38:39], -v[40:41]
	ds_load_b128 v[2:5], v1 offset:1312
	scratch_load_b128 v[38:41], off, off offset:672
	v_add_f64 v[195:196], v[195:196], v[205:206]
	v_add_f64 v[197:198], v[197:198], v[199:200]
	v_fma_f64 v[203:204], v[8:9], v[191:192], v[203:204]
	v_fma_f64 v[205:206], v[6:7], v[191:192], -v[193:194]
	ds_load_b128 v[6:9], v1 offset:1328
	scratch_load_b128 v[191:194], off, off offset:688
	s_waitcnt vmcnt(9) lgkmcnt(1)
	v_mul_f64 v[199:200], v[2:3], v[36:37]
	v_mul_f64 v[36:37], v[4:5], v[36:37]
	v_add_f64 v[195:196], v[195:196], v[207:208]
	v_add_f64 v[197:198], v[197:198], v[201:202]
	s_waitcnt vmcnt(8) lgkmcnt(0)
	v_mul_f64 v[201:202], v[6:7], v[189:190]
	v_mul_f64 v[189:190], v[8:9], v[189:190]
	v_fma_f64 v[199:200], v[4:5], v[34:35], v[199:200]
	v_fma_f64 v[207:208], v[2:3], v[34:35], -v[36:37]
	scratch_load_b128 v[34:37], off, off offset:704
	ds_load_b128 v[2:5], v1 offset:1344
	v_add_f64 v[195:196], v[195:196], v[205:206]
	v_add_f64 v[197:198], v[197:198], v[203:204]
	v_fma_f64 v[201:202], v[8:9], v[187:188], v[201:202]
	v_fma_f64 v[205:206], v[6:7], v[187:188], -v[189:190]
	ds_load_b128 v[6:9], v1 offset:1360
	s_waitcnt vmcnt(8) lgkmcnt(1)
	v_mul_f64 v[203:204], v[2:3], v[12:13]
	v_mul_f64 v[12:13], v[4:5], v[12:13]
	scratch_load_b128 v[187:190], off, off offset:720
	v_add_f64 v[195:196], v[195:196], v[207:208]
	v_add_f64 v[197:198], v[197:198], v[199:200]
	s_waitcnt vmcnt(8) lgkmcnt(0)
	v_mul_f64 v[199:200], v[6:7], v[16:17]
	v_mul_f64 v[16:17], v[8:9], v[16:17]
	v_fma_f64 v[203:204], v[4:5], v[10:11], v[203:204]
	v_fma_f64 v[207:208], v[2:3], v[10:11], -v[12:13]
	scratch_load_b128 v[10:13], off, off offset:736
	ds_load_b128 v[2:5], v1 offset:1376
	v_add_f64 v[195:196], v[195:196], v[205:206]
	v_add_f64 v[197:198], v[197:198], v[201:202]
	v_fma_f64 v[199:200], v[8:9], v[14:15], v[199:200]
	v_fma_f64 v[205:206], v[6:7], v[14:15], -v[16:17]
	ds_load_b128 v[6:9], v1 offset:1392
	s_waitcnt vmcnt(8) lgkmcnt(1)
	v_mul_f64 v[201:202], v[2:3], v[20:21]
	v_mul_f64 v[20:21], v[4:5], v[20:21]
	scratch_load_b128 v[14:17], off, off offset:752
	v_add_f64 v[195:196], v[195:196], v[207:208]
	v_add_f64 v[197:198], v[197:198], v[203:204]
	s_waitcnt vmcnt(8) lgkmcnt(0)
	v_mul_f64 v[203:204], v[6:7], v[24:25]
	v_mul_f64 v[24:25], v[8:9], v[24:25]
	v_fma_f64 v[201:202], v[4:5], v[18:19], v[201:202]
	v_fma_f64 v[18:19], v[2:3], v[18:19], -v[20:21]
	ds_load_b128 v[2:5], v1 offset:1408
	v_add_f64 v[20:21], v[195:196], v[205:206]
	v_add_f64 v[195:196], v[197:198], v[199:200]
	v_fma_f64 v[199:200], v[8:9], v[22:23], v[203:204]
	v_fma_f64 v[22:23], v[6:7], v[22:23], -v[24:25]
	ds_load_b128 v[6:9], v1 offset:1424
	s_waitcnt vmcnt(7) lgkmcnt(1)
	v_mul_f64 v[197:198], v[2:3], v[28:29]
	v_mul_f64 v[28:29], v[4:5], v[28:29]
	v_add_f64 v[18:19], v[20:21], v[18:19]
	v_add_f64 v[20:21], v[195:196], v[201:202]
	s_delay_alu instid0(VALU_DEP_4) | instskip(NEXT) | instid1(VALU_DEP_4)
	v_fma_f64 v[195:196], v[4:5], v[26:27], v[197:198]
	v_fma_f64 v[26:27], v[2:3], v[26:27], -v[28:29]
	ds_load_b128 v[2:5], v1 offset:1440
	v_add_f64 v[22:23], v[18:19], v[22:23]
	v_add_f64 v[28:29], v[20:21], v[199:200]
	scratch_load_b128 v[18:21], off, off offset:368
	s_waitcnt vmcnt(7) lgkmcnt(1)
	v_mul_f64 v[24:25], v[6:7], v[32:33]
	v_mul_f64 v[32:33], v[8:9], v[32:33]
	v_add_f64 v[22:23], v[22:23], v[26:27]
	v_add_f64 v[26:27], v[28:29], v[195:196]
	s_delay_alu instid0(VALU_DEP_4) | instskip(NEXT) | instid1(VALU_DEP_4)
	v_fma_f64 v[24:25], v[8:9], v[30:31], v[24:25]
	v_fma_f64 v[30:31], v[6:7], v[30:31], -v[32:33]
	ds_load_b128 v[6:9], v1 offset:1456
	s_waitcnt vmcnt(6) lgkmcnt(1)
	v_mul_f64 v[197:198], v[2:3], v[40:41]
	v_mul_f64 v[40:41], v[4:5], v[40:41]
	s_waitcnt vmcnt(5) lgkmcnt(0)
	v_mul_f64 v[28:29], v[6:7], v[193:194]
	v_mul_f64 v[32:33], v[8:9], v[193:194]
	v_add_f64 v[24:25], v[26:27], v[24:25]
	v_add_f64 v[22:23], v[22:23], v[30:31]
	v_fma_f64 v[193:194], v[4:5], v[38:39], v[197:198]
	v_fma_f64 v[38:39], v[2:3], v[38:39], -v[40:41]
	ds_load_b128 v[2:5], v1 offset:1472
	v_fma_f64 v[28:29], v[8:9], v[191:192], v[28:29]
	v_fma_f64 v[32:33], v[6:7], v[191:192], -v[32:33]
	ds_load_b128 v[6:9], v1 offset:1488
	s_waitcnt vmcnt(4) lgkmcnt(1)
	v_mul_f64 v[26:27], v[2:3], v[36:37]
	v_mul_f64 v[30:31], v[4:5], v[36:37]
	v_add_f64 v[24:25], v[24:25], v[193:194]
	v_add_f64 v[22:23], v[22:23], v[38:39]
	s_waitcnt vmcnt(3) lgkmcnt(0)
	v_mul_f64 v[36:37], v[6:7], v[189:190]
	v_mul_f64 v[38:39], v[8:9], v[189:190]
	v_fma_f64 v[26:27], v[4:5], v[34:35], v[26:27]
	v_fma_f64 v[30:31], v[2:3], v[34:35], -v[30:31]
	ds_load_b128 v[2:5], v1 offset:1504
	v_add_f64 v[24:25], v[24:25], v[28:29]
	v_add_f64 v[22:23], v[22:23], v[32:33]
	v_fma_f64 v[32:33], v[8:9], v[187:188], v[36:37]
	v_fma_f64 v[34:35], v[6:7], v[187:188], -v[38:39]
	ds_load_b128 v[6:9], v1 offset:1520
	s_waitcnt vmcnt(2) lgkmcnt(1)
	v_mul_f64 v[28:29], v[2:3], v[12:13]
	v_mul_f64 v[12:13], v[4:5], v[12:13]
	v_add_f64 v[24:25], v[24:25], v[26:27]
	v_add_f64 v[22:23], v[22:23], v[30:31]
	s_waitcnt vmcnt(1) lgkmcnt(0)
	v_mul_f64 v[26:27], v[6:7], v[16:17]
	v_mul_f64 v[16:17], v[8:9], v[16:17]
	v_fma_f64 v[4:5], v[4:5], v[10:11], v[28:29]
	v_fma_f64 v[1:2], v[2:3], v[10:11], -v[12:13]
	v_add_f64 v[12:13], v[24:25], v[32:33]
	v_add_f64 v[10:11], v[22:23], v[34:35]
	v_fma_f64 v[8:9], v[8:9], v[14:15], v[26:27]
	v_fma_f64 v[6:7], v[6:7], v[14:15], -v[16:17]
	s_delay_alu instid0(VALU_DEP_4) | instskip(NEXT) | instid1(VALU_DEP_4)
	v_add_f64 v[3:4], v[12:13], v[4:5]
	v_add_f64 v[1:2], v[10:11], v[1:2]
	s_delay_alu instid0(VALU_DEP_2) | instskip(NEXT) | instid1(VALU_DEP_2)
	v_add_f64 v[3:4], v[3:4], v[8:9]
	v_add_f64 v[1:2], v[1:2], v[6:7]
	s_waitcnt vmcnt(0)
	s_delay_alu instid0(VALU_DEP_2) | instskip(NEXT) | instid1(VALU_DEP_2)
	v_add_f64 v[3:4], v[20:21], -v[3:4]
	v_add_f64 v[1:2], v[18:19], -v[1:2]
	scratch_store_b128 off, v[1:4], off offset:368
	v_cmpx_lt_u32_e32 22, v138
	s_cbranch_execz .LBB111_257
; %bb.256:
	scratch_load_b128 v[1:4], v163, off
	v_mov_b32_e32 v5, 0
	s_delay_alu instid0(VALU_DEP_1)
	v_mov_b32_e32 v6, v5
	v_mov_b32_e32 v7, v5
	;; [unrolled: 1-line block ×3, first 2 shown]
	scratch_store_b128 off, v[5:8], off offset:352
	s_waitcnt vmcnt(0)
	ds_store_b128 v186, v[1:4]
.LBB111_257:
	s_or_b32 exec_lo, exec_lo, s2
	s_waitcnt lgkmcnt(0)
	s_waitcnt_vscnt null, 0x0
	s_barrier
	buffer_gl0_inv
	s_clause 0x7
	scratch_load_b128 v[2:5], off, off offset:368
	scratch_load_b128 v[6:9], off, off offset:384
	;; [unrolled: 1-line block ×8, first 2 shown]
	v_mov_b32_e32 v1, 0
	s_clause 0x1
	scratch_load_b128 v[38:41], off, off offset:496
	scratch_load_b128 v[191:194], off, off offset:512
	s_mov_b32 s2, exec_lo
	ds_load_b128 v[34:37], v1 offset:1136
	ds_load_b128 v[187:190], v1 offset:1152
	s_waitcnt vmcnt(9) lgkmcnt(1)
	v_mul_f64 v[195:196], v[36:37], v[4:5]
	v_mul_f64 v[4:5], v[34:35], v[4:5]
	s_waitcnt vmcnt(8) lgkmcnt(0)
	v_mul_f64 v[197:198], v[187:188], v[8:9]
	v_mul_f64 v[8:9], v[189:190], v[8:9]
	s_delay_alu instid0(VALU_DEP_4) | instskip(NEXT) | instid1(VALU_DEP_4)
	v_fma_f64 v[195:196], v[34:35], v[2:3], -v[195:196]
	v_fma_f64 v[199:200], v[36:37], v[2:3], v[4:5]
	ds_load_b128 v[2:5], v1 offset:1168
	scratch_load_b128 v[34:37], off, off offset:528
	v_fma_f64 v[197:198], v[189:190], v[6:7], v[197:198]
	v_fma_f64 v[203:204], v[187:188], v[6:7], -v[8:9]
	scratch_load_b128 v[187:190], off, off offset:544
	ds_load_b128 v[6:9], v1 offset:1184
	s_waitcnt vmcnt(9) lgkmcnt(1)
	v_mul_f64 v[201:202], v[2:3], v[12:13]
	v_mul_f64 v[12:13], v[4:5], v[12:13]
	s_waitcnt vmcnt(8) lgkmcnt(0)
	v_mul_f64 v[205:206], v[6:7], v[16:17]
	v_mul_f64 v[16:17], v[8:9], v[16:17]
	v_add_f64 v[195:196], v[195:196], 0
	v_add_f64 v[199:200], v[199:200], 0
	v_fma_f64 v[201:202], v[4:5], v[10:11], v[201:202]
	v_fma_f64 v[207:208], v[2:3], v[10:11], -v[12:13]
	ds_load_b128 v[2:5], v1 offset:1200
	scratch_load_b128 v[10:13], off, off offset:560
	v_add_f64 v[195:196], v[195:196], v[203:204]
	v_add_f64 v[197:198], v[199:200], v[197:198]
	v_fma_f64 v[203:204], v[8:9], v[14:15], v[205:206]
	v_fma_f64 v[205:206], v[6:7], v[14:15], -v[16:17]
	scratch_load_b128 v[14:17], off, off offset:576
	ds_load_b128 v[6:9], v1 offset:1216
	s_waitcnt vmcnt(9) lgkmcnt(1)
	v_mul_f64 v[199:200], v[2:3], v[20:21]
	v_mul_f64 v[20:21], v[4:5], v[20:21]
	v_add_f64 v[195:196], v[195:196], v[207:208]
	v_add_f64 v[197:198], v[197:198], v[201:202]
	s_waitcnt vmcnt(8) lgkmcnt(0)
	v_mul_f64 v[201:202], v[6:7], v[24:25]
	v_mul_f64 v[24:25], v[8:9], v[24:25]
	v_fma_f64 v[199:200], v[4:5], v[18:19], v[199:200]
	v_fma_f64 v[207:208], v[2:3], v[18:19], -v[20:21]
	ds_load_b128 v[2:5], v1 offset:1232
	scratch_load_b128 v[18:21], off, off offset:592
	v_add_f64 v[195:196], v[195:196], v[205:206]
	v_add_f64 v[197:198], v[197:198], v[203:204]
	v_fma_f64 v[201:202], v[8:9], v[22:23], v[201:202]
	v_fma_f64 v[205:206], v[6:7], v[22:23], -v[24:25]
	scratch_load_b128 v[22:25], off, off offset:608
	ds_load_b128 v[6:9], v1 offset:1248
	s_waitcnt vmcnt(9) lgkmcnt(1)
	v_mul_f64 v[203:204], v[2:3], v[28:29]
	v_mul_f64 v[28:29], v[4:5], v[28:29]
	v_add_f64 v[195:196], v[195:196], v[207:208]
	v_add_f64 v[197:198], v[197:198], v[199:200]
	s_waitcnt vmcnt(8) lgkmcnt(0)
	v_mul_f64 v[199:200], v[6:7], v[32:33]
	v_mul_f64 v[32:33], v[8:9], v[32:33]
	;; [unrolled: 18-line block ×3, first 2 shown]
	v_fma_f64 v[201:202], v[4:5], v[38:39], v[201:202]
	v_fma_f64 v[207:208], v[2:3], v[38:39], -v[40:41]
	ds_load_b128 v[2:5], v1 offset:1296
	scratch_load_b128 v[38:41], off, off offset:656
	v_add_f64 v[195:196], v[195:196], v[205:206]
	v_add_f64 v[197:198], v[197:198], v[199:200]
	v_fma_f64 v[203:204], v[8:9], v[191:192], v[203:204]
	v_fma_f64 v[205:206], v[6:7], v[191:192], -v[193:194]
	ds_load_b128 v[6:9], v1 offset:1312
	scratch_load_b128 v[191:194], off, off offset:672
	s_waitcnt vmcnt(9) lgkmcnt(1)
	v_mul_f64 v[199:200], v[2:3], v[36:37]
	v_mul_f64 v[36:37], v[4:5], v[36:37]
	v_add_f64 v[195:196], v[195:196], v[207:208]
	v_add_f64 v[197:198], v[197:198], v[201:202]
	s_waitcnt vmcnt(8) lgkmcnt(0)
	v_mul_f64 v[201:202], v[6:7], v[189:190]
	v_mul_f64 v[189:190], v[8:9], v[189:190]
	v_fma_f64 v[199:200], v[4:5], v[34:35], v[199:200]
	v_fma_f64 v[207:208], v[2:3], v[34:35], -v[36:37]
	scratch_load_b128 v[34:37], off, off offset:688
	ds_load_b128 v[2:5], v1 offset:1328
	v_add_f64 v[195:196], v[195:196], v[205:206]
	v_add_f64 v[197:198], v[197:198], v[203:204]
	v_fma_f64 v[201:202], v[8:9], v[187:188], v[201:202]
	v_fma_f64 v[205:206], v[6:7], v[187:188], -v[189:190]
	ds_load_b128 v[6:9], v1 offset:1344
	s_waitcnt vmcnt(8) lgkmcnt(1)
	v_mul_f64 v[203:204], v[2:3], v[12:13]
	v_mul_f64 v[12:13], v[4:5], v[12:13]
	scratch_load_b128 v[187:190], off, off offset:704
	v_add_f64 v[195:196], v[195:196], v[207:208]
	v_add_f64 v[197:198], v[197:198], v[199:200]
	s_waitcnt vmcnt(8) lgkmcnt(0)
	v_mul_f64 v[199:200], v[6:7], v[16:17]
	v_mul_f64 v[16:17], v[8:9], v[16:17]
	v_fma_f64 v[203:204], v[4:5], v[10:11], v[203:204]
	v_fma_f64 v[207:208], v[2:3], v[10:11], -v[12:13]
	scratch_load_b128 v[10:13], off, off offset:720
	ds_load_b128 v[2:5], v1 offset:1360
	v_add_f64 v[195:196], v[195:196], v[205:206]
	v_add_f64 v[197:198], v[197:198], v[201:202]
	v_fma_f64 v[199:200], v[8:9], v[14:15], v[199:200]
	v_fma_f64 v[205:206], v[6:7], v[14:15], -v[16:17]
	ds_load_b128 v[6:9], v1 offset:1376
	s_waitcnt vmcnt(8) lgkmcnt(1)
	v_mul_f64 v[201:202], v[2:3], v[20:21]
	v_mul_f64 v[20:21], v[4:5], v[20:21]
	scratch_load_b128 v[14:17], off, off offset:736
	v_add_f64 v[195:196], v[195:196], v[207:208]
	v_add_f64 v[197:198], v[197:198], v[203:204]
	s_waitcnt vmcnt(8) lgkmcnt(0)
	v_mul_f64 v[203:204], v[6:7], v[24:25]
	v_mul_f64 v[24:25], v[8:9], v[24:25]
	v_fma_f64 v[201:202], v[4:5], v[18:19], v[201:202]
	v_fma_f64 v[207:208], v[2:3], v[18:19], -v[20:21]
	scratch_load_b128 v[18:21], off, off offset:752
	ds_load_b128 v[2:5], v1 offset:1392
	v_add_f64 v[195:196], v[195:196], v[205:206]
	v_add_f64 v[197:198], v[197:198], v[199:200]
	v_fma_f64 v[203:204], v[8:9], v[22:23], v[203:204]
	v_fma_f64 v[22:23], v[6:7], v[22:23], -v[24:25]
	ds_load_b128 v[6:9], v1 offset:1408
	s_waitcnt vmcnt(8) lgkmcnt(1)
	v_mul_f64 v[199:200], v[2:3], v[28:29]
	v_mul_f64 v[28:29], v[4:5], v[28:29]
	v_add_f64 v[24:25], v[195:196], v[207:208]
	v_add_f64 v[195:196], v[197:198], v[201:202]
	s_waitcnt vmcnt(7) lgkmcnt(0)
	v_mul_f64 v[197:198], v[6:7], v[32:33]
	v_mul_f64 v[32:33], v[8:9], v[32:33]
	v_fma_f64 v[199:200], v[4:5], v[26:27], v[199:200]
	v_fma_f64 v[26:27], v[2:3], v[26:27], -v[28:29]
	ds_load_b128 v[2:5], v1 offset:1424
	v_add_f64 v[22:23], v[24:25], v[22:23]
	v_add_f64 v[24:25], v[195:196], v[203:204]
	v_fma_f64 v[195:196], v[8:9], v[30:31], v[197:198]
	v_fma_f64 v[30:31], v[6:7], v[30:31], -v[32:33]
	ds_load_b128 v[6:9], v1 offset:1440
	s_waitcnt vmcnt(5) lgkmcnt(0)
	v_mul_f64 v[197:198], v[6:7], v[193:194]
	v_mul_f64 v[193:194], v[8:9], v[193:194]
	v_add_f64 v[26:27], v[22:23], v[26:27]
	v_add_f64 v[32:33], v[24:25], v[199:200]
	scratch_load_b128 v[22:25], off, off offset:352
	v_mul_f64 v[28:29], v[2:3], v[40:41]
	v_mul_f64 v[40:41], v[4:5], v[40:41]
	v_add_f64 v[26:27], v[26:27], v[30:31]
	v_add_f64 v[30:31], v[32:33], v[195:196]
	s_delay_alu instid0(VALU_DEP_4) | instskip(NEXT) | instid1(VALU_DEP_4)
	v_fma_f64 v[28:29], v[4:5], v[38:39], v[28:29]
	v_fma_f64 v[38:39], v[2:3], v[38:39], -v[40:41]
	ds_load_b128 v[2:5], v1 offset:1456
	v_fma_f64 v[40:41], v[8:9], v[191:192], v[197:198]
	v_fma_f64 v[191:192], v[6:7], v[191:192], -v[193:194]
	ds_load_b128 v[6:9], v1 offset:1472
	s_waitcnt vmcnt(5) lgkmcnt(1)
	v_mul_f64 v[32:33], v[2:3], v[36:37]
	v_mul_f64 v[36:37], v[4:5], v[36:37]
	v_add_f64 v[28:29], v[30:31], v[28:29]
	v_add_f64 v[26:27], v[26:27], v[38:39]
	s_waitcnt vmcnt(4) lgkmcnt(0)
	v_mul_f64 v[30:31], v[6:7], v[189:190]
	v_mul_f64 v[38:39], v[8:9], v[189:190]
	v_fma_f64 v[32:33], v[4:5], v[34:35], v[32:33]
	v_fma_f64 v[34:35], v[2:3], v[34:35], -v[36:37]
	ds_load_b128 v[2:5], v1 offset:1488
	v_add_f64 v[28:29], v[28:29], v[40:41]
	v_add_f64 v[26:27], v[26:27], v[191:192]
	v_fma_f64 v[30:31], v[8:9], v[187:188], v[30:31]
	v_fma_f64 v[38:39], v[6:7], v[187:188], -v[38:39]
	ds_load_b128 v[6:9], v1 offset:1504
	s_waitcnt vmcnt(3) lgkmcnt(1)
	v_mul_f64 v[36:37], v[2:3], v[12:13]
	v_mul_f64 v[12:13], v[4:5], v[12:13]
	v_add_f64 v[28:29], v[28:29], v[32:33]
	v_add_f64 v[26:27], v[26:27], v[34:35]
	s_waitcnt vmcnt(2) lgkmcnt(0)
	v_mul_f64 v[32:33], v[6:7], v[16:17]
	v_mul_f64 v[16:17], v[8:9], v[16:17]
	v_fma_f64 v[34:35], v[4:5], v[10:11], v[36:37]
	v_fma_f64 v[10:11], v[2:3], v[10:11], -v[12:13]
	ds_load_b128 v[2:5], v1 offset:1520
	v_add_f64 v[12:13], v[26:27], v[38:39]
	v_add_f64 v[26:27], v[28:29], v[30:31]
	s_waitcnt vmcnt(1) lgkmcnt(0)
	v_mul_f64 v[28:29], v[2:3], v[20:21]
	v_mul_f64 v[20:21], v[4:5], v[20:21]
	v_fma_f64 v[8:9], v[8:9], v[14:15], v[32:33]
	v_fma_f64 v[6:7], v[6:7], v[14:15], -v[16:17]
	v_add_f64 v[10:11], v[12:13], v[10:11]
	v_add_f64 v[12:13], v[26:27], v[34:35]
	v_fma_f64 v[4:5], v[4:5], v[18:19], v[28:29]
	v_fma_f64 v[2:3], v[2:3], v[18:19], -v[20:21]
	s_delay_alu instid0(VALU_DEP_4) | instskip(NEXT) | instid1(VALU_DEP_4)
	v_add_f64 v[6:7], v[10:11], v[6:7]
	v_add_f64 v[8:9], v[12:13], v[8:9]
	s_delay_alu instid0(VALU_DEP_2) | instskip(NEXT) | instid1(VALU_DEP_2)
	v_add_f64 v[2:3], v[6:7], v[2:3]
	v_add_f64 v[4:5], v[8:9], v[4:5]
	s_waitcnt vmcnt(0)
	s_delay_alu instid0(VALU_DEP_2) | instskip(NEXT) | instid1(VALU_DEP_2)
	v_add_f64 v[2:3], v[22:23], -v[2:3]
	v_add_f64 v[4:5], v[24:25], -v[4:5]
	scratch_store_b128 off, v[2:5], off offset:352
	v_cmpx_lt_u32_e32 21, v138
	s_cbranch_execz .LBB111_259
; %bb.258:
	scratch_load_b128 v[5:8], v165, off
	v_mov_b32_e32 v2, v1
	v_mov_b32_e32 v3, v1
	;; [unrolled: 1-line block ×3, first 2 shown]
	scratch_store_b128 off, v[1:4], off offset:336
	s_waitcnt vmcnt(0)
	ds_store_b128 v186, v[5:8]
.LBB111_259:
	s_or_b32 exec_lo, exec_lo, s2
	s_waitcnt lgkmcnt(0)
	s_waitcnt_vscnt null, 0x0
	s_barrier
	buffer_gl0_inv
	s_clause 0x7
	scratch_load_b128 v[2:5], off, off offset:352
	scratch_load_b128 v[6:9], off, off offset:368
	;; [unrolled: 1-line block ×8, first 2 shown]
	ds_load_b128 v[38:41], v1 offset:1120
	ds_load_b128 v[187:190], v1 offset:1136
	s_clause 0x1
	scratch_load_b128 v[34:37], off, off offset:480
	scratch_load_b128 v[191:194], off, off offset:496
	s_mov_b32 s2, exec_lo
	s_waitcnt vmcnt(9) lgkmcnt(1)
	v_mul_f64 v[195:196], v[40:41], v[4:5]
	v_mul_f64 v[4:5], v[38:39], v[4:5]
	s_waitcnt vmcnt(8) lgkmcnt(0)
	v_mul_f64 v[197:198], v[187:188], v[8:9]
	v_mul_f64 v[8:9], v[189:190], v[8:9]
	s_delay_alu instid0(VALU_DEP_4) | instskip(NEXT) | instid1(VALU_DEP_4)
	v_fma_f64 v[195:196], v[38:39], v[2:3], -v[195:196]
	v_fma_f64 v[199:200], v[40:41], v[2:3], v[4:5]
	ds_load_b128 v[2:5], v1 offset:1152
	scratch_load_b128 v[38:41], off, off offset:512
	v_fma_f64 v[197:198], v[189:190], v[6:7], v[197:198]
	v_fma_f64 v[203:204], v[187:188], v[6:7], -v[8:9]
	scratch_load_b128 v[187:190], off, off offset:528
	ds_load_b128 v[6:9], v1 offset:1168
	s_waitcnt vmcnt(9) lgkmcnt(1)
	v_mul_f64 v[201:202], v[2:3], v[12:13]
	v_mul_f64 v[12:13], v[4:5], v[12:13]
	s_waitcnt vmcnt(8) lgkmcnt(0)
	v_mul_f64 v[205:206], v[6:7], v[16:17]
	v_mul_f64 v[16:17], v[8:9], v[16:17]
	v_add_f64 v[195:196], v[195:196], 0
	v_add_f64 v[199:200], v[199:200], 0
	v_fma_f64 v[201:202], v[4:5], v[10:11], v[201:202]
	v_fma_f64 v[207:208], v[2:3], v[10:11], -v[12:13]
	ds_load_b128 v[2:5], v1 offset:1184
	scratch_load_b128 v[10:13], off, off offset:544
	v_add_f64 v[195:196], v[195:196], v[203:204]
	v_add_f64 v[197:198], v[199:200], v[197:198]
	v_fma_f64 v[203:204], v[8:9], v[14:15], v[205:206]
	v_fma_f64 v[205:206], v[6:7], v[14:15], -v[16:17]
	scratch_load_b128 v[14:17], off, off offset:560
	ds_load_b128 v[6:9], v1 offset:1200
	s_waitcnt vmcnt(9) lgkmcnt(1)
	v_mul_f64 v[199:200], v[2:3], v[20:21]
	v_mul_f64 v[20:21], v[4:5], v[20:21]
	v_add_f64 v[195:196], v[195:196], v[207:208]
	v_add_f64 v[197:198], v[197:198], v[201:202]
	s_waitcnt vmcnt(8) lgkmcnt(0)
	v_mul_f64 v[201:202], v[6:7], v[24:25]
	v_mul_f64 v[24:25], v[8:9], v[24:25]
	v_fma_f64 v[199:200], v[4:5], v[18:19], v[199:200]
	v_fma_f64 v[207:208], v[2:3], v[18:19], -v[20:21]
	ds_load_b128 v[2:5], v1 offset:1216
	scratch_load_b128 v[18:21], off, off offset:576
	v_add_f64 v[195:196], v[195:196], v[205:206]
	v_add_f64 v[197:198], v[197:198], v[203:204]
	v_fma_f64 v[201:202], v[8:9], v[22:23], v[201:202]
	v_fma_f64 v[205:206], v[6:7], v[22:23], -v[24:25]
	scratch_load_b128 v[22:25], off, off offset:592
	ds_load_b128 v[6:9], v1 offset:1232
	s_waitcnt vmcnt(9) lgkmcnt(1)
	v_mul_f64 v[203:204], v[2:3], v[28:29]
	v_mul_f64 v[28:29], v[4:5], v[28:29]
	v_add_f64 v[195:196], v[195:196], v[207:208]
	v_add_f64 v[197:198], v[197:198], v[199:200]
	s_waitcnt vmcnt(8) lgkmcnt(0)
	v_mul_f64 v[199:200], v[6:7], v[32:33]
	v_mul_f64 v[32:33], v[8:9], v[32:33]
	;; [unrolled: 18-line block ×3, first 2 shown]
	v_fma_f64 v[201:202], v[4:5], v[34:35], v[201:202]
	v_fma_f64 v[207:208], v[2:3], v[34:35], -v[36:37]
	ds_load_b128 v[2:5], v1 offset:1280
	scratch_load_b128 v[34:37], off, off offset:640
	v_add_f64 v[195:196], v[195:196], v[205:206]
	v_add_f64 v[197:198], v[197:198], v[199:200]
	v_fma_f64 v[203:204], v[8:9], v[191:192], v[203:204]
	v_fma_f64 v[205:206], v[6:7], v[191:192], -v[193:194]
	ds_load_b128 v[6:9], v1 offset:1296
	scratch_load_b128 v[191:194], off, off offset:656
	s_waitcnt vmcnt(9) lgkmcnt(1)
	v_mul_f64 v[199:200], v[2:3], v[40:41]
	v_mul_f64 v[40:41], v[4:5], v[40:41]
	v_add_f64 v[195:196], v[195:196], v[207:208]
	v_add_f64 v[197:198], v[197:198], v[201:202]
	s_waitcnt vmcnt(8) lgkmcnt(0)
	v_mul_f64 v[201:202], v[6:7], v[189:190]
	v_mul_f64 v[189:190], v[8:9], v[189:190]
	v_fma_f64 v[199:200], v[4:5], v[38:39], v[199:200]
	v_fma_f64 v[207:208], v[2:3], v[38:39], -v[40:41]
	ds_load_b128 v[2:5], v1 offset:1312
	scratch_load_b128 v[38:41], off, off offset:672
	v_add_f64 v[195:196], v[195:196], v[205:206]
	v_add_f64 v[197:198], v[197:198], v[203:204]
	v_fma_f64 v[201:202], v[8:9], v[187:188], v[201:202]
	v_fma_f64 v[205:206], v[6:7], v[187:188], -v[189:190]
	ds_load_b128 v[6:9], v1 offset:1328
	s_waitcnt vmcnt(8) lgkmcnt(1)
	v_mul_f64 v[203:204], v[2:3], v[12:13]
	v_mul_f64 v[12:13], v[4:5], v[12:13]
	scratch_load_b128 v[187:190], off, off offset:688
	v_add_f64 v[195:196], v[195:196], v[207:208]
	v_add_f64 v[197:198], v[197:198], v[199:200]
	s_waitcnt vmcnt(8) lgkmcnt(0)
	v_mul_f64 v[199:200], v[6:7], v[16:17]
	v_mul_f64 v[16:17], v[8:9], v[16:17]
	v_fma_f64 v[203:204], v[4:5], v[10:11], v[203:204]
	v_fma_f64 v[207:208], v[2:3], v[10:11], -v[12:13]
	scratch_load_b128 v[10:13], off, off offset:704
	ds_load_b128 v[2:5], v1 offset:1344
	v_add_f64 v[195:196], v[195:196], v[205:206]
	v_add_f64 v[197:198], v[197:198], v[201:202]
	v_fma_f64 v[199:200], v[8:9], v[14:15], v[199:200]
	v_fma_f64 v[205:206], v[6:7], v[14:15], -v[16:17]
	ds_load_b128 v[6:9], v1 offset:1360
	s_waitcnt vmcnt(8) lgkmcnt(1)
	v_mul_f64 v[201:202], v[2:3], v[20:21]
	v_mul_f64 v[20:21], v[4:5], v[20:21]
	scratch_load_b128 v[14:17], off, off offset:720
	v_add_f64 v[195:196], v[195:196], v[207:208]
	v_add_f64 v[197:198], v[197:198], v[203:204]
	s_waitcnt vmcnt(8) lgkmcnt(0)
	v_mul_f64 v[203:204], v[6:7], v[24:25]
	v_mul_f64 v[24:25], v[8:9], v[24:25]
	v_fma_f64 v[201:202], v[4:5], v[18:19], v[201:202]
	v_fma_f64 v[207:208], v[2:3], v[18:19], -v[20:21]
	scratch_load_b128 v[18:21], off, off offset:736
	ds_load_b128 v[2:5], v1 offset:1376
	v_add_f64 v[195:196], v[195:196], v[205:206]
	v_add_f64 v[197:198], v[197:198], v[199:200]
	v_fma_f64 v[203:204], v[8:9], v[22:23], v[203:204]
	v_fma_f64 v[205:206], v[6:7], v[22:23], -v[24:25]
	ds_load_b128 v[6:9], v1 offset:1392
	s_waitcnt vmcnt(8) lgkmcnt(1)
	v_mul_f64 v[199:200], v[2:3], v[28:29]
	v_mul_f64 v[28:29], v[4:5], v[28:29]
	scratch_load_b128 v[22:25], off, off offset:752
	v_add_f64 v[195:196], v[195:196], v[207:208]
	v_add_f64 v[197:198], v[197:198], v[201:202]
	s_waitcnt vmcnt(8) lgkmcnt(0)
	v_mul_f64 v[201:202], v[6:7], v[32:33]
	v_mul_f64 v[32:33], v[8:9], v[32:33]
	v_fma_f64 v[199:200], v[4:5], v[26:27], v[199:200]
	v_fma_f64 v[26:27], v[2:3], v[26:27], -v[28:29]
	ds_load_b128 v[2:5], v1 offset:1408
	v_add_f64 v[28:29], v[195:196], v[205:206]
	v_add_f64 v[195:196], v[197:198], v[203:204]
	v_fma_f64 v[201:202], v[8:9], v[30:31], v[201:202]
	v_fma_f64 v[30:31], v[6:7], v[30:31], -v[32:33]
	ds_load_b128 v[6:9], v1 offset:1424
	s_waitcnt vmcnt(7) lgkmcnt(1)
	v_mul_f64 v[197:198], v[2:3], v[36:37]
	v_mul_f64 v[36:37], v[4:5], v[36:37]
	v_add_f64 v[26:27], v[28:29], v[26:27]
	v_add_f64 v[28:29], v[195:196], v[199:200]
	s_delay_alu instid0(VALU_DEP_4) | instskip(NEXT) | instid1(VALU_DEP_4)
	v_fma_f64 v[195:196], v[4:5], v[34:35], v[197:198]
	v_fma_f64 v[34:35], v[2:3], v[34:35], -v[36:37]
	ds_load_b128 v[2:5], v1 offset:1440
	v_add_f64 v[30:31], v[26:27], v[30:31]
	v_add_f64 v[36:37], v[28:29], v[201:202]
	scratch_load_b128 v[26:29], off, off offset:336
	s_waitcnt vmcnt(7) lgkmcnt(1)
	v_mul_f64 v[32:33], v[6:7], v[193:194]
	v_mul_f64 v[193:194], v[8:9], v[193:194]
	v_add_f64 v[30:31], v[30:31], v[34:35]
	v_add_f64 v[34:35], v[36:37], v[195:196]
	s_delay_alu instid0(VALU_DEP_4) | instskip(NEXT) | instid1(VALU_DEP_4)
	v_fma_f64 v[32:33], v[8:9], v[191:192], v[32:33]
	v_fma_f64 v[191:192], v[6:7], v[191:192], -v[193:194]
	ds_load_b128 v[6:9], v1 offset:1456
	s_waitcnt vmcnt(6) lgkmcnt(1)
	v_mul_f64 v[197:198], v[2:3], v[40:41]
	v_mul_f64 v[40:41], v[4:5], v[40:41]
	s_waitcnt vmcnt(5) lgkmcnt(0)
	v_mul_f64 v[36:37], v[6:7], v[189:190]
	v_mul_f64 v[189:190], v[8:9], v[189:190]
	v_add_f64 v[32:33], v[34:35], v[32:33]
	v_add_f64 v[30:31], v[30:31], v[191:192]
	v_fma_f64 v[193:194], v[4:5], v[38:39], v[197:198]
	v_fma_f64 v[38:39], v[2:3], v[38:39], -v[40:41]
	ds_load_b128 v[2:5], v1 offset:1472
	v_fma_f64 v[36:37], v[8:9], v[187:188], v[36:37]
	v_fma_f64 v[40:41], v[6:7], v[187:188], -v[189:190]
	ds_load_b128 v[6:9], v1 offset:1488
	s_waitcnt vmcnt(4) lgkmcnt(1)
	v_mul_f64 v[34:35], v[2:3], v[12:13]
	v_mul_f64 v[12:13], v[4:5], v[12:13]
	v_add_f64 v[32:33], v[32:33], v[193:194]
	v_add_f64 v[30:31], v[30:31], v[38:39]
	s_waitcnt vmcnt(3) lgkmcnt(0)
	v_mul_f64 v[38:39], v[6:7], v[16:17]
	v_mul_f64 v[16:17], v[8:9], v[16:17]
	v_fma_f64 v[34:35], v[4:5], v[10:11], v[34:35]
	v_fma_f64 v[10:11], v[2:3], v[10:11], -v[12:13]
	ds_load_b128 v[2:5], v1 offset:1504
	v_add_f64 v[12:13], v[30:31], v[40:41]
	v_add_f64 v[30:31], v[32:33], v[36:37]
	v_fma_f64 v[36:37], v[8:9], v[14:15], v[38:39]
	v_fma_f64 v[14:15], v[6:7], v[14:15], -v[16:17]
	ds_load_b128 v[6:9], v1 offset:1520
	s_waitcnt vmcnt(2) lgkmcnt(1)
	v_mul_f64 v[32:33], v[2:3], v[20:21]
	v_mul_f64 v[20:21], v[4:5], v[20:21]
	s_waitcnt vmcnt(1) lgkmcnt(0)
	v_mul_f64 v[16:17], v[6:7], v[24:25]
	v_mul_f64 v[24:25], v[8:9], v[24:25]
	v_add_f64 v[10:11], v[12:13], v[10:11]
	v_add_f64 v[12:13], v[30:31], v[34:35]
	v_fma_f64 v[4:5], v[4:5], v[18:19], v[32:33]
	v_fma_f64 v[1:2], v[2:3], v[18:19], -v[20:21]
	v_fma_f64 v[8:9], v[8:9], v[22:23], v[16:17]
	v_fma_f64 v[6:7], v[6:7], v[22:23], -v[24:25]
	v_add_f64 v[10:11], v[10:11], v[14:15]
	v_add_f64 v[12:13], v[12:13], v[36:37]
	s_delay_alu instid0(VALU_DEP_2) | instskip(NEXT) | instid1(VALU_DEP_2)
	v_add_f64 v[1:2], v[10:11], v[1:2]
	v_add_f64 v[3:4], v[12:13], v[4:5]
	s_delay_alu instid0(VALU_DEP_2) | instskip(NEXT) | instid1(VALU_DEP_2)
	v_add_f64 v[1:2], v[1:2], v[6:7]
	v_add_f64 v[3:4], v[3:4], v[8:9]
	s_waitcnt vmcnt(0)
	s_delay_alu instid0(VALU_DEP_2) | instskip(NEXT) | instid1(VALU_DEP_2)
	v_add_f64 v[1:2], v[26:27], -v[1:2]
	v_add_f64 v[3:4], v[28:29], -v[3:4]
	scratch_store_b128 off, v[1:4], off offset:336
	v_cmpx_lt_u32_e32 20, v138
	s_cbranch_execz .LBB111_261
; %bb.260:
	scratch_load_b128 v[1:4], v166, off
	v_mov_b32_e32 v5, 0
	s_delay_alu instid0(VALU_DEP_1)
	v_mov_b32_e32 v6, v5
	v_mov_b32_e32 v7, v5
	;; [unrolled: 1-line block ×3, first 2 shown]
	scratch_store_b128 off, v[5:8], off offset:320
	s_waitcnt vmcnt(0)
	ds_store_b128 v186, v[1:4]
.LBB111_261:
	s_or_b32 exec_lo, exec_lo, s2
	s_waitcnt lgkmcnt(0)
	s_waitcnt_vscnt null, 0x0
	s_barrier
	buffer_gl0_inv
	s_clause 0x7
	scratch_load_b128 v[2:5], off, off offset:336
	scratch_load_b128 v[6:9], off, off offset:352
	;; [unrolled: 1-line block ×8, first 2 shown]
	v_mov_b32_e32 v1, 0
	s_clause 0x1
	scratch_load_b128 v[34:37], off, off offset:464
	scratch_load_b128 v[191:194], off, off offset:480
	s_mov_b32 s2, exec_lo
	ds_load_b128 v[38:41], v1 offset:1104
	ds_load_b128 v[187:190], v1 offset:1120
	s_waitcnt vmcnt(9) lgkmcnt(1)
	v_mul_f64 v[195:196], v[40:41], v[4:5]
	v_mul_f64 v[4:5], v[38:39], v[4:5]
	s_waitcnt vmcnt(8) lgkmcnt(0)
	v_mul_f64 v[197:198], v[187:188], v[8:9]
	v_mul_f64 v[8:9], v[189:190], v[8:9]
	s_delay_alu instid0(VALU_DEP_4) | instskip(NEXT) | instid1(VALU_DEP_4)
	v_fma_f64 v[195:196], v[38:39], v[2:3], -v[195:196]
	v_fma_f64 v[199:200], v[40:41], v[2:3], v[4:5]
	ds_load_b128 v[2:5], v1 offset:1136
	scratch_load_b128 v[38:41], off, off offset:496
	v_fma_f64 v[197:198], v[189:190], v[6:7], v[197:198]
	v_fma_f64 v[203:204], v[187:188], v[6:7], -v[8:9]
	scratch_load_b128 v[187:190], off, off offset:512
	ds_load_b128 v[6:9], v1 offset:1152
	s_waitcnt vmcnt(9) lgkmcnt(1)
	v_mul_f64 v[201:202], v[2:3], v[12:13]
	v_mul_f64 v[12:13], v[4:5], v[12:13]
	s_waitcnt vmcnt(8) lgkmcnt(0)
	v_mul_f64 v[205:206], v[6:7], v[16:17]
	v_mul_f64 v[16:17], v[8:9], v[16:17]
	v_add_f64 v[195:196], v[195:196], 0
	v_add_f64 v[199:200], v[199:200], 0
	v_fma_f64 v[201:202], v[4:5], v[10:11], v[201:202]
	v_fma_f64 v[207:208], v[2:3], v[10:11], -v[12:13]
	ds_load_b128 v[2:5], v1 offset:1168
	scratch_load_b128 v[10:13], off, off offset:528
	v_add_f64 v[195:196], v[195:196], v[203:204]
	v_add_f64 v[197:198], v[199:200], v[197:198]
	v_fma_f64 v[203:204], v[8:9], v[14:15], v[205:206]
	v_fma_f64 v[205:206], v[6:7], v[14:15], -v[16:17]
	scratch_load_b128 v[14:17], off, off offset:544
	ds_load_b128 v[6:9], v1 offset:1184
	s_waitcnt vmcnt(9) lgkmcnt(1)
	v_mul_f64 v[199:200], v[2:3], v[20:21]
	v_mul_f64 v[20:21], v[4:5], v[20:21]
	v_add_f64 v[195:196], v[195:196], v[207:208]
	v_add_f64 v[197:198], v[197:198], v[201:202]
	s_waitcnt vmcnt(8) lgkmcnt(0)
	v_mul_f64 v[201:202], v[6:7], v[24:25]
	v_mul_f64 v[24:25], v[8:9], v[24:25]
	v_fma_f64 v[199:200], v[4:5], v[18:19], v[199:200]
	v_fma_f64 v[207:208], v[2:3], v[18:19], -v[20:21]
	ds_load_b128 v[2:5], v1 offset:1200
	scratch_load_b128 v[18:21], off, off offset:560
	v_add_f64 v[195:196], v[195:196], v[205:206]
	v_add_f64 v[197:198], v[197:198], v[203:204]
	v_fma_f64 v[201:202], v[8:9], v[22:23], v[201:202]
	v_fma_f64 v[205:206], v[6:7], v[22:23], -v[24:25]
	scratch_load_b128 v[22:25], off, off offset:576
	ds_load_b128 v[6:9], v1 offset:1216
	s_waitcnt vmcnt(9) lgkmcnt(1)
	v_mul_f64 v[203:204], v[2:3], v[28:29]
	v_mul_f64 v[28:29], v[4:5], v[28:29]
	v_add_f64 v[195:196], v[195:196], v[207:208]
	v_add_f64 v[197:198], v[197:198], v[199:200]
	s_waitcnt vmcnt(8) lgkmcnt(0)
	v_mul_f64 v[199:200], v[6:7], v[32:33]
	v_mul_f64 v[32:33], v[8:9], v[32:33]
	;; [unrolled: 18-line block ×4, first 2 shown]
	v_fma_f64 v[199:200], v[4:5], v[38:39], v[199:200]
	v_fma_f64 v[207:208], v[2:3], v[38:39], -v[40:41]
	ds_load_b128 v[2:5], v1 offset:1296
	scratch_load_b128 v[38:41], off, off offset:656
	v_add_f64 v[195:196], v[195:196], v[205:206]
	v_add_f64 v[197:198], v[197:198], v[203:204]
	v_fma_f64 v[201:202], v[8:9], v[187:188], v[201:202]
	v_fma_f64 v[205:206], v[6:7], v[187:188], -v[189:190]
	ds_load_b128 v[6:9], v1 offset:1312
	s_waitcnt vmcnt(8) lgkmcnt(1)
	v_mul_f64 v[203:204], v[2:3], v[12:13]
	v_mul_f64 v[12:13], v[4:5], v[12:13]
	scratch_load_b128 v[187:190], off, off offset:672
	v_add_f64 v[195:196], v[195:196], v[207:208]
	v_add_f64 v[197:198], v[197:198], v[199:200]
	s_waitcnt vmcnt(8) lgkmcnt(0)
	v_mul_f64 v[199:200], v[6:7], v[16:17]
	v_mul_f64 v[16:17], v[8:9], v[16:17]
	v_fma_f64 v[203:204], v[4:5], v[10:11], v[203:204]
	v_fma_f64 v[207:208], v[2:3], v[10:11], -v[12:13]
	scratch_load_b128 v[10:13], off, off offset:688
	ds_load_b128 v[2:5], v1 offset:1328
	v_add_f64 v[195:196], v[195:196], v[205:206]
	v_add_f64 v[197:198], v[197:198], v[201:202]
	v_fma_f64 v[199:200], v[8:9], v[14:15], v[199:200]
	v_fma_f64 v[205:206], v[6:7], v[14:15], -v[16:17]
	ds_load_b128 v[6:9], v1 offset:1344
	s_waitcnt vmcnt(8) lgkmcnt(1)
	v_mul_f64 v[201:202], v[2:3], v[20:21]
	v_mul_f64 v[20:21], v[4:5], v[20:21]
	scratch_load_b128 v[14:17], off, off offset:704
	v_add_f64 v[195:196], v[195:196], v[207:208]
	v_add_f64 v[197:198], v[197:198], v[203:204]
	s_waitcnt vmcnt(8) lgkmcnt(0)
	v_mul_f64 v[203:204], v[6:7], v[24:25]
	v_mul_f64 v[24:25], v[8:9], v[24:25]
	v_fma_f64 v[201:202], v[4:5], v[18:19], v[201:202]
	v_fma_f64 v[207:208], v[2:3], v[18:19], -v[20:21]
	scratch_load_b128 v[18:21], off, off offset:720
	ds_load_b128 v[2:5], v1 offset:1360
	;; [unrolled: 18-line block ×3, first 2 shown]
	v_add_f64 v[195:196], v[195:196], v[205:206]
	v_add_f64 v[197:198], v[197:198], v[203:204]
	v_fma_f64 v[201:202], v[8:9], v[30:31], v[201:202]
	v_fma_f64 v[30:31], v[6:7], v[30:31], -v[32:33]
	ds_load_b128 v[6:9], v1 offset:1408
	s_waitcnt vmcnt(8) lgkmcnt(1)
	v_mul_f64 v[203:204], v[2:3], v[36:37]
	v_mul_f64 v[36:37], v[4:5], v[36:37]
	v_add_f64 v[32:33], v[195:196], v[207:208]
	v_add_f64 v[195:196], v[197:198], v[199:200]
	s_waitcnt vmcnt(7) lgkmcnt(0)
	v_mul_f64 v[197:198], v[6:7], v[193:194]
	v_mul_f64 v[193:194], v[8:9], v[193:194]
	v_fma_f64 v[199:200], v[4:5], v[34:35], v[203:204]
	v_fma_f64 v[34:35], v[2:3], v[34:35], -v[36:37]
	ds_load_b128 v[2:5], v1 offset:1424
	v_add_f64 v[30:31], v[32:33], v[30:31]
	v_add_f64 v[32:33], v[195:196], v[201:202]
	v_fma_f64 v[195:196], v[8:9], v[191:192], v[197:198]
	v_fma_f64 v[191:192], v[6:7], v[191:192], -v[193:194]
	ds_load_b128 v[6:9], v1 offset:1440
	s_waitcnt vmcnt(5) lgkmcnt(0)
	v_mul_f64 v[197:198], v[6:7], v[189:190]
	v_mul_f64 v[189:190], v[8:9], v[189:190]
	v_add_f64 v[34:35], v[30:31], v[34:35]
	v_add_f64 v[193:194], v[32:33], v[199:200]
	scratch_load_b128 v[30:33], off, off offset:320
	v_mul_f64 v[36:37], v[2:3], v[40:41]
	v_mul_f64 v[40:41], v[4:5], v[40:41]
	v_add_f64 v[34:35], v[34:35], v[191:192]
	s_delay_alu instid0(VALU_DEP_3) | instskip(NEXT) | instid1(VALU_DEP_3)
	v_fma_f64 v[36:37], v[4:5], v[38:39], v[36:37]
	v_fma_f64 v[38:39], v[2:3], v[38:39], -v[40:41]
	v_add_f64 v[40:41], v[193:194], v[195:196]
	ds_load_b128 v[2:5], v1 offset:1456
	v_fma_f64 v[193:194], v[8:9], v[187:188], v[197:198]
	v_fma_f64 v[187:188], v[6:7], v[187:188], -v[189:190]
	ds_load_b128 v[6:9], v1 offset:1472
	s_waitcnt vmcnt(5) lgkmcnt(1)
	v_mul_f64 v[191:192], v[2:3], v[12:13]
	v_mul_f64 v[12:13], v[4:5], v[12:13]
	v_add_f64 v[34:35], v[34:35], v[38:39]
	v_add_f64 v[36:37], v[40:41], v[36:37]
	s_waitcnt vmcnt(4) lgkmcnt(0)
	v_mul_f64 v[38:39], v[6:7], v[16:17]
	v_mul_f64 v[16:17], v[8:9], v[16:17]
	v_fma_f64 v[40:41], v[4:5], v[10:11], v[191:192]
	v_fma_f64 v[10:11], v[2:3], v[10:11], -v[12:13]
	ds_load_b128 v[2:5], v1 offset:1488
	v_add_f64 v[12:13], v[34:35], v[187:188]
	v_add_f64 v[34:35], v[36:37], v[193:194]
	v_fma_f64 v[38:39], v[8:9], v[14:15], v[38:39]
	v_fma_f64 v[14:15], v[6:7], v[14:15], -v[16:17]
	ds_load_b128 v[6:9], v1 offset:1504
	s_waitcnt vmcnt(3) lgkmcnt(1)
	v_mul_f64 v[36:37], v[2:3], v[20:21]
	v_mul_f64 v[20:21], v[4:5], v[20:21]
	s_waitcnt vmcnt(2) lgkmcnt(0)
	v_mul_f64 v[16:17], v[6:7], v[24:25]
	v_mul_f64 v[24:25], v[8:9], v[24:25]
	v_add_f64 v[10:11], v[12:13], v[10:11]
	v_add_f64 v[12:13], v[34:35], v[40:41]
	v_fma_f64 v[34:35], v[4:5], v[18:19], v[36:37]
	v_fma_f64 v[18:19], v[2:3], v[18:19], -v[20:21]
	ds_load_b128 v[2:5], v1 offset:1520
	v_fma_f64 v[8:9], v[8:9], v[22:23], v[16:17]
	v_fma_f64 v[6:7], v[6:7], v[22:23], -v[24:25]
	s_waitcnt vmcnt(1) lgkmcnt(0)
	v_mul_f64 v[20:21], v[4:5], v[28:29]
	v_add_f64 v[10:11], v[10:11], v[14:15]
	v_add_f64 v[12:13], v[12:13], v[38:39]
	v_mul_f64 v[14:15], v[2:3], v[28:29]
	s_delay_alu instid0(VALU_DEP_4) | instskip(NEXT) | instid1(VALU_DEP_4)
	v_fma_f64 v[2:3], v[2:3], v[26:27], -v[20:21]
	v_add_f64 v[10:11], v[10:11], v[18:19]
	s_delay_alu instid0(VALU_DEP_4) | instskip(NEXT) | instid1(VALU_DEP_4)
	v_add_f64 v[12:13], v[12:13], v[34:35]
	v_fma_f64 v[4:5], v[4:5], v[26:27], v[14:15]
	s_delay_alu instid0(VALU_DEP_3) | instskip(NEXT) | instid1(VALU_DEP_3)
	v_add_f64 v[6:7], v[10:11], v[6:7]
	v_add_f64 v[8:9], v[12:13], v[8:9]
	s_delay_alu instid0(VALU_DEP_2) | instskip(NEXT) | instid1(VALU_DEP_2)
	v_add_f64 v[2:3], v[6:7], v[2:3]
	v_add_f64 v[4:5], v[8:9], v[4:5]
	s_waitcnt vmcnt(0)
	s_delay_alu instid0(VALU_DEP_2) | instskip(NEXT) | instid1(VALU_DEP_2)
	v_add_f64 v[2:3], v[30:31], -v[2:3]
	v_add_f64 v[4:5], v[32:33], -v[4:5]
	scratch_store_b128 off, v[2:5], off offset:320
	v_cmpx_lt_u32_e32 19, v138
	s_cbranch_execz .LBB111_263
; %bb.262:
	scratch_load_b128 v[5:8], v167, off
	v_mov_b32_e32 v2, v1
	v_mov_b32_e32 v3, v1
	v_mov_b32_e32 v4, v1
	scratch_store_b128 off, v[1:4], off offset:304
	s_waitcnt vmcnt(0)
	ds_store_b128 v186, v[5:8]
.LBB111_263:
	s_or_b32 exec_lo, exec_lo, s2
	s_waitcnt lgkmcnt(0)
	s_waitcnt_vscnt null, 0x0
	s_barrier
	buffer_gl0_inv
	s_clause 0x7
	scratch_load_b128 v[2:5], off, off offset:320
	scratch_load_b128 v[6:9], off, off offset:336
	;; [unrolled: 1-line block ×8, first 2 shown]
	ds_load_b128 v[38:41], v1 offset:1088
	ds_load_b128 v[187:190], v1 offset:1104
	s_clause 0x1
	scratch_load_b128 v[34:37], off, off offset:448
	scratch_load_b128 v[191:194], off, off offset:464
	s_mov_b32 s2, exec_lo
	s_waitcnt vmcnt(9) lgkmcnt(1)
	v_mul_f64 v[195:196], v[40:41], v[4:5]
	v_mul_f64 v[4:5], v[38:39], v[4:5]
	s_waitcnt vmcnt(8) lgkmcnt(0)
	v_mul_f64 v[197:198], v[187:188], v[8:9]
	v_mul_f64 v[8:9], v[189:190], v[8:9]
	s_delay_alu instid0(VALU_DEP_4) | instskip(NEXT) | instid1(VALU_DEP_4)
	v_fma_f64 v[195:196], v[38:39], v[2:3], -v[195:196]
	v_fma_f64 v[199:200], v[40:41], v[2:3], v[4:5]
	ds_load_b128 v[2:5], v1 offset:1120
	scratch_load_b128 v[38:41], off, off offset:480
	v_fma_f64 v[197:198], v[189:190], v[6:7], v[197:198]
	v_fma_f64 v[203:204], v[187:188], v[6:7], -v[8:9]
	scratch_load_b128 v[187:190], off, off offset:496
	ds_load_b128 v[6:9], v1 offset:1136
	s_waitcnt vmcnt(9) lgkmcnt(1)
	v_mul_f64 v[201:202], v[2:3], v[12:13]
	v_mul_f64 v[12:13], v[4:5], v[12:13]
	s_waitcnt vmcnt(8) lgkmcnt(0)
	v_mul_f64 v[205:206], v[6:7], v[16:17]
	v_mul_f64 v[16:17], v[8:9], v[16:17]
	v_add_f64 v[195:196], v[195:196], 0
	v_add_f64 v[199:200], v[199:200], 0
	v_fma_f64 v[201:202], v[4:5], v[10:11], v[201:202]
	v_fma_f64 v[207:208], v[2:3], v[10:11], -v[12:13]
	ds_load_b128 v[2:5], v1 offset:1152
	scratch_load_b128 v[10:13], off, off offset:512
	v_add_f64 v[195:196], v[195:196], v[203:204]
	v_add_f64 v[197:198], v[199:200], v[197:198]
	v_fma_f64 v[203:204], v[8:9], v[14:15], v[205:206]
	v_fma_f64 v[205:206], v[6:7], v[14:15], -v[16:17]
	scratch_load_b128 v[14:17], off, off offset:528
	ds_load_b128 v[6:9], v1 offset:1168
	s_waitcnt vmcnt(9) lgkmcnt(1)
	v_mul_f64 v[199:200], v[2:3], v[20:21]
	v_mul_f64 v[20:21], v[4:5], v[20:21]
	v_add_f64 v[195:196], v[195:196], v[207:208]
	v_add_f64 v[197:198], v[197:198], v[201:202]
	s_waitcnt vmcnt(8) lgkmcnt(0)
	v_mul_f64 v[201:202], v[6:7], v[24:25]
	v_mul_f64 v[24:25], v[8:9], v[24:25]
	v_fma_f64 v[199:200], v[4:5], v[18:19], v[199:200]
	v_fma_f64 v[207:208], v[2:3], v[18:19], -v[20:21]
	ds_load_b128 v[2:5], v1 offset:1184
	scratch_load_b128 v[18:21], off, off offset:544
	v_add_f64 v[195:196], v[195:196], v[205:206]
	v_add_f64 v[197:198], v[197:198], v[203:204]
	v_fma_f64 v[201:202], v[8:9], v[22:23], v[201:202]
	v_fma_f64 v[205:206], v[6:7], v[22:23], -v[24:25]
	scratch_load_b128 v[22:25], off, off offset:560
	ds_load_b128 v[6:9], v1 offset:1200
	s_waitcnt vmcnt(9) lgkmcnt(1)
	v_mul_f64 v[203:204], v[2:3], v[28:29]
	v_mul_f64 v[28:29], v[4:5], v[28:29]
	v_add_f64 v[195:196], v[195:196], v[207:208]
	v_add_f64 v[197:198], v[197:198], v[199:200]
	s_waitcnt vmcnt(8) lgkmcnt(0)
	v_mul_f64 v[199:200], v[6:7], v[32:33]
	v_mul_f64 v[32:33], v[8:9], v[32:33]
	;; [unrolled: 18-line block ×4, first 2 shown]
	v_fma_f64 v[199:200], v[4:5], v[38:39], v[199:200]
	v_fma_f64 v[207:208], v[2:3], v[38:39], -v[40:41]
	ds_load_b128 v[2:5], v1 offset:1280
	scratch_load_b128 v[38:41], off, off offset:640
	v_add_f64 v[195:196], v[195:196], v[205:206]
	v_add_f64 v[197:198], v[197:198], v[203:204]
	v_fma_f64 v[201:202], v[8:9], v[187:188], v[201:202]
	v_fma_f64 v[205:206], v[6:7], v[187:188], -v[189:190]
	ds_load_b128 v[6:9], v1 offset:1296
	s_waitcnt vmcnt(8) lgkmcnt(1)
	v_mul_f64 v[203:204], v[2:3], v[12:13]
	v_mul_f64 v[12:13], v[4:5], v[12:13]
	scratch_load_b128 v[187:190], off, off offset:656
	v_add_f64 v[195:196], v[195:196], v[207:208]
	v_add_f64 v[197:198], v[197:198], v[199:200]
	s_waitcnt vmcnt(8) lgkmcnt(0)
	v_mul_f64 v[199:200], v[6:7], v[16:17]
	v_mul_f64 v[16:17], v[8:9], v[16:17]
	v_fma_f64 v[203:204], v[4:5], v[10:11], v[203:204]
	v_fma_f64 v[207:208], v[2:3], v[10:11], -v[12:13]
	ds_load_b128 v[2:5], v1 offset:1312
	scratch_load_b128 v[10:13], off, off offset:672
	v_add_f64 v[195:196], v[195:196], v[205:206]
	v_add_f64 v[197:198], v[197:198], v[201:202]
	v_fma_f64 v[199:200], v[8:9], v[14:15], v[199:200]
	v_fma_f64 v[205:206], v[6:7], v[14:15], -v[16:17]
	ds_load_b128 v[6:9], v1 offset:1328
	s_waitcnt vmcnt(8) lgkmcnt(1)
	v_mul_f64 v[201:202], v[2:3], v[20:21]
	v_mul_f64 v[20:21], v[4:5], v[20:21]
	scratch_load_b128 v[14:17], off, off offset:688
	v_add_f64 v[195:196], v[195:196], v[207:208]
	v_add_f64 v[197:198], v[197:198], v[203:204]
	s_waitcnt vmcnt(8) lgkmcnt(0)
	v_mul_f64 v[203:204], v[6:7], v[24:25]
	v_mul_f64 v[24:25], v[8:9], v[24:25]
	v_fma_f64 v[201:202], v[4:5], v[18:19], v[201:202]
	v_fma_f64 v[207:208], v[2:3], v[18:19], -v[20:21]
	scratch_load_b128 v[18:21], off, off offset:704
	ds_load_b128 v[2:5], v1 offset:1344
	v_add_f64 v[195:196], v[195:196], v[205:206]
	v_add_f64 v[197:198], v[197:198], v[199:200]
	v_fma_f64 v[203:204], v[8:9], v[22:23], v[203:204]
	v_fma_f64 v[205:206], v[6:7], v[22:23], -v[24:25]
	ds_load_b128 v[6:9], v1 offset:1360
	s_waitcnt vmcnt(8) lgkmcnt(1)
	v_mul_f64 v[199:200], v[2:3], v[28:29]
	v_mul_f64 v[28:29], v[4:5], v[28:29]
	scratch_load_b128 v[22:25], off, off offset:720
	v_add_f64 v[195:196], v[195:196], v[207:208]
	v_add_f64 v[197:198], v[197:198], v[201:202]
	s_waitcnt vmcnt(8) lgkmcnt(0)
	v_mul_f64 v[201:202], v[6:7], v[32:33]
	v_mul_f64 v[32:33], v[8:9], v[32:33]
	v_fma_f64 v[199:200], v[4:5], v[26:27], v[199:200]
	v_fma_f64 v[207:208], v[2:3], v[26:27], -v[28:29]
	scratch_load_b128 v[26:29], off, off offset:736
	ds_load_b128 v[2:5], v1 offset:1376
	v_add_f64 v[195:196], v[195:196], v[205:206]
	v_add_f64 v[197:198], v[197:198], v[203:204]
	v_fma_f64 v[201:202], v[8:9], v[30:31], v[201:202]
	v_fma_f64 v[205:206], v[6:7], v[30:31], -v[32:33]
	ds_load_b128 v[6:9], v1 offset:1392
	s_waitcnt vmcnt(8) lgkmcnt(1)
	v_mul_f64 v[203:204], v[2:3], v[36:37]
	v_mul_f64 v[36:37], v[4:5], v[36:37]
	scratch_load_b128 v[30:33], off, off offset:752
	v_add_f64 v[195:196], v[195:196], v[207:208]
	v_add_f64 v[197:198], v[197:198], v[199:200]
	s_waitcnt vmcnt(8) lgkmcnt(0)
	v_mul_f64 v[199:200], v[6:7], v[193:194]
	v_mul_f64 v[193:194], v[8:9], v[193:194]
	v_fma_f64 v[203:204], v[4:5], v[34:35], v[203:204]
	v_fma_f64 v[34:35], v[2:3], v[34:35], -v[36:37]
	ds_load_b128 v[2:5], v1 offset:1408
	v_add_f64 v[36:37], v[195:196], v[205:206]
	v_add_f64 v[195:196], v[197:198], v[201:202]
	v_fma_f64 v[199:200], v[8:9], v[191:192], v[199:200]
	v_fma_f64 v[191:192], v[6:7], v[191:192], -v[193:194]
	ds_load_b128 v[6:9], v1 offset:1424
	s_waitcnt vmcnt(7) lgkmcnt(1)
	v_mul_f64 v[197:198], v[2:3], v[40:41]
	v_mul_f64 v[40:41], v[4:5], v[40:41]
	v_add_f64 v[34:35], v[36:37], v[34:35]
	v_add_f64 v[36:37], v[195:196], v[203:204]
	s_delay_alu instid0(VALU_DEP_4) | instskip(NEXT) | instid1(VALU_DEP_4)
	v_fma_f64 v[195:196], v[4:5], v[38:39], v[197:198]
	v_fma_f64 v[38:39], v[2:3], v[38:39], -v[40:41]
	ds_load_b128 v[2:5], v1 offset:1440
	v_add_f64 v[40:41], v[34:35], v[191:192]
	v_add_f64 v[191:192], v[36:37], v[199:200]
	scratch_load_b128 v[34:37], off, off offset:304
	s_waitcnt vmcnt(7) lgkmcnt(1)
	v_mul_f64 v[193:194], v[6:7], v[189:190]
	v_mul_f64 v[189:190], v[8:9], v[189:190]
	v_add_f64 v[38:39], v[40:41], v[38:39]
	v_add_f64 v[40:41], v[191:192], v[195:196]
	s_delay_alu instid0(VALU_DEP_4) | instskip(NEXT) | instid1(VALU_DEP_4)
	v_fma_f64 v[193:194], v[8:9], v[187:188], v[193:194]
	v_fma_f64 v[187:188], v[6:7], v[187:188], -v[189:190]
	ds_load_b128 v[6:9], v1 offset:1456
	s_waitcnt vmcnt(6) lgkmcnt(1)
	v_mul_f64 v[197:198], v[2:3], v[12:13]
	v_mul_f64 v[12:13], v[4:5], v[12:13]
	s_waitcnt vmcnt(5) lgkmcnt(0)
	v_mul_f64 v[189:190], v[6:7], v[16:17]
	v_mul_f64 v[16:17], v[8:9], v[16:17]
	s_delay_alu instid0(VALU_DEP_4) | instskip(NEXT) | instid1(VALU_DEP_4)
	v_fma_f64 v[191:192], v[4:5], v[10:11], v[197:198]
	v_fma_f64 v[10:11], v[2:3], v[10:11], -v[12:13]
	v_add_f64 v[12:13], v[38:39], v[187:188]
	v_add_f64 v[38:39], v[40:41], v[193:194]
	ds_load_b128 v[2:5], v1 offset:1472
	v_fma_f64 v[187:188], v[8:9], v[14:15], v[189:190]
	v_fma_f64 v[14:15], v[6:7], v[14:15], -v[16:17]
	ds_load_b128 v[6:9], v1 offset:1488
	s_waitcnt vmcnt(4) lgkmcnt(1)
	v_mul_f64 v[40:41], v[2:3], v[20:21]
	v_mul_f64 v[20:21], v[4:5], v[20:21]
	v_add_f64 v[10:11], v[12:13], v[10:11]
	v_add_f64 v[12:13], v[38:39], v[191:192]
	s_waitcnt vmcnt(3) lgkmcnt(0)
	v_mul_f64 v[16:17], v[6:7], v[24:25]
	v_mul_f64 v[24:25], v[8:9], v[24:25]
	v_fma_f64 v[38:39], v[4:5], v[18:19], v[40:41]
	v_fma_f64 v[18:19], v[2:3], v[18:19], -v[20:21]
	ds_load_b128 v[2:5], v1 offset:1504
	v_add_f64 v[10:11], v[10:11], v[14:15]
	v_add_f64 v[12:13], v[12:13], v[187:188]
	v_fma_f64 v[16:17], v[8:9], v[22:23], v[16:17]
	v_fma_f64 v[22:23], v[6:7], v[22:23], -v[24:25]
	ds_load_b128 v[6:9], v1 offset:1520
	s_waitcnt vmcnt(2) lgkmcnt(1)
	v_mul_f64 v[14:15], v[2:3], v[28:29]
	v_mul_f64 v[20:21], v[4:5], v[28:29]
	s_waitcnt vmcnt(1) lgkmcnt(0)
	v_mul_f64 v[24:25], v[8:9], v[32:33]
	v_add_f64 v[10:11], v[10:11], v[18:19]
	v_add_f64 v[12:13], v[12:13], v[38:39]
	v_mul_f64 v[18:19], v[6:7], v[32:33]
	v_fma_f64 v[4:5], v[4:5], v[26:27], v[14:15]
	v_fma_f64 v[1:2], v[2:3], v[26:27], -v[20:21]
	v_fma_f64 v[6:7], v[6:7], v[30:31], -v[24:25]
	v_add_f64 v[10:11], v[10:11], v[22:23]
	v_add_f64 v[12:13], v[12:13], v[16:17]
	v_fma_f64 v[8:9], v[8:9], v[30:31], v[18:19]
	s_delay_alu instid0(VALU_DEP_3) | instskip(NEXT) | instid1(VALU_DEP_3)
	v_add_f64 v[1:2], v[10:11], v[1:2]
	v_add_f64 v[3:4], v[12:13], v[4:5]
	s_delay_alu instid0(VALU_DEP_2) | instskip(NEXT) | instid1(VALU_DEP_2)
	v_add_f64 v[1:2], v[1:2], v[6:7]
	v_add_f64 v[3:4], v[3:4], v[8:9]
	s_waitcnt vmcnt(0)
	s_delay_alu instid0(VALU_DEP_2) | instskip(NEXT) | instid1(VALU_DEP_2)
	v_add_f64 v[1:2], v[34:35], -v[1:2]
	v_add_f64 v[3:4], v[36:37], -v[3:4]
	scratch_store_b128 off, v[1:4], off offset:304
	v_cmpx_lt_u32_e32 18, v138
	s_cbranch_execz .LBB111_265
; %bb.264:
	scratch_load_b128 v[1:4], v168, off
	v_mov_b32_e32 v5, 0
	s_delay_alu instid0(VALU_DEP_1)
	v_mov_b32_e32 v6, v5
	v_mov_b32_e32 v7, v5
	;; [unrolled: 1-line block ×3, first 2 shown]
	scratch_store_b128 off, v[5:8], off offset:288
	s_waitcnt vmcnt(0)
	ds_store_b128 v186, v[1:4]
.LBB111_265:
	s_or_b32 exec_lo, exec_lo, s2
	s_waitcnt lgkmcnt(0)
	s_waitcnt_vscnt null, 0x0
	s_barrier
	buffer_gl0_inv
	s_clause 0x7
	scratch_load_b128 v[2:5], off, off offset:304
	scratch_load_b128 v[6:9], off, off offset:320
	;; [unrolled: 1-line block ×8, first 2 shown]
	v_mov_b32_e32 v1, 0
	s_clause 0x1
	scratch_load_b128 v[34:37], off, off offset:432
	scratch_load_b128 v[191:194], off, off offset:448
	s_mov_b32 s2, exec_lo
	ds_load_b128 v[38:41], v1 offset:1072
	ds_load_b128 v[187:190], v1 offset:1088
	s_waitcnt vmcnt(9) lgkmcnt(1)
	v_mul_f64 v[195:196], v[40:41], v[4:5]
	v_mul_f64 v[4:5], v[38:39], v[4:5]
	s_waitcnt vmcnt(8) lgkmcnt(0)
	v_mul_f64 v[197:198], v[187:188], v[8:9]
	v_mul_f64 v[8:9], v[189:190], v[8:9]
	s_delay_alu instid0(VALU_DEP_4) | instskip(NEXT) | instid1(VALU_DEP_4)
	v_fma_f64 v[195:196], v[38:39], v[2:3], -v[195:196]
	v_fma_f64 v[199:200], v[40:41], v[2:3], v[4:5]
	ds_load_b128 v[2:5], v1 offset:1104
	scratch_load_b128 v[38:41], off, off offset:464
	v_fma_f64 v[197:198], v[189:190], v[6:7], v[197:198]
	v_fma_f64 v[203:204], v[187:188], v[6:7], -v[8:9]
	scratch_load_b128 v[187:190], off, off offset:480
	ds_load_b128 v[6:9], v1 offset:1120
	s_waitcnt vmcnt(9) lgkmcnt(1)
	v_mul_f64 v[201:202], v[2:3], v[12:13]
	v_mul_f64 v[12:13], v[4:5], v[12:13]
	s_waitcnt vmcnt(8) lgkmcnt(0)
	v_mul_f64 v[205:206], v[6:7], v[16:17]
	v_mul_f64 v[16:17], v[8:9], v[16:17]
	v_add_f64 v[195:196], v[195:196], 0
	v_add_f64 v[199:200], v[199:200], 0
	v_fma_f64 v[201:202], v[4:5], v[10:11], v[201:202]
	v_fma_f64 v[207:208], v[2:3], v[10:11], -v[12:13]
	ds_load_b128 v[2:5], v1 offset:1136
	scratch_load_b128 v[10:13], off, off offset:496
	v_add_f64 v[195:196], v[195:196], v[203:204]
	v_add_f64 v[197:198], v[199:200], v[197:198]
	v_fma_f64 v[203:204], v[8:9], v[14:15], v[205:206]
	v_fma_f64 v[205:206], v[6:7], v[14:15], -v[16:17]
	scratch_load_b128 v[14:17], off, off offset:512
	ds_load_b128 v[6:9], v1 offset:1152
	s_waitcnt vmcnt(9) lgkmcnt(1)
	v_mul_f64 v[199:200], v[2:3], v[20:21]
	v_mul_f64 v[20:21], v[4:5], v[20:21]
	v_add_f64 v[195:196], v[195:196], v[207:208]
	v_add_f64 v[197:198], v[197:198], v[201:202]
	s_waitcnt vmcnt(8) lgkmcnt(0)
	v_mul_f64 v[201:202], v[6:7], v[24:25]
	v_mul_f64 v[24:25], v[8:9], v[24:25]
	v_fma_f64 v[199:200], v[4:5], v[18:19], v[199:200]
	v_fma_f64 v[207:208], v[2:3], v[18:19], -v[20:21]
	ds_load_b128 v[2:5], v1 offset:1168
	scratch_load_b128 v[18:21], off, off offset:528
	v_add_f64 v[195:196], v[195:196], v[205:206]
	v_add_f64 v[197:198], v[197:198], v[203:204]
	v_fma_f64 v[201:202], v[8:9], v[22:23], v[201:202]
	v_fma_f64 v[205:206], v[6:7], v[22:23], -v[24:25]
	scratch_load_b128 v[22:25], off, off offset:544
	ds_load_b128 v[6:9], v1 offset:1184
	s_waitcnt vmcnt(9) lgkmcnt(1)
	v_mul_f64 v[203:204], v[2:3], v[28:29]
	v_mul_f64 v[28:29], v[4:5], v[28:29]
	v_add_f64 v[195:196], v[195:196], v[207:208]
	v_add_f64 v[197:198], v[197:198], v[199:200]
	s_waitcnt vmcnt(8) lgkmcnt(0)
	v_mul_f64 v[199:200], v[6:7], v[32:33]
	v_mul_f64 v[32:33], v[8:9], v[32:33]
	;; [unrolled: 18-line block ×5, first 2 shown]
	v_fma_f64 v[203:204], v[4:5], v[10:11], v[203:204]
	v_fma_f64 v[207:208], v[2:3], v[10:11], -v[12:13]
	ds_load_b128 v[2:5], v1 offset:1296
	scratch_load_b128 v[10:13], off, off offset:656
	v_add_f64 v[195:196], v[195:196], v[205:206]
	v_add_f64 v[197:198], v[197:198], v[201:202]
	v_fma_f64 v[199:200], v[8:9], v[14:15], v[199:200]
	v_fma_f64 v[205:206], v[6:7], v[14:15], -v[16:17]
	ds_load_b128 v[6:9], v1 offset:1312
	s_waitcnt vmcnt(8) lgkmcnt(1)
	v_mul_f64 v[201:202], v[2:3], v[20:21]
	v_mul_f64 v[20:21], v[4:5], v[20:21]
	scratch_load_b128 v[14:17], off, off offset:672
	v_add_f64 v[195:196], v[195:196], v[207:208]
	v_add_f64 v[197:198], v[197:198], v[203:204]
	s_waitcnt vmcnt(8) lgkmcnt(0)
	v_mul_f64 v[203:204], v[6:7], v[24:25]
	v_mul_f64 v[24:25], v[8:9], v[24:25]
	v_fma_f64 v[201:202], v[4:5], v[18:19], v[201:202]
	v_fma_f64 v[207:208], v[2:3], v[18:19], -v[20:21]
	scratch_load_b128 v[18:21], off, off offset:688
	ds_load_b128 v[2:5], v1 offset:1328
	v_add_f64 v[195:196], v[195:196], v[205:206]
	v_add_f64 v[197:198], v[197:198], v[199:200]
	v_fma_f64 v[203:204], v[8:9], v[22:23], v[203:204]
	v_fma_f64 v[205:206], v[6:7], v[22:23], -v[24:25]
	ds_load_b128 v[6:9], v1 offset:1344
	s_waitcnt vmcnt(8) lgkmcnt(1)
	v_mul_f64 v[199:200], v[2:3], v[28:29]
	v_mul_f64 v[28:29], v[4:5], v[28:29]
	scratch_load_b128 v[22:25], off, off offset:704
	v_add_f64 v[195:196], v[195:196], v[207:208]
	v_add_f64 v[197:198], v[197:198], v[201:202]
	s_waitcnt vmcnt(8) lgkmcnt(0)
	v_mul_f64 v[201:202], v[6:7], v[32:33]
	v_mul_f64 v[32:33], v[8:9], v[32:33]
	v_fma_f64 v[199:200], v[4:5], v[26:27], v[199:200]
	v_fma_f64 v[207:208], v[2:3], v[26:27], -v[28:29]
	scratch_load_b128 v[26:29], off, off offset:720
	ds_load_b128 v[2:5], v1 offset:1360
	;; [unrolled: 18-line block ×3, first 2 shown]
	v_add_f64 v[195:196], v[195:196], v[205:206]
	v_add_f64 v[197:198], v[197:198], v[201:202]
	v_fma_f64 v[199:200], v[8:9], v[191:192], v[199:200]
	v_fma_f64 v[191:192], v[6:7], v[191:192], -v[193:194]
	ds_load_b128 v[6:9], v1 offset:1408
	s_waitcnt vmcnt(8) lgkmcnt(1)
	v_mul_f64 v[201:202], v[2:3], v[40:41]
	v_mul_f64 v[40:41], v[4:5], v[40:41]
	v_add_f64 v[193:194], v[195:196], v[207:208]
	v_add_f64 v[195:196], v[197:198], v[203:204]
	s_waitcnt vmcnt(7) lgkmcnt(0)
	v_mul_f64 v[197:198], v[6:7], v[189:190]
	v_mul_f64 v[189:190], v[8:9], v[189:190]
	v_fma_f64 v[201:202], v[4:5], v[38:39], v[201:202]
	v_fma_f64 v[38:39], v[2:3], v[38:39], -v[40:41]
	ds_load_b128 v[2:5], v1 offset:1424
	v_add_f64 v[40:41], v[193:194], v[191:192]
	v_add_f64 v[191:192], v[195:196], v[199:200]
	v_fma_f64 v[195:196], v[8:9], v[187:188], v[197:198]
	v_fma_f64 v[187:188], v[6:7], v[187:188], -v[189:190]
	ds_load_b128 v[6:9], v1 offset:1440
	s_waitcnt vmcnt(5) lgkmcnt(0)
	v_mul_f64 v[197:198], v[6:7], v[16:17]
	v_mul_f64 v[16:17], v[8:9], v[16:17]
	v_add_f64 v[189:190], v[40:41], v[38:39]
	v_add_f64 v[191:192], v[191:192], v[201:202]
	scratch_load_b128 v[38:41], off, off offset:288
	v_mul_f64 v[193:194], v[2:3], v[12:13]
	v_mul_f64 v[12:13], v[4:5], v[12:13]
	s_delay_alu instid0(VALU_DEP_2) | instskip(NEXT) | instid1(VALU_DEP_2)
	v_fma_f64 v[193:194], v[4:5], v[10:11], v[193:194]
	v_fma_f64 v[10:11], v[2:3], v[10:11], -v[12:13]
	v_add_f64 v[12:13], v[189:190], v[187:188]
	v_add_f64 v[187:188], v[191:192], v[195:196]
	ds_load_b128 v[2:5], v1 offset:1456
	v_fma_f64 v[191:192], v[8:9], v[14:15], v[197:198]
	v_fma_f64 v[14:15], v[6:7], v[14:15], -v[16:17]
	ds_load_b128 v[6:9], v1 offset:1472
	s_waitcnt vmcnt(5) lgkmcnt(1)
	v_mul_f64 v[189:190], v[2:3], v[20:21]
	v_mul_f64 v[20:21], v[4:5], v[20:21]
	s_waitcnt vmcnt(4) lgkmcnt(0)
	v_mul_f64 v[16:17], v[6:7], v[24:25]
	v_mul_f64 v[24:25], v[8:9], v[24:25]
	v_add_f64 v[10:11], v[12:13], v[10:11]
	v_add_f64 v[12:13], v[187:188], v[193:194]
	v_fma_f64 v[187:188], v[4:5], v[18:19], v[189:190]
	v_fma_f64 v[18:19], v[2:3], v[18:19], -v[20:21]
	ds_load_b128 v[2:5], v1 offset:1488
	v_fma_f64 v[16:17], v[8:9], v[22:23], v[16:17]
	v_fma_f64 v[22:23], v[6:7], v[22:23], -v[24:25]
	ds_load_b128 v[6:9], v1 offset:1504
	v_add_f64 v[10:11], v[10:11], v[14:15]
	v_add_f64 v[12:13], v[12:13], v[191:192]
	s_waitcnt vmcnt(3) lgkmcnt(1)
	v_mul_f64 v[14:15], v[2:3], v[28:29]
	v_mul_f64 v[20:21], v[4:5], v[28:29]
	s_waitcnt vmcnt(2) lgkmcnt(0)
	v_mul_f64 v[24:25], v[8:9], v[32:33]
	v_add_f64 v[10:11], v[10:11], v[18:19]
	v_add_f64 v[12:13], v[12:13], v[187:188]
	v_mul_f64 v[18:19], v[6:7], v[32:33]
	v_fma_f64 v[14:15], v[4:5], v[26:27], v[14:15]
	v_fma_f64 v[20:21], v[2:3], v[26:27], -v[20:21]
	ds_load_b128 v[2:5], v1 offset:1520
	v_fma_f64 v[6:7], v[6:7], v[30:31], -v[24:25]
	v_add_f64 v[10:11], v[10:11], v[22:23]
	v_add_f64 v[12:13], v[12:13], v[16:17]
	s_waitcnt vmcnt(1) lgkmcnt(0)
	v_mul_f64 v[16:17], v[2:3], v[36:37]
	v_mul_f64 v[22:23], v[4:5], v[36:37]
	v_fma_f64 v[8:9], v[8:9], v[30:31], v[18:19]
	v_add_f64 v[10:11], v[10:11], v[20:21]
	v_add_f64 v[12:13], v[12:13], v[14:15]
	v_fma_f64 v[4:5], v[4:5], v[34:35], v[16:17]
	v_fma_f64 v[2:3], v[2:3], v[34:35], -v[22:23]
	s_delay_alu instid0(VALU_DEP_4) | instskip(NEXT) | instid1(VALU_DEP_4)
	v_add_f64 v[6:7], v[10:11], v[6:7]
	v_add_f64 v[8:9], v[12:13], v[8:9]
	s_delay_alu instid0(VALU_DEP_2) | instskip(NEXT) | instid1(VALU_DEP_2)
	v_add_f64 v[2:3], v[6:7], v[2:3]
	v_add_f64 v[4:5], v[8:9], v[4:5]
	s_waitcnt vmcnt(0)
	s_delay_alu instid0(VALU_DEP_2) | instskip(NEXT) | instid1(VALU_DEP_2)
	v_add_f64 v[2:3], v[38:39], -v[2:3]
	v_add_f64 v[4:5], v[40:41], -v[4:5]
	scratch_store_b128 off, v[2:5], off offset:288
	v_cmpx_lt_u32_e32 17, v138
	s_cbranch_execz .LBB111_267
; %bb.266:
	scratch_load_b128 v[5:8], v169, off
	v_mov_b32_e32 v2, v1
	v_mov_b32_e32 v3, v1
	;; [unrolled: 1-line block ×3, first 2 shown]
	scratch_store_b128 off, v[1:4], off offset:272
	s_waitcnt vmcnt(0)
	ds_store_b128 v186, v[5:8]
.LBB111_267:
	s_or_b32 exec_lo, exec_lo, s2
	s_waitcnt lgkmcnt(0)
	s_waitcnt_vscnt null, 0x0
	s_barrier
	buffer_gl0_inv
	s_clause 0x7
	scratch_load_b128 v[2:5], off, off offset:288
	scratch_load_b128 v[6:9], off, off offset:304
	;; [unrolled: 1-line block ×8, first 2 shown]
	ds_load_b128 v[38:41], v1 offset:1056
	ds_load_b128 v[187:190], v1 offset:1072
	s_clause 0x1
	scratch_load_b128 v[34:37], off, off offset:416
	scratch_load_b128 v[191:194], off, off offset:432
	s_mov_b32 s2, exec_lo
	s_waitcnt vmcnt(9) lgkmcnt(1)
	v_mul_f64 v[195:196], v[40:41], v[4:5]
	v_mul_f64 v[4:5], v[38:39], v[4:5]
	s_waitcnt vmcnt(8) lgkmcnt(0)
	v_mul_f64 v[197:198], v[187:188], v[8:9]
	v_mul_f64 v[8:9], v[189:190], v[8:9]
	s_delay_alu instid0(VALU_DEP_4) | instskip(NEXT) | instid1(VALU_DEP_4)
	v_fma_f64 v[195:196], v[38:39], v[2:3], -v[195:196]
	v_fma_f64 v[199:200], v[40:41], v[2:3], v[4:5]
	ds_load_b128 v[2:5], v1 offset:1088
	scratch_load_b128 v[38:41], off, off offset:448
	v_fma_f64 v[197:198], v[189:190], v[6:7], v[197:198]
	v_fma_f64 v[203:204], v[187:188], v[6:7], -v[8:9]
	scratch_load_b128 v[187:190], off, off offset:464
	ds_load_b128 v[6:9], v1 offset:1104
	s_waitcnt vmcnt(9) lgkmcnt(1)
	v_mul_f64 v[201:202], v[2:3], v[12:13]
	v_mul_f64 v[12:13], v[4:5], v[12:13]
	s_waitcnt vmcnt(8) lgkmcnt(0)
	v_mul_f64 v[205:206], v[6:7], v[16:17]
	v_mul_f64 v[16:17], v[8:9], v[16:17]
	v_add_f64 v[195:196], v[195:196], 0
	v_add_f64 v[199:200], v[199:200], 0
	v_fma_f64 v[201:202], v[4:5], v[10:11], v[201:202]
	v_fma_f64 v[207:208], v[2:3], v[10:11], -v[12:13]
	scratch_load_b128 v[10:13], off, off offset:480
	ds_load_b128 v[2:5], v1 offset:1120
	v_add_f64 v[195:196], v[195:196], v[203:204]
	v_add_f64 v[197:198], v[199:200], v[197:198]
	v_fma_f64 v[203:204], v[8:9], v[14:15], v[205:206]
	v_fma_f64 v[205:206], v[6:7], v[14:15], -v[16:17]
	ds_load_b128 v[6:9], v1 offset:1136
	scratch_load_b128 v[14:17], off, off offset:496
	s_waitcnt vmcnt(9) lgkmcnt(1)
	v_mul_f64 v[199:200], v[2:3], v[20:21]
	v_mul_f64 v[20:21], v[4:5], v[20:21]
	v_add_f64 v[195:196], v[195:196], v[207:208]
	v_add_f64 v[197:198], v[197:198], v[201:202]
	s_waitcnt vmcnt(8) lgkmcnt(0)
	v_mul_f64 v[201:202], v[6:7], v[24:25]
	v_mul_f64 v[24:25], v[8:9], v[24:25]
	v_fma_f64 v[199:200], v[4:5], v[18:19], v[199:200]
	v_fma_f64 v[207:208], v[2:3], v[18:19], -v[20:21]
	ds_load_b128 v[2:5], v1 offset:1152
	scratch_load_b128 v[18:21], off, off offset:512
	v_add_f64 v[195:196], v[195:196], v[205:206]
	v_add_f64 v[197:198], v[197:198], v[203:204]
	v_fma_f64 v[201:202], v[8:9], v[22:23], v[201:202]
	v_fma_f64 v[205:206], v[6:7], v[22:23], -v[24:25]
	scratch_load_b128 v[22:25], off, off offset:528
	ds_load_b128 v[6:9], v1 offset:1168
	s_waitcnt vmcnt(9) lgkmcnt(1)
	v_mul_f64 v[203:204], v[2:3], v[28:29]
	v_mul_f64 v[28:29], v[4:5], v[28:29]
	v_add_f64 v[195:196], v[195:196], v[207:208]
	v_add_f64 v[197:198], v[197:198], v[199:200]
	s_waitcnt vmcnt(8) lgkmcnt(0)
	v_mul_f64 v[199:200], v[6:7], v[32:33]
	v_mul_f64 v[32:33], v[8:9], v[32:33]
	v_fma_f64 v[203:204], v[4:5], v[26:27], v[203:204]
	v_fma_f64 v[207:208], v[2:3], v[26:27], -v[28:29]
	ds_load_b128 v[2:5], v1 offset:1184
	scratch_load_b128 v[26:29], off, off offset:544
	v_add_f64 v[195:196], v[195:196], v[205:206]
	v_add_f64 v[197:198], v[197:198], v[201:202]
	v_fma_f64 v[199:200], v[8:9], v[30:31], v[199:200]
	v_fma_f64 v[205:206], v[6:7], v[30:31], -v[32:33]
	scratch_load_b128 v[30:33], off, off offset:560
	ds_load_b128 v[6:9], v1 offset:1200
	;; [unrolled: 18-line block ×3, first 2 shown]
	s_waitcnt vmcnt(9) lgkmcnt(1)
	v_mul_f64 v[199:200], v[2:3], v[40:41]
	v_mul_f64 v[40:41], v[4:5], v[40:41]
	v_add_f64 v[195:196], v[195:196], v[207:208]
	v_add_f64 v[197:198], v[197:198], v[201:202]
	s_waitcnt vmcnt(8) lgkmcnt(0)
	v_mul_f64 v[201:202], v[6:7], v[189:190]
	v_mul_f64 v[189:190], v[8:9], v[189:190]
	v_fma_f64 v[199:200], v[4:5], v[38:39], v[199:200]
	v_fma_f64 v[207:208], v[2:3], v[38:39], -v[40:41]
	ds_load_b128 v[2:5], v1 offset:1248
	scratch_load_b128 v[38:41], off, off offset:608
	v_add_f64 v[195:196], v[195:196], v[205:206]
	v_add_f64 v[197:198], v[197:198], v[203:204]
	v_fma_f64 v[201:202], v[8:9], v[187:188], v[201:202]
	v_fma_f64 v[205:206], v[6:7], v[187:188], -v[189:190]
	ds_load_b128 v[6:9], v1 offset:1264
	s_waitcnt vmcnt(8) lgkmcnt(1)
	v_mul_f64 v[203:204], v[2:3], v[12:13]
	v_mul_f64 v[12:13], v[4:5], v[12:13]
	scratch_load_b128 v[187:190], off, off offset:624
	v_add_f64 v[195:196], v[195:196], v[207:208]
	v_add_f64 v[197:198], v[197:198], v[199:200]
	s_waitcnt vmcnt(8) lgkmcnt(0)
	v_mul_f64 v[199:200], v[6:7], v[16:17]
	v_mul_f64 v[16:17], v[8:9], v[16:17]
	v_fma_f64 v[203:204], v[4:5], v[10:11], v[203:204]
	v_fma_f64 v[207:208], v[2:3], v[10:11], -v[12:13]
	scratch_load_b128 v[10:13], off, off offset:640
	ds_load_b128 v[2:5], v1 offset:1280
	v_add_f64 v[195:196], v[195:196], v[205:206]
	v_add_f64 v[197:198], v[197:198], v[201:202]
	v_fma_f64 v[199:200], v[8:9], v[14:15], v[199:200]
	v_fma_f64 v[205:206], v[6:7], v[14:15], -v[16:17]
	ds_load_b128 v[6:9], v1 offset:1296
	s_waitcnt vmcnt(8) lgkmcnt(1)
	v_mul_f64 v[201:202], v[2:3], v[20:21]
	v_mul_f64 v[20:21], v[4:5], v[20:21]
	scratch_load_b128 v[14:17], off, off offset:656
	v_add_f64 v[195:196], v[195:196], v[207:208]
	v_add_f64 v[197:198], v[197:198], v[203:204]
	s_waitcnt vmcnt(8) lgkmcnt(0)
	v_mul_f64 v[203:204], v[6:7], v[24:25]
	v_mul_f64 v[24:25], v[8:9], v[24:25]
	v_fma_f64 v[201:202], v[4:5], v[18:19], v[201:202]
	v_fma_f64 v[207:208], v[2:3], v[18:19], -v[20:21]
	scratch_load_b128 v[18:21], off, off offset:672
	ds_load_b128 v[2:5], v1 offset:1312
	;; [unrolled: 18-line block ×4, first 2 shown]
	v_add_f64 v[195:196], v[195:196], v[205:206]
	v_add_f64 v[197:198], v[197:198], v[201:202]
	v_fma_f64 v[199:200], v[8:9], v[191:192], v[199:200]
	v_fma_f64 v[205:206], v[6:7], v[191:192], -v[193:194]
	ds_load_b128 v[6:9], v1 offset:1392
	s_waitcnt vmcnt(8) lgkmcnt(1)
	v_mul_f64 v[201:202], v[2:3], v[40:41]
	v_mul_f64 v[40:41], v[4:5], v[40:41]
	scratch_load_b128 v[191:194], off, off offset:752
	v_add_f64 v[195:196], v[195:196], v[207:208]
	v_add_f64 v[197:198], v[197:198], v[203:204]
	v_fma_f64 v[201:202], v[4:5], v[38:39], v[201:202]
	v_fma_f64 v[38:39], v[2:3], v[38:39], -v[40:41]
	ds_load_b128 v[2:5], v1 offset:1408
	v_add_f64 v[40:41], v[195:196], v[205:206]
	v_add_f64 v[195:196], v[197:198], v[199:200]
	s_waitcnt vmcnt(7) lgkmcnt(0)
	v_mul_f64 v[197:198], v[2:3], v[12:13]
	v_mul_f64 v[12:13], v[4:5], v[12:13]
	s_delay_alu instid0(VALU_DEP_4) | instskip(NEXT) | instid1(VALU_DEP_4)
	v_add_f64 v[38:39], v[40:41], v[38:39]
	v_add_f64 v[40:41], v[195:196], v[201:202]
	s_delay_alu instid0(VALU_DEP_4) | instskip(NEXT) | instid1(VALU_DEP_4)
	v_fma_f64 v[195:196], v[4:5], v[10:11], v[197:198]
	v_fma_f64 v[197:198], v[2:3], v[10:11], -v[12:13]
	scratch_load_b128 v[10:13], off, off offset:272
	v_mul_f64 v[203:204], v[6:7], v[189:190]
	v_mul_f64 v[189:190], v[8:9], v[189:190]
	ds_load_b128 v[2:5], v1 offset:1440
	v_fma_f64 v[199:200], v[8:9], v[187:188], v[203:204]
	v_fma_f64 v[187:188], v[6:7], v[187:188], -v[189:190]
	ds_load_b128 v[6:9], v1 offset:1424
	s_waitcnt vmcnt(7) lgkmcnt(0)
	v_mul_f64 v[189:190], v[6:7], v[16:17]
	v_mul_f64 v[16:17], v[8:9], v[16:17]
	v_add_f64 v[40:41], v[40:41], v[199:200]
	v_add_f64 v[38:39], v[38:39], v[187:188]
	s_waitcnt vmcnt(6)
	v_mul_f64 v[187:188], v[2:3], v[20:21]
	v_mul_f64 v[20:21], v[4:5], v[20:21]
	v_fma_f64 v[189:190], v[8:9], v[14:15], v[189:190]
	v_fma_f64 v[14:15], v[6:7], v[14:15], -v[16:17]
	ds_load_b128 v[6:9], v1 offset:1456
	v_add_f64 v[16:17], v[38:39], v[197:198]
	v_add_f64 v[38:39], v[40:41], v[195:196]
	v_fma_f64 v[187:188], v[4:5], v[18:19], v[187:188]
	v_fma_f64 v[18:19], v[2:3], v[18:19], -v[20:21]
	ds_load_b128 v[2:5], v1 offset:1472
	s_waitcnt vmcnt(5) lgkmcnt(1)
	v_mul_f64 v[40:41], v[6:7], v[24:25]
	v_mul_f64 v[24:25], v[8:9], v[24:25]
	s_waitcnt vmcnt(4) lgkmcnt(0)
	v_mul_f64 v[20:21], v[2:3], v[28:29]
	v_mul_f64 v[28:29], v[4:5], v[28:29]
	v_add_f64 v[14:15], v[16:17], v[14:15]
	v_add_f64 v[16:17], v[38:39], v[189:190]
	v_fma_f64 v[38:39], v[8:9], v[22:23], v[40:41]
	v_fma_f64 v[22:23], v[6:7], v[22:23], -v[24:25]
	ds_load_b128 v[6:9], v1 offset:1488
	v_fma_f64 v[20:21], v[4:5], v[26:27], v[20:21]
	v_fma_f64 v[26:27], v[2:3], v[26:27], -v[28:29]
	ds_load_b128 v[2:5], v1 offset:1504
	s_waitcnt vmcnt(3) lgkmcnt(1)
	v_mul_f64 v[24:25], v[8:9], v[32:33]
	v_add_f64 v[14:15], v[14:15], v[18:19]
	v_add_f64 v[16:17], v[16:17], v[187:188]
	v_mul_f64 v[18:19], v[6:7], v[32:33]
	s_waitcnt vmcnt(2) lgkmcnt(0)
	v_mul_f64 v[28:29], v[4:5], v[36:37]
	v_fma_f64 v[24:25], v[6:7], v[30:31], -v[24:25]
	v_add_f64 v[14:15], v[14:15], v[22:23]
	v_add_f64 v[16:17], v[16:17], v[38:39]
	v_mul_f64 v[22:23], v[2:3], v[36:37]
	v_fma_f64 v[18:19], v[8:9], v[30:31], v[18:19]
	ds_load_b128 v[6:9], v1 offset:1520
	v_fma_f64 v[1:2], v[2:3], v[34:35], -v[28:29]
	v_add_f64 v[14:15], v[14:15], v[26:27]
	v_add_f64 v[16:17], v[16:17], v[20:21]
	s_waitcnt vmcnt(1) lgkmcnt(0)
	v_mul_f64 v[20:21], v[6:7], v[193:194]
	v_mul_f64 v[26:27], v[8:9], v[193:194]
	v_fma_f64 v[4:5], v[4:5], v[34:35], v[22:23]
	v_add_f64 v[14:15], v[14:15], v[24:25]
	v_add_f64 v[16:17], v[16:17], v[18:19]
	v_fma_f64 v[8:9], v[8:9], v[191:192], v[20:21]
	v_fma_f64 v[6:7], v[6:7], v[191:192], -v[26:27]
	s_delay_alu instid0(VALU_DEP_4) | instskip(NEXT) | instid1(VALU_DEP_4)
	v_add_f64 v[1:2], v[14:15], v[1:2]
	v_add_f64 v[3:4], v[16:17], v[4:5]
	s_delay_alu instid0(VALU_DEP_2) | instskip(NEXT) | instid1(VALU_DEP_2)
	v_add_f64 v[1:2], v[1:2], v[6:7]
	v_add_f64 v[3:4], v[3:4], v[8:9]
	s_waitcnt vmcnt(0)
	s_delay_alu instid0(VALU_DEP_2) | instskip(NEXT) | instid1(VALU_DEP_2)
	v_add_f64 v[1:2], v[10:11], -v[1:2]
	v_add_f64 v[3:4], v[12:13], -v[3:4]
	scratch_store_b128 off, v[1:4], off offset:272
	v_cmpx_lt_u32_e32 16, v138
	s_cbranch_execz .LBB111_269
; %bb.268:
	scratch_load_b128 v[1:4], v170, off
	v_mov_b32_e32 v5, 0
	s_delay_alu instid0(VALU_DEP_1)
	v_mov_b32_e32 v6, v5
	v_mov_b32_e32 v7, v5
	;; [unrolled: 1-line block ×3, first 2 shown]
	scratch_store_b128 off, v[5:8], off offset:256
	s_waitcnt vmcnt(0)
	ds_store_b128 v186, v[1:4]
.LBB111_269:
	s_or_b32 exec_lo, exec_lo, s2
	s_waitcnt lgkmcnt(0)
	s_waitcnt_vscnt null, 0x0
	s_barrier
	buffer_gl0_inv
	s_clause 0x7
	scratch_load_b128 v[2:5], off, off offset:272
	scratch_load_b128 v[6:9], off, off offset:288
	;; [unrolled: 1-line block ×8, first 2 shown]
	v_mov_b32_e32 v1, 0
	s_clause 0x1
	scratch_load_b128 v[34:37], off, off offset:400
	scratch_load_b128 v[191:194], off, off offset:416
	s_mov_b32 s2, exec_lo
	ds_load_b128 v[38:41], v1 offset:1040
	ds_load_b128 v[187:190], v1 offset:1056
	s_waitcnt vmcnt(9) lgkmcnt(1)
	v_mul_f64 v[195:196], v[40:41], v[4:5]
	v_mul_f64 v[4:5], v[38:39], v[4:5]
	s_waitcnt vmcnt(8) lgkmcnt(0)
	v_mul_f64 v[197:198], v[187:188], v[8:9]
	v_mul_f64 v[8:9], v[189:190], v[8:9]
	s_delay_alu instid0(VALU_DEP_4) | instskip(NEXT) | instid1(VALU_DEP_4)
	v_fma_f64 v[195:196], v[38:39], v[2:3], -v[195:196]
	v_fma_f64 v[199:200], v[40:41], v[2:3], v[4:5]
	ds_load_b128 v[2:5], v1 offset:1072
	scratch_load_b128 v[38:41], off, off offset:432
	v_fma_f64 v[197:198], v[189:190], v[6:7], v[197:198]
	v_fma_f64 v[203:204], v[187:188], v[6:7], -v[8:9]
	scratch_load_b128 v[187:190], off, off offset:448
	ds_load_b128 v[6:9], v1 offset:1088
	s_waitcnt vmcnt(9) lgkmcnt(1)
	v_mul_f64 v[201:202], v[2:3], v[12:13]
	v_mul_f64 v[12:13], v[4:5], v[12:13]
	s_waitcnt vmcnt(8) lgkmcnt(0)
	v_mul_f64 v[205:206], v[6:7], v[16:17]
	v_mul_f64 v[16:17], v[8:9], v[16:17]
	v_add_f64 v[195:196], v[195:196], 0
	v_add_f64 v[199:200], v[199:200], 0
	v_fma_f64 v[201:202], v[4:5], v[10:11], v[201:202]
	v_fma_f64 v[207:208], v[2:3], v[10:11], -v[12:13]
	ds_load_b128 v[2:5], v1 offset:1104
	scratch_load_b128 v[10:13], off, off offset:464
	v_add_f64 v[195:196], v[195:196], v[203:204]
	v_add_f64 v[197:198], v[199:200], v[197:198]
	v_fma_f64 v[203:204], v[8:9], v[14:15], v[205:206]
	v_fma_f64 v[205:206], v[6:7], v[14:15], -v[16:17]
	scratch_load_b128 v[14:17], off, off offset:480
	ds_load_b128 v[6:9], v1 offset:1120
	s_waitcnt vmcnt(9) lgkmcnt(1)
	v_mul_f64 v[199:200], v[2:3], v[20:21]
	v_mul_f64 v[20:21], v[4:5], v[20:21]
	v_add_f64 v[195:196], v[195:196], v[207:208]
	v_add_f64 v[197:198], v[197:198], v[201:202]
	s_waitcnt vmcnt(8) lgkmcnt(0)
	v_mul_f64 v[201:202], v[6:7], v[24:25]
	v_mul_f64 v[24:25], v[8:9], v[24:25]
	v_fma_f64 v[199:200], v[4:5], v[18:19], v[199:200]
	v_fma_f64 v[207:208], v[2:3], v[18:19], -v[20:21]
	ds_load_b128 v[2:5], v1 offset:1136
	scratch_load_b128 v[18:21], off, off offset:496
	v_add_f64 v[195:196], v[195:196], v[205:206]
	v_add_f64 v[197:198], v[197:198], v[203:204]
	v_fma_f64 v[201:202], v[8:9], v[22:23], v[201:202]
	v_fma_f64 v[205:206], v[6:7], v[22:23], -v[24:25]
	scratch_load_b128 v[22:25], off, off offset:512
	ds_load_b128 v[6:9], v1 offset:1152
	s_waitcnt vmcnt(9) lgkmcnt(1)
	v_mul_f64 v[203:204], v[2:3], v[28:29]
	v_mul_f64 v[28:29], v[4:5], v[28:29]
	v_add_f64 v[195:196], v[195:196], v[207:208]
	v_add_f64 v[197:198], v[197:198], v[199:200]
	s_waitcnt vmcnt(8) lgkmcnt(0)
	v_mul_f64 v[199:200], v[6:7], v[32:33]
	v_mul_f64 v[32:33], v[8:9], v[32:33]
	;; [unrolled: 18-line block ×6, first 2 shown]
	v_fma_f64 v[201:202], v[4:5], v[18:19], v[201:202]
	v_fma_f64 v[207:208], v[2:3], v[18:19], -v[20:21]
	ds_load_b128 v[2:5], v1 offset:1296
	scratch_load_b128 v[18:21], off, off offset:656
	v_add_f64 v[195:196], v[195:196], v[205:206]
	v_add_f64 v[197:198], v[197:198], v[199:200]
	v_fma_f64 v[203:204], v[8:9], v[22:23], v[203:204]
	v_fma_f64 v[205:206], v[6:7], v[22:23], -v[24:25]
	ds_load_b128 v[6:9], v1 offset:1312
	s_waitcnt vmcnt(8) lgkmcnt(1)
	v_mul_f64 v[199:200], v[2:3], v[28:29]
	v_mul_f64 v[28:29], v[4:5], v[28:29]
	scratch_load_b128 v[22:25], off, off offset:672
	v_add_f64 v[195:196], v[195:196], v[207:208]
	v_add_f64 v[197:198], v[197:198], v[201:202]
	s_waitcnt vmcnt(8) lgkmcnt(0)
	v_mul_f64 v[201:202], v[6:7], v[32:33]
	v_mul_f64 v[32:33], v[8:9], v[32:33]
	v_fma_f64 v[199:200], v[4:5], v[26:27], v[199:200]
	v_fma_f64 v[207:208], v[2:3], v[26:27], -v[28:29]
	scratch_load_b128 v[26:29], off, off offset:688
	ds_load_b128 v[2:5], v1 offset:1328
	v_add_f64 v[195:196], v[195:196], v[205:206]
	v_add_f64 v[197:198], v[197:198], v[203:204]
	v_fma_f64 v[201:202], v[8:9], v[30:31], v[201:202]
	v_fma_f64 v[205:206], v[6:7], v[30:31], -v[32:33]
	ds_load_b128 v[6:9], v1 offset:1344
	s_waitcnt vmcnt(8) lgkmcnt(1)
	v_mul_f64 v[203:204], v[2:3], v[36:37]
	v_mul_f64 v[36:37], v[4:5], v[36:37]
	scratch_load_b128 v[30:33], off, off offset:704
	v_add_f64 v[195:196], v[195:196], v[207:208]
	v_add_f64 v[197:198], v[197:198], v[199:200]
	s_waitcnt vmcnt(8) lgkmcnt(0)
	v_mul_f64 v[199:200], v[6:7], v[193:194]
	v_mul_f64 v[193:194], v[8:9], v[193:194]
	v_fma_f64 v[203:204], v[4:5], v[34:35], v[203:204]
	v_fma_f64 v[207:208], v[2:3], v[34:35], -v[36:37]
	scratch_load_b128 v[34:37], off, off offset:720
	ds_load_b128 v[2:5], v1 offset:1360
	;; [unrolled: 18-line block ×3, first 2 shown]
	v_add_f64 v[195:196], v[195:196], v[205:206]
	v_add_f64 v[197:198], v[197:198], v[199:200]
	v_fma_f64 v[203:204], v[8:9], v[187:188], v[203:204]
	v_fma_f64 v[187:188], v[6:7], v[187:188], -v[189:190]
	ds_load_b128 v[6:9], v1 offset:1408
	s_waitcnt vmcnt(8) lgkmcnt(1)
	v_mul_f64 v[199:200], v[2:3], v[12:13]
	v_mul_f64 v[12:13], v[4:5], v[12:13]
	v_add_f64 v[189:190], v[195:196], v[207:208]
	v_add_f64 v[195:196], v[197:198], v[201:202]
	s_waitcnt vmcnt(7) lgkmcnt(0)
	v_mul_f64 v[197:198], v[6:7], v[16:17]
	v_mul_f64 v[16:17], v[8:9], v[16:17]
	v_fma_f64 v[199:200], v[4:5], v[10:11], v[199:200]
	v_fma_f64 v[10:11], v[2:3], v[10:11], -v[12:13]
	ds_load_b128 v[2:5], v1 offset:1424
	v_add_f64 v[12:13], v[189:190], v[187:188]
	v_add_f64 v[187:188], v[195:196], v[203:204]
	v_fma_f64 v[195:196], v[8:9], v[14:15], v[197:198]
	v_fma_f64 v[14:15], v[6:7], v[14:15], -v[16:17]
	ds_load_b128 v[6:9], v1 offset:1440
	s_waitcnt vmcnt(5) lgkmcnt(0)
	v_mul_f64 v[197:198], v[6:7], v[24:25]
	v_mul_f64 v[24:25], v[8:9], v[24:25]
	v_add_f64 v[16:17], v[12:13], v[10:11]
	v_add_f64 v[187:188], v[187:188], v[199:200]
	scratch_load_b128 v[10:13], off, off offset:256
	v_mul_f64 v[189:190], v[2:3], v[20:21]
	v_mul_f64 v[20:21], v[4:5], v[20:21]
	v_add_f64 v[14:15], v[16:17], v[14:15]
	v_add_f64 v[16:17], v[187:188], v[195:196]
	v_fma_f64 v[187:188], v[8:9], v[22:23], v[197:198]
	v_fma_f64 v[189:190], v[4:5], v[18:19], v[189:190]
	v_fma_f64 v[18:19], v[2:3], v[18:19], -v[20:21]
	ds_load_b128 v[2:5], v1 offset:1456
	v_fma_f64 v[22:23], v[6:7], v[22:23], -v[24:25]
	ds_load_b128 v[6:9], v1 offset:1472
	s_waitcnt vmcnt(5) lgkmcnt(1)
	v_mul_f64 v[20:21], v[2:3], v[28:29]
	v_mul_f64 v[28:29], v[4:5], v[28:29]
	s_waitcnt vmcnt(4) lgkmcnt(0)
	v_mul_f64 v[24:25], v[8:9], v[32:33]
	v_add_f64 v[16:17], v[16:17], v[189:190]
	v_add_f64 v[14:15], v[14:15], v[18:19]
	v_mul_f64 v[18:19], v[6:7], v[32:33]
	v_fma_f64 v[20:21], v[4:5], v[26:27], v[20:21]
	v_fma_f64 v[26:27], v[2:3], v[26:27], -v[28:29]
	ds_load_b128 v[2:5], v1 offset:1488
	v_fma_f64 v[24:25], v[6:7], v[30:31], -v[24:25]
	v_add_f64 v[16:17], v[16:17], v[187:188]
	v_add_f64 v[14:15], v[14:15], v[22:23]
	v_fma_f64 v[18:19], v[8:9], v[30:31], v[18:19]
	ds_load_b128 v[6:9], v1 offset:1504
	s_waitcnt vmcnt(3) lgkmcnt(1)
	v_mul_f64 v[22:23], v[2:3], v[36:37]
	v_mul_f64 v[28:29], v[4:5], v[36:37]
	v_add_f64 v[16:17], v[16:17], v[20:21]
	v_add_f64 v[14:15], v[14:15], v[26:27]
	s_waitcnt vmcnt(2) lgkmcnt(0)
	v_mul_f64 v[20:21], v[6:7], v[193:194]
	v_mul_f64 v[26:27], v[8:9], v[193:194]
	v_fma_f64 v[22:23], v[4:5], v[34:35], v[22:23]
	v_fma_f64 v[28:29], v[2:3], v[34:35], -v[28:29]
	ds_load_b128 v[2:5], v1 offset:1520
	v_add_f64 v[16:17], v[16:17], v[18:19]
	v_add_f64 v[14:15], v[14:15], v[24:25]
	s_waitcnt vmcnt(1) lgkmcnt(0)
	v_mul_f64 v[18:19], v[2:3], v[40:41]
	v_mul_f64 v[24:25], v[4:5], v[40:41]
	v_fma_f64 v[8:9], v[8:9], v[191:192], v[20:21]
	v_fma_f64 v[6:7], v[6:7], v[191:192], -v[26:27]
	v_add_f64 v[16:17], v[16:17], v[22:23]
	v_add_f64 v[14:15], v[14:15], v[28:29]
	v_fma_f64 v[4:5], v[4:5], v[38:39], v[18:19]
	v_fma_f64 v[2:3], v[2:3], v[38:39], -v[24:25]
	s_delay_alu instid0(VALU_DEP_4) | instskip(NEXT) | instid1(VALU_DEP_4)
	v_add_f64 v[8:9], v[16:17], v[8:9]
	v_add_f64 v[6:7], v[14:15], v[6:7]
	s_delay_alu instid0(VALU_DEP_2) | instskip(NEXT) | instid1(VALU_DEP_2)
	v_add_f64 v[4:5], v[8:9], v[4:5]
	v_add_f64 v[2:3], v[6:7], v[2:3]
	s_waitcnt vmcnt(0)
	s_delay_alu instid0(VALU_DEP_2) | instskip(NEXT) | instid1(VALU_DEP_2)
	v_add_f64 v[4:5], v[12:13], -v[4:5]
	v_add_f64 v[2:3], v[10:11], -v[2:3]
	scratch_store_b128 off, v[2:5], off offset:256
	v_cmpx_lt_u32_e32 15, v138
	s_cbranch_execz .LBB111_271
; %bb.270:
	scratch_load_b128 v[5:8], v171, off
	v_mov_b32_e32 v2, v1
	v_mov_b32_e32 v3, v1
	;; [unrolled: 1-line block ×3, first 2 shown]
	scratch_store_b128 off, v[1:4], off offset:240
	s_waitcnt vmcnt(0)
	ds_store_b128 v186, v[5:8]
.LBB111_271:
	s_or_b32 exec_lo, exec_lo, s2
	s_waitcnt lgkmcnt(0)
	s_waitcnt_vscnt null, 0x0
	s_barrier
	buffer_gl0_inv
	s_clause 0x7
	scratch_load_b128 v[2:5], off, off offset:256
	scratch_load_b128 v[6:9], off, off offset:272
	;; [unrolled: 1-line block ×8, first 2 shown]
	ds_load_b128 v[38:41], v1 offset:1024
	ds_load_b128 v[187:190], v1 offset:1040
	s_clause 0x1
	scratch_load_b128 v[34:37], off, off offset:384
	scratch_load_b128 v[191:194], off, off offset:400
	s_mov_b32 s2, exec_lo
	s_waitcnt vmcnt(9) lgkmcnt(1)
	v_mul_f64 v[195:196], v[40:41], v[4:5]
	v_mul_f64 v[4:5], v[38:39], v[4:5]
	s_waitcnt vmcnt(8) lgkmcnt(0)
	v_mul_f64 v[197:198], v[187:188], v[8:9]
	v_mul_f64 v[8:9], v[189:190], v[8:9]
	s_delay_alu instid0(VALU_DEP_4) | instskip(NEXT) | instid1(VALU_DEP_4)
	v_fma_f64 v[195:196], v[38:39], v[2:3], -v[195:196]
	v_fma_f64 v[199:200], v[40:41], v[2:3], v[4:5]
	ds_load_b128 v[2:5], v1 offset:1056
	scratch_load_b128 v[38:41], off, off offset:416
	v_fma_f64 v[197:198], v[189:190], v[6:7], v[197:198]
	v_fma_f64 v[203:204], v[187:188], v[6:7], -v[8:9]
	scratch_load_b128 v[187:190], off, off offset:432
	ds_load_b128 v[6:9], v1 offset:1072
	s_waitcnt vmcnt(9) lgkmcnt(1)
	v_mul_f64 v[201:202], v[2:3], v[12:13]
	v_mul_f64 v[12:13], v[4:5], v[12:13]
	s_waitcnt vmcnt(8) lgkmcnt(0)
	v_mul_f64 v[205:206], v[6:7], v[16:17]
	v_mul_f64 v[16:17], v[8:9], v[16:17]
	v_add_f64 v[195:196], v[195:196], 0
	v_add_f64 v[199:200], v[199:200], 0
	v_fma_f64 v[201:202], v[4:5], v[10:11], v[201:202]
	v_fma_f64 v[207:208], v[2:3], v[10:11], -v[12:13]
	ds_load_b128 v[2:5], v1 offset:1088
	scratch_load_b128 v[10:13], off, off offset:448
	v_add_f64 v[195:196], v[195:196], v[203:204]
	v_add_f64 v[197:198], v[199:200], v[197:198]
	v_fma_f64 v[203:204], v[8:9], v[14:15], v[205:206]
	v_fma_f64 v[205:206], v[6:7], v[14:15], -v[16:17]
	scratch_load_b128 v[14:17], off, off offset:464
	ds_load_b128 v[6:9], v1 offset:1104
	s_waitcnt vmcnt(9) lgkmcnt(1)
	v_mul_f64 v[199:200], v[2:3], v[20:21]
	v_mul_f64 v[20:21], v[4:5], v[20:21]
	v_add_f64 v[195:196], v[195:196], v[207:208]
	v_add_f64 v[197:198], v[197:198], v[201:202]
	s_waitcnt vmcnt(8) lgkmcnt(0)
	v_mul_f64 v[201:202], v[6:7], v[24:25]
	v_mul_f64 v[24:25], v[8:9], v[24:25]
	v_fma_f64 v[199:200], v[4:5], v[18:19], v[199:200]
	v_fma_f64 v[207:208], v[2:3], v[18:19], -v[20:21]
	ds_load_b128 v[2:5], v1 offset:1120
	scratch_load_b128 v[18:21], off, off offset:480
	v_add_f64 v[195:196], v[195:196], v[205:206]
	v_add_f64 v[197:198], v[197:198], v[203:204]
	v_fma_f64 v[201:202], v[8:9], v[22:23], v[201:202]
	v_fma_f64 v[205:206], v[6:7], v[22:23], -v[24:25]
	scratch_load_b128 v[22:25], off, off offset:496
	ds_load_b128 v[6:9], v1 offset:1136
	s_waitcnt vmcnt(9) lgkmcnt(1)
	v_mul_f64 v[203:204], v[2:3], v[28:29]
	v_mul_f64 v[28:29], v[4:5], v[28:29]
	v_add_f64 v[195:196], v[195:196], v[207:208]
	v_add_f64 v[197:198], v[197:198], v[199:200]
	s_waitcnt vmcnt(8) lgkmcnt(0)
	v_mul_f64 v[199:200], v[6:7], v[32:33]
	v_mul_f64 v[32:33], v[8:9], v[32:33]
	;; [unrolled: 18-line block ×6, first 2 shown]
	v_fma_f64 v[201:202], v[4:5], v[18:19], v[201:202]
	v_fma_f64 v[207:208], v[2:3], v[18:19], -v[20:21]
	ds_load_b128 v[2:5], v1 offset:1280
	scratch_load_b128 v[18:21], off, off offset:640
	v_add_f64 v[195:196], v[195:196], v[205:206]
	v_add_f64 v[197:198], v[197:198], v[199:200]
	v_fma_f64 v[203:204], v[8:9], v[22:23], v[203:204]
	v_fma_f64 v[205:206], v[6:7], v[22:23], -v[24:25]
	ds_load_b128 v[6:9], v1 offset:1296
	s_waitcnt vmcnt(8) lgkmcnt(1)
	v_mul_f64 v[199:200], v[2:3], v[28:29]
	v_mul_f64 v[28:29], v[4:5], v[28:29]
	scratch_load_b128 v[22:25], off, off offset:656
	v_add_f64 v[195:196], v[195:196], v[207:208]
	v_add_f64 v[197:198], v[197:198], v[201:202]
	s_waitcnt vmcnt(8) lgkmcnt(0)
	v_mul_f64 v[201:202], v[6:7], v[32:33]
	v_mul_f64 v[32:33], v[8:9], v[32:33]
	v_fma_f64 v[199:200], v[4:5], v[26:27], v[199:200]
	v_fma_f64 v[207:208], v[2:3], v[26:27], -v[28:29]
	ds_load_b128 v[2:5], v1 offset:1312
	scratch_load_b128 v[26:29], off, off offset:672
	v_add_f64 v[195:196], v[195:196], v[205:206]
	v_add_f64 v[197:198], v[197:198], v[203:204]
	v_fma_f64 v[201:202], v[8:9], v[30:31], v[201:202]
	v_fma_f64 v[205:206], v[6:7], v[30:31], -v[32:33]
	ds_load_b128 v[6:9], v1 offset:1328
	s_waitcnt vmcnt(8) lgkmcnt(1)
	v_mul_f64 v[203:204], v[2:3], v[36:37]
	v_mul_f64 v[36:37], v[4:5], v[36:37]
	scratch_load_b128 v[30:33], off, off offset:688
	v_add_f64 v[195:196], v[195:196], v[207:208]
	v_add_f64 v[197:198], v[197:198], v[199:200]
	s_waitcnt vmcnt(8) lgkmcnt(0)
	v_mul_f64 v[199:200], v[6:7], v[193:194]
	v_mul_f64 v[193:194], v[8:9], v[193:194]
	v_fma_f64 v[203:204], v[4:5], v[34:35], v[203:204]
	v_fma_f64 v[207:208], v[2:3], v[34:35], -v[36:37]
	scratch_load_b128 v[34:37], off, off offset:704
	ds_load_b128 v[2:5], v1 offset:1344
	v_add_f64 v[195:196], v[195:196], v[205:206]
	v_add_f64 v[197:198], v[197:198], v[201:202]
	v_fma_f64 v[199:200], v[8:9], v[191:192], v[199:200]
	v_fma_f64 v[205:206], v[6:7], v[191:192], -v[193:194]
	ds_load_b128 v[6:9], v1 offset:1360
	s_waitcnt vmcnt(8) lgkmcnt(1)
	v_mul_f64 v[201:202], v[2:3], v[40:41]
	v_mul_f64 v[40:41], v[4:5], v[40:41]
	scratch_load_b128 v[191:194], off, off offset:720
	v_add_f64 v[195:196], v[195:196], v[207:208]
	v_add_f64 v[197:198], v[197:198], v[203:204]
	s_waitcnt vmcnt(8) lgkmcnt(0)
	v_mul_f64 v[203:204], v[6:7], v[189:190]
	v_mul_f64 v[189:190], v[8:9], v[189:190]
	v_fma_f64 v[201:202], v[4:5], v[38:39], v[201:202]
	v_fma_f64 v[207:208], v[2:3], v[38:39], -v[40:41]
	scratch_load_b128 v[38:41], off, off offset:736
	ds_load_b128 v[2:5], v1 offset:1376
	v_add_f64 v[195:196], v[195:196], v[205:206]
	v_add_f64 v[197:198], v[197:198], v[199:200]
	v_fma_f64 v[203:204], v[8:9], v[187:188], v[203:204]
	v_fma_f64 v[205:206], v[6:7], v[187:188], -v[189:190]
	ds_load_b128 v[6:9], v1 offset:1392
	s_waitcnt vmcnt(8) lgkmcnt(1)
	v_mul_f64 v[199:200], v[2:3], v[12:13]
	v_mul_f64 v[12:13], v[4:5], v[12:13]
	scratch_load_b128 v[187:190], off, off offset:752
	v_add_f64 v[195:196], v[195:196], v[207:208]
	v_add_f64 v[197:198], v[197:198], v[201:202]
	s_waitcnt vmcnt(8) lgkmcnt(0)
	v_mul_f64 v[201:202], v[6:7], v[16:17]
	v_mul_f64 v[16:17], v[8:9], v[16:17]
	v_fma_f64 v[199:200], v[4:5], v[10:11], v[199:200]
	v_fma_f64 v[10:11], v[2:3], v[10:11], -v[12:13]
	ds_load_b128 v[2:5], v1 offset:1408
	v_add_f64 v[12:13], v[195:196], v[205:206]
	v_add_f64 v[195:196], v[197:198], v[203:204]
	v_fma_f64 v[201:202], v[8:9], v[14:15], v[201:202]
	v_fma_f64 v[14:15], v[6:7], v[14:15], -v[16:17]
	ds_load_b128 v[6:9], v1 offset:1424
	s_waitcnt vmcnt(7) lgkmcnt(1)
	v_mul_f64 v[197:198], v[2:3], v[20:21]
	v_mul_f64 v[20:21], v[4:5], v[20:21]
	v_add_f64 v[10:11], v[12:13], v[10:11]
	v_add_f64 v[12:13], v[195:196], v[199:200]
	s_delay_alu instid0(VALU_DEP_4) | instskip(NEXT) | instid1(VALU_DEP_4)
	v_fma_f64 v[195:196], v[4:5], v[18:19], v[197:198]
	v_fma_f64 v[18:19], v[2:3], v[18:19], -v[20:21]
	ds_load_b128 v[2:5], v1 offset:1440
	v_add_f64 v[14:15], v[10:11], v[14:15]
	v_add_f64 v[20:21], v[12:13], v[201:202]
	scratch_load_b128 v[10:13], off, off offset:240
	s_waitcnt vmcnt(7) lgkmcnt(1)
	v_mul_f64 v[16:17], v[6:7], v[24:25]
	v_mul_f64 v[24:25], v[8:9], v[24:25]
	v_add_f64 v[14:15], v[14:15], v[18:19]
	v_add_f64 v[18:19], v[20:21], v[195:196]
	s_delay_alu instid0(VALU_DEP_4) | instskip(NEXT) | instid1(VALU_DEP_4)
	v_fma_f64 v[16:17], v[8:9], v[22:23], v[16:17]
	v_fma_f64 v[22:23], v[6:7], v[22:23], -v[24:25]
	ds_load_b128 v[6:9], v1 offset:1456
	s_waitcnt vmcnt(6) lgkmcnt(1)
	v_mul_f64 v[197:198], v[2:3], v[28:29]
	v_mul_f64 v[28:29], v[4:5], v[28:29]
	s_waitcnt vmcnt(5) lgkmcnt(0)
	v_mul_f64 v[20:21], v[6:7], v[32:33]
	v_mul_f64 v[24:25], v[8:9], v[32:33]
	v_add_f64 v[16:17], v[18:19], v[16:17]
	v_add_f64 v[14:15], v[14:15], v[22:23]
	v_fma_f64 v[32:33], v[4:5], v[26:27], v[197:198]
	v_fma_f64 v[26:27], v[2:3], v[26:27], -v[28:29]
	ds_load_b128 v[2:5], v1 offset:1472
	v_fma_f64 v[20:21], v[8:9], v[30:31], v[20:21]
	v_fma_f64 v[24:25], v[6:7], v[30:31], -v[24:25]
	ds_load_b128 v[6:9], v1 offset:1488
	s_waitcnt vmcnt(4) lgkmcnt(1)
	v_mul_f64 v[18:19], v[2:3], v[36:37]
	v_mul_f64 v[22:23], v[4:5], v[36:37]
	v_add_f64 v[16:17], v[16:17], v[32:33]
	v_add_f64 v[14:15], v[14:15], v[26:27]
	s_waitcnt vmcnt(3) lgkmcnt(0)
	v_mul_f64 v[26:27], v[6:7], v[193:194]
	v_mul_f64 v[28:29], v[8:9], v[193:194]
	v_fma_f64 v[18:19], v[4:5], v[34:35], v[18:19]
	v_fma_f64 v[22:23], v[2:3], v[34:35], -v[22:23]
	ds_load_b128 v[2:5], v1 offset:1504
	v_add_f64 v[16:17], v[16:17], v[20:21]
	v_add_f64 v[14:15], v[14:15], v[24:25]
	v_fma_f64 v[26:27], v[8:9], v[191:192], v[26:27]
	v_fma_f64 v[28:29], v[6:7], v[191:192], -v[28:29]
	ds_load_b128 v[6:9], v1 offset:1520
	s_waitcnt vmcnt(2) lgkmcnt(1)
	v_mul_f64 v[20:21], v[2:3], v[40:41]
	v_mul_f64 v[24:25], v[4:5], v[40:41]
	v_add_f64 v[16:17], v[16:17], v[18:19]
	v_add_f64 v[14:15], v[14:15], v[22:23]
	s_waitcnt vmcnt(1) lgkmcnt(0)
	v_mul_f64 v[18:19], v[6:7], v[189:190]
	v_mul_f64 v[22:23], v[8:9], v[189:190]
	v_fma_f64 v[4:5], v[4:5], v[38:39], v[20:21]
	v_fma_f64 v[1:2], v[2:3], v[38:39], -v[24:25]
	v_add_f64 v[16:17], v[16:17], v[26:27]
	v_add_f64 v[14:15], v[14:15], v[28:29]
	v_fma_f64 v[8:9], v[8:9], v[187:188], v[18:19]
	v_fma_f64 v[6:7], v[6:7], v[187:188], -v[22:23]
	s_delay_alu instid0(VALU_DEP_4) | instskip(NEXT) | instid1(VALU_DEP_4)
	v_add_f64 v[3:4], v[16:17], v[4:5]
	v_add_f64 v[1:2], v[14:15], v[1:2]
	s_delay_alu instid0(VALU_DEP_2) | instskip(NEXT) | instid1(VALU_DEP_2)
	v_add_f64 v[3:4], v[3:4], v[8:9]
	v_add_f64 v[1:2], v[1:2], v[6:7]
	s_waitcnt vmcnt(0)
	s_delay_alu instid0(VALU_DEP_2) | instskip(NEXT) | instid1(VALU_DEP_2)
	v_add_f64 v[3:4], v[12:13], -v[3:4]
	v_add_f64 v[1:2], v[10:11], -v[1:2]
	scratch_store_b128 off, v[1:4], off offset:240
	v_cmpx_lt_u32_e32 14, v138
	s_cbranch_execz .LBB111_273
; %bb.272:
	scratch_load_b128 v[1:4], v172, off
	v_mov_b32_e32 v5, 0
	s_delay_alu instid0(VALU_DEP_1)
	v_mov_b32_e32 v6, v5
	v_mov_b32_e32 v7, v5
	;; [unrolled: 1-line block ×3, first 2 shown]
	scratch_store_b128 off, v[5:8], off offset:224
	s_waitcnt vmcnt(0)
	ds_store_b128 v186, v[1:4]
.LBB111_273:
	s_or_b32 exec_lo, exec_lo, s2
	s_waitcnt lgkmcnt(0)
	s_waitcnt_vscnt null, 0x0
	s_barrier
	buffer_gl0_inv
	s_clause 0x7
	scratch_load_b128 v[2:5], off, off offset:240
	scratch_load_b128 v[6:9], off, off offset:256
	;; [unrolled: 1-line block ×8, first 2 shown]
	v_mov_b32_e32 v1, 0
	s_clause 0x1
	scratch_load_b128 v[34:37], off, off offset:368
	scratch_load_b128 v[191:194], off, off offset:384
	s_mov_b32 s2, exec_lo
	ds_load_b128 v[38:41], v1 offset:1008
	ds_load_b128 v[187:190], v1 offset:1024
	s_waitcnt vmcnt(9) lgkmcnt(1)
	v_mul_f64 v[195:196], v[40:41], v[4:5]
	v_mul_f64 v[4:5], v[38:39], v[4:5]
	s_waitcnt vmcnt(8) lgkmcnt(0)
	v_mul_f64 v[197:198], v[187:188], v[8:9]
	v_mul_f64 v[8:9], v[189:190], v[8:9]
	s_delay_alu instid0(VALU_DEP_4) | instskip(NEXT) | instid1(VALU_DEP_4)
	v_fma_f64 v[195:196], v[38:39], v[2:3], -v[195:196]
	v_fma_f64 v[199:200], v[40:41], v[2:3], v[4:5]
	ds_load_b128 v[2:5], v1 offset:1040
	scratch_load_b128 v[38:41], off, off offset:400
	v_fma_f64 v[197:198], v[189:190], v[6:7], v[197:198]
	v_fma_f64 v[203:204], v[187:188], v[6:7], -v[8:9]
	scratch_load_b128 v[187:190], off, off offset:416
	ds_load_b128 v[6:9], v1 offset:1056
	s_waitcnt vmcnt(9) lgkmcnt(1)
	v_mul_f64 v[201:202], v[2:3], v[12:13]
	v_mul_f64 v[12:13], v[4:5], v[12:13]
	s_waitcnt vmcnt(8) lgkmcnt(0)
	v_mul_f64 v[205:206], v[6:7], v[16:17]
	v_mul_f64 v[16:17], v[8:9], v[16:17]
	v_add_f64 v[195:196], v[195:196], 0
	v_add_f64 v[199:200], v[199:200], 0
	v_fma_f64 v[201:202], v[4:5], v[10:11], v[201:202]
	v_fma_f64 v[207:208], v[2:3], v[10:11], -v[12:13]
	ds_load_b128 v[2:5], v1 offset:1072
	scratch_load_b128 v[10:13], off, off offset:432
	v_add_f64 v[195:196], v[195:196], v[203:204]
	v_add_f64 v[197:198], v[199:200], v[197:198]
	v_fma_f64 v[203:204], v[8:9], v[14:15], v[205:206]
	v_fma_f64 v[205:206], v[6:7], v[14:15], -v[16:17]
	scratch_load_b128 v[14:17], off, off offset:448
	ds_load_b128 v[6:9], v1 offset:1088
	s_waitcnt vmcnt(9) lgkmcnt(1)
	v_mul_f64 v[199:200], v[2:3], v[20:21]
	v_mul_f64 v[20:21], v[4:5], v[20:21]
	v_add_f64 v[195:196], v[195:196], v[207:208]
	v_add_f64 v[197:198], v[197:198], v[201:202]
	s_waitcnt vmcnt(8) lgkmcnt(0)
	v_mul_f64 v[201:202], v[6:7], v[24:25]
	v_mul_f64 v[24:25], v[8:9], v[24:25]
	v_fma_f64 v[199:200], v[4:5], v[18:19], v[199:200]
	v_fma_f64 v[207:208], v[2:3], v[18:19], -v[20:21]
	ds_load_b128 v[2:5], v1 offset:1104
	scratch_load_b128 v[18:21], off, off offset:464
	v_add_f64 v[195:196], v[195:196], v[205:206]
	v_add_f64 v[197:198], v[197:198], v[203:204]
	v_fma_f64 v[201:202], v[8:9], v[22:23], v[201:202]
	v_fma_f64 v[205:206], v[6:7], v[22:23], -v[24:25]
	scratch_load_b128 v[22:25], off, off offset:480
	ds_load_b128 v[6:9], v1 offset:1120
	s_waitcnt vmcnt(9) lgkmcnt(1)
	v_mul_f64 v[203:204], v[2:3], v[28:29]
	v_mul_f64 v[28:29], v[4:5], v[28:29]
	v_add_f64 v[195:196], v[195:196], v[207:208]
	v_add_f64 v[197:198], v[197:198], v[199:200]
	s_waitcnt vmcnt(8) lgkmcnt(0)
	v_mul_f64 v[199:200], v[6:7], v[32:33]
	v_mul_f64 v[32:33], v[8:9], v[32:33]
	;; [unrolled: 18-line block ×7, first 2 shown]
	v_fma_f64 v[199:200], v[4:5], v[26:27], v[199:200]
	v_fma_f64 v[207:208], v[2:3], v[26:27], -v[28:29]
	ds_load_b128 v[2:5], v1 offset:1296
	scratch_load_b128 v[26:29], off, off offset:656
	v_add_f64 v[195:196], v[195:196], v[205:206]
	v_add_f64 v[197:198], v[197:198], v[203:204]
	v_fma_f64 v[201:202], v[8:9], v[30:31], v[201:202]
	v_fma_f64 v[205:206], v[6:7], v[30:31], -v[32:33]
	ds_load_b128 v[6:9], v1 offset:1312
	s_waitcnt vmcnt(8) lgkmcnt(1)
	v_mul_f64 v[203:204], v[2:3], v[36:37]
	v_mul_f64 v[36:37], v[4:5], v[36:37]
	scratch_load_b128 v[30:33], off, off offset:672
	v_add_f64 v[195:196], v[195:196], v[207:208]
	v_add_f64 v[197:198], v[197:198], v[199:200]
	s_waitcnt vmcnt(8) lgkmcnt(0)
	v_mul_f64 v[199:200], v[6:7], v[193:194]
	v_mul_f64 v[193:194], v[8:9], v[193:194]
	v_fma_f64 v[203:204], v[4:5], v[34:35], v[203:204]
	v_fma_f64 v[207:208], v[2:3], v[34:35], -v[36:37]
	scratch_load_b128 v[34:37], off, off offset:688
	ds_load_b128 v[2:5], v1 offset:1328
	v_add_f64 v[195:196], v[195:196], v[205:206]
	v_add_f64 v[197:198], v[197:198], v[201:202]
	v_fma_f64 v[199:200], v[8:9], v[191:192], v[199:200]
	v_fma_f64 v[205:206], v[6:7], v[191:192], -v[193:194]
	ds_load_b128 v[6:9], v1 offset:1344
	s_waitcnt vmcnt(8) lgkmcnt(1)
	v_mul_f64 v[201:202], v[2:3], v[40:41]
	v_mul_f64 v[40:41], v[4:5], v[40:41]
	scratch_load_b128 v[191:194], off, off offset:704
	v_add_f64 v[195:196], v[195:196], v[207:208]
	v_add_f64 v[197:198], v[197:198], v[203:204]
	s_waitcnt vmcnt(8) lgkmcnt(0)
	v_mul_f64 v[203:204], v[6:7], v[189:190]
	v_mul_f64 v[189:190], v[8:9], v[189:190]
	v_fma_f64 v[201:202], v[4:5], v[38:39], v[201:202]
	v_fma_f64 v[207:208], v[2:3], v[38:39], -v[40:41]
	scratch_load_b128 v[38:41], off, off offset:720
	ds_load_b128 v[2:5], v1 offset:1360
	;; [unrolled: 18-line block ×3, first 2 shown]
	v_add_f64 v[195:196], v[195:196], v[205:206]
	v_add_f64 v[197:198], v[197:198], v[203:204]
	v_fma_f64 v[201:202], v[8:9], v[14:15], v[201:202]
	v_fma_f64 v[14:15], v[6:7], v[14:15], -v[16:17]
	ds_load_b128 v[6:9], v1 offset:1408
	s_waitcnt vmcnt(8) lgkmcnt(1)
	v_mul_f64 v[203:204], v[2:3], v[20:21]
	v_mul_f64 v[20:21], v[4:5], v[20:21]
	v_add_f64 v[16:17], v[195:196], v[207:208]
	v_add_f64 v[195:196], v[197:198], v[199:200]
	s_waitcnt vmcnt(7) lgkmcnt(0)
	v_mul_f64 v[197:198], v[6:7], v[24:25]
	v_mul_f64 v[24:25], v[8:9], v[24:25]
	v_fma_f64 v[199:200], v[4:5], v[18:19], v[203:204]
	v_fma_f64 v[18:19], v[2:3], v[18:19], -v[20:21]
	ds_load_b128 v[2:5], v1 offset:1424
	v_add_f64 v[14:15], v[16:17], v[14:15]
	v_add_f64 v[16:17], v[195:196], v[201:202]
	v_fma_f64 v[195:196], v[8:9], v[22:23], v[197:198]
	v_fma_f64 v[22:23], v[6:7], v[22:23], -v[24:25]
	ds_load_b128 v[6:9], v1 offset:1440
	s_waitcnt vmcnt(5) lgkmcnt(0)
	v_mul_f64 v[197:198], v[6:7], v[32:33]
	v_mul_f64 v[32:33], v[8:9], v[32:33]
	v_add_f64 v[18:19], v[14:15], v[18:19]
	v_add_f64 v[24:25], v[16:17], v[199:200]
	scratch_load_b128 v[14:17], off, off offset:224
	v_mul_f64 v[20:21], v[2:3], v[28:29]
	v_mul_f64 v[28:29], v[4:5], v[28:29]
	v_add_f64 v[18:19], v[18:19], v[22:23]
	v_add_f64 v[22:23], v[24:25], v[195:196]
	s_delay_alu instid0(VALU_DEP_4) | instskip(NEXT) | instid1(VALU_DEP_4)
	v_fma_f64 v[20:21], v[4:5], v[26:27], v[20:21]
	v_fma_f64 v[26:27], v[2:3], v[26:27], -v[28:29]
	ds_load_b128 v[2:5], v1 offset:1456
	s_waitcnt vmcnt(5) lgkmcnt(0)
	v_mul_f64 v[24:25], v[2:3], v[36:37]
	v_mul_f64 v[28:29], v[4:5], v[36:37]
	v_fma_f64 v[36:37], v[8:9], v[30:31], v[197:198]
	v_fma_f64 v[30:31], v[6:7], v[30:31], -v[32:33]
	ds_load_b128 v[6:9], v1 offset:1472
	v_add_f64 v[20:21], v[22:23], v[20:21]
	v_add_f64 v[18:19], v[18:19], v[26:27]
	v_fma_f64 v[24:25], v[4:5], v[34:35], v[24:25]
	v_fma_f64 v[28:29], v[2:3], v[34:35], -v[28:29]
	ds_load_b128 v[2:5], v1 offset:1488
	s_waitcnt vmcnt(4) lgkmcnt(1)
	v_mul_f64 v[22:23], v[6:7], v[193:194]
	v_mul_f64 v[26:27], v[8:9], v[193:194]
	v_add_f64 v[20:21], v[20:21], v[36:37]
	v_add_f64 v[18:19], v[18:19], v[30:31]
	s_waitcnt vmcnt(3) lgkmcnt(0)
	v_mul_f64 v[30:31], v[2:3], v[40:41]
	v_mul_f64 v[32:33], v[4:5], v[40:41]
	v_fma_f64 v[22:23], v[8:9], v[191:192], v[22:23]
	v_fma_f64 v[26:27], v[6:7], v[191:192], -v[26:27]
	ds_load_b128 v[6:9], v1 offset:1504
	v_add_f64 v[20:21], v[20:21], v[24:25]
	v_add_f64 v[18:19], v[18:19], v[28:29]
	v_fma_f64 v[30:31], v[4:5], v[38:39], v[30:31]
	v_fma_f64 v[32:33], v[2:3], v[38:39], -v[32:33]
	ds_load_b128 v[2:5], v1 offset:1520
	s_waitcnt vmcnt(2) lgkmcnt(1)
	v_mul_f64 v[24:25], v[6:7], v[189:190]
	v_mul_f64 v[28:29], v[8:9], v[189:190]
	v_add_f64 v[20:21], v[20:21], v[22:23]
	v_add_f64 v[18:19], v[18:19], v[26:27]
	s_waitcnt vmcnt(1) lgkmcnt(0)
	v_mul_f64 v[22:23], v[2:3], v[12:13]
	v_mul_f64 v[12:13], v[4:5], v[12:13]
	v_fma_f64 v[8:9], v[8:9], v[187:188], v[24:25]
	v_fma_f64 v[6:7], v[6:7], v[187:188], -v[28:29]
	v_add_f64 v[20:21], v[20:21], v[30:31]
	v_add_f64 v[18:19], v[18:19], v[32:33]
	v_fma_f64 v[4:5], v[4:5], v[10:11], v[22:23]
	v_fma_f64 v[2:3], v[2:3], v[10:11], -v[12:13]
	s_delay_alu instid0(VALU_DEP_4) | instskip(NEXT) | instid1(VALU_DEP_4)
	v_add_f64 v[8:9], v[20:21], v[8:9]
	v_add_f64 v[6:7], v[18:19], v[6:7]
	s_delay_alu instid0(VALU_DEP_2) | instskip(NEXT) | instid1(VALU_DEP_2)
	v_add_f64 v[4:5], v[8:9], v[4:5]
	v_add_f64 v[2:3], v[6:7], v[2:3]
	s_waitcnt vmcnt(0)
	s_delay_alu instid0(VALU_DEP_2) | instskip(NEXT) | instid1(VALU_DEP_2)
	v_add_f64 v[4:5], v[16:17], -v[4:5]
	v_add_f64 v[2:3], v[14:15], -v[2:3]
	scratch_store_b128 off, v[2:5], off offset:224
	v_cmpx_lt_u32_e32 13, v138
	s_cbranch_execz .LBB111_275
; %bb.274:
	scratch_load_b128 v[5:8], v173, off
	v_mov_b32_e32 v2, v1
	v_mov_b32_e32 v3, v1
	;; [unrolled: 1-line block ×3, first 2 shown]
	scratch_store_b128 off, v[1:4], off offset:208
	s_waitcnt vmcnt(0)
	ds_store_b128 v186, v[5:8]
.LBB111_275:
	s_or_b32 exec_lo, exec_lo, s2
	s_waitcnt lgkmcnt(0)
	s_waitcnt_vscnt null, 0x0
	s_barrier
	buffer_gl0_inv
	s_clause 0x7
	scratch_load_b128 v[2:5], off, off offset:224
	scratch_load_b128 v[6:9], off, off offset:240
	;; [unrolled: 1-line block ×8, first 2 shown]
	ds_load_b128 v[38:41], v1 offset:992
	ds_load_b128 v[187:190], v1 offset:1008
	s_clause 0x1
	scratch_load_b128 v[34:37], off, off offset:352
	scratch_load_b128 v[191:194], off, off offset:368
	s_mov_b32 s2, exec_lo
	s_waitcnt vmcnt(9) lgkmcnt(1)
	v_mul_f64 v[195:196], v[40:41], v[4:5]
	v_mul_f64 v[4:5], v[38:39], v[4:5]
	s_waitcnt vmcnt(8) lgkmcnt(0)
	v_mul_f64 v[197:198], v[187:188], v[8:9]
	v_mul_f64 v[8:9], v[189:190], v[8:9]
	s_delay_alu instid0(VALU_DEP_4) | instskip(NEXT) | instid1(VALU_DEP_4)
	v_fma_f64 v[195:196], v[38:39], v[2:3], -v[195:196]
	v_fma_f64 v[199:200], v[40:41], v[2:3], v[4:5]
	ds_load_b128 v[2:5], v1 offset:1024
	scratch_load_b128 v[38:41], off, off offset:384
	v_fma_f64 v[197:198], v[189:190], v[6:7], v[197:198]
	v_fma_f64 v[203:204], v[187:188], v[6:7], -v[8:9]
	scratch_load_b128 v[187:190], off, off offset:400
	ds_load_b128 v[6:9], v1 offset:1040
	s_waitcnt vmcnt(9) lgkmcnt(1)
	v_mul_f64 v[201:202], v[2:3], v[12:13]
	v_mul_f64 v[12:13], v[4:5], v[12:13]
	s_waitcnt vmcnt(8) lgkmcnt(0)
	v_mul_f64 v[205:206], v[6:7], v[16:17]
	v_mul_f64 v[16:17], v[8:9], v[16:17]
	v_add_f64 v[195:196], v[195:196], 0
	v_add_f64 v[199:200], v[199:200], 0
	v_fma_f64 v[201:202], v[4:5], v[10:11], v[201:202]
	v_fma_f64 v[207:208], v[2:3], v[10:11], -v[12:13]
	ds_load_b128 v[2:5], v1 offset:1056
	scratch_load_b128 v[10:13], off, off offset:416
	v_add_f64 v[195:196], v[195:196], v[203:204]
	v_add_f64 v[197:198], v[199:200], v[197:198]
	v_fma_f64 v[203:204], v[8:9], v[14:15], v[205:206]
	v_fma_f64 v[205:206], v[6:7], v[14:15], -v[16:17]
	scratch_load_b128 v[14:17], off, off offset:432
	ds_load_b128 v[6:9], v1 offset:1072
	s_waitcnt vmcnt(9) lgkmcnt(1)
	v_mul_f64 v[199:200], v[2:3], v[20:21]
	v_mul_f64 v[20:21], v[4:5], v[20:21]
	v_add_f64 v[195:196], v[195:196], v[207:208]
	v_add_f64 v[197:198], v[197:198], v[201:202]
	s_waitcnt vmcnt(8) lgkmcnt(0)
	v_mul_f64 v[201:202], v[6:7], v[24:25]
	v_mul_f64 v[24:25], v[8:9], v[24:25]
	v_fma_f64 v[199:200], v[4:5], v[18:19], v[199:200]
	v_fma_f64 v[207:208], v[2:3], v[18:19], -v[20:21]
	ds_load_b128 v[2:5], v1 offset:1088
	scratch_load_b128 v[18:21], off, off offset:448
	v_add_f64 v[195:196], v[195:196], v[205:206]
	v_add_f64 v[197:198], v[197:198], v[203:204]
	v_fma_f64 v[201:202], v[8:9], v[22:23], v[201:202]
	v_fma_f64 v[205:206], v[6:7], v[22:23], -v[24:25]
	scratch_load_b128 v[22:25], off, off offset:464
	ds_load_b128 v[6:9], v1 offset:1104
	s_waitcnt vmcnt(9) lgkmcnt(1)
	v_mul_f64 v[203:204], v[2:3], v[28:29]
	v_mul_f64 v[28:29], v[4:5], v[28:29]
	v_add_f64 v[195:196], v[195:196], v[207:208]
	v_add_f64 v[197:198], v[197:198], v[199:200]
	s_waitcnt vmcnt(8) lgkmcnt(0)
	v_mul_f64 v[199:200], v[6:7], v[32:33]
	v_mul_f64 v[32:33], v[8:9], v[32:33]
	;; [unrolled: 18-line block ×7, first 2 shown]
	v_fma_f64 v[199:200], v[4:5], v[26:27], v[199:200]
	v_fma_f64 v[207:208], v[2:3], v[26:27], -v[28:29]
	ds_load_b128 v[2:5], v1 offset:1280
	scratch_load_b128 v[26:29], off, off offset:640
	v_add_f64 v[195:196], v[195:196], v[205:206]
	v_add_f64 v[197:198], v[197:198], v[203:204]
	v_fma_f64 v[201:202], v[8:9], v[30:31], v[201:202]
	v_fma_f64 v[205:206], v[6:7], v[30:31], -v[32:33]
	ds_load_b128 v[6:9], v1 offset:1296
	s_waitcnt vmcnt(8) lgkmcnt(1)
	v_mul_f64 v[203:204], v[2:3], v[36:37]
	v_mul_f64 v[36:37], v[4:5], v[36:37]
	scratch_load_b128 v[30:33], off, off offset:656
	v_add_f64 v[195:196], v[195:196], v[207:208]
	v_add_f64 v[197:198], v[197:198], v[199:200]
	s_waitcnt vmcnt(8) lgkmcnt(0)
	v_mul_f64 v[199:200], v[6:7], v[193:194]
	v_mul_f64 v[193:194], v[8:9], v[193:194]
	v_fma_f64 v[203:204], v[4:5], v[34:35], v[203:204]
	v_fma_f64 v[207:208], v[2:3], v[34:35], -v[36:37]
	ds_load_b128 v[2:5], v1 offset:1312
	scratch_load_b128 v[34:37], off, off offset:672
	v_add_f64 v[195:196], v[195:196], v[205:206]
	v_add_f64 v[197:198], v[197:198], v[201:202]
	v_fma_f64 v[199:200], v[8:9], v[191:192], v[199:200]
	v_fma_f64 v[205:206], v[6:7], v[191:192], -v[193:194]
	ds_load_b128 v[6:9], v1 offset:1328
	s_waitcnt vmcnt(8) lgkmcnt(1)
	v_mul_f64 v[201:202], v[2:3], v[40:41]
	v_mul_f64 v[40:41], v[4:5], v[40:41]
	scratch_load_b128 v[191:194], off, off offset:688
	v_add_f64 v[195:196], v[195:196], v[207:208]
	v_add_f64 v[197:198], v[197:198], v[203:204]
	s_waitcnt vmcnt(8) lgkmcnt(0)
	v_mul_f64 v[203:204], v[6:7], v[189:190]
	v_mul_f64 v[189:190], v[8:9], v[189:190]
	v_fma_f64 v[201:202], v[4:5], v[38:39], v[201:202]
	v_fma_f64 v[207:208], v[2:3], v[38:39], -v[40:41]
	scratch_load_b128 v[38:41], off, off offset:704
	ds_load_b128 v[2:5], v1 offset:1344
	v_add_f64 v[195:196], v[195:196], v[205:206]
	v_add_f64 v[197:198], v[197:198], v[199:200]
	v_fma_f64 v[203:204], v[8:9], v[187:188], v[203:204]
	v_fma_f64 v[205:206], v[6:7], v[187:188], -v[189:190]
	ds_load_b128 v[6:9], v1 offset:1360
	s_waitcnt vmcnt(8) lgkmcnt(1)
	v_mul_f64 v[199:200], v[2:3], v[12:13]
	v_mul_f64 v[12:13], v[4:5], v[12:13]
	scratch_load_b128 v[187:190], off, off offset:720
	v_add_f64 v[195:196], v[195:196], v[207:208]
	v_add_f64 v[197:198], v[197:198], v[201:202]
	s_waitcnt vmcnt(8) lgkmcnt(0)
	v_mul_f64 v[201:202], v[6:7], v[16:17]
	v_mul_f64 v[16:17], v[8:9], v[16:17]
	v_fma_f64 v[199:200], v[4:5], v[10:11], v[199:200]
	v_fma_f64 v[207:208], v[2:3], v[10:11], -v[12:13]
	scratch_load_b128 v[10:13], off, off offset:736
	ds_load_b128 v[2:5], v1 offset:1376
	v_add_f64 v[195:196], v[195:196], v[205:206]
	v_add_f64 v[197:198], v[197:198], v[203:204]
	v_fma_f64 v[201:202], v[8:9], v[14:15], v[201:202]
	v_fma_f64 v[205:206], v[6:7], v[14:15], -v[16:17]
	ds_load_b128 v[6:9], v1 offset:1392
	s_waitcnt vmcnt(8) lgkmcnt(1)
	v_mul_f64 v[203:204], v[2:3], v[20:21]
	v_mul_f64 v[20:21], v[4:5], v[20:21]
	scratch_load_b128 v[14:17], off, off offset:752
	v_add_f64 v[195:196], v[195:196], v[207:208]
	v_add_f64 v[197:198], v[197:198], v[199:200]
	s_waitcnt vmcnt(8) lgkmcnt(0)
	v_mul_f64 v[199:200], v[6:7], v[24:25]
	v_mul_f64 v[24:25], v[8:9], v[24:25]
	v_fma_f64 v[203:204], v[4:5], v[18:19], v[203:204]
	v_fma_f64 v[18:19], v[2:3], v[18:19], -v[20:21]
	ds_load_b128 v[2:5], v1 offset:1408
	v_add_f64 v[20:21], v[195:196], v[205:206]
	v_add_f64 v[195:196], v[197:198], v[201:202]
	v_fma_f64 v[199:200], v[8:9], v[22:23], v[199:200]
	v_fma_f64 v[22:23], v[6:7], v[22:23], -v[24:25]
	ds_load_b128 v[6:9], v1 offset:1424
	s_waitcnt vmcnt(7) lgkmcnt(1)
	v_mul_f64 v[197:198], v[2:3], v[28:29]
	v_mul_f64 v[28:29], v[4:5], v[28:29]
	v_add_f64 v[18:19], v[20:21], v[18:19]
	v_add_f64 v[20:21], v[195:196], v[203:204]
	s_delay_alu instid0(VALU_DEP_4) | instskip(NEXT) | instid1(VALU_DEP_4)
	v_fma_f64 v[195:196], v[4:5], v[26:27], v[197:198]
	v_fma_f64 v[26:27], v[2:3], v[26:27], -v[28:29]
	ds_load_b128 v[2:5], v1 offset:1440
	v_add_f64 v[22:23], v[18:19], v[22:23]
	v_add_f64 v[28:29], v[20:21], v[199:200]
	scratch_load_b128 v[18:21], off, off offset:208
	s_waitcnt vmcnt(7) lgkmcnt(1)
	v_mul_f64 v[24:25], v[6:7], v[32:33]
	v_mul_f64 v[32:33], v[8:9], v[32:33]
	v_add_f64 v[22:23], v[22:23], v[26:27]
	v_add_f64 v[26:27], v[28:29], v[195:196]
	s_delay_alu instid0(VALU_DEP_4) | instskip(NEXT) | instid1(VALU_DEP_4)
	v_fma_f64 v[24:25], v[8:9], v[30:31], v[24:25]
	v_fma_f64 v[30:31], v[6:7], v[30:31], -v[32:33]
	ds_load_b128 v[6:9], v1 offset:1456
	s_waitcnt vmcnt(6) lgkmcnt(1)
	v_mul_f64 v[197:198], v[2:3], v[36:37]
	v_mul_f64 v[36:37], v[4:5], v[36:37]
	s_waitcnt vmcnt(5) lgkmcnt(0)
	v_mul_f64 v[28:29], v[6:7], v[193:194]
	v_mul_f64 v[32:33], v[8:9], v[193:194]
	v_add_f64 v[24:25], v[26:27], v[24:25]
	v_add_f64 v[22:23], v[22:23], v[30:31]
	v_fma_f64 v[193:194], v[4:5], v[34:35], v[197:198]
	v_fma_f64 v[34:35], v[2:3], v[34:35], -v[36:37]
	ds_load_b128 v[2:5], v1 offset:1472
	v_fma_f64 v[28:29], v[8:9], v[191:192], v[28:29]
	v_fma_f64 v[32:33], v[6:7], v[191:192], -v[32:33]
	ds_load_b128 v[6:9], v1 offset:1488
	s_waitcnt vmcnt(4) lgkmcnt(1)
	v_mul_f64 v[26:27], v[2:3], v[40:41]
	v_mul_f64 v[30:31], v[4:5], v[40:41]
	v_add_f64 v[24:25], v[24:25], v[193:194]
	v_add_f64 v[22:23], v[22:23], v[34:35]
	s_waitcnt vmcnt(3) lgkmcnt(0)
	v_mul_f64 v[34:35], v[6:7], v[189:190]
	v_mul_f64 v[36:37], v[8:9], v[189:190]
	v_fma_f64 v[26:27], v[4:5], v[38:39], v[26:27]
	v_fma_f64 v[30:31], v[2:3], v[38:39], -v[30:31]
	ds_load_b128 v[2:5], v1 offset:1504
	v_add_f64 v[24:25], v[24:25], v[28:29]
	v_add_f64 v[22:23], v[22:23], v[32:33]
	v_fma_f64 v[32:33], v[8:9], v[187:188], v[34:35]
	v_fma_f64 v[34:35], v[6:7], v[187:188], -v[36:37]
	ds_load_b128 v[6:9], v1 offset:1520
	s_waitcnt vmcnt(2) lgkmcnt(1)
	v_mul_f64 v[28:29], v[2:3], v[12:13]
	v_mul_f64 v[12:13], v[4:5], v[12:13]
	v_add_f64 v[24:25], v[24:25], v[26:27]
	v_add_f64 v[22:23], v[22:23], v[30:31]
	s_waitcnt vmcnt(1) lgkmcnt(0)
	v_mul_f64 v[26:27], v[6:7], v[16:17]
	v_mul_f64 v[16:17], v[8:9], v[16:17]
	v_fma_f64 v[4:5], v[4:5], v[10:11], v[28:29]
	v_fma_f64 v[1:2], v[2:3], v[10:11], -v[12:13]
	v_add_f64 v[12:13], v[24:25], v[32:33]
	v_add_f64 v[10:11], v[22:23], v[34:35]
	v_fma_f64 v[8:9], v[8:9], v[14:15], v[26:27]
	v_fma_f64 v[6:7], v[6:7], v[14:15], -v[16:17]
	s_delay_alu instid0(VALU_DEP_4) | instskip(NEXT) | instid1(VALU_DEP_4)
	v_add_f64 v[3:4], v[12:13], v[4:5]
	v_add_f64 v[1:2], v[10:11], v[1:2]
	s_delay_alu instid0(VALU_DEP_2) | instskip(NEXT) | instid1(VALU_DEP_2)
	v_add_f64 v[3:4], v[3:4], v[8:9]
	v_add_f64 v[1:2], v[1:2], v[6:7]
	s_waitcnt vmcnt(0)
	s_delay_alu instid0(VALU_DEP_2) | instskip(NEXT) | instid1(VALU_DEP_2)
	v_add_f64 v[3:4], v[20:21], -v[3:4]
	v_add_f64 v[1:2], v[18:19], -v[1:2]
	scratch_store_b128 off, v[1:4], off offset:208
	v_cmpx_lt_u32_e32 12, v138
	s_cbranch_execz .LBB111_277
; %bb.276:
	scratch_load_b128 v[1:4], v174, off
	v_mov_b32_e32 v5, 0
	s_delay_alu instid0(VALU_DEP_1)
	v_mov_b32_e32 v6, v5
	v_mov_b32_e32 v7, v5
	;; [unrolled: 1-line block ×3, first 2 shown]
	scratch_store_b128 off, v[5:8], off offset:192
	s_waitcnt vmcnt(0)
	ds_store_b128 v186, v[1:4]
.LBB111_277:
	s_or_b32 exec_lo, exec_lo, s2
	s_waitcnt lgkmcnt(0)
	s_waitcnt_vscnt null, 0x0
	s_barrier
	buffer_gl0_inv
	s_clause 0x7
	scratch_load_b128 v[2:5], off, off offset:208
	scratch_load_b128 v[6:9], off, off offset:224
	;; [unrolled: 1-line block ×8, first 2 shown]
	v_mov_b32_e32 v1, 0
	s_clause 0x1
	scratch_load_b128 v[34:37], off, off offset:336
	scratch_load_b128 v[191:194], off, off offset:352
	s_mov_b32 s2, exec_lo
	ds_load_b128 v[38:41], v1 offset:976
	ds_load_b128 v[187:190], v1 offset:992
	s_waitcnt vmcnt(9) lgkmcnt(1)
	v_mul_f64 v[195:196], v[40:41], v[4:5]
	v_mul_f64 v[4:5], v[38:39], v[4:5]
	s_waitcnt vmcnt(8) lgkmcnt(0)
	v_mul_f64 v[197:198], v[187:188], v[8:9]
	v_mul_f64 v[8:9], v[189:190], v[8:9]
	s_delay_alu instid0(VALU_DEP_4) | instskip(NEXT) | instid1(VALU_DEP_4)
	v_fma_f64 v[195:196], v[38:39], v[2:3], -v[195:196]
	v_fma_f64 v[199:200], v[40:41], v[2:3], v[4:5]
	ds_load_b128 v[2:5], v1 offset:1008
	scratch_load_b128 v[38:41], off, off offset:368
	v_fma_f64 v[197:198], v[189:190], v[6:7], v[197:198]
	v_fma_f64 v[203:204], v[187:188], v[6:7], -v[8:9]
	scratch_load_b128 v[187:190], off, off offset:384
	ds_load_b128 v[6:9], v1 offset:1024
	s_waitcnt vmcnt(9) lgkmcnt(1)
	v_mul_f64 v[201:202], v[2:3], v[12:13]
	v_mul_f64 v[12:13], v[4:5], v[12:13]
	s_waitcnt vmcnt(8) lgkmcnt(0)
	v_mul_f64 v[205:206], v[6:7], v[16:17]
	v_mul_f64 v[16:17], v[8:9], v[16:17]
	v_add_f64 v[195:196], v[195:196], 0
	v_add_f64 v[199:200], v[199:200], 0
	v_fma_f64 v[201:202], v[4:5], v[10:11], v[201:202]
	v_fma_f64 v[207:208], v[2:3], v[10:11], -v[12:13]
	ds_load_b128 v[2:5], v1 offset:1040
	scratch_load_b128 v[10:13], off, off offset:400
	v_add_f64 v[195:196], v[195:196], v[203:204]
	v_add_f64 v[197:198], v[199:200], v[197:198]
	v_fma_f64 v[203:204], v[8:9], v[14:15], v[205:206]
	v_fma_f64 v[205:206], v[6:7], v[14:15], -v[16:17]
	scratch_load_b128 v[14:17], off, off offset:416
	ds_load_b128 v[6:9], v1 offset:1056
	s_waitcnt vmcnt(9) lgkmcnt(1)
	v_mul_f64 v[199:200], v[2:3], v[20:21]
	v_mul_f64 v[20:21], v[4:5], v[20:21]
	v_add_f64 v[195:196], v[195:196], v[207:208]
	v_add_f64 v[197:198], v[197:198], v[201:202]
	s_waitcnt vmcnt(8) lgkmcnt(0)
	v_mul_f64 v[201:202], v[6:7], v[24:25]
	v_mul_f64 v[24:25], v[8:9], v[24:25]
	v_fma_f64 v[199:200], v[4:5], v[18:19], v[199:200]
	v_fma_f64 v[207:208], v[2:3], v[18:19], -v[20:21]
	ds_load_b128 v[2:5], v1 offset:1072
	scratch_load_b128 v[18:21], off, off offset:432
	v_add_f64 v[195:196], v[195:196], v[205:206]
	v_add_f64 v[197:198], v[197:198], v[203:204]
	v_fma_f64 v[201:202], v[8:9], v[22:23], v[201:202]
	v_fma_f64 v[205:206], v[6:7], v[22:23], -v[24:25]
	scratch_load_b128 v[22:25], off, off offset:448
	ds_load_b128 v[6:9], v1 offset:1088
	s_waitcnt vmcnt(9) lgkmcnt(1)
	v_mul_f64 v[203:204], v[2:3], v[28:29]
	v_mul_f64 v[28:29], v[4:5], v[28:29]
	v_add_f64 v[195:196], v[195:196], v[207:208]
	v_add_f64 v[197:198], v[197:198], v[199:200]
	s_waitcnt vmcnt(8) lgkmcnt(0)
	v_mul_f64 v[199:200], v[6:7], v[32:33]
	v_mul_f64 v[32:33], v[8:9], v[32:33]
	;; [unrolled: 18-line block ×8, first 2 shown]
	v_fma_f64 v[203:204], v[4:5], v[34:35], v[203:204]
	v_fma_f64 v[207:208], v[2:3], v[34:35], -v[36:37]
	ds_load_b128 v[2:5], v1 offset:1296
	scratch_load_b128 v[34:37], off, off offset:656
	v_add_f64 v[195:196], v[195:196], v[205:206]
	v_add_f64 v[197:198], v[197:198], v[201:202]
	v_fma_f64 v[199:200], v[8:9], v[191:192], v[199:200]
	v_fma_f64 v[205:206], v[6:7], v[191:192], -v[193:194]
	ds_load_b128 v[6:9], v1 offset:1312
	s_waitcnt vmcnt(8) lgkmcnt(1)
	v_mul_f64 v[201:202], v[2:3], v[40:41]
	v_mul_f64 v[40:41], v[4:5], v[40:41]
	scratch_load_b128 v[191:194], off, off offset:672
	v_add_f64 v[195:196], v[195:196], v[207:208]
	v_add_f64 v[197:198], v[197:198], v[203:204]
	s_waitcnt vmcnt(8) lgkmcnt(0)
	v_mul_f64 v[203:204], v[6:7], v[189:190]
	v_mul_f64 v[189:190], v[8:9], v[189:190]
	v_fma_f64 v[201:202], v[4:5], v[38:39], v[201:202]
	v_fma_f64 v[207:208], v[2:3], v[38:39], -v[40:41]
	scratch_load_b128 v[38:41], off, off offset:688
	ds_load_b128 v[2:5], v1 offset:1328
	v_add_f64 v[195:196], v[195:196], v[205:206]
	v_add_f64 v[197:198], v[197:198], v[199:200]
	v_fma_f64 v[203:204], v[8:9], v[187:188], v[203:204]
	v_fma_f64 v[205:206], v[6:7], v[187:188], -v[189:190]
	ds_load_b128 v[6:9], v1 offset:1344
	s_waitcnt vmcnt(8) lgkmcnt(1)
	v_mul_f64 v[199:200], v[2:3], v[12:13]
	v_mul_f64 v[12:13], v[4:5], v[12:13]
	scratch_load_b128 v[187:190], off, off offset:704
	v_add_f64 v[195:196], v[195:196], v[207:208]
	v_add_f64 v[197:198], v[197:198], v[201:202]
	s_waitcnt vmcnt(8) lgkmcnt(0)
	v_mul_f64 v[201:202], v[6:7], v[16:17]
	v_mul_f64 v[16:17], v[8:9], v[16:17]
	v_fma_f64 v[199:200], v[4:5], v[10:11], v[199:200]
	v_fma_f64 v[207:208], v[2:3], v[10:11], -v[12:13]
	scratch_load_b128 v[10:13], off, off offset:720
	ds_load_b128 v[2:5], v1 offset:1360
	;; [unrolled: 18-line block ×3, first 2 shown]
	v_add_f64 v[195:196], v[195:196], v[205:206]
	v_add_f64 v[197:198], v[197:198], v[201:202]
	v_fma_f64 v[199:200], v[8:9], v[22:23], v[199:200]
	v_fma_f64 v[22:23], v[6:7], v[22:23], -v[24:25]
	ds_load_b128 v[6:9], v1 offset:1408
	s_waitcnt vmcnt(8) lgkmcnt(1)
	v_mul_f64 v[201:202], v[2:3], v[28:29]
	v_mul_f64 v[28:29], v[4:5], v[28:29]
	v_add_f64 v[24:25], v[195:196], v[207:208]
	v_add_f64 v[195:196], v[197:198], v[203:204]
	s_waitcnt vmcnt(7) lgkmcnt(0)
	v_mul_f64 v[197:198], v[6:7], v[32:33]
	v_mul_f64 v[32:33], v[8:9], v[32:33]
	v_fma_f64 v[201:202], v[4:5], v[26:27], v[201:202]
	v_fma_f64 v[26:27], v[2:3], v[26:27], -v[28:29]
	ds_load_b128 v[2:5], v1 offset:1424
	v_add_f64 v[22:23], v[24:25], v[22:23]
	v_add_f64 v[24:25], v[195:196], v[199:200]
	v_fma_f64 v[195:196], v[8:9], v[30:31], v[197:198]
	v_fma_f64 v[30:31], v[6:7], v[30:31], -v[32:33]
	ds_load_b128 v[6:9], v1 offset:1440
	s_waitcnt vmcnt(5) lgkmcnt(0)
	v_mul_f64 v[197:198], v[6:7], v[193:194]
	v_mul_f64 v[193:194], v[8:9], v[193:194]
	v_add_f64 v[26:27], v[22:23], v[26:27]
	v_add_f64 v[32:33], v[24:25], v[201:202]
	scratch_load_b128 v[22:25], off, off offset:192
	v_mul_f64 v[28:29], v[2:3], v[36:37]
	v_mul_f64 v[36:37], v[4:5], v[36:37]
	v_add_f64 v[26:27], v[26:27], v[30:31]
	v_add_f64 v[30:31], v[32:33], v[195:196]
	s_delay_alu instid0(VALU_DEP_4) | instskip(NEXT) | instid1(VALU_DEP_4)
	v_fma_f64 v[28:29], v[4:5], v[34:35], v[28:29]
	v_fma_f64 v[34:35], v[2:3], v[34:35], -v[36:37]
	ds_load_b128 v[2:5], v1 offset:1456
	s_waitcnt vmcnt(5) lgkmcnt(0)
	v_mul_f64 v[32:33], v[2:3], v[40:41]
	v_mul_f64 v[36:37], v[4:5], v[40:41]
	v_fma_f64 v[40:41], v[8:9], v[191:192], v[197:198]
	v_fma_f64 v[191:192], v[6:7], v[191:192], -v[193:194]
	ds_load_b128 v[6:9], v1 offset:1472
	v_add_f64 v[28:29], v[30:31], v[28:29]
	v_add_f64 v[26:27], v[26:27], v[34:35]
	v_fma_f64 v[32:33], v[4:5], v[38:39], v[32:33]
	v_fma_f64 v[36:37], v[2:3], v[38:39], -v[36:37]
	ds_load_b128 v[2:5], v1 offset:1488
	s_waitcnt vmcnt(4) lgkmcnt(1)
	v_mul_f64 v[30:31], v[6:7], v[189:190]
	v_mul_f64 v[34:35], v[8:9], v[189:190]
	v_add_f64 v[28:29], v[28:29], v[40:41]
	v_add_f64 v[26:27], v[26:27], v[191:192]
	s_waitcnt vmcnt(3) lgkmcnt(0)
	v_mul_f64 v[38:39], v[2:3], v[12:13]
	v_mul_f64 v[12:13], v[4:5], v[12:13]
	v_fma_f64 v[30:31], v[8:9], v[187:188], v[30:31]
	v_fma_f64 v[34:35], v[6:7], v[187:188], -v[34:35]
	ds_load_b128 v[6:9], v1 offset:1504
	v_add_f64 v[28:29], v[28:29], v[32:33]
	v_add_f64 v[26:27], v[26:27], v[36:37]
	v_fma_f64 v[36:37], v[4:5], v[10:11], v[38:39]
	v_fma_f64 v[10:11], v[2:3], v[10:11], -v[12:13]
	ds_load_b128 v[2:5], v1 offset:1520
	s_waitcnt vmcnt(2) lgkmcnt(1)
	v_mul_f64 v[32:33], v[6:7], v[16:17]
	v_mul_f64 v[16:17], v[8:9], v[16:17]
	v_add_f64 v[12:13], v[26:27], v[34:35]
	v_add_f64 v[26:27], v[28:29], v[30:31]
	s_waitcnt vmcnt(1) lgkmcnt(0)
	v_mul_f64 v[28:29], v[2:3], v[20:21]
	v_mul_f64 v[20:21], v[4:5], v[20:21]
	v_fma_f64 v[8:9], v[8:9], v[14:15], v[32:33]
	v_fma_f64 v[6:7], v[6:7], v[14:15], -v[16:17]
	v_add_f64 v[10:11], v[12:13], v[10:11]
	v_add_f64 v[12:13], v[26:27], v[36:37]
	v_fma_f64 v[4:5], v[4:5], v[18:19], v[28:29]
	v_fma_f64 v[2:3], v[2:3], v[18:19], -v[20:21]
	s_delay_alu instid0(VALU_DEP_4) | instskip(NEXT) | instid1(VALU_DEP_4)
	v_add_f64 v[6:7], v[10:11], v[6:7]
	v_add_f64 v[8:9], v[12:13], v[8:9]
	s_delay_alu instid0(VALU_DEP_2) | instskip(NEXT) | instid1(VALU_DEP_2)
	v_add_f64 v[2:3], v[6:7], v[2:3]
	v_add_f64 v[4:5], v[8:9], v[4:5]
	s_waitcnt vmcnt(0)
	s_delay_alu instid0(VALU_DEP_2) | instskip(NEXT) | instid1(VALU_DEP_2)
	v_add_f64 v[2:3], v[22:23], -v[2:3]
	v_add_f64 v[4:5], v[24:25], -v[4:5]
	scratch_store_b128 off, v[2:5], off offset:192
	v_cmpx_lt_u32_e32 11, v138
	s_cbranch_execz .LBB111_279
; %bb.278:
	scratch_load_b128 v[5:8], v175, off
	v_mov_b32_e32 v2, v1
	v_mov_b32_e32 v3, v1
	;; [unrolled: 1-line block ×3, first 2 shown]
	scratch_store_b128 off, v[1:4], off offset:176
	s_waitcnt vmcnt(0)
	ds_store_b128 v186, v[5:8]
.LBB111_279:
	s_or_b32 exec_lo, exec_lo, s2
	s_waitcnt lgkmcnt(0)
	s_waitcnt_vscnt null, 0x0
	s_barrier
	buffer_gl0_inv
	s_clause 0x7
	scratch_load_b128 v[2:5], off, off offset:192
	scratch_load_b128 v[6:9], off, off offset:208
	;; [unrolled: 1-line block ×8, first 2 shown]
	ds_load_b128 v[38:41], v1 offset:960
	ds_load_b128 v[187:190], v1 offset:976
	s_clause 0x1
	scratch_load_b128 v[34:37], off, off offset:320
	scratch_load_b128 v[191:194], off, off offset:336
	s_mov_b32 s2, exec_lo
	s_waitcnt vmcnt(9) lgkmcnt(1)
	v_mul_f64 v[195:196], v[40:41], v[4:5]
	v_mul_f64 v[4:5], v[38:39], v[4:5]
	s_waitcnt vmcnt(8) lgkmcnt(0)
	v_mul_f64 v[197:198], v[187:188], v[8:9]
	v_mul_f64 v[8:9], v[189:190], v[8:9]
	s_delay_alu instid0(VALU_DEP_4) | instskip(NEXT) | instid1(VALU_DEP_4)
	v_fma_f64 v[195:196], v[38:39], v[2:3], -v[195:196]
	v_fma_f64 v[199:200], v[40:41], v[2:3], v[4:5]
	ds_load_b128 v[2:5], v1 offset:992
	scratch_load_b128 v[38:41], off, off offset:352
	v_fma_f64 v[197:198], v[189:190], v[6:7], v[197:198]
	v_fma_f64 v[203:204], v[187:188], v[6:7], -v[8:9]
	scratch_load_b128 v[187:190], off, off offset:368
	ds_load_b128 v[6:9], v1 offset:1008
	s_waitcnt vmcnt(9) lgkmcnt(1)
	v_mul_f64 v[201:202], v[2:3], v[12:13]
	v_mul_f64 v[12:13], v[4:5], v[12:13]
	s_waitcnt vmcnt(8) lgkmcnt(0)
	v_mul_f64 v[205:206], v[6:7], v[16:17]
	v_mul_f64 v[16:17], v[8:9], v[16:17]
	v_add_f64 v[195:196], v[195:196], 0
	v_add_f64 v[199:200], v[199:200], 0
	v_fma_f64 v[201:202], v[4:5], v[10:11], v[201:202]
	v_fma_f64 v[207:208], v[2:3], v[10:11], -v[12:13]
	ds_load_b128 v[2:5], v1 offset:1024
	scratch_load_b128 v[10:13], off, off offset:384
	v_add_f64 v[195:196], v[195:196], v[203:204]
	v_add_f64 v[197:198], v[199:200], v[197:198]
	v_fma_f64 v[203:204], v[8:9], v[14:15], v[205:206]
	v_fma_f64 v[205:206], v[6:7], v[14:15], -v[16:17]
	scratch_load_b128 v[14:17], off, off offset:400
	ds_load_b128 v[6:9], v1 offset:1040
	s_waitcnt vmcnt(9) lgkmcnt(1)
	v_mul_f64 v[199:200], v[2:3], v[20:21]
	v_mul_f64 v[20:21], v[4:5], v[20:21]
	v_add_f64 v[195:196], v[195:196], v[207:208]
	v_add_f64 v[197:198], v[197:198], v[201:202]
	s_waitcnt vmcnt(8) lgkmcnt(0)
	v_mul_f64 v[201:202], v[6:7], v[24:25]
	v_mul_f64 v[24:25], v[8:9], v[24:25]
	v_fma_f64 v[199:200], v[4:5], v[18:19], v[199:200]
	v_fma_f64 v[207:208], v[2:3], v[18:19], -v[20:21]
	ds_load_b128 v[2:5], v1 offset:1056
	scratch_load_b128 v[18:21], off, off offset:416
	v_add_f64 v[195:196], v[195:196], v[205:206]
	v_add_f64 v[197:198], v[197:198], v[203:204]
	v_fma_f64 v[201:202], v[8:9], v[22:23], v[201:202]
	v_fma_f64 v[205:206], v[6:7], v[22:23], -v[24:25]
	scratch_load_b128 v[22:25], off, off offset:432
	ds_load_b128 v[6:9], v1 offset:1072
	s_waitcnt vmcnt(9) lgkmcnt(1)
	v_mul_f64 v[203:204], v[2:3], v[28:29]
	v_mul_f64 v[28:29], v[4:5], v[28:29]
	v_add_f64 v[195:196], v[195:196], v[207:208]
	v_add_f64 v[197:198], v[197:198], v[199:200]
	s_waitcnt vmcnt(8) lgkmcnt(0)
	v_mul_f64 v[199:200], v[6:7], v[32:33]
	v_mul_f64 v[32:33], v[8:9], v[32:33]
	;; [unrolled: 18-line block ×8, first 2 shown]
	v_fma_f64 v[203:204], v[4:5], v[34:35], v[203:204]
	v_fma_f64 v[207:208], v[2:3], v[34:35], -v[36:37]
	ds_load_b128 v[2:5], v1 offset:1280
	scratch_load_b128 v[34:37], off, off offset:640
	v_add_f64 v[195:196], v[195:196], v[205:206]
	v_add_f64 v[197:198], v[197:198], v[201:202]
	v_fma_f64 v[199:200], v[8:9], v[191:192], v[199:200]
	v_fma_f64 v[205:206], v[6:7], v[191:192], -v[193:194]
	ds_load_b128 v[6:9], v1 offset:1296
	s_waitcnt vmcnt(8) lgkmcnt(1)
	v_mul_f64 v[201:202], v[2:3], v[40:41]
	v_mul_f64 v[40:41], v[4:5], v[40:41]
	scratch_load_b128 v[191:194], off, off offset:656
	v_add_f64 v[195:196], v[195:196], v[207:208]
	v_add_f64 v[197:198], v[197:198], v[203:204]
	s_waitcnt vmcnt(8) lgkmcnt(0)
	v_mul_f64 v[203:204], v[6:7], v[189:190]
	v_mul_f64 v[189:190], v[8:9], v[189:190]
	v_fma_f64 v[201:202], v[4:5], v[38:39], v[201:202]
	v_fma_f64 v[207:208], v[2:3], v[38:39], -v[40:41]
	ds_load_b128 v[2:5], v1 offset:1312
	scratch_load_b128 v[38:41], off, off offset:672
	v_add_f64 v[195:196], v[195:196], v[205:206]
	v_add_f64 v[197:198], v[197:198], v[199:200]
	v_fma_f64 v[203:204], v[8:9], v[187:188], v[203:204]
	v_fma_f64 v[205:206], v[6:7], v[187:188], -v[189:190]
	ds_load_b128 v[6:9], v1 offset:1328
	s_waitcnt vmcnt(8) lgkmcnt(1)
	v_mul_f64 v[199:200], v[2:3], v[12:13]
	v_mul_f64 v[12:13], v[4:5], v[12:13]
	scratch_load_b128 v[187:190], off, off offset:688
	v_add_f64 v[195:196], v[195:196], v[207:208]
	v_add_f64 v[197:198], v[197:198], v[201:202]
	s_waitcnt vmcnt(8) lgkmcnt(0)
	v_mul_f64 v[201:202], v[6:7], v[16:17]
	v_mul_f64 v[16:17], v[8:9], v[16:17]
	v_fma_f64 v[199:200], v[4:5], v[10:11], v[199:200]
	v_fma_f64 v[207:208], v[2:3], v[10:11], -v[12:13]
	scratch_load_b128 v[10:13], off, off offset:704
	ds_load_b128 v[2:5], v1 offset:1344
	v_add_f64 v[195:196], v[195:196], v[205:206]
	v_add_f64 v[197:198], v[197:198], v[203:204]
	v_fma_f64 v[201:202], v[8:9], v[14:15], v[201:202]
	v_fma_f64 v[205:206], v[6:7], v[14:15], -v[16:17]
	ds_load_b128 v[6:9], v1 offset:1360
	s_waitcnt vmcnt(8) lgkmcnt(1)
	v_mul_f64 v[203:204], v[2:3], v[20:21]
	v_mul_f64 v[20:21], v[4:5], v[20:21]
	scratch_load_b128 v[14:17], off, off offset:720
	v_add_f64 v[195:196], v[195:196], v[207:208]
	v_add_f64 v[197:198], v[197:198], v[199:200]
	s_waitcnt vmcnt(8) lgkmcnt(0)
	v_mul_f64 v[199:200], v[6:7], v[24:25]
	v_mul_f64 v[24:25], v[8:9], v[24:25]
	v_fma_f64 v[203:204], v[4:5], v[18:19], v[203:204]
	v_fma_f64 v[207:208], v[2:3], v[18:19], -v[20:21]
	scratch_load_b128 v[18:21], off, off offset:736
	ds_load_b128 v[2:5], v1 offset:1376
	v_add_f64 v[195:196], v[195:196], v[205:206]
	v_add_f64 v[197:198], v[197:198], v[201:202]
	v_fma_f64 v[199:200], v[8:9], v[22:23], v[199:200]
	v_fma_f64 v[205:206], v[6:7], v[22:23], -v[24:25]
	ds_load_b128 v[6:9], v1 offset:1392
	s_waitcnt vmcnt(8) lgkmcnt(1)
	v_mul_f64 v[201:202], v[2:3], v[28:29]
	v_mul_f64 v[28:29], v[4:5], v[28:29]
	scratch_load_b128 v[22:25], off, off offset:752
	v_add_f64 v[195:196], v[195:196], v[207:208]
	v_add_f64 v[197:198], v[197:198], v[203:204]
	s_waitcnt vmcnt(8) lgkmcnt(0)
	v_mul_f64 v[203:204], v[6:7], v[32:33]
	v_mul_f64 v[32:33], v[8:9], v[32:33]
	v_fma_f64 v[201:202], v[4:5], v[26:27], v[201:202]
	v_fma_f64 v[26:27], v[2:3], v[26:27], -v[28:29]
	ds_load_b128 v[2:5], v1 offset:1408
	v_add_f64 v[28:29], v[195:196], v[205:206]
	v_add_f64 v[195:196], v[197:198], v[199:200]
	v_fma_f64 v[199:200], v[8:9], v[30:31], v[203:204]
	v_fma_f64 v[30:31], v[6:7], v[30:31], -v[32:33]
	ds_load_b128 v[6:9], v1 offset:1424
	s_waitcnt vmcnt(7) lgkmcnt(1)
	v_mul_f64 v[197:198], v[2:3], v[36:37]
	v_mul_f64 v[36:37], v[4:5], v[36:37]
	v_add_f64 v[26:27], v[28:29], v[26:27]
	v_add_f64 v[28:29], v[195:196], v[201:202]
	s_delay_alu instid0(VALU_DEP_4) | instskip(NEXT) | instid1(VALU_DEP_4)
	v_fma_f64 v[195:196], v[4:5], v[34:35], v[197:198]
	v_fma_f64 v[34:35], v[2:3], v[34:35], -v[36:37]
	ds_load_b128 v[2:5], v1 offset:1440
	v_add_f64 v[30:31], v[26:27], v[30:31]
	v_add_f64 v[36:37], v[28:29], v[199:200]
	scratch_load_b128 v[26:29], off, off offset:176
	s_waitcnt vmcnt(7) lgkmcnt(1)
	v_mul_f64 v[32:33], v[6:7], v[193:194]
	v_mul_f64 v[193:194], v[8:9], v[193:194]
	v_add_f64 v[30:31], v[30:31], v[34:35]
	v_add_f64 v[34:35], v[36:37], v[195:196]
	s_delay_alu instid0(VALU_DEP_4) | instskip(NEXT) | instid1(VALU_DEP_4)
	v_fma_f64 v[32:33], v[8:9], v[191:192], v[32:33]
	v_fma_f64 v[191:192], v[6:7], v[191:192], -v[193:194]
	ds_load_b128 v[6:9], v1 offset:1456
	s_waitcnt vmcnt(6) lgkmcnt(1)
	v_mul_f64 v[197:198], v[2:3], v[40:41]
	v_mul_f64 v[40:41], v[4:5], v[40:41]
	s_waitcnt vmcnt(5) lgkmcnt(0)
	v_mul_f64 v[36:37], v[6:7], v[189:190]
	v_mul_f64 v[189:190], v[8:9], v[189:190]
	v_add_f64 v[32:33], v[34:35], v[32:33]
	v_add_f64 v[30:31], v[30:31], v[191:192]
	v_fma_f64 v[193:194], v[4:5], v[38:39], v[197:198]
	v_fma_f64 v[38:39], v[2:3], v[38:39], -v[40:41]
	ds_load_b128 v[2:5], v1 offset:1472
	v_fma_f64 v[36:37], v[8:9], v[187:188], v[36:37]
	v_fma_f64 v[40:41], v[6:7], v[187:188], -v[189:190]
	ds_load_b128 v[6:9], v1 offset:1488
	s_waitcnt vmcnt(4) lgkmcnt(1)
	v_mul_f64 v[34:35], v[2:3], v[12:13]
	v_mul_f64 v[12:13], v[4:5], v[12:13]
	v_add_f64 v[32:33], v[32:33], v[193:194]
	v_add_f64 v[30:31], v[30:31], v[38:39]
	s_waitcnt vmcnt(3) lgkmcnt(0)
	v_mul_f64 v[38:39], v[6:7], v[16:17]
	v_mul_f64 v[16:17], v[8:9], v[16:17]
	v_fma_f64 v[34:35], v[4:5], v[10:11], v[34:35]
	v_fma_f64 v[10:11], v[2:3], v[10:11], -v[12:13]
	ds_load_b128 v[2:5], v1 offset:1504
	v_add_f64 v[12:13], v[30:31], v[40:41]
	v_add_f64 v[30:31], v[32:33], v[36:37]
	v_fma_f64 v[36:37], v[8:9], v[14:15], v[38:39]
	v_fma_f64 v[14:15], v[6:7], v[14:15], -v[16:17]
	ds_load_b128 v[6:9], v1 offset:1520
	s_waitcnt vmcnt(2) lgkmcnt(1)
	v_mul_f64 v[32:33], v[2:3], v[20:21]
	v_mul_f64 v[20:21], v[4:5], v[20:21]
	s_waitcnt vmcnt(1) lgkmcnt(0)
	v_mul_f64 v[16:17], v[6:7], v[24:25]
	v_mul_f64 v[24:25], v[8:9], v[24:25]
	v_add_f64 v[10:11], v[12:13], v[10:11]
	v_add_f64 v[12:13], v[30:31], v[34:35]
	v_fma_f64 v[4:5], v[4:5], v[18:19], v[32:33]
	v_fma_f64 v[1:2], v[2:3], v[18:19], -v[20:21]
	v_fma_f64 v[8:9], v[8:9], v[22:23], v[16:17]
	v_fma_f64 v[6:7], v[6:7], v[22:23], -v[24:25]
	v_add_f64 v[10:11], v[10:11], v[14:15]
	v_add_f64 v[12:13], v[12:13], v[36:37]
	s_delay_alu instid0(VALU_DEP_2) | instskip(NEXT) | instid1(VALU_DEP_2)
	v_add_f64 v[1:2], v[10:11], v[1:2]
	v_add_f64 v[3:4], v[12:13], v[4:5]
	s_delay_alu instid0(VALU_DEP_2) | instskip(NEXT) | instid1(VALU_DEP_2)
	v_add_f64 v[1:2], v[1:2], v[6:7]
	v_add_f64 v[3:4], v[3:4], v[8:9]
	s_waitcnt vmcnt(0)
	s_delay_alu instid0(VALU_DEP_2) | instskip(NEXT) | instid1(VALU_DEP_2)
	v_add_f64 v[1:2], v[26:27], -v[1:2]
	v_add_f64 v[3:4], v[28:29], -v[3:4]
	scratch_store_b128 off, v[1:4], off offset:176
	v_cmpx_lt_u32_e32 10, v138
	s_cbranch_execz .LBB111_281
; %bb.280:
	scratch_load_b128 v[1:4], v176, off
	v_mov_b32_e32 v5, 0
	s_delay_alu instid0(VALU_DEP_1)
	v_mov_b32_e32 v6, v5
	v_mov_b32_e32 v7, v5
	v_mov_b32_e32 v8, v5
	scratch_store_b128 off, v[5:8], off offset:160
	s_waitcnt vmcnt(0)
	ds_store_b128 v186, v[1:4]
.LBB111_281:
	s_or_b32 exec_lo, exec_lo, s2
	s_waitcnt lgkmcnt(0)
	s_waitcnt_vscnt null, 0x0
	s_barrier
	buffer_gl0_inv
	s_clause 0x7
	scratch_load_b128 v[2:5], off, off offset:176
	scratch_load_b128 v[6:9], off, off offset:192
	;; [unrolled: 1-line block ×8, first 2 shown]
	v_mov_b32_e32 v1, 0
	s_clause 0x1
	scratch_load_b128 v[34:37], off, off offset:304
	scratch_load_b128 v[191:194], off, off offset:320
	s_mov_b32 s2, exec_lo
	ds_load_b128 v[38:41], v1 offset:944
	ds_load_b128 v[187:190], v1 offset:960
	s_waitcnt vmcnt(9) lgkmcnt(1)
	v_mul_f64 v[195:196], v[40:41], v[4:5]
	v_mul_f64 v[4:5], v[38:39], v[4:5]
	s_waitcnt vmcnt(8) lgkmcnt(0)
	v_mul_f64 v[197:198], v[187:188], v[8:9]
	v_mul_f64 v[8:9], v[189:190], v[8:9]
	s_delay_alu instid0(VALU_DEP_4) | instskip(NEXT) | instid1(VALU_DEP_4)
	v_fma_f64 v[195:196], v[38:39], v[2:3], -v[195:196]
	v_fma_f64 v[199:200], v[40:41], v[2:3], v[4:5]
	ds_load_b128 v[2:5], v1 offset:976
	scratch_load_b128 v[38:41], off, off offset:336
	v_fma_f64 v[197:198], v[189:190], v[6:7], v[197:198]
	v_fma_f64 v[203:204], v[187:188], v[6:7], -v[8:9]
	scratch_load_b128 v[187:190], off, off offset:352
	ds_load_b128 v[6:9], v1 offset:992
	s_waitcnt vmcnt(9) lgkmcnt(1)
	v_mul_f64 v[201:202], v[2:3], v[12:13]
	v_mul_f64 v[12:13], v[4:5], v[12:13]
	s_waitcnt vmcnt(8) lgkmcnt(0)
	v_mul_f64 v[205:206], v[6:7], v[16:17]
	v_mul_f64 v[16:17], v[8:9], v[16:17]
	v_add_f64 v[195:196], v[195:196], 0
	v_add_f64 v[199:200], v[199:200], 0
	v_fma_f64 v[201:202], v[4:5], v[10:11], v[201:202]
	v_fma_f64 v[207:208], v[2:3], v[10:11], -v[12:13]
	ds_load_b128 v[2:5], v1 offset:1008
	scratch_load_b128 v[10:13], off, off offset:368
	v_add_f64 v[195:196], v[195:196], v[203:204]
	v_add_f64 v[197:198], v[199:200], v[197:198]
	v_fma_f64 v[203:204], v[8:9], v[14:15], v[205:206]
	v_fma_f64 v[205:206], v[6:7], v[14:15], -v[16:17]
	scratch_load_b128 v[14:17], off, off offset:384
	ds_load_b128 v[6:9], v1 offset:1024
	s_waitcnt vmcnt(9) lgkmcnt(1)
	v_mul_f64 v[199:200], v[2:3], v[20:21]
	v_mul_f64 v[20:21], v[4:5], v[20:21]
	v_add_f64 v[195:196], v[195:196], v[207:208]
	v_add_f64 v[197:198], v[197:198], v[201:202]
	s_waitcnt vmcnt(8) lgkmcnt(0)
	v_mul_f64 v[201:202], v[6:7], v[24:25]
	v_mul_f64 v[24:25], v[8:9], v[24:25]
	v_fma_f64 v[199:200], v[4:5], v[18:19], v[199:200]
	v_fma_f64 v[207:208], v[2:3], v[18:19], -v[20:21]
	ds_load_b128 v[2:5], v1 offset:1040
	scratch_load_b128 v[18:21], off, off offset:400
	v_add_f64 v[195:196], v[195:196], v[205:206]
	v_add_f64 v[197:198], v[197:198], v[203:204]
	v_fma_f64 v[201:202], v[8:9], v[22:23], v[201:202]
	v_fma_f64 v[205:206], v[6:7], v[22:23], -v[24:25]
	scratch_load_b128 v[22:25], off, off offset:416
	ds_load_b128 v[6:9], v1 offset:1056
	s_waitcnt vmcnt(9) lgkmcnt(1)
	v_mul_f64 v[203:204], v[2:3], v[28:29]
	v_mul_f64 v[28:29], v[4:5], v[28:29]
	v_add_f64 v[195:196], v[195:196], v[207:208]
	v_add_f64 v[197:198], v[197:198], v[199:200]
	s_waitcnt vmcnt(8) lgkmcnt(0)
	v_mul_f64 v[199:200], v[6:7], v[32:33]
	v_mul_f64 v[32:33], v[8:9], v[32:33]
	;; [unrolled: 18-line block ×9, first 2 shown]
	v_fma_f64 v[201:202], v[4:5], v[38:39], v[201:202]
	v_fma_f64 v[207:208], v[2:3], v[38:39], -v[40:41]
	ds_load_b128 v[2:5], v1 offset:1296
	scratch_load_b128 v[38:41], off, off offset:656
	v_add_f64 v[195:196], v[195:196], v[205:206]
	v_add_f64 v[197:198], v[197:198], v[199:200]
	v_fma_f64 v[203:204], v[8:9], v[187:188], v[203:204]
	v_fma_f64 v[205:206], v[6:7], v[187:188], -v[189:190]
	ds_load_b128 v[6:9], v1 offset:1312
	s_waitcnt vmcnt(8) lgkmcnt(1)
	v_mul_f64 v[199:200], v[2:3], v[12:13]
	v_mul_f64 v[12:13], v[4:5], v[12:13]
	scratch_load_b128 v[187:190], off, off offset:672
	v_add_f64 v[195:196], v[195:196], v[207:208]
	v_add_f64 v[197:198], v[197:198], v[201:202]
	s_waitcnt vmcnt(8) lgkmcnt(0)
	v_mul_f64 v[201:202], v[6:7], v[16:17]
	v_mul_f64 v[16:17], v[8:9], v[16:17]
	v_fma_f64 v[199:200], v[4:5], v[10:11], v[199:200]
	v_fma_f64 v[207:208], v[2:3], v[10:11], -v[12:13]
	scratch_load_b128 v[10:13], off, off offset:688
	ds_load_b128 v[2:5], v1 offset:1328
	v_add_f64 v[195:196], v[195:196], v[205:206]
	v_add_f64 v[197:198], v[197:198], v[203:204]
	v_fma_f64 v[201:202], v[8:9], v[14:15], v[201:202]
	v_fma_f64 v[205:206], v[6:7], v[14:15], -v[16:17]
	ds_load_b128 v[6:9], v1 offset:1344
	s_waitcnt vmcnt(8) lgkmcnt(1)
	v_mul_f64 v[203:204], v[2:3], v[20:21]
	v_mul_f64 v[20:21], v[4:5], v[20:21]
	scratch_load_b128 v[14:17], off, off offset:704
	v_add_f64 v[195:196], v[195:196], v[207:208]
	v_add_f64 v[197:198], v[197:198], v[199:200]
	s_waitcnt vmcnt(8) lgkmcnt(0)
	v_mul_f64 v[199:200], v[6:7], v[24:25]
	v_mul_f64 v[24:25], v[8:9], v[24:25]
	v_fma_f64 v[203:204], v[4:5], v[18:19], v[203:204]
	v_fma_f64 v[207:208], v[2:3], v[18:19], -v[20:21]
	scratch_load_b128 v[18:21], off, off offset:720
	ds_load_b128 v[2:5], v1 offset:1360
	;; [unrolled: 18-line block ×3, first 2 shown]
	v_add_f64 v[195:196], v[195:196], v[205:206]
	v_add_f64 v[197:198], v[197:198], v[199:200]
	v_fma_f64 v[203:204], v[8:9], v[30:31], v[203:204]
	v_fma_f64 v[30:31], v[6:7], v[30:31], -v[32:33]
	ds_load_b128 v[6:9], v1 offset:1408
	s_waitcnt vmcnt(8) lgkmcnt(1)
	v_mul_f64 v[199:200], v[2:3], v[36:37]
	v_mul_f64 v[36:37], v[4:5], v[36:37]
	v_add_f64 v[32:33], v[195:196], v[207:208]
	v_add_f64 v[195:196], v[197:198], v[201:202]
	s_waitcnt vmcnt(7) lgkmcnt(0)
	v_mul_f64 v[197:198], v[6:7], v[193:194]
	v_mul_f64 v[193:194], v[8:9], v[193:194]
	v_fma_f64 v[199:200], v[4:5], v[34:35], v[199:200]
	v_fma_f64 v[34:35], v[2:3], v[34:35], -v[36:37]
	ds_load_b128 v[2:5], v1 offset:1424
	v_add_f64 v[30:31], v[32:33], v[30:31]
	v_add_f64 v[32:33], v[195:196], v[203:204]
	v_fma_f64 v[195:196], v[8:9], v[191:192], v[197:198]
	v_fma_f64 v[191:192], v[6:7], v[191:192], -v[193:194]
	ds_load_b128 v[6:9], v1 offset:1440
	s_waitcnt vmcnt(5) lgkmcnt(0)
	v_mul_f64 v[197:198], v[6:7], v[189:190]
	v_mul_f64 v[189:190], v[8:9], v[189:190]
	v_add_f64 v[34:35], v[30:31], v[34:35]
	v_add_f64 v[193:194], v[32:33], v[199:200]
	scratch_load_b128 v[30:33], off, off offset:160
	v_mul_f64 v[36:37], v[2:3], v[40:41]
	v_mul_f64 v[40:41], v[4:5], v[40:41]
	v_add_f64 v[34:35], v[34:35], v[191:192]
	s_delay_alu instid0(VALU_DEP_3) | instskip(NEXT) | instid1(VALU_DEP_3)
	v_fma_f64 v[36:37], v[4:5], v[38:39], v[36:37]
	v_fma_f64 v[38:39], v[2:3], v[38:39], -v[40:41]
	v_add_f64 v[40:41], v[193:194], v[195:196]
	ds_load_b128 v[2:5], v1 offset:1456
	v_fma_f64 v[193:194], v[8:9], v[187:188], v[197:198]
	v_fma_f64 v[187:188], v[6:7], v[187:188], -v[189:190]
	ds_load_b128 v[6:9], v1 offset:1472
	s_waitcnt vmcnt(5) lgkmcnt(1)
	v_mul_f64 v[191:192], v[2:3], v[12:13]
	v_mul_f64 v[12:13], v[4:5], v[12:13]
	v_add_f64 v[34:35], v[34:35], v[38:39]
	v_add_f64 v[36:37], v[40:41], v[36:37]
	s_waitcnt vmcnt(4) lgkmcnt(0)
	v_mul_f64 v[38:39], v[6:7], v[16:17]
	v_mul_f64 v[16:17], v[8:9], v[16:17]
	v_fma_f64 v[40:41], v[4:5], v[10:11], v[191:192]
	v_fma_f64 v[10:11], v[2:3], v[10:11], -v[12:13]
	ds_load_b128 v[2:5], v1 offset:1488
	v_add_f64 v[12:13], v[34:35], v[187:188]
	v_add_f64 v[34:35], v[36:37], v[193:194]
	v_fma_f64 v[38:39], v[8:9], v[14:15], v[38:39]
	v_fma_f64 v[14:15], v[6:7], v[14:15], -v[16:17]
	ds_load_b128 v[6:9], v1 offset:1504
	s_waitcnt vmcnt(3) lgkmcnt(1)
	v_mul_f64 v[36:37], v[2:3], v[20:21]
	v_mul_f64 v[20:21], v[4:5], v[20:21]
	s_waitcnt vmcnt(2) lgkmcnt(0)
	v_mul_f64 v[16:17], v[6:7], v[24:25]
	v_mul_f64 v[24:25], v[8:9], v[24:25]
	v_add_f64 v[10:11], v[12:13], v[10:11]
	v_add_f64 v[12:13], v[34:35], v[40:41]
	v_fma_f64 v[34:35], v[4:5], v[18:19], v[36:37]
	v_fma_f64 v[18:19], v[2:3], v[18:19], -v[20:21]
	ds_load_b128 v[2:5], v1 offset:1520
	v_fma_f64 v[8:9], v[8:9], v[22:23], v[16:17]
	v_fma_f64 v[6:7], v[6:7], v[22:23], -v[24:25]
	s_waitcnt vmcnt(1) lgkmcnt(0)
	v_mul_f64 v[20:21], v[4:5], v[28:29]
	v_add_f64 v[10:11], v[10:11], v[14:15]
	v_add_f64 v[12:13], v[12:13], v[38:39]
	v_mul_f64 v[14:15], v[2:3], v[28:29]
	s_delay_alu instid0(VALU_DEP_4) | instskip(NEXT) | instid1(VALU_DEP_4)
	v_fma_f64 v[2:3], v[2:3], v[26:27], -v[20:21]
	v_add_f64 v[10:11], v[10:11], v[18:19]
	s_delay_alu instid0(VALU_DEP_4) | instskip(NEXT) | instid1(VALU_DEP_4)
	v_add_f64 v[12:13], v[12:13], v[34:35]
	v_fma_f64 v[4:5], v[4:5], v[26:27], v[14:15]
	s_delay_alu instid0(VALU_DEP_3) | instskip(NEXT) | instid1(VALU_DEP_3)
	v_add_f64 v[6:7], v[10:11], v[6:7]
	v_add_f64 v[8:9], v[12:13], v[8:9]
	s_delay_alu instid0(VALU_DEP_2) | instskip(NEXT) | instid1(VALU_DEP_2)
	v_add_f64 v[2:3], v[6:7], v[2:3]
	v_add_f64 v[4:5], v[8:9], v[4:5]
	s_waitcnt vmcnt(0)
	s_delay_alu instid0(VALU_DEP_2) | instskip(NEXT) | instid1(VALU_DEP_2)
	v_add_f64 v[2:3], v[30:31], -v[2:3]
	v_add_f64 v[4:5], v[32:33], -v[4:5]
	scratch_store_b128 off, v[2:5], off offset:160
	v_cmpx_lt_u32_e32 9, v138
	s_cbranch_execz .LBB111_283
; %bb.282:
	scratch_load_b128 v[5:8], v177, off
	v_mov_b32_e32 v2, v1
	v_mov_b32_e32 v3, v1
	;; [unrolled: 1-line block ×3, first 2 shown]
	scratch_store_b128 off, v[1:4], off offset:144
	s_waitcnt vmcnt(0)
	ds_store_b128 v186, v[5:8]
.LBB111_283:
	s_or_b32 exec_lo, exec_lo, s2
	s_waitcnt lgkmcnt(0)
	s_waitcnt_vscnt null, 0x0
	s_barrier
	buffer_gl0_inv
	s_clause 0x7
	scratch_load_b128 v[2:5], off, off offset:160
	scratch_load_b128 v[6:9], off, off offset:176
	;; [unrolled: 1-line block ×8, first 2 shown]
	ds_load_b128 v[38:41], v1 offset:928
	ds_load_b128 v[187:190], v1 offset:944
	s_clause 0x1
	scratch_load_b128 v[34:37], off, off offset:288
	scratch_load_b128 v[191:194], off, off offset:304
	s_mov_b32 s2, exec_lo
	s_waitcnt vmcnt(9) lgkmcnt(1)
	v_mul_f64 v[195:196], v[40:41], v[4:5]
	v_mul_f64 v[4:5], v[38:39], v[4:5]
	s_waitcnt vmcnt(8) lgkmcnt(0)
	v_mul_f64 v[197:198], v[187:188], v[8:9]
	v_mul_f64 v[8:9], v[189:190], v[8:9]
	s_delay_alu instid0(VALU_DEP_4) | instskip(NEXT) | instid1(VALU_DEP_4)
	v_fma_f64 v[195:196], v[38:39], v[2:3], -v[195:196]
	v_fma_f64 v[199:200], v[40:41], v[2:3], v[4:5]
	ds_load_b128 v[2:5], v1 offset:960
	scratch_load_b128 v[38:41], off, off offset:320
	v_fma_f64 v[197:198], v[189:190], v[6:7], v[197:198]
	v_fma_f64 v[203:204], v[187:188], v[6:7], -v[8:9]
	scratch_load_b128 v[187:190], off, off offset:336
	ds_load_b128 v[6:9], v1 offset:976
	s_waitcnt vmcnt(9) lgkmcnt(1)
	v_mul_f64 v[201:202], v[2:3], v[12:13]
	v_mul_f64 v[12:13], v[4:5], v[12:13]
	s_waitcnt vmcnt(8) lgkmcnt(0)
	v_mul_f64 v[205:206], v[6:7], v[16:17]
	v_mul_f64 v[16:17], v[8:9], v[16:17]
	v_add_f64 v[195:196], v[195:196], 0
	v_add_f64 v[199:200], v[199:200], 0
	v_fma_f64 v[201:202], v[4:5], v[10:11], v[201:202]
	v_fma_f64 v[207:208], v[2:3], v[10:11], -v[12:13]
	ds_load_b128 v[2:5], v1 offset:992
	scratch_load_b128 v[10:13], off, off offset:352
	v_add_f64 v[195:196], v[195:196], v[203:204]
	v_add_f64 v[197:198], v[199:200], v[197:198]
	v_fma_f64 v[203:204], v[8:9], v[14:15], v[205:206]
	v_fma_f64 v[205:206], v[6:7], v[14:15], -v[16:17]
	scratch_load_b128 v[14:17], off, off offset:368
	ds_load_b128 v[6:9], v1 offset:1008
	s_waitcnt vmcnt(9) lgkmcnt(1)
	v_mul_f64 v[199:200], v[2:3], v[20:21]
	v_mul_f64 v[20:21], v[4:5], v[20:21]
	v_add_f64 v[195:196], v[195:196], v[207:208]
	v_add_f64 v[197:198], v[197:198], v[201:202]
	s_waitcnt vmcnt(8) lgkmcnt(0)
	v_mul_f64 v[201:202], v[6:7], v[24:25]
	v_mul_f64 v[24:25], v[8:9], v[24:25]
	v_fma_f64 v[199:200], v[4:5], v[18:19], v[199:200]
	v_fma_f64 v[207:208], v[2:3], v[18:19], -v[20:21]
	ds_load_b128 v[2:5], v1 offset:1024
	scratch_load_b128 v[18:21], off, off offset:384
	v_add_f64 v[195:196], v[195:196], v[205:206]
	v_add_f64 v[197:198], v[197:198], v[203:204]
	v_fma_f64 v[201:202], v[8:9], v[22:23], v[201:202]
	v_fma_f64 v[205:206], v[6:7], v[22:23], -v[24:25]
	scratch_load_b128 v[22:25], off, off offset:400
	ds_load_b128 v[6:9], v1 offset:1040
	s_waitcnt vmcnt(9) lgkmcnt(1)
	v_mul_f64 v[203:204], v[2:3], v[28:29]
	v_mul_f64 v[28:29], v[4:5], v[28:29]
	v_add_f64 v[195:196], v[195:196], v[207:208]
	v_add_f64 v[197:198], v[197:198], v[199:200]
	s_waitcnt vmcnt(8) lgkmcnt(0)
	v_mul_f64 v[199:200], v[6:7], v[32:33]
	v_mul_f64 v[32:33], v[8:9], v[32:33]
	;; [unrolled: 18-line block ×9, first 2 shown]
	v_fma_f64 v[201:202], v[4:5], v[38:39], v[201:202]
	v_fma_f64 v[207:208], v[2:3], v[38:39], -v[40:41]
	ds_load_b128 v[2:5], v1 offset:1280
	scratch_load_b128 v[38:41], off, off offset:640
	v_add_f64 v[195:196], v[195:196], v[205:206]
	v_add_f64 v[197:198], v[197:198], v[199:200]
	v_fma_f64 v[203:204], v[8:9], v[187:188], v[203:204]
	v_fma_f64 v[205:206], v[6:7], v[187:188], -v[189:190]
	ds_load_b128 v[6:9], v1 offset:1296
	s_waitcnt vmcnt(8) lgkmcnt(1)
	v_mul_f64 v[199:200], v[2:3], v[12:13]
	v_mul_f64 v[12:13], v[4:5], v[12:13]
	scratch_load_b128 v[187:190], off, off offset:656
	v_add_f64 v[195:196], v[195:196], v[207:208]
	v_add_f64 v[197:198], v[197:198], v[201:202]
	s_waitcnt vmcnt(8) lgkmcnt(0)
	v_mul_f64 v[201:202], v[6:7], v[16:17]
	v_mul_f64 v[16:17], v[8:9], v[16:17]
	v_fma_f64 v[199:200], v[4:5], v[10:11], v[199:200]
	v_fma_f64 v[207:208], v[2:3], v[10:11], -v[12:13]
	ds_load_b128 v[2:5], v1 offset:1312
	scratch_load_b128 v[10:13], off, off offset:672
	v_add_f64 v[195:196], v[195:196], v[205:206]
	v_add_f64 v[197:198], v[197:198], v[203:204]
	v_fma_f64 v[201:202], v[8:9], v[14:15], v[201:202]
	v_fma_f64 v[205:206], v[6:7], v[14:15], -v[16:17]
	ds_load_b128 v[6:9], v1 offset:1328
	s_waitcnt vmcnt(8) lgkmcnt(1)
	v_mul_f64 v[203:204], v[2:3], v[20:21]
	v_mul_f64 v[20:21], v[4:5], v[20:21]
	scratch_load_b128 v[14:17], off, off offset:688
	v_add_f64 v[195:196], v[195:196], v[207:208]
	v_add_f64 v[197:198], v[197:198], v[199:200]
	s_waitcnt vmcnt(8) lgkmcnt(0)
	v_mul_f64 v[199:200], v[6:7], v[24:25]
	v_mul_f64 v[24:25], v[8:9], v[24:25]
	v_fma_f64 v[203:204], v[4:5], v[18:19], v[203:204]
	v_fma_f64 v[207:208], v[2:3], v[18:19], -v[20:21]
	scratch_load_b128 v[18:21], off, off offset:704
	ds_load_b128 v[2:5], v1 offset:1344
	v_add_f64 v[195:196], v[195:196], v[205:206]
	v_add_f64 v[197:198], v[197:198], v[201:202]
	v_fma_f64 v[199:200], v[8:9], v[22:23], v[199:200]
	v_fma_f64 v[205:206], v[6:7], v[22:23], -v[24:25]
	ds_load_b128 v[6:9], v1 offset:1360
	s_waitcnt vmcnt(8) lgkmcnt(1)
	v_mul_f64 v[201:202], v[2:3], v[28:29]
	v_mul_f64 v[28:29], v[4:5], v[28:29]
	scratch_load_b128 v[22:25], off, off offset:720
	v_add_f64 v[195:196], v[195:196], v[207:208]
	v_add_f64 v[197:198], v[197:198], v[203:204]
	s_waitcnt vmcnt(8) lgkmcnt(0)
	v_mul_f64 v[203:204], v[6:7], v[32:33]
	v_mul_f64 v[32:33], v[8:9], v[32:33]
	v_fma_f64 v[201:202], v[4:5], v[26:27], v[201:202]
	v_fma_f64 v[207:208], v[2:3], v[26:27], -v[28:29]
	scratch_load_b128 v[26:29], off, off offset:736
	ds_load_b128 v[2:5], v1 offset:1376
	v_add_f64 v[195:196], v[195:196], v[205:206]
	v_add_f64 v[197:198], v[197:198], v[199:200]
	v_fma_f64 v[203:204], v[8:9], v[30:31], v[203:204]
	v_fma_f64 v[205:206], v[6:7], v[30:31], -v[32:33]
	ds_load_b128 v[6:9], v1 offset:1392
	s_waitcnt vmcnt(8) lgkmcnt(1)
	v_mul_f64 v[199:200], v[2:3], v[36:37]
	v_mul_f64 v[36:37], v[4:5], v[36:37]
	scratch_load_b128 v[30:33], off, off offset:752
	v_add_f64 v[195:196], v[195:196], v[207:208]
	v_add_f64 v[197:198], v[197:198], v[201:202]
	s_waitcnt vmcnt(8) lgkmcnt(0)
	v_mul_f64 v[201:202], v[6:7], v[193:194]
	v_mul_f64 v[193:194], v[8:9], v[193:194]
	v_fma_f64 v[199:200], v[4:5], v[34:35], v[199:200]
	v_fma_f64 v[34:35], v[2:3], v[34:35], -v[36:37]
	ds_load_b128 v[2:5], v1 offset:1408
	v_add_f64 v[36:37], v[195:196], v[205:206]
	v_add_f64 v[195:196], v[197:198], v[203:204]
	v_fma_f64 v[201:202], v[8:9], v[191:192], v[201:202]
	v_fma_f64 v[191:192], v[6:7], v[191:192], -v[193:194]
	ds_load_b128 v[6:9], v1 offset:1424
	s_waitcnt vmcnt(7) lgkmcnt(1)
	v_mul_f64 v[197:198], v[2:3], v[40:41]
	v_mul_f64 v[40:41], v[4:5], v[40:41]
	v_add_f64 v[34:35], v[36:37], v[34:35]
	v_add_f64 v[36:37], v[195:196], v[199:200]
	s_delay_alu instid0(VALU_DEP_4) | instskip(NEXT) | instid1(VALU_DEP_4)
	v_fma_f64 v[195:196], v[4:5], v[38:39], v[197:198]
	v_fma_f64 v[38:39], v[2:3], v[38:39], -v[40:41]
	ds_load_b128 v[2:5], v1 offset:1440
	v_add_f64 v[40:41], v[34:35], v[191:192]
	v_add_f64 v[191:192], v[36:37], v[201:202]
	scratch_load_b128 v[34:37], off, off offset:144
	s_waitcnt vmcnt(7) lgkmcnt(1)
	v_mul_f64 v[193:194], v[6:7], v[189:190]
	v_mul_f64 v[189:190], v[8:9], v[189:190]
	v_add_f64 v[38:39], v[40:41], v[38:39]
	v_add_f64 v[40:41], v[191:192], v[195:196]
	s_delay_alu instid0(VALU_DEP_4) | instskip(NEXT) | instid1(VALU_DEP_4)
	v_fma_f64 v[193:194], v[8:9], v[187:188], v[193:194]
	v_fma_f64 v[187:188], v[6:7], v[187:188], -v[189:190]
	ds_load_b128 v[6:9], v1 offset:1456
	s_waitcnt vmcnt(6) lgkmcnt(1)
	v_mul_f64 v[197:198], v[2:3], v[12:13]
	v_mul_f64 v[12:13], v[4:5], v[12:13]
	s_waitcnt vmcnt(5) lgkmcnt(0)
	v_mul_f64 v[189:190], v[6:7], v[16:17]
	v_mul_f64 v[16:17], v[8:9], v[16:17]
	s_delay_alu instid0(VALU_DEP_4) | instskip(NEXT) | instid1(VALU_DEP_4)
	v_fma_f64 v[191:192], v[4:5], v[10:11], v[197:198]
	v_fma_f64 v[10:11], v[2:3], v[10:11], -v[12:13]
	v_add_f64 v[12:13], v[38:39], v[187:188]
	v_add_f64 v[38:39], v[40:41], v[193:194]
	ds_load_b128 v[2:5], v1 offset:1472
	v_fma_f64 v[187:188], v[8:9], v[14:15], v[189:190]
	v_fma_f64 v[14:15], v[6:7], v[14:15], -v[16:17]
	ds_load_b128 v[6:9], v1 offset:1488
	s_waitcnt vmcnt(4) lgkmcnt(1)
	v_mul_f64 v[40:41], v[2:3], v[20:21]
	v_mul_f64 v[20:21], v[4:5], v[20:21]
	v_add_f64 v[10:11], v[12:13], v[10:11]
	v_add_f64 v[12:13], v[38:39], v[191:192]
	s_waitcnt vmcnt(3) lgkmcnt(0)
	v_mul_f64 v[16:17], v[6:7], v[24:25]
	v_mul_f64 v[24:25], v[8:9], v[24:25]
	v_fma_f64 v[38:39], v[4:5], v[18:19], v[40:41]
	v_fma_f64 v[18:19], v[2:3], v[18:19], -v[20:21]
	ds_load_b128 v[2:5], v1 offset:1504
	v_add_f64 v[10:11], v[10:11], v[14:15]
	v_add_f64 v[12:13], v[12:13], v[187:188]
	v_fma_f64 v[16:17], v[8:9], v[22:23], v[16:17]
	v_fma_f64 v[22:23], v[6:7], v[22:23], -v[24:25]
	ds_load_b128 v[6:9], v1 offset:1520
	s_waitcnt vmcnt(2) lgkmcnt(1)
	v_mul_f64 v[14:15], v[2:3], v[28:29]
	v_mul_f64 v[20:21], v[4:5], v[28:29]
	s_waitcnt vmcnt(1) lgkmcnt(0)
	v_mul_f64 v[24:25], v[8:9], v[32:33]
	v_add_f64 v[10:11], v[10:11], v[18:19]
	v_add_f64 v[12:13], v[12:13], v[38:39]
	v_mul_f64 v[18:19], v[6:7], v[32:33]
	v_fma_f64 v[4:5], v[4:5], v[26:27], v[14:15]
	v_fma_f64 v[1:2], v[2:3], v[26:27], -v[20:21]
	v_fma_f64 v[6:7], v[6:7], v[30:31], -v[24:25]
	v_add_f64 v[10:11], v[10:11], v[22:23]
	v_add_f64 v[12:13], v[12:13], v[16:17]
	v_fma_f64 v[8:9], v[8:9], v[30:31], v[18:19]
	s_delay_alu instid0(VALU_DEP_3) | instskip(NEXT) | instid1(VALU_DEP_3)
	v_add_f64 v[1:2], v[10:11], v[1:2]
	v_add_f64 v[3:4], v[12:13], v[4:5]
	s_delay_alu instid0(VALU_DEP_2) | instskip(NEXT) | instid1(VALU_DEP_2)
	v_add_f64 v[1:2], v[1:2], v[6:7]
	v_add_f64 v[3:4], v[3:4], v[8:9]
	s_waitcnt vmcnt(0)
	s_delay_alu instid0(VALU_DEP_2) | instskip(NEXT) | instid1(VALU_DEP_2)
	v_add_f64 v[1:2], v[34:35], -v[1:2]
	v_add_f64 v[3:4], v[36:37], -v[3:4]
	scratch_store_b128 off, v[1:4], off offset:144
	v_cmpx_lt_u32_e32 8, v138
	s_cbranch_execz .LBB111_285
; %bb.284:
	scratch_load_b128 v[1:4], v178, off
	v_mov_b32_e32 v5, 0
	s_delay_alu instid0(VALU_DEP_1)
	v_mov_b32_e32 v6, v5
	v_mov_b32_e32 v7, v5
	;; [unrolled: 1-line block ×3, first 2 shown]
	scratch_store_b128 off, v[5:8], off offset:128
	s_waitcnt vmcnt(0)
	ds_store_b128 v186, v[1:4]
.LBB111_285:
	s_or_b32 exec_lo, exec_lo, s2
	s_waitcnt lgkmcnt(0)
	s_waitcnt_vscnt null, 0x0
	s_barrier
	buffer_gl0_inv
	s_clause 0x7
	scratch_load_b128 v[2:5], off, off offset:144
	scratch_load_b128 v[6:9], off, off offset:160
	;; [unrolled: 1-line block ×8, first 2 shown]
	v_mov_b32_e32 v1, 0
	s_clause 0x1
	scratch_load_b128 v[34:37], off, off offset:272
	scratch_load_b128 v[191:194], off, off offset:288
	s_mov_b32 s2, exec_lo
	ds_load_b128 v[38:41], v1 offset:912
	ds_load_b128 v[187:190], v1 offset:928
	s_waitcnt vmcnt(9) lgkmcnt(1)
	v_mul_f64 v[195:196], v[40:41], v[4:5]
	v_mul_f64 v[4:5], v[38:39], v[4:5]
	s_waitcnt vmcnt(8) lgkmcnt(0)
	v_mul_f64 v[197:198], v[187:188], v[8:9]
	v_mul_f64 v[8:9], v[189:190], v[8:9]
	s_delay_alu instid0(VALU_DEP_4) | instskip(NEXT) | instid1(VALU_DEP_4)
	v_fma_f64 v[195:196], v[38:39], v[2:3], -v[195:196]
	v_fma_f64 v[199:200], v[40:41], v[2:3], v[4:5]
	ds_load_b128 v[2:5], v1 offset:944
	scratch_load_b128 v[38:41], off, off offset:304
	v_fma_f64 v[197:198], v[189:190], v[6:7], v[197:198]
	v_fma_f64 v[203:204], v[187:188], v[6:7], -v[8:9]
	scratch_load_b128 v[187:190], off, off offset:320
	ds_load_b128 v[6:9], v1 offset:960
	s_waitcnt vmcnt(9) lgkmcnt(1)
	v_mul_f64 v[201:202], v[2:3], v[12:13]
	v_mul_f64 v[12:13], v[4:5], v[12:13]
	s_waitcnt vmcnt(8) lgkmcnt(0)
	v_mul_f64 v[205:206], v[6:7], v[16:17]
	v_mul_f64 v[16:17], v[8:9], v[16:17]
	v_add_f64 v[195:196], v[195:196], 0
	v_add_f64 v[199:200], v[199:200], 0
	v_fma_f64 v[201:202], v[4:5], v[10:11], v[201:202]
	v_fma_f64 v[207:208], v[2:3], v[10:11], -v[12:13]
	ds_load_b128 v[2:5], v1 offset:976
	scratch_load_b128 v[10:13], off, off offset:336
	v_add_f64 v[195:196], v[195:196], v[203:204]
	v_add_f64 v[197:198], v[199:200], v[197:198]
	v_fma_f64 v[203:204], v[8:9], v[14:15], v[205:206]
	v_fma_f64 v[205:206], v[6:7], v[14:15], -v[16:17]
	scratch_load_b128 v[14:17], off, off offset:352
	ds_load_b128 v[6:9], v1 offset:992
	s_waitcnt vmcnt(9) lgkmcnt(1)
	v_mul_f64 v[199:200], v[2:3], v[20:21]
	v_mul_f64 v[20:21], v[4:5], v[20:21]
	v_add_f64 v[195:196], v[195:196], v[207:208]
	v_add_f64 v[197:198], v[197:198], v[201:202]
	s_waitcnt vmcnt(8) lgkmcnt(0)
	v_mul_f64 v[201:202], v[6:7], v[24:25]
	v_mul_f64 v[24:25], v[8:9], v[24:25]
	v_fma_f64 v[199:200], v[4:5], v[18:19], v[199:200]
	v_fma_f64 v[207:208], v[2:3], v[18:19], -v[20:21]
	ds_load_b128 v[2:5], v1 offset:1008
	scratch_load_b128 v[18:21], off, off offset:368
	v_add_f64 v[195:196], v[195:196], v[205:206]
	v_add_f64 v[197:198], v[197:198], v[203:204]
	v_fma_f64 v[201:202], v[8:9], v[22:23], v[201:202]
	v_fma_f64 v[205:206], v[6:7], v[22:23], -v[24:25]
	scratch_load_b128 v[22:25], off, off offset:384
	ds_load_b128 v[6:9], v1 offset:1024
	s_waitcnt vmcnt(9) lgkmcnt(1)
	v_mul_f64 v[203:204], v[2:3], v[28:29]
	v_mul_f64 v[28:29], v[4:5], v[28:29]
	v_add_f64 v[195:196], v[195:196], v[207:208]
	v_add_f64 v[197:198], v[197:198], v[199:200]
	s_waitcnt vmcnt(8) lgkmcnt(0)
	v_mul_f64 v[199:200], v[6:7], v[32:33]
	v_mul_f64 v[32:33], v[8:9], v[32:33]
	;; [unrolled: 18-line block ×10, first 2 shown]
	v_fma_f64 v[199:200], v[4:5], v[10:11], v[199:200]
	v_fma_f64 v[207:208], v[2:3], v[10:11], -v[12:13]
	ds_load_b128 v[2:5], v1 offset:1296
	scratch_load_b128 v[10:13], off, off offset:656
	v_add_f64 v[195:196], v[195:196], v[205:206]
	v_add_f64 v[197:198], v[197:198], v[203:204]
	v_fma_f64 v[201:202], v[8:9], v[14:15], v[201:202]
	v_fma_f64 v[205:206], v[6:7], v[14:15], -v[16:17]
	ds_load_b128 v[6:9], v1 offset:1312
	s_waitcnt vmcnt(8) lgkmcnt(1)
	v_mul_f64 v[203:204], v[2:3], v[20:21]
	v_mul_f64 v[20:21], v[4:5], v[20:21]
	scratch_load_b128 v[14:17], off, off offset:672
	v_add_f64 v[195:196], v[195:196], v[207:208]
	v_add_f64 v[197:198], v[197:198], v[199:200]
	s_waitcnt vmcnt(8) lgkmcnt(0)
	v_mul_f64 v[199:200], v[6:7], v[24:25]
	v_mul_f64 v[24:25], v[8:9], v[24:25]
	v_fma_f64 v[203:204], v[4:5], v[18:19], v[203:204]
	v_fma_f64 v[207:208], v[2:3], v[18:19], -v[20:21]
	scratch_load_b128 v[18:21], off, off offset:688
	ds_load_b128 v[2:5], v1 offset:1328
	v_add_f64 v[195:196], v[195:196], v[205:206]
	v_add_f64 v[197:198], v[197:198], v[201:202]
	v_fma_f64 v[199:200], v[8:9], v[22:23], v[199:200]
	v_fma_f64 v[205:206], v[6:7], v[22:23], -v[24:25]
	ds_load_b128 v[6:9], v1 offset:1344
	s_waitcnt vmcnt(8) lgkmcnt(1)
	v_mul_f64 v[201:202], v[2:3], v[28:29]
	v_mul_f64 v[28:29], v[4:5], v[28:29]
	scratch_load_b128 v[22:25], off, off offset:704
	v_add_f64 v[195:196], v[195:196], v[207:208]
	v_add_f64 v[197:198], v[197:198], v[203:204]
	s_waitcnt vmcnt(8) lgkmcnt(0)
	v_mul_f64 v[203:204], v[6:7], v[32:33]
	v_mul_f64 v[32:33], v[8:9], v[32:33]
	v_fma_f64 v[201:202], v[4:5], v[26:27], v[201:202]
	v_fma_f64 v[207:208], v[2:3], v[26:27], -v[28:29]
	scratch_load_b128 v[26:29], off, off offset:720
	ds_load_b128 v[2:5], v1 offset:1360
	;; [unrolled: 18-line block ×3, first 2 shown]
	v_add_f64 v[195:196], v[195:196], v[205:206]
	v_add_f64 v[197:198], v[197:198], v[203:204]
	v_fma_f64 v[201:202], v[8:9], v[191:192], v[201:202]
	v_fma_f64 v[191:192], v[6:7], v[191:192], -v[193:194]
	ds_load_b128 v[6:9], v1 offset:1408
	s_waitcnt vmcnt(8) lgkmcnt(1)
	v_mul_f64 v[203:204], v[2:3], v[40:41]
	v_mul_f64 v[40:41], v[4:5], v[40:41]
	v_add_f64 v[193:194], v[195:196], v[207:208]
	v_add_f64 v[195:196], v[197:198], v[199:200]
	s_waitcnt vmcnt(7) lgkmcnt(0)
	v_mul_f64 v[197:198], v[6:7], v[189:190]
	v_mul_f64 v[189:190], v[8:9], v[189:190]
	v_fma_f64 v[199:200], v[4:5], v[38:39], v[203:204]
	v_fma_f64 v[38:39], v[2:3], v[38:39], -v[40:41]
	ds_load_b128 v[2:5], v1 offset:1424
	v_add_f64 v[40:41], v[193:194], v[191:192]
	v_add_f64 v[191:192], v[195:196], v[201:202]
	v_fma_f64 v[195:196], v[8:9], v[187:188], v[197:198]
	v_fma_f64 v[187:188], v[6:7], v[187:188], -v[189:190]
	ds_load_b128 v[6:9], v1 offset:1440
	s_waitcnt vmcnt(5) lgkmcnt(0)
	v_mul_f64 v[197:198], v[6:7], v[16:17]
	v_mul_f64 v[16:17], v[8:9], v[16:17]
	v_add_f64 v[189:190], v[40:41], v[38:39]
	v_add_f64 v[191:192], v[191:192], v[199:200]
	scratch_load_b128 v[38:41], off, off offset:128
	v_mul_f64 v[193:194], v[2:3], v[12:13]
	v_mul_f64 v[12:13], v[4:5], v[12:13]
	s_delay_alu instid0(VALU_DEP_2) | instskip(NEXT) | instid1(VALU_DEP_2)
	v_fma_f64 v[193:194], v[4:5], v[10:11], v[193:194]
	v_fma_f64 v[10:11], v[2:3], v[10:11], -v[12:13]
	v_add_f64 v[12:13], v[189:190], v[187:188]
	v_add_f64 v[187:188], v[191:192], v[195:196]
	ds_load_b128 v[2:5], v1 offset:1456
	v_fma_f64 v[191:192], v[8:9], v[14:15], v[197:198]
	v_fma_f64 v[14:15], v[6:7], v[14:15], -v[16:17]
	ds_load_b128 v[6:9], v1 offset:1472
	s_waitcnt vmcnt(5) lgkmcnt(1)
	v_mul_f64 v[189:190], v[2:3], v[20:21]
	v_mul_f64 v[20:21], v[4:5], v[20:21]
	s_waitcnt vmcnt(4) lgkmcnt(0)
	v_mul_f64 v[16:17], v[6:7], v[24:25]
	v_mul_f64 v[24:25], v[8:9], v[24:25]
	v_add_f64 v[10:11], v[12:13], v[10:11]
	v_add_f64 v[12:13], v[187:188], v[193:194]
	v_fma_f64 v[187:188], v[4:5], v[18:19], v[189:190]
	v_fma_f64 v[18:19], v[2:3], v[18:19], -v[20:21]
	ds_load_b128 v[2:5], v1 offset:1488
	v_fma_f64 v[16:17], v[8:9], v[22:23], v[16:17]
	v_fma_f64 v[22:23], v[6:7], v[22:23], -v[24:25]
	ds_load_b128 v[6:9], v1 offset:1504
	v_add_f64 v[10:11], v[10:11], v[14:15]
	v_add_f64 v[12:13], v[12:13], v[191:192]
	s_waitcnt vmcnt(3) lgkmcnt(1)
	v_mul_f64 v[14:15], v[2:3], v[28:29]
	v_mul_f64 v[20:21], v[4:5], v[28:29]
	s_waitcnt vmcnt(2) lgkmcnt(0)
	v_mul_f64 v[24:25], v[8:9], v[32:33]
	v_add_f64 v[10:11], v[10:11], v[18:19]
	v_add_f64 v[12:13], v[12:13], v[187:188]
	v_mul_f64 v[18:19], v[6:7], v[32:33]
	v_fma_f64 v[14:15], v[4:5], v[26:27], v[14:15]
	v_fma_f64 v[20:21], v[2:3], v[26:27], -v[20:21]
	ds_load_b128 v[2:5], v1 offset:1520
	v_fma_f64 v[6:7], v[6:7], v[30:31], -v[24:25]
	v_add_f64 v[10:11], v[10:11], v[22:23]
	v_add_f64 v[12:13], v[12:13], v[16:17]
	s_waitcnt vmcnt(1) lgkmcnt(0)
	v_mul_f64 v[16:17], v[2:3], v[36:37]
	v_mul_f64 v[22:23], v[4:5], v[36:37]
	v_fma_f64 v[8:9], v[8:9], v[30:31], v[18:19]
	v_add_f64 v[10:11], v[10:11], v[20:21]
	v_add_f64 v[12:13], v[12:13], v[14:15]
	v_fma_f64 v[4:5], v[4:5], v[34:35], v[16:17]
	v_fma_f64 v[2:3], v[2:3], v[34:35], -v[22:23]
	s_delay_alu instid0(VALU_DEP_4) | instskip(NEXT) | instid1(VALU_DEP_4)
	v_add_f64 v[6:7], v[10:11], v[6:7]
	v_add_f64 v[8:9], v[12:13], v[8:9]
	s_delay_alu instid0(VALU_DEP_2) | instskip(NEXT) | instid1(VALU_DEP_2)
	v_add_f64 v[2:3], v[6:7], v[2:3]
	v_add_f64 v[4:5], v[8:9], v[4:5]
	s_waitcnt vmcnt(0)
	s_delay_alu instid0(VALU_DEP_2) | instskip(NEXT) | instid1(VALU_DEP_2)
	v_add_f64 v[2:3], v[38:39], -v[2:3]
	v_add_f64 v[4:5], v[40:41], -v[4:5]
	scratch_store_b128 off, v[2:5], off offset:128
	v_cmpx_lt_u32_e32 7, v138
	s_cbranch_execz .LBB111_287
; %bb.286:
	scratch_load_b128 v[5:8], v179, off
	v_mov_b32_e32 v2, v1
	v_mov_b32_e32 v3, v1
	;; [unrolled: 1-line block ×3, first 2 shown]
	scratch_store_b128 off, v[1:4], off offset:112
	s_waitcnt vmcnt(0)
	ds_store_b128 v186, v[5:8]
.LBB111_287:
	s_or_b32 exec_lo, exec_lo, s2
	s_waitcnt lgkmcnt(0)
	s_waitcnt_vscnt null, 0x0
	s_barrier
	buffer_gl0_inv
	s_clause 0x7
	scratch_load_b128 v[2:5], off, off offset:128
	scratch_load_b128 v[6:9], off, off offset:144
	;; [unrolled: 1-line block ×8, first 2 shown]
	ds_load_b128 v[38:41], v1 offset:896
	ds_load_b128 v[187:190], v1 offset:912
	s_clause 0x1
	scratch_load_b128 v[34:37], off, off offset:256
	scratch_load_b128 v[191:194], off, off offset:272
	s_mov_b32 s2, exec_lo
	s_waitcnt vmcnt(9) lgkmcnt(1)
	v_mul_f64 v[195:196], v[40:41], v[4:5]
	v_mul_f64 v[4:5], v[38:39], v[4:5]
	s_waitcnt vmcnt(8) lgkmcnt(0)
	v_mul_f64 v[197:198], v[187:188], v[8:9]
	v_mul_f64 v[8:9], v[189:190], v[8:9]
	s_delay_alu instid0(VALU_DEP_4) | instskip(NEXT) | instid1(VALU_DEP_4)
	v_fma_f64 v[195:196], v[38:39], v[2:3], -v[195:196]
	v_fma_f64 v[199:200], v[40:41], v[2:3], v[4:5]
	ds_load_b128 v[2:5], v1 offset:928
	scratch_load_b128 v[38:41], off, off offset:288
	v_fma_f64 v[197:198], v[189:190], v[6:7], v[197:198]
	v_fma_f64 v[203:204], v[187:188], v[6:7], -v[8:9]
	scratch_load_b128 v[187:190], off, off offset:304
	ds_load_b128 v[6:9], v1 offset:944
	s_waitcnt vmcnt(9) lgkmcnt(1)
	v_mul_f64 v[201:202], v[2:3], v[12:13]
	v_mul_f64 v[12:13], v[4:5], v[12:13]
	s_waitcnt vmcnt(8) lgkmcnt(0)
	v_mul_f64 v[205:206], v[6:7], v[16:17]
	v_mul_f64 v[16:17], v[8:9], v[16:17]
	v_add_f64 v[195:196], v[195:196], 0
	v_add_f64 v[199:200], v[199:200], 0
	v_fma_f64 v[201:202], v[4:5], v[10:11], v[201:202]
	v_fma_f64 v[207:208], v[2:3], v[10:11], -v[12:13]
	ds_load_b128 v[2:5], v1 offset:960
	scratch_load_b128 v[10:13], off, off offset:320
	v_add_f64 v[195:196], v[195:196], v[203:204]
	v_add_f64 v[197:198], v[199:200], v[197:198]
	v_fma_f64 v[203:204], v[8:9], v[14:15], v[205:206]
	v_fma_f64 v[205:206], v[6:7], v[14:15], -v[16:17]
	scratch_load_b128 v[14:17], off, off offset:336
	ds_load_b128 v[6:9], v1 offset:976
	s_waitcnt vmcnt(9) lgkmcnt(1)
	v_mul_f64 v[199:200], v[2:3], v[20:21]
	v_mul_f64 v[20:21], v[4:5], v[20:21]
	v_add_f64 v[195:196], v[195:196], v[207:208]
	v_add_f64 v[197:198], v[197:198], v[201:202]
	s_waitcnt vmcnt(8) lgkmcnt(0)
	v_mul_f64 v[201:202], v[6:7], v[24:25]
	v_mul_f64 v[24:25], v[8:9], v[24:25]
	v_fma_f64 v[199:200], v[4:5], v[18:19], v[199:200]
	v_fma_f64 v[207:208], v[2:3], v[18:19], -v[20:21]
	ds_load_b128 v[2:5], v1 offset:992
	scratch_load_b128 v[18:21], off, off offset:352
	v_add_f64 v[195:196], v[195:196], v[205:206]
	v_add_f64 v[197:198], v[197:198], v[203:204]
	v_fma_f64 v[201:202], v[8:9], v[22:23], v[201:202]
	v_fma_f64 v[205:206], v[6:7], v[22:23], -v[24:25]
	scratch_load_b128 v[22:25], off, off offset:368
	ds_load_b128 v[6:9], v1 offset:1008
	s_waitcnt vmcnt(9) lgkmcnt(1)
	v_mul_f64 v[203:204], v[2:3], v[28:29]
	v_mul_f64 v[28:29], v[4:5], v[28:29]
	v_add_f64 v[195:196], v[195:196], v[207:208]
	v_add_f64 v[197:198], v[197:198], v[199:200]
	s_waitcnt vmcnt(8) lgkmcnt(0)
	v_mul_f64 v[199:200], v[6:7], v[32:33]
	v_mul_f64 v[32:33], v[8:9], v[32:33]
	;; [unrolled: 18-line block ×5, first 2 shown]
	v_fma_f64 v[203:204], v[4:5], v[10:11], v[203:204]
	v_fma_f64 v[207:208], v[2:3], v[10:11], -v[12:13]
	scratch_load_b128 v[10:13], off, off offset:480
	ds_load_b128 v[2:5], v1 offset:1120
	v_add_f64 v[195:196], v[195:196], v[205:206]
	v_add_f64 v[197:198], v[197:198], v[201:202]
	v_fma_f64 v[199:200], v[8:9], v[14:15], v[199:200]
	v_fma_f64 v[205:206], v[6:7], v[14:15], -v[16:17]
	ds_load_b128 v[6:9], v1 offset:1136
	s_waitcnt vmcnt(8) lgkmcnt(1)
	v_mul_f64 v[201:202], v[2:3], v[20:21]
	v_mul_f64 v[20:21], v[4:5], v[20:21]
	scratch_load_b128 v[14:17], off, off offset:496
	v_add_f64 v[195:196], v[195:196], v[207:208]
	v_add_f64 v[197:198], v[197:198], v[203:204]
	s_waitcnt vmcnt(8) lgkmcnt(0)
	v_mul_f64 v[203:204], v[6:7], v[24:25]
	v_mul_f64 v[24:25], v[8:9], v[24:25]
	v_fma_f64 v[201:202], v[4:5], v[18:19], v[201:202]
	v_fma_f64 v[207:208], v[2:3], v[18:19], -v[20:21]
	ds_load_b128 v[2:5], v1 offset:1152
	scratch_load_b128 v[18:21], off, off offset:512
	v_add_f64 v[195:196], v[195:196], v[205:206]
	v_add_f64 v[197:198], v[197:198], v[199:200]
	v_fma_f64 v[203:204], v[8:9], v[22:23], v[203:204]
	v_fma_f64 v[205:206], v[6:7], v[22:23], -v[24:25]
	scratch_load_b128 v[22:25], off, off offset:528
	ds_load_b128 v[6:9], v1 offset:1168
	s_waitcnt vmcnt(9) lgkmcnt(1)
	v_mul_f64 v[199:200], v[2:3], v[28:29]
	v_mul_f64 v[28:29], v[4:5], v[28:29]
	v_add_f64 v[195:196], v[195:196], v[207:208]
	v_add_f64 v[197:198], v[197:198], v[201:202]
	s_waitcnt vmcnt(8) lgkmcnt(0)
	v_mul_f64 v[201:202], v[6:7], v[32:33]
	v_mul_f64 v[32:33], v[8:9], v[32:33]
	v_fma_f64 v[199:200], v[4:5], v[26:27], v[199:200]
	v_fma_f64 v[207:208], v[2:3], v[26:27], -v[28:29]
	ds_load_b128 v[2:5], v1 offset:1184
	scratch_load_b128 v[26:29], off, off offset:544
	v_add_f64 v[195:196], v[195:196], v[205:206]
	v_add_f64 v[197:198], v[197:198], v[203:204]
	v_fma_f64 v[201:202], v[8:9], v[30:31], v[201:202]
	v_fma_f64 v[205:206], v[6:7], v[30:31], -v[32:33]
	scratch_load_b128 v[30:33], off, off offset:560
	ds_load_b128 v[6:9], v1 offset:1200
	s_waitcnt vmcnt(9) lgkmcnt(1)
	v_mul_f64 v[203:204], v[2:3], v[36:37]
	v_mul_f64 v[36:37], v[4:5], v[36:37]
	;; [unrolled: 18-line block ×3, first 2 shown]
	v_add_f64 v[195:196], v[195:196], v[207:208]
	v_add_f64 v[197:198], v[197:198], v[203:204]
	s_waitcnt vmcnt(8) lgkmcnt(0)
	v_mul_f64 v[203:204], v[6:7], v[189:190]
	v_mul_f64 v[189:190], v[8:9], v[189:190]
	v_fma_f64 v[201:202], v[4:5], v[38:39], v[201:202]
	v_fma_f64 v[207:208], v[2:3], v[38:39], -v[40:41]
	ds_load_b128 v[2:5], v1 offset:1248
	scratch_load_b128 v[38:41], off, off offset:608
	v_add_f64 v[195:196], v[195:196], v[205:206]
	v_add_f64 v[197:198], v[197:198], v[199:200]
	v_fma_f64 v[203:204], v[8:9], v[187:188], v[203:204]
	v_fma_f64 v[205:206], v[6:7], v[187:188], -v[189:190]
	ds_load_b128 v[6:9], v1 offset:1264
	s_waitcnt vmcnt(8) lgkmcnt(1)
	v_mul_f64 v[199:200], v[2:3], v[12:13]
	v_mul_f64 v[12:13], v[4:5], v[12:13]
	scratch_load_b128 v[187:190], off, off offset:624
	v_add_f64 v[195:196], v[195:196], v[207:208]
	v_add_f64 v[197:198], v[197:198], v[201:202]
	s_waitcnt vmcnt(8) lgkmcnt(0)
	v_mul_f64 v[201:202], v[6:7], v[16:17]
	v_mul_f64 v[16:17], v[8:9], v[16:17]
	v_fma_f64 v[199:200], v[4:5], v[10:11], v[199:200]
	v_fma_f64 v[207:208], v[2:3], v[10:11], -v[12:13]
	scratch_load_b128 v[10:13], off, off offset:640
	ds_load_b128 v[2:5], v1 offset:1280
	v_add_f64 v[195:196], v[195:196], v[205:206]
	v_add_f64 v[197:198], v[197:198], v[203:204]
	v_fma_f64 v[201:202], v[8:9], v[14:15], v[201:202]
	v_fma_f64 v[205:206], v[6:7], v[14:15], -v[16:17]
	ds_load_b128 v[6:9], v1 offset:1296
	s_waitcnt vmcnt(8) lgkmcnt(1)
	v_mul_f64 v[203:204], v[2:3], v[20:21]
	v_mul_f64 v[20:21], v[4:5], v[20:21]
	scratch_load_b128 v[14:17], off, off offset:656
	v_add_f64 v[195:196], v[195:196], v[207:208]
	v_add_f64 v[197:198], v[197:198], v[199:200]
	s_waitcnt vmcnt(8) lgkmcnt(0)
	v_mul_f64 v[199:200], v[6:7], v[24:25]
	v_mul_f64 v[24:25], v[8:9], v[24:25]
	v_fma_f64 v[203:204], v[4:5], v[18:19], v[203:204]
	v_fma_f64 v[207:208], v[2:3], v[18:19], -v[20:21]
	scratch_load_b128 v[18:21], off, off offset:672
	ds_load_b128 v[2:5], v1 offset:1312
	;; [unrolled: 18-line block ×4, first 2 shown]
	v_add_f64 v[195:196], v[195:196], v[205:206]
	v_add_f64 v[197:198], v[197:198], v[203:204]
	v_fma_f64 v[201:202], v[8:9], v[191:192], v[201:202]
	v_fma_f64 v[205:206], v[6:7], v[191:192], -v[193:194]
	ds_load_b128 v[6:9], v1 offset:1392
	s_waitcnt vmcnt(8) lgkmcnt(1)
	v_mul_f64 v[203:204], v[2:3], v[40:41]
	v_mul_f64 v[40:41], v[4:5], v[40:41]
	scratch_load_b128 v[191:194], off, off offset:752
	v_add_f64 v[195:196], v[195:196], v[207:208]
	v_add_f64 v[197:198], v[197:198], v[199:200]
	v_fma_f64 v[203:204], v[4:5], v[38:39], v[203:204]
	v_fma_f64 v[38:39], v[2:3], v[38:39], -v[40:41]
	ds_load_b128 v[2:5], v1 offset:1408
	v_add_f64 v[40:41], v[195:196], v[205:206]
	v_add_f64 v[195:196], v[197:198], v[201:202]
	s_waitcnt vmcnt(7) lgkmcnt(0)
	v_mul_f64 v[197:198], v[2:3], v[12:13]
	v_mul_f64 v[12:13], v[4:5], v[12:13]
	s_delay_alu instid0(VALU_DEP_4) | instskip(NEXT) | instid1(VALU_DEP_4)
	v_add_f64 v[38:39], v[40:41], v[38:39]
	v_add_f64 v[40:41], v[195:196], v[203:204]
	s_delay_alu instid0(VALU_DEP_4) | instskip(NEXT) | instid1(VALU_DEP_4)
	v_fma_f64 v[195:196], v[4:5], v[10:11], v[197:198]
	v_fma_f64 v[197:198], v[2:3], v[10:11], -v[12:13]
	scratch_load_b128 v[10:13], off, off offset:112
	v_mul_f64 v[199:200], v[6:7], v[189:190]
	v_mul_f64 v[189:190], v[8:9], v[189:190]
	ds_load_b128 v[2:5], v1 offset:1440
	v_fma_f64 v[199:200], v[8:9], v[187:188], v[199:200]
	v_fma_f64 v[187:188], v[6:7], v[187:188], -v[189:190]
	ds_load_b128 v[6:9], v1 offset:1424
	s_waitcnt vmcnt(7) lgkmcnt(0)
	v_mul_f64 v[189:190], v[6:7], v[16:17]
	v_mul_f64 v[16:17], v[8:9], v[16:17]
	v_add_f64 v[40:41], v[40:41], v[199:200]
	v_add_f64 v[38:39], v[38:39], v[187:188]
	s_waitcnt vmcnt(6)
	v_mul_f64 v[187:188], v[2:3], v[20:21]
	v_mul_f64 v[20:21], v[4:5], v[20:21]
	v_fma_f64 v[189:190], v[8:9], v[14:15], v[189:190]
	v_fma_f64 v[14:15], v[6:7], v[14:15], -v[16:17]
	ds_load_b128 v[6:9], v1 offset:1456
	v_add_f64 v[16:17], v[38:39], v[197:198]
	v_add_f64 v[38:39], v[40:41], v[195:196]
	v_fma_f64 v[187:188], v[4:5], v[18:19], v[187:188]
	v_fma_f64 v[18:19], v[2:3], v[18:19], -v[20:21]
	ds_load_b128 v[2:5], v1 offset:1472
	s_waitcnt vmcnt(5) lgkmcnt(1)
	v_mul_f64 v[40:41], v[6:7], v[24:25]
	v_mul_f64 v[24:25], v[8:9], v[24:25]
	s_waitcnt vmcnt(4) lgkmcnt(0)
	v_mul_f64 v[20:21], v[2:3], v[28:29]
	v_mul_f64 v[28:29], v[4:5], v[28:29]
	v_add_f64 v[14:15], v[16:17], v[14:15]
	v_add_f64 v[16:17], v[38:39], v[189:190]
	v_fma_f64 v[38:39], v[8:9], v[22:23], v[40:41]
	v_fma_f64 v[22:23], v[6:7], v[22:23], -v[24:25]
	ds_load_b128 v[6:9], v1 offset:1488
	v_fma_f64 v[20:21], v[4:5], v[26:27], v[20:21]
	v_fma_f64 v[26:27], v[2:3], v[26:27], -v[28:29]
	ds_load_b128 v[2:5], v1 offset:1504
	s_waitcnt vmcnt(3) lgkmcnt(1)
	v_mul_f64 v[24:25], v[8:9], v[32:33]
	v_add_f64 v[14:15], v[14:15], v[18:19]
	v_add_f64 v[16:17], v[16:17], v[187:188]
	v_mul_f64 v[18:19], v[6:7], v[32:33]
	s_waitcnt vmcnt(2) lgkmcnt(0)
	v_mul_f64 v[28:29], v[4:5], v[36:37]
	v_fma_f64 v[24:25], v[6:7], v[30:31], -v[24:25]
	v_add_f64 v[14:15], v[14:15], v[22:23]
	v_add_f64 v[16:17], v[16:17], v[38:39]
	v_mul_f64 v[22:23], v[2:3], v[36:37]
	v_fma_f64 v[18:19], v[8:9], v[30:31], v[18:19]
	ds_load_b128 v[6:9], v1 offset:1520
	v_fma_f64 v[1:2], v[2:3], v[34:35], -v[28:29]
	v_add_f64 v[14:15], v[14:15], v[26:27]
	v_add_f64 v[16:17], v[16:17], v[20:21]
	s_waitcnt vmcnt(1) lgkmcnt(0)
	v_mul_f64 v[20:21], v[6:7], v[193:194]
	v_mul_f64 v[26:27], v[8:9], v[193:194]
	v_fma_f64 v[4:5], v[4:5], v[34:35], v[22:23]
	v_add_f64 v[14:15], v[14:15], v[24:25]
	v_add_f64 v[16:17], v[16:17], v[18:19]
	v_fma_f64 v[8:9], v[8:9], v[191:192], v[20:21]
	v_fma_f64 v[6:7], v[6:7], v[191:192], -v[26:27]
	s_delay_alu instid0(VALU_DEP_4) | instskip(NEXT) | instid1(VALU_DEP_4)
	v_add_f64 v[1:2], v[14:15], v[1:2]
	v_add_f64 v[3:4], v[16:17], v[4:5]
	s_delay_alu instid0(VALU_DEP_2) | instskip(NEXT) | instid1(VALU_DEP_2)
	v_add_f64 v[1:2], v[1:2], v[6:7]
	v_add_f64 v[3:4], v[3:4], v[8:9]
	s_waitcnt vmcnt(0)
	s_delay_alu instid0(VALU_DEP_2) | instskip(NEXT) | instid1(VALU_DEP_2)
	v_add_f64 v[1:2], v[10:11], -v[1:2]
	v_add_f64 v[3:4], v[12:13], -v[3:4]
	scratch_store_b128 off, v[1:4], off offset:112
	v_cmpx_lt_u32_e32 6, v138
	s_cbranch_execz .LBB111_289
; %bb.288:
	scratch_load_b128 v[1:4], v180, off
	v_mov_b32_e32 v5, 0
	s_delay_alu instid0(VALU_DEP_1)
	v_mov_b32_e32 v6, v5
	v_mov_b32_e32 v7, v5
	;; [unrolled: 1-line block ×3, first 2 shown]
	scratch_store_b128 off, v[5:8], off offset:96
	s_waitcnt vmcnt(0)
	ds_store_b128 v186, v[1:4]
.LBB111_289:
	s_or_b32 exec_lo, exec_lo, s2
	s_waitcnt lgkmcnt(0)
	s_waitcnt_vscnt null, 0x0
	s_barrier
	buffer_gl0_inv
	s_clause 0x7
	scratch_load_b128 v[2:5], off, off offset:112
	scratch_load_b128 v[6:9], off, off offset:128
	;; [unrolled: 1-line block ×8, first 2 shown]
	v_mov_b32_e32 v1, 0
	s_clause 0x1
	scratch_load_b128 v[34:37], off, off offset:240
	scratch_load_b128 v[191:194], off, off offset:256
	s_mov_b32 s2, exec_lo
	ds_load_b128 v[38:41], v1 offset:880
	ds_load_b128 v[187:190], v1 offset:896
	s_waitcnt vmcnt(9) lgkmcnt(1)
	v_mul_f64 v[195:196], v[40:41], v[4:5]
	v_mul_f64 v[4:5], v[38:39], v[4:5]
	s_waitcnt vmcnt(8) lgkmcnt(0)
	v_mul_f64 v[197:198], v[187:188], v[8:9]
	v_mul_f64 v[8:9], v[189:190], v[8:9]
	s_delay_alu instid0(VALU_DEP_4) | instskip(NEXT) | instid1(VALU_DEP_4)
	v_fma_f64 v[195:196], v[38:39], v[2:3], -v[195:196]
	v_fma_f64 v[199:200], v[40:41], v[2:3], v[4:5]
	ds_load_b128 v[2:5], v1 offset:912
	scratch_load_b128 v[38:41], off, off offset:272
	v_fma_f64 v[197:198], v[189:190], v[6:7], v[197:198]
	v_fma_f64 v[203:204], v[187:188], v[6:7], -v[8:9]
	scratch_load_b128 v[187:190], off, off offset:288
	ds_load_b128 v[6:9], v1 offset:928
	s_waitcnt vmcnt(9) lgkmcnt(1)
	v_mul_f64 v[201:202], v[2:3], v[12:13]
	v_mul_f64 v[12:13], v[4:5], v[12:13]
	s_waitcnt vmcnt(8) lgkmcnt(0)
	v_mul_f64 v[205:206], v[6:7], v[16:17]
	v_mul_f64 v[16:17], v[8:9], v[16:17]
	v_add_f64 v[195:196], v[195:196], 0
	v_add_f64 v[199:200], v[199:200], 0
	v_fma_f64 v[201:202], v[4:5], v[10:11], v[201:202]
	v_fma_f64 v[207:208], v[2:3], v[10:11], -v[12:13]
	ds_load_b128 v[2:5], v1 offset:944
	scratch_load_b128 v[10:13], off, off offset:304
	v_add_f64 v[195:196], v[195:196], v[203:204]
	v_add_f64 v[197:198], v[199:200], v[197:198]
	v_fma_f64 v[203:204], v[8:9], v[14:15], v[205:206]
	v_fma_f64 v[205:206], v[6:7], v[14:15], -v[16:17]
	scratch_load_b128 v[14:17], off, off offset:320
	ds_load_b128 v[6:9], v1 offset:960
	s_waitcnt vmcnt(9) lgkmcnt(1)
	v_mul_f64 v[199:200], v[2:3], v[20:21]
	v_mul_f64 v[20:21], v[4:5], v[20:21]
	v_add_f64 v[195:196], v[195:196], v[207:208]
	v_add_f64 v[197:198], v[197:198], v[201:202]
	s_waitcnt vmcnt(8) lgkmcnt(0)
	v_mul_f64 v[201:202], v[6:7], v[24:25]
	v_mul_f64 v[24:25], v[8:9], v[24:25]
	v_fma_f64 v[199:200], v[4:5], v[18:19], v[199:200]
	v_fma_f64 v[207:208], v[2:3], v[18:19], -v[20:21]
	ds_load_b128 v[2:5], v1 offset:976
	scratch_load_b128 v[18:21], off, off offset:336
	v_add_f64 v[195:196], v[195:196], v[205:206]
	v_add_f64 v[197:198], v[197:198], v[203:204]
	v_fma_f64 v[201:202], v[8:9], v[22:23], v[201:202]
	v_fma_f64 v[205:206], v[6:7], v[22:23], -v[24:25]
	scratch_load_b128 v[22:25], off, off offset:352
	ds_load_b128 v[6:9], v1 offset:992
	s_waitcnt vmcnt(9) lgkmcnt(1)
	v_mul_f64 v[203:204], v[2:3], v[28:29]
	v_mul_f64 v[28:29], v[4:5], v[28:29]
	v_add_f64 v[195:196], v[195:196], v[207:208]
	v_add_f64 v[197:198], v[197:198], v[199:200]
	s_waitcnt vmcnt(8) lgkmcnt(0)
	v_mul_f64 v[199:200], v[6:7], v[32:33]
	v_mul_f64 v[32:33], v[8:9], v[32:33]
	v_fma_f64 v[203:204], v[4:5], v[26:27], v[203:204]
	v_fma_f64 v[207:208], v[2:3], v[26:27], -v[28:29]
	ds_load_b128 v[2:5], v1 offset:1008
	scratch_load_b128 v[26:29], off, off offset:368
	v_add_f64 v[195:196], v[195:196], v[205:206]
	v_add_f64 v[197:198], v[197:198], v[201:202]
	v_fma_f64 v[199:200], v[8:9], v[30:31], v[199:200]
	v_fma_f64 v[205:206], v[6:7], v[30:31], -v[32:33]
	scratch_load_b128 v[30:33], off, off offset:384
	ds_load_b128 v[6:9], v1 offset:1024
	s_waitcnt vmcnt(9) lgkmcnt(1)
	v_mul_f64 v[201:202], v[2:3], v[36:37]
	v_mul_f64 v[36:37], v[4:5], v[36:37]
	v_add_f64 v[195:196], v[195:196], v[207:208]
	v_add_f64 v[197:198], v[197:198], v[203:204]
	s_waitcnt vmcnt(8) lgkmcnt(0)
	v_mul_f64 v[203:204], v[6:7], v[193:194]
	v_mul_f64 v[193:194], v[8:9], v[193:194]
	v_fma_f64 v[201:202], v[4:5], v[34:35], v[201:202]
	v_fma_f64 v[207:208], v[2:3], v[34:35], -v[36:37]
	ds_load_b128 v[2:5], v1 offset:1040
	scratch_load_b128 v[34:37], off, off offset:400
	v_add_f64 v[195:196], v[195:196], v[205:206]
	v_add_f64 v[197:198], v[197:198], v[199:200]
	v_fma_f64 v[203:204], v[8:9], v[191:192], v[203:204]
	v_fma_f64 v[205:206], v[6:7], v[191:192], -v[193:194]
	scratch_load_b128 v[191:194], off, off offset:416
	ds_load_b128 v[6:9], v1 offset:1056
	s_waitcnt vmcnt(9) lgkmcnt(1)
	v_mul_f64 v[199:200], v[2:3], v[40:41]
	v_mul_f64 v[40:41], v[4:5], v[40:41]
	v_add_f64 v[195:196], v[195:196], v[207:208]
	v_add_f64 v[197:198], v[197:198], v[201:202]
	s_waitcnt vmcnt(8) lgkmcnt(0)
	v_mul_f64 v[201:202], v[6:7], v[189:190]
	v_mul_f64 v[189:190], v[8:9], v[189:190]
	v_fma_f64 v[199:200], v[4:5], v[38:39], v[199:200]
	v_fma_f64 v[207:208], v[2:3], v[38:39], -v[40:41]
	ds_load_b128 v[2:5], v1 offset:1072
	scratch_load_b128 v[38:41], off, off offset:432
	v_add_f64 v[195:196], v[195:196], v[205:206]
	v_add_f64 v[197:198], v[197:198], v[203:204]
	v_fma_f64 v[201:202], v[8:9], v[187:188], v[201:202]
	v_fma_f64 v[205:206], v[6:7], v[187:188], -v[189:190]
	scratch_load_b128 v[187:190], off, off offset:448
	ds_load_b128 v[6:9], v1 offset:1088
	s_waitcnt vmcnt(9) lgkmcnt(1)
	v_mul_f64 v[203:204], v[2:3], v[12:13]
	v_mul_f64 v[12:13], v[4:5], v[12:13]
	v_add_f64 v[195:196], v[195:196], v[207:208]
	v_add_f64 v[197:198], v[197:198], v[199:200]
	s_waitcnt vmcnt(8) lgkmcnt(0)
	v_mul_f64 v[199:200], v[6:7], v[16:17]
	v_mul_f64 v[16:17], v[8:9], v[16:17]
	v_fma_f64 v[203:204], v[4:5], v[10:11], v[203:204]
	v_fma_f64 v[207:208], v[2:3], v[10:11], -v[12:13]
	ds_load_b128 v[2:5], v1 offset:1104
	scratch_load_b128 v[10:13], off, off offset:464
	v_add_f64 v[195:196], v[195:196], v[205:206]
	v_add_f64 v[197:198], v[197:198], v[201:202]
	v_fma_f64 v[199:200], v[8:9], v[14:15], v[199:200]
	v_fma_f64 v[205:206], v[6:7], v[14:15], -v[16:17]
	scratch_load_b128 v[14:17], off, off offset:480
	ds_load_b128 v[6:9], v1 offset:1120
	s_waitcnt vmcnt(9) lgkmcnt(1)
	v_mul_f64 v[201:202], v[2:3], v[20:21]
	v_mul_f64 v[20:21], v[4:5], v[20:21]
	v_add_f64 v[195:196], v[195:196], v[207:208]
	v_add_f64 v[197:198], v[197:198], v[203:204]
	s_waitcnt vmcnt(8) lgkmcnt(0)
	v_mul_f64 v[203:204], v[6:7], v[24:25]
	v_mul_f64 v[24:25], v[8:9], v[24:25]
	v_fma_f64 v[201:202], v[4:5], v[18:19], v[201:202]
	v_fma_f64 v[207:208], v[2:3], v[18:19], -v[20:21]
	ds_load_b128 v[2:5], v1 offset:1136
	scratch_load_b128 v[18:21], off, off offset:496
	v_add_f64 v[195:196], v[195:196], v[205:206]
	v_add_f64 v[197:198], v[197:198], v[199:200]
	v_fma_f64 v[203:204], v[8:9], v[22:23], v[203:204]
	v_fma_f64 v[205:206], v[6:7], v[22:23], -v[24:25]
	scratch_load_b128 v[22:25], off, off offset:512
	ds_load_b128 v[6:9], v1 offset:1152
	s_waitcnt vmcnt(9) lgkmcnt(1)
	v_mul_f64 v[199:200], v[2:3], v[28:29]
	v_mul_f64 v[28:29], v[4:5], v[28:29]
	v_add_f64 v[195:196], v[195:196], v[207:208]
	v_add_f64 v[197:198], v[197:198], v[201:202]
	s_waitcnt vmcnt(8) lgkmcnt(0)
	v_mul_f64 v[201:202], v[6:7], v[32:33]
	v_mul_f64 v[32:33], v[8:9], v[32:33]
	v_fma_f64 v[199:200], v[4:5], v[26:27], v[199:200]
	v_fma_f64 v[207:208], v[2:3], v[26:27], -v[28:29]
	ds_load_b128 v[2:5], v1 offset:1168
	scratch_load_b128 v[26:29], off, off offset:528
	v_add_f64 v[195:196], v[195:196], v[205:206]
	v_add_f64 v[197:198], v[197:198], v[203:204]
	v_fma_f64 v[201:202], v[8:9], v[30:31], v[201:202]
	v_fma_f64 v[205:206], v[6:7], v[30:31], -v[32:33]
	scratch_load_b128 v[30:33], off, off offset:544
	ds_load_b128 v[6:9], v1 offset:1184
	s_waitcnt vmcnt(9) lgkmcnt(1)
	v_mul_f64 v[203:204], v[2:3], v[36:37]
	v_mul_f64 v[36:37], v[4:5], v[36:37]
	v_add_f64 v[195:196], v[195:196], v[207:208]
	v_add_f64 v[197:198], v[197:198], v[199:200]
	s_waitcnt vmcnt(8) lgkmcnt(0)
	v_mul_f64 v[199:200], v[6:7], v[193:194]
	v_mul_f64 v[193:194], v[8:9], v[193:194]
	v_fma_f64 v[203:204], v[4:5], v[34:35], v[203:204]
	v_fma_f64 v[207:208], v[2:3], v[34:35], -v[36:37]
	ds_load_b128 v[2:5], v1 offset:1200
	scratch_load_b128 v[34:37], off, off offset:560
	v_add_f64 v[195:196], v[195:196], v[205:206]
	v_add_f64 v[197:198], v[197:198], v[201:202]
	v_fma_f64 v[199:200], v[8:9], v[191:192], v[199:200]
	v_fma_f64 v[205:206], v[6:7], v[191:192], -v[193:194]
	scratch_load_b128 v[191:194], off, off offset:576
	ds_load_b128 v[6:9], v1 offset:1216
	s_waitcnt vmcnt(9) lgkmcnt(1)
	v_mul_f64 v[201:202], v[2:3], v[40:41]
	v_mul_f64 v[40:41], v[4:5], v[40:41]
	v_add_f64 v[195:196], v[195:196], v[207:208]
	v_add_f64 v[197:198], v[197:198], v[203:204]
	s_waitcnt vmcnt(8) lgkmcnt(0)
	v_mul_f64 v[203:204], v[6:7], v[189:190]
	v_mul_f64 v[189:190], v[8:9], v[189:190]
	v_fma_f64 v[201:202], v[4:5], v[38:39], v[201:202]
	v_fma_f64 v[207:208], v[2:3], v[38:39], -v[40:41]
	ds_load_b128 v[2:5], v1 offset:1232
	scratch_load_b128 v[38:41], off, off offset:592
	v_add_f64 v[195:196], v[195:196], v[205:206]
	v_add_f64 v[197:198], v[197:198], v[199:200]
	v_fma_f64 v[203:204], v[8:9], v[187:188], v[203:204]
	v_fma_f64 v[205:206], v[6:7], v[187:188], -v[189:190]
	scratch_load_b128 v[187:190], off, off offset:608
	ds_load_b128 v[6:9], v1 offset:1248
	s_waitcnt vmcnt(9) lgkmcnt(1)
	v_mul_f64 v[199:200], v[2:3], v[12:13]
	v_mul_f64 v[12:13], v[4:5], v[12:13]
	v_add_f64 v[195:196], v[195:196], v[207:208]
	v_add_f64 v[197:198], v[197:198], v[201:202]
	s_waitcnt vmcnt(8) lgkmcnt(0)
	v_mul_f64 v[201:202], v[6:7], v[16:17]
	v_mul_f64 v[16:17], v[8:9], v[16:17]
	v_fma_f64 v[199:200], v[4:5], v[10:11], v[199:200]
	v_fma_f64 v[207:208], v[2:3], v[10:11], -v[12:13]
	ds_load_b128 v[2:5], v1 offset:1264
	scratch_load_b128 v[10:13], off, off offset:624
	v_add_f64 v[195:196], v[195:196], v[205:206]
	v_add_f64 v[197:198], v[197:198], v[203:204]
	v_fma_f64 v[201:202], v[8:9], v[14:15], v[201:202]
	v_fma_f64 v[205:206], v[6:7], v[14:15], -v[16:17]
	scratch_load_b128 v[14:17], off, off offset:640
	ds_load_b128 v[6:9], v1 offset:1280
	s_waitcnt vmcnt(9) lgkmcnt(1)
	v_mul_f64 v[203:204], v[2:3], v[20:21]
	v_mul_f64 v[20:21], v[4:5], v[20:21]
	v_add_f64 v[195:196], v[195:196], v[207:208]
	v_add_f64 v[197:198], v[197:198], v[199:200]
	s_waitcnt vmcnt(8) lgkmcnt(0)
	v_mul_f64 v[199:200], v[6:7], v[24:25]
	v_mul_f64 v[24:25], v[8:9], v[24:25]
	v_fma_f64 v[203:204], v[4:5], v[18:19], v[203:204]
	v_fma_f64 v[207:208], v[2:3], v[18:19], -v[20:21]
	ds_load_b128 v[2:5], v1 offset:1296
	scratch_load_b128 v[18:21], off, off offset:656
	v_add_f64 v[195:196], v[195:196], v[205:206]
	v_add_f64 v[197:198], v[197:198], v[201:202]
	v_fma_f64 v[199:200], v[8:9], v[22:23], v[199:200]
	v_fma_f64 v[205:206], v[6:7], v[22:23], -v[24:25]
	ds_load_b128 v[6:9], v1 offset:1312
	s_waitcnt vmcnt(8) lgkmcnt(1)
	v_mul_f64 v[201:202], v[2:3], v[28:29]
	v_mul_f64 v[28:29], v[4:5], v[28:29]
	scratch_load_b128 v[22:25], off, off offset:672
	v_add_f64 v[195:196], v[195:196], v[207:208]
	v_add_f64 v[197:198], v[197:198], v[203:204]
	s_waitcnt vmcnt(8) lgkmcnt(0)
	v_mul_f64 v[203:204], v[6:7], v[32:33]
	v_mul_f64 v[32:33], v[8:9], v[32:33]
	v_fma_f64 v[201:202], v[4:5], v[26:27], v[201:202]
	v_fma_f64 v[207:208], v[2:3], v[26:27], -v[28:29]
	scratch_load_b128 v[26:29], off, off offset:688
	ds_load_b128 v[2:5], v1 offset:1328
	v_add_f64 v[195:196], v[195:196], v[205:206]
	v_add_f64 v[197:198], v[197:198], v[199:200]
	v_fma_f64 v[203:204], v[8:9], v[30:31], v[203:204]
	v_fma_f64 v[205:206], v[6:7], v[30:31], -v[32:33]
	ds_load_b128 v[6:9], v1 offset:1344
	s_waitcnt vmcnt(8) lgkmcnt(1)
	v_mul_f64 v[199:200], v[2:3], v[36:37]
	v_mul_f64 v[36:37], v[4:5], v[36:37]
	scratch_load_b128 v[30:33], off, off offset:704
	v_add_f64 v[195:196], v[195:196], v[207:208]
	v_add_f64 v[197:198], v[197:198], v[201:202]
	s_waitcnt vmcnt(8) lgkmcnt(0)
	v_mul_f64 v[201:202], v[6:7], v[193:194]
	v_mul_f64 v[193:194], v[8:9], v[193:194]
	v_fma_f64 v[199:200], v[4:5], v[34:35], v[199:200]
	v_fma_f64 v[207:208], v[2:3], v[34:35], -v[36:37]
	scratch_load_b128 v[34:37], off, off offset:720
	ds_load_b128 v[2:5], v1 offset:1360
	;; [unrolled: 18-line block ×3, first 2 shown]
	v_add_f64 v[195:196], v[195:196], v[205:206]
	v_add_f64 v[197:198], v[197:198], v[201:202]
	v_fma_f64 v[199:200], v[8:9], v[187:188], v[199:200]
	v_fma_f64 v[187:188], v[6:7], v[187:188], -v[189:190]
	ds_load_b128 v[6:9], v1 offset:1408
	s_waitcnt vmcnt(8) lgkmcnt(1)
	v_mul_f64 v[201:202], v[2:3], v[12:13]
	v_mul_f64 v[12:13], v[4:5], v[12:13]
	v_add_f64 v[189:190], v[195:196], v[207:208]
	v_add_f64 v[195:196], v[197:198], v[203:204]
	s_waitcnt vmcnt(7) lgkmcnt(0)
	v_mul_f64 v[197:198], v[6:7], v[16:17]
	v_mul_f64 v[16:17], v[8:9], v[16:17]
	v_fma_f64 v[201:202], v[4:5], v[10:11], v[201:202]
	v_fma_f64 v[10:11], v[2:3], v[10:11], -v[12:13]
	ds_load_b128 v[2:5], v1 offset:1424
	v_add_f64 v[12:13], v[189:190], v[187:188]
	v_add_f64 v[187:188], v[195:196], v[199:200]
	v_fma_f64 v[195:196], v[8:9], v[14:15], v[197:198]
	v_fma_f64 v[14:15], v[6:7], v[14:15], -v[16:17]
	ds_load_b128 v[6:9], v1 offset:1440
	s_waitcnt vmcnt(5) lgkmcnt(0)
	v_mul_f64 v[197:198], v[6:7], v[24:25]
	v_mul_f64 v[24:25], v[8:9], v[24:25]
	v_add_f64 v[16:17], v[12:13], v[10:11]
	v_add_f64 v[187:188], v[187:188], v[201:202]
	scratch_load_b128 v[10:13], off, off offset:96
	v_mul_f64 v[189:190], v[2:3], v[20:21]
	v_mul_f64 v[20:21], v[4:5], v[20:21]
	v_add_f64 v[14:15], v[16:17], v[14:15]
	v_add_f64 v[16:17], v[187:188], v[195:196]
	v_fma_f64 v[187:188], v[8:9], v[22:23], v[197:198]
	v_fma_f64 v[189:190], v[4:5], v[18:19], v[189:190]
	v_fma_f64 v[18:19], v[2:3], v[18:19], -v[20:21]
	ds_load_b128 v[2:5], v1 offset:1456
	v_fma_f64 v[22:23], v[6:7], v[22:23], -v[24:25]
	ds_load_b128 v[6:9], v1 offset:1472
	s_waitcnt vmcnt(5) lgkmcnt(1)
	v_mul_f64 v[20:21], v[2:3], v[28:29]
	v_mul_f64 v[28:29], v[4:5], v[28:29]
	s_waitcnt vmcnt(4) lgkmcnt(0)
	v_mul_f64 v[24:25], v[8:9], v[32:33]
	v_add_f64 v[16:17], v[16:17], v[189:190]
	v_add_f64 v[14:15], v[14:15], v[18:19]
	v_mul_f64 v[18:19], v[6:7], v[32:33]
	v_fma_f64 v[20:21], v[4:5], v[26:27], v[20:21]
	v_fma_f64 v[26:27], v[2:3], v[26:27], -v[28:29]
	ds_load_b128 v[2:5], v1 offset:1488
	v_fma_f64 v[24:25], v[6:7], v[30:31], -v[24:25]
	v_add_f64 v[16:17], v[16:17], v[187:188]
	v_add_f64 v[14:15], v[14:15], v[22:23]
	v_fma_f64 v[18:19], v[8:9], v[30:31], v[18:19]
	ds_load_b128 v[6:9], v1 offset:1504
	s_waitcnt vmcnt(3) lgkmcnt(1)
	v_mul_f64 v[22:23], v[2:3], v[36:37]
	v_mul_f64 v[28:29], v[4:5], v[36:37]
	v_add_f64 v[16:17], v[16:17], v[20:21]
	v_add_f64 v[14:15], v[14:15], v[26:27]
	s_waitcnt vmcnt(2) lgkmcnt(0)
	v_mul_f64 v[20:21], v[6:7], v[193:194]
	v_mul_f64 v[26:27], v[8:9], v[193:194]
	v_fma_f64 v[22:23], v[4:5], v[34:35], v[22:23]
	v_fma_f64 v[28:29], v[2:3], v[34:35], -v[28:29]
	ds_load_b128 v[2:5], v1 offset:1520
	v_add_f64 v[16:17], v[16:17], v[18:19]
	v_add_f64 v[14:15], v[14:15], v[24:25]
	s_waitcnt vmcnt(1) lgkmcnt(0)
	v_mul_f64 v[18:19], v[2:3], v[40:41]
	v_mul_f64 v[24:25], v[4:5], v[40:41]
	v_fma_f64 v[8:9], v[8:9], v[191:192], v[20:21]
	v_fma_f64 v[6:7], v[6:7], v[191:192], -v[26:27]
	v_add_f64 v[16:17], v[16:17], v[22:23]
	v_add_f64 v[14:15], v[14:15], v[28:29]
	v_fma_f64 v[4:5], v[4:5], v[38:39], v[18:19]
	v_fma_f64 v[2:3], v[2:3], v[38:39], -v[24:25]
	s_delay_alu instid0(VALU_DEP_4) | instskip(NEXT) | instid1(VALU_DEP_4)
	v_add_f64 v[8:9], v[16:17], v[8:9]
	v_add_f64 v[6:7], v[14:15], v[6:7]
	s_delay_alu instid0(VALU_DEP_2) | instskip(NEXT) | instid1(VALU_DEP_2)
	v_add_f64 v[4:5], v[8:9], v[4:5]
	v_add_f64 v[2:3], v[6:7], v[2:3]
	s_waitcnt vmcnt(0)
	s_delay_alu instid0(VALU_DEP_2) | instskip(NEXT) | instid1(VALU_DEP_2)
	v_add_f64 v[4:5], v[12:13], -v[4:5]
	v_add_f64 v[2:3], v[10:11], -v[2:3]
	scratch_store_b128 off, v[2:5], off offset:96
	v_cmpx_lt_u32_e32 5, v138
	s_cbranch_execz .LBB111_291
; %bb.290:
	scratch_load_b128 v[5:8], v181, off
	v_mov_b32_e32 v2, v1
	v_mov_b32_e32 v3, v1
	;; [unrolled: 1-line block ×3, first 2 shown]
	scratch_store_b128 off, v[1:4], off offset:80
	s_waitcnt vmcnt(0)
	ds_store_b128 v186, v[5:8]
.LBB111_291:
	s_or_b32 exec_lo, exec_lo, s2
	s_waitcnt lgkmcnt(0)
	s_waitcnt_vscnt null, 0x0
	s_barrier
	buffer_gl0_inv
	s_clause 0x7
	scratch_load_b128 v[2:5], off, off offset:96
	scratch_load_b128 v[6:9], off, off offset:112
	;; [unrolled: 1-line block ×8, first 2 shown]
	ds_load_b128 v[38:41], v1 offset:864
	ds_load_b128 v[187:190], v1 offset:880
	s_clause 0x1
	scratch_load_b128 v[34:37], off, off offset:224
	scratch_load_b128 v[191:194], off, off offset:240
	s_mov_b32 s2, exec_lo
	s_waitcnt vmcnt(9) lgkmcnt(1)
	v_mul_f64 v[195:196], v[40:41], v[4:5]
	v_mul_f64 v[4:5], v[38:39], v[4:5]
	s_waitcnt vmcnt(8) lgkmcnt(0)
	v_mul_f64 v[197:198], v[187:188], v[8:9]
	v_mul_f64 v[8:9], v[189:190], v[8:9]
	s_delay_alu instid0(VALU_DEP_4) | instskip(NEXT) | instid1(VALU_DEP_4)
	v_fma_f64 v[195:196], v[38:39], v[2:3], -v[195:196]
	v_fma_f64 v[199:200], v[40:41], v[2:3], v[4:5]
	ds_load_b128 v[2:5], v1 offset:896
	scratch_load_b128 v[38:41], off, off offset:256
	v_fma_f64 v[197:198], v[189:190], v[6:7], v[197:198]
	v_fma_f64 v[203:204], v[187:188], v[6:7], -v[8:9]
	scratch_load_b128 v[187:190], off, off offset:272
	ds_load_b128 v[6:9], v1 offset:912
	s_waitcnt vmcnt(9) lgkmcnt(1)
	v_mul_f64 v[201:202], v[2:3], v[12:13]
	v_mul_f64 v[12:13], v[4:5], v[12:13]
	s_waitcnt vmcnt(8) lgkmcnt(0)
	v_mul_f64 v[205:206], v[6:7], v[16:17]
	v_mul_f64 v[16:17], v[8:9], v[16:17]
	v_add_f64 v[195:196], v[195:196], 0
	v_add_f64 v[199:200], v[199:200], 0
	v_fma_f64 v[201:202], v[4:5], v[10:11], v[201:202]
	v_fma_f64 v[207:208], v[2:3], v[10:11], -v[12:13]
	ds_load_b128 v[2:5], v1 offset:928
	scratch_load_b128 v[10:13], off, off offset:288
	v_add_f64 v[195:196], v[195:196], v[203:204]
	v_add_f64 v[197:198], v[199:200], v[197:198]
	v_fma_f64 v[203:204], v[8:9], v[14:15], v[205:206]
	v_fma_f64 v[205:206], v[6:7], v[14:15], -v[16:17]
	scratch_load_b128 v[14:17], off, off offset:304
	ds_load_b128 v[6:9], v1 offset:944
	s_waitcnt vmcnt(9) lgkmcnt(1)
	v_mul_f64 v[199:200], v[2:3], v[20:21]
	v_mul_f64 v[20:21], v[4:5], v[20:21]
	v_add_f64 v[195:196], v[195:196], v[207:208]
	v_add_f64 v[197:198], v[197:198], v[201:202]
	s_waitcnt vmcnt(8) lgkmcnt(0)
	v_mul_f64 v[201:202], v[6:7], v[24:25]
	v_mul_f64 v[24:25], v[8:9], v[24:25]
	v_fma_f64 v[199:200], v[4:5], v[18:19], v[199:200]
	v_fma_f64 v[207:208], v[2:3], v[18:19], -v[20:21]
	ds_load_b128 v[2:5], v1 offset:960
	scratch_load_b128 v[18:21], off, off offset:320
	v_add_f64 v[195:196], v[195:196], v[205:206]
	v_add_f64 v[197:198], v[197:198], v[203:204]
	v_fma_f64 v[201:202], v[8:9], v[22:23], v[201:202]
	v_fma_f64 v[205:206], v[6:7], v[22:23], -v[24:25]
	scratch_load_b128 v[22:25], off, off offset:336
	ds_load_b128 v[6:9], v1 offset:976
	s_waitcnt vmcnt(9) lgkmcnt(1)
	v_mul_f64 v[203:204], v[2:3], v[28:29]
	v_mul_f64 v[28:29], v[4:5], v[28:29]
	v_add_f64 v[195:196], v[195:196], v[207:208]
	v_add_f64 v[197:198], v[197:198], v[199:200]
	s_waitcnt vmcnt(8) lgkmcnt(0)
	v_mul_f64 v[199:200], v[6:7], v[32:33]
	v_mul_f64 v[32:33], v[8:9], v[32:33]
	;; [unrolled: 18-line block ×11, first 2 shown]
	v_fma_f64 v[203:204], v[4:5], v[18:19], v[203:204]
	v_fma_f64 v[207:208], v[2:3], v[18:19], -v[20:21]
	ds_load_b128 v[2:5], v1 offset:1280
	scratch_load_b128 v[18:21], off, off offset:640
	v_add_f64 v[195:196], v[195:196], v[205:206]
	v_add_f64 v[197:198], v[197:198], v[201:202]
	v_fma_f64 v[199:200], v[8:9], v[22:23], v[199:200]
	v_fma_f64 v[205:206], v[6:7], v[22:23], -v[24:25]
	ds_load_b128 v[6:9], v1 offset:1296
	s_waitcnt vmcnt(8) lgkmcnt(1)
	v_mul_f64 v[201:202], v[2:3], v[28:29]
	v_mul_f64 v[28:29], v[4:5], v[28:29]
	scratch_load_b128 v[22:25], off, off offset:656
	v_add_f64 v[195:196], v[195:196], v[207:208]
	v_add_f64 v[197:198], v[197:198], v[203:204]
	s_waitcnt vmcnt(8) lgkmcnt(0)
	v_mul_f64 v[203:204], v[6:7], v[32:33]
	v_mul_f64 v[32:33], v[8:9], v[32:33]
	v_fma_f64 v[201:202], v[4:5], v[26:27], v[201:202]
	v_fma_f64 v[207:208], v[2:3], v[26:27], -v[28:29]
	ds_load_b128 v[2:5], v1 offset:1312
	scratch_load_b128 v[26:29], off, off offset:672
	v_add_f64 v[195:196], v[195:196], v[205:206]
	v_add_f64 v[197:198], v[197:198], v[199:200]
	v_fma_f64 v[203:204], v[8:9], v[30:31], v[203:204]
	v_fma_f64 v[205:206], v[6:7], v[30:31], -v[32:33]
	ds_load_b128 v[6:9], v1 offset:1328
	s_waitcnt vmcnt(8) lgkmcnt(1)
	v_mul_f64 v[199:200], v[2:3], v[36:37]
	v_mul_f64 v[36:37], v[4:5], v[36:37]
	scratch_load_b128 v[30:33], off, off offset:688
	v_add_f64 v[195:196], v[195:196], v[207:208]
	v_add_f64 v[197:198], v[197:198], v[201:202]
	s_waitcnt vmcnt(8) lgkmcnt(0)
	v_mul_f64 v[201:202], v[6:7], v[193:194]
	v_mul_f64 v[193:194], v[8:9], v[193:194]
	v_fma_f64 v[199:200], v[4:5], v[34:35], v[199:200]
	v_fma_f64 v[207:208], v[2:3], v[34:35], -v[36:37]
	scratch_load_b128 v[34:37], off, off offset:704
	ds_load_b128 v[2:5], v1 offset:1344
	v_add_f64 v[195:196], v[195:196], v[205:206]
	v_add_f64 v[197:198], v[197:198], v[203:204]
	v_fma_f64 v[201:202], v[8:9], v[191:192], v[201:202]
	v_fma_f64 v[205:206], v[6:7], v[191:192], -v[193:194]
	ds_load_b128 v[6:9], v1 offset:1360
	s_waitcnt vmcnt(8) lgkmcnt(1)
	v_mul_f64 v[203:204], v[2:3], v[40:41]
	v_mul_f64 v[40:41], v[4:5], v[40:41]
	scratch_load_b128 v[191:194], off, off offset:720
	v_add_f64 v[195:196], v[195:196], v[207:208]
	v_add_f64 v[197:198], v[197:198], v[199:200]
	s_waitcnt vmcnt(8) lgkmcnt(0)
	v_mul_f64 v[199:200], v[6:7], v[189:190]
	v_mul_f64 v[189:190], v[8:9], v[189:190]
	v_fma_f64 v[203:204], v[4:5], v[38:39], v[203:204]
	v_fma_f64 v[207:208], v[2:3], v[38:39], -v[40:41]
	scratch_load_b128 v[38:41], off, off offset:736
	ds_load_b128 v[2:5], v1 offset:1376
	v_add_f64 v[195:196], v[195:196], v[205:206]
	v_add_f64 v[197:198], v[197:198], v[201:202]
	v_fma_f64 v[199:200], v[8:9], v[187:188], v[199:200]
	v_fma_f64 v[205:206], v[6:7], v[187:188], -v[189:190]
	ds_load_b128 v[6:9], v1 offset:1392
	s_waitcnt vmcnt(8) lgkmcnt(1)
	v_mul_f64 v[201:202], v[2:3], v[12:13]
	v_mul_f64 v[12:13], v[4:5], v[12:13]
	scratch_load_b128 v[187:190], off, off offset:752
	v_add_f64 v[195:196], v[195:196], v[207:208]
	v_add_f64 v[197:198], v[197:198], v[203:204]
	s_waitcnt vmcnt(8) lgkmcnt(0)
	v_mul_f64 v[203:204], v[6:7], v[16:17]
	v_mul_f64 v[16:17], v[8:9], v[16:17]
	v_fma_f64 v[201:202], v[4:5], v[10:11], v[201:202]
	v_fma_f64 v[10:11], v[2:3], v[10:11], -v[12:13]
	ds_load_b128 v[2:5], v1 offset:1408
	v_add_f64 v[12:13], v[195:196], v[205:206]
	v_add_f64 v[195:196], v[197:198], v[199:200]
	v_fma_f64 v[199:200], v[8:9], v[14:15], v[203:204]
	v_fma_f64 v[14:15], v[6:7], v[14:15], -v[16:17]
	ds_load_b128 v[6:9], v1 offset:1424
	s_waitcnt vmcnt(7) lgkmcnt(1)
	v_mul_f64 v[197:198], v[2:3], v[20:21]
	v_mul_f64 v[20:21], v[4:5], v[20:21]
	v_add_f64 v[10:11], v[12:13], v[10:11]
	v_add_f64 v[12:13], v[195:196], v[201:202]
	s_delay_alu instid0(VALU_DEP_4) | instskip(NEXT) | instid1(VALU_DEP_4)
	v_fma_f64 v[195:196], v[4:5], v[18:19], v[197:198]
	v_fma_f64 v[18:19], v[2:3], v[18:19], -v[20:21]
	ds_load_b128 v[2:5], v1 offset:1440
	v_add_f64 v[14:15], v[10:11], v[14:15]
	v_add_f64 v[20:21], v[12:13], v[199:200]
	scratch_load_b128 v[10:13], off, off offset:80
	s_waitcnt vmcnt(7) lgkmcnt(1)
	v_mul_f64 v[16:17], v[6:7], v[24:25]
	v_mul_f64 v[24:25], v[8:9], v[24:25]
	v_add_f64 v[14:15], v[14:15], v[18:19]
	v_add_f64 v[18:19], v[20:21], v[195:196]
	s_delay_alu instid0(VALU_DEP_4) | instskip(NEXT) | instid1(VALU_DEP_4)
	v_fma_f64 v[16:17], v[8:9], v[22:23], v[16:17]
	v_fma_f64 v[22:23], v[6:7], v[22:23], -v[24:25]
	ds_load_b128 v[6:9], v1 offset:1456
	s_waitcnt vmcnt(6) lgkmcnt(1)
	v_mul_f64 v[197:198], v[2:3], v[28:29]
	v_mul_f64 v[28:29], v[4:5], v[28:29]
	s_waitcnt vmcnt(5) lgkmcnt(0)
	v_mul_f64 v[20:21], v[6:7], v[32:33]
	v_mul_f64 v[24:25], v[8:9], v[32:33]
	v_add_f64 v[16:17], v[18:19], v[16:17]
	v_add_f64 v[14:15], v[14:15], v[22:23]
	v_fma_f64 v[32:33], v[4:5], v[26:27], v[197:198]
	v_fma_f64 v[26:27], v[2:3], v[26:27], -v[28:29]
	ds_load_b128 v[2:5], v1 offset:1472
	v_fma_f64 v[20:21], v[8:9], v[30:31], v[20:21]
	v_fma_f64 v[24:25], v[6:7], v[30:31], -v[24:25]
	ds_load_b128 v[6:9], v1 offset:1488
	s_waitcnt vmcnt(4) lgkmcnt(1)
	v_mul_f64 v[18:19], v[2:3], v[36:37]
	v_mul_f64 v[22:23], v[4:5], v[36:37]
	v_add_f64 v[16:17], v[16:17], v[32:33]
	v_add_f64 v[14:15], v[14:15], v[26:27]
	s_waitcnt vmcnt(3) lgkmcnt(0)
	v_mul_f64 v[26:27], v[6:7], v[193:194]
	v_mul_f64 v[28:29], v[8:9], v[193:194]
	v_fma_f64 v[18:19], v[4:5], v[34:35], v[18:19]
	v_fma_f64 v[22:23], v[2:3], v[34:35], -v[22:23]
	ds_load_b128 v[2:5], v1 offset:1504
	v_add_f64 v[16:17], v[16:17], v[20:21]
	v_add_f64 v[14:15], v[14:15], v[24:25]
	v_fma_f64 v[26:27], v[8:9], v[191:192], v[26:27]
	v_fma_f64 v[28:29], v[6:7], v[191:192], -v[28:29]
	ds_load_b128 v[6:9], v1 offset:1520
	s_waitcnt vmcnt(2) lgkmcnt(1)
	v_mul_f64 v[20:21], v[2:3], v[40:41]
	v_mul_f64 v[24:25], v[4:5], v[40:41]
	v_add_f64 v[16:17], v[16:17], v[18:19]
	v_add_f64 v[14:15], v[14:15], v[22:23]
	s_waitcnt vmcnt(1) lgkmcnt(0)
	v_mul_f64 v[18:19], v[6:7], v[189:190]
	v_mul_f64 v[22:23], v[8:9], v[189:190]
	v_fma_f64 v[4:5], v[4:5], v[38:39], v[20:21]
	v_fma_f64 v[1:2], v[2:3], v[38:39], -v[24:25]
	v_add_f64 v[16:17], v[16:17], v[26:27]
	v_add_f64 v[14:15], v[14:15], v[28:29]
	v_fma_f64 v[8:9], v[8:9], v[187:188], v[18:19]
	v_fma_f64 v[6:7], v[6:7], v[187:188], -v[22:23]
	s_delay_alu instid0(VALU_DEP_4) | instskip(NEXT) | instid1(VALU_DEP_4)
	v_add_f64 v[3:4], v[16:17], v[4:5]
	v_add_f64 v[1:2], v[14:15], v[1:2]
	s_delay_alu instid0(VALU_DEP_2) | instskip(NEXT) | instid1(VALU_DEP_2)
	v_add_f64 v[3:4], v[3:4], v[8:9]
	v_add_f64 v[1:2], v[1:2], v[6:7]
	s_waitcnt vmcnt(0)
	s_delay_alu instid0(VALU_DEP_2) | instskip(NEXT) | instid1(VALU_DEP_2)
	v_add_f64 v[3:4], v[12:13], -v[3:4]
	v_add_f64 v[1:2], v[10:11], -v[1:2]
	scratch_store_b128 off, v[1:4], off offset:80
	v_cmpx_lt_u32_e32 4, v138
	s_cbranch_execz .LBB111_293
; %bb.292:
	scratch_load_b128 v[1:4], v182, off
	v_mov_b32_e32 v5, 0
	s_delay_alu instid0(VALU_DEP_1)
	v_mov_b32_e32 v6, v5
	v_mov_b32_e32 v7, v5
	;; [unrolled: 1-line block ×3, first 2 shown]
	scratch_store_b128 off, v[5:8], off offset:64
	s_waitcnt vmcnt(0)
	ds_store_b128 v186, v[1:4]
.LBB111_293:
	s_or_b32 exec_lo, exec_lo, s2
	s_waitcnt lgkmcnt(0)
	s_waitcnt_vscnt null, 0x0
	s_barrier
	buffer_gl0_inv
	s_clause 0x7
	scratch_load_b128 v[2:5], off, off offset:80
	scratch_load_b128 v[6:9], off, off offset:96
	;; [unrolled: 1-line block ×8, first 2 shown]
	v_mov_b32_e32 v1, 0
	s_clause 0x1
	scratch_load_b128 v[34:37], off, off offset:208
	scratch_load_b128 v[191:194], off, off offset:224
	s_mov_b32 s2, exec_lo
	ds_load_b128 v[38:41], v1 offset:848
	ds_load_b128 v[187:190], v1 offset:864
	s_waitcnt vmcnt(9) lgkmcnt(1)
	v_mul_f64 v[195:196], v[40:41], v[4:5]
	v_mul_f64 v[4:5], v[38:39], v[4:5]
	s_waitcnt vmcnt(8) lgkmcnt(0)
	v_mul_f64 v[197:198], v[187:188], v[8:9]
	v_mul_f64 v[8:9], v[189:190], v[8:9]
	s_delay_alu instid0(VALU_DEP_4) | instskip(NEXT) | instid1(VALU_DEP_4)
	v_fma_f64 v[195:196], v[38:39], v[2:3], -v[195:196]
	v_fma_f64 v[199:200], v[40:41], v[2:3], v[4:5]
	ds_load_b128 v[2:5], v1 offset:880
	scratch_load_b128 v[38:41], off, off offset:240
	v_fma_f64 v[197:198], v[189:190], v[6:7], v[197:198]
	v_fma_f64 v[203:204], v[187:188], v[6:7], -v[8:9]
	scratch_load_b128 v[187:190], off, off offset:256
	ds_load_b128 v[6:9], v1 offset:896
	s_waitcnt vmcnt(9) lgkmcnt(1)
	v_mul_f64 v[201:202], v[2:3], v[12:13]
	v_mul_f64 v[12:13], v[4:5], v[12:13]
	s_waitcnt vmcnt(8) lgkmcnt(0)
	v_mul_f64 v[205:206], v[6:7], v[16:17]
	v_mul_f64 v[16:17], v[8:9], v[16:17]
	v_add_f64 v[195:196], v[195:196], 0
	v_add_f64 v[199:200], v[199:200], 0
	v_fma_f64 v[201:202], v[4:5], v[10:11], v[201:202]
	v_fma_f64 v[207:208], v[2:3], v[10:11], -v[12:13]
	ds_load_b128 v[2:5], v1 offset:912
	scratch_load_b128 v[10:13], off, off offset:272
	v_add_f64 v[195:196], v[195:196], v[203:204]
	v_add_f64 v[197:198], v[199:200], v[197:198]
	v_fma_f64 v[203:204], v[8:9], v[14:15], v[205:206]
	v_fma_f64 v[205:206], v[6:7], v[14:15], -v[16:17]
	scratch_load_b128 v[14:17], off, off offset:288
	ds_load_b128 v[6:9], v1 offset:928
	s_waitcnt vmcnt(9) lgkmcnt(1)
	v_mul_f64 v[199:200], v[2:3], v[20:21]
	v_mul_f64 v[20:21], v[4:5], v[20:21]
	v_add_f64 v[195:196], v[195:196], v[207:208]
	v_add_f64 v[197:198], v[197:198], v[201:202]
	s_waitcnt vmcnt(8) lgkmcnt(0)
	v_mul_f64 v[201:202], v[6:7], v[24:25]
	v_mul_f64 v[24:25], v[8:9], v[24:25]
	v_fma_f64 v[199:200], v[4:5], v[18:19], v[199:200]
	v_fma_f64 v[207:208], v[2:3], v[18:19], -v[20:21]
	ds_load_b128 v[2:5], v1 offset:944
	scratch_load_b128 v[18:21], off, off offset:304
	v_add_f64 v[195:196], v[195:196], v[205:206]
	v_add_f64 v[197:198], v[197:198], v[203:204]
	v_fma_f64 v[201:202], v[8:9], v[22:23], v[201:202]
	v_fma_f64 v[205:206], v[6:7], v[22:23], -v[24:25]
	scratch_load_b128 v[22:25], off, off offset:320
	ds_load_b128 v[6:9], v1 offset:960
	s_waitcnt vmcnt(9) lgkmcnt(1)
	v_mul_f64 v[203:204], v[2:3], v[28:29]
	v_mul_f64 v[28:29], v[4:5], v[28:29]
	v_add_f64 v[195:196], v[195:196], v[207:208]
	v_add_f64 v[197:198], v[197:198], v[199:200]
	s_waitcnt vmcnt(8) lgkmcnt(0)
	v_mul_f64 v[199:200], v[6:7], v[32:33]
	v_mul_f64 v[32:33], v[8:9], v[32:33]
	v_fma_f64 v[203:204], v[4:5], v[26:27], v[203:204]
	v_fma_f64 v[207:208], v[2:3], v[26:27], -v[28:29]
	ds_load_b128 v[2:5], v1 offset:976
	scratch_load_b128 v[26:29], off, off offset:336
	v_add_f64 v[195:196], v[195:196], v[205:206]
	v_add_f64 v[197:198], v[197:198], v[201:202]
	v_fma_f64 v[199:200], v[8:9], v[30:31], v[199:200]
	v_fma_f64 v[205:206], v[6:7], v[30:31], -v[32:33]
	scratch_load_b128 v[30:33], off, off offset:352
	ds_load_b128 v[6:9], v1 offset:992
	s_waitcnt vmcnt(9) lgkmcnt(1)
	v_mul_f64 v[201:202], v[2:3], v[36:37]
	v_mul_f64 v[36:37], v[4:5], v[36:37]
	v_add_f64 v[195:196], v[195:196], v[207:208]
	v_add_f64 v[197:198], v[197:198], v[203:204]
	s_waitcnt vmcnt(8) lgkmcnt(0)
	v_mul_f64 v[203:204], v[6:7], v[193:194]
	v_mul_f64 v[193:194], v[8:9], v[193:194]
	v_fma_f64 v[201:202], v[4:5], v[34:35], v[201:202]
	v_fma_f64 v[207:208], v[2:3], v[34:35], -v[36:37]
	ds_load_b128 v[2:5], v1 offset:1008
	scratch_load_b128 v[34:37], off, off offset:368
	v_add_f64 v[195:196], v[195:196], v[205:206]
	v_add_f64 v[197:198], v[197:198], v[199:200]
	v_fma_f64 v[203:204], v[8:9], v[191:192], v[203:204]
	v_fma_f64 v[205:206], v[6:7], v[191:192], -v[193:194]
	scratch_load_b128 v[191:194], off, off offset:384
	ds_load_b128 v[6:9], v1 offset:1024
	s_waitcnt vmcnt(9) lgkmcnt(1)
	v_mul_f64 v[199:200], v[2:3], v[40:41]
	v_mul_f64 v[40:41], v[4:5], v[40:41]
	v_add_f64 v[195:196], v[195:196], v[207:208]
	v_add_f64 v[197:198], v[197:198], v[201:202]
	s_waitcnt vmcnt(8) lgkmcnt(0)
	v_mul_f64 v[201:202], v[6:7], v[189:190]
	v_mul_f64 v[189:190], v[8:9], v[189:190]
	v_fma_f64 v[199:200], v[4:5], v[38:39], v[199:200]
	v_fma_f64 v[207:208], v[2:3], v[38:39], -v[40:41]
	ds_load_b128 v[2:5], v1 offset:1040
	scratch_load_b128 v[38:41], off, off offset:400
	v_add_f64 v[195:196], v[195:196], v[205:206]
	v_add_f64 v[197:198], v[197:198], v[203:204]
	v_fma_f64 v[201:202], v[8:9], v[187:188], v[201:202]
	v_fma_f64 v[205:206], v[6:7], v[187:188], -v[189:190]
	scratch_load_b128 v[187:190], off, off offset:416
	ds_load_b128 v[6:9], v1 offset:1056
	s_waitcnt vmcnt(9) lgkmcnt(1)
	v_mul_f64 v[203:204], v[2:3], v[12:13]
	v_mul_f64 v[12:13], v[4:5], v[12:13]
	v_add_f64 v[195:196], v[195:196], v[207:208]
	v_add_f64 v[197:198], v[197:198], v[199:200]
	s_waitcnt vmcnt(8) lgkmcnt(0)
	v_mul_f64 v[199:200], v[6:7], v[16:17]
	v_mul_f64 v[16:17], v[8:9], v[16:17]
	v_fma_f64 v[203:204], v[4:5], v[10:11], v[203:204]
	v_fma_f64 v[207:208], v[2:3], v[10:11], -v[12:13]
	ds_load_b128 v[2:5], v1 offset:1072
	scratch_load_b128 v[10:13], off, off offset:432
	v_add_f64 v[195:196], v[195:196], v[205:206]
	v_add_f64 v[197:198], v[197:198], v[201:202]
	v_fma_f64 v[199:200], v[8:9], v[14:15], v[199:200]
	v_fma_f64 v[205:206], v[6:7], v[14:15], -v[16:17]
	scratch_load_b128 v[14:17], off, off offset:448
	ds_load_b128 v[6:9], v1 offset:1088
	s_waitcnt vmcnt(9) lgkmcnt(1)
	v_mul_f64 v[201:202], v[2:3], v[20:21]
	v_mul_f64 v[20:21], v[4:5], v[20:21]
	v_add_f64 v[195:196], v[195:196], v[207:208]
	v_add_f64 v[197:198], v[197:198], v[203:204]
	s_waitcnt vmcnt(8) lgkmcnt(0)
	v_mul_f64 v[203:204], v[6:7], v[24:25]
	v_mul_f64 v[24:25], v[8:9], v[24:25]
	v_fma_f64 v[201:202], v[4:5], v[18:19], v[201:202]
	v_fma_f64 v[207:208], v[2:3], v[18:19], -v[20:21]
	ds_load_b128 v[2:5], v1 offset:1104
	scratch_load_b128 v[18:21], off, off offset:464
	v_add_f64 v[195:196], v[195:196], v[205:206]
	v_add_f64 v[197:198], v[197:198], v[199:200]
	v_fma_f64 v[203:204], v[8:9], v[22:23], v[203:204]
	v_fma_f64 v[205:206], v[6:7], v[22:23], -v[24:25]
	scratch_load_b128 v[22:25], off, off offset:480
	ds_load_b128 v[6:9], v1 offset:1120
	s_waitcnt vmcnt(9) lgkmcnt(1)
	v_mul_f64 v[199:200], v[2:3], v[28:29]
	v_mul_f64 v[28:29], v[4:5], v[28:29]
	v_add_f64 v[195:196], v[195:196], v[207:208]
	v_add_f64 v[197:198], v[197:198], v[201:202]
	s_waitcnt vmcnt(8) lgkmcnt(0)
	v_mul_f64 v[201:202], v[6:7], v[32:33]
	v_mul_f64 v[32:33], v[8:9], v[32:33]
	v_fma_f64 v[199:200], v[4:5], v[26:27], v[199:200]
	v_fma_f64 v[207:208], v[2:3], v[26:27], -v[28:29]
	ds_load_b128 v[2:5], v1 offset:1136
	scratch_load_b128 v[26:29], off, off offset:496
	v_add_f64 v[195:196], v[195:196], v[205:206]
	v_add_f64 v[197:198], v[197:198], v[203:204]
	v_fma_f64 v[201:202], v[8:9], v[30:31], v[201:202]
	v_fma_f64 v[205:206], v[6:7], v[30:31], -v[32:33]
	scratch_load_b128 v[30:33], off, off offset:512
	ds_load_b128 v[6:9], v1 offset:1152
	s_waitcnt vmcnt(9) lgkmcnt(1)
	v_mul_f64 v[203:204], v[2:3], v[36:37]
	v_mul_f64 v[36:37], v[4:5], v[36:37]
	v_add_f64 v[195:196], v[195:196], v[207:208]
	v_add_f64 v[197:198], v[197:198], v[199:200]
	s_waitcnt vmcnt(8) lgkmcnt(0)
	v_mul_f64 v[199:200], v[6:7], v[193:194]
	v_mul_f64 v[193:194], v[8:9], v[193:194]
	v_fma_f64 v[203:204], v[4:5], v[34:35], v[203:204]
	v_fma_f64 v[207:208], v[2:3], v[34:35], -v[36:37]
	ds_load_b128 v[2:5], v1 offset:1168
	scratch_load_b128 v[34:37], off, off offset:528
	v_add_f64 v[195:196], v[195:196], v[205:206]
	v_add_f64 v[197:198], v[197:198], v[201:202]
	v_fma_f64 v[199:200], v[8:9], v[191:192], v[199:200]
	v_fma_f64 v[205:206], v[6:7], v[191:192], -v[193:194]
	scratch_load_b128 v[191:194], off, off offset:544
	ds_load_b128 v[6:9], v1 offset:1184
	s_waitcnt vmcnt(9) lgkmcnt(1)
	v_mul_f64 v[201:202], v[2:3], v[40:41]
	v_mul_f64 v[40:41], v[4:5], v[40:41]
	v_add_f64 v[195:196], v[195:196], v[207:208]
	v_add_f64 v[197:198], v[197:198], v[203:204]
	s_waitcnt vmcnt(8) lgkmcnt(0)
	v_mul_f64 v[203:204], v[6:7], v[189:190]
	v_mul_f64 v[189:190], v[8:9], v[189:190]
	v_fma_f64 v[201:202], v[4:5], v[38:39], v[201:202]
	v_fma_f64 v[207:208], v[2:3], v[38:39], -v[40:41]
	ds_load_b128 v[2:5], v1 offset:1200
	scratch_load_b128 v[38:41], off, off offset:560
	v_add_f64 v[195:196], v[195:196], v[205:206]
	v_add_f64 v[197:198], v[197:198], v[199:200]
	v_fma_f64 v[203:204], v[8:9], v[187:188], v[203:204]
	v_fma_f64 v[205:206], v[6:7], v[187:188], -v[189:190]
	scratch_load_b128 v[187:190], off, off offset:576
	ds_load_b128 v[6:9], v1 offset:1216
	s_waitcnt vmcnt(9) lgkmcnt(1)
	v_mul_f64 v[199:200], v[2:3], v[12:13]
	v_mul_f64 v[12:13], v[4:5], v[12:13]
	v_add_f64 v[195:196], v[195:196], v[207:208]
	v_add_f64 v[197:198], v[197:198], v[201:202]
	s_waitcnt vmcnt(8) lgkmcnt(0)
	v_mul_f64 v[201:202], v[6:7], v[16:17]
	v_mul_f64 v[16:17], v[8:9], v[16:17]
	v_fma_f64 v[199:200], v[4:5], v[10:11], v[199:200]
	v_fma_f64 v[207:208], v[2:3], v[10:11], -v[12:13]
	ds_load_b128 v[2:5], v1 offset:1232
	scratch_load_b128 v[10:13], off, off offset:592
	v_add_f64 v[195:196], v[195:196], v[205:206]
	v_add_f64 v[197:198], v[197:198], v[203:204]
	v_fma_f64 v[201:202], v[8:9], v[14:15], v[201:202]
	v_fma_f64 v[205:206], v[6:7], v[14:15], -v[16:17]
	scratch_load_b128 v[14:17], off, off offset:608
	ds_load_b128 v[6:9], v1 offset:1248
	s_waitcnt vmcnt(9) lgkmcnt(1)
	v_mul_f64 v[203:204], v[2:3], v[20:21]
	v_mul_f64 v[20:21], v[4:5], v[20:21]
	v_add_f64 v[195:196], v[195:196], v[207:208]
	v_add_f64 v[197:198], v[197:198], v[199:200]
	s_waitcnt vmcnt(8) lgkmcnt(0)
	v_mul_f64 v[199:200], v[6:7], v[24:25]
	v_mul_f64 v[24:25], v[8:9], v[24:25]
	v_fma_f64 v[203:204], v[4:5], v[18:19], v[203:204]
	v_fma_f64 v[207:208], v[2:3], v[18:19], -v[20:21]
	ds_load_b128 v[2:5], v1 offset:1264
	scratch_load_b128 v[18:21], off, off offset:624
	v_add_f64 v[195:196], v[195:196], v[205:206]
	v_add_f64 v[197:198], v[197:198], v[201:202]
	v_fma_f64 v[199:200], v[8:9], v[22:23], v[199:200]
	v_fma_f64 v[205:206], v[6:7], v[22:23], -v[24:25]
	scratch_load_b128 v[22:25], off, off offset:640
	ds_load_b128 v[6:9], v1 offset:1280
	s_waitcnt vmcnt(9) lgkmcnt(1)
	v_mul_f64 v[201:202], v[2:3], v[28:29]
	v_mul_f64 v[28:29], v[4:5], v[28:29]
	v_add_f64 v[195:196], v[195:196], v[207:208]
	v_add_f64 v[197:198], v[197:198], v[203:204]
	s_waitcnt vmcnt(8) lgkmcnt(0)
	v_mul_f64 v[203:204], v[6:7], v[32:33]
	v_mul_f64 v[32:33], v[8:9], v[32:33]
	v_fma_f64 v[201:202], v[4:5], v[26:27], v[201:202]
	v_fma_f64 v[207:208], v[2:3], v[26:27], -v[28:29]
	ds_load_b128 v[2:5], v1 offset:1296
	scratch_load_b128 v[26:29], off, off offset:656
	v_add_f64 v[195:196], v[195:196], v[205:206]
	v_add_f64 v[197:198], v[197:198], v[199:200]
	v_fma_f64 v[203:204], v[8:9], v[30:31], v[203:204]
	v_fma_f64 v[205:206], v[6:7], v[30:31], -v[32:33]
	ds_load_b128 v[6:9], v1 offset:1312
	s_waitcnt vmcnt(8) lgkmcnt(1)
	v_mul_f64 v[199:200], v[2:3], v[36:37]
	v_mul_f64 v[36:37], v[4:5], v[36:37]
	scratch_load_b128 v[30:33], off, off offset:672
	v_add_f64 v[195:196], v[195:196], v[207:208]
	v_add_f64 v[197:198], v[197:198], v[201:202]
	s_waitcnt vmcnt(8) lgkmcnt(0)
	v_mul_f64 v[201:202], v[6:7], v[193:194]
	v_mul_f64 v[193:194], v[8:9], v[193:194]
	v_fma_f64 v[199:200], v[4:5], v[34:35], v[199:200]
	v_fma_f64 v[207:208], v[2:3], v[34:35], -v[36:37]
	scratch_load_b128 v[34:37], off, off offset:688
	ds_load_b128 v[2:5], v1 offset:1328
	v_add_f64 v[195:196], v[195:196], v[205:206]
	v_add_f64 v[197:198], v[197:198], v[203:204]
	v_fma_f64 v[201:202], v[8:9], v[191:192], v[201:202]
	v_fma_f64 v[205:206], v[6:7], v[191:192], -v[193:194]
	ds_load_b128 v[6:9], v1 offset:1344
	s_waitcnt vmcnt(8) lgkmcnt(1)
	v_mul_f64 v[203:204], v[2:3], v[40:41]
	v_mul_f64 v[40:41], v[4:5], v[40:41]
	scratch_load_b128 v[191:194], off, off offset:704
	v_add_f64 v[195:196], v[195:196], v[207:208]
	v_add_f64 v[197:198], v[197:198], v[199:200]
	s_waitcnt vmcnt(8) lgkmcnt(0)
	v_mul_f64 v[199:200], v[6:7], v[189:190]
	v_mul_f64 v[189:190], v[8:9], v[189:190]
	v_fma_f64 v[203:204], v[4:5], v[38:39], v[203:204]
	v_fma_f64 v[207:208], v[2:3], v[38:39], -v[40:41]
	scratch_load_b128 v[38:41], off, off offset:720
	ds_load_b128 v[2:5], v1 offset:1360
	;; [unrolled: 18-line block ×3, first 2 shown]
	v_add_f64 v[195:196], v[195:196], v[205:206]
	v_add_f64 v[197:198], v[197:198], v[199:200]
	v_fma_f64 v[203:204], v[8:9], v[14:15], v[203:204]
	v_fma_f64 v[14:15], v[6:7], v[14:15], -v[16:17]
	ds_load_b128 v[6:9], v1 offset:1408
	s_waitcnt vmcnt(8) lgkmcnt(1)
	v_mul_f64 v[199:200], v[2:3], v[20:21]
	v_mul_f64 v[20:21], v[4:5], v[20:21]
	v_add_f64 v[16:17], v[195:196], v[207:208]
	v_add_f64 v[195:196], v[197:198], v[201:202]
	s_waitcnt vmcnt(7) lgkmcnt(0)
	v_mul_f64 v[197:198], v[6:7], v[24:25]
	v_mul_f64 v[24:25], v[8:9], v[24:25]
	v_fma_f64 v[199:200], v[4:5], v[18:19], v[199:200]
	v_fma_f64 v[18:19], v[2:3], v[18:19], -v[20:21]
	ds_load_b128 v[2:5], v1 offset:1424
	v_add_f64 v[14:15], v[16:17], v[14:15]
	v_add_f64 v[16:17], v[195:196], v[203:204]
	v_fma_f64 v[195:196], v[8:9], v[22:23], v[197:198]
	v_fma_f64 v[22:23], v[6:7], v[22:23], -v[24:25]
	ds_load_b128 v[6:9], v1 offset:1440
	s_waitcnt vmcnt(5) lgkmcnt(0)
	v_mul_f64 v[197:198], v[6:7], v[32:33]
	v_mul_f64 v[32:33], v[8:9], v[32:33]
	v_add_f64 v[18:19], v[14:15], v[18:19]
	v_add_f64 v[24:25], v[16:17], v[199:200]
	scratch_load_b128 v[14:17], off, off offset:64
	v_mul_f64 v[20:21], v[2:3], v[28:29]
	v_mul_f64 v[28:29], v[4:5], v[28:29]
	v_add_f64 v[18:19], v[18:19], v[22:23]
	v_add_f64 v[22:23], v[24:25], v[195:196]
	s_delay_alu instid0(VALU_DEP_4) | instskip(NEXT) | instid1(VALU_DEP_4)
	v_fma_f64 v[20:21], v[4:5], v[26:27], v[20:21]
	v_fma_f64 v[26:27], v[2:3], v[26:27], -v[28:29]
	ds_load_b128 v[2:5], v1 offset:1456
	s_waitcnt vmcnt(5) lgkmcnt(0)
	v_mul_f64 v[24:25], v[2:3], v[36:37]
	v_mul_f64 v[28:29], v[4:5], v[36:37]
	v_fma_f64 v[36:37], v[8:9], v[30:31], v[197:198]
	v_fma_f64 v[30:31], v[6:7], v[30:31], -v[32:33]
	ds_load_b128 v[6:9], v1 offset:1472
	v_add_f64 v[20:21], v[22:23], v[20:21]
	v_add_f64 v[18:19], v[18:19], v[26:27]
	v_fma_f64 v[24:25], v[4:5], v[34:35], v[24:25]
	v_fma_f64 v[28:29], v[2:3], v[34:35], -v[28:29]
	ds_load_b128 v[2:5], v1 offset:1488
	s_waitcnt vmcnt(4) lgkmcnt(1)
	v_mul_f64 v[22:23], v[6:7], v[193:194]
	v_mul_f64 v[26:27], v[8:9], v[193:194]
	v_add_f64 v[20:21], v[20:21], v[36:37]
	v_add_f64 v[18:19], v[18:19], v[30:31]
	s_waitcnt vmcnt(3) lgkmcnt(0)
	v_mul_f64 v[30:31], v[2:3], v[40:41]
	v_mul_f64 v[32:33], v[4:5], v[40:41]
	v_fma_f64 v[22:23], v[8:9], v[191:192], v[22:23]
	v_fma_f64 v[26:27], v[6:7], v[191:192], -v[26:27]
	ds_load_b128 v[6:9], v1 offset:1504
	v_add_f64 v[20:21], v[20:21], v[24:25]
	v_add_f64 v[18:19], v[18:19], v[28:29]
	v_fma_f64 v[30:31], v[4:5], v[38:39], v[30:31]
	v_fma_f64 v[32:33], v[2:3], v[38:39], -v[32:33]
	ds_load_b128 v[2:5], v1 offset:1520
	s_waitcnt vmcnt(2) lgkmcnt(1)
	v_mul_f64 v[24:25], v[6:7], v[189:190]
	v_mul_f64 v[28:29], v[8:9], v[189:190]
	v_add_f64 v[20:21], v[20:21], v[22:23]
	v_add_f64 v[18:19], v[18:19], v[26:27]
	s_waitcnt vmcnt(1) lgkmcnt(0)
	v_mul_f64 v[22:23], v[2:3], v[12:13]
	v_mul_f64 v[12:13], v[4:5], v[12:13]
	v_fma_f64 v[8:9], v[8:9], v[187:188], v[24:25]
	v_fma_f64 v[6:7], v[6:7], v[187:188], -v[28:29]
	v_add_f64 v[20:21], v[20:21], v[30:31]
	v_add_f64 v[18:19], v[18:19], v[32:33]
	v_fma_f64 v[4:5], v[4:5], v[10:11], v[22:23]
	v_fma_f64 v[2:3], v[2:3], v[10:11], -v[12:13]
	s_delay_alu instid0(VALU_DEP_4) | instskip(NEXT) | instid1(VALU_DEP_4)
	v_add_f64 v[8:9], v[20:21], v[8:9]
	v_add_f64 v[6:7], v[18:19], v[6:7]
	s_delay_alu instid0(VALU_DEP_2) | instskip(NEXT) | instid1(VALU_DEP_2)
	v_add_f64 v[4:5], v[8:9], v[4:5]
	v_add_f64 v[2:3], v[6:7], v[2:3]
	s_waitcnt vmcnt(0)
	s_delay_alu instid0(VALU_DEP_2) | instskip(NEXT) | instid1(VALU_DEP_2)
	v_add_f64 v[4:5], v[16:17], -v[4:5]
	v_add_f64 v[2:3], v[14:15], -v[2:3]
	scratch_store_b128 off, v[2:5], off offset:64
	v_cmpx_lt_u32_e32 3, v138
	s_cbranch_execz .LBB111_295
; %bb.294:
	scratch_load_b128 v[5:8], v183, off
	v_mov_b32_e32 v2, v1
	v_mov_b32_e32 v3, v1
	;; [unrolled: 1-line block ×3, first 2 shown]
	scratch_store_b128 off, v[1:4], off offset:48
	s_waitcnt vmcnt(0)
	ds_store_b128 v186, v[5:8]
.LBB111_295:
	s_or_b32 exec_lo, exec_lo, s2
	s_waitcnt lgkmcnt(0)
	s_waitcnt_vscnt null, 0x0
	s_barrier
	buffer_gl0_inv
	s_clause 0x7
	scratch_load_b128 v[2:5], off, off offset:64
	scratch_load_b128 v[6:9], off, off offset:80
	;; [unrolled: 1-line block ×8, first 2 shown]
	ds_load_b128 v[38:41], v1 offset:832
	ds_load_b128 v[187:190], v1 offset:848
	s_clause 0x1
	scratch_load_b128 v[34:37], off, off offset:192
	scratch_load_b128 v[191:194], off, off offset:208
	s_mov_b32 s2, exec_lo
	s_waitcnt vmcnt(9) lgkmcnt(1)
	v_mul_f64 v[195:196], v[40:41], v[4:5]
	v_mul_f64 v[4:5], v[38:39], v[4:5]
	s_waitcnt vmcnt(8) lgkmcnt(0)
	v_mul_f64 v[197:198], v[187:188], v[8:9]
	v_mul_f64 v[8:9], v[189:190], v[8:9]
	s_delay_alu instid0(VALU_DEP_4) | instskip(NEXT) | instid1(VALU_DEP_4)
	v_fma_f64 v[195:196], v[38:39], v[2:3], -v[195:196]
	v_fma_f64 v[199:200], v[40:41], v[2:3], v[4:5]
	ds_load_b128 v[2:5], v1 offset:864
	scratch_load_b128 v[38:41], off, off offset:224
	v_fma_f64 v[197:198], v[189:190], v[6:7], v[197:198]
	v_fma_f64 v[203:204], v[187:188], v[6:7], -v[8:9]
	scratch_load_b128 v[187:190], off, off offset:240
	ds_load_b128 v[6:9], v1 offset:880
	s_waitcnt vmcnt(9) lgkmcnt(1)
	v_mul_f64 v[201:202], v[2:3], v[12:13]
	v_mul_f64 v[12:13], v[4:5], v[12:13]
	s_waitcnt vmcnt(8) lgkmcnt(0)
	v_mul_f64 v[205:206], v[6:7], v[16:17]
	v_mul_f64 v[16:17], v[8:9], v[16:17]
	v_add_f64 v[195:196], v[195:196], 0
	v_add_f64 v[199:200], v[199:200], 0
	v_fma_f64 v[201:202], v[4:5], v[10:11], v[201:202]
	v_fma_f64 v[207:208], v[2:3], v[10:11], -v[12:13]
	ds_load_b128 v[2:5], v1 offset:896
	scratch_load_b128 v[10:13], off, off offset:256
	v_add_f64 v[195:196], v[195:196], v[203:204]
	v_add_f64 v[197:198], v[199:200], v[197:198]
	v_fma_f64 v[203:204], v[8:9], v[14:15], v[205:206]
	v_fma_f64 v[205:206], v[6:7], v[14:15], -v[16:17]
	scratch_load_b128 v[14:17], off, off offset:272
	ds_load_b128 v[6:9], v1 offset:912
	s_waitcnt vmcnt(9) lgkmcnt(1)
	v_mul_f64 v[199:200], v[2:3], v[20:21]
	v_mul_f64 v[20:21], v[4:5], v[20:21]
	v_add_f64 v[195:196], v[195:196], v[207:208]
	v_add_f64 v[197:198], v[197:198], v[201:202]
	s_waitcnt vmcnt(8) lgkmcnt(0)
	v_mul_f64 v[201:202], v[6:7], v[24:25]
	v_mul_f64 v[24:25], v[8:9], v[24:25]
	v_fma_f64 v[199:200], v[4:5], v[18:19], v[199:200]
	v_fma_f64 v[207:208], v[2:3], v[18:19], -v[20:21]
	ds_load_b128 v[2:5], v1 offset:928
	scratch_load_b128 v[18:21], off, off offset:288
	v_add_f64 v[195:196], v[195:196], v[205:206]
	v_add_f64 v[197:198], v[197:198], v[203:204]
	v_fma_f64 v[201:202], v[8:9], v[22:23], v[201:202]
	v_fma_f64 v[205:206], v[6:7], v[22:23], -v[24:25]
	scratch_load_b128 v[22:25], off, off offset:304
	ds_load_b128 v[6:9], v1 offset:944
	s_waitcnt vmcnt(9) lgkmcnt(1)
	v_mul_f64 v[203:204], v[2:3], v[28:29]
	v_mul_f64 v[28:29], v[4:5], v[28:29]
	v_add_f64 v[195:196], v[195:196], v[207:208]
	v_add_f64 v[197:198], v[197:198], v[199:200]
	s_waitcnt vmcnt(8) lgkmcnt(0)
	v_mul_f64 v[199:200], v[6:7], v[32:33]
	v_mul_f64 v[32:33], v[8:9], v[32:33]
	;; [unrolled: 18-line block ×12, first 2 shown]
	v_fma_f64 v[201:202], v[4:5], v[26:27], v[201:202]
	v_fma_f64 v[207:208], v[2:3], v[26:27], -v[28:29]
	ds_load_b128 v[2:5], v1 offset:1280
	scratch_load_b128 v[26:29], off, off offset:640
	v_add_f64 v[195:196], v[195:196], v[205:206]
	v_add_f64 v[197:198], v[197:198], v[199:200]
	v_fma_f64 v[203:204], v[8:9], v[30:31], v[203:204]
	v_fma_f64 v[205:206], v[6:7], v[30:31], -v[32:33]
	ds_load_b128 v[6:9], v1 offset:1296
	s_waitcnt vmcnt(8) lgkmcnt(1)
	v_mul_f64 v[199:200], v[2:3], v[36:37]
	v_mul_f64 v[36:37], v[4:5], v[36:37]
	scratch_load_b128 v[30:33], off, off offset:656
	v_add_f64 v[195:196], v[195:196], v[207:208]
	v_add_f64 v[197:198], v[197:198], v[201:202]
	s_waitcnt vmcnt(8) lgkmcnt(0)
	v_mul_f64 v[201:202], v[6:7], v[193:194]
	v_mul_f64 v[193:194], v[8:9], v[193:194]
	v_fma_f64 v[199:200], v[4:5], v[34:35], v[199:200]
	v_fma_f64 v[207:208], v[2:3], v[34:35], -v[36:37]
	ds_load_b128 v[2:5], v1 offset:1312
	scratch_load_b128 v[34:37], off, off offset:672
	v_add_f64 v[195:196], v[195:196], v[205:206]
	v_add_f64 v[197:198], v[197:198], v[203:204]
	v_fma_f64 v[201:202], v[8:9], v[191:192], v[201:202]
	v_fma_f64 v[205:206], v[6:7], v[191:192], -v[193:194]
	ds_load_b128 v[6:9], v1 offset:1328
	s_waitcnt vmcnt(8) lgkmcnt(1)
	v_mul_f64 v[203:204], v[2:3], v[40:41]
	v_mul_f64 v[40:41], v[4:5], v[40:41]
	scratch_load_b128 v[191:194], off, off offset:688
	v_add_f64 v[195:196], v[195:196], v[207:208]
	v_add_f64 v[197:198], v[197:198], v[199:200]
	s_waitcnt vmcnt(8) lgkmcnt(0)
	v_mul_f64 v[199:200], v[6:7], v[189:190]
	v_mul_f64 v[189:190], v[8:9], v[189:190]
	v_fma_f64 v[203:204], v[4:5], v[38:39], v[203:204]
	v_fma_f64 v[207:208], v[2:3], v[38:39], -v[40:41]
	scratch_load_b128 v[38:41], off, off offset:704
	ds_load_b128 v[2:5], v1 offset:1344
	v_add_f64 v[195:196], v[195:196], v[205:206]
	v_add_f64 v[197:198], v[197:198], v[201:202]
	v_fma_f64 v[199:200], v[8:9], v[187:188], v[199:200]
	v_fma_f64 v[205:206], v[6:7], v[187:188], -v[189:190]
	ds_load_b128 v[6:9], v1 offset:1360
	s_waitcnt vmcnt(8) lgkmcnt(1)
	v_mul_f64 v[201:202], v[2:3], v[12:13]
	v_mul_f64 v[12:13], v[4:5], v[12:13]
	scratch_load_b128 v[187:190], off, off offset:720
	v_add_f64 v[195:196], v[195:196], v[207:208]
	v_add_f64 v[197:198], v[197:198], v[203:204]
	s_waitcnt vmcnt(8) lgkmcnt(0)
	v_mul_f64 v[203:204], v[6:7], v[16:17]
	v_mul_f64 v[16:17], v[8:9], v[16:17]
	v_fma_f64 v[201:202], v[4:5], v[10:11], v[201:202]
	v_fma_f64 v[207:208], v[2:3], v[10:11], -v[12:13]
	scratch_load_b128 v[10:13], off, off offset:736
	ds_load_b128 v[2:5], v1 offset:1376
	v_add_f64 v[195:196], v[195:196], v[205:206]
	v_add_f64 v[197:198], v[197:198], v[199:200]
	v_fma_f64 v[203:204], v[8:9], v[14:15], v[203:204]
	v_fma_f64 v[205:206], v[6:7], v[14:15], -v[16:17]
	ds_load_b128 v[6:9], v1 offset:1392
	s_waitcnt vmcnt(8) lgkmcnt(1)
	v_mul_f64 v[199:200], v[2:3], v[20:21]
	v_mul_f64 v[20:21], v[4:5], v[20:21]
	scratch_load_b128 v[14:17], off, off offset:752
	v_add_f64 v[195:196], v[195:196], v[207:208]
	v_add_f64 v[197:198], v[197:198], v[201:202]
	s_waitcnt vmcnt(8) lgkmcnt(0)
	v_mul_f64 v[201:202], v[6:7], v[24:25]
	v_mul_f64 v[24:25], v[8:9], v[24:25]
	v_fma_f64 v[199:200], v[4:5], v[18:19], v[199:200]
	v_fma_f64 v[18:19], v[2:3], v[18:19], -v[20:21]
	ds_load_b128 v[2:5], v1 offset:1408
	v_add_f64 v[20:21], v[195:196], v[205:206]
	v_add_f64 v[195:196], v[197:198], v[203:204]
	v_fma_f64 v[201:202], v[8:9], v[22:23], v[201:202]
	v_fma_f64 v[22:23], v[6:7], v[22:23], -v[24:25]
	ds_load_b128 v[6:9], v1 offset:1424
	s_waitcnt vmcnt(7) lgkmcnt(1)
	v_mul_f64 v[197:198], v[2:3], v[28:29]
	v_mul_f64 v[28:29], v[4:5], v[28:29]
	v_add_f64 v[18:19], v[20:21], v[18:19]
	v_add_f64 v[20:21], v[195:196], v[199:200]
	s_delay_alu instid0(VALU_DEP_4) | instskip(NEXT) | instid1(VALU_DEP_4)
	v_fma_f64 v[195:196], v[4:5], v[26:27], v[197:198]
	v_fma_f64 v[26:27], v[2:3], v[26:27], -v[28:29]
	ds_load_b128 v[2:5], v1 offset:1440
	v_add_f64 v[22:23], v[18:19], v[22:23]
	v_add_f64 v[28:29], v[20:21], v[201:202]
	scratch_load_b128 v[18:21], off, off offset:48
	s_waitcnt vmcnt(7) lgkmcnt(1)
	v_mul_f64 v[24:25], v[6:7], v[32:33]
	v_mul_f64 v[32:33], v[8:9], v[32:33]
	v_add_f64 v[22:23], v[22:23], v[26:27]
	v_add_f64 v[26:27], v[28:29], v[195:196]
	s_delay_alu instid0(VALU_DEP_4) | instskip(NEXT) | instid1(VALU_DEP_4)
	v_fma_f64 v[24:25], v[8:9], v[30:31], v[24:25]
	v_fma_f64 v[30:31], v[6:7], v[30:31], -v[32:33]
	ds_load_b128 v[6:9], v1 offset:1456
	s_waitcnt vmcnt(6) lgkmcnt(1)
	v_mul_f64 v[197:198], v[2:3], v[36:37]
	v_mul_f64 v[36:37], v[4:5], v[36:37]
	s_waitcnt vmcnt(5) lgkmcnt(0)
	v_mul_f64 v[28:29], v[6:7], v[193:194]
	v_mul_f64 v[32:33], v[8:9], v[193:194]
	v_add_f64 v[24:25], v[26:27], v[24:25]
	v_add_f64 v[22:23], v[22:23], v[30:31]
	v_fma_f64 v[193:194], v[4:5], v[34:35], v[197:198]
	v_fma_f64 v[34:35], v[2:3], v[34:35], -v[36:37]
	ds_load_b128 v[2:5], v1 offset:1472
	v_fma_f64 v[28:29], v[8:9], v[191:192], v[28:29]
	v_fma_f64 v[32:33], v[6:7], v[191:192], -v[32:33]
	ds_load_b128 v[6:9], v1 offset:1488
	s_waitcnt vmcnt(4) lgkmcnt(1)
	v_mul_f64 v[26:27], v[2:3], v[40:41]
	v_mul_f64 v[30:31], v[4:5], v[40:41]
	v_add_f64 v[24:25], v[24:25], v[193:194]
	v_add_f64 v[22:23], v[22:23], v[34:35]
	s_waitcnt vmcnt(3) lgkmcnt(0)
	v_mul_f64 v[34:35], v[6:7], v[189:190]
	v_mul_f64 v[36:37], v[8:9], v[189:190]
	v_fma_f64 v[26:27], v[4:5], v[38:39], v[26:27]
	v_fma_f64 v[30:31], v[2:3], v[38:39], -v[30:31]
	ds_load_b128 v[2:5], v1 offset:1504
	v_add_f64 v[24:25], v[24:25], v[28:29]
	v_add_f64 v[22:23], v[22:23], v[32:33]
	v_fma_f64 v[32:33], v[8:9], v[187:188], v[34:35]
	v_fma_f64 v[34:35], v[6:7], v[187:188], -v[36:37]
	ds_load_b128 v[6:9], v1 offset:1520
	s_waitcnt vmcnt(2) lgkmcnt(1)
	v_mul_f64 v[28:29], v[2:3], v[12:13]
	v_mul_f64 v[12:13], v[4:5], v[12:13]
	v_add_f64 v[24:25], v[24:25], v[26:27]
	v_add_f64 v[22:23], v[22:23], v[30:31]
	s_waitcnt vmcnt(1) lgkmcnt(0)
	v_mul_f64 v[26:27], v[6:7], v[16:17]
	v_mul_f64 v[16:17], v[8:9], v[16:17]
	v_fma_f64 v[4:5], v[4:5], v[10:11], v[28:29]
	v_fma_f64 v[1:2], v[2:3], v[10:11], -v[12:13]
	v_add_f64 v[12:13], v[24:25], v[32:33]
	v_add_f64 v[10:11], v[22:23], v[34:35]
	v_fma_f64 v[8:9], v[8:9], v[14:15], v[26:27]
	v_fma_f64 v[6:7], v[6:7], v[14:15], -v[16:17]
	s_delay_alu instid0(VALU_DEP_4) | instskip(NEXT) | instid1(VALU_DEP_4)
	v_add_f64 v[3:4], v[12:13], v[4:5]
	v_add_f64 v[1:2], v[10:11], v[1:2]
	s_delay_alu instid0(VALU_DEP_2) | instskip(NEXT) | instid1(VALU_DEP_2)
	v_add_f64 v[3:4], v[3:4], v[8:9]
	v_add_f64 v[1:2], v[1:2], v[6:7]
	s_waitcnt vmcnt(0)
	s_delay_alu instid0(VALU_DEP_2) | instskip(NEXT) | instid1(VALU_DEP_2)
	v_add_f64 v[3:4], v[20:21], -v[3:4]
	v_add_f64 v[1:2], v[18:19], -v[1:2]
	scratch_store_b128 off, v[1:4], off offset:48
	v_cmpx_lt_u32_e32 2, v138
	s_cbranch_execz .LBB111_297
; %bb.296:
	scratch_load_b128 v[1:4], v184, off
	v_mov_b32_e32 v5, 0
	s_delay_alu instid0(VALU_DEP_1)
	v_mov_b32_e32 v6, v5
	v_mov_b32_e32 v7, v5
	;; [unrolled: 1-line block ×3, first 2 shown]
	scratch_store_b128 off, v[5:8], off offset:32
	s_waitcnt vmcnt(0)
	ds_store_b128 v186, v[1:4]
.LBB111_297:
	s_or_b32 exec_lo, exec_lo, s2
	s_waitcnt lgkmcnt(0)
	s_waitcnt_vscnt null, 0x0
	s_barrier
	buffer_gl0_inv
	s_clause 0x7
	scratch_load_b128 v[2:5], off, off offset:48
	scratch_load_b128 v[6:9], off, off offset:64
	;; [unrolled: 1-line block ×8, first 2 shown]
	v_mov_b32_e32 v1, 0
	s_clause 0x1
	scratch_load_b128 v[34:37], off, off offset:176
	scratch_load_b128 v[191:194], off, off offset:192
	s_mov_b32 s2, exec_lo
	ds_load_b128 v[38:41], v1 offset:816
	ds_load_b128 v[187:190], v1 offset:832
	s_waitcnt vmcnt(9) lgkmcnt(1)
	v_mul_f64 v[195:196], v[40:41], v[4:5]
	v_mul_f64 v[4:5], v[38:39], v[4:5]
	s_waitcnt vmcnt(8) lgkmcnt(0)
	v_mul_f64 v[197:198], v[187:188], v[8:9]
	v_mul_f64 v[8:9], v[189:190], v[8:9]
	s_delay_alu instid0(VALU_DEP_4) | instskip(NEXT) | instid1(VALU_DEP_4)
	v_fma_f64 v[195:196], v[38:39], v[2:3], -v[195:196]
	v_fma_f64 v[199:200], v[40:41], v[2:3], v[4:5]
	ds_load_b128 v[2:5], v1 offset:848
	scratch_load_b128 v[38:41], off, off offset:208
	v_fma_f64 v[197:198], v[189:190], v[6:7], v[197:198]
	v_fma_f64 v[203:204], v[187:188], v[6:7], -v[8:9]
	scratch_load_b128 v[187:190], off, off offset:224
	ds_load_b128 v[6:9], v1 offset:864
	s_waitcnt vmcnt(9) lgkmcnt(1)
	v_mul_f64 v[201:202], v[2:3], v[12:13]
	v_mul_f64 v[12:13], v[4:5], v[12:13]
	s_waitcnt vmcnt(8) lgkmcnt(0)
	v_mul_f64 v[205:206], v[6:7], v[16:17]
	v_mul_f64 v[16:17], v[8:9], v[16:17]
	v_add_f64 v[195:196], v[195:196], 0
	v_add_f64 v[199:200], v[199:200], 0
	v_fma_f64 v[201:202], v[4:5], v[10:11], v[201:202]
	v_fma_f64 v[207:208], v[2:3], v[10:11], -v[12:13]
	ds_load_b128 v[2:5], v1 offset:880
	scratch_load_b128 v[10:13], off, off offset:240
	v_add_f64 v[195:196], v[195:196], v[203:204]
	v_add_f64 v[197:198], v[199:200], v[197:198]
	v_fma_f64 v[203:204], v[8:9], v[14:15], v[205:206]
	v_fma_f64 v[205:206], v[6:7], v[14:15], -v[16:17]
	scratch_load_b128 v[14:17], off, off offset:256
	ds_load_b128 v[6:9], v1 offset:896
	s_waitcnt vmcnt(9) lgkmcnt(1)
	v_mul_f64 v[199:200], v[2:3], v[20:21]
	v_mul_f64 v[20:21], v[4:5], v[20:21]
	v_add_f64 v[195:196], v[195:196], v[207:208]
	v_add_f64 v[197:198], v[197:198], v[201:202]
	s_waitcnt vmcnt(8) lgkmcnt(0)
	v_mul_f64 v[201:202], v[6:7], v[24:25]
	v_mul_f64 v[24:25], v[8:9], v[24:25]
	v_fma_f64 v[199:200], v[4:5], v[18:19], v[199:200]
	v_fma_f64 v[207:208], v[2:3], v[18:19], -v[20:21]
	ds_load_b128 v[2:5], v1 offset:912
	scratch_load_b128 v[18:21], off, off offset:272
	v_add_f64 v[195:196], v[195:196], v[205:206]
	v_add_f64 v[197:198], v[197:198], v[203:204]
	v_fma_f64 v[201:202], v[8:9], v[22:23], v[201:202]
	v_fma_f64 v[205:206], v[6:7], v[22:23], -v[24:25]
	scratch_load_b128 v[22:25], off, off offset:288
	ds_load_b128 v[6:9], v1 offset:928
	s_waitcnt vmcnt(9) lgkmcnt(1)
	v_mul_f64 v[203:204], v[2:3], v[28:29]
	v_mul_f64 v[28:29], v[4:5], v[28:29]
	v_add_f64 v[195:196], v[195:196], v[207:208]
	v_add_f64 v[197:198], v[197:198], v[199:200]
	s_waitcnt vmcnt(8) lgkmcnt(0)
	v_mul_f64 v[199:200], v[6:7], v[32:33]
	v_mul_f64 v[32:33], v[8:9], v[32:33]
	;; [unrolled: 18-line block ×13, first 2 shown]
	v_fma_f64 v[199:200], v[4:5], v[34:35], v[199:200]
	v_fma_f64 v[207:208], v[2:3], v[34:35], -v[36:37]
	ds_load_b128 v[2:5], v1 offset:1296
	scratch_load_b128 v[34:37], off, off offset:656
	v_add_f64 v[195:196], v[195:196], v[205:206]
	v_add_f64 v[197:198], v[197:198], v[203:204]
	v_fma_f64 v[201:202], v[8:9], v[191:192], v[201:202]
	v_fma_f64 v[205:206], v[6:7], v[191:192], -v[193:194]
	ds_load_b128 v[6:9], v1 offset:1312
	s_waitcnt vmcnt(8) lgkmcnt(1)
	v_mul_f64 v[203:204], v[2:3], v[40:41]
	v_mul_f64 v[40:41], v[4:5], v[40:41]
	scratch_load_b128 v[191:194], off, off offset:672
	v_add_f64 v[195:196], v[195:196], v[207:208]
	v_add_f64 v[197:198], v[197:198], v[199:200]
	s_waitcnt vmcnt(8) lgkmcnt(0)
	v_mul_f64 v[199:200], v[6:7], v[189:190]
	v_mul_f64 v[189:190], v[8:9], v[189:190]
	v_fma_f64 v[203:204], v[4:5], v[38:39], v[203:204]
	v_fma_f64 v[207:208], v[2:3], v[38:39], -v[40:41]
	scratch_load_b128 v[38:41], off, off offset:688
	ds_load_b128 v[2:5], v1 offset:1328
	v_add_f64 v[195:196], v[195:196], v[205:206]
	v_add_f64 v[197:198], v[197:198], v[201:202]
	v_fma_f64 v[199:200], v[8:9], v[187:188], v[199:200]
	v_fma_f64 v[205:206], v[6:7], v[187:188], -v[189:190]
	ds_load_b128 v[6:9], v1 offset:1344
	s_waitcnt vmcnt(8) lgkmcnt(1)
	v_mul_f64 v[201:202], v[2:3], v[12:13]
	v_mul_f64 v[12:13], v[4:5], v[12:13]
	scratch_load_b128 v[187:190], off, off offset:704
	v_add_f64 v[195:196], v[195:196], v[207:208]
	v_add_f64 v[197:198], v[197:198], v[203:204]
	s_waitcnt vmcnt(8) lgkmcnt(0)
	v_mul_f64 v[203:204], v[6:7], v[16:17]
	v_mul_f64 v[16:17], v[8:9], v[16:17]
	v_fma_f64 v[201:202], v[4:5], v[10:11], v[201:202]
	v_fma_f64 v[207:208], v[2:3], v[10:11], -v[12:13]
	scratch_load_b128 v[10:13], off, off offset:720
	ds_load_b128 v[2:5], v1 offset:1360
	;; [unrolled: 18-line block ×3, first 2 shown]
	v_add_f64 v[195:196], v[195:196], v[205:206]
	v_add_f64 v[197:198], v[197:198], v[203:204]
	v_fma_f64 v[201:202], v[8:9], v[22:23], v[201:202]
	v_fma_f64 v[22:23], v[6:7], v[22:23], -v[24:25]
	ds_load_b128 v[6:9], v1 offset:1408
	s_waitcnt vmcnt(8) lgkmcnt(1)
	v_mul_f64 v[203:204], v[2:3], v[28:29]
	v_mul_f64 v[28:29], v[4:5], v[28:29]
	v_add_f64 v[24:25], v[195:196], v[207:208]
	v_add_f64 v[195:196], v[197:198], v[199:200]
	s_waitcnt vmcnt(7) lgkmcnt(0)
	v_mul_f64 v[197:198], v[6:7], v[32:33]
	v_mul_f64 v[32:33], v[8:9], v[32:33]
	v_fma_f64 v[199:200], v[4:5], v[26:27], v[203:204]
	v_fma_f64 v[26:27], v[2:3], v[26:27], -v[28:29]
	ds_load_b128 v[2:5], v1 offset:1424
	v_add_f64 v[22:23], v[24:25], v[22:23]
	v_add_f64 v[24:25], v[195:196], v[201:202]
	v_fma_f64 v[195:196], v[8:9], v[30:31], v[197:198]
	v_fma_f64 v[30:31], v[6:7], v[30:31], -v[32:33]
	ds_load_b128 v[6:9], v1 offset:1440
	s_waitcnt vmcnt(5) lgkmcnt(0)
	v_mul_f64 v[197:198], v[6:7], v[193:194]
	v_mul_f64 v[193:194], v[8:9], v[193:194]
	v_add_f64 v[26:27], v[22:23], v[26:27]
	v_add_f64 v[32:33], v[24:25], v[199:200]
	scratch_load_b128 v[22:25], off, off offset:32
	v_mul_f64 v[28:29], v[2:3], v[36:37]
	v_mul_f64 v[36:37], v[4:5], v[36:37]
	v_add_f64 v[26:27], v[26:27], v[30:31]
	v_add_f64 v[30:31], v[32:33], v[195:196]
	s_delay_alu instid0(VALU_DEP_4) | instskip(NEXT) | instid1(VALU_DEP_4)
	v_fma_f64 v[28:29], v[4:5], v[34:35], v[28:29]
	v_fma_f64 v[34:35], v[2:3], v[34:35], -v[36:37]
	ds_load_b128 v[2:5], v1 offset:1456
	s_waitcnt vmcnt(5) lgkmcnt(0)
	v_mul_f64 v[32:33], v[2:3], v[40:41]
	v_mul_f64 v[36:37], v[4:5], v[40:41]
	v_fma_f64 v[40:41], v[8:9], v[191:192], v[197:198]
	v_fma_f64 v[191:192], v[6:7], v[191:192], -v[193:194]
	ds_load_b128 v[6:9], v1 offset:1472
	v_add_f64 v[28:29], v[30:31], v[28:29]
	v_add_f64 v[26:27], v[26:27], v[34:35]
	v_fma_f64 v[32:33], v[4:5], v[38:39], v[32:33]
	v_fma_f64 v[36:37], v[2:3], v[38:39], -v[36:37]
	ds_load_b128 v[2:5], v1 offset:1488
	s_waitcnt vmcnt(4) lgkmcnt(1)
	v_mul_f64 v[30:31], v[6:7], v[189:190]
	v_mul_f64 v[34:35], v[8:9], v[189:190]
	v_add_f64 v[28:29], v[28:29], v[40:41]
	v_add_f64 v[26:27], v[26:27], v[191:192]
	s_waitcnt vmcnt(3) lgkmcnt(0)
	v_mul_f64 v[38:39], v[2:3], v[12:13]
	v_mul_f64 v[12:13], v[4:5], v[12:13]
	v_fma_f64 v[30:31], v[8:9], v[187:188], v[30:31]
	v_fma_f64 v[34:35], v[6:7], v[187:188], -v[34:35]
	ds_load_b128 v[6:9], v1 offset:1504
	v_add_f64 v[28:29], v[28:29], v[32:33]
	v_add_f64 v[26:27], v[26:27], v[36:37]
	v_fma_f64 v[36:37], v[4:5], v[10:11], v[38:39]
	v_fma_f64 v[10:11], v[2:3], v[10:11], -v[12:13]
	ds_load_b128 v[2:5], v1 offset:1520
	s_waitcnt vmcnt(2) lgkmcnt(1)
	v_mul_f64 v[32:33], v[6:7], v[16:17]
	v_mul_f64 v[16:17], v[8:9], v[16:17]
	v_add_f64 v[12:13], v[26:27], v[34:35]
	v_add_f64 v[26:27], v[28:29], v[30:31]
	s_waitcnt vmcnt(1) lgkmcnt(0)
	v_mul_f64 v[28:29], v[2:3], v[20:21]
	v_mul_f64 v[20:21], v[4:5], v[20:21]
	v_fma_f64 v[8:9], v[8:9], v[14:15], v[32:33]
	v_fma_f64 v[6:7], v[6:7], v[14:15], -v[16:17]
	v_add_f64 v[10:11], v[12:13], v[10:11]
	v_add_f64 v[12:13], v[26:27], v[36:37]
	v_fma_f64 v[4:5], v[4:5], v[18:19], v[28:29]
	v_fma_f64 v[2:3], v[2:3], v[18:19], -v[20:21]
	s_delay_alu instid0(VALU_DEP_4) | instskip(NEXT) | instid1(VALU_DEP_4)
	v_add_f64 v[6:7], v[10:11], v[6:7]
	v_add_f64 v[8:9], v[12:13], v[8:9]
	s_delay_alu instid0(VALU_DEP_2) | instskip(NEXT) | instid1(VALU_DEP_2)
	v_add_f64 v[2:3], v[6:7], v[2:3]
	v_add_f64 v[4:5], v[8:9], v[4:5]
	s_waitcnt vmcnt(0)
	s_delay_alu instid0(VALU_DEP_2) | instskip(NEXT) | instid1(VALU_DEP_2)
	v_add_f64 v[2:3], v[22:23], -v[2:3]
	v_add_f64 v[4:5], v[24:25], -v[4:5]
	scratch_store_b128 off, v[2:5], off offset:32
	v_cmpx_lt_u32_e32 1, v138
	s_cbranch_execz .LBB111_299
; %bb.298:
	scratch_load_b128 v[5:8], v185, off
	v_mov_b32_e32 v2, v1
	v_mov_b32_e32 v3, v1
	;; [unrolled: 1-line block ×3, first 2 shown]
	scratch_store_b128 off, v[1:4], off offset:16
	s_waitcnt vmcnt(0)
	ds_store_b128 v186, v[5:8]
.LBB111_299:
	s_or_b32 exec_lo, exec_lo, s2
	s_waitcnt lgkmcnt(0)
	s_waitcnt_vscnt null, 0x0
	s_barrier
	buffer_gl0_inv
	s_clause 0x7
	scratch_load_b128 v[2:5], off, off offset:32
	scratch_load_b128 v[6:9], off, off offset:48
	;; [unrolled: 1-line block ×8, first 2 shown]
	ds_load_b128 v[38:41], v1 offset:800
	ds_load_b128 v[187:190], v1 offset:816
	s_clause 0x1
	scratch_load_b128 v[34:37], off, off offset:160
	scratch_load_b128 v[191:194], off, off offset:176
	s_mov_b32 s2, exec_lo
	s_waitcnt vmcnt(9) lgkmcnt(1)
	v_mul_f64 v[195:196], v[40:41], v[4:5]
	v_mul_f64 v[4:5], v[38:39], v[4:5]
	s_waitcnt vmcnt(8) lgkmcnt(0)
	v_mul_f64 v[197:198], v[187:188], v[8:9]
	v_mul_f64 v[8:9], v[189:190], v[8:9]
	s_delay_alu instid0(VALU_DEP_4) | instskip(NEXT) | instid1(VALU_DEP_4)
	v_fma_f64 v[195:196], v[38:39], v[2:3], -v[195:196]
	v_fma_f64 v[199:200], v[40:41], v[2:3], v[4:5]
	ds_load_b128 v[2:5], v1 offset:832
	scratch_load_b128 v[38:41], off, off offset:192
	v_fma_f64 v[197:198], v[189:190], v[6:7], v[197:198]
	v_fma_f64 v[203:204], v[187:188], v[6:7], -v[8:9]
	scratch_load_b128 v[187:190], off, off offset:208
	ds_load_b128 v[6:9], v1 offset:848
	s_waitcnt vmcnt(9) lgkmcnt(1)
	v_mul_f64 v[201:202], v[2:3], v[12:13]
	v_mul_f64 v[12:13], v[4:5], v[12:13]
	s_waitcnt vmcnt(8) lgkmcnt(0)
	v_mul_f64 v[205:206], v[6:7], v[16:17]
	v_mul_f64 v[16:17], v[8:9], v[16:17]
	v_add_f64 v[195:196], v[195:196], 0
	v_add_f64 v[199:200], v[199:200], 0
	v_fma_f64 v[201:202], v[4:5], v[10:11], v[201:202]
	v_fma_f64 v[207:208], v[2:3], v[10:11], -v[12:13]
	ds_load_b128 v[2:5], v1 offset:864
	scratch_load_b128 v[10:13], off, off offset:224
	v_add_f64 v[195:196], v[195:196], v[203:204]
	v_add_f64 v[197:198], v[199:200], v[197:198]
	v_fma_f64 v[203:204], v[8:9], v[14:15], v[205:206]
	v_fma_f64 v[205:206], v[6:7], v[14:15], -v[16:17]
	scratch_load_b128 v[14:17], off, off offset:240
	ds_load_b128 v[6:9], v1 offset:880
	s_waitcnt vmcnt(9) lgkmcnt(1)
	v_mul_f64 v[199:200], v[2:3], v[20:21]
	v_mul_f64 v[20:21], v[4:5], v[20:21]
	v_add_f64 v[195:196], v[195:196], v[207:208]
	v_add_f64 v[197:198], v[197:198], v[201:202]
	s_waitcnt vmcnt(8) lgkmcnt(0)
	v_mul_f64 v[201:202], v[6:7], v[24:25]
	v_mul_f64 v[24:25], v[8:9], v[24:25]
	v_fma_f64 v[199:200], v[4:5], v[18:19], v[199:200]
	v_fma_f64 v[207:208], v[2:3], v[18:19], -v[20:21]
	ds_load_b128 v[2:5], v1 offset:896
	scratch_load_b128 v[18:21], off, off offset:256
	v_add_f64 v[195:196], v[195:196], v[205:206]
	v_add_f64 v[197:198], v[197:198], v[203:204]
	v_fma_f64 v[201:202], v[8:9], v[22:23], v[201:202]
	v_fma_f64 v[205:206], v[6:7], v[22:23], -v[24:25]
	scratch_load_b128 v[22:25], off, off offset:272
	ds_load_b128 v[6:9], v1 offset:912
	s_waitcnt vmcnt(9) lgkmcnt(1)
	v_mul_f64 v[203:204], v[2:3], v[28:29]
	v_mul_f64 v[28:29], v[4:5], v[28:29]
	v_add_f64 v[195:196], v[195:196], v[207:208]
	v_add_f64 v[197:198], v[197:198], v[199:200]
	s_waitcnt vmcnt(8) lgkmcnt(0)
	v_mul_f64 v[199:200], v[6:7], v[32:33]
	v_mul_f64 v[32:33], v[8:9], v[32:33]
	;; [unrolled: 18-line block ×13, first 2 shown]
	v_fma_f64 v[199:200], v[4:5], v[34:35], v[199:200]
	v_fma_f64 v[207:208], v[2:3], v[34:35], -v[36:37]
	ds_load_b128 v[2:5], v1 offset:1280
	scratch_load_b128 v[34:37], off, off offset:640
	v_add_f64 v[195:196], v[195:196], v[205:206]
	v_add_f64 v[197:198], v[197:198], v[203:204]
	v_fma_f64 v[201:202], v[8:9], v[191:192], v[201:202]
	v_fma_f64 v[205:206], v[6:7], v[191:192], -v[193:194]
	ds_load_b128 v[6:9], v1 offset:1296
	s_waitcnt vmcnt(8) lgkmcnt(1)
	v_mul_f64 v[203:204], v[2:3], v[40:41]
	v_mul_f64 v[40:41], v[4:5], v[40:41]
	scratch_load_b128 v[191:194], off, off offset:656
	v_add_f64 v[195:196], v[195:196], v[207:208]
	v_add_f64 v[197:198], v[197:198], v[199:200]
	s_waitcnt vmcnt(8) lgkmcnt(0)
	v_mul_f64 v[199:200], v[6:7], v[189:190]
	v_mul_f64 v[189:190], v[8:9], v[189:190]
	v_fma_f64 v[203:204], v[4:5], v[38:39], v[203:204]
	v_fma_f64 v[207:208], v[2:3], v[38:39], -v[40:41]
	ds_load_b128 v[2:5], v1 offset:1312
	scratch_load_b128 v[38:41], off, off offset:672
	v_add_f64 v[195:196], v[195:196], v[205:206]
	v_add_f64 v[197:198], v[197:198], v[201:202]
	v_fma_f64 v[199:200], v[8:9], v[187:188], v[199:200]
	v_fma_f64 v[205:206], v[6:7], v[187:188], -v[189:190]
	ds_load_b128 v[6:9], v1 offset:1328
	s_waitcnt vmcnt(8) lgkmcnt(1)
	v_mul_f64 v[201:202], v[2:3], v[12:13]
	v_mul_f64 v[12:13], v[4:5], v[12:13]
	scratch_load_b128 v[187:190], off, off offset:688
	v_add_f64 v[195:196], v[195:196], v[207:208]
	v_add_f64 v[197:198], v[197:198], v[203:204]
	s_waitcnt vmcnt(8) lgkmcnt(0)
	v_mul_f64 v[203:204], v[6:7], v[16:17]
	v_mul_f64 v[16:17], v[8:9], v[16:17]
	v_fma_f64 v[201:202], v[4:5], v[10:11], v[201:202]
	v_fma_f64 v[207:208], v[2:3], v[10:11], -v[12:13]
	scratch_load_b128 v[10:13], off, off offset:704
	ds_load_b128 v[2:5], v1 offset:1344
	v_add_f64 v[195:196], v[195:196], v[205:206]
	v_add_f64 v[197:198], v[197:198], v[199:200]
	v_fma_f64 v[203:204], v[8:9], v[14:15], v[203:204]
	v_fma_f64 v[205:206], v[6:7], v[14:15], -v[16:17]
	ds_load_b128 v[6:9], v1 offset:1360
	s_waitcnt vmcnt(8) lgkmcnt(1)
	v_mul_f64 v[199:200], v[2:3], v[20:21]
	v_mul_f64 v[20:21], v[4:5], v[20:21]
	scratch_load_b128 v[14:17], off, off offset:720
	v_add_f64 v[195:196], v[195:196], v[207:208]
	v_add_f64 v[197:198], v[197:198], v[201:202]
	s_waitcnt vmcnt(8) lgkmcnt(0)
	v_mul_f64 v[201:202], v[6:7], v[24:25]
	v_mul_f64 v[24:25], v[8:9], v[24:25]
	v_fma_f64 v[199:200], v[4:5], v[18:19], v[199:200]
	v_fma_f64 v[207:208], v[2:3], v[18:19], -v[20:21]
	scratch_load_b128 v[18:21], off, off offset:736
	ds_load_b128 v[2:5], v1 offset:1376
	v_add_f64 v[195:196], v[195:196], v[205:206]
	v_add_f64 v[197:198], v[197:198], v[203:204]
	v_fma_f64 v[201:202], v[8:9], v[22:23], v[201:202]
	v_fma_f64 v[205:206], v[6:7], v[22:23], -v[24:25]
	ds_load_b128 v[6:9], v1 offset:1392
	s_waitcnt vmcnt(8) lgkmcnt(1)
	v_mul_f64 v[203:204], v[2:3], v[28:29]
	v_mul_f64 v[28:29], v[4:5], v[28:29]
	scratch_load_b128 v[22:25], off, off offset:752
	v_add_f64 v[195:196], v[195:196], v[207:208]
	v_add_f64 v[197:198], v[197:198], v[199:200]
	s_waitcnt vmcnt(8) lgkmcnt(0)
	v_mul_f64 v[199:200], v[6:7], v[32:33]
	v_mul_f64 v[32:33], v[8:9], v[32:33]
	v_fma_f64 v[203:204], v[4:5], v[26:27], v[203:204]
	v_fma_f64 v[26:27], v[2:3], v[26:27], -v[28:29]
	ds_load_b128 v[2:5], v1 offset:1408
	v_add_f64 v[28:29], v[195:196], v[205:206]
	v_add_f64 v[195:196], v[197:198], v[201:202]
	v_fma_f64 v[199:200], v[8:9], v[30:31], v[199:200]
	v_fma_f64 v[30:31], v[6:7], v[30:31], -v[32:33]
	ds_load_b128 v[6:9], v1 offset:1424
	s_waitcnt vmcnt(7) lgkmcnt(1)
	v_mul_f64 v[197:198], v[2:3], v[36:37]
	v_mul_f64 v[36:37], v[4:5], v[36:37]
	v_add_f64 v[26:27], v[28:29], v[26:27]
	v_add_f64 v[28:29], v[195:196], v[203:204]
	s_delay_alu instid0(VALU_DEP_4) | instskip(NEXT) | instid1(VALU_DEP_4)
	v_fma_f64 v[195:196], v[4:5], v[34:35], v[197:198]
	v_fma_f64 v[34:35], v[2:3], v[34:35], -v[36:37]
	ds_load_b128 v[2:5], v1 offset:1440
	v_add_f64 v[30:31], v[26:27], v[30:31]
	v_add_f64 v[36:37], v[28:29], v[199:200]
	scratch_load_b128 v[26:29], off, off offset:16
	s_waitcnt vmcnt(7) lgkmcnt(1)
	v_mul_f64 v[32:33], v[6:7], v[193:194]
	v_mul_f64 v[193:194], v[8:9], v[193:194]
	v_add_f64 v[30:31], v[30:31], v[34:35]
	v_add_f64 v[34:35], v[36:37], v[195:196]
	s_delay_alu instid0(VALU_DEP_4) | instskip(NEXT) | instid1(VALU_DEP_4)
	v_fma_f64 v[32:33], v[8:9], v[191:192], v[32:33]
	v_fma_f64 v[191:192], v[6:7], v[191:192], -v[193:194]
	ds_load_b128 v[6:9], v1 offset:1456
	s_waitcnt vmcnt(6) lgkmcnt(1)
	v_mul_f64 v[197:198], v[2:3], v[40:41]
	v_mul_f64 v[40:41], v[4:5], v[40:41]
	s_waitcnt vmcnt(5) lgkmcnt(0)
	v_mul_f64 v[36:37], v[6:7], v[189:190]
	v_mul_f64 v[189:190], v[8:9], v[189:190]
	v_add_f64 v[32:33], v[34:35], v[32:33]
	v_add_f64 v[30:31], v[30:31], v[191:192]
	v_fma_f64 v[193:194], v[4:5], v[38:39], v[197:198]
	v_fma_f64 v[38:39], v[2:3], v[38:39], -v[40:41]
	ds_load_b128 v[2:5], v1 offset:1472
	v_fma_f64 v[36:37], v[8:9], v[187:188], v[36:37]
	v_fma_f64 v[40:41], v[6:7], v[187:188], -v[189:190]
	ds_load_b128 v[6:9], v1 offset:1488
	s_waitcnt vmcnt(4) lgkmcnt(1)
	v_mul_f64 v[34:35], v[2:3], v[12:13]
	v_mul_f64 v[12:13], v[4:5], v[12:13]
	v_add_f64 v[32:33], v[32:33], v[193:194]
	v_add_f64 v[30:31], v[30:31], v[38:39]
	s_waitcnt vmcnt(3) lgkmcnt(0)
	v_mul_f64 v[38:39], v[6:7], v[16:17]
	v_mul_f64 v[16:17], v[8:9], v[16:17]
	v_fma_f64 v[34:35], v[4:5], v[10:11], v[34:35]
	v_fma_f64 v[10:11], v[2:3], v[10:11], -v[12:13]
	ds_load_b128 v[2:5], v1 offset:1504
	v_add_f64 v[12:13], v[30:31], v[40:41]
	v_add_f64 v[30:31], v[32:33], v[36:37]
	v_fma_f64 v[36:37], v[8:9], v[14:15], v[38:39]
	v_fma_f64 v[14:15], v[6:7], v[14:15], -v[16:17]
	ds_load_b128 v[6:9], v1 offset:1520
	s_waitcnt vmcnt(2) lgkmcnt(1)
	v_mul_f64 v[32:33], v[2:3], v[20:21]
	v_mul_f64 v[20:21], v[4:5], v[20:21]
	s_waitcnt vmcnt(1) lgkmcnt(0)
	v_mul_f64 v[16:17], v[6:7], v[24:25]
	v_mul_f64 v[24:25], v[8:9], v[24:25]
	v_add_f64 v[10:11], v[12:13], v[10:11]
	v_add_f64 v[12:13], v[30:31], v[34:35]
	v_fma_f64 v[4:5], v[4:5], v[18:19], v[32:33]
	v_fma_f64 v[1:2], v[2:3], v[18:19], -v[20:21]
	v_fma_f64 v[8:9], v[8:9], v[22:23], v[16:17]
	v_fma_f64 v[6:7], v[6:7], v[22:23], -v[24:25]
	v_add_f64 v[10:11], v[10:11], v[14:15]
	v_add_f64 v[12:13], v[12:13], v[36:37]
	s_delay_alu instid0(VALU_DEP_2) | instskip(NEXT) | instid1(VALU_DEP_2)
	v_add_f64 v[1:2], v[10:11], v[1:2]
	v_add_f64 v[3:4], v[12:13], v[4:5]
	s_delay_alu instid0(VALU_DEP_2) | instskip(NEXT) | instid1(VALU_DEP_2)
	v_add_f64 v[1:2], v[1:2], v[6:7]
	v_add_f64 v[3:4], v[3:4], v[8:9]
	s_waitcnt vmcnt(0)
	s_delay_alu instid0(VALU_DEP_2) | instskip(NEXT) | instid1(VALU_DEP_2)
	v_add_f64 v[1:2], v[26:27], -v[1:2]
	v_add_f64 v[3:4], v[28:29], -v[3:4]
	scratch_store_b128 off, v[1:4], off offset:16
	v_cmpx_ne_u32_e32 0, v138
	s_cbranch_execz .LBB111_301
; %bb.300:
	scratch_load_b128 v[1:4], off, off
	v_mov_b32_e32 v5, 0
	s_delay_alu instid0(VALU_DEP_1)
	v_mov_b32_e32 v6, v5
	v_mov_b32_e32 v7, v5
	;; [unrolled: 1-line block ×3, first 2 shown]
	scratch_store_b128 off, v[5:8], off
	s_waitcnt vmcnt(0)
	ds_store_b128 v186, v[1:4]
.LBB111_301:
	s_or_b32 exec_lo, exec_lo, s2
	s_waitcnt lgkmcnt(0)
	s_waitcnt_vscnt null, 0x0
	s_barrier
	buffer_gl0_inv
	s_clause 0x7
	scratch_load_b128 v[1:4], off, off offset:16
	scratch_load_b128 v[5:8], off, off offset:32
	;; [unrolled: 1-line block ×8, first 2 shown]
	v_mov_b32_e32 v41, 0
	s_and_b32 vcc_lo, exec_lo, s14
	ds_load_b128 v[37:40], v41 offset:784
	s_clause 0x1
	scratch_load_b128 v[33:36], off, off offset:144
	scratch_load_b128 v[186:189], off, off
	ds_load_b128 v[190:193], v41 offset:800
	scratch_load_b128 v[194:197], off, off offset:160
	s_waitcnt vmcnt(10) lgkmcnt(1)
	v_mul_f64 v[198:199], v[39:40], v[3:4]
	v_mul_f64 v[3:4], v[37:38], v[3:4]
	s_delay_alu instid0(VALU_DEP_2) | instskip(NEXT) | instid1(VALU_DEP_2)
	v_fma_f64 v[204:205], v[37:38], v[1:2], -v[198:199]
	v_fma_f64 v[206:207], v[39:40], v[1:2], v[3:4]
	scratch_load_b128 v[37:40], off, off offset:176
	ds_load_b128 v[1:4], v41 offset:816
	s_waitcnt vmcnt(10) lgkmcnt(1)
	v_mul_f64 v[202:203], v[190:191], v[7:8]
	v_mul_f64 v[7:8], v[192:193], v[7:8]
	ds_load_b128 v[198:201], v41 offset:832
	s_waitcnt vmcnt(9) lgkmcnt(1)
	v_mul_f64 v[208:209], v[1:2], v[11:12]
	v_mul_f64 v[11:12], v[3:4], v[11:12]
	v_fma_f64 v[192:193], v[192:193], v[5:6], v[202:203]
	v_fma_f64 v[190:191], v[190:191], v[5:6], -v[7:8]
	v_add_f64 v[202:203], v[204:205], 0
	v_add_f64 v[204:205], v[206:207], 0
	scratch_load_b128 v[5:8], off, off offset:192
	v_fma_f64 v[208:209], v[3:4], v[9:10], v[208:209]
	v_fma_f64 v[210:211], v[1:2], v[9:10], -v[11:12]
	scratch_load_b128 v[9:12], off, off offset:208
	ds_load_b128 v[1:4], v41 offset:848
	s_waitcnt vmcnt(10) lgkmcnt(1)
	v_mul_f64 v[206:207], v[198:199], v[15:16]
	v_mul_f64 v[15:16], v[200:201], v[15:16]
	v_add_f64 v[202:203], v[202:203], v[190:191]
	v_add_f64 v[204:205], v[204:205], v[192:193]
	s_waitcnt vmcnt(9) lgkmcnt(0)
	v_mul_f64 v[212:213], v[1:2], v[19:20]
	v_mul_f64 v[19:20], v[3:4], v[19:20]
	ds_load_b128 v[190:193], v41 offset:864
	v_fma_f64 v[200:201], v[200:201], v[13:14], v[206:207]
	v_fma_f64 v[198:199], v[198:199], v[13:14], -v[15:16]
	scratch_load_b128 v[13:16], off, off offset:224
	v_add_f64 v[202:203], v[202:203], v[210:211]
	v_add_f64 v[204:205], v[204:205], v[208:209]
	v_fma_f64 v[208:209], v[3:4], v[17:18], v[212:213]
	v_fma_f64 v[210:211], v[1:2], v[17:18], -v[19:20]
	scratch_load_b128 v[17:20], off, off offset:240
	ds_load_b128 v[1:4], v41 offset:880
	s_waitcnt vmcnt(10) lgkmcnt(1)
	v_mul_f64 v[206:207], v[190:191], v[23:24]
	v_mul_f64 v[23:24], v[192:193], v[23:24]
	s_waitcnt vmcnt(9) lgkmcnt(0)
	v_mul_f64 v[212:213], v[1:2], v[27:28]
	v_mul_f64 v[27:28], v[3:4], v[27:28]
	v_add_f64 v[202:203], v[202:203], v[198:199]
	v_add_f64 v[204:205], v[204:205], v[200:201]
	ds_load_b128 v[198:201], v41 offset:896
	v_fma_f64 v[192:193], v[192:193], v[21:22], v[206:207]
	v_fma_f64 v[190:191], v[190:191], v[21:22], -v[23:24]
	scratch_load_b128 v[21:24], off, off offset:256
	v_add_f64 v[202:203], v[202:203], v[210:211]
	v_add_f64 v[204:205], v[204:205], v[208:209]
	v_fma_f64 v[208:209], v[3:4], v[25:26], v[212:213]
	v_fma_f64 v[210:211], v[1:2], v[25:26], -v[27:28]
	scratch_load_b128 v[25:28], off, off offset:272
	ds_load_b128 v[1:4], v41 offset:912
	s_waitcnt vmcnt(10) lgkmcnt(1)
	v_mul_f64 v[206:207], v[198:199], v[31:32]
	v_mul_f64 v[31:32], v[200:201], v[31:32]
	s_waitcnt vmcnt(9) lgkmcnt(0)
	v_mul_f64 v[212:213], v[1:2], v[35:36]
	v_mul_f64 v[35:36], v[3:4], v[35:36]
	v_add_f64 v[202:203], v[202:203], v[190:191]
	v_add_f64 v[204:205], v[204:205], v[192:193]
	ds_load_b128 v[190:193], v41 offset:928
	v_fma_f64 v[200:201], v[200:201], v[29:30], v[206:207]
	v_fma_f64 v[198:199], v[198:199], v[29:30], -v[31:32]
	scratch_load_b128 v[29:32], off, off offset:288
	v_add_f64 v[202:203], v[202:203], v[210:211]
	v_add_f64 v[204:205], v[204:205], v[208:209]
	v_fma_f64 v[210:211], v[3:4], v[33:34], v[212:213]
	v_fma_f64 v[212:213], v[1:2], v[33:34], -v[35:36]
	scratch_load_b128 v[33:36], off, off offset:304
	ds_load_b128 v[1:4], v41 offset:944
	s_waitcnt vmcnt(9) lgkmcnt(1)
	v_mul_f64 v[206:207], v[190:191], v[196:197]
	v_mul_f64 v[208:209], v[192:193], v[196:197]
	v_add_f64 v[202:203], v[202:203], v[198:199]
	v_add_f64 v[200:201], v[204:205], v[200:201]
	ds_load_b128 v[196:199], v41 offset:960
	v_fma_f64 v[206:207], v[192:193], v[194:195], v[206:207]
	v_fma_f64 v[194:195], v[190:191], v[194:195], -v[208:209]
	scratch_load_b128 v[190:193], off, off offset:320
	s_waitcnt vmcnt(9) lgkmcnt(1)
	v_mul_f64 v[204:205], v[1:2], v[39:40]
	v_mul_f64 v[39:40], v[3:4], v[39:40]
	v_add_f64 v[202:203], v[202:203], v[212:213]
	v_add_f64 v[200:201], v[200:201], v[210:211]
	s_delay_alu instid0(VALU_DEP_4) | instskip(NEXT) | instid1(VALU_DEP_4)
	v_fma_f64 v[204:205], v[3:4], v[37:38], v[204:205]
	v_fma_f64 v[210:211], v[1:2], v[37:38], -v[39:40]
	scratch_load_b128 v[37:40], off, off offset:336
	ds_load_b128 v[1:4], v41 offset:976
	s_waitcnt vmcnt(9) lgkmcnt(1)
	v_mul_f64 v[208:209], v[196:197], v[7:8]
	v_mul_f64 v[7:8], v[198:199], v[7:8]
	s_waitcnt vmcnt(8) lgkmcnt(0)
	v_mul_f64 v[212:213], v[1:2], v[11:12]
	v_mul_f64 v[11:12], v[3:4], v[11:12]
	v_add_f64 v[194:195], v[202:203], v[194:195]
	v_add_f64 v[206:207], v[200:201], v[206:207]
	ds_load_b128 v[200:203], v41 offset:992
	v_fma_f64 v[198:199], v[198:199], v[5:6], v[208:209]
	v_fma_f64 v[196:197], v[196:197], v[5:6], -v[7:8]
	scratch_load_b128 v[5:8], off, off offset:352
	v_fma_f64 v[208:209], v[3:4], v[9:10], v[212:213]
	v_add_f64 v[194:195], v[194:195], v[210:211]
	v_add_f64 v[204:205], v[206:207], v[204:205]
	v_fma_f64 v[210:211], v[1:2], v[9:10], -v[11:12]
	scratch_load_b128 v[9:12], off, off offset:368
	ds_load_b128 v[1:4], v41 offset:1008
	s_waitcnt vmcnt(9) lgkmcnt(1)
	v_mul_f64 v[206:207], v[200:201], v[15:16]
	v_mul_f64 v[15:16], v[202:203], v[15:16]
	v_add_f64 v[212:213], v[194:195], v[196:197]
	v_add_f64 v[198:199], v[204:205], v[198:199]
	s_waitcnt vmcnt(8) lgkmcnt(0)
	v_mul_f64 v[204:205], v[1:2], v[19:20]
	v_mul_f64 v[19:20], v[3:4], v[19:20]
	ds_load_b128 v[194:197], v41 offset:1024
	v_fma_f64 v[202:203], v[202:203], v[13:14], v[206:207]
	v_fma_f64 v[200:201], v[200:201], v[13:14], -v[15:16]
	scratch_load_b128 v[13:16], off, off offset:384
	v_add_f64 v[206:207], v[212:213], v[210:211]
	v_add_f64 v[198:199], v[198:199], v[208:209]
	v_fma_f64 v[204:205], v[3:4], v[17:18], v[204:205]
	v_fma_f64 v[210:211], v[1:2], v[17:18], -v[19:20]
	scratch_load_b128 v[17:20], off, off offset:400
	ds_load_b128 v[1:4], v41 offset:1040
	s_waitcnt vmcnt(9) lgkmcnt(1)
	v_mul_f64 v[208:209], v[194:195], v[23:24]
	v_mul_f64 v[23:24], v[196:197], v[23:24]
	s_waitcnt vmcnt(8) lgkmcnt(0)
	v_mul_f64 v[212:213], v[1:2], v[27:28]
	v_mul_f64 v[27:28], v[3:4], v[27:28]
	v_add_f64 v[206:207], v[206:207], v[200:201]
	v_add_f64 v[202:203], v[198:199], v[202:203]
	ds_load_b128 v[198:201], v41 offset:1056
	v_fma_f64 v[196:197], v[196:197], v[21:22], v[208:209]
	v_fma_f64 v[194:195], v[194:195], v[21:22], -v[23:24]
	scratch_load_b128 v[21:24], off, off offset:416
	v_fma_f64 v[208:209], v[3:4], v[25:26], v[212:213]
	v_add_f64 v[206:207], v[206:207], v[210:211]
	v_add_f64 v[202:203], v[202:203], v[204:205]
	v_fma_f64 v[210:211], v[1:2], v[25:26], -v[27:28]
	scratch_load_b128 v[25:28], off, off offset:432
	ds_load_b128 v[1:4], v41 offset:1072
	s_waitcnt vmcnt(9) lgkmcnt(1)
	v_mul_f64 v[204:205], v[198:199], v[31:32]
	v_mul_f64 v[31:32], v[200:201], v[31:32]
	s_waitcnt vmcnt(8) lgkmcnt(0)
	v_mul_f64 v[212:213], v[1:2], v[35:36]
	v_mul_f64 v[35:36], v[3:4], v[35:36]
	v_add_f64 v[206:207], v[206:207], v[194:195]
	v_add_f64 v[202:203], v[202:203], v[196:197]
	ds_load_b128 v[194:197], v41 offset:1088
	v_fma_f64 v[200:201], v[200:201], v[29:30], v[204:205]
	v_fma_f64 v[198:199], v[198:199], v[29:30], -v[31:32]
	scratch_load_b128 v[29:32], off, off offset:448
	v_add_f64 v[204:205], v[206:207], v[210:211]
	v_add_f64 v[202:203], v[202:203], v[208:209]
	v_fma_f64 v[208:209], v[3:4], v[33:34], v[212:213]
	v_fma_f64 v[210:211], v[1:2], v[33:34], -v[35:36]
	scratch_load_b128 v[33:36], off, off offset:464
	ds_load_b128 v[1:4], v41 offset:1104
	s_waitcnt vmcnt(9) lgkmcnt(1)
	v_mul_f64 v[206:207], v[194:195], v[192:193]
	v_mul_f64 v[192:193], v[196:197], v[192:193]
	s_waitcnt vmcnt(8) lgkmcnt(0)
	v_mul_f64 v[212:213], v[1:2], v[39:40]
	v_mul_f64 v[39:40], v[3:4], v[39:40]
	v_add_f64 v[204:205], v[204:205], v[198:199]
	v_add_f64 v[202:203], v[202:203], v[200:201]
	ds_load_b128 v[198:201], v41 offset:1120
	v_fma_f64 v[196:197], v[196:197], v[190:191], v[206:207]
	v_fma_f64 v[194:195], v[194:195], v[190:191], -v[192:193]
	scratch_load_b128 v[190:193], off, off offset:480
	v_add_f64 v[204:205], v[204:205], v[210:211]
	v_add_f64 v[202:203], v[202:203], v[208:209]
	v_fma_f64 v[208:209], v[3:4], v[37:38], v[212:213]
	;; [unrolled: 18-line block ×6, first 2 shown]
	v_fma_f64 v[212:213], v[1:2], v[33:34], -v[35:36]
	scratch_load_b128 v[33:36], off, off offset:624
	ds_load_b128 v[1:4], v41 offset:1264
	s_waitcnt vmcnt(9) lgkmcnt(1)
	v_mul_f64 v[206:207], v[198:199], v[192:193]
	v_mul_f64 v[208:209], v[200:201], v[192:193]
	v_add_f64 v[204:205], v[204:205], v[194:195]
	v_add_f64 v[196:197], v[202:203], v[196:197]
	s_waitcnt vmcnt(8) lgkmcnt(0)
	v_mul_f64 v[202:203], v[1:2], v[39:40]
	v_mul_f64 v[39:40], v[3:4], v[39:40]
	ds_load_b128 v[192:195], v41 offset:1280
	v_fma_f64 v[200:201], v[200:201], v[190:191], v[206:207]
	v_fma_f64 v[190:191], v[198:199], v[190:191], -v[208:209]
	v_add_f64 v[204:205], v[204:205], v[212:213]
	v_add_f64 v[206:207], v[196:197], v[210:211]
	scratch_load_b128 v[196:199], off, off offset:640
	v_fma_f64 v[210:211], v[3:4], v[37:38], v[202:203]
	v_fma_f64 v[212:213], v[1:2], v[37:38], -v[39:40]
	scratch_load_b128 v[37:40], off, off offset:656
	ds_load_b128 v[1:4], v41 offset:1296
	s_waitcnt vmcnt(9) lgkmcnt(1)
	v_mul_f64 v[208:209], v[192:193], v[7:8]
	v_mul_f64 v[7:8], v[194:195], v[7:8]
	v_add_f64 v[190:191], v[204:205], v[190:191]
	v_add_f64 v[204:205], v[206:207], v[200:201]
	s_waitcnt vmcnt(8) lgkmcnt(0)
	v_mul_f64 v[206:207], v[1:2], v[11:12]
	v_mul_f64 v[11:12], v[3:4], v[11:12]
	ds_load_b128 v[200:203], v41 offset:1312
	v_fma_f64 v[194:195], v[194:195], v[5:6], v[208:209]
	v_fma_f64 v[192:193], v[192:193], v[5:6], -v[7:8]
	scratch_load_b128 v[5:8], off, off offset:672
	v_add_f64 v[190:191], v[190:191], v[212:213]
	v_add_f64 v[204:205], v[204:205], v[210:211]
	v_fma_f64 v[206:207], v[3:4], v[9:10], v[206:207]
	v_fma_f64 v[210:211], v[1:2], v[9:10], -v[11:12]
	scratch_load_b128 v[9:12], off, off offset:688
	ds_load_b128 v[1:4], v41 offset:1328
	s_waitcnt vmcnt(9) lgkmcnt(1)
	v_mul_f64 v[208:209], v[200:201], v[15:16]
	v_mul_f64 v[15:16], v[202:203], v[15:16]
	v_add_f64 v[212:213], v[190:191], v[192:193]
	v_add_f64 v[194:195], v[204:205], v[194:195]
	s_waitcnt vmcnt(8) lgkmcnt(0)
	v_mul_f64 v[204:205], v[1:2], v[19:20]
	v_mul_f64 v[19:20], v[3:4], v[19:20]
	ds_load_b128 v[190:193], v41 offset:1344
	v_fma_f64 v[202:203], v[202:203], v[13:14], v[208:209]
	v_fma_f64 v[200:201], v[200:201], v[13:14], -v[15:16]
	scratch_load_b128 v[13:16], off, off offset:704
	v_add_f64 v[208:209], v[212:213], v[210:211]
	v_add_f64 v[194:195], v[194:195], v[206:207]
	v_fma_f64 v[204:205], v[3:4], v[17:18], v[204:205]
	v_fma_f64 v[210:211], v[1:2], v[17:18], -v[19:20]
	scratch_load_b128 v[17:20], off, off offset:720
	ds_load_b128 v[1:4], v41 offset:1360
	s_waitcnt vmcnt(9) lgkmcnt(1)
	v_mul_f64 v[206:207], v[190:191], v[23:24]
	v_mul_f64 v[23:24], v[192:193], v[23:24]
	s_waitcnt vmcnt(8) lgkmcnt(0)
	v_mul_f64 v[212:213], v[1:2], v[27:28]
	v_mul_f64 v[27:28], v[3:4], v[27:28]
	v_add_f64 v[208:209], v[208:209], v[200:201]
	v_add_f64 v[194:195], v[194:195], v[202:203]
	ds_load_b128 v[200:203], v41 offset:1376
	v_fma_f64 v[192:193], v[192:193], v[21:22], v[206:207]
	v_fma_f64 v[190:191], v[190:191], v[21:22], -v[23:24]
	scratch_load_b128 v[21:24], off, off offset:736
	v_add_f64 v[206:207], v[208:209], v[210:211]
	v_add_f64 v[194:195], v[194:195], v[204:205]
	v_fma_f64 v[208:209], v[3:4], v[25:26], v[212:213]
	v_fma_f64 v[210:211], v[1:2], v[25:26], -v[27:28]
	scratch_load_b128 v[25:28], off, off offset:752
	ds_load_b128 v[1:4], v41 offset:1392
	s_waitcnt vmcnt(9) lgkmcnt(1)
	v_mul_f64 v[204:205], v[200:201], v[31:32]
	v_mul_f64 v[31:32], v[202:203], v[31:32]
	s_waitcnt vmcnt(8) lgkmcnt(0)
	v_mul_f64 v[212:213], v[1:2], v[35:36]
	v_mul_f64 v[35:36], v[3:4], v[35:36]
	v_add_f64 v[206:207], v[206:207], v[190:191]
	v_add_f64 v[194:195], v[194:195], v[192:193]
	ds_load_b128 v[190:193], v41 offset:1408
	v_fma_f64 v[202:203], v[202:203], v[29:30], v[204:205]
	v_fma_f64 v[29:30], v[200:201], v[29:30], -v[31:32]
	v_fma_f64 v[204:205], v[3:4], v[33:34], v[212:213]
	v_fma_f64 v[33:34], v[1:2], v[33:34], -v[35:36]
	v_add_f64 v[31:32], v[206:207], v[210:211]
	v_add_f64 v[194:195], v[194:195], v[208:209]
	s_waitcnt vmcnt(7) lgkmcnt(0)
	v_mul_f64 v[200:201], v[190:191], v[198:199]
	v_mul_f64 v[198:199], v[192:193], v[198:199]
	s_delay_alu instid0(VALU_DEP_4) | instskip(NEXT) | instid1(VALU_DEP_4)
	v_add_f64 v[35:36], v[31:32], v[29:30]
	v_add_f64 v[194:195], v[194:195], v[202:203]
	ds_load_b128 v[1:4], v41 offset:1424
	ds_load_b128 v[29:32], v41 offset:1440
	v_fma_f64 v[192:193], v[192:193], v[196:197], v[200:201]
	v_fma_f64 v[190:191], v[190:191], v[196:197], -v[198:199]
	s_waitcnt vmcnt(6) lgkmcnt(1)
	v_mul_f64 v[202:203], v[1:2], v[39:40]
	v_mul_f64 v[39:40], v[3:4], v[39:40]
	v_add_f64 v[33:34], v[35:36], v[33:34]
	v_add_f64 v[35:36], v[194:195], v[204:205]
	s_waitcnt vmcnt(5) lgkmcnt(0)
	v_mul_f64 v[194:195], v[29:30], v[7:8]
	v_mul_f64 v[7:8], v[31:32], v[7:8]
	v_fma_f64 v[196:197], v[3:4], v[37:38], v[202:203]
	v_fma_f64 v[37:38], v[1:2], v[37:38], -v[39:40]
	v_add_f64 v[39:40], v[33:34], v[190:191]
	v_add_f64 v[190:191], v[35:36], v[192:193]
	ds_load_b128 v[1:4], v41 offset:1456
	ds_load_b128 v[33:36], v41 offset:1472
	v_fma_f64 v[31:32], v[31:32], v[5:6], v[194:195]
	v_fma_f64 v[5:6], v[29:30], v[5:6], -v[7:8]
	s_waitcnt vmcnt(4) lgkmcnt(1)
	v_mul_f64 v[192:193], v[1:2], v[11:12]
	v_mul_f64 v[11:12], v[3:4], v[11:12]
	v_add_f64 v[7:8], v[39:40], v[37:38]
	v_add_f64 v[29:30], v[190:191], v[196:197]
	s_waitcnt vmcnt(3) lgkmcnt(0)
	v_mul_f64 v[37:38], v[33:34], v[15:16]
	v_mul_f64 v[15:16], v[35:36], v[15:16]
	v_fma_f64 v[39:40], v[3:4], v[9:10], v[192:193]
	v_fma_f64 v[9:10], v[1:2], v[9:10], -v[11:12]
	v_add_f64 v[11:12], v[7:8], v[5:6]
	v_add_f64 v[29:30], v[29:30], v[31:32]
	ds_load_b128 v[1:4], v41 offset:1488
	ds_load_b128 v[5:8], v41 offset:1504
	v_fma_f64 v[35:36], v[35:36], v[13:14], v[37:38]
	v_fma_f64 v[13:14], v[33:34], v[13:14], -v[15:16]
	s_waitcnt vmcnt(2) lgkmcnt(1)
	v_mul_f64 v[31:32], v[1:2], v[19:20]
	v_mul_f64 v[19:20], v[3:4], v[19:20]
	s_waitcnt vmcnt(1) lgkmcnt(0)
	v_mul_f64 v[15:16], v[5:6], v[23:24]
	v_mul_f64 v[23:24], v[7:8], v[23:24]
	v_add_f64 v[9:10], v[11:12], v[9:10]
	v_add_f64 v[11:12], v[29:30], v[39:40]
	v_fma_f64 v[29:30], v[3:4], v[17:18], v[31:32]
	v_fma_f64 v[17:18], v[1:2], v[17:18], -v[19:20]
	ds_load_b128 v[1:4], v41 offset:1520
	v_fma_f64 v[7:8], v[7:8], v[21:22], v[15:16]
	v_fma_f64 v[5:6], v[5:6], v[21:22], -v[23:24]
	v_add_f64 v[9:10], v[9:10], v[13:14]
	v_add_f64 v[11:12], v[11:12], v[35:36]
	s_waitcnt vmcnt(0) lgkmcnt(0)
	v_mul_f64 v[13:14], v[1:2], v[27:28]
	v_mul_f64 v[19:20], v[3:4], v[27:28]
	s_delay_alu instid0(VALU_DEP_4) | instskip(NEXT) | instid1(VALU_DEP_4)
	v_add_f64 v[9:10], v[9:10], v[17:18]
	v_add_f64 v[11:12], v[11:12], v[29:30]
	s_delay_alu instid0(VALU_DEP_4) | instskip(NEXT) | instid1(VALU_DEP_4)
	v_fma_f64 v[3:4], v[3:4], v[25:26], v[13:14]
	v_fma_f64 v[1:2], v[1:2], v[25:26], -v[19:20]
	s_delay_alu instid0(VALU_DEP_4) | instskip(NEXT) | instid1(VALU_DEP_4)
	v_add_f64 v[5:6], v[9:10], v[5:6]
	v_add_f64 v[7:8], v[11:12], v[7:8]
	s_delay_alu instid0(VALU_DEP_2) | instskip(NEXT) | instid1(VALU_DEP_2)
	v_add_f64 v[1:2], v[5:6], v[1:2]
	v_add_f64 v[3:4], v[7:8], v[3:4]
	s_delay_alu instid0(VALU_DEP_2) | instskip(NEXT) | instid1(VALU_DEP_2)
	v_add_f64 v[1:2], v[186:187], -v[1:2]
	v_add_f64 v[3:4], v[188:189], -v[3:4]
	scratch_store_b128 off, v[1:4], off
	s_cbranch_vccz .LBB111_397
; %bb.302:
	v_dual_mov_b32 v1, s8 :: v_dual_mov_b32 v2, s9
	s_load_b64 s[0:1], s[0:1], 0x4
	flat_load_b32 v1, v[1:2] offset:184
	v_bfe_u32 v2, v0, 10, 10
	v_bfe_u32 v0, v0, 20, 10
	s_waitcnt lgkmcnt(0)
	s_lshr_b32 s0, s0, 16
	s_delay_alu instid0(VALU_DEP_2) | instskip(SKIP_1) | instid1(SALU_CYCLE_1)
	v_mul_u32_u24_e32 v2, s1, v2
	s_mul_i32 s0, s0, s1
	v_mul_u32_u24_e32 v3, s0, v138
	s_mov_b32 s0, exec_lo
	s_delay_alu instid0(VALU_DEP_1) | instskip(NEXT) | instid1(VALU_DEP_1)
	v_add3_u32 v0, v3, v2, v0
	v_lshl_add_u32 v0, v0, 4, 0x608
	s_waitcnt vmcnt(0)
	v_cmpx_ne_u32_e32 47, v1
	s_cbranch_execz .LBB111_304
; %bb.303:
	v_lshl_add_u32 v9, v1, 4, 0
	s_clause 0x1
	scratch_load_b128 v[1:4], v145, off
	scratch_load_b128 v[5:8], v9, off offset:-16
	s_waitcnt vmcnt(1)
	ds_store_2addr_b64 v0, v[1:2], v[3:4] offset1:1
	s_waitcnt vmcnt(0)
	s_clause 0x1
	scratch_store_b128 v145, v[5:8], off
	scratch_store_b128 v9, v[1:4], off offset:-16
.LBB111_304:
	s_or_b32 exec_lo, exec_lo, s0
	v_dual_mov_b32 v1, s8 :: v_dual_mov_b32 v2, s9
	s_mov_b32 s0, exec_lo
	flat_load_b32 v1, v[1:2] offset:180
	s_waitcnt vmcnt(0) lgkmcnt(0)
	v_cmpx_ne_u32_e32 46, v1
	s_cbranch_execz .LBB111_306
; %bb.305:
	v_lshl_add_u32 v9, v1, 4, 0
	s_clause 0x1
	scratch_load_b128 v[1:4], v146, off
	scratch_load_b128 v[5:8], v9, off offset:-16
	s_waitcnt vmcnt(1)
	ds_store_2addr_b64 v0, v[1:2], v[3:4] offset1:1
	s_waitcnt vmcnt(0)
	s_clause 0x1
	scratch_store_b128 v146, v[5:8], off
	scratch_store_b128 v9, v[1:4], off offset:-16
.LBB111_306:
	s_or_b32 exec_lo, exec_lo, s0
	v_dual_mov_b32 v1, s8 :: v_dual_mov_b32 v2, s9
	s_mov_b32 s0, exec_lo
	flat_load_b32 v1, v[1:2] offset:176
	s_waitcnt vmcnt(0) lgkmcnt(0)
	;; [unrolled: 19-line block ×45, first 2 shown]
	v_cmpx_ne_u32_e32 2, v1
	s_cbranch_execz .LBB111_394
; %bb.393:
	v_lshl_add_u32 v9, v1, 4, 0
	s_clause 0x1
	scratch_load_b128 v[1:4], v185, off
	scratch_load_b128 v[5:8], v9, off offset:-16
	s_waitcnt vmcnt(1)
	ds_store_2addr_b64 v0, v[1:2], v[3:4] offset1:1
	s_waitcnt vmcnt(0)
	s_clause 0x1
	scratch_store_b128 v185, v[5:8], off
	scratch_store_b128 v9, v[1:4], off offset:-16
.LBB111_394:
	s_or_b32 exec_lo, exec_lo, s0
	v_dual_mov_b32 v1, s8 :: v_dual_mov_b32 v2, s9
	s_mov_b32 s0, exec_lo
	flat_load_b32 v1, v[1:2]
	s_waitcnt vmcnt(0) lgkmcnt(0)
	v_cmpx_ne_u32_e32 1, v1
	s_cbranch_execz .LBB111_396
; %bb.395:
	v_lshl_add_u32 v9, v1, 4, 0
	scratch_load_b128 v[1:4], off, off
	scratch_load_b128 v[5:8], v9, off offset:-16
	s_waitcnt vmcnt(1)
	ds_store_2addr_b64 v0, v[1:2], v[3:4] offset1:1
	s_waitcnt vmcnt(0)
	scratch_store_b128 off, v[5:8], off
	scratch_store_b128 v9, v[1:4], off offset:-16
.LBB111_396:
	s_or_b32 exec_lo, exec_lo, s0
.LBB111_397:
	scratch_load_b128 v[0:3], off, off
	s_clause 0x14
	scratch_load_b128 v[4:7], v185, off
	scratch_load_b128 v[8:11], v184, off
	;; [unrolled: 1-line block ×21, first 2 shown]
	s_waitcnt vmcnt(21)
	global_store_b128 v[42:43], v[0:3], off
	s_clause 0x1
	scratch_load_b128 v[0:3], v163, off
	scratch_load_b128 v[40:43], v164, off
	s_waitcnt vmcnt(22)
	global_store_b128 v[44:45], v[4:7], off
	s_clause 0x1
	scratch_load_b128 v[4:7], v162, off
	scratch_load_b128 v[161:164], v161, off
	;; [unrolled: 5-line block ×13, first 2 shown]
	s_waitcnt vmcnt(34)
	global_store_b128 v[68:69], v[188:191], off
	s_waitcnt vmcnt(33)
	global_store_b128 v[70:71], v[172:175], off
	;; [unrolled: 2-line block ×35, first 2 shown]
	s_endpgm
	.section	.rodata,"a",@progbits
	.p2align	6, 0x0
	.amdhsa_kernel _ZN9rocsolver6v33100L18getri_kernel_smallILi48E19rocblas_complex_numIdEPKPS3_EEvT1_iilPiilS8_bb
		.amdhsa_group_segment_fixed_size 2568
		.amdhsa_private_segment_fixed_size 784
		.amdhsa_kernarg_size 60
		.amdhsa_user_sgpr_count 15
		.amdhsa_user_sgpr_dispatch_ptr 1
		.amdhsa_user_sgpr_queue_ptr 0
		.amdhsa_user_sgpr_kernarg_segment_ptr 1
		.amdhsa_user_sgpr_dispatch_id 0
		.amdhsa_user_sgpr_private_segment_size 0
		.amdhsa_wavefront_size32 1
		.amdhsa_uses_dynamic_stack 0
		.amdhsa_enable_private_segment 1
		.amdhsa_system_sgpr_workgroup_id_x 1
		.amdhsa_system_sgpr_workgroup_id_y 0
		.amdhsa_system_sgpr_workgroup_id_z 0
		.amdhsa_system_sgpr_workgroup_info 0
		.amdhsa_system_vgpr_workitem_id 2
		.amdhsa_next_free_vgpr 242
		.amdhsa_next_free_sgpr 54
		.amdhsa_reserve_vcc 1
		.amdhsa_float_round_mode_32 0
		.amdhsa_float_round_mode_16_64 0
		.amdhsa_float_denorm_mode_32 3
		.amdhsa_float_denorm_mode_16_64 3
		.amdhsa_dx10_clamp 1
		.amdhsa_ieee_mode 1
		.amdhsa_fp16_overflow 0
		.amdhsa_workgroup_processor_mode 1
		.amdhsa_memory_ordered 1
		.amdhsa_forward_progress 0
		.amdhsa_shared_vgpr_count 0
		.amdhsa_exception_fp_ieee_invalid_op 0
		.amdhsa_exception_fp_denorm_src 0
		.amdhsa_exception_fp_ieee_div_zero 0
		.amdhsa_exception_fp_ieee_overflow 0
		.amdhsa_exception_fp_ieee_underflow 0
		.amdhsa_exception_fp_ieee_inexact 0
		.amdhsa_exception_int_div_zero 0
	.end_amdhsa_kernel
	.section	.text._ZN9rocsolver6v33100L18getri_kernel_smallILi48E19rocblas_complex_numIdEPKPS3_EEvT1_iilPiilS8_bb,"axG",@progbits,_ZN9rocsolver6v33100L18getri_kernel_smallILi48E19rocblas_complex_numIdEPKPS3_EEvT1_iilPiilS8_bb,comdat
.Lfunc_end111:
	.size	_ZN9rocsolver6v33100L18getri_kernel_smallILi48E19rocblas_complex_numIdEPKPS3_EEvT1_iilPiilS8_bb, .Lfunc_end111-_ZN9rocsolver6v33100L18getri_kernel_smallILi48E19rocblas_complex_numIdEPKPS3_EEvT1_iilPiilS8_bb
                                        ; -- End function
	.section	.AMDGPU.csdata,"",@progbits
; Kernel info:
; codeLenInByte = 106648
; NumSgprs: 56
; NumVgprs: 242
; ScratchSize: 784
; MemoryBound: 0
; FloatMode: 240
; IeeeMode: 1
; LDSByteSize: 2568 bytes/workgroup (compile time only)
; SGPRBlocks: 6
; VGPRBlocks: 30
; NumSGPRsForWavesPerEU: 56
; NumVGPRsForWavesPerEU: 242
; Occupancy: 5
; WaveLimiterHint : 1
; COMPUTE_PGM_RSRC2:SCRATCH_EN: 1
; COMPUTE_PGM_RSRC2:USER_SGPR: 15
; COMPUTE_PGM_RSRC2:TRAP_HANDLER: 0
; COMPUTE_PGM_RSRC2:TGID_X_EN: 1
; COMPUTE_PGM_RSRC2:TGID_Y_EN: 0
; COMPUTE_PGM_RSRC2:TGID_Z_EN: 0
; COMPUTE_PGM_RSRC2:TIDIG_COMP_CNT: 2
	.section	.text._ZN9rocsolver6v33100L18getri_kernel_smallILi49E19rocblas_complex_numIdEPKPS3_EEvT1_iilPiilS8_bb,"axG",@progbits,_ZN9rocsolver6v33100L18getri_kernel_smallILi49E19rocblas_complex_numIdEPKPS3_EEvT1_iilPiilS8_bb,comdat
	.globl	_ZN9rocsolver6v33100L18getri_kernel_smallILi49E19rocblas_complex_numIdEPKPS3_EEvT1_iilPiilS8_bb ; -- Begin function _ZN9rocsolver6v33100L18getri_kernel_smallILi49E19rocblas_complex_numIdEPKPS3_EEvT1_iilPiilS8_bb
	.p2align	8
	.type	_ZN9rocsolver6v33100L18getri_kernel_smallILi49E19rocblas_complex_numIdEPKPS3_EEvT1_iilPiilS8_bb,@function
_ZN9rocsolver6v33100L18getri_kernel_smallILi49E19rocblas_complex_numIdEPKPS3_EEvT1_iilPiilS8_bb: ; @_ZN9rocsolver6v33100L18getri_kernel_smallILi49E19rocblas_complex_numIdEPKPS3_EEvT1_iilPiilS8_bb
; %bb.0:
	v_and_b32_e32 v140, 0x3ff, v0
	s_mov_b32 s4, exec_lo
	s_delay_alu instid0(VALU_DEP_1)
	v_cmpx_gt_u32_e32 49, v140
	s_cbranch_execz .LBB112_210
; %bb.1:
	s_mov_b32 s10, s15
	s_clause 0x2
	s_load_b32 s15, s[2:3], 0x38
	s_load_b64 s[8:9], s[2:3], 0x0
	s_load_b128 s[4:7], s[2:3], 0x28
	s_waitcnt lgkmcnt(0)
	s_bitcmp1_b32 s15, 8
	s_cselect_b32 s14, -1, 0
	s_ashr_i32 s11, s10, 31
	s_delay_alu instid0(SALU_CYCLE_1) | instskip(NEXT) | instid1(SALU_CYCLE_1)
	s_lshl_b64 s[12:13], s[10:11], 3
	s_add_u32 s8, s8, s12
	s_addc_u32 s9, s9, s13
	s_load_b64 s[12:13], s[8:9], 0x0
	s_bfe_u32 s8, s15, 0x10008
	s_delay_alu instid0(SALU_CYCLE_1)
	s_cmp_eq_u32 s8, 0
                                        ; implicit-def: $sgpr8_sgpr9
	s_cbranch_scc1 .LBB112_3
; %bb.2:
	s_clause 0x1
	s_load_b32 s8, s[2:3], 0x20
	s_load_b64 s[16:17], s[2:3], 0x18
	s_mul_i32 s5, s10, s5
	s_mul_hi_u32 s9, s10, s4
	s_mul_i32 s18, s11, s4
	s_add_i32 s5, s9, s5
	s_mul_i32 s4, s10, s4
	s_add_i32 s5, s5, s18
	s_delay_alu instid0(SALU_CYCLE_1)
	s_lshl_b64 s[4:5], s[4:5], 2
	s_waitcnt lgkmcnt(0)
	s_ashr_i32 s9, s8, 31
	s_add_u32 s16, s16, s4
	s_addc_u32 s17, s17, s5
	s_lshl_b64 s[4:5], s[8:9], 2
	s_delay_alu instid0(SALU_CYCLE_1)
	s_add_u32 s8, s16, s4
	s_addc_u32 s9, s17, s5
.LBB112_3:
	s_load_b64 s[2:3], s[2:3], 0x8
	v_lshlrev_b32_e32 v13, 4, v140
	s_movk_i32 s18, 0xd0
	s_movk_i32 s19, 0xe0
	;; [unrolled: 1-line block ×18, first 2 shown]
	s_waitcnt lgkmcnt(0)
	v_add3_u32 v5, s3, s3, v140
	s_ashr_i32 s5, s2, 31
	s_mov_b32 s4, s2
	s_mov_b32 s16, s3
	s_lshl_b64 s[4:5], s[4:5], 4
	v_add_nc_u32_e32 v7, s3, v5
	v_ashrrev_i32_e32 v6, 31, v5
	s_add_u32 s4, s12, s4
	s_addc_u32 s5, s13, s5
	v_add_co_u32 v42, s2, s4, v13
	v_add_nc_u32_e32 v9, s3, v7
	s_ashr_i32 s17, s3, 31
	v_add_co_ci_u32_e64 v43, null, s5, 0, s2
	v_ashrrev_i32_e32 v8, 31, v7
	v_lshlrev_b64 v[5:6], 4, v[5:6]
	s_lshl_b64 s[12:13], s[16:17], 4
	v_ashrrev_i32_e32 v10, 31, v9
	v_add_co_u32 v44, vcc_lo, v42, s12
	v_add_nc_u32_e32 v11, s3, v9
	v_add_co_ci_u32_e32 v45, vcc_lo, s13, v43, vcc_lo
	v_lshlrev_b64 v[7:8], 4, v[7:8]
	v_add_co_u32 v46, vcc_lo, s4, v5
	v_add_co_ci_u32_e32 v47, vcc_lo, s5, v6, vcc_lo
	v_lshlrev_b64 v[5:6], 4, v[9:10]
	v_ashrrev_i32_e32 v12, 31, v11
	v_add_nc_u32_e32 v9, s3, v11
	v_add_co_u32 v48, vcc_lo, s4, v7
	v_add_co_ci_u32_e32 v49, vcc_lo, s5, v8, vcc_lo
	s_delay_alu instid0(VALU_DEP_4) | instskip(NEXT) | instid1(VALU_DEP_4)
	v_lshlrev_b64 v[7:8], 4, v[11:12]
	v_ashrrev_i32_e32 v10, 31, v9
	v_add_nc_u32_e32 v11, s3, v9
	v_add_co_u32 v50, vcc_lo, s4, v5
	v_add_co_ci_u32_e32 v51, vcc_lo, s5, v6, vcc_lo
	s_delay_alu instid0(VALU_DEP_4) | instskip(NEXT) | instid1(VALU_DEP_4)
	;; [unrolled: 6-line block ×11, first 2 shown]
	v_lshlrev_b64 v[7:8], 4, v[11:12]
	v_add_nc_u32_e32 v11, s3, v9
	v_ashrrev_i32_e32 v10, 31, v9
	v_add_co_u32 v70, vcc_lo, s4, v5
	v_add_co_ci_u32_e32 v71, vcc_lo, s5, v6, vcc_lo
	s_delay_alu instid0(VALU_DEP_4) | instskip(SKIP_3) | instid1(VALU_DEP_4)
	v_ashrrev_i32_e32 v12, 31, v11
	v_add_nc_u32_e32 v30, s3, v11
	v_lshlrev_b64 v[22:23], 4, v[9:10]
	v_add_co_u32 v72, vcc_lo, s4, v7
	v_lshlrev_b64 v[76:77], 4, v[11:12]
	s_delay_alu instid0(VALU_DEP_4)
	v_ashrrev_i32_e32 v31, 31, v30
	global_load_b128 v[1:4], v13, s[4:5]
	v_add_co_ci_u32_e32 v73, vcc_lo, s5, v8, vcc_lo
	v_add_co_u32 v74, vcc_lo, s4, v22
	s_clause 0x3
	global_load_b128 v[5:8], v[44:45], off
	global_load_b128 v[9:12], v[46:47], off
	;; [unrolled: 1-line block ×4, first 2 shown]
	v_add_co_ci_u32_e32 v75, vcc_lo, s5, v23, vcc_lo
	s_clause 0x1
	global_load_b128 v[22:25], v[52:53], off
	global_load_b128 v[26:29], v[54:55], off
	v_add_nc_u32_e32 v78, s3, v30
	v_lshlrev_b64 v[80:81], 4, v[30:31]
	s_clause 0x1
	global_load_b128 v[30:33], v[56:57], off
	global_load_b128 v[34:37], v[58:59], off
	v_add_co_u32 v76, vcc_lo, s4, v76
	s_clause 0x3
	global_load_b128 v[38:41], v[60:61], off
	global_load_b128 v[141:144], v[62:63], off
	global_load_b128 v[145:148], v[64:65], off
	global_load_b128 v[149:152], v[66:67], off
	v_add_co_ci_u32_e32 v77, vcc_lo, s5, v77, vcc_lo
	s_clause 0x4
	global_load_b128 v[153:156], v[68:69], off
	global_load_b128 v[157:160], v[70:71], off
	;; [unrolled: 1-line block ×5, first 2 shown]
	v_add_nc_u32_e32 v84, s3, v78
	v_ashrrev_i32_e32 v79, 31, v78
	s_movk_i32 s2, 0x50
	s_movk_i32 s12, 0x90
	;; [unrolled: 1-line block ×3, first 2 shown]
	v_ashrrev_i32_e32 v85, 31, v84
	v_lshlrev_b64 v[82:83], 4, v[78:79]
	v_add_co_u32 v78, vcc_lo, s4, v80
	v_add_co_ci_u32_e32 v79, vcc_lo, s5, v81, vcc_lo
	s_delay_alu instid0(VALU_DEP_4) | instskip(NEXT) | instid1(VALU_DEP_4)
	v_lshlrev_b64 v[85:86], 4, v[84:85]
	v_add_co_u32 v80, vcc_lo, s4, v82
	v_add_nc_u32_e32 v84, s3, v84
	v_add_co_ci_u32_e32 v81, vcc_lo, s5, v83, vcc_lo
	s_delay_alu instid0(VALU_DEP_4) | instskip(SKIP_1) | instid1(VALU_DEP_4)
	v_add_co_u32 v82, vcc_lo, s4, v85
	v_add_co_ci_u32_e32 v83, vcc_lo, s5, v86, vcc_lo
	v_add_nc_u32_e32 v86, s3, v84
	v_ashrrev_i32_e32 v85, 31, v84
	s_clause 0x2
	global_load_b128 v[173:176], v[78:79], off
	global_load_b128 v[177:180], v[80:81], off
	;; [unrolled: 1-line block ×3, first 2 shown]
	s_movk_i32 s16, 0xb0
	s_movk_i32 s17, 0xc0
	v_add_nc_u32_e32 v88, s3, v86
	v_ashrrev_i32_e32 v87, 31, v86
	v_lshlrev_b64 v[84:85], 4, v[84:85]
	s_movk_i32 s37, 0x1f0
	s_movk_i32 s38, 0x200
	v_add_nc_u32_e32 v90, s3, v88
	v_ashrrev_i32_e32 v89, 31, v88
	v_lshlrev_b64 v[86:87], 4, v[86:87]
	v_add_co_u32 v84, vcc_lo, s4, v84
	s_delay_alu instid0(VALU_DEP_4) | instskip(SKIP_3) | instid1(VALU_DEP_4)
	v_add_nc_u32_e32 v92, s3, v90
	v_ashrrev_i32_e32 v91, 31, v90
	v_lshlrev_b64 v[88:89], 4, v[88:89]
	v_add_co_ci_u32_e32 v85, vcc_lo, s5, v85, vcc_lo
	v_add_nc_u32_e32 v94, s3, v92
	v_ashrrev_i32_e32 v93, 31, v92
	v_add_co_u32 v86, vcc_lo, s4, v86
	v_lshlrev_b64 v[90:91], 4, v[90:91]
	s_delay_alu instid0(VALU_DEP_4) | instskip(SKIP_3) | instid1(VALU_DEP_4)
	v_add_nc_u32_e32 v96, s3, v94
	v_ashrrev_i32_e32 v95, 31, v94
	v_add_co_ci_u32_e32 v87, vcc_lo, s5, v87, vcc_lo
	v_add_co_u32 v88, vcc_lo, s4, v88
	v_add_nc_u32_e32 v98, s3, v96
	v_lshlrev_b64 v[92:93], 4, v[92:93]
	v_ashrrev_i32_e32 v97, 31, v96
	v_add_co_ci_u32_e32 v89, vcc_lo, s5, v89, vcc_lo
	s_delay_alu instid0(VALU_DEP_4) | instskip(SKIP_3) | instid1(VALU_DEP_4)
	v_add_nc_u32_e32 v100, s3, v98
	v_add_co_u32 v90, vcc_lo, s4, v90
	v_lshlrev_b64 v[94:95], 4, v[94:95]
	v_ashrrev_i32_e32 v99, 31, v98
	v_add_nc_u32_e32 v102, s3, v100
	v_add_co_ci_u32_e32 v91, vcc_lo, s5, v91, vcc_lo
	v_add_co_u32 v92, vcc_lo, s4, v92
	s_delay_alu instid0(VALU_DEP_3) | instskip(SKIP_3) | instid1(VALU_DEP_4)
	v_add_nc_u32_e32 v104, s3, v102
	v_lshlrev_b64 v[96:97], 4, v[96:97]
	v_ashrrev_i32_e32 v101, 31, v100
	v_add_co_ci_u32_e32 v93, vcc_lo, s5, v93, vcc_lo
	v_add_nc_u32_e32 v106, s3, v104
	v_add_co_u32 v94, vcc_lo, s4, v94
	v_lshlrev_b64 v[98:99], 4, v[98:99]
	v_ashrrev_i32_e32 v103, 31, v102
	s_delay_alu instid0(VALU_DEP_4) | instskip(SKIP_2) | instid1(VALU_DEP_3)
	v_add_nc_u32_e32 v108, s3, v106
	v_add_co_ci_u32_e32 v95, vcc_lo, s5, v95, vcc_lo
	v_add_co_u32 v96, vcc_lo, s4, v96
	v_add_nc_u32_e32 v110, s3, v108
	v_lshlrev_b64 v[100:101], 4, v[100:101]
	v_ashrrev_i32_e32 v105, 31, v104
	v_add_co_ci_u32_e32 v97, vcc_lo, s5, v97, vcc_lo
	s_delay_alu instid0(VALU_DEP_4) | instskip(SKIP_3) | instid1(VALU_DEP_4)
	v_add_nc_u32_e32 v112, s3, v110
	v_add_co_u32 v98, vcc_lo, s4, v98
	v_lshlrev_b64 v[102:103], 4, v[102:103]
	v_ashrrev_i32_e32 v107, 31, v106
	v_add_nc_u32_e32 v114, s3, v112
	v_add_co_ci_u32_e32 v99, vcc_lo, s5, v99, vcc_lo
	v_add_co_u32 v100, vcc_lo, s4, v100
	s_delay_alu instid0(VALU_DEP_3) | instskip(SKIP_3) | instid1(VALU_DEP_4)
	v_add_nc_u32_e32 v116, s3, v114
	v_lshlrev_b64 v[104:105], 4, v[104:105]
	v_ashrrev_i32_e32 v109, 31, v108
	v_add_co_ci_u32_e32 v101, vcc_lo, s5, v101, vcc_lo
	v_add_nc_u32_e32 v118, s3, v116
	v_add_co_u32 v102, vcc_lo, s4, v102
	v_lshlrev_b64 v[106:107], 4, v[106:107]
	v_ashrrev_i32_e32 v111, 31, v110
	s_delay_alu instid0(VALU_DEP_4) | instskip(SKIP_2) | instid1(VALU_DEP_3)
	v_add_nc_u32_e32 v120, s3, v118
	v_add_co_ci_u32_e32 v103, vcc_lo, s5, v103, vcc_lo
	v_add_co_u32 v104, vcc_lo, s4, v104
	v_add_nc_u32_e32 v122, s3, v120
	v_lshlrev_b64 v[108:109], 4, v[108:109]
	v_ashrrev_i32_e32 v113, 31, v112
	v_add_co_ci_u32_e32 v105, vcc_lo, s5, v105, vcc_lo
	s_delay_alu instid0(VALU_DEP_4)
	v_add_nc_u32_e32 v124, s3, v122
	v_add_co_u32 v106, vcc_lo, s4, v106
	v_lshlrev_b64 v[110:111], 4, v[110:111]
	v_ashrrev_i32_e32 v115, 31, v114
	v_add_co_ci_u32_e32 v107, vcc_lo, s5, v107, vcc_lo
	v_add_nc_u32_e32 v126, s3, v124
	v_add_co_u32 v108, vcc_lo, s4, v108
	v_lshlrev_b64 v[112:113], 4, v[112:113]
	v_ashrrev_i32_e32 v117, 31, v116
	v_add_co_ci_u32_e32 v109, vcc_lo, s5, v109, vcc_lo
	v_add_co_u32 v110, vcc_lo, s4, v110
	v_lshlrev_b64 v[114:115], 4, v[114:115]
	v_ashrrev_i32_e32 v119, 31, v118
	v_add_nc_u32_e32 v128, s3, v126
	v_add_co_ci_u32_e32 v111, vcc_lo, s5, v111, vcc_lo
	v_add_co_u32 v112, vcc_lo, s4, v112
	v_lshlrev_b64 v[116:117], 4, v[116:117]
	v_ashrrev_i32_e32 v121, 31, v120
	v_add_co_ci_u32_e32 v113, vcc_lo, s5, v113, vcc_lo
	v_add_co_u32 v114, vcc_lo, s4, v114
	v_lshlrev_b64 v[118:119], 4, v[118:119]
	v_add_nc_u32_e32 v130, s3, v128
	v_ashrrev_i32_e32 v123, 31, v122
	v_add_co_ci_u32_e32 v115, vcc_lo, s5, v115, vcc_lo
	v_add_co_u32 v116, vcc_lo, s4, v116
	v_lshlrev_b64 v[120:121], 4, v[120:121]
	v_ashrrev_i32_e32 v125, 31, v124
	v_add_co_ci_u32_e32 v117, vcc_lo, s5, v117, vcc_lo
	v_add_nc_u32_e32 v132, s3, v130
	v_add_co_u32 v118, vcc_lo, s4, v118
	v_lshlrev_b64 v[122:123], 4, v[122:123]
	v_ashrrev_i32_e32 v127, 31, v126
	v_add_co_ci_u32_e32 v119, vcc_lo, s5, v119, vcc_lo
	v_add_co_u32 v120, vcc_lo, s4, v120
	v_lshlrev_b64 v[124:125], 4, v[124:125]
	v_ashrrev_i32_e32 v129, 31, v128
	v_add_nc_u32_e32 v134, s3, v132
	v_add_co_ci_u32_e32 v121, vcc_lo, s5, v121, vcc_lo
	v_add_co_u32 v122, vcc_lo, s4, v122
	v_lshlrev_b64 v[126:127], 4, v[126:127]
	v_ashrrev_i32_e32 v131, 31, v130
	v_add_co_ci_u32_e32 v123, vcc_lo, s5, v123, vcc_lo
	v_add_co_u32 v124, vcc_lo, s4, v124
	v_lshlrev_b64 v[128:129], 4, v[128:129]
	v_add_nc_u32_e32 v136, s3, v134
	v_ashrrev_i32_e32 v133, 31, v132
	v_add_co_ci_u32_e32 v125, vcc_lo, s5, v125, vcc_lo
	v_add_co_u32 v126, vcc_lo, s4, v126
	v_lshlrev_b64 v[130:131], 4, v[130:131]
	v_ashrrev_i32_e32 v135, 31, v134
	v_add_co_ci_u32_e32 v127, vcc_lo, s5, v127, vcc_lo
	v_add_nc_u32_e32 v138, s3, v136
	v_add_co_u32 v128, vcc_lo, s4, v128
	v_lshlrev_b64 v[132:133], 4, v[132:133]
	v_ashrrev_i32_e32 v137, 31, v136
	v_add_co_ci_u32_e32 v129, vcc_lo, s5, v129, vcc_lo
	v_add_co_u32 v130, vcc_lo, s4, v130
	v_lshlrev_b64 v[134:135], 4, v[134:135]
	v_ashrrev_i32_e32 v139, 31, v138
	v_add_co_ci_u32_e32 v131, vcc_lo, s5, v131, vcc_lo
	v_add_co_u32 v132, vcc_lo, s4, v132
	v_lshlrev_b64 v[136:137], 4, v[136:137]
	s_clause 0x5
	global_load_b128 v[185:188], v[84:85], off
	global_load_b128 v[189:192], v[86:87], off
	;; [unrolled: 1-line block ×6, first 2 shown]
	v_add_co_ci_u32_e32 v133, vcc_lo, s5, v133, vcc_lo
	v_add_co_u32 v134, vcc_lo, s4, v134
	v_lshlrev_b64 v[138:139], 4, v[138:139]
	v_add_co_ci_u32_e32 v135, vcc_lo, s5, v135, vcc_lo
	v_add_co_u32 v136, vcc_lo, s4, v136
	v_add_co_ci_u32_e32 v137, vcc_lo, s5, v137, vcc_lo
	s_delay_alu instid0(VALU_DEP_4)
	v_add_co_u32 v138, vcc_lo, s4, v138
	v_add_co_ci_u32_e32 v139, vcc_lo, s5, v139, vcc_lo
	s_movk_i32 s3, 0x60
	s_movk_i32 s4, 0x70
	;; [unrolled: 1-line block ×19, first 2 shown]
	s_bitcmp0_b32 s15, 0
	s_waitcnt vmcnt(26)
	scratch_store_b128 off, v[1:4], off
	s_clause 0x1
	global_load_b128 v[1:4], v[96:97], off
	global_load_b128 v[209:212], v[98:99], off
	s_waitcnt vmcnt(27)
	scratch_store_b128 off, v[5:8], off offset:16
	s_waitcnt vmcnt(26)
	scratch_store_b128 off, v[9:12], off offset:32
	s_clause 0x1
	global_load_b128 v[5:8], v[100:101], off
	global_load_b128 v[9:12], v[102:103], off
	s_waitcnt vmcnt(27)
	scratch_store_b128 off, v[14:17], off offset:48
	s_waitcnt vmcnt(26)
	scratch_store_b128 off, v[18:21], off offset:64
	;; [unrolled: 7-line block ×8, first 2 shown]
	s_clause 0x5
	global_load_b128 v[225:228], v[128:129], off
	global_load_b128 v[229:232], v[130:131], off
	;; [unrolled: 1-line block ×6, first 2 shown]
	s_waitcnt vmcnt(31)
	scratch_store_b128 off, v[169:172], off offset:272
	v_add_nc_u32_e64 v172, s22, 0
	v_add_nc_u32_e64 v171, s23, 0
	;; [unrolled: 1-line block ×14, first 2 shown]
	s_waitcnt vmcnt(30)
	scratch_store_b128 off, v[173:176], off offset:288
	s_waitcnt vmcnt(29)
	scratch_store_b128 off, v[177:180], off offset:304
	;; [unrolled: 2-line block ×3, first 2 shown]
	v_add_nc_u32_e64 v184, s2, 0
	v_add_nc_u32_e64 v183, s3, 0
	;; [unrolled: 1-line block ×22, first 2 shown]
	s_mov_b32 s3, -1
	s_waitcnt vmcnt(27)
	scratch_store_b128 off, v[185:188], off offset:336
	s_waitcnt vmcnt(26)
	scratch_store_b128 off, v[189:192], off offset:352
	v_add_nc_u32_e64 v188, 0, 16
	v_add_nc_u32_e64 v187, 0, 32
	;; [unrolled: 1-line block ×4, first 2 shown]
	s_waitcnt vmcnt(25)
	scratch_store_b128 off, v[193:196], off offset:368
	s_waitcnt vmcnt(24)
	scratch_store_b128 off, v[197:200], off offset:384
	;; [unrolled: 2-line block ×23, first 2 shown]
	v_add_nc_u32_e64 v153, s45, 0
	v_add_nc_u32_e64 v152, s46, 0
	;; [unrolled: 1-line block ×8, first 2 shown]
	s_waitcnt vmcnt(2)
	scratch_store_b128 off, v[237:240], off offset:736
	s_waitcnt vmcnt(1)
	scratch_store_b128 off, v[241:244], off offset:752
	;; [unrolled: 2-line block ×3, first 2 shown]
	s_cbranch_scc1 .LBB112_208
; %bb.4:
	v_cmp_eq_u32_e64 s2, 0, v140
	s_delay_alu instid0(VALU_DEP_1)
	s_and_saveexec_b32 s3, s2
	s_cbranch_execz .LBB112_6
; %bb.5:
	v_mov_b32_e32 v1, 0
	ds_store_b32 v1, v1 offset:1568
.LBB112_6:
	s_or_b32 exec_lo, exec_lo, s3
	s_waitcnt lgkmcnt(0)
	s_waitcnt_vscnt null, 0x0
	s_barrier
	buffer_gl0_inv
	scratch_load_b128 v[1:4], v13, off
	s_waitcnt vmcnt(0)
	v_cmp_eq_f64_e32 vcc_lo, 0, v[1:2]
	v_cmp_eq_f64_e64 s3, 0, v[3:4]
	s_delay_alu instid0(VALU_DEP_1) | instskip(NEXT) | instid1(SALU_CYCLE_1)
	s_and_b32 s3, vcc_lo, s3
	s_and_saveexec_b32 s4, s3
	s_cbranch_execz .LBB112_10
; %bb.7:
	v_mov_b32_e32 v1, 0
	s_mov_b32 s5, 0
	ds_load_b32 v2, v1 offset:1568
	s_waitcnt lgkmcnt(0)
	v_readfirstlane_b32 s3, v2
	v_add_nc_u32_e32 v2, 1, v140
	s_delay_alu instid0(VALU_DEP_2) | instskip(NEXT) | instid1(VALU_DEP_1)
	s_cmp_eq_u32 s3, 0
	v_cmp_gt_i32_e32 vcc_lo, s3, v2
	s_cselect_b32 s12, -1, 0
	s_delay_alu instid0(SALU_CYCLE_1) | instskip(NEXT) | instid1(SALU_CYCLE_1)
	s_or_b32 s12, s12, vcc_lo
	s_and_b32 exec_lo, exec_lo, s12
	s_cbranch_execz .LBB112_10
; %bb.8:
	v_mov_b32_e32 v3, s3
.LBB112_9:                              ; =>This Inner Loop Header: Depth=1
	ds_cmpstore_rtn_b32 v3, v1, v2, v3 offset:1568
	s_waitcnt lgkmcnt(0)
	v_cmp_ne_u32_e32 vcc_lo, 0, v3
	v_cmp_le_i32_e64 s3, v3, v2
	s_delay_alu instid0(VALU_DEP_1) | instskip(NEXT) | instid1(SALU_CYCLE_1)
	s_and_b32 s3, vcc_lo, s3
	s_and_b32 s3, exec_lo, s3
	s_delay_alu instid0(SALU_CYCLE_1) | instskip(NEXT) | instid1(SALU_CYCLE_1)
	s_or_b32 s5, s3, s5
	s_and_not1_b32 exec_lo, exec_lo, s5
	s_cbranch_execnz .LBB112_9
.LBB112_10:
	s_or_b32 exec_lo, exec_lo, s4
	v_mov_b32_e32 v1, 0
	s_barrier
	buffer_gl0_inv
	ds_load_b32 v2, v1 offset:1568
	s_and_saveexec_b32 s3, s2
	s_cbranch_execz .LBB112_12
; %bb.11:
	s_lshl_b64 s[4:5], s[10:11], 2
	s_delay_alu instid0(SALU_CYCLE_1)
	s_add_u32 s4, s6, s4
	s_addc_u32 s5, s7, s5
	s_waitcnt lgkmcnt(0)
	global_store_b32 v1, v2, s[4:5]
.LBB112_12:
	s_or_b32 exec_lo, exec_lo, s3
	s_waitcnt lgkmcnt(0)
	v_cmp_ne_u32_e32 vcc_lo, 0, v2
	s_mov_b32 s3, 0
	s_cbranch_vccnz .LBB112_208
; %bb.13:
	v_add_nc_u32_e32 v14, 0, v13
                                        ; implicit-def: $vgpr9_vgpr10
	scratch_load_b128 v[1:4], v14, off
	s_waitcnt vmcnt(0)
	v_mov_b32_e32 v5, v1
	v_cmp_gt_f64_e32 vcc_lo, 0, v[1:2]
	v_xor_b32_e32 v6, 0x80000000, v2
	v_xor_b32_e32 v7, 0x80000000, v4
	s_delay_alu instid0(VALU_DEP_2) | instskip(SKIP_1) | instid1(VALU_DEP_3)
	v_cndmask_b32_e32 v6, v2, v6, vcc_lo
	v_cmp_gt_f64_e32 vcc_lo, 0, v[3:4]
	v_dual_cndmask_b32 v8, v4, v7 :: v_dual_mov_b32 v7, v3
	s_delay_alu instid0(VALU_DEP_1) | instskip(SKIP_1) | instid1(SALU_CYCLE_1)
	v_cmp_ngt_f64_e32 vcc_lo, v[5:6], v[7:8]
                                        ; implicit-def: $vgpr5_vgpr6
	s_and_saveexec_b32 s3, vcc_lo
	s_xor_b32 s3, exec_lo, s3
	s_cbranch_execz .LBB112_15
; %bb.14:
	v_div_scale_f64 v[5:6], null, v[3:4], v[3:4], v[1:2]
	v_div_scale_f64 v[11:12], vcc_lo, v[1:2], v[3:4], v[1:2]
	s_delay_alu instid0(VALU_DEP_2) | instskip(SKIP_2) | instid1(VALU_DEP_1)
	v_rcp_f64_e32 v[7:8], v[5:6]
	s_waitcnt_depctr 0xfff
	v_fma_f64 v[9:10], -v[5:6], v[7:8], 1.0
	v_fma_f64 v[7:8], v[7:8], v[9:10], v[7:8]
	s_delay_alu instid0(VALU_DEP_1) | instskip(NEXT) | instid1(VALU_DEP_1)
	v_fma_f64 v[9:10], -v[5:6], v[7:8], 1.0
	v_fma_f64 v[7:8], v[7:8], v[9:10], v[7:8]
	s_delay_alu instid0(VALU_DEP_1) | instskip(NEXT) | instid1(VALU_DEP_1)
	v_mul_f64 v[9:10], v[11:12], v[7:8]
	v_fma_f64 v[5:6], -v[5:6], v[9:10], v[11:12]
	s_delay_alu instid0(VALU_DEP_1) | instskip(NEXT) | instid1(VALU_DEP_1)
	v_div_fmas_f64 v[5:6], v[5:6], v[7:8], v[9:10]
	v_div_fixup_f64 v[5:6], v[5:6], v[3:4], v[1:2]
	s_delay_alu instid0(VALU_DEP_1) | instskip(NEXT) | instid1(VALU_DEP_1)
	v_fma_f64 v[1:2], v[1:2], v[5:6], v[3:4]
	v_div_scale_f64 v[3:4], null, v[1:2], v[1:2], 1.0
	v_div_scale_f64 v[11:12], vcc_lo, 1.0, v[1:2], 1.0
	s_delay_alu instid0(VALU_DEP_2) | instskip(SKIP_2) | instid1(VALU_DEP_1)
	v_rcp_f64_e32 v[7:8], v[3:4]
	s_waitcnt_depctr 0xfff
	v_fma_f64 v[9:10], -v[3:4], v[7:8], 1.0
	v_fma_f64 v[7:8], v[7:8], v[9:10], v[7:8]
	s_delay_alu instid0(VALU_DEP_1) | instskip(NEXT) | instid1(VALU_DEP_1)
	v_fma_f64 v[9:10], -v[3:4], v[7:8], 1.0
	v_fma_f64 v[7:8], v[7:8], v[9:10], v[7:8]
	s_delay_alu instid0(VALU_DEP_1) | instskip(NEXT) | instid1(VALU_DEP_1)
	v_mul_f64 v[9:10], v[11:12], v[7:8]
	v_fma_f64 v[3:4], -v[3:4], v[9:10], v[11:12]
	s_delay_alu instid0(VALU_DEP_1) | instskip(NEXT) | instid1(VALU_DEP_1)
	v_div_fmas_f64 v[3:4], v[3:4], v[7:8], v[9:10]
	v_div_fixup_f64 v[7:8], v[3:4], v[1:2], 1.0
                                        ; implicit-def: $vgpr1_vgpr2
	s_delay_alu instid0(VALU_DEP_1) | instskip(SKIP_1) | instid1(VALU_DEP_2)
	v_mul_f64 v[5:6], v[5:6], v[7:8]
	v_xor_b32_e32 v8, 0x80000000, v8
	v_xor_b32_e32 v10, 0x80000000, v6
	s_delay_alu instid0(VALU_DEP_3)
	v_mov_b32_e32 v9, v5
.LBB112_15:
	s_and_not1_saveexec_b32 s3, s3
	s_cbranch_execz .LBB112_17
; %bb.16:
	v_div_scale_f64 v[5:6], null, v[1:2], v[1:2], v[3:4]
	v_div_scale_f64 v[11:12], vcc_lo, v[3:4], v[1:2], v[3:4]
	s_delay_alu instid0(VALU_DEP_2) | instskip(SKIP_2) | instid1(VALU_DEP_1)
	v_rcp_f64_e32 v[7:8], v[5:6]
	s_waitcnt_depctr 0xfff
	v_fma_f64 v[9:10], -v[5:6], v[7:8], 1.0
	v_fma_f64 v[7:8], v[7:8], v[9:10], v[7:8]
	s_delay_alu instid0(VALU_DEP_1) | instskip(NEXT) | instid1(VALU_DEP_1)
	v_fma_f64 v[9:10], -v[5:6], v[7:8], 1.0
	v_fma_f64 v[7:8], v[7:8], v[9:10], v[7:8]
	s_delay_alu instid0(VALU_DEP_1) | instskip(NEXT) | instid1(VALU_DEP_1)
	v_mul_f64 v[9:10], v[11:12], v[7:8]
	v_fma_f64 v[5:6], -v[5:6], v[9:10], v[11:12]
	s_delay_alu instid0(VALU_DEP_1) | instskip(NEXT) | instid1(VALU_DEP_1)
	v_div_fmas_f64 v[5:6], v[5:6], v[7:8], v[9:10]
	v_div_fixup_f64 v[7:8], v[5:6], v[1:2], v[3:4]
	s_delay_alu instid0(VALU_DEP_1) | instskip(NEXT) | instid1(VALU_DEP_1)
	v_fma_f64 v[1:2], v[3:4], v[7:8], v[1:2]
	v_div_scale_f64 v[3:4], null, v[1:2], v[1:2], 1.0
	s_delay_alu instid0(VALU_DEP_1) | instskip(SKIP_2) | instid1(VALU_DEP_1)
	v_rcp_f64_e32 v[5:6], v[3:4]
	s_waitcnt_depctr 0xfff
	v_fma_f64 v[9:10], -v[3:4], v[5:6], 1.0
	v_fma_f64 v[5:6], v[5:6], v[9:10], v[5:6]
	s_delay_alu instid0(VALU_DEP_1) | instskip(NEXT) | instid1(VALU_DEP_1)
	v_fma_f64 v[9:10], -v[3:4], v[5:6], 1.0
	v_fma_f64 v[5:6], v[5:6], v[9:10], v[5:6]
	v_div_scale_f64 v[9:10], vcc_lo, 1.0, v[1:2], 1.0
	s_delay_alu instid0(VALU_DEP_1) | instskip(NEXT) | instid1(VALU_DEP_1)
	v_mul_f64 v[11:12], v[9:10], v[5:6]
	v_fma_f64 v[3:4], -v[3:4], v[11:12], v[9:10]
	s_delay_alu instid0(VALU_DEP_1) | instskip(NEXT) | instid1(VALU_DEP_1)
	v_div_fmas_f64 v[3:4], v[3:4], v[5:6], v[11:12]
	v_div_fixup_f64 v[5:6], v[3:4], v[1:2], 1.0
	s_delay_alu instid0(VALU_DEP_1)
	v_mul_f64 v[7:8], v[7:8], -v[5:6]
	v_xor_b32_e32 v10, 0x80000000, v6
	v_mov_b32_e32 v9, v5
.LBB112_17:
	s_or_b32 exec_lo, exec_lo, s3
	scratch_store_b128 v14, v[5:8], off
	scratch_load_b128 v[1:4], v188, off
	v_xor_b32_e32 v12, 0x80000000, v8
	v_mov_b32_e32 v11, v7
	v_add_nc_u32_e32 v5, 0x310, v13
	ds_store_b128 v13, v[9:12]
	s_waitcnt vmcnt(0)
	ds_store_b128 v13, v[1:4] offset:784
	s_waitcnt lgkmcnt(0)
	s_waitcnt_vscnt null, 0x0
	s_barrier
	buffer_gl0_inv
	s_and_saveexec_b32 s3, s2
	s_cbranch_execz .LBB112_19
; %bb.18:
	scratch_load_b128 v[1:4], v14, off
	ds_load_b128 v[6:9], v5
	v_mov_b32_e32 v10, 0
	ds_load_b128 v[15:18], v10 offset:16
	s_waitcnt vmcnt(0) lgkmcnt(1)
	v_mul_f64 v[10:11], v[6:7], v[3:4]
	v_mul_f64 v[3:4], v[8:9], v[3:4]
	s_delay_alu instid0(VALU_DEP_2) | instskip(NEXT) | instid1(VALU_DEP_2)
	v_fma_f64 v[8:9], v[8:9], v[1:2], v[10:11]
	v_fma_f64 v[1:2], v[6:7], v[1:2], -v[3:4]
	s_delay_alu instid0(VALU_DEP_2) | instskip(NEXT) | instid1(VALU_DEP_2)
	v_add_f64 v[3:4], v[8:9], 0
	v_add_f64 v[1:2], v[1:2], 0
	s_waitcnt lgkmcnt(0)
	s_delay_alu instid0(VALU_DEP_2) | instskip(NEXT) | instid1(VALU_DEP_2)
	v_mul_f64 v[6:7], v[3:4], v[17:18]
	v_mul_f64 v[8:9], v[1:2], v[17:18]
	s_delay_alu instid0(VALU_DEP_2) | instskip(NEXT) | instid1(VALU_DEP_2)
	v_fma_f64 v[1:2], v[1:2], v[15:16], -v[6:7]
	v_fma_f64 v[3:4], v[3:4], v[15:16], v[8:9]
	scratch_store_b128 off, v[1:4], off offset:16
.LBB112_19:
	s_or_b32 exec_lo, exec_lo, s3
	s_waitcnt_vscnt null, 0x0
	s_barrier
	buffer_gl0_inv
	scratch_load_b128 v[1:4], v187, off
	s_mov_b32 s3, exec_lo
	s_waitcnt vmcnt(0)
	ds_store_b128 v5, v[1:4]
	s_waitcnt lgkmcnt(0)
	s_barrier
	buffer_gl0_inv
	v_cmpx_gt_u32_e32 2, v140
	s_cbranch_execz .LBB112_23
; %bb.20:
	scratch_load_b128 v[1:4], v14, off
	ds_load_b128 v[6:9], v5
	s_waitcnt vmcnt(0) lgkmcnt(0)
	v_mul_f64 v[10:11], v[8:9], v[3:4]
	v_mul_f64 v[3:4], v[6:7], v[3:4]
	s_delay_alu instid0(VALU_DEP_2) | instskip(NEXT) | instid1(VALU_DEP_2)
	v_fma_f64 v[6:7], v[6:7], v[1:2], -v[10:11]
	v_fma_f64 v[3:4], v[8:9], v[1:2], v[3:4]
	s_delay_alu instid0(VALU_DEP_2) | instskip(NEXT) | instid1(VALU_DEP_2)
	v_add_f64 v[1:2], v[6:7], 0
	v_add_f64 v[3:4], v[3:4], 0
	s_and_saveexec_b32 s4, s2
	s_cbranch_execz .LBB112_22
; %bb.21:
	scratch_load_b128 v[6:9], off, off offset:16
	v_mov_b32_e32 v10, 0
	ds_load_b128 v[15:18], v10 offset:800
	s_waitcnt vmcnt(0) lgkmcnt(0)
	v_mul_f64 v[10:11], v[15:16], v[8:9]
	v_mul_f64 v[8:9], v[17:18], v[8:9]
	s_delay_alu instid0(VALU_DEP_2) | instskip(NEXT) | instid1(VALU_DEP_2)
	v_fma_f64 v[10:11], v[17:18], v[6:7], v[10:11]
	v_fma_f64 v[6:7], v[15:16], v[6:7], -v[8:9]
	s_delay_alu instid0(VALU_DEP_2) | instskip(NEXT) | instid1(VALU_DEP_2)
	v_add_f64 v[3:4], v[3:4], v[10:11]
	v_add_f64 v[1:2], v[1:2], v[6:7]
.LBB112_22:
	s_or_b32 exec_lo, exec_lo, s4
	v_mov_b32_e32 v6, 0
	ds_load_b128 v[6:9], v6 offset:32
	s_waitcnt lgkmcnt(0)
	v_mul_f64 v[10:11], v[3:4], v[8:9]
	v_mul_f64 v[8:9], v[1:2], v[8:9]
	s_delay_alu instid0(VALU_DEP_2) | instskip(NEXT) | instid1(VALU_DEP_2)
	v_fma_f64 v[1:2], v[1:2], v[6:7], -v[10:11]
	v_fma_f64 v[3:4], v[3:4], v[6:7], v[8:9]
	scratch_store_b128 off, v[1:4], off offset:32
.LBB112_23:
	s_or_b32 exec_lo, exec_lo, s3
	s_waitcnt_vscnt null, 0x0
	s_barrier
	buffer_gl0_inv
	scratch_load_b128 v[1:4], v186, off
	v_add_nc_u32_e32 v6, -1, v140
	s_mov_b32 s2, exec_lo
	s_waitcnt vmcnt(0)
	ds_store_b128 v5, v[1:4]
	s_waitcnt lgkmcnt(0)
	s_barrier
	buffer_gl0_inv
	v_cmpx_gt_u32_e32 3, v140
	s_cbranch_execz .LBB112_27
; %bb.24:
	v_dual_mov_b32 v1, 0 :: v_dual_add_nc_u32 v8, 0x310, v13
	v_dual_mov_b32 v2, 0 :: v_dual_add_nc_u32 v7, -1, v140
	v_or_b32_e32 v9, 8, v14
	s_mov_b32 s3, 0
	s_delay_alu instid0(VALU_DEP_2)
	v_dual_mov_b32 v4, v2 :: v_dual_mov_b32 v3, v1
	.p2align	6
.LBB112_25:                             ; =>This Inner Loop Header: Depth=1
	scratch_load_b128 v[15:18], v9, off offset:-8
	ds_load_b128 v[19:22], v8
	v_add_nc_u32_e32 v7, 1, v7
	v_add_nc_u32_e32 v8, 16, v8
	;; [unrolled: 1-line block ×3, first 2 shown]
	s_delay_alu instid0(VALU_DEP_3) | instskip(SKIP_4) | instid1(VALU_DEP_2)
	v_cmp_lt_u32_e32 vcc_lo, 1, v7
	s_or_b32 s3, vcc_lo, s3
	s_waitcnt vmcnt(0) lgkmcnt(0)
	v_mul_f64 v[10:11], v[21:22], v[17:18]
	v_mul_f64 v[17:18], v[19:20], v[17:18]
	v_fma_f64 v[10:11], v[19:20], v[15:16], -v[10:11]
	s_delay_alu instid0(VALU_DEP_2) | instskip(NEXT) | instid1(VALU_DEP_2)
	v_fma_f64 v[15:16], v[21:22], v[15:16], v[17:18]
	v_add_f64 v[3:4], v[3:4], v[10:11]
	s_delay_alu instid0(VALU_DEP_2)
	v_add_f64 v[1:2], v[1:2], v[15:16]
	s_and_not1_b32 exec_lo, exec_lo, s3
	s_cbranch_execnz .LBB112_25
; %bb.26:
	s_or_b32 exec_lo, exec_lo, s3
	v_mov_b32_e32 v7, 0
	ds_load_b128 v[7:10], v7 offset:48
	s_waitcnt lgkmcnt(0)
	v_mul_f64 v[11:12], v[1:2], v[9:10]
	v_mul_f64 v[15:16], v[3:4], v[9:10]
	s_delay_alu instid0(VALU_DEP_2) | instskip(NEXT) | instid1(VALU_DEP_2)
	v_fma_f64 v[9:10], v[3:4], v[7:8], -v[11:12]
	v_fma_f64 v[11:12], v[1:2], v[7:8], v[15:16]
	scratch_store_b128 off, v[9:12], off offset:48
.LBB112_27:
	s_or_b32 exec_lo, exec_lo, s2
	s_waitcnt_vscnt null, 0x0
	s_barrier
	buffer_gl0_inv
	scratch_load_b128 v[1:4], v185, off
	s_mov_b32 s2, exec_lo
	s_waitcnt vmcnt(0)
	ds_store_b128 v5, v[1:4]
	s_waitcnt lgkmcnt(0)
	s_barrier
	buffer_gl0_inv
	v_cmpx_gt_u32_e32 4, v140
	s_cbranch_execz .LBB112_31
; %bb.28:
	v_dual_mov_b32 v1, 0 :: v_dual_add_nc_u32 v8, 0x310, v13
	v_dual_mov_b32 v2, 0 :: v_dual_add_nc_u32 v7, -1, v140
	v_or_b32_e32 v9, 8, v14
	s_mov_b32 s3, 0
	s_delay_alu instid0(VALU_DEP_2)
	v_dual_mov_b32 v4, v2 :: v_dual_mov_b32 v3, v1
	.p2align	6
.LBB112_29:                             ; =>This Inner Loop Header: Depth=1
	scratch_load_b128 v[15:18], v9, off offset:-8
	ds_load_b128 v[19:22], v8
	v_add_nc_u32_e32 v7, 1, v7
	v_add_nc_u32_e32 v8, 16, v8
	;; [unrolled: 1-line block ×3, first 2 shown]
	s_delay_alu instid0(VALU_DEP_3) | instskip(SKIP_4) | instid1(VALU_DEP_2)
	v_cmp_lt_u32_e32 vcc_lo, 2, v7
	s_or_b32 s3, vcc_lo, s3
	s_waitcnt vmcnt(0) lgkmcnt(0)
	v_mul_f64 v[10:11], v[21:22], v[17:18]
	v_mul_f64 v[17:18], v[19:20], v[17:18]
	v_fma_f64 v[10:11], v[19:20], v[15:16], -v[10:11]
	s_delay_alu instid0(VALU_DEP_2) | instskip(NEXT) | instid1(VALU_DEP_2)
	v_fma_f64 v[15:16], v[21:22], v[15:16], v[17:18]
	v_add_f64 v[3:4], v[3:4], v[10:11]
	s_delay_alu instid0(VALU_DEP_2)
	v_add_f64 v[1:2], v[1:2], v[15:16]
	s_and_not1_b32 exec_lo, exec_lo, s3
	s_cbranch_execnz .LBB112_29
; %bb.30:
	s_or_b32 exec_lo, exec_lo, s3
	v_mov_b32_e32 v7, 0
	ds_load_b128 v[7:10], v7 offset:64
	s_waitcnt lgkmcnt(0)
	v_mul_f64 v[11:12], v[1:2], v[9:10]
	v_mul_f64 v[15:16], v[3:4], v[9:10]
	s_delay_alu instid0(VALU_DEP_2) | instskip(NEXT) | instid1(VALU_DEP_2)
	v_fma_f64 v[9:10], v[3:4], v[7:8], -v[11:12]
	v_fma_f64 v[11:12], v[1:2], v[7:8], v[15:16]
	scratch_store_b128 off, v[9:12], off offset:64
.LBB112_31:
	s_or_b32 exec_lo, exec_lo, s2
	s_waitcnt_vscnt null, 0x0
	s_barrier
	buffer_gl0_inv
	scratch_load_b128 v[1:4], v184, off
	s_mov_b32 s2, exec_lo
	s_waitcnt vmcnt(0)
	ds_store_b128 v5, v[1:4]
	s_waitcnt lgkmcnt(0)
	s_barrier
	buffer_gl0_inv
	v_cmpx_gt_u32_e32 5, v140
	s_cbranch_execz .LBB112_35
; %bb.32:
	v_dual_mov_b32 v1, 0 :: v_dual_add_nc_u32 v8, 0x310, v13
	v_dual_mov_b32 v2, 0 :: v_dual_add_nc_u32 v7, -1, v140
	v_or_b32_e32 v9, 8, v14
	s_mov_b32 s3, 0
	s_delay_alu instid0(VALU_DEP_2)
	v_dual_mov_b32 v4, v2 :: v_dual_mov_b32 v3, v1
	.p2align	6
.LBB112_33:                             ; =>This Inner Loop Header: Depth=1
	scratch_load_b128 v[15:18], v9, off offset:-8
	ds_load_b128 v[19:22], v8
	v_add_nc_u32_e32 v7, 1, v7
	v_add_nc_u32_e32 v8, 16, v8
	;; [unrolled: 1-line block ×3, first 2 shown]
	s_delay_alu instid0(VALU_DEP_3) | instskip(SKIP_4) | instid1(VALU_DEP_2)
	v_cmp_lt_u32_e32 vcc_lo, 3, v7
	s_or_b32 s3, vcc_lo, s3
	s_waitcnt vmcnt(0) lgkmcnt(0)
	v_mul_f64 v[10:11], v[21:22], v[17:18]
	v_mul_f64 v[17:18], v[19:20], v[17:18]
	v_fma_f64 v[10:11], v[19:20], v[15:16], -v[10:11]
	s_delay_alu instid0(VALU_DEP_2) | instskip(NEXT) | instid1(VALU_DEP_2)
	v_fma_f64 v[15:16], v[21:22], v[15:16], v[17:18]
	v_add_f64 v[3:4], v[3:4], v[10:11]
	s_delay_alu instid0(VALU_DEP_2)
	v_add_f64 v[1:2], v[1:2], v[15:16]
	s_and_not1_b32 exec_lo, exec_lo, s3
	s_cbranch_execnz .LBB112_33
; %bb.34:
	s_or_b32 exec_lo, exec_lo, s3
	v_mov_b32_e32 v7, 0
	ds_load_b128 v[7:10], v7 offset:80
	s_waitcnt lgkmcnt(0)
	v_mul_f64 v[11:12], v[1:2], v[9:10]
	v_mul_f64 v[15:16], v[3:4], v[9:10]
	s_delay_alu instid0(VALU_DEP_2) | instskip(NEXT) | instid1(VALU_DEP_2)
	v_fma_f64 v[9:10], v[3:4], v[7:8], -v[11:12]
	v_fma_f64 v[11:12], v[1:2], v[7:8], v[15:16]
	scratch_store_b128 off, v[9:12], off offset:80
.LBB112_35:
	s_or_b32 exec_lo, exec_lo, s2
	s_waitcnt_vscnt null, 0x0
	s_barrier
	buffer_gl0_inv
	scratch_load_b128 v[1:4], v183, off
	s_mov_b32 s2, exec_lo
	s_waitcnt vmcnt(0)
	ds_store_b128 v5, v[1:4]
	s_waitcnt lgkmcnt(0)
	s_barrier
	buffer_gl0_inv
	v_cmpx_gt_u32_e32 6, v140
	s_cbranch_execz .LBB112_39
; %bb.36:
	v_dual_mov_b32 v1, 0 :: v_dual_add_nc_u32 v8, 0x310, v13
	v_dual_mov_b32 v2, 0 :: v_dual_add_nc_u32 v7, -1, v140
	v_or_b32_e32 v9, 8, v14
	s_mov_b32 s3, 0
	s_delay_alu instid0(VALU_DEP_2)
	v_dual_mov_b32 v4, v2 :: v_dual_mov_b32 v3, v1
	.p2align	6
.LBB112_37:                             ; =>This Inner Loop Header: Depth=1
	scratch_load_b128 v[15:18], v9, off offset:-8
	ds_load_b128 v[19:22], v8
	v_add_nc_u32_e32 v7, 1, v7
	v_add_nc_u32_e32 v8, 16, v8
	;; [unrolled: 1-line block ×3, first 2 shown]
	s_delay_alu instid0(VALU_DEP_3) | instskip(SKIP_4) | instid1(VALU_DEP_2)
	v_cmp_lt_u32_e32 vcc_lo, 4, v7
	s_or_b32 s3, vcc_lo, s3
	s_waitcnt vmcnt(0) lgkmcnt(0)
	v_mul_f64 v[10:11], v[21:22], v[17:18]
	v_mul_f64 v[17:18], v[19:20], v[17:18]
	v_fma_f64 v[10:11], v[19:20], v[15:16], -v[10:11]
	s_delay_alu instid0(VALU_DEP_2) | instskip(NEXT) | instid1(VALU_DEP_2)
	v_fma_f64 v[15:16], v[21:22], v[15:16], v[17:18]
	v_add_f64 v[3:4], v[3:4], v[10:11]
	s_delay_alu instid0(VALU_DEP_2)
	v_add_f64 v[1:2], v[1:2], v[15:16]
	s_and_not1_b32 exec_lo, exec_lo, s3
	s_cbranch_execnz .LBB112_37
; %bb.38:
	s_or_b32 exec_lo, exec_lo, s3
	v_mov_b32_e32 v7, 0
	ds_load_b128 v[7:10], v7 offset:96
	s_waitcnt lgkmcnt(0)
	v_mul_f64 v[11:12], v[1:2], v[9:10]
	v_mul_f64 v[15:16], v[3:4], v[9:10]
	s_delay_alu instid0(VALU_DEP_2) | instskip(NEXT) | instid1(VALU_DEP_2)
	v_fma_f64 v[9:10], v[3:4], v[7:8], -v[11:12]
	v_fma_f64 v[11:12], v[1:2], v[7:8], v[15:16]
	scratch_store_b128 off, v[9:12], off offset:96
.LBB112_39:
	s_or_b32 exec_lo, exec_lo, s2
	s_waitcnt_vscnt null, 0x0
	s_barrier
	buffer_gl0_inv
	scratch_load_b128 v[1:4], v182, off
	s_mov_b32 s2, exec_lo
	s_waitcnt vmcnt(0)
	ds_store_b128 v5, v[1:4]
	s_waitcnt lgkmcnt(0)
	s_barrier
	buffer_gl0_inv
	v_cmpx_gt_u32_e32 7, v140
	s_cbranch_execz .LBB112_43
; %bb.40:
	v_dual_mov_b32 v1, 0 :: v_dual_add_nc_u32 v8, 0x310, v13
	v_dual_mov_b32 v2, 0 :: v_dual_add_nc_u32 v7, -1, v140
	v_or_b32_e32 v9, 8, v14
	s_mov_b32 s3, 0
	s_delay_alu instid0(VALU_DEP_2)
	v_dual_mov_b32 v4, v2 :: v_dual_mov_b32 v3, v1
	.p2align	6
.LBB112_41:                             ; =>This Inner Loop Header: Depth=1
	scratch_load_b128 v[15:18], v9, off offset:-8
	ds_load_b128 v[19:22], v8
	v_add_nc_u32_e32 v7, 1, v7
	v_add_nc_u32_e32 v8, 16, v8
	;; [unrolled: 1-line block ×3, first 2 shown]
	s_delay_alu instid0(VALU_DEP_3) | instskip(SKIP_4) | instid1(VALU_DEP_2)
	v_cmp_lt_u32_e32 vcc_lo, 5, v7
	s_or_b32 s3, vcc_lo, s3
	s_waitcnt vmcnt(0) lgkmcnt(0)
	v_mul_f64 v[10:11], v[21:22], v[17:18]
	v_mul_f64 v[17:18], v[19:20], v[17:18]
	v_fma_f64 v[10:11], v[19:20], v[15:16], -v[10:11]
	s_delay_alu instid0(VALU_DEP_2) | instskip(NEXT) | instid1(VALU_DEP_2)
	v_fma_f64 v[15:16], v[21:22], v[15:16], v[17:18]
	v_add_f64 v[3:4], v[3:4], v[10:11]
	s_delay_alu instid0(VALU_DEP_2)
	v_add_f64 v[1:2], v[1:2], v[15:16]
	s_and_not1_b32 exec_lo, exec_lo, s3
	s_cbranch_execnz .LBB112_41
; %bb.42:
	s_or_b32 exec_lo, exec_lo, s3
	v_mov_b32_e32 v7, 0
	ds_load_b128 v[7:10], v7 offset:112
	s_waitcnt lgkmcnt(0)
	v_mul_f64 v[11:12], v[1:2], v[9:10]
	v_mul_f64 v[15:16], v[3:4], v[9:10]
	s_delay_alu instid0(VALU_DEP_2) | instskip(NEXT) | instid1(VALU_DEP_2)
	v_fma_f64 v[9:10], v[3:4], v[7:8], -v[11:12]
	v_fma_f64 v[11:12], v[1:2], v[7:8], v[15:16]
	scratch_store_b128 off, v[9:12], off offset:112
.LBB112_43:
	s_or_b32 exec_lo, exec_lo, s2
	s_waitcnt_vscnt null, 0x0
	s_barrier
	buffer_gl0_inv
	scratch_load_b128 v[1:4], v181, off
	s_mov_b32 s2, exec_lo
	s_waitcnt vmcnt(0)
	ds_store_b128 v5, v[1:4]
	s_waitcnt lgkmcnt(0)
	s_barrier
	buffer_gl0_inv
	v_cmpx_gt_u32_e32 8, v140
	s_cbranch_execz .LBB112_47
; %bb.44:
	v_dual_mov_b32 v1, 0 :: v_dual_add_nc_u32 v8, 0x310, v13
	v_dual_mov_b32 v2, 0 :: v_dual_add_nc_u32 v7, -1, v140
	v_or_b32_e32 v9, 8, v14
	s_mov_b32 s3, 0
	s_delay_alu instid0(VALU_DEP_2)
	v_dual_mov_b32 v4, v2 :: v_dual_mov_b32 v3, v1
	.p2align	6
.LBB112_45:                             ; =>This Inner Loop Header: Depth=1
	scratch_load_b128 v[15:18], v9, off offset:-8
	ds_load_b128 v[19:22], v8
	v_add_nc_u32_e32 v7, 1, v7
	v_add_nc_u32_e32 v8, 16, v8
	;; [unrolled: 1-line block ×3, first 2 shown]
	s_delay_alu instid0(VALU_DEP_3) | instskip(SKIP_4) | instid1(VALU_DEP_2)
	v_cmp_lt_u32_e32 vcc_lo, 6, v7
	s_or_b32 s3, vcc_lo, s3
	s_waitcnt vmcnt(0) lgkmcnt(0)
	v_mul_f64 v[10:11], v[21:22], v[17:18]
	v_mul_f64 v[17:18], v[19:20], v[17:18]
	v_fma_f64 v[10:11], v[19:20], v[15:16], -v[10:11]
	s_delay_alu instid0(VALU_DEP_2) | instskip(NEXT) | instid1(VALU_DEP_2)
	v_fma_f64 v[15:16], v[21:22], v[15:16], v[17:18]
	v_add_f64 v[3:4], v[3:4], v[10:11]
	s_delay_alu instid0(VALU_DEP_2)
	v_add_f64 v[1:2], v[1:2], v[15:16]
	s_and_not1_b32 exec_lo, exec_lo, s3
	s_cbranch_execnz .LBB112_45
; %bb.46:
	s_or_b32 exec_lo, exec_lo, s3
	v_mov_b32_e32 v7, 0
	ds_load_b128 v[7:10], v7 offset:128
	s_waitcnt lgkmcnt(0)
	v_mul_f64 v[11:12], v[1:2], v[9:10]
	v_mul_f64 v[15:16], v[3:4], v[9:10]
	s_delay_alu instid0(VALU_DEP_2) | instskip(NEXT) | instid1(VALU_DEP_2)
	v_fma_f64 v[9:10], v[3:4], v[7:8], -v[11:12]
	v_fma_f64 v[11:12], v[1:2], v[7:8], v[15:16]
	scratch_store_b128 off, v[9:12], off offset:128
.LBB112_47:
	s_or_b32 exec_lo, exec_lo, s2
	s_waitcnt_vscnt null, 0x0
	s_barrier
	buffer_gl0_inv
	scratch_load_b128 v[1:4], v180, off
	s_mov_b32 s2, exec_lo
	s_waitcnt vmcnt(0)
	ds_store_b128 v5, v[1:4]
	s_waitcnt lgkmcnt(0)
	s_barrier
	buffer_gl0_inv
	v_cmpx_gt_u32_e32 9, v140
	s_cbranch_execz .LBB112_51
; %bb.48:
	v_dual_mov_b32 v1, 0 :: v_dual_add_nc_u32 v8, 0x310, v13
	v_dual_mov_b32 v2, 0 :: v_dual_add_nc_u32 v7, -1, v140
	v_or_b32_e32 v9, 8, v14
	s_mov_b32 s3, 0
	s_delay_alu instid0(VALU_DEP_2)
	v_dual_mov_b32 v4, v2 :: v_dual_mov_b32 v3, v1
	.p2align	6
.LBB112_49:                             ; =>This Inner Loop Header: Depth=1
	scratch_load_b128 v[15:18], v9, off offset:-8
	ds_load_b128 v[19:22], v8
	v_add_nc_u32_e32 v7, 1, v7
	v_add_nc_u32_e32 v8, 16, v8
	;; [unrolled: 1-line block ×3, first 2 shown]
	s_delay_alu instid0(VALU_DEP_3) | instskip(SKIP_4) | instid1(VALU_DEP_2)
	v_cmp_lt_u32_e32 vcc_lo, 7, v7
	s_or_b32 s3, vcc_lo, s3
	s_waitcnt vmcnt(0) lgkmcnt(0)
	v_mul_f64 v[10:11], v[21:22], v[17:18]
	v_mul_f64 v[17:18], v[19:20], v[17:18]
	v_fma_f64 v[10:11], v[19:20], v[15:16], -v[10:11]
	s_delay_alu instid0(VALU_DEP_2) | instskip(NEXT) | instid1(VALU_DEP_2)
	v_fma_f64 v[15:16], v[21:22], v[15:16], v[17:18]
	v_add_f64 v[3:4], v[3:4], v[10:11]
	s_delay_alu instid0(VALU_DEP_2)
	v_add_f64 v[1:2], v[1:2], v[15:16]
	s_and_not1_b32 exec_lo, exec_lo, s3
	s_cbranch_execnz .LBB112_49
; %bb.50:
	s_or_b32 exec_lo, exec_lo, s3
	v_mov_b32_e32 v7, 0
	ds_load_b128 v[7:10], v7 offset:144
	s_waitcnt lgkmcnt(0)
	v_mul_f64 v[11:12], v[1:2], v[9:10]
	v_mul_f64 v[15:16], v[3:4], v[9:10]
	s_delay_alu instid0(VALU_DEP_2) | instskip(NEXT) | instid1(VALU_DEP_2)
	v_fma_f64 v[9:10], v[3:4], v[7:8], -v[11:12]
	v_fma_f64 v[11:12], v[1:2], v[7:8], v[15:16]
	scratch_store_b128 off, v[9:12], off offset:144
.LBB112_51:
	s_or_b32 exec_lo, exec_lo, s2
	s_waitcnt_vscnt null, 0x0
	s_barrier
	buffer_gl0_inv
	scratch_load_b128 v[1:4], v179, off
	s_mov_b32 s2, exec_lo
	s_waitcnt vmcnt(0)
	ds_store_b128 v5, v[1:4]
	s_waitcnt lgkmcnt(0)
	s_barrier
	buffer_gl0_inv
	v_cmpx_gt_u32_e32 10, v140
	s_cbranch_execz .LBB112_55
; %bb.52:
	v_dual_mov_b32 v1, 0 :: v_dual_add_nc_u32 v8, 0x310, v13
	v_dual_mov_b32 v2, 0 :: v_dual_add_nc_u32 v7, -1, v140
	v_or_b32_e32 v9, 8, v14
	s_mov_b32 s3, 0
	s_delay_alu instid0(VALU_DEP_2)
	v_dual_mov_b32 v4, v2 :: v_dual_mov_b32 v3, v1
	.p2align	6
.LBB112_53:                             ; =>This Inner Loop Header: Depth=1
	scratch_load_b128 v[15:18], v9, off offset:-8
	ds_load_b128 v[19:22], v8
	v_add_nc_u32_e32 v7, 1, v7
	v_add_nc_u32_e32 v8, 16, v8
	;; [unrolled: 1-line block ×3, first 2 shown]
	s_delay_alu instid0(VALU_DEP_3) | instskip(SKIP_4) | instid1(VALU_DEP_2)
	v_cmp_lt_u32_e32 vcc_lo, 8, v7
	s_or_b32 s3, vcc_lo, s3
	s_waitcnt vmcnt(0) lgkmcnt(0)
	v_mul_f64 v[10:11], v[21:22], v[17:18]
	v_mul_f64 v[17:18], v[19:20], v[17:18]
	v_fma_f64 v[10:11], v[19:20], v[15:16], -v[10:11]
	s_delay_alu instid0(VALU_DEP_2) | instskip(NEXT) | instid1(VALU_DEP_2)
	v_fma_f64 v[15:16], v[21:22], v[15:16], v[17:18]
	v_add_f64 v[3:4], v[3:4], v[10:11]
	s_delay_alu instid0(VALU_DEP_2)
	v_add_f64 v[1:2], v[1:2], v[15:16]
	s_and_not1_b32 exec_lo, exec_lo, s3
	s_cbranch_execnz .LBB112_53
; %bb.54:
	s_or_b32 exec_lo, exec_lo, s3
	v_mov_b32_e32 v7, 0
	ds_load_b128 v[7:10], v7 offset:160
	s_waitcnt lgkmcnt(0)
	v_mul_f64 v[11:12], v[1:2], v[9:10]
	v_mul_f64 v[15:16], v[3:4], v[9:10]
	s_delay_alu instid0(VALU_DEP_2) | instskip(NEXT) | instid1(VALU_DEP_2)
	v_fma_f64 v[9:10], v[3:4], v[7:8], -v[11:12]
	v_fma_f64 v[11:12], v[1:2], v[7:8], v[15:16]
	scratch_store_b128 off, v[9:12], off offset:160
.LBB112_55:
	s_or_b32 exec_lo, exec_lo, s2
	s_waitcnt_vscnt null, 0x0
	s_barrier
	buffer_gl0_inv
	scratch_load_b128 v[1:4], v178, off
	s_mov_b32 s2, exec_lo
	s_waitcnt vmcnt(0)
	ds_store_b128 v5, v[1:4]
	s_waitcnt lgkmcnt(0)
	s_barrier
	buffer_gl0_inv
	v_cmpx_gt_u32_e32 11, v140
	s_cbranch_execz .LBB112_59
; %bb.56:
	v_dual_mov_b32 v1, 0 :: v_dual_add_nc_u32 v8, 0x310, v13
	v_dual_mov_b32 v2, 0 :: v_dual_add_nc_u32 v7, -1, v140
	v_or_b32_e32 v9, 8, v14
	s_mov_b32 s3, 0
	s_delay_alu instid0(VALU_DEP_2)
	v_dual_mov_b32 v4, v2 :: v_dual_mov_b32 v3, v1
	.p2align	6
.LBB112_57:                             ; =>This Inner Loop Header: Depth=1
	scratch_load_b128 v[15:18], v9, off offset:-8
	ds_load_b128 v[19:22], v8
	v_add_nc_u32_e32 v7, 1, v7
	v_add_nc_u32_e32 v8, 16, v8
	;; [unrolled: 1-line block ×3, first 2 shown]
	s_delay_alu instid0(VALU_DEP_3) | instskip(SKIP_4) | instid1(VALU_DEP_2)
	v_cmp_lt_u32_e32 vcc_lo, 9, v7
	s_or_b32 s3, vcc_lo, s3
	s_waitcnt vmcnt(0) lgkmcnt(0)
	v_mul_f64 v[10:11], v[21:22], v[17:18]
	v_mul_f64 v[17:18], v[19:20], v[17:18]
	v_fma_f64 v[10:11], v[19:20], v[15:16], -v[10:11]
	s_delay_alu instid0(VALU_DEP_2) | instskip(NEXT) | instid1(VALU_DEP_2)
	v_fma_f64 v[15:16], v[21:22], v[15:16], v[17:18]
	v_add_f64 v[3:4], v[3:4], v[10:11]
	s_delay_alu instid0(VALU_DEP_2)
	v_add_f64 v[1:2], v[1:2], v[15:16]
	s_and_not1_b32 exec_lo, exec_lo, s3
	s_cbranch_execnz .LBB112_57
; %bb.58:
	s_or_b32 exec_lo, exec_lo, s3
	v_mov_b32_e32 v7, 0
	ds_load_b128 v[7:10], v7 offset:176
	s_waitcnt lgkmcnt(0)
	v_mul_f64 v[11:12], v[1:2], v[9:10]
	v_mul_f64 v[15:16], v[3:4], v[9:10]
	s_delay_alu instid0(VALU_DEP_2) | instskip(NEXT) | instid1(VALU_DEP_2)
	v_fma_f64 v[9:10], v[3:4], v[7:8], -v[11:12]
	v_fma_f64 v[11:12], v[1:2], v[7:8], v[15:16]
	scratch_store_b128 off, v[9:12], off offset:176
.LBB112_59:
	s_or_b32 exec_lo, exec_lo, s2
	s_waitcnt_vscnt null, 0x0
	s_barrier
	buffer_gl0_inv
	scratch_load_b128 v[1:4], v177, off
	s_mov_b32 s2, exec_lo
	s_waitcnt vmcnt(0)
	ds_store_b128 v5, v[1:4]
	s_waitcnt lgkmcnt(0)
	s_barrier
	buffer_gl0_inv
	v_cmpx_gt_u32_e32 12, v140
	s_cbranch_execz .LBB112_63
; %bb.60:
	v_dual_mov_b32 v1, 0 :: v_dual_add_nc_u32 v8, 0x310, v13
	v_dual_mov_b32 v2, 0 :: v_dual_add_nc_u32 v7, -1, v140
	v_or_b32_e32 v9, 8, v14
	s_mov_b32 s3, 0
	s_delay_alu instid0(VALU_DEP_2)
	v_dual_mov_b32 v4, v2 :: v_dual_mov_b32 v3, v1
	.p2align	6
.LBB112_61:                             ; =>This Inner Loop Header: Depth=1
	scratch_load_b128 v[15:18], v9, off offset:-8
	ds_load_b128 v[19:22], v8
	v_add_nc_u32_e32 v7, 1, v7
	v_add_nc_u32_e32 v8, 16, v8
	;; [unrolled: 1-line block ×3, first 2 shown]
	s_delay_alu instid0(VALU_DEP_3) | instskip(SKIP_4) | instid1(VALU_DEP_2)
	v_cmp_lt_u32_e32 vcc_lo, 10, v7
	s_or_b32 s3, vcc_lo, s3
	s_waitcnt vmcnt(0) lgkmcnt(0)
	v_mul_f64 v[10:11], v[21:22], v[17:18]
	v_mul_f64 v[17:18], v[19:20], v[17:18]
	v_fma_f64 v[10:11], v[19:20], v[15:16], -v[10:11]
	s_delay_alu instid0(VALU_DEP_2) | instskip(NEXT) | instid1(VALU_DEP_2)
	v_fma_f64 v[15:16], v[21:22], v[15:16], v[17:18]
	v_add_f64 v[3:4], v[3:4], v[10:11]
	s_delay_alu instid0(VALU_DEP_2)
	v_add_f64 v[1:2], v[1:2], v[15:16]
	s_and_not1_b32 exec_lo, exec_lo, s3
	s_cbranch_execnz .LBB112_61
; %bb.62:
	s_or_b32 exec_lo, exec_lo, s3
	v_mov_b32_e32 v7, 0
	ds_load_b128 v[7:10], v7 offset:192
	s_waitcnt lgkmcnt(0)
	v_mul_f64 v[11:12], v[1:2], v[9:10]
	v_mul_f64 v[15:16], v[3:4], v[9:10]
	s_delay_alu instid0(VALU_DEP_2) | instskip(NEXT) | instid1(VALU_DEP_2)
	v_fma_f64 v[9:10], v[3:4], v[7:8], -v[11:12]
	v_fma_f64 v[11:12], v[1:2], v[7:8], v[15:16]
	scratch_store_b128 off, v[9:12], off offset:192
.LBB112_63:
	s_or_b32 exec_lo, exec_lo, s2
	s_waitcnt_vscnt null, 0x0
	s_barrier
	buffer_gl0_inv
	scratch_load_b128 v[1:4], v176, off
	s_mov_b32 s2, exec_lo
	s_waitcnt vmcnt(0)
	ds_store_b128 v5, v[1:4]
	s_waitcnt lgkmcnt(0)
	s_barrier
	buffer_gl0_inv
	v_cmpx_gt_u32_e32 13, v140
	s_cbranch_execz .LBB112_67
; %bb.64:
	v_dual_mov_b32 v1, 0 :: v_dual_add_nc_u32 v8, 0x310, v13
	v_dual_mov_b32 v2, 0 :: v_dual_add_nc_u32 v7, -1, v140
	v_or_b32_e32 v9, 8, v14
	s_mov_b32 s3, 0
	s_delay_alu instid0(VALU_DEP_2)
	v_dual_mov_b32 v4, v2 :: v_dual_mov_b32 v3, v1
	.p2align	6
.LBB112_65:                             ; =>This Inner Loop Header: Depth=1
	scratch_load_b128 v[15:18], v9, off offset:-8
	ds_load_b128 v[19:22], v8
	v_add_nc_u32_e32 v7, 1, v7
	v_add_nc_u32_e32 v8, 16, v8
	;; [unrolled: 1-line block ×3, first 2 shown]
	s_delay_alu instid0(VALU_DEP_3) | instskip(SKIP_4) | instid1(VALU_DEP_2)
	v_cmp_lt_u32_e32 vcc_lo, 11, v7
	s_or_b32 s3, vcc_lo, s3
	s_waitcnt vmcnt(0) lgkmcnt(0)
	v_mul_f64 v[10:11], v[21:22], v[17:18]
	v_mul_f64 v[17:18], v[19:20], v[17:18]
	v_fma_f64 v[10:11], v[19:20], v[15:16], -v[10:11]
	s_delay_alu instid0(VALU_DEP_2) | instskip(NEXT) | instid1(VALU_DEP_2)
	v_fma_f64 v[15:16], v[21:22], v[15:16], v[17:18]
	v_add_f64 v[3:4], v[3:4], v[10:11]
	s_delay_alu instid0(VALU_DEP_2)
	v_add_f64 v[1:2], v[1:2], v[15:16]
	s_and_not1_b32 exec_lo, exec_lo, s3
	s_cbranch_execnz .LBB112_65
; %bb.66:
	s_or_b32 exec_lo, exec_lo, s3
	v_mov_b32_e32 v7, 0
	ds_load_b128 v[7:10], v7 offset:208
	s_waitcnt lgkmcnt(0)
	v_mul_f64 v[11:12], v[1:2], v[9:10]
	v_mul_f64 v[15:16], v[3:4], v[9:10]
	s_delay_alu instid0(VALU_DEP_2) | instskip(NEXT) | instid1(VALU_DEP_2)
	v_fma_f64 v[9:10], v[3:4], v[7:8], -v[11:12]
	v_fma_f64 v[11:12], v[1:2], v[7:8], v[15:16]
	scratch_store_b128 off, v[9:12], off offset:208
.LBB112_67:
	s_or_b32 exec_lo, exec_lo, s2
	s_waitcnt_vscnt null, 0x0
	s_barrier
	buffer_gl0_inv
	scratch_load_b128 v[1:4], v175, off
	s_mov_b32 s2, exec_lo
	s_waitcnt vmcnt(0)
	ds_store_b128 v5, v[1:4]
	s_waitcnt lgkmcnt(0)
	s_barrier
	buffer_gl0_inv
	v_cmpx_gt_u32_e32 14, v140
	s_cbranch_execz .LBB112_71
; %bb.68:
	v_dual_mov_b32 v1, 0 :: v_dual_add_nc_u32 v8, 0x310, v13
	v_dual_mov_b32 v2, 0 :: v_dual_add_nc_u32 v7, -1, v140
	v_or_b32_e32 v9, 8, v14
	s_mov_b32 s3, 0
	s_delay_alu instid0(VALU_DEP_2)
	v_dual_mov_b32 v4, v2 :: v_dual_mov_b32 v3, v1
	.p2align	6
.LBB112_69:                             ; =>This Inner Loop Header: Depth=1
	scratch_load_b128 v[15:18], v9, off offset:-8
	ds_load_b128 v[19:22], v8
	v_add_nc_u32_e32 v7, 1, v7
	v_add_nc_u32_e32 v8, 16, v8
	v_add_nc_u32_e32 v9, 16, v9
	s_delay_alu instid0(VALU_DEP_3) | instskip(SKIP_4) | instid1(VALU_DEP_2)
	v_cmp_lt_u32_e32 vcc_lo, 12, v7
	s_or_b32 s3, vcc_lo, s3
	s_waitcnt vmcnt(0) lgkmcnt(0)
	v_mul_f64 v[10:11], v[21:22], v[17:18]
	v_mul_f64 v[17:18], v[19:20], v[17:18]
	v_fma_f64 v[10:11], v[19:20], v[15:16], -v[10:11]
	s_delay_alu instid0(VALU_DEP_2) | instskip(NEXT) | instid1(VALU_DEP_2)
	v_fma_f64 v[15:16], v[21:22], v[15:16], v[17:18]
	v_add_f64 v[3:4], v[3:4], v[10:11]
	s_delay_alu instid0(VALU_DEP_2)
	v_add_f64 v[1:2], v[1:2], v[15:16]
	s_and_not1_b32 exec_lo, exec_lo, s3
	s_cbranch_execnz .LBB112_69
; %bb.70:
	s_or_b32 exec_lo, exec_lo, s3
	v_mov_b32_e32 v7, 0
	ds_load_b128 v[7:10], v7 offset:224
	s_waitcnt lgkmcnt(0)
	v_mul_f64 v[11:12], v[1:2], v[9:10]
	v_mul_f64 v[15:16], v[3:4], v[9:10]
	s_delay_alu instid0(VALU_DEP_2) | instskip(NEXT) | instid1(VALU_DEP_2)
	v_fma_f64 v[9:10], v[3:4], v[7:8], -v[11:12]
	v_fma_f64 v[11:12], v[1:2], v[7:8], v[15:16]
	scratch_store_b128 off, v[9:12], off offset:224
.LBB112_71:
	s_or_b32 exec_lo, exec_lo, s2
	s_waitcnt_vscnt null, 0x0
	s_barrier
	buffer_gl0_inv
	scratch_load_b128 v[1:4], v174, off
	s_mov_b32 s2, exec_lo
	s_waitcnt vmcnt(0)
	ds_store_b128 v5, v[1:4]
	s_waitcnt lgkmcnt(0)
	s_barrier
	buffer_gl0_inv
	v_cmpx_gt_u32_e32 15, v140
	s_cbranch_execz .LBB112_75
; %bb.72:
	v_dual_mov_b32 v1, 0 :: v_dual_add_nc_u32 v8, 0x310, v13
	v_dual_mov_b32 v2, 0 :: v_dual_add_nc_u32 v7, -1, v140
	v_or_b32_e32 v9, 8, v14
	s_mov_b32 s3, 0
	s_delay_alu instid0(VALU_DEP_2)
	v_dual_mov_b32 v4, v2 :: v_dual_mov_b32 v3, v1
	.p2align	6
.LBB112_73:                             ; =>This Inner Loop Header: Depth=1
	scratch_load_b128 v[15:18], v9, off offset:-8
	ds_load_b128 v[19:22], v8
	v_add_nc_u32_e32 v7, 1, v7
	v_add_nc_u32_e32 v8, 16, v8
	v_add_nc_u32_e32 v9, 16, v9
	s_delay_alu instid0(VALU_DEP_3) | instskip(SKIP_4) | instid1(VALU_DEP_2)
	v_cmp_lt_u32_e32 vcc_lo, 13, v7
	s_or_b32 s3, vcc_lo, s3
	s_waitcnt vmcnt(0) lgkmcnt(0)
	v_mul_f64 v[10:11], v[21:22], v[17:18]
	v_mul_f64 v[17:18], v[19:20], v[17:18]
	v_fma_f64 v[10:11], v[19:20], v[15:16], -v[10:11]
	s_delay_alu instid0(VALU_DEP_2) | instskip(NEXT) | instid1(VALU_DEP_2)
	v_fma_f64 v[15:16], v[21:22], v[15:16], v[17:18]
	v_add_f64 v[3:4], v[3:4], v[10:11]
	s_delay_alu instid0(VALU_DEP_2)
	v_add_f64 v[1:2], v[1:2], v[15:16]
	s_and_not1_b32 exec_lo, exec_lo, s3
	s_cbranch_execnz .LBB112_73
; %bb.74:
	s_or_b32 exec_lo, exec_lo, s3
	v_mov_b32_e32 v7, 0
	ds_load_b128 v[7:10], v7 offset:240
	s_waitcnt lgkmcnt(0)
	v_mul_f64 v[11:12], v[1:2], v[9:10]
	v_mul_f64 v[15:16], v[3:4], v[9:10]
	s_delay_alu instid0(VALU_DEP_2) | instskip(NEXT) | instid1(VALU_DEP_2)
	v_fma_f64 v[9:10], v[3:4], v[7:8], -v[11:12]
	v_fma_f64 v[11:12], v[1:2], v[7:8], v[15:16]
	scratch_store_b128 off, v[9:12], off offset:240
.LBB112_75:
	s_or_b32 exec_lo, exec_lo, s2
	s_waitcnt_vscnt null, 0x0
	s_barrier
	buffer_gl0_inv
	scratch_load_b128 v[1:4], v173, off
	s_mov_b32 s2, exec_lo
	s_waitcnt vmcnt(0)
	ds_store_b128 v5, v[1:4]
	s_waitcnt lgkmcnt(0)
	s_barrier
	buffer_gl0_inv
	v_cmpx_gt_u32_e32 16, v140
	s_cbranch_execz .LBB112_79
; %bb.76:
	v_dual_mov_b32 v1, 0 :: v_dual_add_nc_u32 v8, 0x310, v13
	v_dual_mov_b32 v2, 0 :: v_dual_add_nc_u32 v7, -1, v140
	v_or_b32_e32 v9, 8, v14
	s_mov_b32 s3, 0
	s_delay_alu instid0(VALU_DEP_2)
	v_dual_mov_b32 v4, v2 :: v_dual_mov_b32 v3, v1
	.p2align	6
.LBB112_77:                             ; =>This Inner Loop Header: Depth=1
	scratch_load_b128 v[15:18], v9, off offset:-8
	ds_load_b128 v[19:22], v8
	v_add_nc_u32_e32 v7, 1, v7
	v_add_nc_u32_e32 v8, 16, v8
	;; [unrolled: 1-line block ×3, first 2 shown]
	s_delay_alu instid0(VALU_DEP_3) | instskip(SKIP_4) | instid1(VALU_DEP_2)
	v_cmp_lt_u32_e32 vcc_lo, 14, v7
	s_or_b32 s3, vcc_lo, s3
	s_waitcnt vmcnt(0) lgkmcnt(0)
	v_mul_f64 v[10:11], v[21:22], v[17:18]
	v_mul_f64 v[17:18], v[19:20], v[17:18]
	v_fma_f64 v[10:11], v[19:20], v[15:16], -v[10:11]
	s_delay_alu instid0(VALU_DEP_2) | instskip(NEXT) | instid1(VALU_DEP_2)
	v_fma_f64 v[15:16], v[21:22], v[15:16], v[17:18]
	v_add_f64 v[3:4], v[3:4], v[10:11]
	s_delay_alu instid0(VALU_DEP_2)
	v_add_f64 v[1:2], v[1:2], v[15:16]
	s_and_not1_b32 exec_lo, exec_lo, s3
	s_cbranch_execnz .LBB112_77
; %bb.78:
	s_or_b32 exec_lo, exec_lo, s3
	v_mov_b32_e32 v7, 0
	ds_load_b128 v[7:10], v7 offset:256
	s_waitcnt lgkmcnt(0)
	v_mul_f64 v[11:12], v[1:2], v[9:10]
	v_mul_f64 v[15:16], v[3:4], v[9:10]
	s_delay_alu instid0(VALU_DEP_2) | instskip(NEXT) | instid1(VALU_DEP_2)
	v_fma_f64 v[9:10], v[3:4], v[7:8], -v[11:12]
	v_fma_f64 v[11:12], v[1:2], v[7:8], v[15:16]
	scratch_store_b128 off, v[9:12], off offset:256
.LBB112_79:
	s_or_b32 exec_lo, exec_lo, s2
	s_waitcnt_vscnt null, 0x0
	s_barrier
	buffer_gl0_inv
	scratch_load_b128 v[1:4], v172, off
	s_mov_b32 s2, exec_lo
	s_waitcnt vmcnt(0)
	ds_store_b128 v5, v[1:4]
	s_waitcnt lgkmcnt(0)
	s_barrier
	buffer_gl0_inv
	v_cmpx_gt_u32_e32 17, v140
	s_cbranch_execz .LBB112_83
; %bb.80:
	v_dual_mov_b32 v1, 0 :: v_dual_add_nc_u32 v8, 0x310, v13
	v_dual_mov_b32 v2, 0 :: v_dual_add_nc_u32 v7, -1, v140
	v_or_b32_e32 v9, 8, v14
	s_mov_b32 s3, 0
	s_delay_alu instid0(VALU_DEP_2)
	v_dual_mov_b32 v4, v2 :: v_dual_mov_b32 v3, v1
	.p2align	6
.LBB112_81:                             ; =>This Inner Loop Header: Depth=1
	scratch_load_b128 v[15:18], v9, off offset:-8
	ds_load_b128 v[19:22], v8
	v_add_nc_u32_e32 v7, 1, v7
	v_add_nc_u32_e32 v8, 16, v8
	;; [unrolled: 1-line block ×3, first 2 shown]
	s_delay_alu instid0(VALU_DEP_3) | instskip(SKIP_4) | instid1(VALU_DEP_2)
	v_cmp_lt_u32_e32 vcc_lo, 15, v7
	s_or_b32 s3, vcc_lo, s3
	s_waitcnt vmcnt(0) lgkmcnt(0)
	v_mul_f64 v[10:11], v[21:22], v[17:18]
	v_mul_f64 v[17:18], v[19:20], v[17:18]
	v_fma_f64 v[10:11], v[19:20], v[15:16], -v[10:11]
	s_delay_alu instid0(VALU_DEP_2) | instskip(NEXT) | instid1(VALU_DEP_2)
	v_fma_f64 v[15:16], v[21:22], v[15:16], v[17:18]
	v_add_f64 v[3:4], v[3:4], v[10:11]
	s_delay_alu instid0(VALU_DEP_2)
	v_add_f64 v[1:2], v[1:2], v[15:16]
	s_and_not1_b32 exec_lo, exec_lo, s3
	s_cbranch_execnz .LBB112_81
; %bb.82:
	s_or_b32 exec_lo, exec_lo, s3
	v_mov_b32_e32 v7, 0
	ds_load_b128 v[7:10], v7 offset:272
	s_waitcnt lgkmcnt(0)
	v_mul_f64 v[11:12], v[1:2], v[9:10]
	v_mul_f64 v[15:16], v[3:4], v[9:10]
	s_delay_alu instid0(VALU_DEP_2) | instskip(NEXT) | instid1(VALU_DEP_2)
	v_fma_f64 v[9:10], v[3:4], v[7:8], -v[11:12]
	v_fma_f64 v[11:12], v[1:2], v[7:8], v[15:16]
	scratch_store_b128 off, v[9:12], off offset:272
.LBB112_83:
	s_or_b32 exec_lo, exec_lo, s2
	s_waitcnt_vscnt null, 0x0
	s_barrier
	buffer_gl0_inv
	scratch_load_b128 v[1:4], v171, off
	s_mov_b32 s2, exec_lo
	s_waitcnt vmcnt(0)
	ds_store_b128 v5, v[1:4]
	s_waitcnt lgkmcnt(0)
	s_barrier
	buffer_gl0_inv
	v_cmpx_gt_u32_e32 18, v140
	s_cbranch_execz .LBB112_87
; %bb.84:
	v_dual_mov_b32 v1, 0 :: v_dual_add_nc_u32 v8, 0x310, v13
	v_dual_mov_b32 v2, 0 :: v_dual_add_nc_u32 v7, -1, v140
	v_or_b32_e32 v9, 8, v14
	s_mov_b32 s3, 0
	s_delay_alu instid0(VALU_DEP_2)
	v_dual_mov_b32 v4, v2 :: v_dual_mov_b32 v3, v1
	.p2align	6
.LBB112_85:                             ; =>This Inner Loop Header: Depth=1
	scratch_load_b128 v[15:18], v9, off offset:-8
	ds_load_b128 v[19:22], v8
	v_add_nc_u32_e32 v7, 1, v7
	v_add_nc_u32_e32 v8, 16, v8
	v_add_nc_u32_e32 v9, 16, v9
	s_delay_alu instid0(VALU_DEP_3) | instskip(SKIP_4) | instid1(VALU_DEP_2)
	v_cmp_lt_u32_e32 vcc_lo, 16, v7
	s_or_b32 s3, vcc_lo, s3
	s_waitcnt vmcnt(0) lgkmcnt(0)
	v_mul_f64 v[10:11], v[21:22], v[17:18]
	v_mul_f64 v[17:18], v[19:20], v[17:18]
	v_fma_f64 v[10:11], v[19:20], v[15:16], -v[10:11]
	s_delay_alu instid0(VALU_DEP_2) | instskip(NEXT) | instid1(VALU_DEP_2)
	v_fma_f64 v[15:16], v[21:22], v[15:16], v[17:18]
	v_add_f64 v[3:4], v[3:4], v[10:11]
	s_delay_alu instid0(VALU_DEP_2)
	v_add_f64 v[1:2], v[1:2], v[15:16]
	s_and_not1_b32 exec_lo, exec_lo, s3
	s_cbranch_execnz .LBB112_85
; %bb.86:
	s_or_b32 exec_lo, exec_lo, s3
	v_mov_b32_e32 v7, 0
	ds_load_b128 v[7:10], v7 offset:288
	s_waitcnt lgkmcnt(0)
	v_mul_f64 v[11:12], v[1:2], v[9:10]
	v_mul_f64 v[15:16], v[3:4], v[9:10]
	s_delay_alu instid0(VALU_DEP_2) | instskip(NEXT) | instid1(VALU_DEP_2)
	v_fma_f64 v[9:10], v[3:4], v[7:8], -v[11:12]
	v_fma_f64 v[11:12], v[1:2], v[7:8], v[15:16]
	scratch_store_b128 off, v[9:12], off offset:288
.LBB112_87:
	s_or_b32 exec_lo, exec_lo, s2
	s_waitcnt_vscnt null, 0x0
	s_barrier
	buffer_gl0_inv
	scratch_load_b128 v[1:4], v170, off
	s_mov_b32 s2, exec_lo
	s_waitcnt vmcnt(0)
	ds_store_b128 v5, v[1:4]
	s_waitcnt lgkmcnt(0)
	s_barrier
	buffer_gl0_inv
	v_cmpx_gt_u32_e32 19, v140
	s_cbranch_execz .LBB112_91
; %bb.88:
	v_dual_mov_b32 v1, 0 :: v_dual_add_nc_u32 v8, 0x310, v13
	v_dual_mov_b32 v2, 0 :: v_dual_add_nc_u32 v7, -1, v140
	v_or_b32_e32 v9, 8, v14
	s_mov_b32 s3, 0
	s_delay_alu instid0(VALU_DEP_2)
	v_dual_mov_b32 v4, v2 :: v_dual_mov_b32 v3, v1
	.p2align	6
.LBB112_89:                             ; =>This Inner Loop Header: Depth=1
	scratch_load_b128 v[15:18], v9, off offset:-8
	ds_load_b128 v[19:22], v8
	v_add_nc_u32_e32 v7, 1, v7
	v_add_nc_u32_e32 v8, 16, v8
	;; [unrolled: 1-line block ×3, first 2 shown]
	s_delay_alu instid0(VALU_DEP_3) | instskip(SKIP_4) | instid1(VALU_DEP_2)
	v_cmp_lt_u32_e32 vcc_lo, 17, v7
	s_or_b32 s3, vcc_lo, s3
	s_waitcnt vmcnt(0) lgkmcnt(0)
	v_mul_f64 v[10:11], v[21:22], v[17:18]
	v_mul_f64 v[17:18], v[19:20], v[17:18]
	v_fma_f64 v[10:11], v[19:20], v[15:16], -v[10:11]
	s_delay_alu instid0(VALU_DEP_2) | instskip(NEXT) | instid1(VALU_DEP_2)
	v_fma_f64 v[15:16], v[21:22], v[15:16], v[17:18]
	v_add_f64 v[3:4], v[3:4], v[10:11]
	s_delay_alu instid0(VALU_DEP_2)
	v_add_f64 v[1:2], v[1:2], v[15:16]
	s_and_not1_b32 exec_lo, exec_lo, s3
	s_cbranch_execnz .LBB112_89
; %bb.90:
	s_or_b32 exec_lo, exec_lo, s3
	v_mov_b32_e32 v7, 0
	ds_load_b128 v[7:10], v7 offset:304
	s_waitcnt lgkmcnt(0)
	v_mul_f64 v[11:12], v[1:2], v[9:10]
	v_mul_f64 v[15:16], v[3:4], v[9:10]
	s_delay_alu instid0(VALU_DEP_2) | instskip(NEXT) | instid1(VALU_DEP_2)
	v_fma_f64 v[9:10], v[3:4], v[7:8], -v[11:12]
	v_fma_f64 v[11:12], v[1:2], v[7:8], v[15:16]
	scratch_store_b128 off, v[9:12], off offset:304
.LBB112_91:
	s_or_b32 exec_lo, exec_lo, s2
	s_waitcnt_vscnt null, 0x0
	s_barrier
	buffer_gl0_inv
	scratch_load_b128 v[1:4], v169, off
	s_mov_b32 s2, exec_lo
	s_waitcnt vmcnt(0)
	ds_store_b128 v5, v[1:4]
	s_waitcnt lgkmcnt(0)
	s_barrier
	buffer_gl0_inv
	v_cmpx_gt_u32_e32 20, v140
	s_cbranch_execz .LBB112_95
; %bb.92:
	v_dual_mov_b32 v1, 0 :: v_dual_add_nc_u32 v8, 0x310, v13
	v_dual_mov_b32 v2, 0 :: v_dual_add_nc_u32 v7, -1, v140
	v_or_b32_e32 v9, 8, v14
	s_mov_b32 s3, 0
	s_delay_alu instid0(VALU_DEP_2)
	v_dual_mov_b32 v4, v2 :: v_dual_mov_b32 v3, v1
	.p2align	6
.LBB112_93:                             ; =>This Inner Loop Header: Depth=1
	scratch_load_b128 v[15:18], v9, off offset:-8
	ds_load_b128 v[19:22], v8
	v_add_nc_u32_e32 v7, 1, v7
	v_add_nc_u32_e32 v8, 16, v8
	;; [unrolled: 1-line block ×3, first 2 shown]
	s_delay_alu instid0(VALU_DEP_3) | instskip(SKIP_4) | instid1(VALU_DEP_2)
	v_cmp_lt_u32_e32 vcc_lo, 18, v7
	s_or_b32 s3, vcc_lo, s3
	s_waitcnt vmcnt(0) lgkmcnt(0)
	v_mul_f64 v[10:11], v[21:22], v[17:18]
	v_mul_f64 v[17:18], v[19:20], v[17:18]
	v_fma_f64 v[10:11], v[19:20], v[15:16], -v[10:11]
	s_delay_alu instid0(VALU_DEP_2) | instskip(NEXT) | instid1(VALU_DEP_2)
	v_fma_f64 v[15:16], v[21:22], v[15:16], v[17:18]
	v_add_f64 v[3:4], v[3:4], v[10:11]
	s_delay_alu instid0(VALU_DEP_2)
	v_add_f64 v[1:2], v[1:2], v[15:16]
	s_and_not1_b32 exec_lo, exec_lo, s3
	s_cbranch_execnz .LBB112_93
; %bb.94:
	s_or_b32 exec_lo, exec_lo, s3
	v_mov_b32_e32 v7, 0
	ds_load_b128 v[7:10], v7 offset:320
	s_waitcnt lgkmcnt(0)
	v_mul_f64 v[11:12], v[1:2], v[9:10]
	v_mul_f64 v[15:16], v[3:4], v[9:10]
	s_delay_alu instid0(VALU_DEP_2) | instskip(NEXT) | instid1(VALU_DEP_2)
	v_fma_f64 v[9:10], v[3:4], v[7:8], -v[11:12]
	v_fma_f64 v[11:12], v[1:2], v[7:8], v[15:16]
	scratch_store_b128 off, v[9:12], off offset:320
.LBB112_95:
	s_or_b32 exec_lo, exec_lo, s2
	s_waitcnt_vscnt null, 0x0
	s_barrier
	buffer_gl0_inv
	scratch_load_b128 v[1:4], v168, off
	s_mov_b32 s2, exec_lo
	s_waitcnt vmcnt(0)
	ds_store_b128 v5, v[1:4]
	s_waitcnt lgkmcnt(0)
	s_barrier
	buffer_gl0_inv
	v_cmpx_gt_u32_e32 21, v140
	s_cbranch_execz .LBB112_99
; %bb.96:
	v_dual_mov_b32 v1, 0 :: v_dual_add_nc_u32 v8, 0x310, v13
	v_dual_mov_b32 v2, 0 :: v_dual_add_nc_u32 v7, -1, v140
	v_or_b32_e32 v9, 8, v14
	s_mov_b32 s3, 0
	s_delay_alu instid0(VALU_DEP_2)
	v_dual_mov_b32 v4, v2 :: v_dual_mov_b32 v3, v1
	.p2align	6
.LBB112_97:                             ; =>This Inner Loop Header: Depth=1
	scratch_load_b128 v[15:18], v9, off offset:-8
	ds_load_b128 v[19:22], v8
	v_add_nc_u32_e32 v7, 1, v7
	v_add_nc_u32_e32 v8, 16, v8
	;; [unrolled: 1-line block ×3, first 2 shown]
	s_delay_alu instid0(VALU_DEP_3) | instskip(SKIP_4) | instid1(VALU_DEP_2)
	v_cmp_lt_u32_e32 vcc_lo, 19, v7
	s_or_b32 s3, vcc_lo, s3
	s_waitcnt vmcnt(0) lgkmcnt(0)
	v_mul_f64 v[10:11], v[21:22], v[17:18]
	v_mul_f64 v[17:18], v[19:20], v[17:18]
	v_fma_f64 v[10:11], v[19:20], v[15:16], -v[10:11]
	s_delay_alu instid0(VALU_DEP_2) | instskip(NEXT) | instid1(VALU_DEP_2)
	v_fma_f64 v[15:16], v[21:22], v[15:16], v[17:18]
	v_add_f64 v[3:4], v[3:4], v[10:11]
	s_delay_alu instid0(VALU_DEP_2)
	v_add_f64 v[1:2], v[1:2], v[15:16]
	s_and_not1_b32 exec_lo, exec_lo, s3
	s_cbranch_execnz .LBB112_97
; %bb.98:
	s_or_b32 exec_lo, exec_lo, s3
	v_mov_b32_e32 v7, 0
	ds_load_b128 v[7:10], v7 offset:336
	s_waitcnt lgkmcnt(0)
	v_mul_f64 v[11:12], v[1:2], v[9:10]
	v_mul_f64 v[15:16], v[3:4], v[9:10]
	s_delay_alu instid0(VALU_DEP_2) | instskip(NEXT) | instid1(VALU_DEP_2)
	v_fma_f64 v[9:10], v[3:4], v[7:8], -v[11:12]
	v_fma_f64 v[11:12], v[1:2], v[7:8], v[15:16]
	scratch_store_b128 off, v[9:12], off offset:336
.LBB112_99:
	s_or_b32 exec_lo, exec_lo, s2
	s_waitcnt_vscnt null, 0x0
	s_barrier
	buffer_gl0_inv
	scratch_load_b128 v[1:4], v167, off
	s_mov_b32 s2, exec_lo
	s_waitcnt vmcnt(0)
	ds_store_b128 v5, v[1:4]
	s_waitcnt lgkmcnt(0)
	s_barrier
	buffer_gl0_inv
	v_cmpx_gt_u32_e32 22, v140
	s_cbranch_execz .LBB112_103
; %bb.100:
	v_dual_mov_b32 v1, 0 :: v_dual_add_nc_u32 v8, 0x310, v13
	v_dual_mov_b32 v2, 0 :: v_dual_add_nc_u32 v7, -1, v140
	v_or_b32_e32 v9, 8, v14
	s_mov_b32 s3, 0
	s_delay_alu instid0(VALU_DEP_2)
	v_dual_mov_b32 v4, v2 :: v_dual_mov_b32 v3, v1
	.p2align	6
.LBB112_101:                            ; =>This Inner Loop Header: Depth=1
	scratch_load_b128 v[15:18], v9, off offset:-8
	ds_load_b128 v[19:22], v8
	v_add_nc_u32_e32 v7, 1, v7
	v_add_nc_u32_e32 v8, 16, v8
	;; [unrolled: 1-line block ×3, first 2 shown]
	s_delay_alu instid0(VALU_DEP_3) | instskip(SKIP_4) | instid1(VALU_DEP_2)
	v_cmp_lt_u32_e32 vcc_lo, 20, v7
	s_or_b32 s3, vcc_lo, s3
	s_waitcnt vmcnt(0) lgkmcnt(0)
	v_mul_f64 v[10:11], v[21:22], v[17:18]
	v_mul_f64 v[17:18], v[19:20], v[17:18]
	v_fma_f64 v[10:11], v[19:20], v[15:16], -v[10:11]
	s_delay_alu instid0(VALU_DEP_2) | instskip(NEXT) | instid1(VALU_DEP_2)
	v_fma_f64 v[15:16], v[21:22], v[15:16], v[17:18]
	v_add_f64 v[3:4], v[3:4], v[10:11]
	s_delay_alu instid0(VALU_DEP_2)
	v_add_f64 v[1:2], v[1:2], v[15:16]
	s_and_not1_b32 exec_lo, exec_lo, s3
	s_cbranch_execnz .LBB112_101
; %bb.102:
	s_or_b32 exec_lo, exec_lo, s3
	v_mov_b32_e32 v7, 0
	ds_load_b128 v[7:10], v7 offset:352
	s_waitcnt lgkmcnt(0)
	v_mul_f64 v[11:12], v[1:2], v[9:10]
	v_mul_f64 v[15:16], v[3:4], v[9:10]
	s_delay_alu instid0(VALU_DEP_2) | instskip(NEXT) | instid1(VALU_DEP_2)
	v_fma_f64 v[9:10], v[3:4], v[7:8], -v[11:12]
	v_fma_f64 v[11:12], v[1:2], v[7:8], v[15:16]
	scratch_store_b128 off, v[9:12], off offset:352
.LBB112_103:
	s_or_b32 exec_lo, exec_lo, s2
	s_waitcnt_vscnt null, 0x0
	s_barrier
	buffer_gl0_inv
	scratch_load_b128 v[1:4], v166, off
	s_mov_b32 s2, exec_lo
	s_waitcnt vmcnt(0)
	ds_store_b128 v5, v[1:4]
	s_waitcnt lgkmcnt(0)
	s_barrier
	buffer_gl0_inv
	v_cmpx_gt_u32_e32 23, v140
	s_cbranch_execz .LBB112_107
; %bb.104:
	v_dual_mov_b32 v1, 0 :: v_dual_add_nc_u32 v8, 0x310, v13
	v_dual_mov_b32 v2, 0 :: v_dual_add_nc_u32 v7, -1, v140
	v_or_b32_e32 v9, 8, v14
	s_mov_b32 s3, 0
	s_delay_alu instid0(VALU_DEP_2)
	v_dual_mov_b32 v4, v2 :: v_dual_mov_b32 v3, v1
	.p2align	6
.LBB112_105:                            ; =>This Inner Loop Header: Depth=1
	scratch_load_b128 v[15:18], v9, off offset:-8
	ds_load_b128 v[19:22], v8
	v_add_nc_u32_e32 v7, 1, v7
	v_add_nc_u32_e32 v8, 16, v8
	;; [unrolled: 1-line block ×3, first 2 shown]
	s_delay_alu instid0(VALU_DEP_3) | instskip(SKIP_4) | instid1(VALU_DEP_2)
	v_cmp_lt_u32_e32 vcc_lo, 21, v7
	s_or_b32 s3, vcc_lo, s3
	s_waitcnt vmcnt(0) lgkmcnt(0)
	v_mul_f64 v[10:11], v[21:22], v[17:18]
	v_mul_f64 v[17:18], v[19:20], v[17:18]
	v_fma_f64 v[10:11], v[19:20], v[15:16], -v[10:11]
	s_delay_alu instid0(VALU_DEP_2) | instskip(NEXT) | instid1(VALU_DEP_2)
	v_fma_f64 v[15:16], v[21:22], v[15:16], v[17:18]
	v_add_f64 v[3:4], v[3:4], v[10:11]
	s_delay_alu instid0(VALU_DEP_2)
	v_add_f64 v[1:2], v[1:2], v[15:16]
	s_and_not1_b32 exec_lo, exec_lo, s3
	s_cbranch_execnz .LBB112_105
; %bb.106:
	s_or_b32 exec_lo, exec_lo, s3
	v_mov_b32_e32 v7, 0
	ds_load_b128 v[7:10], v7 offset:368
	s_waitcnt lgkmcnt(0)
	v_mul_f64 v[11:12], v[1:2], v[9:10]
	v_mul_f64 v[15:16], v[3:4], v[9:10]
	s_delay_alu instid0(VALU_DEP_2) | instskip(NEXT) | instid1(VALU_DEP_2)
	v_fma_f64 v[9:10], v[3:4], v[7:8], -v[11:12]
	v_fma_f64 v[11:12], v[1:2], v[7:8], v[15:16]
	scratch_store_b128 off, v[9:12], off offset:368
.LBB112_107:
	s_or_b32 exec_lo, exec_lo, s2
	s_waitcnt_vscnt null, 0x0
	s_barrier
	buffer_gl0_inv
	scratch_load_b128 v[1:4], v165, off
	s_mov_b32 s2, exec_lo
	s_waitcnt vmcnt(0)
	ds_store_b128 v5, v[1:4]
	s_waitcnt lgkmcnt(0)
	s_barrier
	buffer_gl0_inv
	v_cmpx_gt_u32_e32 24, v140
	s_cbranch_execz .LBB112_111
; %bb.108:
	v_dual_mov_b32 v1, 0 :: v_dual_add_nc_u32 v8, 0x310, v13
	v_dual_mov_b32 v2, 0 :: v_dual_add_nc_u32 v7, -1, v140
	v_or_b32_e32 v9, 8, v14
	s_mov_b32 s3, 0
	s_delay_alu instid0(VALU_DEP_2)
	v_dual_mov_b32 v4, v2 :: v_dual_mov_b32 v3, v1
	.p2align	6
.LBB112_109:                            ; =>This Inner Loop Header: Depth=1
	scratch_load_b128 v[15:18], v9, off offset:-8
	ds_load_b128 v[19:22], v8
	v_add_nc_u32_e32 v7, 1, v7
	v_add_nc_u32_e32 v8, 16, v8
	;; [unrolled: 1-line block ×3, first 2 shown]
	s_delay_alu instid0(VALU_DEP_3) | instskip(SKIP_4) | instid1(VALU_DEP_2)
	v_cmp_lt_u32_e32 vcc_lo, 22, v7
	s_or_b32 s3, vcc_lo, s3
	s_waitcnt vmcnt(0) lgkmcnt(0)
	v_mul_f64 v[10:11], v[21:22], v[17:18]
	v_mul_f64 v[17:18], v[19:20], v[17:18]
	v_fma_f64 v[10:11], v[19:20], v[15:16], -v[10:11]
	s_delay_alu instid0(VALU_DEP_2) | instskip(NEXT) | instid1(VALU_DEP_2)
	v_fma_f64 v[15:16], v[21:22], v[15:16], v[17:18]
	v_add_f64 v[3:4], v[3:4], v[10:11]
	s_delay_alu instid0(VALU_DEP_2)
	v_add_f64 v[1:2], v[1:2], v[15:16]
	s_and_not1_b32 exec_lo, exec_lo, s3
	s_cbranch_execnz .LBB112_109
; %bb.110:
	s_or_b32 exec_lo, exec_lo, s3
	v_mov_b32_e32 v7, 0
	ds_load_b128 v[7:10], v7 offset:384
	s_waitcnt lgkmcnt(0)
	v_mul_f64 v[11:12], v[1:2], v[9:10]
	v_mul_f64 v[15:16], v[3:4], v[9:10]
	s_delay_alu instid0(VALU_DEP_2) | instskip(NEXT) | instid1(VALU_DEP_2)
	v_fma_f64 v[9:10], v[3:4], v[7:8], -v[11:12]
	v_fma_f64 v[11:12], v[1:2], v[7:8], v[15:16]
	scratch_store_b128 off, v[9:12], off offset:384
.LBB112_111:
	s_or_b32 exec_lo, exec_lo, s2
	s_waitcnt_vscnt null, 0x0
	s_barrier
	buffer_gl0_inv
	scratch_load_b128 v[1:4], v164, off
	s_mov_b32 s2, exec_lo
	s_waitcnt vmcnt(0)
	ds_store_b128 v5, v[1:4]
	s_waitcnt lgkmcnt(0)
	s_barrier
	buffer_gl0_inv
	v_cmpx_gt_u32_e32 25, v140
	s_cbranch_execz .LBB112_115
; %bb.112:
	v_dual_mov_b32 v1, 0 :: v_dual_add_nc_u32 v8, 0x310, v13
	v_dual_mov_b32 v2, 0 :: v_dual_add_nc_u32 v7, -1, v140
	v_or_b32_e32 v9, 8, v14
	s_mov_b32 s3, 0
	s_delay_alu instid0(VALU_DEP_2)
	v_dual_mov_b32 v4, v2 :: v_dual_mov_b32 v3, v1
	.p2align	6
.LBB112_113:                            ; =>This Inner Loop Header: Depth=1
	scratch_load_b128 v[15:18], v9, off offset:-8
	ds_load_b128 v[19:22], v8
	v_add_nc_u32_e32 v7, 1, v7
	v_add_nc_u32_e32 v8, 16, v8
	;; [unrolled: 1-line block ×3, first 2 shown]
	s_delay_alu instid0(VALU_DEP_3) | instskip(SKIP_4) | instid1(VALU_DEP_2)
	v_cmp_lt_u32_e32 vcc_lo, 23, v7
	s_or_b32 s3, vcc_lo, s3
	s_waitcnt vmcnt(0) lgkmcnt(0)
	v_mul_f64 v[10:11], v[21:22], v[17:18]
	v_mul_f64 v[17:18], v[19:20], v[17:18]
	v_fma_f64 v[10:11], v[19:20], v[15:16], -v[10:11]
	s_delay_alu instid0(VALU_DEP_2) | instskip(NEXT) | instid1(VALU_DEP_2)
	v_fma_f64 v[15:16], v[21:22], v[15:16], v[17:18]
	v_add_f64 v[3:4], v[3:4], v[10:11]
	s_delay_alu instid0(VALU_DEP_2)
	v_add_f64 v[1:2], v[1:2], v[15:16]
	s_and_not1_b32 exec_lo, exec_lo, s3
	s_cbranch_execnz .LBB112_113
; %bb.114:
	s_or_b32 exec_lo, exec_lo, s3
	v_mov_b32_e32 v7, 0
	ds_load_b128 v[7:10], v7 offset:400
	s_waitcnt lgkmcnt(0)
	v_mul_f64 v[11:12], v[1:2], v[9:10]
	v_mul_f64 v[15:16], v[3:4], v[9:10]
	s_delay_alu instid0(VALU_DEP_2) | instskip(NEXT) | instid1(VALU_DEP_2)
	v_fma_f64 v[9:10], v[3:4], v[7:8], -v[11:12]
	v_fma_f64 v[11:12], v[1:2], v[7:8], v[15:16]
	scratch_store_b128 off, v[9:12], off offset:400
.LBB112_115:
	s_or_b32 exec_lo, exec_lo, s2
	s_waitcnt_vscnt null, 0x0
	s_barrier
	buffer_gl0_inv
	scratch_load_b128 v[1:4], v163, off
	s_mov_b32 s2, exec_lo
	s_waitcnt vmcnt(0)
	ds_store_b128 v5, v[1:4]
	s_waitcnt lgkmcnt(0)
	s_barrier
	buffer_gl0_inv
	v_cmpx_gt_u32_e32 26, v140
	s_cbranch_execz .LBB112_119
; %bb.116:
	v_dual_mov_b32 v1, 0 :: v_dual_add_nc_u32 v8, 0x310, v13
	v_dual_mov_b32 v2, 0 :: v_dual_add_nc_u32 v7, -1, v140
	v_or_b32_e32 v9, 8, v14
	s_mov_b32 s3, 0
	s_delay_alu instid0(VALU_DEP_2)
	v_dual_mov_b32 v4, v2 :: v_dual_mov_b32 v3, v1
	.p2align	6
.LBB112_117:                            ; =>This Inner Loop Header: Depth=1
	scratch_load_b128 v[15:18], v9, off offset:-8
	ds_load_b128 v[19:22], v8
	v_add_nc_u32_e32 v7, 1, v7
	v_add_nc_u32_e32 v8, 16, v8
	;; [unrolled: 1-line block ×3, first 2 shown]
	s_delay_alu instid0(VALU_DEP_3) | instskip(SKIP_4) | instid1(VALU_DEP_2)
	v_cmp_lt_u32_e32 vcc_lo, 24, v7
	s_or_b32 s3, vcc_lo, s3
	s_waitcnt vmcnt(0) lgkmcnt(0)
	v_mul_f64 v[10:11], v[21:22], v[17:18]
	v_mul_f64 v[17:18], v[19:20], v[17:18]
	v_fma_f64 v[10:11], v[19:20], v[15:16], -v[10:11]
	s_delay_alu instid0(VALU_DEP_2) | instskip(NEXT) | instid1(VALU_DEP_2)
	v_fma_f64 v[15:16], v[21:22], v[15:16], v[17:18]
	v_add_f64 v[3:4], v[3:4], v[10:11]
	s_delay_alu instid0(VALU_DEP_2)
	v_add_f64 v[1:2], v[1:2], v[15:16]
	s_and_not1_b32 exec_lo, exec_lo, s3
	s_cbranch_execnz .LBB112_117
; %bb.118:
	s_or_b32 exec_lo, exec_lo, s3
	v_mov_b32_e32 v7, 0
	ds_load_b128 v[7:10], v7 offset:416
	s_waitcnt lgkmcnt(0)
	v_mul_f64 v[11:12], v[1:2], v[9:10]
	v_mul_f64 v[15:16], v[3:4], v[9:10]
	s_delay_alu instid0(VALU_DEP_2) | instskip(NEXT) | instid1(VALU_DEP_2)
	v_fma_f64 v[9:10], v[3:4], v[7:8], -v[11:12]
	v_fma_f64 v[11:12], v[1:2], v[7:8], v[15:16]
	scratch_store_b128 off, v[9:12], off offset:416
.LBB112_119:
	s_or_b32 exec_lo, exec_lo, s2
	s_waitcnt_vscnt null, 0x0
	s_barrier
	buffer_gl0_inv
	scratch_load_b128 v[1:4], v162, off
	s_mov_b32 s2, exec_lo
	s_waitcnt vmcnt(0)
	ds_store_b128 v5, v[1:4]
	s_waitcnt lgkmcnt(0)
	s_barrier
	buffer_gl0_inv
	v_cmpx_gt_u32_e32 27, v140
	s_cbranch_execz .LBB112_123
; %bb.120:
	v_dual_mov_b32 v1, 0 :: v_dual_add_nc_u32 v8, 0x310, v13
	v_dual_mov_b32 v2, 0 :: v_dual_add_nc_u32 v7, -1, v140
	v_or_b32_e32 v9, 8, v14
	s_mov_b32 s3, 0
	s_delay_alu instid0(VALU_DEP_2)
	v_dual_mov_b32 v4, v2 :: v_dual_mov_b32 v3, v1
	.p2align	6
.LBB112_121:                            ; =>This Inner Loop Header: Depth=1
	scratch_load_b128 v[15:18], v9, off offset:-8
	ds_load_b128 v[19:22], v8
	v_add_nc_u32_e32 v7, 1, v7
	v_add_nc_u32_e32 v8, 16, v8
	;; [unrolled: 1-line block ×3, first 2 shown]
	s_delay_alu instid0(VALU_DEP_3) | instskip(SKIP_4) | instid1(VALU_DEP_2)
	v_cmp_lt_u32_e32 vcc_lo, 25, v7
	s_or_b32 s3, vcc_lo, s3
	s_waitcnt vmcnt(0) lgkmcnt(0)
	v_mul_f64 v[10:11], v[21:22], v[17:18]
	v_mul_f64 v[17:18], v[19:20], v[17:18]
	v_fma_f64 v[10:11], v[19:20], v[15:16], -v[10:11]
	s_delay_alu instid0(VALU_DEP_2) | instskip(NEXT) | instid1(VALU_DEP_2)
	v_fma_f64 v[15:16], v[21:22], v[15:16], v[17:18]
	v_add_f64 v[3:4], v[3:4], v[10:11]
	s_delay_alu instid0(VALU_DEP_2)
	v_add_f64 v[1:2], v[1:2], v[15:16]
	s_and_not1_b32 exec_lo, exec_lo, s3
	s_cbranch_execnz .LBB112_121
; %bb.122:
	s_or_b32 exec_lo, exec_lo, s3
	v_mov_b32_e32 v7, 0
	ds_load_b128 v[7:10], v7 offset:432
	s_waitcnt lgkmcnt(0)
	v_mul_f64 v[11:12], v[1:2], v[9:10]
	v_mul_f64 v[15:16], v[3:4], v[9:10]
	s_delay_alu instid0(VALU_DEP_2) | instskip(NEXT) | instid1(VALU_DEP_2)
	v_fma_f64 v[9:10], v[3:4], v[7:8], -v[11:12]
	v_fma_f64 v[11:12], v[1:2], v[7:8], v[15:16]
	scratch_store_b128 off, v[9:12], off offset:432
.LBB112_123:
	s_or_b32 exec_lo, exec_lo, s2
	s_waitcnt_vscnt null, 0x0
	s_barrier
	buffer_gl0_inv
	scratch_load_b128 v[1:4], v161, off
	s_mov_b32 s2, exec_lo
	s_waitcnt vmcnt(0)
	ds_store_b128 v5, v[1:4]
	s_waitcnt lgkmcnt(0)
	s_barrier
	buffer_gl0_inv
	v_cmpx_gt_u32_e32 28, v140
	s_cbranch_execz .LBB112_127
; %bb.124:
	v_dual_mov_b32 v1, 0 :: v_dual_add_nc_u32 v8, 0x310, v13
	v_dual_mov_b32 v2, 0 :: v_dual_add_nc_u32 v7, -1, v140
	v_or_b32_e32 v9, 8, v14
	s_mov_b32 s3, 0
	s_delay_alu instid0(VALU_DEP_2)
	v_dual_mov_b32 v4, v2 :: v_dual_mov_b32 v3, v1
	.p2align	6
.LBB112_125:                            ; =>This Inner Loop Header: Depth=1
	scratch_load_b128 v[15:18], v9, off offset:-8
	ds_load_b128 v[19:22], v8
	v_add_nc_u32_e32 v7, 1, v7
	v_add_nc_u32_e32 v8, 16, v8
	;; [unrolled: 1-line block ×3, first 2 shown]
	s_delay_alu instid0(VALU_DEP_3) | instskip(SKIP_4) | instid1(VALU_DEP_2)
	v_cmp_lt_u32_e32 vcc_lo, 26, v7
	s_or_b32 s3, vcc_lo, s3
	s_waitcnt vmcnt(0) lgkmcnt(0)
	v_mul_f64 v[10:11], v[21:22], v[17:18]
	v_mul_f64 v[17:18], v[19:20], v[17:18]
	v_fma_f64 v[10:11], v[19:20], v[15:16], -v[10:11]
	s_delay_alu instid0(VALU_DEP_2) | instskip(NEXT) | instid1(VALU_DEP_2)
	v_fma_f64 v[15:16], v[21:22], v[15:16], v[17:18]
	v_add_f64 v[3:4], v[3:4], v[10:11]
	s_delay_alu instid0(VALU_DEP_2)
	v_add_f64 v[1:2], v[1:2], v[15:16]
	s_and_not1_b32 exec_lo, exec_lo, s3
	s_cbranch_execnz .LBB112_125
; %bb.126:
	s_or_b32 exec_lo, exec_lo, s3
	v_mov_b32_e32 v7, 0
	ds_load_b128 v[7:10], v7 offset:448
	s_waitcnt lgkmcnt(0)
	v_mul_f64 v[11:12], v[1:2], v[9:10]
	v_mul_f64 v[15:16], v[3:4], v[9:10]
	s_delay_alu instid0(VALU_DEP_2) | instskip(NEXT) | instid1(VALU_DEP_2)
	v_fma_f64 v[9:10], v[3:4], v[7:8], -v[11:12]
	v_fma_f64 v[11:12], v[1:2], v[7:8], v[15:16]
	scratch_store_b128 off, v[9:12], off offset:448
.LBB112_127:
	s_or_b32 exec_lo, exec_lo, s2
	s_waitcnt_vscnt null, 0x0
	s_barrier
	buffer_gl0_inv
	scratch_load_b128 v[1:4], v160, off
	s_mov_b32 s2, exec_lo
	s_waitcnt vmcnt(0)
	ds_store_b128 v5, v[1:4]
	s_waitcnt lgkmcnt(0)
	s_barrier
	buffer_gl0_inv
	v_cmpx_gt_u32_e32 29, v140
	s_cbranch_execz .LBB112_131
; %bb.128:
	v_dual_mov_b32 v1, 0 :: v_dual_add_nc_u32 v8, 0x310, v13
	v_dual_mov_b32 v2, 0 :: v_dual_add_nc_u32 v7, -1, v140
	v_or_b32_e32 v9, 8, v14
	s_mov_b32 s3, 0
	s_delay_alu instid0(VALU_DEP_2)
	v_dual_mov_b32 v4, v2 :: v_dual_mov_b32 v3, v1
	.p2align	6
.LBB112_129:                            ; =>This Inner Loop Header: Depth=1
	scratch_load_b128 v[15:18], v9, off offset:-8
	ds_load_b128 v[19:22], v8
	v_add_nc_u32_e32 v7, 1, v7
	v_add_nc_u32_e32 v8, 16, v8
	;; [unrolled: 1-line block ×3, first 2 shown]
	s_delay_alu instid0(VALU_DEP_3) | instskip(SKIP_4) | instid1(VALU_DEP_2)
	v_cmp_lt_u32_e32 vcc_lo, 27, v7
	s_or_b32 s3, vcc_lo, s3
	s_waitcnt vmcnt(0) lgkmcnt(0)
	v_mul_f64 v[10:11], v[21:22], v[17:18]
	v_mul_f64 v[17:18], v[19:20], v[17:18]
	v_fma_f64 v[10:11], v[19:20], v[15:16], -v[10:11]
	s_delay_alu instid0(VALU_DEP_2) | instskip(NEXT) | instid1(VALU_DEP_2)
	v_fma_f64 v[15:16], v[21:22], v[15:16], v[17:18]
	v_add_f64 v[3:4], v[3:4], v[10:11]
	s_delay_alu instid0(VALU_DEP_2)
	v_add_f64 v[1:2], v[1:2], v[15:16]
	s_and_not1_b32 exec_lo, exec_lo, s3
	s_cbranch_execnz .LBB112_129
; %bb.130:
	s_or_b32 exec_lo, exec_lo, s3
	v_mov_b32_e32 v7, 0
	ds_load_b128 v[7:10], v7 offset:464
	s_waitcnt lgkmcnt(0)
	v_mul_f64 v[11:12], v[1:2], v[9:10]
	v_mul_f64 v[15:16], v[3:4], v[9:10]
	s_delay_alu instid0(VALU_DEP_2) | instskip(NEXT) | instid1(VALU_DEP_2)
	v_fma_f64 v[9:10], v[3:4], v[7:8], -v[11:12]
	v_fma_f64 v[11:12], v[1:2], v[7:8], v[15:16]
	scratch_store_b128 off, v[9:12], off offset:464
.LBB112_131:
	s_or_b32 exec_lo, exec_lo, s2
	s_waitcnt_vscnt null, 0x0
	s_barrier
	buffer_gl0_inv
	scratch_load_b128 v[1:4], v159, off
	s_mov_b32 s2, exec_lo
	s_waitcnt vmcnt(0)
	ds_store_b128 v5, v[1:4]
	s_waitcnt lgkmcnt(0)
	s_barrier
	buffer_gl0_inv
	v_cmpx_gt_u32_e32 30, v140
	s_cbranch_execz .LBB112_135
; %bb.132:
	v_dual_mov_b32 v1, 0 :: v_dual_add_nc_u32 v8, 0x310, v13
	v_dual_mov_b32 v2, 0 :: v_dual_add_nc_u32 v7, -1, v140
	v_or_b32_e32 v9, 8, v14
	s_mov_b32 s3, 0
	s_delay_alu instid0(VALU_DEP_2)
	v_dual_mov_b32 v4, v2 :: v_dual_mov_b32 v3, v1
	.p2align	6
.LBB112_133:                            ; =>This Inner Loop Header: Depth=1
	scratch_load_b128 v[15:18], v9, off offset:-8
	ds_load_b128 v[19:22], v8
	v_add_nc_u32_e32 v7, 1, v7
	v_add_nc_u32_e32 v8, 16, v8
	;; [unrolled: 1-line block ×3, first 2 shown]
	s_delay_alu instid0(VALU_DEP_3) | instskip(SKIP_4) | instid1(VALU_DEP_2)
	v_cmp_lt_u32_e32 vcc_lo, 28, v7
	s_or_b32 s3, vcc_lo, s3
	s_waitcnt vmcnt(0) lgkmcnt(0)
	v_mul_f64 v[10:11], v[21:22], v[17:18]
	v_mul_f64 v[17:18], v[19:20], v[17:18]
	v_fma_f64 v[10:11], v[19:20], v[15:16], -v[10:11]
	s_delay_alu instid0(VALU_DEP_2) | instskip(NEXT) | instid1(VALU_DEP_2)
	v_fma_f64 v[15:16], v[21:22], v[15:16], v[17:18]
	v_add_f64 v[3:4], v[3:4], v[10:11]
	s_delay_alu instid0(VALU_DEP_2)
	v_add_f64 v[1:2], v[1:2], v[15:16]
	s_and_not1_b32 exec_lo, exec_lo, s3
	s_cbranch_execnz .LBB112_133
; %bb.134:
	s_or_b32 exec_lo, exec_lo, s3
	v_mov_b32_e32 v7, 0
	ds_load_b128 v[7:10], v7 offset:480
	s_waitcnt lgkmcnt(0)
	v_mul_f64 v[11:12], v[1:2], v[9:10]
	v_mul_f64 v[15:16], v[3:4], v[9:10]
	s_delay_alu instid0(VALU_DEP_2) | instskip(NEXT) | instid1(VALU_DEP_2)
	v_fma_f64 v[9:10], v[3:4], v[7:8], -v[11:12]
	v_fma_f64 v[11:12], v[1:2], v[7:8], v[15:16]
	scratch_store_b128 off, v[9:12], off offset:480
.LBB112_135:
	s_or_b32 exec_lo, exec_lo, s2
	s_waitcnt_vscnt null, 0x0
	s_barrier
	buffer_gl0_inv
	scratch_load_b128 v[1:4], v158, off
	s_mov_b32 s2, exec_lo
	s_waitcnt vmcnt(0)
	ds_store_b128 v5, v[1:4]
	s_waitcnt lgkmcnt(0)
	s_barrier
	buffer_gl0_inv
	v_cmpx_gt_u32_e32 31, v140
	s_cbranch_execz .LBB112_139
; %bb.136:
	v_dual_mov_b32 v1, 0 :: v_dual_add_nc_u32 v8, 0x310, v13
	v_dual_mov_b32 v2, 0 :: v_dual_add_nc_u32 v7, -1, v140
	v_or_b32_e32 v9, 8, v14
	s_mov_b32 s3, 0
	s_delay_alu instid0(VALU_DEP_2)
	v_dual_mov_b32 v4, v2 :: v_dual_mov_b32 v3, v1
	.p2align	6
.LBB112_137:                            ; =>This Inner Loop Header: Depth=1
	scratch_load_b128 v[15:18], v9, off offset:-8
	ds_load_b128 v[19:22], v8
	v_add_nc_u32_e32 v7, 1, v7
	v_add_nc_u32_e32 v8, 16, v8
	;; [unrolled: 1-line block ×3, first 2 shown]
	s_delay_alu instid0(VALU_DEP_3) | instskip(SKIP_4) | instid1(VALU_DEP_2)
	v_cmp_lt_u32_e32 vcc_lo, 29, v7
	s_or_b32 s3, vcc_lo, s3
	s_waitcnt vmcnt(0) lgkmcnt(0)
	v_mul_f64 v[10:11], v[21:22], v[17:18]
	v_mul_f64 v[17:18], v[19:20], v[17:18]
	v_fma_f64 v[10:11], v[19:20], v[15:16], -v[10:11]
	s_delay_alu instid0(VALU_DEP_2) | instskip(NEXT) | instid1(VALU_DEP_2)
	v_fma_f64 v[15:16], v[21:22], v[15:16], v[17:18]
	v_add_f64 v[3:4], v[3:4], v[10:11]
	s_delay_alu instid0(VALU_DEP_2)
	v_add_f64 v[1:2], v[1:2], v[15:16]
	s_and_not1_b32 exec_lo, exec_lo, s3
	s_cbranch_execnz .LBB112_137
; %bb.138:
	s_or_b32 exec_lo, exec_lo, s3
	v_mov_b32_e32 v7, 0
	ds_load_b128 v[7:10], v7 offset:496
	s_waitcnt lgkmcnt(0)
	v_mul_f64 v[11:12], v[1:2], v[9:10]
	v_mul_f64 v[15:16], v[3:4], v[9:10]
	s_delay_alu instid0(VALU_DEP_2) | instskip(NEXT) | instid1(VALU_DEP_2)
	v_fma_f64 v[9:10], v[3:4], v[7:8], -v[11:12]
	v_fma_f64 v[11:12], v[1:2], v[7:8], v[15:16]
	scratch_store_b128 off, v[9:12], off offset:496
.LBB112_139:
	s_or_b32 exec_lo, exec_lo, s2
	s_waitcnt_vscnt null, 0x0
	s_barrier
	buffer_gl0_inv
	scratch_load_b128 v[1:4], v157, off
	s_mov_b32 s2, exec_lo
	s_waitcnt vmcnt(0)
	ds_store_b128 v5, v[1:4]
	s_waitcnt lgkmcnt(0)
	s_barrier
	buffer_gl0_inv
	v_cmpx_gt_u32_e32 32, v140
	s_cbranch_execz .LBB112_143
; %bb.140:
	v_dual_mov_b32 v1, 0 :: v_dual_add_nc_u32 v8, 0x310, v13
	v_dual_mov_b32 v2, 0 :: v_dual_add_nc_u32 v7, -1, v140
	v_or_b32_e32 v9, 8, v14
	s_mov_b32 s3, 0
	s_delay_alu instid0(VALU_DEP_2)
	v_dual_mov_b32 v4, v2 :: v_dual_mov_b32 v3, v1
	.p2align	6
.LBB112_141:                            ; =>This Inner Loop Header: Depth=1
	scratch_load_b128 v[15:18], v9, off offset:-8
	ds_load_b128 v[19:22], v8
	v_add_nc_u32_e32 v7, 1, v7
	v_add_nc_u32_e32 v8, 16, v8
	;; [unrolled: 1-line block ×3, first 2 shown]
	s_delay_alu instid0(VALU_DEP_3) | instskip(SKIP_4) | instid1(VALU_DEP_2)
	v_cmp_lt_u32_e32 vcc_lo, 30, v7
	s_or_b32 s3, vcc_lo, s3
	s_waitcnt vmcnt(0) lgkmcnt(0)
	v_mul_f64 v[10:11], v[21:22], v[17:18]
	v_mul_f64 v[17:18], v[19:20], v[17:18]
	v_fma_f64 v[10:11], v[19:20], v[15:16], -v[10:11]
	s_delay_alu instid0(VALU_DEP_2) | instskip(NEXT) | instid1(VALU_DEP_2)
	v_fma_f64 v[15:16], v[21:22], v[15:16], v[17:18]
	v_add_f64 v[3:4], v[3:4], v[10:11]
	s_delay_alu instid0(VALU_DEP_2)
	v_add_f64 v[1:2], v[1:2], v[15:16]
	s_and_not1_b32 exec_lo, exec_lo, s3
	s_cbranch_execnz .LBB112_141
; %bb.142:
	s_or_b32 exec_lo, exec_lo, s3
	v_mov_b32_e32 v7, 0
	ds_load_b128 v[7:10], v7 offset:512
	s_waitcnt lgkmcnt(0)
	v_mul_f64 v[11:12], v[1:2], v[9:10]
	v_mul_f64 v[15:16], v[3:4], v[9:10]
	s_delay_alu instid0(VALU_DEP_2) | instskip(NEXT) | instid1(VALU_DEP_2)
	v_fma_f64 v[9:10], v[3:4], v[7:8], -v[11:12]
	v_fma_f64 v[11:12], v[1:2], v[7:8], v[15:16]
	scratch_store_b128 off, v[9:12], off offset:512
.LBB112_143:
	s_or_b32 exec_lo, exec_lo, s2
	s_waitcnt_vscnt null, 0x0
	s_barrier
	buffer_gl0_inv
	scratch_load_b128 v[1:4], v155, off
	s_mov_b32 s2, exec_lo
	s_waitcnt vmcnt(0)
	ds_store_b128 v5, v[1:4]
	s_waitcnt lgkmcnt(0)
	s_barrier
	buffer_gl0_inv
	v_cmpx_gt_u32_e32 33, v140
	s_cbranch_execz .LBB112_147
; %bb.144:
	v_dual_mov_b32 v1, 0 :: v_dual_add_nc_u32 v8, 0x310, v13
	v_dual_mov_b32 v2, 0 :: v_dual_add_nc_u32 v7, -1, v140
	v_or_b32_e32 v9, 8, v14
	s_mov_b32 s3, 0
	s_delay_alu instid0(VALU_DEP_2)
	v_dual_mov_b32 v4, v2 :: v_dual_mov_b32 v3, v1
	.p2align	6
.LBB112_145:                            ; =>This Inner Loop Header: Depth=1
	scratch_load_b128 v[15:18], v9, off offset:-8
	ds_load_b128 v[19:22], v8
	v_add_nc_u32_e32 v7, 1, v7
	v_add_nc_u32_e32 v8, 16, v8
	;; [unrolled: 1-line block ×3, first 2 shown]
	s_delay_alu instid0(VALU_DEP_3) | instskip(SKIP_4) | instid1(VALU_DEP_2)
	v_cmp_lt_u32_e32 vcc_lo, 31, v7
	s_or_b32 s3, vcc_lo, s3
	s_waitcnt vmcnt(0) lgkmcnt(0)
	v_mul_f64 v[10:11], v[21:22], v[17:18]
	v_mul_f64 v[17:18], v[19:20], v[17:18]
	v_fma_f64 v[10:11], v[19:20], v[15:16], -v[10:11]
	s_delay_alu instid0(VALU_DEP_2) | instskip(NEXT) | instid1(VALU_DEP_2)
	v_fma_f64 v[15:16], v[21:22], v[15:16], v[17:18]
	v_add_f64 v[3:4], v[3:4], v[10:11]
	s_delay_alu instid0(VALU_DEP_2)
	v_add_f64 v[1:2], v[1:2], v[15:16]
	s_and_not1_b32 exec_lo, exec_lo, s3
	s_cbranch_execnz .LBB112_145
; %bb.146:
	s_or_b32 exec_lo, exec_lo, s3
	v_mov_b32_e32 v7, 0
	ds_load_b128 v[7:10], v7 offset:528
	s_waitcnt lgkmcnt(0)
	v_mul_f64 v[11:12], v[1:2], v[9:10]
	v_mul_f64 v[15:16], v[3:4], v[9:10]
	s_delay_alu instid0(VALU_DEP_2) | instskip(NEXT) | instid1(VALU_DEP_2)
	v_fma_f64 v[9:10], v[3:4], v[7:8], -v[11:12]
	v_fma_f64 v[11:12], v[1:2], v[7:8], v[15:16]
	scratch_store_b128 off, v[9:12], off offset:528
.LBB112_147:
	s_or_b32 exec_lo, exec_lo, s2
	s_waitcnt_vscnt null, 0x0
	s_barrier
	buffer_gl0_inv
	scratch_load_b128 v[1:4], v154, off
	s_mov_b32 s2, exec_lo
	s_waitcnt vmcnt(0)
	ds_store_b128 v5, v[1:4]
	s_waitcnt lgkmcnt(0)
	s_barrier
	buffer_gl0_inv
	v_cmpx_gt_u32_e32 34, v140
	s_cbranch_execz .LBB112_151
; %bb.148:
	v_dual_mov_b32 v1, 0 :: v_dual_add_nc_u32 v8, 0x310, v13
	v_dual_mov_b32 v2, 0 :: v_dual_add_nc_u32 v7, -1, v140
	v_or_b32_e32 v9, 8, v14
	s_mov_b32 s3, 0
	s_delay_alu instid0(VALU_DEP_2)
	v_dual_mov_b32 v4, v2 :: v_dual_mov_b32 v3, v1
	.p2align	6
.LBB112_149:                            ; =>This Inner Loop Header: Depth=1
	scratch_load_b128 v[15:18], v9, off offset:-8
	ds_load_b128 v[19:22], v8
	v_add_nc_u32_e32 v7, 1, v7
	v_add_nc_u32_e32 v8, 16, v8
	;; [unrolled: 1-line block ×3, first 2 shown]
	s_delay_alu instid0(VALU_DEP_3) | instskip(SKIP_4) | instid1(VALU_DEP_2)
	v_cmp_lt_u32_e32 vcc_lo, 32, v7
	s_or_b32 s3, vcc_lo, s3
	s_waitcnt vmcnt(0) lgkmcnt(0)
	v_mul_f64 v[10:11], v[21:22], v[17:18]
	v_mul_f64 v[17:18], v[19:20], v[17:18]
	v_fma_f64 v[10:11], v[19:20], v[15:16], -v[10:11]
	s_delay_alu instid0(VALU_DEP_2) | instskip(NEXT) | instid1(VALU_DEP_2)
	v_fma_f64 v[15:16], v[21:22], v[15:16], v[17:18]
	v_add_f64 v[3:4], v[3:4], v[10:11]
	s_delay_alu instid0(VALU_DEP_2)
	v_add_f64 v[1:2], v[1:2], v[15:16]
	s_and_not1_b32 exec_lo, exec_lo, s3
	s_cbranch_execnz .LBB112_149
; %bb.150:
	s_or_b32 exec_lo, exec_lo, s3
	v_mov_b32_e32 v7, 0
	ds_load_b128 v[7:10], v7 offset:544
	s_waitcnt lgkmcnt(0)
	v_mul_f64 v[11:12], v[1:2], v[9:10]
	v_mul_f64 v[15:16], v[3:4], v[9:10]
	s_delay_alu instid0(VALU_DEP_2) | instskip(NEXT) | instid1(VALU_DEP_2)
	v_fma_f64 v[9:10], v[3:4], v[7:8], -v[11:12]
	v_fma_f64 v[11:12], v[1:2], v[7:8], v[15:16]
	scratch_store_b128 off, v[9:12], off offset:544
.LBB112_151:
	s_or_b32 exec_lo, exec_lo, s2
	s_waitcnt_vscnt null, 0x0
	s_barrier
	buffer_gl0_inv
	scratch_load_b128 v[1:4], v149, off
	s_mov_b32 s2, exec_lo
	s_waitcnt vmcnt(0)
	ds_store_b128 v5, v[1:4]
	s_waitcnt lgkmcnt(0)
	s_barrier
	buffer_gl0_inv
	v_cmpx_gt_u32_e32 35, v140
	s_cbranch_execz .LBB112_155
; %bb.152:
	v_dual_mov_b32 v1, 0 :: v_dual_add_nc_u32 v8, 0x310, v13
	v_dual_mov_b32 v2, 0 :: v_dual_add_nc_u32 v7, -1, v140
	v_or_b32_e32 v9, 8, v14
	s_mov_b32 s3, 0
	s_delay_alu instid0(VALU_DEP_2)
	v_dual_mov_b32 v4, v2 :: v_dual_mov_b32 v3, v1
	.p2align	6
.LBB112_153:                            ; =>This Inner Loop Header: Depth=1
	scratch_load_b128 v[15:18], v9, off offset:-8
	ds_load_b128 v[19:22], v8
	v_add_nc_u32_e32 v7, 1, v7
	v_add_nc_u32_e32 v8, 16, v8
	;; [unrolled: 1-line block ×3, first 2 shown]
	s_delay_alu instid0(VALU_DEP_3) | instskip(SKIP_4) | instid1(VALU_DEP_2)
	v_cmp_lt_u32_e32 vcc_lo, 33, v7
	s_or_b32 s3, vcc_lo, s3
	s_waitcnt vmcnt(0) lgkmcnt(0)
	v_mul_f64 v[10:11], v[21:22], v[17:18]
	v_mul_f64 v[17:18], v[19:20], v[17:18]
	v_fma_f64 v[10:11], v[19:20], v[15:16], -v[10:11]
	s_delay_alu instid0(VALU_DEP_2) | instskip(NEXT) | instid1(VALU_DEP_2)
	v_fma_f64 v[15:16], v[21:22], v[15:16], v[17:18]
	v_add_f64 v[3:4], v[3:4], v[10:11]
	s_delay_alu instid0(VALU_DEP_2)
	v_add_f64 v[1:2], v[1:2], v[15:16]
	s_and_not1_b32 exec_lo, exec_lo, s3
	s_cbranch_execnz .LBB112_153
; %bb.154:
	s_or_b32 exec_lo, exec_lo, s3
	v_mov_b32_e32 v7, 0
	ds_load_b128 v[7:10], v7 offset:560
	s_waitcnt lgkmcnt(0)
	v_mul_f64 v[11:12], v[1:2], v[9:10]
	v_mul_f64 v[15:16], v[3:4], v[9:10]
	s_delay_alu instid0(VALU_DEP_2) | instskip(NEXT) | instid1(VALU_DEP_2)
	v_fma_f64 v[9:10], v[3:4], v[7:8], -v[11:12]
	v_fma_f64 v[11:12], v[1:2], v[7:8], v[15:16]
	scratch_store_b128 off, v[9:12], off offset:560
.LBB112_155:
	s_or_b32 exec_lo, exec_lo, s2
	s_waitcnt_vscnt null, 0x0
	s_barrier
	buffer_gl0_inv
	scratch_load_b128 v[1:4], v148, off
	s_mov_b32 s2, exec_lo
	s_waitcnt vmcnt(0)
	ds_store_b128 v5, v[1:4]
	s_waitcnt lgkmcnt(0)
	s_barrier
	buffer_gl0_inv
	v_cmpx_gt_u32_e32 36, v140
	s_cbranch_execz .LBB112_159
; %bb.156:
	v_dual_mov_b32 v1, 0 :: v_dual_add_nc_u32 v8, 0x310, v13
	v_dual_mov_b32 v2, 0 :: v_dual_add_nc_u32 v7, -1, v140
	v_or_b32_e32 v9, 8, v14
	s_mov_b32 s3, 0
	s_delay_alu instid0(VALU_DEP_2)
	v_dual_mov_b32 v4, v2 :: v_dual_mov_b32 v3, v1
	.p2align	6
.LBB112_157:                            ; =>This Inner Loop Header: Depth=1
	scratch_load_b128 v[15:18], v9, off offset:-8
	ds_load_b128 v[19:22], v8
	v_add_nc_u32_e32 v7, 1, v7
	v_add_nc_u32_e32 v8, 16, v8
	;; [unrolled: 1-line block ×3, first 2 shown]
	s_delay_alu instid0(VALU_DEP_3) | instskip(SKIP_4) | instid1(VALU_DEP_2)
	v_cmp_lt_u32_e32 vcc_lo, 34, v7
	s_or_b32 s3, vcc_lo, s3
	s_waitcnt vmcnt(0) lgkmcnt(0)
	v_mul_f64 v[10:11], v[21:22], v[17:18]
	v_mul_f64 v[17:18], v[19:20], v[17:18]
	v_fma_f64 v[10:11], v[19:20], v[15:16], -v[10:11]
	s_delay_alu instid0(VALU_DEP_2) | instskip(NEXT) | instid1(VALU_DEP_2)
	v_fma_f64 v[15:16], v[21:22], v[15:16], v[17:18]
	v_add_f64 v[3:4], v[3:4], v[10:11]
	s_delay_alu instid0(VALU_DEP_2)
	v_add_f64 v[1:2], v[1:2], v[15:16]
	s_and_not1_b32 exec_lo, exec_lo, s3
	s_cbranch_execnz .LBB112_157
; %bb.158:
	s_or_b32 exec_lo, exec_lo, s3
	v_mov_b32_e32 v7, 0
	ds_load_b128 v[7:10], v7 offset:576
	s_waitcnt lgkmcnt(0)
	v_mul_f64 v[11:12], v[1:2], v[9:10]
	v_mul_f64 v[15:16], v[3:4], v[9:10]
	s_delay_alu instid0(VALU_DEP_2) | instskip(NEXT) | instid1(VALU_DEP_2)
	v_fma_f64 v[9:10], v[3:4], v[7:8], -v[11:12]
	v_fma_f64 v[11:12], v[1:2], v[7:8], v[15:16]
	scratch_store_b128 off, v[9:12], off offset:576
.LBB112_159:
	s_or_b32 exec_lo, exec_lo, s2
	s_waitcnt_vscnt null, 0x0
	s_barrier
	buffer_gl0_inv
	scratch_load_b128 v[1:4], v141, off
	s_mov_b32 s2, exec_lo
	s_waitcnt vmcnt(0)
	ds_store_b128 v5, v[1:4]
	s_waitcnt lgkmcnt(0)
	s_barrier
	buffer_gl0_inv
	v_cmpx_gt_u32_e32 37, v140
	s_cbranch_execz .LBB112_163
; %bb.160:
	v_dual_mov_b32 v1, 0 :: v_dual_add_nc_u32 v8, 0x310, v13
	v_dual_mov_b32 v2, 0 :: v_dual_add_nc_u32 v7, -1, v140
	v_or_b32_e32 v9, 8, v14
	s_mov_b32 s3, 0
	s_delay_alu instid0(VALU_DEP_2)
	v_dual_mov_b32 v4, v2 :: v_dual_mov_b32 v3, v1
	.p2align	6
.LBB112_161:                            ; =>This Inner Loop Header: Depth=1
	scratch_load_b128 v[15:18], v9, off offset:-8
	ds_load_b128 v[19:22], v8
	v_add_nc_u32_e32 v7, 1, v7
	v_add_nc_u32_e32 v8, 16, v8
	;; [unrolled: 1-line block ×3, first 2 shown]
	s_delay_alu instid0(VALU_DEP_3) | instskip(SKIP_4) | instid1(VALU_DEP_2)
	v_cmp_lt_u32_e32 vcc_lo, 35, v7
	s_or_b32 s3, vcc_lo, s3
	s_waitcnt vmcnt(0) lgkmcnt(0)
	v_mul_f64 v[10:11], v[21:22], v[17:18]
	v_mul_f64 v[17:18], v[19:20], v[17:18]
	v_fma_f64 v[10:11], v[19:20], v[15:16], -v[10:11]
	s_delay_alu instid0(VALU_DEP_2) | instskip(NEXT) | instid1(VALU_DEP_2)
	v_fma_f64 v[15:16], v[21:22], v[15:16], v[17:18]
	v_add_f64 v[3:4], v[3:4], v[10:11]
	s_delay_alu instid0(VALU_DEP_2)
	v_add_f64 v[1:2], v[1:2], v[15:16]
	s_and_not1_b32 exec_lo, exec_lo, s3
	s_cbranch_execnz .LBB112_161
; %bb.162:
	s_or_b32 exec_lo, exec_lo, s3
	v_mov_b32_e32 v7, 0
	ds_load_b128 v[7:10], v7 offset:592
	s_waitcnt lgkmcnt(0)
	v_mul_f64 v[11:12], v[1:2], v[9:10]
	v_mul_f64 v[15:16], v[3:4], v[9:10]
	s_delay_alu instid0(VALU_DEP_2) | instskip(NEXT) | instid1(VALU_DEP_2)
	v_fma_f64 v[9:10], v[3:4], v[7:8], -v[11:12]
	v_fma_f64 v[11:12], v[1:2], v[7:8], v[15:16]
	scratch_store_b128 off, v[9:12], off offset:592
.LBB112_163:
	s_or_b32 exec_lo, exec_lo, s2
	s_waitcnt_vscnt null, 0x0
	s_barrier
	buffer_gl0_inv
	scratch_load_b128 v[1:4], v156, off
	s_mov_b32 s2, exec_lo
	s_waitcnt vmcnt(0)
	ds_store_b128 v5, v[1:4]
	s_waitcnt lgkmcnt(0)
	s_barrier
	buffer_gl0_inv
	v_cmpx_gt_u32_e32 38, v140
	s_cbranch_execz .LBB112_167
; %bb.164:
	v_dual_mov_b32 v1, 0 :: v_dual_add_nc_u32 v8, 0x310, v13
	v_dual_mov_b32 v2, 0 :: v_dual_add_nc_u32 v7, -1, v140
	v_or_b32_e32 v9, 8, v14
	s_mov_b32 s3, 0
	s_delay_alu instid0(VALU_DEP_2)
	v_dual_mov_b32 v4, v2 :: v_dual_mov_b32 v3, v1
	.p2align	6
.LBB112_165:                            ; =>This Inner Loop Header: Depth=1
	scratch_load_b128 v[15:18], v9, off offset:-8
	ds_load_b128 v[19:22], v8
	v_add_nc_u32_e32 v7, 1, v7
	v_add_nc_u32_e32 v8, 16, v8
	;; [unrolled: 1-line block ×3, first 2 shown]
	s_delay_alu instid0(VALU_DEP_3) | instskip(SKIP_4) | instid1(VALU_DEP_2)
	v_cmp_lt_u32_e32 vcc_lo, 36, v7
	s_or_b32 s3, vcc_lo, s3
	s_waitcnt vmcnt(0) lgkmcnt(0)
	v_mul_f64 v[10:11], v[21:22], v[17:18]
	v_mul_f64 v[17:18], v[19:20], v[17:18]
	v_fma_f64 v[10:11], v[19:20], v[15:16], -v[10:11]
	s_delay_alu instid0(VALU_DEP_2) | instskip(NEXT) | instid1(VALU_DEP_2)
	v_fma_f64 v[15:16], v[21:22], v[15:16], v[17:18]
	v_add_f64 v[3:4], v[3:4], v[10:11]
	s_delay_alu instid0(VALU_DEP_2)
	v_add_f64 v[1:2], v[1:2], v[15:16]
	s_and_not1_b32 exec_lo, exec_lo, s3
	s_cbranch_execnz .LBB112_165
; %bb.166:
	s_or_b32 exec_lo, exec_lo, s3
	v_mov_b32_e32 v7, 0
	ds_load_b128 v[7:10], v7 offset:608
	s_waitcnt lgkmcnt(0)
	v_mul_f64 v[11:12], v[1:2], v[9:10]
	v_mul_f64 v[15:16], v[3:4], v[9:10]
	s_delay_alu instid0(VALU_DEP_2) | instskip(NEXT) | instid1(VALU_DEP_2)
	v_fma_f64 v[9:10], v[3:4], v[7:8], -v[11:12]
	v_fma_f64 v[11:12], v[1:2], v[7:8], v[15:16]
	scratch_store_b128 off, v[9:12], off offset:608
.LBB112_167:
	s_or_b32 exec_lo, exec_lo, s2
	s_waitcnt_vscnt null, 0x0
	s_barrier
	buffer_gl0_inv
	scratch_load_b128 v[1:4], v153, off
	s_mov_b32 s2, exec_lo
	s_waitcnt vmcnt(0)
	ds_store_b128 v5, v[1:4]
	s_waitcnt lgkmcnt(0)
	s_barrier
	buffer_gl0_inv
	v_cmpx_gt_u32_e32 39, v140
	s_cbranch_execz .LBB112_171
; %bb.168:
	v_dual_mov_b32 v1, 0 :: v_dual_add_nc_u32 v8, 0x310, v13
	v_dual_mov_b32 v2, 0 :: v_dual_add_nc_u32 v7, -1, v140
	v_or_b32_e32 v9, 8, v14
	s_mov_b32 s3, 0
	s_delay_alu instid0(VALU_DEP_2)
	v_dual_mov_b32 v4, v2 :: v_dual_mov_b32 v3, v1
	.p2align	6
.LBB112_169:                            ; =>This Inner Loop Header: Depth=1
	scratch_load_b128 v[15:18], v9, off offset:-8
	ds_load_b128 v[19:22], v8
	v_add_nc_u32_e32 v7, 1, v7
	v_add_nc_u32_e32 v8, 16, v8
	;; [unrolled: 1-line block ×3, first 2 shown]
	s_delay_alu instid0(VALU_DEP_3) | instskip(SKIP_4) | instid1(VALU_DEP_2)
	v_cmp_lt_u32_e32 vcc_lo, 37, v7
	s_or_b32 s3, vcc_lo, s3
	s_waitcnt vmcnt(0) lgkmcnt(0)
	v_mul_f64 v[10:11], v[21:22], v[17:18]
	v_mul_f64 v[17:18], v[19:20], v[17:18]
	v_fma_f64 v[10:11], v[19:20], v[15:16], -v[10:11]
	s_delay_alu instid0(VALU_DEP_2) | instskip(NEXT) | instid1(VALU_DEP_2)
	v_fma_f64 v[15:16], v[21:22], v[15:16], v[17:18]
	v_add_f64 v[3:4], v[3:4], v[10:11]
	s_delay_alu instid0(VALU_DEP_2)
	v_add_f64 v[1:2], v[1:2], v[15:16]
	s_and_not1_b32 exec_lo, exec_lo, s3
	s_cbranch_execnz .LBB112_169
; %bb.170:
	s_or_b32 exec_lo, exec_lo, s3
	v_mov_b32_e32 v7, 0
	ds_load_b128 v[7:10], v7 offset:624
	s_waitcnt lgkmcnt(0)
	v_mul_f64 v[11:12], v[1:2], v[9:10]
	v_mul_f64 v[15:16], v[3:4], v[9:10]
	s_delay_alu instid0(VALU_DEP_2) | instskip(NEXT) | instid1(VALU_DEP_2)
	v_fma_f64 v[9:10], v[3:4], v[7:8], -v[11:12]
	v_fma_f64 v[11:12], v[1:2], v[7:8], v[15:16]
	scratch_store_b128 off, v[9:12], off offset:624
.LBB112_171:
	s_or_b32 exec_lo, exec_lo, s2
	s_waitcnt_vscnt null, 0x0
	s_barrier
	buffer_gl0_inv
	scratch_load_b128 v[1:4], v152, off
	s_mov_b32 s2, exec_lo
	s_waitcnt vmcnt(0)
	ds_store_b128 v5, v[1:4]
	s_waitcnt lgkmcnt(0)
	s_barrier
	buffer_gl0_inv
	v_cmpx_gt_u32_e32 40, v140
	s_cbranch_execz .LBB112_175
; %bb.172:
	v_dual_mov_b32 v1, 0 :: v_dual_add_nc_u32 v8, 0x310, v13
	v_dual_mov_b32 v2, 0 :: v_dual_add_nc_u32 v7, -1, v140
	v_or_b32_e32 v9, 8, v14
	s_mov_b32 s3, 0
	s_delay_alu instid0(VALU_DEP_2)
	v_dual_mov_b32 v4, v2 :: v_dual_mov_b32 v3, v1
	.p2align	6
.LBB112_173:                            ; =>This Inner Loop Header: Depth=1
	scratch_load_b128 v[15:18], v9, off offset:-8
	ds_load_b128 v[19:22], v8
	v_add_nc_u32_e32 v7, 1, v7
	v_add_nc_u32_e32 v8, 16, v8
	;; [unrolled: 1-line block ×3, first 2 shown]
	s_delay_alu instid0(VALU_DEP_3) | instskip(SKIP_4) | instid1(VALU_DEP_2)
	v_cmp_lt_u32_e32 vcc_lo, 38, v7
	s_or_b32 s3, vcc_lo, s3
	s_waitcnt vmcnt(0) lgkmcnt(0)
	v_mul_f64 v[10:11], v[21:22], v[17:18]
	v_mul_f64 v[17:18], v[19:20], v[17:18]
	v_fma_f64 v[10:11], v[19:20], v[15:16], -v[10:11]
	s_delay_alu instid0(VALU_DEP_2) | instskip(NEXT) | instid1(VALU_DEP_2)
	v_fma_f64 v[15:16], v[21:22], v[15:16], v[17:18]
	v_add_f64 v[3:4], v[3:4], v[10:11]
	s_delay_alu instid0(VALU_DEP_2)
	v_add_f64 v[1:2], v[1:2], v[15:16]
	s_and_not1_b32 exec_lo, exec_lo, s3
	s_cbranch_execnz .LBB112_173
; %bb.174:
	s_or_b32 exec_lo, exec_lo, s3
	v_mov_b32_e32 v7, 0
	ds_load_b128 v[7:10], v7 offset:640
	s_waitcnt lgkmcnt(0)
	v_mul_f64 v[11:12], v[1:2], v[9:10]
	v_mul_f64 v[15:16], v[3:4], v[9:10]
	s_delay_alu instid0(VALU_DEP_2) | instskip(NEXT) | instid1(VALU_DEP_2)
	v_fma_f64 v[9:10], v[3:4], v[7:8], -v[11:12]
	v_fma_f64 v[11:12], v[1:2], v[7:8], v[15:16]
	scratch_store_b128 off, v[9:12], off offset:640
.LBB112_175:
	s_or_b32 exec_lo, exec_lo, s2
	s_waitcnt_vscnt null, 0x0
	s_barrier
	buffer_gl0_inv
	scratch_load_b128 v[1:4], v151, off
	s_mov_b32 s2, exec_lo
	s_waitcnt vmcnt(0)
	ds_store_b128 v5, v[1:4]
	s_waitcnt lgkmcnt(0)
	s_barrier
	buffer_gl0_inv
	v_cmpx_gt_u32_e32 41, v140
	s_cbranch_execz .LBB112_179
; %bb.176:
	v_dual_mov_b32 v1, 0 :: v_dual_add_nc_u32 v8, 0x310, v13
	v_dual_mov_b32 v2, 0 :: v_dual_add_nc_u32 v7, -1, v140
	v_or_b32_e32 v9, 8, v14
	s_mov_b32 s3, 0
	s_delay_alu instid0(VALU_DEP_2)
	v_dual_mov_b32 v4, v2 :: v_dual_mov_b32 v3, v1
	.p2align	6
.LBB112_177:                            ; =>This Inner Loop Header: Depth=1
	scratch_load_b128 v[15:18], v9, off offset:-8
	ds_load_b128 v[19:22], v8
	v_add_nc_u32_e32 v7, 1, v7
	v_add_nc_u32_e32 v8, 16, v8
	;; [unrolled: 1-line block ×3, first 2 shown]
	s_delay_alu instid0(VALU_DEP_3) | instskip(SKIP_4) | instid1(VALU_DEP_2)
	v_cmp_lt_u32_e32 vcc_lo, 39, v7
	s_or_b32 s3, vcc_lo, s3
	s_waitcnt vmcnt(0) lgkmcnt(0)
	v_mul_f64 v[10:11], v[21:22], v[17:18]
	v_mul_f64 v[17:18], v[19:20], v[17:18]
	v_fma_f64 v[10:11], v[19:20], v[15:16], -v[10:11]
	s_delay_alu instid0(VALU_DEP_2) | instskip(NEXT) | instid1(VALU_DEP_2)
	v_fma_f64 v[15:16], v[21:22], v[15:16], v[17:18]
	v_add_f64 v[3:4], v[3:4], v[10:11]
	s_delay_alu instid0(VALU_DEP_2)
	v_add_f64 v[1:2], v[1:2], v[15:16]
	s_and_not1_b32 exec_lo, exec_lo, s3
	s_cbranch_execnz .LBB112_177
; %bb.178:
	s_or_b32 exec_lo, exec_lo, s3
	v_mov_b32_e32 v7, 0
	ds_load_b128 v[7:10], v7 offset:656
	s_waitcnt lgkmcnt(0)
	v_mul_f64 v[11:12], v[1:2], v[9:10]
	v_mul_f64 v[15:16], v[3:4], v[9:10]
	s_delay_alu instid0(VALU_DEP_2) | instskip(NEXT) | instid1(VALU_DEP_2)
	v_fma_f64 v[9:10], v[3:4], v[7:8], -v[11:12]
	v_fma_f64 v[11:12], v[1:2], v[7:8], v[15:16]
	scratch_store_b128 off, v[9:12], off offset:656
.LBB112_179:
	s_or_b32 exec_lo, exec_lo, s2
	s_waitcnt_vscnt null, 0x0
	s_barrier
	buffer_gl0_inv
	scratch_load_b128 v[1:4], v150, off
	s_mov_b32 s2, exec_lo
	s_waitcnt vmcnt(0)
	ds_store_b128 v5, v[1:4]
	s_waitcnt lgkmcnt(0)
	s_barrier
	buffer_gl0_inv
	v_cmpx_gt_u32_e32 42, v140
	s_cbranch_execz .LBB112_183
; %bb.180:
	v_dual_mov_b32 v1, 0 :: v_dual_add_nc_u32 v8, 0x310, v13
	v_dual_mov_b32 v2, 0 :: v_dual_add_nc_u32 v7, -1, v140
	v_or_b32_e32 v9, 8, v14
	s_mov_b32 s3, 0
	s_delay_alu instid0(VALU_DEP_2)
	v_dual_mov_b32 v4, v2 :: v_dual_mov_b32 v3, v1
	.p2align	6
.LBB112_181:                            ; =>This Inner Loop Header: Depth=1
	scratch_load_b128 v[15:18], v9, off offset:-8
	ds_load_b128 v[19:22], v8
	v_add_nc_u32_e32 v7, 1, v7
	v_add_nc_u32_e32 v8, 16, v8
	;; [unrolled: 1-line block ×3, first 2 shown]
	s_delay_alu instid0(VALU_DEP_3) | instskip(SKIP_4) | instid1(VALU_DEP_2)
	v_cmp_lt_u32_e32 vcc_lo, 40, v7
	s_or_b32 s3, vcc_lo, s3
	s_waitcnt vmcnt(0) lgkmcnt(0)
	v_mul_f64 v[10:11], v[21:22], v[17:18]
	v_mul_f64 v[17:18], v[19:20], v[17:18]
	v_fma_f64 v[10:11], v[19:20], v[15:16], -v[10:11]
	s_delay_alu instid0(VALU_DEP_2) | instskip(NEXT) | instid1(VALU_DEP_2)
	v_fma_f64 v[15:16], v[21:22], v[15:16], v[17:18]
	v_add_f64 v[3:4], v[3:4], v[10:11]
	s_delay_alu instid0(VALU_DEP_2)
	v_add_f64 v[1:2], v[1:2], v[15:16]
	s_and_not1_b32 exec_lo, exec_lo, s3
	s_cbranch_execnz .LBB112_181
; %bb.182:
	s_or_b32 exec_lo, exec_lo, s3
	v_mov_b32_e32 v7, 0
	ds_load_b128 v[7:10], v7 offset:672
	s_waitcnt lgkmcnt(0)
	v_mul_f64 v[11:12], v[1:2], v[9:10]
	v_mul_f64 v[15:16], v[3:4], v[9:10]
	s_delay_alu instid0(VALU_DEP_2) | instskip(NEXT) | instid1(VALU_DEP_2)
	v_fma_f64 v[9:10], v[3:4], v[7:8], -v[11:12]
	v_fma_f64 v[11:12], v[1:2], v[7:8], v[15:16]
	scratch_store_b128 off, v[9:12], off offset:672
.LBB112_183:
	s_or_b32 exec_lo, exec_lo, s2
	s_waitcnt_vscnt null, 0x0
	s_barrier
	buffer_gl0_inv
	scratch_load_b128 v[1:4], v147, off
	s_mov_b32 s2, exec_lo
	s_waitcnt vmcnt(0)
	ds_store_b128 v5, v[1:4]
	s_waitcnt lgkmcnt(0)
	s_barrier
	buffer_gl0_inv
	v_cmpx_gt_u32_e32 43, v140
	s_cbranch_execz .LBB112_187
; %bb.184:
	v_dual_mov_b32 v1, 0 :: v_dual_add_nc_u32 v8, 0x310, v13
	v_dual_mov_b32 v2, 0 :: v_dual_add_nc_u32 v7, -1, v140
	v_or_b32_e32 v9, 8, v14
	s_mov_b32 s3, 0
	s_delay_alu instid0(VALU_DEP_2)
	v_dual_mov_b32 v4, v2 :: v_dual_mov_b32 v3, v1
	.p2align	6
.LBB112_185:                            ; =>This Inner Loop Header: Depth=1
	scratch_load_b128 v[15:18], v9, off offset:-8
	ds_load_b128 v[19:22], v8
	v_add_nc_u32_e32 v7, 1, v7
	v_add_nc_u32_e32 v8, 16, v8
	;; [unrolled: 1-line block ×3, first 2 shown]
	s_delay_alu instid0(VALU_DEP_3) | instskip(SKIP_4) | instid1(VALU_DEP_2)
	v_cmp_lt_u32_e32 vcc_lo, 41, v7
	s_or_b32 s3, vcc_lo, s3
	s_waitcnt vmcnt(0) lgkmcnt(0)
	v_mul_f64 v[10:11], v[21:22], v[17:18]
	v_mul_f64 v[17:18], v[19:20], v[17:18]
	v_fma_f64 v[10:11], v[19:20], v[15:16], -v[10:11]
	s_delay_alu instid0(VALU_DEP_2) | instskip(NEXT) | instid1(VALU_DEP_2)
	v_fma_f64 v[15:16], v[21:22], v[15:16], v[17:18]
	v_add_f64 v[3:4], v[3:4], v[10:11]
	s_delay_alu instid0(VALU_DEP_2)
	v_add_f64 v[1:2], v[1:2], v[15:16]
	s_and_not1_b32 exec_lo, exec_lo, s3
	s_cbranch_execnz .LBB112_185
; %bb.186:
	s_or_b32 exec_lo, exec_lo, s3
	v_mov_b32_e32 v7, 0
	ds_load_b128 v[7:10], v7 offset:688
	s_waitcnt lgkmcnt(0)
	v_mul_f64 v[11:12], v[1:2], v[9:10]
	v_mul_f64 v[15:16], v[3:4], v[9:10]
	s_delay_alu instid0(VALU_DEP_2) | instskip(NEXT) | instid1(VALU_DEP_2)
	v_fma_f64 v[9:10], v[3:4], v[7:8], -v[11:12]
	v_fma_f64 v[11:12], v[1:2], v[7:8], v[15:16]
	scratch_store_b128 off, v[9:12], off offset:688
.LBB112_187:
	s_or_b32 exec_lo, exec_lo, s2
	s_waitcnt_vscnt null, 0x0
	s_barrier
	buffer_gl0_inv
	scratch_load_b128 v[1:4], v146, off
	s_mov_b32 s2, exec_lo
	s_waitcnt vmcnt(0)
	ds_store_b128 v5, v[1:4]
	s_waitcnt lgkmcnt(0)
	s_barrier
	buffer_gl0_inv
	v_cmpx_gt_u32_e32 44, v140
	s_cbranch_execz .LBB112_191
; %bb.188:
	v_dual_mov_b32 v1, 0 :: v_dual_add_nc_u32 v8, 0x310, v13
	v_dual_mov_b32 v2, 0 :: v_dual_add_nc_u32 v7, -1, v140
	v_or_b32_e32 v9, 8, v14
	s_mov_b32 s3, 0
	s_delay_alu instid0(VALU_DEP_2)
	v_dual_mov_b32 v4, v2 :: v_dual_mov_b32 v3, v1
	.p2align	6
.LBB112_189:                            ; =>This Inner Loop Header: Depth=1
	scratch_load_b128 v[15:18], v9, off offset:-8
	ds_load_b128 v[19:22], v8
	v_add_nc_u32_e32 v7, 1, v7
	v_add_nc_u32_e32 v8, 16, v8
	;; [unrolled: 1-line block ×3, first 2 shown]
	s_delay_alu instid0(VALU_DEP_3) | instskip(SKIP_4) | instid1(VALU_DEP_2)
	v_cmp_lt_u32_e32 vcc_lo, 42, v7
	s_or_b32 s3, vcc_lo, s3
	s_waitcnt vmcnt(0) lgkmcnt(0)
	v_mul_f64 v[10:11], v[21:22], v[17:18]
	v_mul_f64 v[17:18], v[19:20], v[17:18]
	v_fma_f64 v[10:11], v[19:20], v[15:16], -v[10:11]
	s_delay_alu instid0(VALU_DEP_2) | instskip(NEXT) | instid1(VALU_DEP_2)
	v_fma_f64 v[15:16], v[21:22], v[15:16], v[17:18]
	v_add_f64 v[3:4], v[3:4], v[10:11]
	s_delay_alu instid0(VALU_DEP_2)
	v_add_f64 v[1:2], v[1:2], v[15:16]
	s_and_not1_b32 exec_lo, exec_lo, s3
	s_cbranch_execnz .LBB112_189
; %bb.190:
	s_or_b32 exec_lo, exec_lo, s3
	v_mov_b32_e32 v7, 0
	ds_load_b128 v[7:10], v7 offset:704
	s_waitcnt lgkmcnt(0)
	v_mul_f64 v[11:12], v[1:2], v[9:10]
	v_mul_f64 v[15:16], v[3:4], v[9:10]
	s_delay_alu instid0(VALU_DEP_2) | instskip(NEXT) | instid1(VALU_DEP_2)
	v_fma_f64 v[9:10], v[3:4], v[7:8], -v[11:12]
	v_fma_f64 v[11:12], v[1:2], v[7:8], v[15:16]
	scratch_store_b128 off, v[9:12], off offset:704
.LBB112_191:
	s_or_b32 exec_lo, exec_lo, s2
	s_waitcnt_vscnt null, 0x0
	s_barrier
	buffer_gl0_inv
	scratch_load_b128 v[1:4], v145, off
	s_mov_b32 s2, exec_lo
	s_waitcnt vmcnt(0)
	ds_store_b128 v5, v[1:4]
	s_waitcnt lgkmcnt(0)
	s_barrier
	buffer_gl0_inv
	v_cmpx_gt_u32_e32 45, v140
	s_cbranch_execz .LBB112_195
; %bb.192:
	v_dual_mov_b32 v1, 0 :: v_dual_add_nc_u32 v8, 0x310, v13
	v_dual_mov_b32 v2, 0 :: v_dual_add_nc_u32 v7, -1, v140
	v_or_b32_e32 v9, 8, v14
	s_mov_b32 s3, 0
	s_delay_alu instid0(VALU_DEP_2)
	v_dual_mov_b32 v4, v2 :: v_dual_mov_b32 v3, v1
	.p2align	6
.LBB112_193:                            ; =>This Inner Loop Header: Depth=1
	scratch_load_b128 v[15:18], v9, off offset:-8
	ds_load_b128 v[19:22], v8
	v_add_nc_u32_e32 v7, 1, v7
	v_add_nc_u32_e32 v8, 16, v8
	v_add_nc_u32_e32 v9, 16, v9
	s_delay_alu instid0(VALU_DEP_3) | instskip(SKIP_4) | instid1(VALU_DEP_2)
	v_cmp_lt_u32_e32 vcc_lo, 43, v7
	s_or_b32 s3, vcc_lo, s3
	s_waitcnt vmcnt(0) lgkmcnt(0)
	v_mul_f64 v[10:11], v[21:22], v[17:18]
	v_mul_f64 v[17:18], v[19:20], v[17:18]
	v_fma_f64 v[10:11], v[19:20], v[15:16], -v[10:11]
	s_delay_alu instid0(VALU_DEP_2) | instskip(NEXT) | instid1(VALU_DEP_2)
	v_fma_f64 v[15:16], v[21:22], v[15:16], v[17:18]
	v_add_f64 v[3:4], v[3:4], v[10:11]
	s_delay_alu instid0(VALU_DEP_2)
	v_add_f64 v[1:2], v[1:2], v[15:16]
	s_and_not1_b32 exec_lo, exec_lo, s3
	s_cbranch_execnz .LBB112_193
; %bb.194:
	s_or_b32 exec_lo, exec_lo, s3
	v_mov_b32_e32 v7, 0
	ds_load_b128 v[7:10], v7 offset:720
	s_waitcnt lgkmcnt(0)
	v_mul_f64 v[11:12], v[1:2], v[9:10]
	v_mul_f64 v[15:16], v[3:4], v[9:10]
	s_delay_alu instid0(VALU_DEP_2) | instskip(NEXT) | instid1(VALU_DEP_2)
	v_fma_f64 v[9:10], v[3:4], v[7:8], -v[11:12]
	v_fma_f64 v[11:12], v[1:2], v[7:8], v[15:16]
	scratch_store_b128 off, v[9:12], off offset:720
.LBB112_195:
	s_or_b32 exec_lo, exec_lo, s2
	s_waitcnt_vscnt null, 0x0
	s_barrier
	buffer_gl0_inv
	scratch_load_b128 v[1:4], v144, off
	s_mov_b32 s2, exec_lo
	s_waitcnt vmcnt(0)
	ds_store_b128 v5, v[1:4]
	s_waitcnt lgkmcnt(0)
	s_barrier
	buffer_gl0_inv
	v_cmpx_gt_u32_e32 46, v140
	s_cbranch_execz .LBB112_199
; %bb.196:
	v_dual_mov_b32 v1, 0 :: v_dual_add_nc_u32 v8, 0x310, v13
	v_dual_mov_b32 v2, 0 :: v_dual_add_nc_u32 v7, -1, v140
	v_or_b32_e32 v9, 8, v14
	s_mov_b32 s3, 0
	s_delay_alu instid0(VALU_DEP_2)
	v_dual_mov_b32 v4, v2 :: v_dual_mov_b32 v3, v1
	.p2align	6
.LBB112_197:                            ; =>This Inner Loop Header: Depth=1
	scratch_load_b128 v[15:18], v9, off offset:-8
	ds_load_b128 v[19:22], v8
	v_add_nc_u32_e32 v7, 1, v7
	v_add_nc_u32_e32 v8, 16, v8
	;; [unrolled: 1-line block ×3, first 2 shown]
	s_delay_alu instid0(VALU_DEP_3) | instskip(SKIP_4) | instid1(VALU_DEP_2)
	v_cmp_lt_u32_e32 vcc_lo, 44, v7
	s_or_b32 s3, vcc_lo, s3
	s_waitcnt vmcnt(0) lgkmcnt(0)
	v_mul_f64 v[10:11], v[21:22], v[17:18]
	v_mul_f64 v[17:18], v[19:20], v[17:18]
	v_fma_f64 v[10:11], v[19:20], v[15:16], -v[10:11]
	s_delay_alu instid0(VALU_DEP_2) | instskip(NEXT) | instid1(VALU_DEP_2)
	v_fma_f64 v[15:16], v[21:22], v[15:16], v[17:18]
	v_add_f64 v[3:4], v[3:4], v[10:11]
	s_delay_alu instid0(VALU_DEP_2)
	v_add_f64 v[1:2], v[1:2], v[15:16]
	s_and_not1_b32 exec_lo, exec_lo, s3
	s_cbranch_execnz .LBB112_197
; %bb.198:
	s_or_b32 exec_lo, exec_lo, s3
	v_mov_b32_e32 v7, 0
	ds_load_b128 v[7:10], v7 offset:736
	s_waitcnt lgkmcnt(0)
	v_mul_f64 v[11:12], v[1:2], v[9:10]
	v_mul_f64 v[15:16], v[3:4], v[9:10]
	s_delay_alu instid0(VALU_DEP_2) | instskip(NEXT) | instid1(VALU_DEP_2)
	v_fma_f64 v[9:10], v[3:4], v[7:8], -v[11:12]
	v_fma_f64 v[11:12], v[1:2], v[7:8], v[15:16]
	scratch_store_b128 off, v[9:12], off offset:736
.LBB112_199:
	s_or_b32 exec_lo, exec_lo, s2
	s_waitcnt_vscnt null, 0x0
	s_barrier
	buffer_gl0_inv
	scratch_load_b128 v[1:4], v143, off
	s_mov_b32 s2, exec_lo
	s_waitcnt vmcnt(0)
	ds_store_b128 v5, v[1:4]
	s_waitcnt lgkmcnt(0)
	s_barrier
	buffer_gl0_inv
	v_cmpx_gt_u32_e32 47, v140
	s_cbranch_execz .LBB112_203
; %bb.200:
	v_dual_mov_b32 v1, 0 :: v_dual_add_nc_u32 v8, 0x310, v13
	v_dual_mov_b32 v2, 0 :: v_dual_add_nc_u32 v7, -1, v140
	v_or_b32_e32 v9, 8, v14
	s_mov_b32 s3, 0
	s_delay_alu instid0(VALU_DEP_2)
	v_dual_mov_b32 v4, v2 :: v_dual_mov_b32 v3, v1
	.p2align	6
.LBB112_201:                            ; =>This Inner Loop Header: Depth=1
	scratch_load_b128 v[10:13], v9, off offset:-8
	ds_load_b128 v[15:18], v8
	v_add_nc_u32_e32 v7, 1, v7
	v_add_nc_u32_e32 v8, 16, v8
	;; [unrolled: 1-line block ×3, first 2 shown]
	s_delay_alu instid0(VALU_DEP_3) | instskip(SKIP_4) | instid1(VALU_DEP_2)
	v_cmp_lt_u32_e32 vcc_lo, 45, v7
	s_or_b32 s3, vcc_lo, s3
	s_waitcnt vmcnt(0) lgkmcnt(0)
	v_mul_f64 v[19:20], v[17:18], v[12:13]
	v_mul_f64 v[12:13], v[15:16], v[12:13]
	v_fma_f64 v[15:16], v[15:16], v[10:11], -v[19:20]
	s_delay_alu instid0(VALU_DEP_2) | instskip(NEXT) | instid1(VALU_DEP_2)
	v_fma_f64 v[10:11], v[17:18], v[10:11], v[12:13]
	v_add_f64 v[3:4], v[3:4], v[15:16]
	s_delay_alu instid0(VALU_DEP_2)
	v_add_f64 v[1:2], v[1:2], v[10:11]
	s_and_not1_b32 exec_lo, exec_lo, s3
	s_cbranch_execnz .LBB112_201
; %bb.202:
	s_or_b32 exec_lo, exec_lo, s3
	v_mov_b32_e32 v7, 0
	ds_load_b128 v[7:10], v7 offset:752
	s_waitcnt lgkmcnt(0)
	v_mul_f64 v[11:12], v[1:2], v[9:10]
	v_mul_f64 v[15:16], v[3:4], v[9:10]
	s_delay_alu instid0(VALU_DEP_2) | instskip(NEXT) | instid1(VALU_DEP_2)
	v_fma_f64 v[9:10], v[3:4], v[7:8], -v[11:12]
	v_fma_f64 v[11:12], v[1:2], v[7:8], v[15:16]
	scratch_store_b128 off, v[9:12], off offset:752
.LBB112_203:
	s_or_b32 exec_lo, exec_lo, s2
	s_waitcnt_vscnt null, 0x0
	s_barrier
	buffer_gl0_inv
	scratch_load_b128 v[1:4], v142, off
	s_mov_b32 s2, exec_lo
	s_waitcnt vmcnt(0)
	ds_store_b128 v5, v[1:4]
	s_waitcnt lgkmcnt(0)
	s_barrier
	buffer_gl0_inv
	v_cmpx_ne_u32_e32 48, v140
	s_cbranch_execz .LBB112_207
; %bb.204:
	v_mov_b32_e32 v1, 0
	v_mov_b32_e32 v2, 0
	v_or_b32_e32 v7, 8, v14
	s_mov_b32 s3, 0
	s_delay_alu instid0(VALU_DEP_2)
	v_dual_mov_b32 v4, v2 :: v_dual_mov_b32 v3, v1
	.p2align	6
.LBB112_205:                            ; =>This Inner Loop Header: Depth=1
	scratch_load_b128 v[8:11], v7, off offset:-8
	ds_load_b128 v[12:15], v5
	v_add_nc_u32_e32 v6, 1, v6
	v_add_nc_u32_e32 v5, 16, v5
	;; [unrolled: 1-line block ×3, first 2 shown]
	s_delay_alu instid0(VALU_DEP_3) | instskip(SKIP_4) | instid1(VALU_DEP_2)
	v_cmp_lt_u32_e32 vcc_lo, 46, v6
	s_or_b32 s3, vcc_lo, s3
	s_waitcnt vmcnt(0) lgkmcnt(0)
	v_mul_f64 v[16:17], v[14:15], v[10:11]
	v_mul_f64 v[10:11], v[12:13], v[10:11]
	v_fma_f64 v[12:13], v[12:13], v[8:9], -v[16:17]
	s_delay_alu instid0(VALU_DEP_2) | instskip(NEXT) | instid1(VALU_DEP_2)
	v_fma_f64 v[8:9], v[14:15], v[8:9], v[10:11]
	v_add_f64 v[3:4], v[3:4], v[12:13]
	s_delay_alu instid0(VALU_DEP_2)
	v_add_f64 v[1:2], v[1:2], v[8:9]
	s_and_not1_b32 exec_lo, exec_lo, s3
	s_cbranch_execnz .LBB112_205
; %bb.206:
	s_or_b32 exec_lo, exec_lo, s3
	v_mov_b32_e32 v5, 0
	ds_load_b128 v[5:8], v5 offset:768
	s_waitcnt lgkmcnt(0)
	v_mul_f64 v[9:10], v[1:2], v[7:8]
	v_mul_f64 v[7:8], v[3:4], v[7:8]
	s_delay_alu instid0(VALU_DEP_2) | instskip(NEXT) | instid1(VALU_DEP_2)
	v_fma_f64 v[3:4], v[3:4], v[5:6], -v[9:10]
	v_fma_f64 v[5:6], v[1:2], v[5:6], v[7:8]
	scratch_store_b128 off, v[3:6], off offset:768
.LBB112_207:
	s_or_b32 exec_lo, exec_lo, s2
	s_mov_b32 s3, -1
	s_waitcnt_vscnt null, 0x0
	s_barrier
	buffer_gl0_inv
.LBB112_208:
	s_and_b32 vcc_lo, exec_lo, s3
	s_cbranch_vccz .LBB112_210
; %bb.209:
	s_lshl_b64 s[2:3], s[10:11], 2
	v_mov_b32_e32 v1, 0
	s_add_u32 s2, s6, s2
	s_addc_u32 s3, s7, s3
	global_load_b32 v1, v1, s[2:3]
	s_waitcnt vmcnt(0)
	v_cmp_ne_u32_e32 vcc_lo, 0, v1
	s_cbranch_vccz .LBB112_211
.LBB112_210:
	s_endpgm
.LBB112_211:
	v_lshl_add_u32 v189, v140, 4, 0x310
	s_mov_b32 s2, exec_lo
	v_cmpx_eq_u32_e32 48, v140
	s_cbranch_execz .LBB112_213
; %bb.212:
	scratch_load_b128 v[1:4], v143, off
	v_mov_b32_e32 v5, 0
	s_delay_alu instid0(VALU_DEP_1)
	v_mov_b32_e32 v6, v5
	v_mov_b32_e32 v7, v5
	;; [unrolled: 1-line block ×3, first 2 shown]
	scratch_store_b128 off, v[5:8], off offset:752
	s_waitcnt vmcnt(0)
	ds_store_b128 v189, v[1:4]
.LBB112_213:
	s_or_b32 exec_lo, exec_lo, s2
	s_waitcnt lgkmcnt(0)
	s_waitcnt_vscnt null, 0x0
	s_barrier
	buffer_gl0_inv
	s_clause 0x1
	scratch_load_b128 v[2:5], off, off offset:768
	scratch_load_b128 v[6:9], off, off offset:752
	v_mov_b32_e32 v1, 0
	s_mov_b32 s2, exec_lo
	ds_load_b128 v[10:13], v1 offset:1552
	s_waitcnt vmcnt(1) lgkmcnt(0)
	v_mul_f64 v[14:15], v[12:13], v[4:5]
	v_mul_f64 v[4:5], v[10:11], v[4:5]
	s_delay_alu instid0(VALU_DEP_2) | instskip(NEXT) | instid1(VALU_DEP_2)
	v_fma_f64 v[10:11], v[10:11], v[2:3], -v[14:15]
	v_fma_f64 v[2:3], v[12:13], v[2:3], v[4:5]
	s_delay_alu instid0(VALU_DEP_2) | instskip(NEXT) | instid1(VALU_DEP_2)
	v_add_f64 v[4:5], v[10:11], 0
	v_add_f64 v[10:11], v[2:3], 0
	s_waitcnt vmcnt(0)
	s_delay_alu instid0(VALU_DEP_2) | instskip(NEXT) | instid1(VALU_DEP_2)
	v_add_f64 v[2:3], v[6:7], -v[4:5]
	v_add_f64 v[4:5], v[8:9], -v[10:11]
	scratch_store_b128 off, v[2:5], off offset:752
	v_cmpx_lt_u32_e32 46, v140
	s_cbranch_execz .LBB112_215
; %bb.214:
	scratch_load_b128 v[5:8], v144, off
	v_mov_b32_e32 v2, v1
	v_mov_b32_e32 v3, v1
	;; [unrolled: 1-line block ×3, first 2 shown]
	scratch_store_b128 off, v[1:4], off offset:736
	s_waitcnt vmcnt(0)
	ds_store_b128 v189, v[5:8]
.LBB112_215:
	s_or_b32 exec_lo, exec_lo, s2
	s_waitcnt lgkmcnt(0)
	s_waitcnt_vscnt null, 0x0
	s_barrier
	buffer_gl0_inv
	s_clause 0x2
	scratch_load_b128 v[2:5], off, off offset:752
	scratch_load_b128 v[6:9], off, off offset:768
	;; [unrolled: 1-line block ×3, first 2 shown]
	ds_load_b128 v[14:17], v1 offset:1536
	ds_load_b128 v[18:21], v1 offset:1552
	s_mov_b32 s2, exec_lo
	s_waitcnt vmcnt(2) lgkmcnt(1)
	v_mul_f64 v[22:23], v[16:17], v[4:5]
	v_mul_f64 v[4:5], v[14:15], v[4:5]
	s_waitcnt vmcnt(1) lgkmcnt(0)
	v_mul_f64 v[24:25], v[18:19], v[8:9]
	v_mul_f64 v[8:9], v[20:21], v[8:9]
	s_delay_alu instid0(VALU_DEP_4) | instskip(NEXT) | instid1(VALU_DEP_4)
	v_fma_f64 v[14:15], v[14:15], v[2:3], -v[22:23]
	v_fma_f64 v[1:2], v[16:17], v[2:3], v[4:5]
	s_delay_alu instid0(VALU_DEP_4) | instskip(NEXT) | instid1(VALU_DEP_4)
	v_fma_f64 v[3:4], v[20:21], v[6:7], v[24:25]
	v_fma_f64 v[5:6], v[18:19], v[6:7], -v[8:9]
	s_delay_alu instid0(VALU_DEP_4) | instskip(NEXT) | instid1(VALU_DEP_4)
	v_add_f64 v[7:8], v[14:15], 0
	v_add_f64 v[1:2], v[1:2], 0
	s_delay_alu instid0(VALU_DEP_2) | instskip(NEXT) | instid1(VALU_DEP_2)
	v_add_f64 v[5:6], v[7:8], v[5:6]
	v_add_f64 v[3:4], v[1:2], v[3:4]
	s_waitcnt vmcnt(0)
	s_delay_alu instid0(VALU_DEP_2) | instskip(NEXT) | instid1(VALU_DEP_2)
	v_add_f64 v[1:2], v[10:11], -v[5:6]
	v_add_f64 v[3:4], v[12:13], -v[3:4]
	scratch_store_b128 off, v[1:4], off offset:736
	v_cmpx_lt_u32_e32 45, v140
	s_cbranch_execz .LBB112_217
; %bb.216:
	scratch_load_b128 v[1:4], v145, off
	v_mov_b32_e32 v5, 0
	s_delay_alu instid0(VALU_DEP_1)
	v_mov_b32_e32 v6, v5
	v_mov_b32_e32 v7, v5
	;; [unrolled: 1-line block ×3, first 2 shown]
	scratch_store_b128 off, v[5:8], off offset:720
	s_waitcnt vmcnt(0)
	ds_store_b128 v189, v[1:4]
.LBB112_217:
	s_or_b32 exec_lo, exec_lo, s2
	s_waitcnt lgkmcnt(0)
	s_waitcnt_vscnt null, 0x0
	s_barrier
	buffer_gl0_inv
	s_clause 0x3
	scratch_load_b128 v[2:5], off, off offset:736
	scratch_load_b128 v[6:9], off, off offset:752
	;; [unrolled: 1-line block ×4, first 2 shown]
	v_mov_b32_e32 v1, 0
	ds_load_b128 v[18:21], v1 offset:1520
	ds_load_b128 v[22:25], v1 offset:1536
	s_mov_b32 s2, exec_lo
	s_waitcnt vmcnt(3) lgkmcnt(1)
	v_mul_f64 v[26:27], v[20:21], v[4:5]
	v_mul_f64 v[4:5], v[18:19], v[4:5]
	s_waitcnt vmcnt(2) lgkmcnt(0)
	v_mul_f64 v[28:29], v[22:23], v[8:9]
	v_mul_f64 v[8:9], v[24:25], v[8:9]
	s_delay_alu instid0(VALU_DEP_4) | instskip(NEXT) | instid1(VALU_DEP_4)
	v_fma_f64 v[18:19], v[18:19], v[2:3], -v[26:27]
	v_fma_f64 v[20:21], v[20:21], v[2:3], v[4:5]
	ds_load_b128 v[2:5], v1 offset:1552
	v_fma_f64 v[24:25], v[24:25], v[6:7], v[28:29]
	v_fma_f64 v[6:7], v[22:23], v[6:7], -v[8:9]
	s_waitcnt vmcnt(1) lgkmcnt(0)
	v_mul_f64 v[26:27], v[2:3], v[12:13]
	v_mul_f64 v[12:13], v[4:5], v[12:13]
	v_add_f64 v[8:9], v[18:19], 0
	v_add_f64 v[18:19], v[20:21], 0
	s_delay_alu instid0(VALU_DEP_4) | instskip(NEXT) | instid1(VALU_DEP_4)
	v_fma_f64 v[4:5], v[4:5], v[10:11], v[26:27]
	v_fma_f64 v[2:3], v[2:3], v[10:11], -v[12:13]
	s_delay_alu instid0(VALU_DEP_4) | instskip(NEXT) | instid1(VALU_DEP_4)
	v_add_f64 v[6:7], v[8:9], v[6:7]
	v_add_f64 v[8:9], v[18:19], v[24:25]
	s_delay_alu instid0(VALU_DEP_2) | instskip(NEXT) | instid1(VALU_DEP_2)
	v_add_f64 v[2:3], v[6:7], v[2:3]
	v_add_f64 v[4:5], v[8:9], v[4:5]
	s_waitcnt vmcnt(0)
	s_delay_alu instid0(VALU_DEP_2) | instskip(NEXT) | instid1(VALU_DEP_2)
	v_add_f64 v[2:3], v[14:15], -v[2:3]
	v_add_f64 v[4:5], v[16:17], -v[4:5]
	scratch_store_b128 off, v[2:5], off offset:720
	v_cmpx_lt_u32_e32 44, v140
	s_cbranch_execz .LBB112_219
; %bb.218:
	scratch_load_b128 v[5:8], v146, off
	v_mov_b32_e32 v2, v1
	v_mov_b32_e32 v3, v1
	;; [unrolled: 1-line block ×3, first 2 shown]
	scratch_store_b128 off, v[1:4], off offset:704
	s_waitcnt vmcnt(0)
	ds_store_b128 v189, v[5:8]
.LBB112_219:
	s_or_b32 exec_lo, exec_lo, s2
	s_waitcnt lgkmcnt(0)
	s_waitcnt_vscnt null, 0x0
	s_barrier
	buffer_gl0_inv
	s_clause 0x4
	scratch_load_b128 v[2:5], off, off offset:720
	scratch_load_b128 v[6:9], off, off offset:736
	scratch_load_b128 v[10:13], off, off offset:752
	scratch_load_b128 v[14:17], off, off offset:768
	scratch_load_b128 v[18:21], off, off offset:704
	ds_load_b128 v[22:25], v1 offset:1504
	ds_load_b128 v[26:29], v1 offset:1520
	s_mov_b32 s2, exec_lo
	s_waitcnt vmcnt(4) lgkmcnt(1)
	v_mul_f64 v[30:31], v[24:25], v[4:5]
	v_mul_f64 v[4:5], v[22:23], v[4:5]
	s_waitcnt vmcnt(3) lgkmcnt(0)
	v_mul_f64 v[32:33], v[26:27], v[8:9]
	v_mul_f64 v[8:9], v[28:29], v[8:9]
	s_delay_alu instid0(VALU_DEP_4) | instskip(NEXT) | instid1(VALU_DEP_4)
	v_fma_f64 v[30:31], v[22:23], v[2:3], -v[30:31]
	v_fma_f64 v[34:35], v[24:25], v[2:3], v[4:5]
	ds_load_b128 v[2:5], v1 offset:1536
	ds_load_b128 v[22:25], v1 offset:1552
	v_fma_f64 v[28:29], v[28:29], v[6:7], v[32:33]
	v_fma_f64 v[6:7], v[26:27], v[6:7], -v[8:9]
	s_waitcnt vmcnt(2) lgkmcnt(1)
	v_mul_f64 v[36:37], v[2:3], v[12:13]
	v_mul_f64 v[12:13], v[4:5], v[12:13]
	v_add_f64 v[8:9], v[30:31], 0
	v_add_f64 v[26:27], v[34:35], 0
	s_waitcnt vmcnt(1) lgkmcnt(0)
	v_mul_f64 v[30:31], v[22:23], v[16:17]
	v_mul_f64 v[16:17], v[24:25], v[16:17]
	v_fma_f64 v[4:5], v[4:5], v[10:11], v[36:37]
	v_fma_f64 v[1:2], v[2:3], v[10:11], -v[12:13]
	v_add_f64 v[6:7], v[8:9], v[6:7]
	v_add_f64 v[8:9], v[26:27], v[28:29]
	v_fma_f64 v[10:11], v[24:25], v[14:15], v[30:31]
	v_fma_f64 v[12:13], v[22:23], v[14:15], -v[16:17]
	s_delay_alu instid0(VALU_DEP_4) | instskip(NEXT) | instid1(VALU_DEP_4)
	v_add_f64 v[1:2], v[6:7], v[1:2]
	v_add_f64 v[3:4], v[8:9], v[4:5]
	s_delay_alu instid0(VALU_DEP_2) | instskip(NEXT) | instid1(VALU_DEP_2)
	v_add_f64 v[1:2], v[1:2], v[12:13]
	v_add_f64 v[3:4], v[3:4], v[10:11]
	s_waitcnt vmcnt(0)
	s_delay_alu instid0(VALU_DEP_2) | instskip(NEXT) | instid1(VALU_DEP_2)
	v_add_f64 v[1:2], v[18:19], -v[1:2]
	v_add_f64 v[3:4], v[20:21], -v[3:4]
	scratch_store_b128 off, v[1:4], off offset:704
	v_cmpx_lt_u32_e32 43, v140
	s_cbranch_execz .LBB112_221
; %bb.220:
	scratch_load_b128 v[1:4], v147, off
	v_mov_b32_e32 v5, 0
	s_delay_alu instid0(VALU_DEP_1)
	v_mov_b32_e32 v6, v5
	v_mov_b32_e32 v7, v5
	v_mov_b32_e32 v8, v5
	scratch_store_b128 off, v[5:8], off offset:688
	s_waitcnt vmcnt(0)
	ds_store_b128 v189, v[1:4]
.LBB112_221:
	s_or_b32 exec_lo, exec_lo, s2
	s_waitcnt lgkmcnt(0)
	s_waitcnt_vscnt null, 0x0
	s_barrier
	buffer_gl0_inv
	s_clause 0x5
	scratch_load_b128 v[2:5], off, off offset:704
	scratch_load_b128 v[6:9], off, off offset:720
	;; [unrolled: 1-line block ×6, first 2 shown]
	v_mov_b32_e32 v1, 0
	ds_load_b128 v[26:29], v1 offset:1488
	ds_load_b128 v[30:33], v1 offset:1504
	s_mov_b32 s2, exec_lo
	s_waitcnt vmcnt(5) lgkmcnt(1)
	v_mul_f64 v[34:35], v[28:29], v[4:5]
	v_mul_f64 v[4:5], v[26:27], v[4:5]
	s_waitcnt vmcnt(4) lgkmcnt(0)
	v_mul_f64 v[36:37], v[30:31], v[8:9]
	v_mul_f64 v[8:9], v[32:33], v[8:9]
	s_delay_alu instid0(VALU_DEP_4) | instskip(NEXT) | instid1(VALU_DEP_4)
	v_fma_f64 v[34:35], v[26:27], v[2:3], -v[34:35]
	v_fma_f64 v[38:39], v[28:29], v[2:3], v[4:5]
	ds_load_b128 v[2:5], v1 offset:1520
	ds_load_b128 v[26:29], v1 offset:1536
	v_fma_f64 v[32:33], v[32:33], v[6:7], v[36:37]
	v_fma_f64 v[6:7], v[30:31], v[6:7], -v[8:9]
	s_waitcnt vmcnt(3) lgkmcnt(1)
	v_mul_f64 v[40:41], v[2:3], v[12:13]
	v_mul_f64 v[12:13], v[4:5], v[12:13]
	v_add_f64 v[8:9], v[34:35], 0
	v_add_f64 v[30:31], v[38:39], 0
	s_waitcnt vmcnt(2) lgkmcnt(0)
	v_mul_f64 v[34:35], v[26:27], v[16:17]
	v_mul_f64 v[16:17], v[28:29], v[16:17]
	v_fma_f64 v[36:37], v[4:5], v[10:11], v[40:41]
	v_fma_f64 v[10:11], v[2:3], v[10:11], -v[12:13]
	ds_load_b128 v[2:5], v1 offset:1552
	v_add_f64 v[6:7], v[8:9], v[6:7]
	v_add_f64 v[8:9], v[30:31], v[32:33]
	v_fma_f64 v[28:29], v[28:29], v[14:15], v[34:35]
	v_fma_f64 v[14:15], v[26:27], v[14:15], -v[16:17]
	s_waitcnt vmcnt(1) lgkmcnt(0)
	v_mul_f64 v[12:13], v[2:3], v[20:21]
	v_mul_f64 v[20:21], v[4:5], v[20:21]
	v_add_f64 v[6:7], v[6:7], v[10:11]
	v_add_f64 v[8:9], v[8:9], v[36:37]
	s_delay_alu instid0(VALU_DEP_4) | instskip(NEXT) | instid1(VALU_DEP_4)
	v_fma_f64 v[4:5], v[4:5], v[18:19], v[12:13]
	v_fma_f64 v[2:3], v[2:3], v[18:19], -v[20:21]
	s_delay_alu instid0(VALU_DEP_4) | instskip(NEXT) | instid1(VALU_DEP_4)
	v_add_f64 v[6:7], v[6:7], v[14:15]
	v_add_f64 v[8:9], v[8:9], v[28:29]
	s_delay_alu instid0(VALU_DEP_2) | instskip(NEXT) | instid1(VALU_DEP_2)
	v_add_f64 v[2:3], v[6:7], v[2:3]
	v_add_f64 v[4:5], v[8:9], v[4:5]
	s_waitcnt vmcnt(0)
	s_delay_alu instid0(VALU_DEP_2) | instskip(NEXT) | instid1(VALU_DEP_2)
	v_add_f64 v[2:3], v[22:23], -v[2:3]
	v_add_f64 v[4:5], v[24:25], -v[4:5]
	scratch_store_b128 off, v[2:5], off offset:688
	v_cmpx_lt_u32_e32 42, v140
	s_cbranch_execz .LBB112_223
; %bb.222:
	scratch_load_b128 v[5:8], v150, off
	v_mov_b32_e32 v2, v1
	v_mov_b32_e32 v3, v1
	;; [unrolled: 1-line block ×3, first 2 shown]
	scratch_store_b128 off, v[1:4], off offset:672
	s_waitcnt vmcnt(0)
	ds_store_b128 v189, v[5:8]
.LBB112_223:
	s_or_b32 exec_lo, exec_lo, s2
	s_waitcnt lgkmcnt(0)
	s_waitcnt_vscnt null, 0x0
	s_barrier
	buffer_gl0_inv
	s_clause 0x5
	scratch_load_b128 v[2:5], off, off offset:688
	scratch_load_b128 v[6:9], off, off offset:704
	;; [unrolled: 1-line block ×6, first 2 shown]
	ds_load_b128 v[26:29], v1 offset:1472
	ds_load_b128 v[34:37], v1 offset:1488
	scratch_load_b128 v[30:33], off, off offset:672
	s_mov_b32 s2, exec_lo
	s_waitcnt vmcnt(6) lgkmcnt(1)
	v_mul_f64 v[38:39], v[28:29], v[4:5]
	v_mul_f64 v[4:5], v[26:27], v[4:5]
	s_waitcnt vmcnt(5) lgkmcnt(0)
	v_mul_f64 v[40:41], v[34:35], v[8:9]
	v_mul_f64 v[8:9], v[36:37], v[8:9]
	s_delay_alu instid0(VALU_DEP_4) | instskip(NEXT) | instid1(VALU_DEP_4)
	v_fma_f64 v[38:39], v[26:27], v[2:3], -v[38:39]
	v_fma_f64 v[190:191], v[28:29], v[2:3], v[4:5]
	ds_load_b128 v[2:5], v1 offset:1504
	ds_load_b128 v[26:29], v1 offset:1520
	v_fma_f64 v[36:37], v[36:37], v[6:7], v[40:41]
	v_fma_f64 v[6:7], v[34:35], v[6:7], -v[8:9]
	s_waitcnt vmcnt(4) lgkmcnt(1)
	v_mul_f64 v[192:193], v[2:3], v[12:13]
	v_mul_f64 v[12:13], v[4:5], v[12:13]
	v_add_f64 v[8:9], v[38:39], 0
	v_add_f64 v[34:35], v[190:191], 0
	s_waitcnt vmcnt(3) lgkmcnt(0)
	v_mul_f64 v[38:39], v[26:27], v[16:17]
	v_mul_f64 v[16:17], v[28:29], v[16:17]
	v_fma_f64 v[40:41], v[4:5], v[10:11], v[192:193]
	v_fma_f64 v[10:11], v[2:3], v[10:11], -v[12:13]
	v_add_f64 v[12:13], v[8:9], v[6:7]
	v_add_f64 v[34:35], v[34:35], v[36:37]
	ds_load_b128 v[2:5], v1 offset:1536
	ds_load_b128 v[6:9], v1 offset:1552
	v_fma_f64 v[28:29], v[28:29], v[14:15], v[38:39]
	v_fma_f64 v[14:15], v[26:27], v[14:15], -v[16:17]
	s_waitcnt vmcnt(2) lgkmcnt(1)
	v_mul_f64 v[36:37], v[2:3], v[20:21]
	v_mul_f64 v[20:21], v[4:5], v[20:21]
	s_waitcnt vmcnt(1) lgkmcnt(0)
	v_mul_f64 v[16:17], v[6:7], v[24:25]
	v_mul_f64 v[24:25], v[8:9], v[24:25]
	v_add_f64 v[10:11], v[12:13], v[10:11]
	v_add_f64 v[12:13], v[34:35], v[40:41]
	v_fma_f64 v[4:5], v[4:5], v[18:19], v[36:37]
	v_fma_f64 v[1:2], v[2:3], v[18:19], -v[20:21]
	v_fma_f64 v[8:9], v[8:9], v[22:23], v[16:17]
	v_fma_f64 v[6:7], v[6:7], v[22:23], -v[24:25]
	v_add_f64 v[10:11], v[10:11], v[14:15]
	v_add_f64 v[12:13], v[12:13], v[28:29]
	s_delay_alu instid0(VALU_DEP_2) | instskip(NEXT) | instid1(VALU_DEP_2)
	v_add_f64 v[1:2], v[10:11], v[1:2]
	v_add_f64 v[3:4], v[12:13], v[4:5]
	s_delay_alu instid0(VALU_DEP_2) | instskip(NEXT) | instid1(VALU_DEP_2)
	v_add_f64 v[1:2], v[1:2], v[6:7]
	v_add_f64 v[3:4], v[3:4], v[8:9]
	s_waitcnt vmcnt(0)
	s_delay_alu instid0(VALU_DEP_2) | instskip(NEXT) | instid1(VALU_DEP_2)
	v_add_f64 v[1:2], v[30:31], -v[1:2]
	v_add_f64 v[3:4], v[32:33], -v[3:4]
	scratch_store_b128 off, v[1:4], off offset:672
	v_cmpx_lt_u32_e32 41, v140
	s_cbranch_execz .LBB112_225
; %bb.224:
	scratch_load_b128 v[1:4], v151, off
	v_mov_b32_e32 v5, 0
	s_delay_alu instid0(VALU_DEP_1)
	v_mov_b32_e32 v6, v5
	v_mov_b32_e32 v7, v5
	;; [unrolled: 1-line block ×3, first 2 shown]
	scratch_store_b128 off, v[5:8], off offset:656
	s_waitcnt vmcnt(0)
	ds_store_b128 v189, v[1:4]
.LBB112_225:
	s_or_b32 exec_lo, exec_lo, s2
	s_waitcnt lgkmcnt(0)
	s_waitcnt_vscnt null, 0x0
	s_barrier
	buffer_gl0_inv
	s_clause 0x6
	scratch_load_b128 v[2:5], off, off offset:672
	scratch_load_b128 v[6:9], off, off offset:688
	;; [unrolled: 1-line block ×7, first 2 shown]
	v_mov_b32_e32 v1, 0
	scratch_load_b128 v[34:37], off, off offset:656
	s_mov_b32 s2, exec_lo
	ds_load_b128 v[30:33], v1 offset:1456
	ds_load_b128 v[38:41], v1 offset:1472
	s_waitcnt vmcnt(7) lgkmcnt(1)
	v_mul_f64 v[190:191], v[32:33], v[4:5]
	v_mul_f64 v[4:5], v[30:31], v[4:5]
	s_waitcnt vmcnt(6) lgkmcnt(0)
	v_mul_f64 v[192:193], v[38:39], v[8:9]
	v_mul_f64 v[8:9], v[40:41], v[8:9]
	s_delay_alu instid0(VALU_DEP_4) | instskip(NEXT) | instid1(VALU_DEP_4)
	v_fma_f64 v[190:191], v[30:31], v[2:3], -v[190:191]
	v_fma_f64 v[194:195], v[32:33], v[2:3], v[4:5]
	ds_load_b128 v[2:5], v1 offset:1488
	ds_load_b128 v[30:33], v1 offset:1504
	v_fma_f64 v[40:41], v[40:41], v[6:7], v[192:193]
	v_fma_f64 v[6:7], v[38:39], v[6:7], -v[8:9]
	s_waitcnt vmcnt(5) lgkmcnt(1)
	v_mul_f64 v[196:197], v[2:3], v[12:13]
	v_mul_f64 v[12:13], v[4:5], v[12:13]
	v_add_f64 v[8:9], v[190:191], 0
	v_add_f64 v[38:39], v[194:195], 0
	s_waitcnt vmcnt(4) lgkmcnt(0)
	v_mul_f64 v[190:191], v[30:31], v[16:17]
	v_mul_f64 v[16:17], v[32:33], v[16:17]
	v_fma_f64 v[192:193], v[4:5], v[10:11], v[196:197]
	v_fma_f64 v[10:11], v[2:3], v[10:11], -v[12:13]
	v_add_f64 v[12:13], v[8:9], v[6:7]
	v_add_f64 v[38:39], v[38:39], v[40:41]
	ds_load_b128 v[2:5], v1 offset:1520
	ds_load_b128 v[6:9], v1 offset:1536
	v_fma_f64 v[32:33], v[32:33], v[14:15], v[190:191]
	v_fma_f64 v[14:15], v[30:31], v[14:15], -v[16:17]
	s_waitcnt vmcnt(3) lgkmcnt(1)
	v_mul_f64 v[40:41], v[2:3], v[20:21]
	v_mul_f64 v[20:21], v[4:5], v[20:21]
	s_waitcnt vmcnt(2) lgkmcnt(0)
	v_mul_f64 v[16:17], v[6:7], v[24:25]
	v_mul_f64 v[24:25], v[8:9], v[24:25]
	v_add_f64 v[10:11], v[12:13], v[10:11]
	v_add_f64 v[12:13], v[38:39], v[192:193]
	v_fma_f64 v[30:31], v[4:5], v[18:19], v[40:41]
	v_fma_f64 v[18:19], v[2:3], v[18:19], -v[20:21]
	ds_load_b128 v[2:5], v1 offset:1552
	v_fma_f64 v[8:9], v[8:9], v[22:23], v[16:17]
	v_fma_f64 v[6:7], v[6:7], v[22:23], -v[24:25]
	v_add_f64 v[10:11], v[10:11], v[14:15]
	v_add_f64 v[12:13], v[12:13], v[32:33]
	s_waitcnt vmcnt(1) lgkmcnt(0)
	v_mul_f64 v[14:15], v[2:3], v[28:29]
	v_mul_f64 v[20:21], v[4:5], v[28:29]
	s_delay_alu instid0(VALU_DEP_4) | instskip(NEXT) | instid1(VALU_DEP_4)
	v_add_f64 v[10:11], v[10:11], v[18:19]
	v_add_f64 v[12:13], v[12:13], v[30:31]
	s_delay_alu instid0(VALU_DEP_4) | instskip(NEXT) | instid1(VALU_DEP_4)
	v_fma_f64 v[4:5], v[4:5], v[26:27], v[14:15]
	v_fma_f64 v[2:3], v[2:3], v[26:27], -v[20:21]
	s_delay_alu instid0(VALU_DEP_4) | instskip(NEXT) | instid1(VALU_DEP_4)
	v_add_f64 v[6:7], v[10:11], v[6:7]
	v_add_f64 v[8:9], v[12:13], v[8:9]
	s_delay_alu instid0(VALU_DEP_2) | instskip(NEXT) | instid1(VALU_DEP_2)
	v_add_f64 v[2:3], v[6:7], v[2:3]
	v_add_f64 v[4:5], v[8:9], v[4:5]
	s_waitcnt vmcnt(0)
	s_delay_alu instid0(VALU_DEP_2) | instskip(NEXT) | instid1(VALU_DEP_2)
	v_add_f64 v[2:3], v[34:35], -v[2:3]
	v_add_f64 v[4:5], v[36:37], -v[4:5]
	scratch_store_b128 off, v[2:5], off offset:656
	v_cmpx_lt_u32_e32 40, v140
	s_cbranch_execz .LBB112_227
; %bb.226:
	scratch_load_b128 v[5:8], v152, off
	v_mov_b32_e32 v2, v1
	v_mov_b32_e32 v3, v1
	;; [unrolled: 1-line block ×3, first 2 shown]
	scratch_store_b128 off, v[1:4], off offset:640
	s_waitcnt vmcnt(0)
	ds_store_b128 v189, v[5:8]
.LBB112_227:
	s_or_b32 exec_lo, exec_lo, s2
	s_waitcnt lgkmcnt(0)
	s_waitcnt_vscnt null, 0x0
	s_barrier
	buffer_gl0_inv
	s_clause 0x7
	scratch_load_b128 v[2:5], off, off offset:656
	scratch_load_b128 v[6:9], off, off offset:672
	;; [unrolled: 1-line block ×8, first 2 shown]
	ds_load_b128 v[34:37], v1 offset:1440
	ds_load_b128 v[38:41], v1 offset:1456
	scratch_load_b128 v[190:193], off, off offset:640
	s_mov_b32 s2, exec_lo
	s_waitcnt vmcnt(8) lgkmcnt(1)
	v_mul_f64 v[194:195], v[36:37], v[4:5]
	v_mul_f64 v[4:5], v[34:35], v[4:5]
	s_waitcnt vmcnt(7) lgkmcnt(0)
	v_mul_f64 v[196:197], v[38:39], v[8:9]
	v_mul_f64 v[8:9], v[40:41], v[8:9]
	s_delay_alu instid0(VALU_DEP_4) | instskip(NEXT) | instid1(VALU_DEP_4)
	v_fma_f64 v[194:195], v[34:35], v[2:3], -v[194:195]
	v_fma_f64 v[198:199], v[36:37], v[2:3], v[4:5]
	ds_load_b128 v[2:5], v1 offset:1472
	ds_load_b128 v[34:37], v1 offset:1488
	v_fma_f64 v[40:41], v[40:41], v[6:7], v[196:197]
	v_fma_f64 v[6:7], v[38:39], v[6:7], -v[8:9]
	s_waitcnt vmcnt(6) lgkmcnt(1)
	v_mul_f64 v[200:201], v[2:3], v[12:13]
	v_mul_f64 v[12:13], v[4:5], v[12:13]
	v_add_f64 v[8:9], v[194:195], 0
	v_add_f64 v[38:39], v[198:199], 0
	s_waitcnt vmcnt(5) lgkmcnt(0)
	v_mul_f64 v[194:195], v[34:35], v[16:17]
	v_mul_f64 v[16:17], v[36:37], v[16:17]
	v_fma_f64 v[196:197], v[4:5], v[10:11], v[200:201]
	v_fma_f64 v[10:11], v[2:3], v[10:11], -v[12:13]
	v_add_f64 v[12:13], v[8:9], v[6:7]
	v_add_f64 v[38:39], v[38:39], v[40:41]
	ds_load_b128 v[2:5], v1 offset:1504
	ds_load_b128 v[6:9], v1 offset:1520
	v_fma_f64 v[36:37], v[36:37], v[14:15], v[194:195]
	v_fma_f64 v[14:15], v[34:35], v[14:15], -v[16:17]
	s_waitcnt vmcnt(4) lgkmcnt(1)
	v_mul_f64 v[40:41], v[2:3], v[20:21]
	v_mul_f64 v[20:21], v[4:5], v[20:21]
	s_waitcnt vmcnt(3) lgkmcnt(0)
	v_mul_f64 v[16:17], v[6:7], v[24:25]
	v_mul_f64 v[24:25], v[8:9], v[24:25]
	v_add_f64 v[10:11], v[12:13], v[10:11]
	v_add_f64 v[12:13], v[38:39], v[196:197]
	v_fma_f64 v[34:35], v[4:5], v[18:19], v[40:41]
	v_fma_f64 v[18:19], v[2:3], v[18:19], -v[20:21]
	v_fma_f64 v[8:9], v[8:9], v[22:23], v[16:17]
	v_fma_f64 v[6:7], v[6:7], v[22:23], -v[24:25]
	v_add_f64 v[14:15], v[10:11], v[14:15]
	v_add_f64 v[20:21], v[12:13], v[36:37]
	ds_load_b128 v[2:5], v1 offset:1536
	ds_load_b128 v[10:13], v1 offset:1552
	s_waitcnt vmcnt(2) lgkmcnt(1)
	v_mul_f64 v[36:37], v[2:3], v[28:29]
	v_mul_f64 v[28:29], v[4:5], v[28:29]
	v_add_f64 v[14:15], v[14:15], v[18:19]
	v_add_f64 v[16:17], v[20:21], v[34:35]
	s_waitcnt vmcnt(1) lgkmcnt(0)
	v_mul_f64 v[18:19], v[10:11], v[32:33]
	v_mul_f64 v[20:21], v[12:13], v[32:33]
	v_fma_f64 v[4:5], v[4:5], v[26:27], v[36:37]
	v_fma_f64 v[1:2], v[2:3], v[26:27], -v[28:29]
	v_add_f64 v[6:7], v[14:15], v[6:7]
	v_add_f64 v[8:9], v[16:17], v[8:9]
	v_fma_f64 v[12:13], v[12:13], v[30:31], v[18:19]
	v_fma_f64 v[10:11], v[10:11], v[30:31], -v[20:21]
	s_delay_alu instid0(VALU_DEP_4) | instskip(NEXT) | instid1(VALU_DEP_4)
	v_add_f64 v[1:2], v[6:7], v[1:2]
	v_add_f64 v[3:4], v[8:9], v[4:5]
	s_delay_alu instid0(VALU_DEP_2) | instskip(NEXT) | instid1(VALU_DEP_2)
	v_add_f64 v[1:2], v[1:2], v[10:11]
	v_add_f64 v[3:4], v[3:4], v[12:13]
	s_waitcnt vmcnt(0)
	s_delay_alu instid0(VALU_DEP_2) | instskip(NEXT) | instid1(VALU_DEP_2)
	v_add_f64 v[1:2], v[190:191], -v[1:2]
	v_add_f64 v[3:4], v[192:193], -v[3:4]
	scratch_store_b128 off, v[1:4], off offset:640
	v_cmpx_lt_u32_e32 39, v140
	s_cbranch_execz .LBB112_229
; %bb.228:
	scratch_load_b128 v[1:4], v153, off
	v_mov_b32_e32 v5, 0
	s_delay_alu instid0(VALU_DEP_1)
	v_mov_b32_e32 v6, v5
	v_mov_b32_e32 v7, v5
	v_mov_b32_e32 v8, v5
	scratch_store_b128 off, v[5:8], off offset:624
	s_waitcnt vmcnt(0)
	ds_store_b128 v189, v[1:4]
.LBB112_229:
	s_or_b32 exec_lo, exec_lo, s2
	s_waitcnt lgkmcnt(0)
	s_waitcnt_vscnt null, 0x0
	s_barrier
	buffer_gl0_inv
	s_clause 0x7
	scratch_load_b128 v[2:5], off, off offset:640
	scratch_load_b128 v[6:9], off, off offset:656
	;; [unrolled: 1-line block ×8, first 2 shown]
	v_mov_b32_e32 v1, 0
	s_mov_b32 s2, exec_lo
	ds_load_b128 v[34:37], v1 offset:1424
	s_clause 0x1
	scratch_load_b128 v[38:41], off, off offset:768
	scratch_load_b128 v[190:193], off, off offset:624
	ds_load_b128 v[194:197], v1 offset:1440
	s_waitcnt vmcnt(9) lgkmcnt(1)
	v_mul_f64 v[198:199], v[36:37], v[4:5]
	v_mul_f64 v[4:5], v[34:35], v[4:5]
	s_waitcnt vmcnt(8) lgkmcnt(0)
	v_mul_f64 v[200:201], v[194:195], v[8:9]
	v_mul_f64 v[8:9], v[196:197], v[8:9]
	s_delay_alu instid0(VALU_DEP_4) | instskip(NEXT) | instid1(VALU_DEP_4)
	v_fma_f64 v[198:199], v[34:35], v[2:3], -v[198:199]
	v_fma_f64 v[202:203], v[36:37], v[2:3], v[4:5]
	ds_load_b128 v[2:5], v1 offset:1456
	ds_load_b128 v[34:37], v1 offset:1472
	v_fma_f64 v[196:197], v[196:197], v[6:7], v[200:201]
	v_fma_f64 v[6:7], v[194:195], v[6:7], -v[8:9]
	s_waitcnt vmcnt(7) lgkmcnt(1)
	v_mul_f64 v[204:205], v[2:3], v[12:13]
	v_mul_f64 v[12:13], v[4:5], v[12:13]
	v_add_f64 v[8:9], v[198:199], 0
	v_add_f64 v[194:195], v[202:203], 0
	s_waitcnt vmcnt(6) lgkmcnt(0)
	v_mul_f64 v[198:199], v[34:35], v[16:17]
	v_mul_f64 v[16:17], v[36:37], v[16:17]
	v_fma_f64 v[200:201], v[4:5], v[10:11], v[204:205]
	v_fma_f64 v[10:11], v[2:3], v[10:11], -v[12:13]
	v_add_f64 v[12:13], v[8:9], v[6:7]
	v_add_f64 v[194:195], v[194:195], v[196:197]
	ds_load_b128 v[2:5], v1 offset:1488
	ds_load_b128 v[6:9], v1 offset:1504
	v_fma_f64 v[36:37], v[36:37], v[14:15], v[198:199]
	v_fma_f64 v[14:15], v[34:35], v[14:15], -v[16:17]
	s_waitcnt vmcnt(5) lgkmcnt(1)
	v_mul_f64 v[196:197], v[2:3], v[20:21]
	v_mul_f64 v[20:21], v[4:5], v[20:21]
	s_waitcnt vmcnt(4) lgkmcnt(0)
	v_mul_f64 v[16:17], v[6:7], v[24:25]
	v_mul_f64 v[24:25], v[8:9], v[24:25]
	v_add_f64 v[10:11], v[12:13], v[10:11]
	v_add_f64 v[12:13], v[194:195], v[200:201]
	v_fma_f64 v[34:35], v[4:5], v[18:19], v[196:197]
	v_fma_f64 v[18:19], v[2:3], v[18:19], -v[20:21]
	v_fma_f64 v[8:9], v[8:9], v[22:23], v[16:17]
	v_fma_f64 v[6:7], v[6:7], v[22:23], -v[24:25]
	v_add_f64 v[14:15], v[10:11], v[14:15]
	v_add_f64 v[20:21], v[12:13], v[36:37]
	ds_load_b128 v[2:5], v1 offset:1520
	ds_load_b128 v[10:13], v1 offset:1536
	s_waitcnt vmcnt(3) lgkmcnt(1)
	v_mul_f64 v[36:37], v[2:3], v[28:29]
	v_mul_f64 v[28:29], v[4:5], v[28:29]
	v_add_f64 v[14:15], v[14:15], v[18:19]
	v_add_f64 v[16:17], v[20:21], v[34:35]
	s_waitcnt vmcnt(2) lgkmcnt(0)
	v_mul_f64 v[18:19], v[10:11], v[32:33]
	v_mul_f64 v[20:21], v[12:13], v[32:33]
	v_fma_f64 v[22:23], v[4:5], v[26:27], v[36:37]
	v_fma_f64 v[24:25], v[2:3], v[26:27], -v[28:29]
	ds_load_b128 v[2:5], v1 offset:1552
	v_add_f64 v[6:7], v[14:15], v[6:7]
	v_add_f64 v[8:9], v[16:17], v[8:9]
	v_fma_f64 v[12:13], v[12:13], v[30:31], v[18:19]
	v_fma_f64 v[10:11], v[10:11], v[30:31], -v[20:21]
	s_waitcnt vmcnt(1) lgkmcnt(0)
	v_mul_f64 v[14:15], v[2:3], v[40:41]
	v_mul_f64 v[16:17], v[4:5], v[40:41]
	v_add_f64 v[6:7], v[6:7], v[24:25]
	v_add_f64 v[8:9], v[8:9], v[22:23]
	s_delay_alu instid0(VALU_DEP_4) | instskip(NEXT) | instid1(VALU_DEP_4)
	v_fma_f64 v[4:5], v[4:5], v[38:39], v[14:15]
	v_fma_f64 v[2:3], v[2:3], v[38:39], -v[16:17]
	s_delay_alu instid0(VALU_DEP_4) | instskip(NEXT) | instid1(VALU_DEP_4)
	v_add_f64 v[6:7], v[6:7], v[10:11]
	v_add_f64 v[8:9], v[8:9], v[12:13]
	s_delay_alu instid0(VALU_DEP_2) | instskip(NEXT) | instid1(VALU_DEP_2)
	v_add_f64 v[2:3], v[6:7], v[2:3]
	v_add_f64 v[4:5], v[8:9], v[4:5]
	s_waitcnt vmcnt(0)
	s_delay_alu instid0(VALU_DEP_2) | instskip(NEXT) | instid1(VALU_DEP_2)
	v_add_f64 v[2:3], v[190:191], -v[2:3]
	v_add_f64 v[4:5], v[192:193], -v[4:5]
	scratch_store_b128 off, v[2:5], off offset:624
	v_cmpx_lt_u32_e32 38, v140
	s_cbranch_execz .LBB112_231
; %bb.230:
	scratch_load_b128 v[5:8], v156, off
	v_mov_b32_e32 v2, v1
	v_mov_b32_e32 v3, v1
	;; [unrolled: 1-line block ×3, first 2 shown]
	scratch_store_b128 off, v[1:4], off offset:608
	s_waitcnt vmcnt(0)
	ds_store_b128 v189, v[5:8]
.LBB112_231:
	s_or_b32 exec_lo, exec_lo, s2
	s_waitcnt lgkmcnt(0)
	s_waitcnt_vscnt null, 0x0
	s_barrier
	buffer_gl0_inv
	s_clause 0x8
	scratch_load_b128 v[2:5], off, off offset:624
	scratch_load_b128 v[6:9], off, off offset:640
	;; [unrolled: 1-line block ×9, first 2 shown]
	ds_load_b128 v[38:41], v1 offset:1408
	ds_load_b128 v[190:193], v1 offset:1424
	s_clause 0x1
	scratch_load_b128 v[194:197], off, off offset:608
	scratch_load_b128 v[198:201], off, off offset:768
	s_mov_b32 s2, exec_lo
	s_waitcnt vmcnt(10) lgkmcnt(1)
	v_mul_f64 v[202:203], v[40:41], v[4:5]
	v_mul_f64 v[4:5], v[38:39], v[4:5]
	s_waitcnt vmcnt(9) lgkmcnt(0)
	v_mul_f64 v[204:205], v[190:191], v[8:9]
	v_mul_f64 v[8:9], v[192:193], v[8:9]
	s_delay_alu instid0(VALU_DEP_4) | instskip(NEXT) | instid1(VALU_DEP_4)
	v_fma_f64 v[202:203], v[38:39], v[2:3], -v[202:203]
	v_fma_f64 v[206:207], v[40:41], v[2:3], v[4:5]
	ds_load_b128 v[2:5], v1 offset:1440
	ds_load_b128 v[38:41], v1 offset:1456
	v_fma_f64 v[192:193], v[192:193], v[6:7], v[204:205]
	v_fma_f64 v[6:7], v[190:191], v[6:7], -v[8:9]
	s_waitcnt vmcnt(8) lgkmcnt(1)
	v_mul_f64 v[208:209], v[2:3], v[12:13]
	v_mul_f64 v[12:13], v[4:5], v[12:13]
	v_add_f64 v[8:9], v[202:203], 0
	v_add_f64 v[190:191], v[206:207], 0
	s_waitcnt vmcnt(7) lgkmcnt(0)
	v_mul_f64 v[202:203], v[38:39], v[16:17]
	v_mul_f64 v[16:17], v[40:41], v[16:17]
	v_fma_f64 v[204:205], v[4:5], v[10:11], v[208:209]
	v_fma_f64 v[10:11], v[2:3], v[10:11], -v[12:13]
	v_add_f64 v[12:13], v[8:9], v[6:7]
	v_add_f64 v[190:191], v[190:191], v[192:193]
	ds_load_b128 v[2:5], v1 offset:1472
	ds_load_b128 v[6:9], v1 offset:1488
	v_fma_f64 v[40:41], v[40:41], v[14:15], v[202:203]
	v_fma_f64 v[14:15], v[38:39], v[14:15], -v[16:17]
	s_waitcnt vmcnt(6) lgkmcnt(1)
	v_mul_f64 v[192:193], v[2:3], v[20:21]
	v_mul_f64 v[20:21], v[4:5], v[20:21]
	s_waitcnt vmcnt(5) lgkmcnt(0)
	v_mul_f64 v[16:17], v[6:7], v[24:25]
	v_mul_f64 v[24:25], v[8:9], v[24:25]
	v_add_f64 v[10:11], v[12:13], v[10:11]
	v_add_f64 v[12:13], v[190:191], v[204:205]
	v_fma_f64 v[38:39], v[4:5], v[18:19], v[192:193]
	v_fma_f64 v[18:19], v[2:3], v[18:19], -v[20:21]
	v_fma_f64 v[8:9], v[8:9], v[22:23], v[16:17]
	v_fma_f64 v[6:7], v[6:7], v[22:23], -v[24:25]
	v_add_f64 v[14:15], v[10:11], v[14:15]
	v_add_f64 v[20:21], v[12:13], v[40:41]
	ds_load_b128 v[2:5], v1 offset:1504
	ds_load_b128 v[10:13], v1 offset:1520
	s_waitcnt vmcnt(4) lgkmcnt(1)
	v_mul_f64 v[40:41], v[2:3], v[28:29]
	v_mul_f64 v[28:29], v[4:5], v[28:29]
	v_add_f64 v[14:15], v[14:15], v[18:19]
	v_add_f64 v[16:17], v[20:21], v[38:39]
	s_waitcnt vmcnt(3) lgkmcnt(0)
	v_mul_f64 v[18:19], v[10:11], v[32:33]
	v_mul_f64 v[20:21], v[12:13], v[32:33]
	v_fma_f64 v[22:23], v[4:5], v[26:27], v[40:41]
	v_fma_f64 v[24:25], v[2:3], v[26:27], -v[28:29]
	v_add_f64 v[14:15], v[14:15], v[6:7]
	v_add_f64 v[16:17], v[16:17], v[8:9]
	ds_load_b128 v[2:5], v1 offset:1536
	ds_load_b128 v[6:9], v1 offset:1552
	v_fma_f64 v[12:13], v[12:13], v[30:31], v[18:19]
	v_fma_f64 v[10:11], v[10:11], v[30:31], -v[20:21]
	s_waitcnt vmcnt(2) lgkmcnt(1)
	v_mul_f64 v[26:27], v[2:3], v[36:37]
	v_mul_f64 v[28:29], v[4:5], v[36:37]
	s_waitcnt vmcnt(0) lgkmcnt(0)
	v_mul_f64 v[18:19], v[6:7], v[200:201]
	v_mul_f64 v[20:21], v[8:9], v[200:201]
	v_add_f64 v[14:15], v[14:15], v[24:25]
	v_add_f64 v[16:17], v[16:17], v[22:23]
	v_fma_f64 v[4:5], v[4:5], v[34:35], v[26:27]
	v_fma_f64 v[1:2], v[2:3], v[34:35], -v[28:29]
	v_fma_f64 v[8:9], v[8:9], v[198:199], v[18:19]
	v_fma_f64 v[6:7], v[6:7], v[198:199], -v[20:21]
	v_add_f64 v[10:11], v[14:15], v[10:11]
	v_add_f64 v[12:13], v[16:17], v[12:13]
	s_delay_alu instid0(VALU_DEP_2) | instskip(NEXT) | instid1(VALU_DEP_2)
	v_add_f64 v[1:2], v[10:11], v[1:2]
	v_add_f64 v[3:4], v[12:13], v[4:5]
	s_delay_alu instid0(VALU_DEP_2) | instskip(NEXT) | instid1(VALU_DEP_2)
	;; [unrolled: 3-line block ×3, first 2 shown]
	v_add_f64 v[1:2], v[194:195], -v[1:2]
	v_add_f64 v[3:4], v[196:197], -v[3:4]
	scratch_store_b128 off, v[1:4], off offset:608
	v_cmpx_lt_u32_e32 37, v140
	s_cbranch_execz .LBB112_233
; %bb.232:
	scratch_load_b128 v[1:4], v141, off
	v_mov_b32_e32 v5, 0
	s_delay_alu instid0(VALU_DEP_1)
	v_mov_b32_e32 v6, v5
	v_mov_b32_e32 v7, v5
	;; [unrolled: 1-line block ×3, first 2 shown]
	scratch_store_b128 off, v[5:8], off offset:592
	s_waitcnt vmcnt(0)
	ds_store_b128 v189, v[1:4]
.LBB112_233:
	s_or_b32 exec_lo, exec_lo, s2
	s_waitcnt lgkmcnt(0)
	s_waitcnt_vscnt null, 0x0
	s_barrier
	buffer_gl0_inv
	s_clause 0x7
	scratch_load_b128 v[2:5], off, off offset:608
	scratch_load_b128 v[6:9], off, off offset:624
	;; [unrolled: 1-line block ×8, first 2 shown]
	v_mov_b32_e32 v1, 0
	s_mov_b32 s2, exec_lo
	ds_load_b128 v[34:37], v1 offset:1392
	s_clause 0x1
	scratch_load_b128 v[38:41], off, off offset:736
	scratch_load_b128 v[190:193], off, off offset:592
	ds_load_b128 v[194:197], v1 offset:1408
	scratch_load_b128 v[198:201], off, off offset:752
	s_waitcnt vmcnt(10) lgkmcnt(1)
	v_mul_f64 v[202:203], v[36:37], v[4:5]
	v_mul_f64 v[4:5], v[34:35], v[4:5]
	s_delay_alu instid0(VALU_DEP_2) | instskip(NEXT) | instid1(VALU_DEP_2)
	v_fma_f64 v[208:209], v[34:35], v[2:3], -v[202:203]
	v_fma_f64 v[210:211], v[36:37], v[2:3], v[4:5]
	scratch_load_b128 v[34:37], off, off offset:768
	ds_load_b128 v[2:5], v1 offset:1424
	s_waitcnt vmcnt(10) lgkmcnt(1)
	v_mul_f64 v[206:207], v[194:195], v[8:9]
	v_mul_f64 v[8:9], v[196:197], v[8:9]
	ds_load_b128 v[202:205], v1 offset:1440
	s_waitcnt vmcnt(9) lgkmcnt(1)
	v_mul_f64 v[212:213], v[2:3], v[12:13]
	v_mul_f64 v[12:13], v[4:5], v[12:13]
	v_fma_f64 v[196:197], v[196:197], v[6:7], v[206:207]
	v_fma_f64 v[6:7], v[194:195], v[6:7], -v[8:9]
	v_add_f64 v[8:9], v[208:209], 0
	v_add_f64 v[194:195], v[210:211], 0
	s_waitcnt vmcnt(8) lgkmcnt(0)
	v_mul_f64 v[206:207], v[202:203], v[16:17]
	v_mul_f64 v[16:17], v[204:205], v[16:17]
	v_fma_f64 v[208:209], v[4:5], v[10:11], v[212:213]
	v_fma_f64 v[10:11], v[2:3], v[10:11], -v[12:13]
	v_add_f64 v[12:13], v[8:9], v[6:7]
	v_add_f64 v[194:195], v[194:195], v[196:197]
	ds_load_b128 v[2:5], v1 offset:1456
	ds_load_b128 v[6:9], v1 offset:1472
	v_fma_f64 v[204:205], v[204:205], v[14:15], v[206:207]
	v_fma_f64 v[14:15], v[202:203], v[14:15], -v[16:17]
	s_waitcnt vmcnt(7) lgkmcnt(1)
	v_mul_f64 v[196:197], v[2:3], v[20:21]
	v_mul_f64 v[20:21], v[4:5], v[20:21]
	s_waitcnt vmcnt(6) lgkmcnt(0)
	v_mul_f64 v[16:17], v[6:7], v[24:25]
	v_mul_f64 v[24:25], v[8:9], v[24:25]
	v_add_f64 v[10:11], v[12:13], v[10:11]
	v_add_f64 v[12:13], v[194:195], v[208:209]
	v_fma_f64 v[194:195], v[4:5], v[18:19], v[196:197]
	v_fma_f64 v[18:19], v[2:3], v[18:19], -v[20:21]
	v_fma_f64 v[8:9], v[8:9], v[22:23], v[16:17]
	v_fma_f64 v[6:7], v[6:7], v[22:23], -v[24:25]
	v_add_f64 v[14:15], v[10:11], v[14:15]
	v_add_f64 v[20:21], v[12:13], v[204:205]
	ds_load_b128 v[2:5], v1 offset:1488
	ds_load_b128 v[10:13], v1 offset:1504
	s_waitcnt vmcnt(5) lgkmcnt(1)
	v_mul_f64 v[196:197], v[2:3], v[28:29]
	v_mul_f64 v[28:29], v[4:5], v[28:29]
	v_add_f64 v[14:15], v[14:15], v[18:19]
	v_add_f64 v[16:17], v[20:21], v[194:195]
	s_waitcnt vmcnt(4) lgkmcnt(0)
	v_mul_f64 v[18:19], v[10:11], v[32:33]
	v_mul_f64 v[20:21], v[12:13], v[32:33]
	v_fma_f64 v[22:23], v[4:5], v[26:27], v[196:197]
	v_fma_f64 v[24:25], v[2:3], v[26:27], -v[28:29]
	v_add_f64 v[14:15], v[14:15], v[6:7]
	v_add_f64 v[16:17], v[16:17], v[8:9]
	ds_load_b128 v[2:5], v1 offset:1520
	ds_load_b128 v[6:9], v1 offset:1536
	v_fma_f64 v[12:13], v[12:13], v[30:31], v[18:19]
	v_fma_f64 v[10:11], v[10:11], v[30:31], -v[20:21]
	s_waitcnt vmcnt(3) lgkmcnt(1)
	v_mul_f64 v[26:27], v[2:3], v[40:41]
	v_mul_f64 v[28:29], v[4:5], v[40:41]
	s_waitcnt vmcnt(1) lgkmcnt(0)
	v_mul_f64 v[18:19], v[6:7], v[200:201]
	v_mul_f64 v[20:21], v[8:9], v[200:201]
	v_add_f64 v[14:15], v[14:15], v[24:25]
	v_add_f64 v[16:17], v[16:17], v[22:23]
	v_fma_f64 v[22:23], v[4:5], v[38:39], v[26:27]
	v_fma_f64 v[24:25], v[2:3], v[38:39], -v[28:29]
	ds_load_b128 v[2:5], v1 offset:1552
	v_fma_f64 v[8:9], v[8:9], v[198:199], v[18:19]
	v_fma_f64 v[6:7], v[6:7], v[198:199], -v[20:21]
	v_add_f64 v[10:11], v[14:15], v[10:11]
	v_add_f64 v[12:13], v[16:17], v[12:13]
	s_waitcnt vmcnt(0) lgkmcnt(0)
	v_mul_f64 v[14:15], v[2:3], v[36:37]
	v_mul_f64 v[16:17], v[4:5], v[36:37]
	s_delay_alu instid0(VALU_DEP_4) | instskip(NEXT) | instid1(VALU_DEP_4)
	v_add_f64 v[10:11], v[10:11], v[24:25]
	v_add_f64 v[12:13], v[12:13], v[22:23]
	s_delay_alu instid0(VALU_DEP_4) | instskip(NEXT) | instid1(VALU_DEP_4)
	v_fma_f64 v[4:5], v[4:5], v[34:35], v[14:15]
	v_fma_f64 v[2:3], v[2:3], v[34:35], -v[16:17]
	s_delay_alu instid0(VALU_DEP_4) | instskip(NEXT) | instid1(VALU_DEP_4)
	v_add_f64 v[6:7], v[10:11], v[6:7]
	v_add_f64 v[8:9], v[12:13], v[8:9]
	s_delay_alu instid0(VALU_DEP_2) | instskip(NEXT) | instid1(VALU_DEP_2)
	v_add_f64 v[2:3], v[6:7], v[2:3]
	v_add_f64 v[4:5], v[8:9], v[4:5]
	s_delay_alu instid0(VALU_DEP_2) | instskip(NEXT) | instid1(VALU_DEP_2)
	v_add_f64 v[2:3], v[190:191], -v[2:3]
	v_add_f64 v[4:5], v[192:193], -v[4:5]
	scratch_store_b128 off, v[2:5], off offset:592
	v_cmpx_lt_u32_e32 36, v140
	s_cbranch_execz .LBB112_235
; %bb.234:
	scratch_load_b128 v[5:8], v148, off
	v_mov_b32_e32 v2, v1
	v_mov_b32_e32 v3, v1
	;; [unrolled: 1-line block ×3, first 2 shown]
	scratch_store_b128 off, v[1:4], off offset:576
	s_waitcnt vmcnt(0)
	ds_store_b128 v189, v[5:8]
.LBB112_235:
	s_or_b32 exec_lo, exec_lo, s2
	s_waitcnt lgkmcnt(0)
	s_waitcnt_vscnt null, 0x0
	s_barrier
	buffer_gl0_inv
	s_clause 0x8
	scratch_load_b128 v[2:5], off, off offset:592
	scratch_load_b128 v[6:9], off, off offset:608
	scratch_load_b128 v[10:13], off, off offset:624
	scratch_load_b128 v[14:17], off, off offset:640
	scratch_load_b128 v[18:21], off, off offset:656
	scratch_load_b128 v[22:25], off, off offset:672
	scratch_load_b128 v[26:29], off, off offset:688
	scratch_load_b128 v[30:33], off, off offset:704
	scratch_load_b128 v[34:37], off, off offset:720
	ds_load_b128 v[38:41], v1 offset:1376
	ds_load_b128 v[190:193], v1 offset:1392
	s_clause 0x1
	scratch_load_b128 v[194:197], off, off offset:576
	scratch_load_b128 v[198:201], off, off offset:736
	s_mov_b32 s2, exec_lo
	s_waitcnt vmcnt(10) lgkmcnt(1)
	v_mul_f64 v[202:203], v[40:41], v[4:5]
	v_mul_f64 v[4:5], v[38:39], v[4:5]
	s_waitcnt vmcnt(9) lgkmcnt(0)
	v_mul_f64 v[206:207], v[190:191], v[8:9]
	v_mul_f64 v[8:9], v[192:193], v[8:9]
	s_delay_alu instid0(VALU_DEP_4) | instskip(NEXT) | instid1(VALU_DEP_4)
	v_fma_f64 v[208:209], v[38:39], v[2:3], -v[202:203]
	v_fma_f64 v[210:211], v[40:41], v[2:3], v[4:5]
	ds_load_b128 v[2:5], v1 offset:1408
	ds_load_b128 v[202:205], v1 offset:1424
	scratch_load_b128 v[38:41], off, off offset:752
	v_fma_f64 v[192:193], v[192:193], v[6:7], v[206:207]
	v_fma_f64 v[190:191], v[190:191], v[6:7], -v[8:9]
	scratch_load_b128 v[6:9], off, off offset:768
	s_waitcnt vmcnt(10) lgkmcnt(1)
	v_mul_f64 v[212:213], v[2:3], v[12:13]
	v_mul_f64 v[12:13], v[4:5], v[12:13]
	v_add_f64 v[206:207], v[208:209], 0
	v_add_f64 v[208:209], v[210:211], 0
	s_waitcnt vmcnt(9) lgkmcnt(0)
	v_mul_f64 v[210:211], v[202:203], v[16:17]
	v_mul_f64 v[16:17], v[204:205], v[16:17]
	v_fma_f64 v[212:213], v[4:5], v[10:11], v[212:213]
	v_fma_f64 v[214:215], v[2:3], v[10:11], -v[12:13]
	ds_load_b128 v[2:5], v1 offset:1440
	ds_load_b128 v[10:13], v1 offset:1456
	v_add_f64 v[190:191], v[206:207], v[190:191]
	v_add_f64 v[192:193], v[208:209], v[192:193]
	v_fma_f64 v[204:205], v[204:205], v[14:15], v[210:211]
	v_fma_f64 v[14:15], v[202:203], v[14:15], -v[16:17]
	s_waitcnt vmcnt(8) lgkmcnt(1)
	v_mul_f64 v[206:207], v[2:3], v[20:21]
	v_mul_f64 v[20:21], v[4:5], v[20:21]
	v_add_f64 v[16:17], v[190:191], v[214:215]
	v_add_f64 v[190:191], v[192:193], v[212:213]
	s_waitcnt vmcnt(7) lgkmcnt(0)
	v_mul_f64 v[192:193], v[10:11], v[24:25]
	v_mul_f64 v[24:25], v[12:13], v[24:25]
	v_fma_f64 v[202:203], v[4:5], v[18:19], v[206:207]
	v_fma_f64 v[18:19], v[2:3], v[18:19], -v[20:21]
	v_add_f64 v[20:21], v[16:17], v[14:15]
	v_add_f64 v[190:191], v[190:191], v[204:205]
	ds_load_b128 v[2:5], v1 offset:1472
	ds_load_b128 v[14:17], v1 offset:1488
	v_fma_f64 v[12:13], v[12:13], v[22:23], v[192:193]
	v_fma_f64 v[10:11], v[10:11], v[22:23], -v[24:25]
	s_waitcnt vmcnt(6) lgkmcnt(1)
	v_mul_f64 v[204:205], v[2:3], v[28:29]
	v_mul_f64 v[28:29], v[4:5], v[28:29]
	s_waitcnt vmcnt(5) lgkmcnt(0)
	v_mul_f64 v[22:23], v[14:15], v[32:33]
	v_mul_f64 v[24:25], v[16:17], v[32:33]
	v_add_f64 v[18:19], v[20:21], v[18:19]
	v_add_f64 v[20:21], v[190:191], v[202:203]
	v_fma_f64 v[32:33], v[4:5], v[26:27], v[204:205]
	v_fma_f64 v[26:27], v[2:3], v[26:27], -v[28:29]
	v_fma_f64 v[16:17], v[16:17], v[30:31], v[22:23]
	v_fma_f64 v[14:15], v[14:15], v[30:31], -v[24:25]
	v_add_f64 v[18:19], v[18:19], v[10:11]
	v_add_f64 v[20:21], v[20:21], v[12:13]
	ds_load_b128 v[2:5], v1 offset:1504
	ds_load_b128 v[10:13], v1 offset:1520
	s_waitcnt vmcnt(4) lgkmcnt(1)
	v_mul_f64 v[28:29], v[2:3], v[36:37]
	v_mul_f64 v[36:37], v[4:5], v[36:37]
	s_waitcnt vmcnt(2) lgkmcnt(0)
	v_mul_f64 v[22:23], v[10:11], v[200:201]
	v_mul_f64 v[24:25], v[12:13], v[200:201]
	v_add_f64 v[18:19], v[18:19], v[26:27]
	v_add_f64 v[20:21], v[20:21], v[32:33]
	v_fma_f64 v[26:27], v[4:5], v[34:35], v[28:29]
	v_fma_f64 v[28:29], v[2:3], v[34:35], -v[36:37]
	v_fma_f64 v[12:13], v[12:13], v[198:199], v[22:23]
	v_fma_f64 v[10:11], v[10:11], v[198:199], -v[24:25]
	v_add_f64 v[18:19], v[18:19], v[14:15]
	v_add_f64 v[20:21], v[20:21], v[16:17]
	ds_load_b128 v[2:5], v1 offset:1536
	ds_load_b128 v[14:17], v1 offset:1552
	s_waitcnt vmcnt(1) lgkmcnt(1)
	v_mul_f64 v[30:31], v[2:3], v[40:41]
	v_mul_f64 v[32:33], v[4:5], v[40:41]
	s_waitcnt vmcnt(0) lgkmcnt(0)
	v_mul_f64 v[22:23], v[14:15], v[8:9]
	v_mul_f64 v[8:9], v[16:17], v[8:9]
	v_add_f64 v[18:19], v[18:19], v[28:29]
	v_add_f64 v[20:21], v[20:21], v[26:27]
	v_fma_f64 v[4:5], v[4:5], v[38:39], v[30:31]
	v_fma_f64 v[1:2], v[2:3], v[38:39], -v[32:33]
	v_fma_f64 v[16:17], v[16:17], v[6:7], v[22:23]
	v_fma_f64 v[6:7], v[14:15], v[6:7], -v[8:9]
	v_add_f64 v[10:11], v[18:19], v[10:11]
	v_add_f64 v[12:13], v[20:21], v[12:13]
	s_delay_alu instid0(VALU_DEP_2) | instskip(NEXT) | instid1(VALU_DEP_2)
	v_add_f64 v[1:2], v[10:11], v[1:2]
	v_add_f64 v[3:4], v[12:13], v[4:5]
	s_delay_alu instid0(VALU_DEP_2) | instskip(NEXT) | instid1(VALU_DEP_2)
	;; [unrolled: 3-line block ×3, first 2 shown]
	v_add_f64 v[1:2], v[194:195], -v[1:2]
	v_add_f64 v[3:4], v[196:197], -v[3:4]
	scratch_store_b128 off, v[1:4], off offset:576
	v_cmpx_lt_u32_e32 35, v140
	s_cbranch_execz .LBB112_237
; %bb.236:
	scratch_load_b128 v[1:4], v149, off
	v_mov_b32_e32 v5, 0
	s_delay_alu instid0(VALU_DEP_1)
	v_mov_b32_e32 v6, v5
	v_mov_b32_e32 v7, v5
	;; [unrolled: 1-line block ×3, first 2 shown]
	scratch_store_b128 off, v[5:8], off offset:560
	s_waitcnt vmcnt(0)
	ds_store_b128 v189, v[1:4]
.LBB112_237:
	s_or_b32 exec_lo, exec_lo, s2
	s_waitcnt lgkmcnt(0)
	s_waitcnt_vscnt null, 0x0
	s_barrier
	buffer_gl0_inv
	s_clause 0x7
	scratch_load_b128 v[2:5], off, off offset:576
	scratch_load_b128 v[6:9], off, off offset:592
	;; [unrolled: 1-line block ×8, first 2 shown]
	v_mov_b32_e32 v1, 0
	s_clause 0x1
	scratch_load_b128 v[38:41], off, off offset:704
	scratch_load_b128 v[194:197], off, off offset:720
	s_mov_b32 s2, exec_lo
	ds_load_b128 v[34:37], v1 offset:1360
	ds_load_b128 v[190:193], v1 offset:1376
	s_waitcnt vmcnt(9) lgkmcnt(1)
	v_mul_f64 v[198:199], v[36:37], v[4:5]
	v_mul_f64 v[4:5], v[34:35], v[4:5]
	s_waitcnt vmcnt(8) lgkmcnt(0)
	v_mul_f64 v[200:201], v[190:191], v[8:9]
	v_mul_f64 v[8:9], v[192:193], v[8:9]
	s_delay_alu instid0(VALU_DEP_4) | instskip(NEXT) | instid1(VALU_DEP_4)
	v_fma_f64 v[198:199], v[34:35], v[2:3], -v[198:199]
	v_fma_f64 v[202:203], v[36:37], v[2:3], v[4:5]
	ds_load_b128 v[2:5], v1 offset:1392
	scratch_load_b128 v[34:37], off, off offset:736
	v_fma_f64 v[200:201], v[192:193], v[6:7], v[200:201]
	v_fma_f64 v[206:207], v[190:191], v[6:7], -v[8:9]
	ds_load_b128 v[6:9], v1 offset:1408
	scratch_load_b128 v[190:193], off, off offset:752
	s_waitcnt vmcnt(9) lgkmcnt(1)
	v_mul_f64 v[204:205], v[2:3], v[12:13]
	v_mul_f64 v[12:13], v[4:5], v[12:13]
	s_waitcnt vmcnt(8) lgkmcnt(0)
	v_mul_f64 v[208:209], v[6:7], v[16:17]
	v_mul_f64 v[16:17], v[8:9], v[16:17]
	v_add_f64 v[198:199], v[198:199], 0
	v_add_f64 v[202:203], v[202:203], 0
	v_fma_f64 v[204:205], v[4:5], v[10:11], v[204:205]
	v_fma_f64 v[210:211], v[2:3], v[10:11], -v[12:13]
	scratch_load_b128 v[10:13], off, off offset:768
	ds_load_b128 v[2:5], v1 offset:1424
	v_add_f64 v[198:199], v[198:199], v[206:207]
	v_add_f64 v[200:201], v[202:203], v[200:201]
	v_fma_f64 v[206:207], v[8:9], v[14:15], v[208:209]
	v_fma_f64 v[14:15], v[6:7], v[14:15], -v[16:17]
	ds_load_b128 v[6:9], v1 offset:1440
	s_waitcnt vmcnt(8) lgkmcnt(1)
	v_mul_f64 v[202:203], v[2:3], v[20:21]
	v_mul_f64 v[20:21], v[4:5], v[20:21]
	v_add_f64 v[16:17], v[198:199], v[210:211]
	v_add_f64 v[198:199], v[200:201], v[204:205]
	s_waitcnt vmcnt(7) lgkmcnt(0)
	v_mul_f64 v[200:201], v[6:7], v[24:25]
	v_mul_f64 v[24:25], v[8:9], v[24:25]
	v_fma_f64 v[202:203], v[4:5], v[18:19], v[202:203]
	v_fma_f64 v[18:19], v[2:3], v[18:19], -v[20:21]
	ds_load_b128 v[2:5], v1 offset:1456
	v_add_f64 v[14:15], v[16:17], v[14:15]
	v_add_f64 v[16:17], v[198:199], v[206:207]
	v_fma_f64 v[198:199], v[8:9], v[22:23], v[200:201]
	v_fma_f64 v[22:23], v[6:7], v[22:23], -v[24:25]
	ds_load_b128 v[6:9], v1 offset:1472
	s_waitcnt vmcnt(6) lgkmcnt(1)
	v_mul_f64 v[20:21], v[2:3], v[28:29]
	v_mul_f64 v[28:29], v[4:5], v[28:29]
	s_waitcnt vmcnt(5) lgkmcnt(0)
	v_mul_f64 v[200:201], v[6:7], v[32:33]
	v_mul_f64 v[32:33], v[8:9], v[32:33]
	v_add_f64 v[18:19], v[14:15], v[18:19]
	v_add_f64 v[24:25], v[16:17], v[202:203]
	scratch_load_b128 v[14:17], off, off offset:560
	v_fma_f64 v[20:21], v[4:5], v[26:27], v[20:21]
	v_fma_f64 v[26:27], v[2:3], v[26:27], -v[28:29]
	ds_load_b128 v[2:5], v1 offset:1488
	s_waitcnt vmcnt(5) lgkmcnt(0)
	v_mul_f64 v[28:29], v[4:5], v[40:41]
	v_add_f64 v[18:19], v[18:19], v[22:23]
	v_add_f64 v[22:23], v[24:25], v[198:199]
	v_mul_f64 v[24:25], v[2:3], v[40:41]
	v_fma_f64 v[40:41], v[8:9], v[30:31], v[200:201]
	v_fma_f64 v[30:31], v[6:7], v[30:31], -v[32:33]
	ds_load_b128 v[6:9], v1 offset:1504
	v_fma_f64 v[28:29], v[2:3], v[38:39], -v[28:29]
	v_add_f64 v[18:19], v[18:19], v[26:27]
	v_add_f64 v[20:21], v[22:23], v[20:21]
	v_fma_f64 v[24:25], v[4:5], v[38:39], v[24:25]
	ds_load_b128 v[2:5], v1 offset:1520
	s_waitcnt vmcnt(4) lgkmcnt(1)
	v_mul_f64 v[22:23], v[6:7], v[196:197]
	v_mul_f64 v[26:27], v[8:9], v[196:197]
	v_add_f64 v[18:19], v[18:19], v[30:31]
	v_add_f64 v[20:21], v[20:21], v[40:41]
	s_delay_alu instid0(VALU_DEP_4) | instskip(NEXT) | instid1(VALU_DEP_4)
	v_fma_f64 v[22:23], v[8:9], v[194:195], v[22:23]
	v_fma_f64 v[26:27], v[6:7], v[194:195], -v[26:27]
	ds_load_b128 v[6:9], v1 offset:1536
	s_waitcnt vmcnt(3) lgkmcnt(1)
	v_mul_f64 v[30:31], v[2:3], v[36:37]
	v_mul_f64 v[32:33], v[4:5], v[36:37]
	v_add_f64 v[18:19], v[18:19], v[28:29]
	v_add_f64 v[20:21], v[20:21], v[24:25]
	s_delay_alu instid0(VALU_DEP_4) | instskip(NEXT) | instid1(VALU_DEP_4)
	v_fma_f64 v[30:31], v[4:5], v[34:35], v[30:31]
	v_fma_f64 v[32:33], v[2:3], v[34:35], -v[32:33]
	ds_load_b128 v[2:5], v1 offset:1552
	s_waitcnt vmcnt(2) lgkmcnt(1)
	v_mul_f64 v[24:25], v[6:7], v[192:193]
	v_mul_f64 v[28:29], v[8:9], v[192:193]
	v_add_f64 v[18:19], v[18:19], v[26:27]
	v_add_f64 v[20:21], v[20:21], v[22:23]
	s_waitcnt vmcnt(1) lgkmcnt(0)
	v_mul_f64 v[22:23], v[2:3], v[12:13]
	v_mul_f64 v[12:13], v[4:5], v[12:13]
	v_fma_f64 v[8:9], v[8:9], v[190:191], v[24:25]
	v_fma_f64 v[6:7], v[6:7], v[190:191], -v[28:29]
	v_add_f64 v[18:19], v[18:19], v[32:33]
	v_add_f64 v[20:21], v[20:21], v[30:31]
	v_fma_f64 v[4:5], v[4:5], v[10:11], v[22:23]
	v_fma_f64 v[2:3], v[2:3], v[10:11], -v[12:13]
	s_delay_alu instid0(VALU_DEP_4) | instskip(NEXT) | instid1(VALU_DEP_4)
	v_add_f64 v[6:7], v[18:19], v[6:7]
	v_add_f64 v[8:9], v[20:21], v[8:9]
	s_delay_alu instid0(VALU_DEP_2) | instskip(NEXT) | instid1(VALU_DEP_2)
	v_add_f64 v[2:3], v[6:7], v[2:3]
	v_add_f64 v[4:5], v[8:9], v[4:5]
	s_waitcnt vmcnt(0)
	s_delay_alu instid0(VALU_DEP_2) | instskip(NEXT) | instid1(VALU_DEP_2)
	v_add_f64 v[2:3], v[14:15], -v[2:3]
	v_add_f64 v[4:5], v[16:17], -v[4:5]
	scratch_store_b128 off, v[2:5], off offset:560
	v_cmpx_lt_u32_e32 34, v140
	s_cbranch_execz .LBB112_239
; %bb.238:
	scratch_load_b128 v[5:8], v154, off
	v_mov_b32_e32 v2, v1
	v_mov_b32_e32 v3, v1
	;; [unrolled: 1-line block ×3, first 2 shown]
	scratch_store_b128 off, v[1:4], off offset:544
	s_waitcnt vmcnt(0)
	ds_store_b128 v189, v[5:8]
.LBB112_239:
	s_or_b32 exec_lo, exec_lo, s2
	s_waitcnt lgkmcnt(0)
	s_waitcnt_vscnt null, 0x0
	s_barrier
	buffer_gl0_inv
	s_clause 0x7
	scratch_load_b128 v[2:5], off, off offset:560
	scratch_load_b128 v[6:9], off, off offset:576
	;; [unrolled: 1-line block ×8, first 2 shown]
	ds_load_b128 v[34:37], v1 offset:1344
	ds_load_b128 v[190:193], v1 offset:1360
	s_clause 0x1
	scratch_load_b128 v[38:41], off, off offset:688
	scratch_load_b128 v[194:197], off, off offset:704
	s_mov_b32 s2, exec_lo
	s_waitcnt vmcnt(9) lgkmcnt(1)
	v_mul_f64 v[198:199], v[36:37], v[4:5]
	v_mul_f64 v[4:5], v[34:35], v[4:5]
	s_waitcnt vmcnt(8) lgkmcnt(0)
	v_mul_f64 v[200:201], v[190:191], v[8:9]
	v_mul_f64 v[8:9], v[192:193], v[8:9]
	s_delay_alu instid0(VALU_DEP_4) | instskip(NEXT) | instid1(VALU_DEP_4)
	v_fma_f64 v[198:199], v[34:35], v[2:3], -v[198:199]
	v_fma_f64 v[202:203], v[36:37], v[2:3], v[4:5]
	scratch_load_b128 v[34:37], off, off offset:720
	ds_load_b128 v[2:5], v1 offset:1376
	v_fma_f64 v[200:201], v[192:193], v[6:7], v[200:201]
	v_fma_f64 v[206:207], v[190:191], v[6:7], -v[8:9]
	ds_load_b128 v[6:9], v1 offset:1392
	scratch_load_b128 v[190:193], off, off offset:736
	s_waitcnt vmcnt(9) lgkmcnt(1)
	v_mul_f64 v[204:205], v[2:3], v[12:13]
	v_mul_f64 v[12:13], v[4:5], v[12:13]
	s_waitcnt vmcnt(8) lgkmcnt(0)
	v_mul_f64 v[208:209], v[6:7], v[16:17]
	v_mul_f64 v[16:17], v[8:9], v[16:17]
	v_add_f64 v[198:199], v[198:199], 0
	v_add_f64 v[202:203], v[202:203], 0
	v_fma_f64 v[204:205], v[4:5], v[10:11], v[204:205]
	v_fma_f64 v[210:211], v[2:3], v[10:11], -v[12:13]
	scratch_load_b128 v[10:13], off, off offset:752
	ds_load_b128 v[2:5], v1 offset:1408
	v_add_f64 v[198:199], v[198:199], v[206:207]
	v_add_f64 v[200:201], v[202:203], v[200:201]
	v_fma_f64 v[206:207], v[8:9], v[14:15], v[208:209]
	v_fma_f64 v[208:209], v[6:7], v[14:15], -v[16:17]
	ds_load_b128 v[6:9], v1 offset:1424
	scratch_load_b128 v[14:17], off, off offset:768
	s_waitcnt vmcnt(9) lgkmcnt(1)
	v_mul_f64 v[202:203], v[2:3], v[20:21]
	v_mul_f64 v[20:21], v[4:5], v[20:21]
	v_add_f64 v[198:199], v[198:199], v[210:211]
	v_add_f64 v[200:201], v[200:201], v[204:205]
	s_waitcnt vmcnt(8) lgkmcnt(0)
	v_mul_f64 v[204:205], v[6:7], v[24:25]
	v_mul_f64 v[24:25], v[8:9], v[24:25]
	v_fma_f64 v[202:203], v[4:5], v[18:19], v[202:203]
	v_fma_f64 v[18:19], v[2:3], v[18:19], -v[20:21]
	ds_load_b128 v[2:5], v1 offset:1440
	v_add_f64 v[20:21], v[198:199], v[208:209]
	v_add_f64 v[198:199], v[200:201], v[206:207]
	v_fma_f64 v[204:205], v[8:9], v[22:23], v[204:205]
	v_fma_f64 v[22:23], v[6:7], v[22:23], -v[24:25]
	ds_load_b128 v[6:9], v1 offset:1456
	s_waitcnt vmcnt(7) lgkmcnt(1)
	v_mul_f64 v[200:201], v[2:3], v[28:29]
	v_mul_f64 v[28:29], v[4:5], v[28:29]
	s_waitcnt vmcnt(6) lgkmcnt(0)
	v_mul_f64 v[24:25], v[6:7], v[32:33]
	v_mul_f64 v[32:33], v[8:9], v[32:33]
	v_add_f64 v[18:19], v[20:21], v[18:19]
	v_add_f64 v[20:21], v[198:199], v[202:203]
	v_fma_f64 v[198:199], v[4:5], v[26:27], v[200:201]
	v_fma_f64 v[26:27], v[2:3], v[26:27], -v[28:29]
	ds_load_b128 v[2:5], v1 offset:1472
	v_fma_f64 v[24:25], v[8:9], v[30:31], v[24:25]
	v_fma_f64 v[30:31], v[6:7], v[30:31], -v[32:33]
	ds_load_b128 v[6:9], v1 offset:1488
	v_add_f64 v[22:23], v[18:19], v[22:23]
	v_add_f64 v[28:29], v[20:21], v[204:205]
	scratch_load_b128 v[18:21], off, off offset:544
	s_waitcnt vmcnt(6) lgkmcnt(1)
	v_mul_f64 v[200:201], v[2:3], v[40:41]
	v_mul_f64 v[40:41], v[4:5], v[40:41]
	s_waitcnt vmcnt(5) lgkmcnt(0)
	v_mul_f64 v[32:33], v[8:9], v[196:197]
	v_add_f64 v[22:23], v[22:23], v[26:27]
	v_add_f64 v[26:27], v[28:29], v[198:199]
	v_mul_f64 v[28:29], v[6:7], v[196:197]
	v_fma_f64 v[196:197], v[4:5], v[38:39], v[200:201]
	v_fma_f64 v[38:39], v[2:3], v[38:39], -v[40:41]
	ds_load_b128 v[2:5], v1 offset:1504
	v_fma_f64 v[32:33], v[6:7], v[194:195], -v[32:33]
	v_add_f64 v[22:23], v[22:23], v[30:31]
	v_add_f64 v[24:25], v[26:27], v[24:25]
	v_fma_f64 v[28:29], v[8:9], v[194:195], v[28:29]
	ds_load_b128 v[6:9], v1 offset:1520
	s_waitcnt vmcnt(4) lgkmcnt(1)
	v_mul_f64 v[26:27], v[2:3], v[36:37]
	v_mul_f64 v[30:31], v[4:5], v[36:37]
	s_waitcnt vmcnt(3) lgkmcnt(0)
	v_mul_f64 v[36:37], v[6:7], v[192:193]
	v_add_f64 v[22:23], v[22:23], v[38:39]
	v_add_f64 v[24:25], v[24:25], v[196:197]
	v_mul_f64 v[38:39], v[8:9], v[192:193]
	v_fma_f64 v[26:27], v[4:5], v[34:35], v[26:27]
	v_fma_f64 v[30:31], v[2:3], v[34:35], -v[30:31]
	ds_load_b128 v[2:5], v1 offset:1536
	v_add_f64 v[22:23], v[22:23], v[32:33]
	v_add_f64 v[24:25], v[24:25], v[28:29]
	v_fma_f64 v[32:33], v[8:9], v[190:191], v[36:37]
	v_fma_f64 v[34:35], v[6:7], v[190:191], -v[38:39]
	ds_load_b128 v[6:9], v1 offset:1552
	s_waitcnt vmcnt(2) lgkmcnt(1)
	v_mul_f64 v[28:29], v[2:3], v[12:13]
	v_mul_f64 v[12:13], v[4:5], v[12:13]
	v_add_f64 v[22:23], v[22:23], v[30:31]
	v_add_f64 v[24:25], v[24:25], v[26:27]
	s_waitcnt vmcnt(1) lgkmcnt(0)
	v_mul_f64 v[26:27], v[6:7], v[16:17]
	v_mul_f64 v[16:17], v[8:9], v[16:17]
	v_fma_f64 v[4:5], v[4:5], v[10:11], v[28:29]
	v_fma_f64 v[1:2], v[2:3], v[10:11], -v[12:13]
	v_add_f64 v[10:11], v[22:23], v[34:35]
	v_add_f64 v[12:13], v[24:25], v[32:33]
	v_fma_f64 v[8:9], v[8:9], v[14:15], v[26:27]
	v_fma_f64 v[6:7], v[6:7], v[14:15], -v[16:17]
	s_delay_alu instid0(VALU_DEP_4) | instskip(NEXT) | instid1(VALU_DEP_4)
	v_add_f64 v[1:2], v[10:11], v[1:2]
	v_add_f64 v[3:4], v[12:13], v[4:5]
	s_delay_alu instid0(VALU_DEP_2) | instskip(NEXT) | instid1(VALU_DEP_2)
	v_add_f64 v[1:2], v[1:2], v[6:7]
	v_add_f64 v[3:4], v[3:4], v[8:9]
	s_waitcnt vmcnt(0)
	s_delay_alu instid0(VALU_DEP_2) | instskip(NEXT) | instid1(VALU_DEP_2)
	v_add_f64 v[1:2], v[18:19], -v[1:2]
	v_add_f64 v[3:4], v[20:21], -v[3:4]
	scratch_store_b128 off, v[1:4], off offset:544
	v_cmpx_lt_u32_e32 33, v140
	s_cbranch_execz .LBB112_241
; %bb.240:
	scratch_load_b128 v[1:4], v155, off
	v_mov_b32_e32 v5, 0
	s_delay_alu instid0(VALU_DEP_1)
	v_mov_b32_e32 v6, v5
	v_mov_b32_e32 v7, v5
	;; [unrolled: 1-line block ×3, first 2 shown]
	scratch_store_b128 off, v[5:8], off offset:528
	s_waitcnt vmcnt(0)
	ds_store_b128 v189, v[1:4]
.LBB112_241:
	s_or_b32 exec_lo, exec_lo, s2
	s_waitcnt lgkmcnt(0)
	s_waitcnt_vscnt null, 0x0
	s_barrier
	buffer_gl0_inv
	s_clause 0x7
	scratch_load_b128 v[2:5], off, off offset:544
	scratch_load_b128 v[6:9], off, off offset:560
	scratch_load_b128 v[10:13], off, off offset:576
	scratch_load_b128 v[14:17], off, off offset:592
	scratch_load_b128 v[18:21], off, off offset:608
	scratch_load_b128 v[22:25], off, off offset:624
	scratch_load_b128 v[26:29], off, off offset:640
	scratch_load_b128 v[30:33], off, off offset:656
	v_mov_b32_e32 v1, 0
	s_clause 0x1
	scratch_load_b128 v[38:41], off, off offset:672
	scratch_load_b128 v[194:197], off, off offset:688
	s_mov_b32 s2, exec_lo
	ds_load_b128 v[34:37], v1 offset:1328
	ds_load_b128 v[190:193], v1 offset:1344
	s_waitcnt vmcnt(9) lgkmcnt(1)
	v_mul_f64 v[198:199], v[36:37], v[4:5]
	v_mul_f64 v[4:5], v[34:35], v[4:5]
	s_waitcnt vmcnt(8) lgkmcnt(0)
	v_mul_f64 v[200:201], v[190:191], v[8:9]
	v_mul_f64 v[8:9], v[192:193], v[8:9]
	s_delay_alu instid0(VALU_DEP_4) | instskip(NEXT) | instid1(VALU_DEP_4)
	v_fma_f64 v[198:199], v[34:35], v[2:3], -v[198:199]
	v_fma_f64 v[202:203], v[36:37], v[2:3], v[4:5]
	ds_load_b128 v[2:5], v1 offset:1360
	scratch_load_b128 v[34:37], off, off offset:704
	v_fma_f64 v[200:201], v[192:193], v[6:7], v[200:201]
	v_fma_f64 v[206:207], v[190:191], v[6:7], -v[8:9]
	ds_load_b128 v[6:9], v1 offset:1376
	scratch_load_b128 v[190:193], off, off offset:720
	s_waitcnt vmcnt(9) lgkmcnt(1)
	v_mul_f64 v[204:205], v[2:3], v[12:13]
	v_mul_f64 v[12:13], v[4:5], v[12:13]
	s_waitcnt vmcnt(8) lgkmcnt(0)
	v_mul_f64 v[208:209], v[6:7], v[16:17]
	v_mul_f64 v[16:17], v[8:9], v[16:17]
	v_add_f64 v[198:199], v[198:199], 0
	v_add_f64 v[202:203], v[202:203], 0
	v_fma_f64 v[204:205], v[4:5], v[10:11], v[204:205]
	v_fma_f64 v[210:211], v[2:3], v[10:11], -v[12:13]
	scratch_load_b128 v[10:13], off, off offset:736
	ds_load_b128 v[2:5], v1 offset:1392
	v_add_f64 v[198:199], v[198:199], v[206:207]
	v_add_f64 v[200:201], v[202:203], v[200:201]
	v_fma_f64 v[206:207], v[8:9], v[14:15], v[208:209]
	v_fma_f64 v[208:209], v[6:7], v[14:15], -v[16:17]
	ds_load_b128 v[6:9], v1 offset:1408
	scratch_load_b128 v[14:17], off, off offset:752
	s_waitcnt vmcnt(9) lgkmcnt(1)
	v_mul_f64 v[202:203], v[2:3], v[20:21]
	v_mul_f64 v[20:21], v[4:5], v[20:21]
	v_add_f64 v[198:199], v[198:199], v[210:211]
	v_add_f64 v[200:201], v[200:201], v[204:205]
	s_waitcnt vmcnt(8) lgkmcnt(0)
	v_mul_f64 v[204:205], v[6:7], v[24:25]
	v_mul_f64 v[24:25], v[8:9], v[24:25]
	v_fma_f64 v[202:203], v[4:5], v[18:19], v[202:203]
	v_fma_f64 v[210:211], v[2:3], v[18:19], -v[20:21]
	scratch_load_b128 v[18:21], off, off offset:768
	ds_load_b128 v[2:5], v1 offset:1424
	v_add_f64 v[198:199], v[198:199], v[208:209]
	v_add_f64 v[200:201], v[200:201], v[206:207]
	v_fma_f64 v[204:205], v[8:9], v[22:23], v[204:205]
	v_fma_f64 v[22:23], v[6:7], v[22:23], -v[24:25]
	ds_load_b128 v[6:9], v1 offset:1440
	s_waitcnt vmcnt(8) lgkmcnt(1)
	v_mul_f64 v[206:207], v[2:3], v[28:29]
	v_mul_f64 v[28:29], v[4:5], v[28:29]
	v_add_f64 v[24:25], v[198:199], v[210:211]
	v_add_f64 v[198:199], v[200:201], v[202:203]
	s_waitcnt vmcnt(7) lgkmcnt(0)
	v_mul_f64 v[200:201], v[6:7], v[32:33]
	v_mul_f64 v[32:33], v[8:9], v[32:33]
	v_fma_f64 v[202:203], v[4:5], v[26:27], v[206:207]
	v_fma_f64 v[26:27], v[2:3], v[26:27], -v[28:29]
	ds_load_b128 v[2:5], v1 offset:1456
	v_add_f64 v[22:23], v[24:25], v[22:23]
	v_add_f64 v[24:25], v[198:199], v[204:205]
	v_fma_f64 v[198:199], v[8:9], v[30:31], v[200:201]
	v_fma_f64 v[30:31], v[6:7], v[30:31], -v[32:33]
	ds_load_b128 v[6:9], v1 offset:1472
	s_waitcnt vmcnt(5) lgkmcnt(0)
	v_mul_f64 v[200:201], v[6:7], v[196:197]
	v_mul_f64 v[196:197], v[8:9], v[196:197]
	v_add_f64 v[26:27], v[22:23], v[26:27]
	v_add_f64 v[32:33], v[24:25], v[202:203]
	scratch_load_b128 v[22:25], off, off offset:528
	v_mul_f64 v[28:29], v[2:3], v[40:41]
	v_mul_f64 v[40:41], v[4:5], v[40:41]
	v_add_f64 v[26:27], v[26:27], v[30:31]
	v_add_f64 v[30:31], v[32:33], v[198:199]
	s_delay_alu instid0(VALU_DEP_4) | instskip(NEXT) | instid1(VALU_DEP_4)
	v_fma_f64 v[28:29], v[4:5], v[38:39], v[28:29]
	v_fma_f64 v[38:39], v[2:3], v[38:39], -v[40:41]
	ds_load_b128 v[2:5], v1 offset:1488
	v_fma_f64 v[40:41], v[8:9], v[194:195], v[200:201]
	v_fma_f64 v[194:195], v[6:7], v[194:195], -v[196:197]
	ds_load_b128 v[6:9], v1 offset:1504
	s_waitcnt vmcnt(5) lgkmcnt(1)
	v_mul_f64 v[32:33], v[2:3], v[36:37]
	v_mul_f64 v[36:37], v[4:5], v[36:37]
	v_add_f64 v[28:29], v[30:31], v[28:29]
	v_add_f64 v[26:27], v[26:27], v[38:39]
	s_waitcnt vmcnt(4) lgkmcnt(0)
	v_mul_f64 v[30:31], v[6:7], v[192:193]
	v_mul_f64 v[38:39], v[8:9], v[192:193]
	v_fma_f64 v[32:33], v[4:5], v[34:35], v[32:33]
	v_fma_f64 v[34:35], v[2:3], v[34:35], -v[36:37]
	ds_load_b128 v[2:5], v1 offset:1520
	v_add_f64 v[28:29], v[28:29], v[40:41]
	v_add_f64 v[26:27], v[26:27], v[194:195]
	v_fma_f64 v[30:31], v[8:9], v[190:191], v[30:31]
	v_fma_f64 v[38:39], v[6:7], v[190:191], -v[38:39]
	ds_load_b128 v[6:9], v1 offset:1536
	s_waitcnt vmcnt(3) lgkmcnt(1)
	v_mul_f64 v[36:37], v[2:3], v[12:13]
	v_mul_f64 v[12:13], v[4:5], v[12:13]
	v_add_f64 v[28:29], v[28:29], v[32:33]
	v_add_f64 v[26:27], v[26:27], v[34:35]
	s_waitcnt vmcnt(2) lgkmcnt(0)
	v_mul_f64 v[32:33], v[6:7], v[16:17]
	v_mul_f64 v[16:17], v[8:9], v[16:17]
	v_fma_f64 v[34:35], v[4:5], v[10:11], v[36:37]
	v_fma_f64 v[10:11], v[2:3], v[10:11], -v[12:13]
	ds_load_b128 v[2:5], v1 offset:1552
	v_add_f64 v[12:13], v[26:27], v[38:39]
	v_add_f64 v[26:27], v[28:29], v[30:31]
	s_waitcnt vmcnt(1) lgkmcnt(0)
	v_mul_f64 v[28:29], v[2:3], v[20:21]
	v_mul_f64 v[20:21], v[4:5], v[20:21]
	v_fma_f64 v[8:9], v[8:9], v[14:15], v[32:33]
	v_fma_f64 v[6:7], v[6:7], v[14:15], -v[16:17]
	v_add_f64 v[10:11], v[12:13], v[10:11]
	v_add_f64 v[12:13], v[26:27], v[34:35]
	v_fma_f64 v[4:5], v[4:5], v[18:19], v[28:29]
	v_fma_f64 v[2:3], v[2:3], v[18:19], -v[20:21]
	s_delay_alu instid0(VALU_DEP_4) | instskip(NEXT) | instid1(VALU_DEP_4)
	v_add_f64 v[6:7], v[10:11], v[6:7]
	v_add_f64 v[8:9], v[12:13], v[8:9]
	s_delay_alu instid0(VALU_DEP_2) | instskip(NEXT) | instid1(VALU_DEP_2)
	v_add_f64 v[2:3], v[6:7], v[2:3]
	v_add_f64 v[4:5], v[8:9], v[4:5]
	s_waitcnt vmcnt(0)
	s_delay_alu instid0(VALU_DEP_2) | instskip(NEXT) | instid1(VALU_DEP_2)
	v_add_f64 v[2:3], v[22:23], -v[2:3]
	v_add_f64 v[4:5], v[24:25], -v[4:5]
	scratch_store_b128 off, v[2:5], off offset:528
	v_cmpx_lt_u32_e32 32, v140
	s_cbranch_execz .LBB112_243
; %bb.242:
	scratch_load_b128 v[5:8], v157, off
	v_mov_b32_e32 v2, v1
	v_mov_b32_e32 v3, v1
	;; [unrolled: 1-line block ×3, first 2 shown]
	scratch_store_b128 off, v[1:4], off offset:512
	s_waitcnt vmcnt(0)
	ds_store_b128 v189, v[5:8]
.LBB112_243:
	s_or_b32 exec_lo, exec_lo, s2
	s_waitcnt lgkmcnt(0)
	s_waitcnt_vscnt null, 0x0
	s_barrier
	buffer_gl0_inv
	s_clause 0x7
	scratch_load_b128 v[2:5], off, off offset:528
	scratch_load_b128 v[6:9], off, off offset:544
	;; [unrolled: 1-line block ×8, first 2 shown]
	ds_load_b128 v[34:37], v1 offset:1312
	ds_load_b128 v[190:193], v1 offset:1328
	s_clause 0x1
	scratch_load_b128 v[38:41], off, off offset:656
	scratch_load_b128 v[194:197], off, off offset:672
	s_mov_b32 s2, exec_lo
	s_waitcnt vmcnt(9) lgkmcnt(1)
	v_mul_f64 v[198:199], v[36:37], v[4:5]
	v_mul_f64 v[4:5], v[34:35], v[4:5]
	s_waitcnt vmcnt(8) lgkmcnt(0)
	v_mul_f64 v[200:201], v[190:191], v[8:9]
	v_mul_f64 v[8:9], v[192:193], v[8:9]
	s_delay_alu instid0(VALU_DEP_4) | instskip(NEXT) | instid1(VALU_DEP_4)
	v_fma_f64 v[198:199], v[34:35], v[2:3], -v[198:199]
	v_fma_f64 v[202:203], v[36:37], v[2:3], v[4:5]
	ds_load_b128 v[2:5], v1 offset:1344
	scratch_load_b128 v[34:37], off, off offset:688
	v_fma_f64 v[200:201], v[192:193], v[6:7], v[200:201]
	v_fma_f64 v[206:207], v[190:191], v[6:7], -v[8:9]
	ds_load_b128 v[6:9], v1 offset:1360
	scratch_load_b128 v[190:193], off, off offset:704
	s_waitcnt vmcnt(9) lgkmcnt(1)
	v_mul_f64 v[204:205], v[2:3], v[12:13]
	v_mul_f64 v[12:13], v[4:5], v[12:13]
	s_waitcnt vmcnt(8) lgkmcnt(0)
	v_mul_f64 v[208:209], v[6:7], v[16:17]
	v_mul_f64 v[16:17], v[8:9], v[16:17]
	v_add_f64 v[198:199], v[198:199], 0
	v_add_f64 v[202:203], v[202:203], 0
	v_fma_f64 v[204:205], v[4:5], v[10:11], v[204:205]
	v_fma_f64 v[210:211], v[2:3], v[10:11], -v[12:13]
	scratch_load_b128 v[10:13], off, off offset:720
	ds_load_b128 v[2:5], v1 offset:1376
	v_add_f64 v[198:199], v[198:199], v[206:207]
	v_add_f64 v[200:201], v[202:203], v[200:201]
	v_fma_f64 v[206:207], v[8:9], v[14:15], v[208:209]
	v_fma_f64 v[208:209], v[6:7], v[14:15], -v[16:17]
	ds_load_b128 v[6:9], v1 offset:1392
	scratch_load_b128 v[14:17], off, off offset:736
	s_waitcnt vmcnt(9) lgkmcnt(1)
	v_mul_f64 v[202:203], v[2:3], v[20:21]
	v_mul_f64 v[20:21], v[4:5], v[20:21]
	v_add_f64 v[198:199], v[198:199], v[210:211]
	v_add_f64 v[200:201], v[200:201], v[204:205]
	s_waitcnt vmcnt(8) lgkmcnt(0)
	v_mul_f64 v[204:205], v[6:7], v[24:25]
	v_mul_f64 v[24:25], v[8:9], v[24:25]
	v_fma_f64 v[202:203], v[4:5], v[18:19], v[202:203]
	v_fma_f64 v[210:211], v[2:3], v[18:19], -v[20:21]
	scratch_load_b128 v[18:21], off, off offset:752
	ds_load_b128 v[2:5], v1 offset:1408
	v_add_f64 v[198:199], v[198:199], v[208:209]
	v_add_f64 v[200:201], v[200:201], v[206:207]
	v_fma_f64 v[204:205], v[8:9], v[22:23], v[204:205]
	v_fma_f64 v[208:209], v[6:7], v[22:23], -v[24:25]
	ds_load_b128 v[6:9], v1 offset:1424
	s_waitcnt vmcnt(8) lgkmcnt(1)
	v_mul_f64 v[206:207], v[2:3], v[28:29]
	v_mul_f64 v[28:29], v[4:5], v[28:29]
	scratch_load_b128 v[22:25], off, off offset:768
	v_add_f64 v[198:199], v[198:199], v[210:211]
	v_add_f64 v[200:201], v[200:201], v[202:203]
	s_waitcnt vmcnt(8) lgkmcnt(0)
	v_mul_f64 v[202:203], v[6:7], v[32:33]
	v_mul_f64 v[32:33], v[8:9], v[32:33]
	v_fma_f64 v[206:207], v[4:5], v[26:27], v[206:207]
	v_fma_f64 v[26:27], v[2:3], v[26:27], -v[28:29]
	ds_load_b128 v[2:5], v1 offset:1440
	v_add_f64 v[28:29], v[198:199], v[208:209]
	v_add_f64 v[198:199], v[200:201], v[204:205]
	v_fma_f64 v[202:203], v[8:9], v[30:31], v[202:203]
	v_fma_f64 v[30:31], v[6:7], v[30:31], -v[32:33]
	ds_load_b128 v[6:9], v1 offset:1456
	s_waitcnt vmcnt(7) lgkmcnt(1)
	v_mul_f64 v[200:201], v[2:3], v[40:41]
	v_mul_f64 v[40:41], v[4:5], v[40:41]
	v_add_f64 v[26:27], v[28:29], v[26:27]
	v_add_f64 v[28:29], v[198:199], v[206:207]
	s_delay_alu instid0(VALU_DEP_4) | instskip(NEXT) | instid1(VALU_DEP_4)
	v_fma_f64 v[198:199], v[4:5], v[38:39], v[200:201]
	v_fma_f64 v[38:39], v[2:3], v[38:39], -v[40:41]
	ds_load_b128 v[2:5], v1 offset:1472
	v_add_f64 v[30:31], v[26:27], v[30:31]
	v_add_f64 v[40:41], v[28:29], v[202:203]
	scratch_load_b128 v[26:29], off, off offset:512
	s_waitcnt vmcnt(7) lgkmcnt(1)
	v_mul_f64 v[32:33], v[6:7], v[196:197]
	v_mul_f64 v[196:197], v[8:9], v[196:197]
	v_add_f64 v[30:31], v[30:31], v[38:39]
	v_add_f64 v[38:39], v[40:41], v[198:199]
	s_delay_alu instid0(VALU_DEP_4) | instskip(NEXT) | instid1(VALU_DEP_4)
	v_fma_f64 v[32:33], v[8:9], v[194:195], v[32:33]
	v_fma_f64 v[194:195], v[6:7], v[194:195], -v[196:197]
	ds_load_b128 v[6:9], v1 offset:1488
	s_waitcnt vmcnt(6) lgkmcnt(1)
	v_mul_f64 v[200:201], v[2:3], v[36:37]
	v_mul_f64 v[36:37], v[4:5], v[36:37]
	s_waitcnt vmcnt(5) lgkmcnt(0)
	v_mul_f64 v[40:41], v[6:7], v[192:193]
	v_mul_f64 v[192:193], v[8:9], v[192:193]
	v_add_f64 v[32:33], v[38:39], v[32:33]
	v_add_f64 v[30:31], v[30:31], v[194:195]
	v_fma_f64 v[196:197], v[4:5], v[34:35], v[200:201]
	v_fma_f64 v[34:35], v[2:3], v[34:35], -v[36:37]
	ds_load_b128 v[2:5], v1 offset:1504
	v_fma_f64 v[38:39], v[8:9], v[190:191], v[40:41]
	v_fma_f64 v[40:41], v[6:7], v[190:191], -v[192:193]
	ds_load_b128 v[6:9], v1 offset:1520
	s_waitcnt vmcnt(4) lgkmcnt(1)
	v_mul_f64 v[36:37], v[2:3], v[12:13]
	v_mul_f64 v[12:13], v[4:5], v[12:13]
	v_add_f64 v[32:33], v[32:33], v[196:197]
	v_add_f64 v[30:31], v[30:31], v[34:35]
	s_waitcnt vmcnt(3) lgkmcnt(0)
	v_mul_f64 v[34:35], v[6:7], v[16:17]
	v_mul_f64 v[16:17], v[8:9], v[16:17]
	v_fma_f64 v[36:37], v[4:5], v[10:11], v[36:37]
	v_fma_f64 v[10:11], v[2:3], v[10:11], -v[12:13]
	ds_load_b128 v[2:5], v1 offset:1536
	v_add_f64 v[12:13], v[30:31], v[40:41]
	v_add_f64 v[30:31], v[32:33], v[38:39]
	v_fma_f64 v[34:35], v[8:9], v[14:15], v[34:35]
	v_fma_f64 v[14:15], v[6:7], v[14:15], -v[16:17]
	ds_load_b128 v[6:9], v1 offset:1552
	s_waitcnt vmcnt(2) lgkmcnt(1)
	v_mul_f64 v[32:33], v[2:3], v[20:21]
	v_mul_f64 v[20:21], v[4:5], v[20:21]
	s_waitcnt vmcnt(1) lgkmcnt(0)
	v_mul_f64 v[16:17], v[6:7], v[24:25]
	v_mul_f64 v[24:25], v[8:9], v[24:25]
	v_add_f64 v[10:11], v[12:13], v[10:11]
	v_add_f64 v[12:13], v[30:31], v[36:37]
	v_fma_f64 v[4:5], v[4:5], v[18:19], v[32:33]
	v_fma_f64 v[1:2], v[2:3], v[18:19], -v[20:21]
	v_fma_f64 v[8:9], v[8:9], v[22:23], v[16:17]
	v_fma_f64 v[6:7], v[6:7], v[22:23], -v[24:25]
	v_add_f64 v[10:11], v[10:11], v[14:15]
	v_add_f64 v[12:13], v[12:13], v[34:35]
	s_delay_alu instid0(VALU_DEP_2) | instskip(NEXT) | instid1(VALU_DEP_2)
	v_add_f64 v[1:2], v[10:11], v[1:2]
	v_add_f64 v[3:4], v[12:13], v[4:5]
	s_delay_alu instid0(VALU_DEP_2) | instskip(NEXT) | instid1(VALU_DEP_2)
	v_add_f64 v[1:2], v[1:2], v[6:7]
	v_add_f64 v[3:4], v[3:4], v[8:9]
	s_waitcnt vmcnt(0)
	s_delay_alu instid0(VALU_DEP_2) | instskip(NEXT) | instid1(VALU_DEP_2)
	v_add_f64 v[1:2], v[26:27], -v[1:2]
	v_add_f64 v[3:4], v[28:29], -v[3:4]
	scratch_store_b128 off, v[1:4], off offset:512
	v_cmpx_lt_u32_e32 31, v140
	s_cbranch_execz .LBB112_245
; %bb.244:
	scratch_load_b128 v[1:4], v158, off
	v_mov_b32_e32 v5, 0
	s_delay_alu instid0(VALU_DEP_1)
	v_mov_b32_e32 v6, v5
	v_mov_b32_e32 v7, v5
	;; [unrolled: 1-line block ×3, first 2 shown]
	scratch_store_b128 off, v[5:8], off offset:496
	s_waitcnt vmcnt(0)
	ds_store_b128 v189, v[1:4]
.LBB112_245:
	s_or_b32 exec_lo, exec_lo, s2
	s_waitcnt lgkmcnt(0)
	s_waitcnt_vscnt null, 0x0
	s_barrier
	buffer_gl0_inv
	s_clause 0x7
	scratch_load_b128 v[2:5], off, off offset:512
	scratch_load_b128 v[6:9], off, off offset:528
	;; [unrolled: 1-line block ×8, first 2 shown]
	v_mov_b32_e32 v1, 0
	s_clause 0x1
	scratch_load_b128 v[38:41], off, off offset:640
	scratch_load_b128 v[194:197], off, off offset:656
	s_mov_b32 s2, exec_lo
	ds_load_b128 v[34:37], v1 offset:1296
	ds_load_b128 v[190:193], v1 offset:1312
	s_waitcnt vmcnt(9) lgkmcnt(1)
	v_mul_f64 v[198:199], v[36:37], v[4:5]
	v_mul_f64 v[4:5], v[34:35], v[4:5]
	s_waitcnt vmcnt(8) lgkmcnt(0)
	v_mul_f64 v[200:201], v[190:191], v[8:9]
	v_mul_f64 v[8:9], v[192:193], v[8:9]
	s_delay_alu instid0(VALU_DEP_4) | instskip(NEXT) | instid1(VALU_DEP_4)
	v_fma_f64 v[198:199], v[34:35], v[2:3], -v[198:199]
	v_fma_f64 v[202:203], v[36:37], v[2:3], v[4:5]
	ds_load_b128 v[2:5], v1 offset:1328
	scratch_load_b128 v[34:37], off, off offset:672
	v_fma_f64 v[200:201], v[192:193], v[6:7], v[200:201]
	v_fma_f64 v[206:207], v[190:191], v[6:7], -v[8:9]
	ds_load_b128 v[6:9], v1 offset:1344
	scratch_load_b128 v[190:193], off, off offset:688
	s_waitcnt vmcnt(9) lgkmcnt(1)
	v_mul_f64 v[204:205], v[2:3], v[12:13]
	v_mul_f64 v[12:13], v[4:5], v[12:13]
	s_waitcnt vmcnt(8) lgkmcnt(0)
	v_mul_f64 v[208:209], v[6:7], v[16:17]
	v_mul_f64 v[16:17], v[8:9], v[16:17]
	v_add_f64 v[198:199], v[198:199], 0
	v_add_f64 v[202:203], v[202:203], 0
	v_fma_f64 v[204:205], v[4:5], v[10:11], v[204:205]
	v_fma_f64 v[210:211], v[2:3], v[10:11], -v[12:13]
	scratch_load_b128 v[10:13], off, off offset:704
	ds_load_b128 v[2:5], v1 offset:1360
	v_add_f64 v[198:199], v[198:199], v[206:207]
	v_add_f64 v[200:201], v[202:203], v[200:201]
	v_fma_f64 v[206:207], v[8:9], v[14:15], v[208:209]
	v_fma_f64 v[208:209], v[6:7], v[14:15], -v[16:17]
	ds_load_b128 v[6:9], v1 offset:1376
	scratch_load_b128 v[14:17], off, off offset:720
	s_waitcnt vmcnt(9) lgkmcnt(1)
	v_mul_f64 v[202:203], v[2:3], v[20:21]
	v_mul_f64 v[20:21], v[4:5], v[20:21]
	v_add_f64 v[198:199], v[198:199], v[210:211]
	v_add_f64 v[200:201], v[200:201], v[204:205]
	s_waitcnt vmcnt(8) lgkmcnt(0)
	v_mul_f64 v[204:205], v[6:7], v[24:25]
	v_mul_f64 v[24:25], v[8:9], v[24:25]
	v_fma_f64 v[202:203], v[4:5], v[18:19], v[202:203]
	v_fma_f64 v[210:211], v[2:3], v[18:19], -v[20:21]
	scratch_load_b128 v[18:21], off, off offset:736
	ds_load_b128 v[2:5], v1 offset:1392
	v_add_f64 v[198:199], v[198:199], v[208:209]
	v_add_f64 v[200:201], v[200:201], v[206:207]
	v_fma_f64 v[204:205], v[8:9], v[22:23], v[204:205]
	v_fma_f64 v[208:209], v[6:7], v[22:23], -v[24:25]
	ds_load_b128 v[6:9], v1 offset:1408
	s_waitcnt vmcnt(8) lgkmcnt(1)
	v_mul_f64 v[206:207], v[2:3], v[28:29]
	v_mul_f64 v[28:29], v[4:5], v[28:29]
	scratch_load_b128 v[22:25], off, off offset:752
	v_add_f64 v[198:199], v[198:199], v[210:211]
	v_add_f64 v[200:201], v[200:201], v[202:203]
	s_waitcnt vmcnt(8) lgkmcnt(0)
	v_mul_f64 v[202:203], v[6:7], v[32:33]
	v_mul_f64 v[32:33], v[8:9], v[32:33]
	v_fma_f64 v[206:207], v[4:5], v[26:27], v[206:207]
	v_fma_f64 v[210:211], v[2:3], v[26:27], -v[28:29]
	scratch_load_b128 v[26:29], off, off offset:768
	ds_load_b128 v[2:5], v1 offset:1424
	v_add_f64 v[198:199], v[198:199], v[208:209]
	v_add_f64 v[200:201], v[200:201], v[204:205]
	v_fma_f64 v[202:203], v[8:9], v[30:31], v[202:203]
	v_fma_f64 v[30:31], v[6:7], v[30:31], -v[32:33]
	ds_load_b128 v[6:9], v1 offset:1440
	s_waitcnt vmcnt(8) lgkmcnt(1)
	v_mul_f64 v[204:205], v[2:3], v[40:41]
	v_mul_f64 v[40:41], v[4:5], v[40:41]
	v_add_f64 v[32:33], v[198:199], v[210:211]
	v_add_f64 v[198:199], v[200:201], v[206:207]
	s_waitcnt vmcnt(7) lgkmcnt(0)
	v_mul_f64 v[200:201], v[6:7], v[196:197]
	v_mul_f64 v[196:197], v[8:9], v[196:197]
	v_fma_f64 v[204:205], v[4:5], v[38:39], v[204:205]
	v_fma_f64 v[38:39], v[2:3], v[38:39], -v[40:41]
	ds_load_b128 v[2:5], v1 offset:1456
	v_add_f64 v[30:31], v[32:33], v[30:31]
	v_add_f64 v[32:33], v[198:199], v[202:203]
	v_fma_f64 v[198:199], v[8:9], v[194:195], v[200:201]
	v_fma_f64 v[194:195], v[6:7], v[194:195], -v[196:197]
	ds_load_b128 v[6:9], v1 offset:1472
	s_waitcnt vmcnt(5) lgkmcnt(0)
	v_mul_f64 v[200:201], v[6:7], v[192:193]
	v_mul_f64 v[192:193], v[8:9], v[192:193]
	v_add_f64 v[38:39], v[30:31], v[38:39]
	v_add_f64 v[196:197], v[32:33], v[204:205]
	scratch_load_b128 v[30:33], off, off offset:496
	v_mul_f64 v[40:41], v[2:3], v[36:37]
	v_mul_f64 v[36:37], v[4:5], v[36:37]
	s_delay_alu instid0(VALU_DEP_2) | instskip(NEXT) | instid1(VALU_DEP_2)
	v_fma_f64 v[40:41], v[4:5], v[34:35], v[40:41]
	v_fma_f64 v[34:35], v[2:3], v[34:35], -v[36:37]
	v_add_f64 v[36:37], v[38:39], v[194:195]
	v_add_f64 v[38:39], v[196:197], v[198:199]
	ds_load_b128 v[2:5], v1 offset:1488
	v_fma_f64 v[196:197], v[8:9], v[190:191], v[200:201]
	v_fma_f64 v[190:191], v[6:7], v[190:191], -v[192:193]
	ds_load_b128 v[6:9], v1 offset:1504
	s_waitcnt vmcnt(5) lgkmcnt(1)
	v_mul_f64 v[194:195], v[2:3], v[12:13]
	v_mul_f64 v[12:13], v[4:5], v[12:13]
	v_add_f64 v[34:35], v[36:37], v[34:35]
	v_add_f64 v[36:37], v[38:39], v[40:41]
	s_waitcnt vmcnt(4) lgkmcnt(0)
	v_mul_f64 v[38:39], v[6:7], v[16:17]
	v_mul_f64 v[16:17], v[8:9], v[16:17]
	v_fma_f64 v[40:41], v[4:5], v[10:11], v[194:195]
	v_fma_f64 v[10:11], v[2:3], v[10:11], -v[12:13]
	ds_load_b128 v[2:5], v1 offset:1520
	v_add_f64 v[12:13], v[34:35], v[190:191]
	v_add_f64 v[34:35], v[36:37], v[196:197]
	v_fma_f64 v[38:39], v[8:9], v[14:15], v[38:39]
	v_fma_f64 v[14:15], v[6:7], v[14:15], -v[16:17]
	ds_load_b128 v[6:9], v1 offset:1536
	s_waitcnt vmcnt(3) lgkmcnt(1)
	v_mul_f64 v[36:37], v[2:3], v[20:21]
	v_mul_f64 v[20:21], v[4:5], v[20:21]
	s_waitcnt vmcnt(2) lgkmcnt(0)
	v_mul_f64 v[16:17], v[6:7], v[24:25]
	v_mul_f64 v[24:25], v[8:9], v[24:25]
	v_add_f64 v[10:11], v[12:13], v[10:11]
	v_add_f64 v[12:13], v[34:35], v[40:41]
	v_fma_f64 v[34:35], v[4:5], v[18:19], v[36:37]
	v_fma_f64 v[18:19], v[2:3], v[18:19], -v[20:21]
	ds_load_b128 v[2:5], v1 offset:1552
	v_fma_f64 v[8:9], v[8:9], v[22:23], v[16:17]
	v_fma_f64 v[6:7], v[6:7], v[22:23], -v[24:25]
	s_waitcnt vmcnt(1) lgkmcnt(0)
	v_mul_f64 v[20:21], v[4:5], v[28:29]
	v_add_f64 v[10:11], v[10:11], v[14:15]
	v_add_f64 v[12:13], v[12:13], v[38:39]
	v_mul_f64 v[14:15], v[2:3], v[28:29]
	s_delay_alu instid0(VALU_DEP_4) | instskip(NEXT) | instid1(VALU_DEP_4)
	v_fma_f64 v[2:3], v[2:3], v[26:27], -v[20:21]
	v_add_f64 v[10:11], v[10:11], v[18:19]
	s_delay_alu instid0(VALU_DEP_4) | instskip(NEXT) | instid1(VALU_DEP_4)
	v_add_f64 v[12:13], v[12:13], v[34:35]
	v_fma_f64 v[4:5], v[4:5], v[26:27], v[14:15]
	s_delay_alu instid0(VALU_DEP_3) | instskip(NEXT) | instid1(VALU_DEP_3)
	v_add_f64 v[6:7], v[10:11], v[6:7]
	v_add_f64 v[8:9], v[12:13], v[8:9]
	s_delay_alu instid0(VALU_DEP_2) | instskip(NEXT) | instid1(VALU_DEP_2)
	v_add_f64 v[2:3], v[6:7], v[2:3]
	v_add_f64 v[4:5], v[8:9], v[4:5]
	s_waitcnt vmcnt(0)
	s_delay_alu instid0(VALU_DEP_2) | instskip(NEXT) | instid1(VALU_DEP_2)
	v_add_f64 v[2:3], v[30:31], -v[2:3]
	v_add_f64 v[4:5], v[32:33], -v[4:5]
	scratch_store_b128 off, v[2:5], off offset:496
	v_cmpx_lt_u32_e32 30, v140
	s_cbranch_execz .LBB112_247
; %bb.246:
	scratch_load_b128 v[5:8], v159, off
	v_mov_b32_e32 v2, v1
	v_mov_b32_e32 v3, v1
	;; [unrolled: 1-line block ×3, first 2 shown]
	scratch_store_b128 off, v[1:4], off offset:480
	s_waitcnt vmcnt(0)
	ds_store_b128 v189, v[5:8]
.LBB112_247:
	s_or_b32 exec_lo, exec_lo, s2
	s_waitcnt lgkmcnt(0)
	s_waitcnt_vscnt null, 0x0
	s_barrier
	buffer_gl0_inv
	s_clause 0x7
	scratch_load_b128 v[2:5], off, off offset:496
	scratch_load_b128 v[6:9], off, off offset:512
	;; [unrolled: 1-line block ×8, first 2 shown]
	ds_load_b128 v[34:37], v1 offset:1280
	ds_load_b128 v[190:193], v1 offset:1296
	s_clause 0x1
	scratch_load_b128 v[38:41], off, off offset:624
	scratch_load_b128 v[194:197], off, off offset:640
	s_mov_b32 s2, exec_lo
	s_waitcnt vmcnt(9) lgkmcnt(1)
	v_mul_f64 v[198:199], v[36:37], v[4:5]
	v_mul_f64 v[4:5], v[34:35], v[4:5]
	s_waitcnt vmcnt(8) lgkmcnt(0)
	v_mul_f64 v[200:201], v[190:191], v[8:9]
	v_mul_f64 v[8:9], v[192:193], v[8:9]
	s_delay_alu instid0(VALU_DEP_4) | instskip(NEXT) | instid1(VALU_DEP_4)
	v_fma_f64 v[198:199], v[34:35], v[2:3], -v[198:199]
	v_fma_f64 v[202:203], v[36:37], v[2:3], v[4:5]
	scratch_load_b128 v[34:37], off, off offset:656
	ds_load_b128 v[2:5], v1 offset:1312
	v_fma_f64 v[200:201], v[192:193], v[6:7], v[200:201]
	v_fma_f64 v[206:207], v[190:191], v[6:7], -v[8:9]
	ds_load_b128 v[6:9], v1 offset:1328
	scratch_load_b128 v[190:193], off, off offset:672
	s_waitcnt vmcnt(9) lgkmcnt(1)
	v_mul_f64 v[204:205], v[2:3], v[12:13]
	v_mul_f64 v[12:13], v[4:5], v[12:13]
	s_waitcnt vmcnt(8) lgkmcnt(0)
	v_mul_f64 v[208:209], v[6:7], v[16:17]
	v_mul_f64 v[16:17], v[8:9], v[16:17]
	v_add_f64 v[198:199], v[198:199], 0
	v_add_f64 v[202:203], v[202:203], 0
	v_fma_f64 v[204:205], v[4:5], v[10:11], v[204:205]
	v_fma_f64 v[210:211], v[2:3], v[10:11], -v[12:13]
	scratch_load_b128 v[10:13], off, off offset:688
	ds_load_b128 v[2:5], v1 offset:1344
	v_add_f64 v[198:199], v[198:199], v[206:207]
	v_add_f64 v[200:201], v[202:203], v[200:201]
	v_fma_f64 v[206:207], v[8:9], v[14:15], v[208:209]
	v_fma_f64 v[208:209], v[6:7], v[14:15], -v[16:17]
	ds_load_b128 v[6:9], v1 offset:1360
	scratch_load_b128 v[14:17], off, off offset:704
	s_waitcnt vmcnt(9) lgkmcnt(1)
	v_mul_f64 v[202:203], v[2:3], v[20:21]
	v_mul_f64 v[20:21], v[4:5], v[20:21]
	v_add_f64 v[198:199], v[198:199], v[210:211]
	v_add_f64 v[200:201], v[200:201], v[204:205]
	s_waitcnt vmcnt(8) lgkmcnt(0)
	v_mul_f64 v[204:205], v[6:7], v[24:25]
	v_mul_f64 v[24:25], v[8:9], v[24:25]
	v_fma_f64 v[202:203], v[4:5], v[18:19], v[202:203]
	v_fma_f64 v[210:211], v[2:3], v[18:19], -v[20:21]
	scratch_load_b128 v[18:21], off, off offset:720
	ds_load_b128 v[2:5], v1 offset:1376
	v_add_f64 v[198:199], v[198:199], v[208:209]
	v_add_f64 v[200:201], v[200:201], v[206:207]
	v_fma_f64 v[204:205], v[8:9], v[22:23], v[204:205]
	v_fma_f64 v[208:209], v[6:7], v[22:23], -v[24:25]
	ds_load_b128 v[6:9], v1 offset:1392
	s_waitcnt vmcnt(8) lgkmcnt(1)
	v_mul_f64 v[206:207], v[2:3], v[28:29]
	v_mul_f64 v[28:29], v[4:5], v[28:29]
	scratch_load_b128 v[22:25], off, off offset:736
	v_add_f64 v[198:199], v[198:199], v[210:211]
	v_add_f64 v[200:201], v[200:201], v[202:203]
	s_waitcnt vmcnt(8) lgkmcnt(0)
	v_mul_f64 v[202:203], v[6:7], v[32:33]
	v_mul_f64 v[32:33], v[8:9], v[32:33]
	v_fma_f64 v[206:207], v[4:5], v[26:27], v[206:207]
	v_fma_f64 v[210:211], v[2:3], v[26:27], -v[28:29]
	scratch_load_b128 v[26:29], off, off offset:752
	ds_load_b128 v[2:5], v1 offset:1408
	v_add_f64 v[198:199], v[198:199], v[208:209]
	v_add_f64 v[200:201], v[200:201], v[204:205]
	v_fma_f64 v[202:203], v[8:9], v[30:31], v[202:203]
	v_fma_f64 v[208:209], v[6:7], v[30:31], -v[32:33]
	ds_load_b128 v[6:9], v1 offset:1424
	s_waitcnt vmcnt(8) lgkmcnt(1)
	v_mul_f64 v[204:205], v[2:3], v[40:41]
	v_mul_f64 v[40:41], v[4:5], v[40:41]
	scratch_load_b128 v[30:33], off, off offset:768
	v_add_f64 v[198:199], v[198:199], v[210:211]
	v_add_f64 v[200:201], v[200:201], v[206:207]
	v_fma_f64 v[204:205], v[4:5], v[38:39], v[204:205]
	v_fma_f64 v[38:39], v[2:3], v[38:39], -v[40:41]
	ds_load_b128 v[2:5], v1 offset:1440
	v_add_f64 v[40:41], v[198:199], v[208:209]
	v_add_f64 v[198:199], v[200:201], v[202:203]
	s_waitcnt vmcnt(7) lgkmcnt(0)
	v_mul_f64 v[200:201], v[2:3], v[36:37]
	v_mul_f64 v[36:37], v[4:5], v[36:37]
	s_delay_alu instid0(VALU_DEP_4) | instskip(NEXT) | instid1(VALU_DEP_4)
	v_add_f64 v[38:39], v[40:41], v[38:39]
	v_add_f64 v[40:41], v[198:199], v[204:205]
	s_delay_alu instid0(VALU_DEP_4) | instskip(NEXT) | instid1(VALU_DEP_4)
	v_fma_f64 v[198:199], v[4:5], v[34:35], v[200:201]
	v_fma_f64 v[200:201], v[2:3], v[34:35], -v[36:37]
	scratch_load_b128 v[34:37], off, off offset:480
	v_mul_f64 v[206:207], v[6:7], v[196:197]
	v_mul_f64 v[196:197], v[8:9], v[196:197]
	ds_load_b128 v[2:5], v1 offset:1472
	v_fma_f64 v[202:203], v[8:9], v[194:195], v[206:207]
	v_fma_f64 v[194:195], v[6:7], v[194:195], -v[196:197]
	ds_load_b128 v[6:9], v1 offset:1456
	s_waitcnt vmcnt(7) lgkmcnt(0)
	v_mul_f64 v[196:197], v[6:7], v[192:193]
	v_mul_f64 v[192:193], v[8:9], v[192:193]
	v_add_f64 v[40:41], v[40:41], v[202:203]
	v_add_f64 v[38:39], v[38:39], v[194:195]
	s_waitcnt vmcnt(6)
	v_mul_f64 v[194:195], v[2:3], v[12:13]
	v_mul_f64 v[12:13], v[4:5], v[12:13]
	v_fma_f64 v[196:197], v[8:9], v[190:191], v[196:197]
	v_fma_f64 v[190:191], v[6:7], v[190:191], -v[192:193]
	ds_load_b128 v[6:9], v1 offset:1488
	v_add_f64 v[40:41], v[40:41], v[198:199]
	v_add_f64 v[38:39], v[38:39], v[200:201]
	v_fma_f64 v[194:195], v[4:5], v[10:11], v[194:195]
	v_fma_f64 v[10:11], v[2:3], v[10:11], -v[12:13]
	ds_load_b128 v[2:5], v1 offset:1504
	s_waitcnt vmcnt(5) lgkmcnt(1)
	v_mul_f64 v[192:193], v[6:7], v[16:17]
	v_mul_f64 v[16:17], v[8:9], v[16:17]
	v_add_f64 v[12:13], v[38:39], v[190:191]
	v_add_f64 v[38:39], v[40:41], v[196:197]
	s_waitcnt vmcnt(4) lgkmcnt(0)
	v_mul_f64 v[40:41], v[2:3], v[20:21]
	v_mul_f64 v[20:21], v[4:5], v[20:21]
	v_fma_f64 v[190:191], v[8:9], v[14:15], v[192:193]
	v_fma_f64 v[14:15], v[6:7], v[14:15], -v[16:17]
	ds_load_b128 v[6:9], v1 offset:1520
	v_add_f64 v[10:11], v[12:13], v[10:11]
	v_add_f64 v[12:13], v[38:39], v[194:195]
	v_fma_f64 v[38:39], v[4:5], v[18:19], v[40:41]
	v_fma_f64 v[18:19], v[2:3], v[18:19], -v[20:21]
	ds_load_b128 v[2:5], v1 offset:1536
	s_waitcnt vmcnt(3) lgkmcnt(1)
	v_mul_f64 v[16:17], v[6:7], v[24:25]
	v_mul_f64 v[24:25], v[8:9], v[24:25]
	s_waitcnt vmcnt(2) lgkmcnt(0)
	v_mul_f64 v[20:21], v[4:5], v[28:29]
	v_add_f64 v[10:11], v[10:11], v[14:15]
	v_add_f64 v[12:13], v[12:13], v[190:191]
	v_mul_f64 v[14:15], v[2:3], v[28:29]
	v_fma_f64 v[16:17], v[8:9], v[22:23], v[16:17]
	v_fma_f64 v[22:23], v[6:7], v[22:23], -v[24:25]
	ds_load_b128 v[6:9], v1 offset:1552
	v_fma_f64 v[1:2], v[2:3], v[26:27], -v[20:21]
	s_waitcnt vmcnt(1) lgkmcnt(0)
	v_mul_f64 v[24:25], v[8:9], v[32:33]
	v_add_f64 v[10:11], v[10:11], v[18:19]
	v_add_f64 v[12:13], v[12:13], v[38:39]
	v_mul_f64 v[18:19], v[6:7], v[32:33]
	v_fma_f64 v[4:5], v[4:5], v[26:27], v[14:15]
	v_fma_f64 v[6:7], v[6:7], v[30:31], -v[24:25]
	v_add_f64 v[10:11], v[10:11], v[22:23]
	v_add_f64 v[12:13], v[12:13], v[16:17]
	v_fma_f64 v[8:9], v[8:9], v[30:31], v[18:19]
	s_delay_alu instid0(VALU_DEP_3) | instskip(NEXT) | instid1(VALU_DEP_3)
	v_add_f64 v[1:2], v[10:11], v[1:2]
	v_add_f64 v[3:4], v[12:13], v[4:5]
	s_delay_alu instid0(VALU_DEP_2) | instskip(NEXT) | instid1(VALU_DEP_2)
	v_add_f64 v[1:2], v[1:2], v[6:7]
	v_add_f64 v[3:4], v[3:4], v[8:9]
	s_waitcnt vmcnt(0)
	s_delay_alu instid0(VALU_DEP_2) | instskip(NEXT) | instid1(VALU_DEP_2)
	v_add_f64 v[1:2], v[34:35], -v[1:2]
	v_add_f64 v[3:4], v[36:37], -v[3:4]
	scratch_store_b128 off, v[1:4], off offset:480
	v_cmpx_lt_u32_e32 29, v140
	s_cbranch_execz .LBB112_249
; %bb.248:
	scratch_load_b128 v[1:4], v160, off
	v_mov_b32_e32 v5, 0
	s_delay_alu instid0(VALU_DEP_1)
	v_mov_b32_e32 v6, v5
	v_mov_b32_e32 v7, v5
	;; [unrolled: 1-line block ×3, first 2 shown]
	scratch_store_b128 off, v[5:8], off offset:464
	s_waitcnt vmcnt(0)
	ds_store_b128 v189, v[1:4]
.LBB112_249:
	s_or_b32 exec_lo, exec_lo, s2
	s_waitcnt lgkmcnt(0)
	s_waitcnt_vscnt null, 0x0
	s_barrier
	buffer_gl0_inv
	s_clause 0x7
	scratch_load_b128 v[2:5], off, off offset:480
	scratch_load_b128 v[6:9], off, off offset:496
	;; [unrolled: 1-line block ×8, first 2 shown]
	v_mov_b32_e32 v1, 0
	s_clause 0x1
	scratch_load_b128 v[38:41], off, off offset:608
	scratch_load_b128 v[194:197], off, off offset:624
	s_mov_b32 s2, exec_lo
	ds_load_b128 v[34:37], v1 offset:1264
	ds_load_b128 v[190:193], v1 offset:1280
	s_waitcnt vmcnt(9) lgkmcnt(1)
	v_mul_f64 v[198:199], v[36:37], v[4:5]
	v_mul_f64 v[4:5], v[34:35], v[4:5]
	s_waitcnt vmcnt(8) lgkmcnt(0)
	v_mul_f64 v[200:201], v[190:191], v[8:9]
	v_mul_f64 v[8:9], v[192:193], v[8:9]
	s_delay_alu instid0(VALU_DEP_4) | instskip(NEXT) | instid1(VALU_DEP_4)
	v_fma_f64 v[198:199], v[34:35], v[2:3], -v[198:199]
	v_fma_f64 v[202:203], v[36:37], v[2:3], v[4:5]
	ds_load_b128 v[2:5], v1 offset:1296
	scratch_load_b128 v[34:37], off, off offset:640
	v_fma_f64 v[200:201], v[192:193], v[6:7], v[200:201]
	v_fma_f64 v[206:207], v[190:191], v[6:7], -v[8:9]
	scratch_load_b128 v[190:193], off, off offset:656
	ds_load_b128 v[6:9], v1 offset:1312
	s_waitcnt vmcnt(9) lgkmcnt(1)
	v_mul_f64 v[204:205], v[2:3], v[12:13]
	v_mul_f64 v[12:13], v[4:5], v[12:13]
	s_waitcnt vmcnt(8) lgkmcnt(0)
	v_mul_f64 v[208:209], v[6:7], v[16:17]
	v_mul_f64 v[16:17], v[8:9], v[16:17]
	v_add_f64 v[198:199], v[198:199], 0
	v_add_f64 v[202:203], v[202:203], 0
	v_fma_f64 v[204:205], v[4:5], v[10:11], v[204:205]
	v_fma_f64 v[210:211], v[2:3], v[10:11], -v[12:13]
	ds_load_b128 v[2:5], v1 offset:1328
	scratch_load_b128 v[10:13], off, off offset:672
	v_add_f64 v[198:199], v[198:199], v[206:207]
	v_add_f64 v[200:201], v[202:203], v[200:201]
	v_fma_f64 v[206:207], v[8:9], v[14:15], v[208:209]
	v_fma_f64 v[208:209], v[6:7], v[14:15], -v[16:17]
	ds_load_b128 v[6:9], v1 offset:1344
	scratch_load_b128 v[14:17], off, off offset:688
	s_waitcnt vmcnt(9) lgkmcnt(1)
	v_mul_f64 v[202:203], v[2:3], v[20:21]
	v_mul_f64 v[20:21], v[4:5], v[20:21]
	v_add_f64 v[198:199], v[198:199], v[210:211]
	v_add_f64 v[200:201], v[200:201], v[204:205]
	s_waitcnt vmcnt(8) lgkmcnt(0)
	v_mul_f64 v[204:205], v[6:7], v[24:25]
	v_mul_f64 v[24:25], v[8:9], v[24:25]
	v_fma_f64 v[202:203], v[4:5], v[18:19], v[202:203]
	v_fma_f64 v[210:211], v[2:3], v[18:19], -v[20:21]
	scratch_load_b128 v[18:21], off, off offset:704
	ds_load_b128 v[2:5], v1 offset:1360
	v_add_f64 v[198:199], v[198:199], v[208:209]
	v_add_f64 v[200:201], v[200:201], v[206:207]
	v_fma_f64 v[204:205], v[8:9], v[22:23], v[204:205]
	v_fma_f64 v[208:209], v[6:7], v[22:23], -v[24:25]
	ds_load_b128 v[6:9], v1 offset:1376
	s_waitcnt vmcnt(8) lgkmcnt(1)
	v_mul_f64 v[206:207], v[2:3], v[28:29]
	v_mul_f64 v[28:29], v[4:5], v[28:29]
	scratch_load_b128 v[22:25], off, off offset:720
	v_add_f64 v[198:199], v[198:199], v[210:211]
	v_add_f64 v[200:201], v[200:201], v[202:203]
	s_waitcnt vmcnt(8) lgkmcnt(0)
	v_mul_f64 v[202:203], v[6:7], v[32:33]
	v_mul_f64 v[32:33], v[8:9], v[32:33]
	v_fma_f64 v[206:207], v[4:5], v[26:27], v[206:207]
	v_fma_f64 v[210:211], v[2:3], v[26:27], -v[28:29]
	scratch_load_b128 v[26:29], off, off offset:736
	ds_load_b128 v[2:5], v1 offset:1392
	v_add_f64 v[198:199], v[198:199], v[208:209]
	v_add_f64 v[200:201], v[200:201], v[204:205]
	v_fma_f64 v[202:203], v[8:9], v[30:31], v[202:203]
	v_fma_f64 v[208:209], v[6:7], v[30:31], -v[32:33]
	ds_load_b128 v[6:9], v1 offset:1408
	s_waitcnt vmcnt(8) lgkmcnt(1)
	v_mul_f64 v[204:205], v[2:3], v[40:41]
	v_mul_f64 v[40:41], v[4:5], v[40:41]
	scratch_load_b128 v[30:33], off, off offset:752
	v_add_f64 v[198:199], v[198:199], v[210:211]
	v_add_f64 v[200:201], v[200:201], v[206:207]
	s_waitcnt vmcnt(8) lgkmcnt(0)
	v_mul_f64 v[206:207], v[6:7], v[196:197]
	v_mul_f64 v[196:197], v[8:9], v[196:197]
	v_fma_f64 v[204:205], v[4:5], v[38:39], v[204:205]
	v_fma_f64 v[210:211], v[2:3], v[38:39], -v[40:41]
	scratch_load_b128 v[38:41], off, off offset:768
	ds_load_b128 v[2:5], v1 offset:1424
	v_add_f64 v[198:199], v[198:199], v[208:209]
	v_add_f64 v[200:201], v[200:201], v[202:203]
	v_fma_f64 v[206:207], v[8:9], v[194:195], v[206:207]
	v_fma_f64 v[194:195], v[6:7], v[194:195], -v[196:197]
	ds_load_b128 v[6:9], v1 offset:1440
	s_waitcnt vmcnt(8) lgkmcnt(1)
	v_mul_f64 v[202:203], v[2:3], v[36:37]
	v_mul_f64 v[36:37], v[4:5], v[36:37]
	v_add_f64 v[196:197], v[198:199], v[210:211]
	v_add_f64 v[198:199], v[200:201], v[204:205]
	s_waitcnt vmcnt(7) lgkmcnt(0)
	v_mul_f64 v[200:201], v[6:7], v[192:193]
	v_mul_f64 v[192:193], v[8:9], v[192:193]
	v_fma_f64 v[202:203], v[4:5], v[34:35], v[202:203]
	v_fma_f64 v[34:35], v[2:3], v[34:35], -v[36:37]
	ds_load_b128 v[2:5], v1 offset:1456
	v_add_f64 v[36:37], v[196:197], v[194:195]
	v_add_f64 v[194:195], v[198:199], v[206:207]
	v_fma_f64 v[198:199], v[8:9], v[190:191], v[200:201]
	v_fma_f64 v[190:191], v[6:7], v[190:191], -v[192:193]
	ds_load_b128 v[6:9], v1 offset:1472
	s_waitcnt vmcnt(5) lgkmcnt(0)
	v_mul_f64 v[200:201], v[6:7], v[16:17]
	v_mul_f64 v[16:17], v[8:9], v[16:17]
	v_add_f64 v[192:193], v[36:37], v[34:35]
	v_add_f64 v[194:195], v[194:195], v[202:203]
	scratch_load_b128 v[34:37], off, off offset:464
	v_mul_f64 v[196:197], v[2:3], v[12:13]
	v_mul_f64 v[12:13], v[4:5], v[12:13]
	s_delay_alu instid0(VALU_DEP_2) | instskip(NEXT) | instid1(VALU_DEP_2)
	v_fma_f64 v[196:197], v[4:5], v[10:11], v[196:197]
	v_fma_f64 v[10:11], v[2:3], v[10:11], -v[12:13]
	v_add_f64 v[12:13], v[192:193], v[190:191]
	v_add_f64 v[190:191], v[194:195], v[198:199]
	ds_load_b128 v[2:5], v1 offset:1488
	v_fma_f64 v[194:195], v[8:9], v[14:15], v[200:201]
	v_fma_f64 v[14:15], v[6:7], v[14:15], -v[16:17]
	ds_load_b128 v[6:9], v1 offset:1504
	s_waitcnt vmcnt(5) lgkmcnt(1)
	v_mul_f64 v[192:193], v[2:3], v[20:21]
	v_mul_f64 v[20:21], v[4:5], v[20:21]
	s_waitcnt vmcnt(4) lgkmcnt(0)
	v_mul_f64 v[16:17], v[6:7], v[24:25]
	v_mul_f64 v[24:25], v[8:9], v[24:25]
	v_add_f64 v[10:11], v[12:13], v[10:11]
	v_add_f64 v[12:13], v[190:191], v[196:197]
	v_fma_f64 v[190:191], v[4:5], v[18:19], v[192:193]
	v_fma_f64 v[18:19], v[2:3], v[18:19], -v[20:21]
	ds_load_b128 v[2:5], v1 offset:1520
	v_fma_f64 v[16:17], v[8:9], v[22:23], v[16:17]
	v_fma_f64 v[22:23], v[6:7], v[22:23], -v[24:25]
	ds_load_b128 v[6:9], v1 offset:1536
	v_add_f64 v[10:11], v[10:11], v[14:15]
	v_add_f64 v[12:13], v[12:13], v[194:195]
	s_waitcnt vmcnt(3) lgkmcnt(1)
	v_mul_f64 v[14:15], v[2:3], v[28:29]
	v_mul_f64 v[20:21], v[4:5], v[28:29]
	s_waitcnt vmcnt(2) lgkmcnt(0)
	v_mul_f64 v[24:25], v[8:9], v[32:33]
	v_add_f64 v[10:11], v[10:11], v[18:19]
	v_add_f64 v[12:13], v[12:13], v[190:191]
	v_mul_f64 v[18:19], v[6:7], v[32:33]
	v_fma_f64 v[14:15], v[4:5], v[26:27], v[14:15]
	v_fma_f64 v[20:21], v[2:3], v[26:27], -v[20:21]
	ds_load_b128 v[2:5], v1 offset:1552
	v_fma_f64 v[6:7], v[6:7], v[30:31], -v[24:25]
	v_add_f64 v[10:11], v[10:11], v[22:23]
	v_add_f64 v[12:13], v[12:13], v[16:17]
	s_waitcnt vmcnt(1) lgkmcnt(0)
	v_mul_f64 v[16:17], v[2:3], v[40:41]
	v_mul_f64 v[22:23], v[4:5], v[40:41]
	v_fma_f64 v[8:9], v[8:9], v[30:31], v[18:19]
	v_add_f64 v[10:11], v[10:11], v[20:21]
	v_add_f64 v[12:13], v[12:13], v[14:15]
	v_fma_f64 v[4:5], v[4:5], v[38:39], v[16:17]
	v_fma_f64 v[2:3], v[2:3], v[38:39], -v[22:23]
	s_delay_alu instid0(VALU_DEP_4) | instskip(NEXT) | instid1(VALU_DEP_4)
	v_add_f64 v[6:7], v[10:11], v[6:7]
	v_add_f64 v[8:9], v[12:13], v[8:9]
	s_delay_alu instid0(VALU_DEP_2) | instskip(NEXT) | instid1(VALU_DEP_2)
	v_add_f64 v[2:3], v[6:7], v[2:3]
	v_add_f64 v[4:5], v[8:9], v[4:5]
	s_waitcnt vmcnt(0)
	s_delay_alu instid0(VALU_DEP_2) | instskip(NEXT) | instid1(VALU_DEP_2)
	v_add_f64 v[2:3], v[34:35], -v[2:3]
	v_add_f64 v[4:5], v[36:37], -v[4:5]
	scratch_store_b128 off, v[2:5], off offset:464
	v_cmpx_lt_u32_e32 28, v140
	s_cbranch_execz .LBB112_251
; %bb.250:
	scratch_load_b128 v[5:8], v161, off
	v_mov_b32_e32 v2, v1
	v_mov_b32_e32 v3, v1
	;; [unrolled: 1-line block ×3, first 2 shown]
	scratch_store_b128 off, v[1:4], off offset:448
	s_waitcnt vmcnt(0)
	ds_store_b128 v189, v[5:8]
.LBB112_251:
	s_or_b32 exec_lo, exec_lo, s2
	s_waitcnt lgkmcnt(0)
	s_waitcnt_vscnt null, 0x0
	s_barrier
	buffer_gl0_inv
	s_clause 0x7
	scratch_load_b128 v[2:5], off, off offset:464
	scratch_load_b128 v[6:9], off, off offset:480
	;; [unrolled: 1-line block ×8, first 2 shown]
	ds_load_b128 v[34:37], v1 offset:1248
	ds_load_b128 v[190:193], v1 offset:1264
	s_clause 0x1
	scratch_load_b128 v[38:41], off, off offset:592
	scratch_load_b128 v[194:197], off, off offset:608
	s_mov_b32 s2, exec_lo
	s_waitcnt vmcnt(9) lgkmcnt(1)
	v_mul_f64 v[198:199], v[36:37], v[4:5]
	v_mul_f64 v[4:5], v[34:35], v[4:5]
	s_waitcnt vmcnt(8) lgkmcnt(0)
	v_mul_f64 v[200:201], v[190:191], v[8:9]
	v_mul_f64 v[8:9], v[192:193], v[8:9]
	s_delay_alu instid0(VALU_DEP_4) | instskip(NEXT) | instid1(VALU_DEP_4)
	v_fma_f64 v[198:199], v[34:35], v[2:3], -v[198:199]
	v_fma_f64 v[202:203], v[36:37], v[2:3], v[4:5]
	ds_load_b128 v[2:5], v1 offset:1280
	scratch_load_b128 v[34:37], off, off offset:624
	v_fma_f64 v[200:201], v[192:193], v[6:7], v[200:201]
	v_fma_f64 v[206:207], v[190:191], v[6:7], -v[8:9]
	ds_load_b128 v[6:9], v1 offset:1296
	scratch_load_b128 v[190:193], off, off offset:640
	s_waitcnt vmcnt(9) lgkmcnt(1)
	v_mul_f64 v[204:205], v[2:3], v[12:13]
	v_mul_f64 v[12:13], v[4:5], v[12:13]
	s_waitcnt vmcnt(8) lgkmcnt(0)
	v_mul_f64 v[208:209], v[6:7], v[16:17]
	v_mul_f64 v[16:17], v[8:9], v[16:17]
	v_add_f64 v[198:199], v[198:199], 0
	v_add_f64 v[202:203], v[202:203], 0
	v_fma_f64 v[204:205], v[4:5], v[10:11], v[204:205]
	v_fma_f64 v[210:211], v[2:3], v[10:11], -v[12:13]
	scratch_load_b128 v[10:13], off, off offset:656
	ds_load_b128 v[2:5], v1 offset:1312
	v_add_f64 v[198:199], v[198:199], v[206:207]
	v_add_f64 v[200:201], v[202:203], v[200:201]
	v_fma_f64 v[206:207], v[8:9], v[14:15], v[208:209]
	v_fma_f64 v[208:209], v[6:7], v[14:15], -v[16:17]
	ds_load_b128 v[6:9], v1 offset:1328
	scratch_load_b128 v[14:17], off, off offset:672
	s_waitcnt vmcnt(9) lgkmcnt(1)
	v_mul_f64 v[202:203], v[2:3], v[20:21]
	v_mul_f64 v[20:21], v[4:5], v[20:21]
	v_add_f64 v[198:199], v[198:199], v[210:211]
	v_add_f64 v[200:201], v[200:201], v[204:205]
	s_waitcnt vmcnt(8) lgkmcnt(0)
	v_mul_f64 v[204:205], v[6:7], v[24:25]
	v_mul_f64 v[24:25], v[8:9], v[24:25]
	v_fma_f64 v[202:203], v[4:5], v[18:19], v[202:203]
	v_fma_f64 v[210:211], v[2:3], v[18:19], -v[20:21]
	scratch_load_b128 v[18:21], off, off offset:688
	ds_load_b128 v[2:5], v1 offset:1344
	v_add_f64 v[198:199], v[198:199], v[208:209]
	v_add_f64 v[200:201], v[200:201], v[206:207]
	v_fma_f64 v[204:205], v[8:9], v[22:23], v[204:205]
	v_fma_f64 v[208:209], v[6:7], v[22:23], -v[24:25]
	ds_load_b128 v[6:9], v1 offset:1360
	s_waitcnt vmcnt(8) lgkmcnt(1)
	v_mul_f64 v[206:207], v[2:3], v[28:29]
	v_mul_f64 v[28:29], v[4:5], v[28:29]
	scratch_load_b128 v[22:25], off, off offset:704
	v_add_f64 v[198:199], v[198:199], v[210:211]
	v_add_f64 v[200:201], v[200:201], v[202:203]
	s_waitcnt vmcnt(8) lgkmcnt(0)
	v_mul_f64 v[202:203], v[6:7], v[32:33]
	v_mul_f64 v[32:33], v[8:9], v[32:33]
	v_fma_f64 v[206:207], v[4:5], v[26:27], v[206:207]
	v_fma_f64 v[210:211], v[2:3], v[26:27], -v[28:29]
	scratch_load_b128 v[26:29], off, off offset:720
	ds_load_b128 v[2:5], v1 offset:1376
	v_add_f64 v[198:199], v[198:199], v[208:209]
	v_add_f64 v[200:201], v[200:201], v[204:205]
	v_fma_f64 v[202:203], v[8:9], v[30:31], v[202:203]
	v_fma_f64 v[208:209], v[6:7], v[30:31], -v[32:33]
	ds_load_b128 v[6:9], v1 offset:1392
	s_waitcnt vmcnt(8) lgkmcnt(1)
	v_mul_f64 v[204:205], v[2:3], v[40:41]
	v_mul_f64 v[40:41], v[4:5], v[40:41]
	scratch_load_b128 v[30:33], off, off offset:736
	v_add_f64 v[198:199], v[198:199], v[210:211]
	v_add_f64 v[200:201], v[200:201], v[206:207]
	s_waitcnt vmcnt(8) lgkmcnt(0)
	v_mul_f64 v[206:207], v[6:7], v[196:197]
	v_mul_f64 v[196:197], v[8:9], v[196:197]
	v_fma_f64 v[204:205], v[4:5], v[38:39], v[204:205]
	v_fma_f64 v[210:211], v[2:3], v[38:39], -v[40:41]
	scratch_load_b128 v[38:41], off, off offset:752
	ds_load_b128 v[2:5], v1 offset:1408
	v_add_f64 v[198:199], v[198:199], v[208:209]
	v_add_f64 v[200:201], v[200:201], v[202:203]
	v_fma_f64 v[206:207], v[8:9], v[194:195], v[206:207]
	v_fma_f64 v[208:209], v[6:7], v[194:195], -v[196:197]
	ds_load_b128 v[6:9], v1 offset:1424
	scratch_load_b128 v[194:197], off, off offset:768
	s_waitcnt vmcnt(9) lgkmcnt(1)
	v_mul_f64 v[202:203], v[2:3], v[36:37]
	v_mul_f64 v[36:37], v[4:5], v[36:37]
	v_add_f64 v[198:199], v[198:199], v[210:211]
	v_add_f64 v[200:201], v[200:201], v[204:205]
	s_delay_alu instid0(VALU_DEP_4) | instskip(NEXT) | instid1(VALU_DEP_4)
	v_fma_f64 v[202:203], v[4:5], v[34:35], v[202:203]
	v_fma_f64 v[34:35], v[2:3], v[34:35], -v[36:37]
	ds_load_b128 v[2:5], v1 offset:1440
	v_add_f64 v[36:37], v[198:199], v[208:209]
	v_add_f64 v[198:199], v[200:201], v[206:207]
	s_waitcnt vmcnt(7) lgkmcnt(0)
	v_mul_f64 v[200:201], v[2:3], v[12:13]
	v_mul_f64 v[12:13], v[4:5], v[12:13]
	s_delay_alu instid0(VALU_DEP_4) | instskip(NEXT) | instid1(VALU_DEP_4)
	v_add_f64 v[34:35], v[36:37], v[34:35]
	v_add_f64 v[36:37], v[198:199], v[202:203]
	s_delay_alu instid0(VALU_DEP_4) | instskip(NEXT) | instid1(VALU_DEP_4)
	v_fma_f64 v[198:199], v[4:5], v[10:11], v[200:201]
	v_fma_f64 v[200:201], v[2:3], v[10:11], -v[12:13]
	scratch_load_b128 v[10:13], off, off offset:448
	v_mul_f64 v[204:205], v[6:7], v[192:193]
	v_mul_f64 v[192:193], v[8:9], v[192:193]
	ds_load_b128 v[2:5], v1 offset:1472
	v_fma_f64 v[204:205], v[8:9], v[190:191], v[204:205]
	v_fma_f64 v[190:191], v[6:7], v[190:191], -v[192:193]
	ds_load_b128 v[6:9], v1 offset:1456
	s_waitcnt vmcnt(7) lgkmcnt(0)
	v_mul_f64 v[192:193], v[6:7], v[16:17]
	v_mul_f64 v[16:17], v[8:9], v[16:17]
	v_add_f64 v[36:37], v[36:37], v[204:205]
	v_add_f64 v[34:35], v[34:35], v[190:191]
	s_waitcnt vmcnt(6)
	v_mul_f64 v[190:191], v[2:3], v[20:21]
	v_mul_f64 v[20:21], v[4:5], v[20:21]
	v_fma_f64 v[192:193], v[8:9], v[14:15], v[192:193]
	v_fma_f64 v[14:15], v[6:7], v[14:15], -v[16:17]
	ds_load_b128 v[6:9], v1 offset:1488
	v_add_f64 v[16:17], v[34:35], v[200:201]
	v_add_f64 v[34:35], v[36:37], v[198:199]
	v_fma_f64 v[190:191], v[4:5], v[18:19], v[190:191]
	v_fma_f64 v[18:19], v[2:3], v[18:19], -v[20:21]
	ds_load_b128 v[2:5], v1 offset:1504
	s_waitcnt vmcnt(5) lgkmcnt(1)
	v_mul_f64 v[36:37], v[6:7], v[24:25]
	v_mul_f64 v[24:25], v[8:9], v[24:25]
	s_waitcnt vmcnt(4) lgkmcnt(0)
	v_mul_f64 v[20:21], v[2:3], v[28:29]
	v_mul_f64 v[28:29], v[4:5], v[28:29]
	v_add_f64 v[14:15], v[16:17], v[14:15]
	v_add_f64 v[16:17], v[34:35], v[192:193]
	v_fma_f64 v[34:35], v[8:9], v[22:23], v[36:37]
	v_fma_f64 v[22:23], v[6:7], v[22:23], -v[24:25]
	ds_load_b128 v[6:9], v1 offset:1520
	v_fma_f64 v[20:21], v[4:5], v[26:27], v[20:21]
	v_fma_f64 v[26:27], v[2:3], v[26:27], -v[28:29]
	ds_load_b128 v[2:5], v1 offset:1536
	s_waitcnt vmcnt(3) lgkmcnt(1)
	v_mul_f64 v[24:25], v[8:9], v[32:33]
	v_add_f64 v[14:15], v[14:15], v[18:19]
	v_add_f64 v[16:17], v[16:17], v[190:191]
	v_mul_f64 v[18:19], v[6:7], v[32:33]
	s_waitcnt vmcnt(2) lgkmcnt(0)
	v_mul_f64 v[28:29], v[4:5], v[40:41]
	v_fma_f64 v[24:25], v[6:7], v[30:31], -v[24:25]
	v_add_f64 v[14:15], v[14:15], v[22:23]
	v_add_f64 v[16:17], v[16:17], v[34:35]
	v_mul_f64 v[22:23], v[2:3], v[40:41]
	v_fma_f64 v[18:19], v[8:9], v[30:31], v[18:19]
	ds_load_b128 v[6:9], v1 offset:1552
	v_fma_f64 v[1:2], v[2:3], v[38:39], -v[28:29]
	v_add_f64 v[14:15], v[14:15], v[26:27]
	v_add_f64 v[16:17], v[16:17], v[20:21]
	s_waitcnt vmcnt(1) lgkmcnt(0)
	v_mul_f64 v[20:21], v[6:7], v[196:197]
	v_mul_f64 v[26:27], v[8:9], v[196:197]
	v_fma_f64 v[4:5], v[4:5], v[38:39], v[22:23]
	v_add_f64 v[14:15], v[14:15], v[24:25]
	v_add_f64 v[16:17], v[16:17], v[18:19]
	v_fma_f64 v[8:9], v[8:9], v[194:195], v[20:21]
	v_fma_f64 v[6:7], v[6:7], v[194:195], -v[26:27]
	s_delay_alu instid0(VALU_DEP_4) | instskip(NEXT) | instid1(VALU_DEP_4)
	v_add_f64 v[1:2], v[14:15], v[1:2]
	v_add_f64 v[3:4], v[16:17], v[4:5]
	s_delay_alu instid0(VALU_DEP_2) | instskip(NEXT) | instid1(VALU_DEP_2)
	v_add_f64 v[1:2], v[1:2], v[6:7]
	v_add_f64 v[3:4], v[3:4], v[8:9]
	s_waitcnt vmcnt(0)
	s_delay_alu instid0(VALU_DEP_2) | instskip(NEXT) | instid1(VALU_DEP_2)
	v_add_f64 v[1:2], v[10:11], -v[1:2]
	v_add_f64 v[3:4], v[12:13], -v[3:4]
	scratch_store_b128 off, v[1:4], off offset:448
	v_cmpx_lt_u32_e32 27, v140
	s_cbranch_execz .LBB112_253
; %bb.252:
	scratch_load_b128 v[1:4], v162, off
	v_mov_b32_e32 v5, 0
	s_delay_alu instid0(VALU_DEP_1)
	v_mov_b32_e32 v6, v5
	v_mov_b32_e32 v7, v5
	;; [unrolled: 1-line block ×3, first 2 shown]
	scratch_store_b128 off, v[5:8], off offset:432
	s_waitcnt vmcnt(0)
	ds_store_b128 v189, v[1:4]
.LBB112_253:
	s_or_b32 exec_lo, exec_lo, s2
	s_waitcnt lgkmcnt(0)
	s_waitcnt_vscnt null, 0x0
	s_barrier
	buffer_gl0_inv
	s_clause 0x7
	scratch_load_b128 v[2:5], off, off offset:448
	scratch_load_b128 v[6:9], off, off offset:464
	scratch_load_b128 v[10:13], off, off offset:480
	scratch_load_b128 v[14:17], off, off offset:496
	scratch_load_b128 v[18:21], off, off offset:512
	scratch_load_b128 v[22:25], off, off offset:528
	scratch_load_b128 v[26:29], off, off offset:544
	scratch_load_b128 v[30:33], off, off offset:560
	v_mov_b32_e32 v1, 0
	s_clause 0x1
	scratch_load_b128 v[38:41], off, off offset:576
	scratch_load_b128 v[194:197], off, off offset:592
	s_mov_b32 s2, exec_lo
	ds_load_b128 v[34:37], v1 offset:1232
	ds_load_b128 v[190:193], v1 offset:1248
	s_waitcnt vmcnt(9) lgkmcnt(1)
	v_mul_f64 v[198:199], v[36:37], v[4:5]
	v_mul_f64 v[4:5], v[34:35], v[4:5]
	s_waitcnt vmcnt(8) lgkmcnt(0)
	v_mul_f64 v[200:201], v[190:191], v[8:9]
	v_mul_f64 v[8:9], v[192:193], v[8:9]
	s_delay_alu instid0(VALU_DEP_4) | instskip(NEXT) | instid1(VALU_DEP_4)
	v_fma_f64 v[198:199], v[34:35], v[2:3], -v[198:199]
	v_fma_f64 v[202:203], v[36:37], v[2:3], v[4:5]
	ds_load_b128 v[2:5], v1 offset:1264
	scratch_load_b128 v[34:37], off, off offset:608
	v_fma_f64 v[200:201], v[192:193], v[6:7], v[200:201]
	v_fma_f64 v[206:207], v[190:191], v[6:7], -v[8:9]
	scratch_load_b128 v[190:193], off, off offset:624
	ds_load_b128 v[6:9], v1 offset:1280
	s_waitcnt vmcnt(9) lgkmcnt(1)
	v_mul_f64 v[204:205], v[2:3], v[12:13]
	v_mul_f64 v[12:13], v[4:5], v[12:13]
	s_waitcnt vmcnt(8) lgkmcnt(0)
	v_mul_f64 v[208:209], v[6:7], v[16:17]
	v_mul_f64 v[16:17], v[8:9], v[16:17]
	v_add_f64 v[198:199], v[198:199], 0
	v_add_f64 v[202:203], v[202:203], 0
	v_fma_f64 v[204:205], v[4:5], v[10:11], v[204:205]
	v_fma_f64 v[210:211], v[2:3], v[10:11], -v[12:13]
	ds_load_b128 v[2:5], v1 offset:1296
	scratch_load_b128 v[10:13], off, off offset:640
	v_add_f64 v[198:199], v[198:199], v[206:207]
	v_add_f64 v[200:201], v[202:203], v[200:201]
	v_fma_f64 v[206:207], v[8:9], v[14:15], v[208:209]
	v_fma_f64 v[208:209], v[6:7], v[14:15], -v[16:17]
	scratch_load_b128 v[14:17], off, off offset:656
	ds_load_b128 v[6:9], v1 offset:1312
	s_waitcnt vmcnt(9) lgkmcnt(1)
	v_mul_f64 v[202:203], v[2:3], v[20:21]
	v_mul_f64 v[20:21], v[4:5], v[20:21]
	v_add_f64 v[198:199], v[198:199], v[210:211]
	v_add_f64 v[200:201], v[200:201], v[204:205]
	s_waitcnt vmcnt(8) lgkmcnt(0)
	v_mul_f64 v[204:205], v[6:7], v[24:25]
	v_mul_f64 v[24:25], v[8:9], v[24:25]
	v_fma_f64 v[202:203], v[4:5], v[18:19], v[202:203]
	v_fma_f64 v[210:211], v[2:3], v[18:19], -v[20:21]
	ds_load_b128 v[2:5], v1 offset:1328
	scratch_load_b128 v[18:21], off, off offset:672
	v_add_f64 v[198:199], v[198:199], v[208:209]
	v_add_f64 v[200:201], v[200:201], v[206:207]
	v_fma_f64 v[204:205], v[8:9], v[22:23], v[204:205]
	v_fma_f64 v[208:209], v[6:7], v[22:23], -v[24:25]
	ds_load_b128 v[6:9], v1 offset:1344
	s_waitcnt vmcnt(8) lgkmcnt(1)
	v_mul_f64 v[206:207], v[2:3], v[28:29]
	v_mul_f64 v[28:29], v[4:5], v[28:29]
	scratch_load_b128 v[22:25], off, off offset:688
	v_add_f64 v[198:199], v[198:199], v[210:211]
	v_add_f64 v[200:201], v[200:201], v[202:203]
	s_waitcnt vmcnt(8) lgkmcnt(0)
	v_mul_f64 v[202:203], v[6:7], v[32:33]
	v_mul_f64 v[32:33], v[8:9], v[32:33]
	v_fma_f64 v[206:207], v[4:5], v[26:27], v[206:207]
	v_fma_f64 v[210:211], v[2:3], v[26:27], -v[28:29]
	scratch_load_b128 v[26:29], off, off offset:704
	ds_load_b128 v[2:5], v1 offset:1360
	v_add_f64 v[198:199], v[198:199], v[208:209]
	v_add_f64 v[200:201], v[200:201], v[204:205]
	v_fma_f64 v[202:203], v[8:9], v[30:31], v[202:203]
	v_fma_f64 v[208:209], v[6:7], v[30:31], -v[32:33]
	ds_load_b128 v[6:9], v1 offset:1376
	s_waitcnt vmcnt(8) lgkmcnt(1)
	v_mul_f64 v[204:205], v[2:3], v[40:41]
	v_mul_f64 v[40:41], v[4:5], v[40:41]
	scratch_load_b128 v[30:33], off, off offset:720
	v_add_f64 v[198:199], v[198:199], v[210:211]
	v_add_f64 v[200:201], v[200:201], v[206:207]
	s_waitcnt vmcnt(8) lgkmcnt(0)
	v_mul_f64 v[206:207], v[6:7], v[196:197]
	v_mul_f64 v[196:197], v[8:9], v[196:197]
	v_fma_f64 v[204:205], v[4:5], v[38:39], v[204:205]
	v_fma_f64 v[210:211], v[2:3], v[38:39], -v[40:41]
	scratch_load_b128 v[38:41], off, off offset:736
	ds_load_b128 v[2:5], v1 offset:1392
	v_add_f64 v[198:199], v[198:199], v[208:209]
	v_add_f64 v[200:201], v[200:201], v[202:203]
	v_fma_f64 v[206:207], v[8:9], v[194:195], v[206:207]
	v_fma_f64 v[208:209], v[6:7], v[194:195], -v[196:197]
	ds_load_b128 v[6:9], v1 offset:1408
	scratch_load_b128 v[194:197], off, off offset:752
	s_waitcnt vmcnt(9) lgkmcnt(1)
	v_mul_f64 v[202:203], v[2:3], v[36:37]
	v_mul_f64 v[36:37], v[4:5], v[36:37]
	v_add_f64 v[198:199], v[198:199], v[210:211]
	v_add_f64 v[200:201], v[200:201], v[204:205]
	s_waitcnt vmcnt(8) lgkmcnt(0)
	v_mul_f64 v[204:205], v[6:7], v[192:193]
	v_mul_f64 v[192:193], v[8:9], v[192:193]
	v_fma_f64 v[202:203], v[4:5], v[34:35], v[202:203]
	v_fma_f64 v[210:211], v[2:3], v[34:35], -v[36:37]
	scratch_load_b128 v[34:37], off, off offset:768
	ds_load_b128 v[2:5], v1 offset:1424
	v_add_f64 v[198:199], v[198:199], v[208:209]
	v_add_f64 v[200:201], v[200:201], v[206:207]
	v_fma_f64 v[204:205], v[8:9], v[190:191], v[204:205]
	v_fma_f64 v[190:191], v[6:7], v[190:191], -v[192:193]
	ds_load_b128 v[6:9], v1 offset:1440
	s_waitcnt vmcnt(8) lgkmcnt(1)
	v_mul_f64 v[206:207], v[2:3], v[12:13]
	v_mul_f64 v[12:13], v[4:5], v[12:13]
	v_add_f64 v[192:193], v[198:199], v[210:211]
	v_add_f64 v[198:199], v[200:201], v[202:203]
	s_waitcnt vmcnt(7) lgkmcnt(0)
	v_mul_f64 v[200:201], v[6:7], v[16:17]
	v_mul_f64 v[16:17], v[8:9], v[16:17]
	v_fma_f64 v[202:203], v[4:5], v[10:11], v[206:207]
	v_fma_f64 v[10:11], v[2:3], v[10:11], -v[12:13]
	ds_load_b128 v[2:5], v1 offset:1456
	v_add_f64 v[12:13], v[192:193], v[190:191]
	v_add_f64 v[190:191], v[198:199], v[204:205]
	v_fma_f64 v[198:199], v[8:9], v[14:15], v[200:201]
	v_fma_f64 v[14:15], v[6:7], v[14:15], -v[16:17]
	ds_load_b128 v[6:9], v1 offset:1472
	s_waitcnt vmcnt(5) lgkmcnt(0)
	v_mul_f64 v[200:201], v[6:7], v[24:25]
	v_mul_f64 v[24:25], v[8:9], v[24:25]
	v_add_f64 v[16:17], v[12:13], v[10:11]
	v_add_f64 v[190:191], v[190:191], v[202:203]
	scratch_load_b128 v[10:13], off, off offset:432
	v_mul_f64 v[192:193], v[2:3], v[20:21]
	v_mul_f64 v[20:21], v[4:5], v[20:21]
	v_add_f64 v[14:15], v[16:17], v[14:15]
	v_add_f64 v[16:17], v[190:191], v[198:199]
	v_fma_f64 v[190:191], v[8:9], v[22:23], v[200:201]
	v_fma_f64 v[192:193], v[4:5], v[18:19], v[192:193]
	v_fma_f64 v[18:19], v[2:3], v[18:19], -v[20:21]
	ds_load_b128 v[2:5], v1 offset:1488
	v_fma_f64 v[22:23], v[6:7], v[22:23], -v[24:25]
	ds_load_b128 v[6:9], v1 offset:1504
	s_waitcnt vmcnt(5) lgkmcnt(1)
	v_mul_f64 v[20:21], v[2:3], v[28:29]
	v_mul_f64 v[28:29], v[4:5], v[28:29]
	s_waitcnt vmcnt(4) lgkmcnt(0)
	v_mul_f64 v[24:25], v[8:9], v[32:33]
	v_add_f64 v[16:17], v[16:17], v[192:193]
	v_add_f64 v[14:15], v[14:15], v[18:19]
	v_mul_f64 v[18:19], v[6:7], v[32:33]
	v_fma_f64 v[20:21], v[4:5], v[26:27], v[20:21]
	v_fma_f64 v[26:27], v[2:3], v[26:27], -v[28:29]
	ds_load_b128 v[2:5], v1 offset:1520
	v_fma_f64 v[24:25], v[6:7], v[30:31], -v[24:25]
	v_add_f64 v[16:17], v[16:17], v[190:191]
	v_add_f64 v[14:15], v[14:15], v[22:23]
	v_fma_f64 v[18:19], v[8:9], v[30:31], v[18:19]
	ds_load_b128 v[6:9], v1 offset:1536
	s_waitcnt vmcnt(3) lgkmcnt(1)
	v_mul_f64 v[22:23], v[2:3], v[40:41]
	v_mul_f64 v[28:29], v[4:5], v[40:41]
	v_add_f64 v[16:17], v[16:17], v[20:21]
	v_add_f64 v[14:15], v[14:15], v[26:27]
	s_waitcnt vmcnt(2) lgkmcnt(0)
	v_mul_f64 v[20:21], v[6:7], v[196:197]
	v_mul_f64 v[26:27], v[8:9], v[196:197]
	v_fma_f64 v[22:23], v[4:5], v[38:39], v[22:23]
	v_fma_f64 v[28:29], v[2:3], v[38:39], -v[28:29]
	ds_load_b128 v[2:5], v1 offset:1552
	v_add_f64 v[16:17], v[16:17], v[18:19]
	v_add_f64 v[14:15], v[14:15], v[24:25]
	s_waitcnt vmcnt(1) lgkmcnt(0)
	v_mul_f64 v[18:19], v[2:3], v[36:37]
	v_mul_f64 v[24:25], v[4:5], v[36:37]
	v_fma_f64 v[8:9], v[8:9], v[194:195], v[20:21]
	v_fma_f64 v[6:7], v[6:7], v[194:195], -v[26:27]
	v_add_f64 v[16:17], v[16:17], v[22:23]
	v_add_f64 v[14:15], v[14:15], v[28:29]
	v_fma_f64 v[4:5], v[4:5], v[34:35], v[18:19]
	v_fma_f64 v[2:3], v[2:3], v[34:35], -v[24:25]
	s_delay_alu instid0(VALU_DEP_4) | instskip(NEXT) | instid1(VALU_DEP_4)
	v_add_f64 v[8:9], v[16:17], v[8:9]
	v_add_f64 v[6:7], v[14:15], v[6:7]
	s_delay_alu instid0(VALU_DEP_2) | instskip(NEXT) | instid1(VALU_DEP_2)
	v_add_f64 v[4:5], v[8:9], v[4:5]
	v_add_f64 v[2:3], v[6:7], v[2:3]
	s_waitcnt vmcnt(0)
	s_delay_alu instid0(VALU_DEP_2) | instskip(NEXT) | instid1(VALU_DEP_2)
	v_add_f64 v[4:5], v[12:13], -v[4:5]
	v_add_f64 v[2:3], v[10:11], -v[2:3]
	scratch_store_b128 off, v[2:5], off offset:432
	v_cmpx_lt_u32_e32 26, v140
	s_cbranch_execz .LBB112_255
; %bb.254:
	scratch_load_b128 v[5:8], v163, off
	v_mov_b32_e32 v2, v1
	v_mov_b32_e32 v3, v1
	;; [unrolled: 1-line block ×3, first 2 shown]
	scratch_store_b128 off, v[1:4], off offset:416
	s_waitcnt vmcnt(0)
	ds_store_b128 v189, v[5:8]
.LBB112_255:
	s_or_b32 exec_lo, exec_lo, s2
	s_waitcnt lgkmcnt(0)
	s_waitcnt_vscnt null, 0x0
	s_barrier
	buffer_gl0_inv
	s_clause 0x7
	scratch_load_b128 v[2:5], off, off offset:432
	scratch_load_b128 v[6:9], off, off offset:448
	;; [unrolled: 1-line block ×8, first 2 shown]
	ds_load_b128 v[34:37], v1 offset:1216
	ds_load_b128 v[190:193], v1 offset:1232
	s_clause 0x1
	scratch_load_b128 v[38:41], off, off offset:560
	scratch_load_b128 v[194:197], off, off offset:576
	s_mov_b32 s2, exec_lo
	s_waitcnt vmcnt(9) lgkmcnt(1)
	v_mul_f64 v[198:199], v[36:37], v[4:5]
	v_mul_f64 v[4:5], v[34:35], v[4:5]
	s_waitcnt vmcnt(8) lgkmcnt(0)
	v_mul_f64 v[200:201], v[190:191], v[8:9]
	v_mul_f64 v[8:9], v[192:193], v[8:9]
	s_delay_alu instid0(VALU_DEP_4) | instskip(NEXT) | instid1(VALU_DEP_4)
	v_fma_f64 v[198:199], v[34:35], v[2:3], -v[198:199]
	v_fma_f64 v[202:203], v[36:37], v[2:3], v[4:5]
	ds_load_b128 v[2:5], v1 offset:1248
	scratch_load_b128 v[34:37], off, off offset:592
	v_fma_f64 v[200:201], v[192:193], v[6:7], v[200:201]
	v_fma_f64 v[206:207], v[190:191], v[6:7], -v[8:9]
	scratch_load_b128 v[190:193], off, off offset:608
	ds_load_b128 v[6:9], v1 offset:1264
	s_waitcnt vmcnt(9) lgkmcnt(1)
	v_mul_f64 v[204:205], v[2:3], v[12:13]
	v_mul_f64 v[12:13], v[4:5], v[12:13]
	s_waitcnt vmcnt(8) lgkmcnt(0)
	v_mul_f64 v[208:209], v[6:7], v[16:17]
	v_mul_f64 v[16:17], v[8:9], v[16:17]
	v_add_f64 v[198:199], v[198:199], 0
	v_add_f64 v[202:203], v[202:203], 0
	v_fma_f64 v[204:205], v[4:5], v[10:11], v[204:205]
	v_fma_f64 v[210:211], v[2:3], v[10:11], -v[12:13]
	ds_load_b128 v[2:5], v1 offset:1280
	scratch_load_b128 v[10:13], off, off offset:624
	v_add_f64 v[198:199], v[198:199], v[206:207]
	v_add_f64 v[200:201], v[202:203], v[200:201]
	v_fma_f64 v[206:207], v[8:9], v[14:15], v[208:209]
	v_fma_f64 v[208:209], v[6:7], v[14:15], -v[16:17]
	scratch_load_b128 v[14:17], off, off offset:640
	ds_load_b128 v[6:9], v1 offset:1296
	s_waitcnt vmcnt(9) lgkmcnt(1)
	v_mul_f64 v[202:203], v[2:3], v[20:21]
	v_mul_f64 v[20:21], v[4:5], v[20:21]
	v_add_f64 v[198:199], v[198:199], v[210:211]
	v_add_f64 v[200:201], v[200:201], v[204:205]
	s_waitcnt vmcnt(8) lgkmcnt(0)
	v_mul_f64 v[204:205], v[6:7], v[24:25]
	v_mul_f64 v[24:25], v[8:9], v[24:25]
	v_fma_f64 v[202:203], v[4:5], v[18:19], v[202:203]
	v_fma_f64 v[210:211], v[2:3], v[18:19], -v[20:21]
	ds_load_b128 v[2:5], v1 offset:1312
	scratch_load_b128 v[18:21], off, off offset:656
	v_add_f64 v[198:199], v[198:199], v[208:209]
	v_add_f64 v[200:201], v[200:201], v[206:207]
	v_fma_f64 v[204:205], v[8:9], v[22:23], v[204:205]
	v_fma_f64 v[208:209], v[6:7], v[22:23], -v[24:25]
	ds_load_b128 v[6:9], v1 offset:1328
	s_waitcnt vmcnt(8) lgkmcnt(1)
	v_mul_f64 v[206:207], v[2:3], v[28:29]
	v_mul_f64 v[28:29], v[4:5], v[28:29]
	scratch_load_b128 v[22:25], off, off offset:672
	v_add_f64 v[198:199], v[198:199], v[210:211]
	v_add_f64 v[200:201], v[200:201], v[202:203]
	s_waitcnt vmcnt(8) lgkmcnt(0)
	v_mul_f64 v[202:203], v[6:7], v[32:33]
	v_mul_f64 v[32:33], v[8:9], v[32:33]
	v_fma_f64 v[206:207], v[4:5], v[26:27], v[206:207]
	v_fma_f64 v[210:211], v[2:3], v[26:27], -v[28:29]
	ds_load_b128 v[2:5], v1 offset:1344
	scratch_load_b128 v[26:29], off, off offset:688
	v_add_f64 v[198:199], v[198:199], v[208:209]
	v_add_f64 v[200:201], v[200:201], v[204:205]
	v_fma_f64 v[202:203], v[8:9], v[30:31], v[202:203]
	v_fma_f64 v[208:209], v[6:7], v[30:31], -v[32:33]
	ds_load_b128 v[6:9], v1 offset:1360
	s_waitcnt vmcnt(8) lgkmcnt(1)
	v_mul_f64 v[204:205], v[2:3], v[40:41]
	v_mul_f64 v[40:41], v[4:5], v[40:41]
	scratch_load_b128 v[30:33], off, off offset:704
	v_add_f64 v[198:199], v[198:199], v[210:211]
	v_add_f64 v[200:201], v[200:201], v[206:207]
	s_waitcnt vmcnt(8) lgkmcnt(0)
	v_mul_f64 v[206:207], v[6:7], v[196:197]
	v_mul_f64 v[196:197], v[8:9], v[196:197]
	v_fma_f64 v[204:205], v[4:5], v[38:39], v[204:205]
	v_fma_f64 v[210:211], v[2:3], v[38:39], -v[40:41]
	scratch_load_b128 v[38:41], off, off offset:720
	ds_load_b128 v[2:5], v1 offset:1376
	v_add_f64 v[198:199], v[198:199], v[208:209]
	v_add_f64 v[200:201], v[200:201], v[202:203]
	v_fma_f64 v[206:207], v[8:9], v[194:195], v[206:207]
	v_fma_f64 v[208:209], v[6:7], v[194:195], -v[196:197]
	ds_load_b128 v[6:9], v1 offset:1392
	scratch_load_b128 v[194:197], off, off offset:736
	s_waitcnt vmcnt(9) lgkmcnt(1)
	v_mul_f64 v[202:203], v[2:3], v[36:37]
	v_mul_f64 v[36:37], v[4:5], v[36:37]
	v_add_f64 v[198:199], v[198:199], v[210:211]
	v_add_f64 v[200:201], v[200:201], v[204:205]
	s_waitcnt vmcnt(8) lgkmcnt(0)
	v_mul_f64 v[204:205], v[6:7], v[192:193]
	v_mul_f64 v[192:193], v[8:9], v[192:193]
	v_fma_f64 v[202:203], v[4:5], v[34:35], v[202:203]
	v_fma_f64 v[210:211], v[2:3], v[34:35], -v[36:37]
	scratch_load_b128 v[34:37], off, off offset:752
	ds_load_b128 v[2:5], v1 offset:1408
	v_add_f64 v[198:199], v[198:199], v[208:209]
	v_add_f64 v[200:201], v[200:201], v[206:207]
	v_fma_f64 v[204:205], v[8:9], v[190:191], v[204:205]
	v_fma_f64 v[208:209], v[6:7], v[190:191], -v[192:193]
	ds_load_b128 v[6:9], v1 offset:1424
	s_waitcnt vmcnt(8) lgkmcnt(1)
	v_mul_f64 v[206:207], v[2:3], v[12:13]
	v_mul_f64 v[12:13], v[4:5], v[12:13]
	scratch_load_b128 v[190:193], off, off offset:768
	v_add_f64 v[198:199], v[198:199], v[210:211]
	v_add_f64 v[200:201], v[200:201], v[202:203]
	s_waitcnt vmcnt(8) lgkmcnt(0)
	v_mul_f64 v[202:203], v[6:7], v[16:17]
	v_mul_f64 v[16:17], v[8:9], v[16:17]
	v_fma_f64 v[206:207], v[4:5], v[10:11], v[206:207]
	v_fma_f64 v[10:11], v[2:3], v[10:11], -v[12:13]
	ds_load_b128 v[2:5], v1 offset:1440
	v_add_f64 v[12:13], v[198:199], v[208:209]
	v_add_f64 v[198:199], v[200:201], v[204:205]
	v_fma_f64 v[202:203], v[8:9], v[14:15], v[202:203]
	v_fma_f64 v[14:15], v[6:7], v[14:15], -v[16:17]
	ds_load_b128 v[6:9], v1 offset:1456
	s_waitcnt vmcnt(7) lgkmcnt(1)
	v_mul_f64 v[200:201], v[2:3], v[20:21]
	v_mul_f64 v[20:21], v[4:5], v[20:21]
	v_add_f64 v[10:11], v[12:13], v[10:11]
	v_add_f64 v[12:13], v[198:199], v[206:207]
	s_delay_alu instid0(VALU_DEP_4) | instskip(NEXT) | instid1(VALU_DEP_4)
	v_fma_f64 v[198:199], v[4:5], v[18:19], v[200:201]
	v_fma_f64 v[18:19], v[2:3], v[18:19], -v[20:21]
	ds_load_b128 v[2:5], v1 offset:1472
	v_add_f64 v[14:15], v[10:11], v[14:15]
	v_add_f64 v[20:21], v[12:13], v[202:203]
	scratch_load_b128 v[10:13], off, off offset:416
	s_waitcnt vmcnt(7) lgkmcnt(1)
	v_mul_f64 v[16:17], v[6:7], v[24:25]
	v_mul_f64 v[24:25], v[8:9], v[24:25]
	v_add_f64 v[14:15], v[14:15], v[18:19]
	v_add_f64 v[18:19], v[20:21], v[198:199]
	s_delay_alu instid0(VALU_DEP_4) | instskip(NEXT) | instid1(VALU_DEP_4)
	v_fma_f64 v[16:17], v[8:9], v[22:23], v[16:17]
	v_fma_f64 v[22:23], v[6:7], v[22:23], -v[24:25]
	ds_load_b128 v[6:9], v1 offset:1488
	s_waitcnt vmcnt(6) lgkmcnt(1)
	v_mul_f64 v[200:201], v[2:3], v[28:29]
	v_mul_f64 v[28:29], v[4:5], v[28:29]
	s_waitcnt vmcnt(5) lgkmcnt(0)
	v_mul_f64 v[20:21], v[6:7], v[32:33]
	v_mul_f64 v[24:25], v[8:9], v[32:33]
	v_add_f64 v[16:17], v[18:19], v[16:17]
	v_add_f64 v[14:15], v[14:15], v[22:23]
	v_fma_f64 v[32:33], v[4:5], v[26:27], v[200:201]
	v_fma_f64 v[26:27], v[2:3], v[26:27], -v[28:29]
	ds_load_b128 v[2:5], v1 offset:1504
	v_fma_f64 v[20:21], v[8:9], v[30:31], v[20:21]
	v_fma_f64 v[24:25], v[6:7], v[30:31], -v[24:25]
	ds_load_b128 v[6:9], v1 offset:1520
	s_waitcnt vmcnt(4) lgkmcnt(1)
	v_mul_f64 v[18:19], v[2:3], v[40:41]
	v_mul_f64 v[22:23], v[4:5], v[40:41]
	v_add_f64 v[16:17], v[16:17], v[32:33]
	v_add_f64 v[14:15], v[14:15], v[26:27]
	s_waitcnt vmcnt(3) lgkmcnt(0)
	v_mul_f64 v[26:27], v[6:7], v[196:197]
	v_mul_f64 v[28:29], v[8:9], v[196:197]
	v_fma_f64 v[18:19], v[4:5], v[38:39], v[18:19]
	v_fma_f64 v[22:23], v[2:3], v[38:39], -v[22:23]
	ds_load_b128 v[2:5], v1 offset:1536
	v_add_f64 v[16:17], v[16:17], v[20:21]
	v_add_f64 v[14:15], v[14:15], v[24:25]
	v_fma_f64 v[26:27], v[8:9], v[194:195], v[26:27]
	v_fma_f64 v[28:29], v[6:7], v[194:195], -v[28:29]
	ds_load_b128 v[6:9], v1 offset:1552
	s_waitcnt vmcnt(2) lgkmcnt(1)
	v_mul_f64 v[20:21], v[2:3], v[36:37]
	v_mul_f64 v[24:25], v[4:5], v[36:37]
	v_add_f64 v[16:17], v[16:17], v[18:19]
	v_add_f64 v[14:15], v[14:15], v[22:23]
	s_waitcnt vmcnt(1) lgkmcnt(0)
	v_mul_f64 v[18:19], v[6:7], v[192:193]
	v_mul_f64 v[22:23], v[8:9], v[192:193]
	v_fma_f64 v[4:5], v[4:5], v[34:35], v[20:21]
	v_fma_f64 v[1:2], v[2:3], v[34:35], -v[24:25]
	v_add_f64 v[16:17], v[16:17], v[26:27]
	v_add_f64 v[14:15], v[14:15], v[28:29]
	v_fma_f64 v[8:9], v[8:9], v[190:191], v[18:19]
	v_fma_f64 v[6:7], v[6:7], v[190:191], -v[22:23]
	s_delay_alu instid0(VALU_DEP_4) | instskip(NEXT) | instid1(VALU_DEP_4)
	v_add_f64 v[3:4], v[16:17], v[4:5]
	v_add_f64 v[1:2], v[14:15], v[1:2]
	s_delay_alu instid0(VALU_DEP_2) | instskip(NEXT) | instid1(VALU_DEP_2)
	v_add_f64 v[3:4], v[3:4], v[8:9]
	v_add_f64 v[1:2], v[1:2], v[6:7]
	s_waitcnt vmcnt(0)
	s_delay_alu instid0(VALU_DEP_2) | instskip(NEXT) | instid1(VALU_DEP_2)
	v_add_f64 v[3:4], v[12:13], -v[3:4]
	v_add_f64 v[1:2], v[10:11], -v[1:2]
	scratch_store_b128 off, v[1:4], off offset:416
	v_cmpx_lt_u32_e32 25, v140
	s_cbranch_execz .LBB112_257
; %bb.256:
	scratch_load_b128 v[1:4], v164, off
	v_mov_b32_e32 v5, 0
	s_delay_alu instid0(VALU_DEP_1)
	v_mov_b32_e32 v6, v5
	v_mov_b32_e32 v7, v5
	;; [unrolled: 1-line block ×3, first 2 shown]
	scratch_store_b128 off, v[5:8], off offset:400
	s_waitcnt vmcnt(0)
	ds_store_b128 v189, v[1:4]
.LBB112_257:
	s_or_b32 exec_lo, exec_lo, s2
	s_waitcnt lgkmcnt(0)
	s_waitcnt_vscnt null, 0x0
	s_barrier
	buffer_gl0_inv
	s_clause 0x7
	scratch_load_b128 v[2:5], off, off offset:416
	scratch_load_b128 v[6:9], off, off offset:432
	;; [unrolled: 1-line block ×8, first 2 shown]
	v_mov_b32_e32 v1, 0
	s_clause 0x1
	scratch_load_b128 v[38:41], off, off offset:544
	scratch_load_b128 v[194:197], off, off offset:560
	s_mov_b32 s2, exec_lo
	ds_load_b128 v[34:37], v1 offset:1200
	ds_load_b128 v[190:193], v1 offset:1216
	s_waitcnt vmcnt(9) lgkmcnt(1)
	v_mul_f64 v[198:199], v[36:37], v[4:5]
	v_mul_f64 v[4:5], v[34:35], v[4:5]
	s_waitcnt vmcnt(8) lgkmcnt(0)
	v_mul_f64 v[200:201], v[190:191], v[8:9]
	v_mul_f64 v[8:9], v[192:193], v[8:9]
	s_delay_alu instid0(VALU_DEP_4) | instskip(NEXT) | instid1(VALU_DEP_4)
	v_fma_f64 v[198:199], v[34:35], v[2:3], -v[198:199]
	v_fma_f64 v[202:203], v[36:37], v[2:3], v[4:5]
	ds_load_b128 v[2:5], v1 offset:1232
	scratch_load_b128 v[34:37], off, off offset:576
	v_fma_f64 v[200:201], v[192:193], v[6:7], v[200:201]
	v_fma_f64 v[206:207], v[190:191], v[6:7], -v[8:9]
	scratch_load_b128 v[190:193], off, off offset:592
	ds_load_b128 v[6:9], v1 offset:1248
	s_waitcnt vmcnt(9) lgkmcnt(1)
	v_mul_f64 v[204:205], v[2:3], v[12:13]
	v_mul_f64 v[12:13], v[4:5], v[12:13]
	s_waitcnt vmcnt(8) lgkmcnt(0)
	v_mul_f64 v[208:209], v[6:7], v[16:17]
	v_mul_f64 v[16:17], v[8:9], v[16:17]
	v_add_f64 v[198:199], v[198:199], 0
	v_add_f64 v[202:203], v[202:203], 0
	v_fma_f64 v[204:205], v[4:5], v[10:11], v[204:205]
	v_fma_f64 v[210:211], v[2:3], v[10:11], -v[12:13]
	ds_load_b128 v[2:5], v1 offset:1264
	scratch_load_b128 v[10:13], off, off offset:608
	v_add_f64 v[198:199], v[198:199], v[206:207]
	v_add_f64 v[200:201], v[202:203], v[200:201]
	v_fma_f64 v[206:207], v[8:9], v[14:15], v[208:209]
	v_fma_f64 v[208:209], v[6:7], v[14:15], -v[16:17]
	scratch_load_b128 v[14:17], off, off offset:624
	ds_load_b128 v[6:9], v1 offset:1280
	s_waitcnt vmcnt(9) lgkmcnt(1)
	v_mul_f64 v[202:203], v[2:3], v[20:21]
	v_mul_f64 v[20:21], v[4:5], v[20:21]
	v_add_f64 v[198:199], v[198:199], v[210:211]
	v_add_f64 v[200:201], v[200:201], v[204:205]
	s_waitcnt vmcnt(8) lgkmcnt(0)
	v_mul_f64 v[204:205], v[6:7], v[24:25]
	v_mul_f64 v[24:25], v[8:9], v[24:25]
	v_fma_f64 v[202:203], v[4:5], v[18:19], v[202:203]
	v_fma_f64 v[210:211], v[2:3], v[18:19], -v[20:21]
	ds_load_b128 v[2:5], v1 offset:1296
	scratch_load_b128 v[18:21], off, off offset:640
	v_add_f64 v[198:199], v[198:199], v[208:209]
	v_add_f64 v[200:201], v[200:201], v[206:207]
	v_fma_f64 v[204:205], v[8:9], v[22:23], v[204:205]
	v_fma_f64 v[208:209], v[6:7], v[22:23], -v[24:25]
	scratch_load_b128 v[22:25], off, off offset:656
	ds_load_b128 v[6:9], v1 offset:1312
	s_waitcnt vmcnt(9) lgkmcnt(1)
	v_mul_f64 v[206:207], v[2:3], v[28:29]
	v_mul_f64 v[28:29], v[4:5], v[28:29]
	v_add_f64 v[198:199], v[198:199], v[210:211]
	v_add_f64 v[200:201], v[200:201], v[202:203]
	s_waitcnt vmcnt(8) lgkmcnt(0)
	v_mul_f64 v[202:203], v[6:7], v[32:33]
	v_mul_f64 v[32:33], v[8:9], v[32:33]
	v_fma_f64 v[206:207], v[4:5], v[26:27], v[206:207]
	v_fma_f64 v[210:211], v[2:3], v[26:27], -v[28:29]
	ds_load_b128 v[2:5], v1 offset:1328
	scratch_load_b128 v[26:29], off, off offset:672
	v_add_f64 v[198:199], v[198:199], v[208:209]
	v_add_f64 v[200:201], v[200:201], v[204:205]
	v_fma_f64 v[202:203], v[8:9], v[30:31], v[202:203]
	v_fma_f64 v[208:209], v[6:7], v[30:31], -v[32:33]
	ds_load_b128 v[6:9], v1 offset:1344
	s_waitcnt vmcnt(8) lgkmcnt(1)
	v_mul_f64 v[204:205], v[2:3], v[40:41]
	v_mul_f64 v[40:41], v[4:5], v[40:41]
	scratch_load_b128 v[30:33], off, off offset:688
	v_add_f64 v[198:199], v[198:199], v[210:211]
	v_add_f64 v[200:201], v[200:201], v[206:207]
	s_waitcnt vmcnt(8) lgkmcnt(0)
	v_mul_f64 v[206:207], v[6:7], v[196:197]
	v_mul_f64 v[196:197], v[8:9], v[196:197]
	v_fma_f64 v[204:205], v[4:5], v[38:39], v[204:205]
	v_fma_f64 v[210:211], v[2:3], v[38:39], -v[40:41]
	scratch_load_b128 v[38:41], off, off offset:704
	ds_load_b128 v[2:5], v1 offset:1360
	v_add_f64 v[198:199], v[198:199], v[208:209]
	v_add_f64 v[200:201], v[200:201], v[202:203]
	v_fma_f64 v[206:207], v[8:9], v[194:195], v[206:207]
	v_fma_f64 v[208:209], v[6:7], v[194:195], -v[196:197]
	ds_load_b128 v[6:9], v1 offset:1376
	scratch_load_b128 v[194:197], off, off offset:720
	s_waitcnt vmcnt(9) lgkmcnt(1)
	v_mul_f64 v[202:203], v[2:3], v[36:37]
	v_mul_f64 v[36:37], v[4:5], v[36:37]
	v_add_f64 v[198:199], v[198:199], v[210:211]
	v_add_f64 v[200:201], v[200:201], v[204:205]
	s_waitcnt vmcnt(8) lgkmcnt(0)
	v_mul_f64 v[204:205], v[6:7], v[192:193]
	v_mul_f64 v[192:193], v[8:9], v[192:193]
	v_fma_f64 v[202:203], v[4:5], v[34:35], v[202:203]
	v_fma_f64 v[210:211], v[2:3], v[34:35], -v[36:37]
	scratch_load_b128 v[34:37], off, off offset:736
	ds_load_b128 v[2:5], v1 offset:1392
	v_add_f64 v[198:199], v[198:199], v[208:209]
	v_add_f64 v[200:201], v[200:201], v[206:207]
	v_fma_f64 v[204:205], v[8:9], v[190:191], v[204:205]
	v_fma_f64 v[208:209], v[6:7], v[190:191], -v[192:193]
	ds_load_b128 v[6:9], v1 offset:1408
	s_waitcnt vmcnt(8) lgkmcnt(1)
	v_mul_f64 v[206:207], v[2:3], v[12:13]
	v_mul_f64 v[12:13], v[4:5], v[12:13]
	scratch_load_b128 v[190:193], off, off offset:752
	v_add_f64 v[198:199], v[198:199], v[210:211]
	v_add_f64 v[200:201], v[200:201], v[202:203]
	s_waitcnt vmcnt(8) lgkmcnt(0)
	v_mul_f64 v[202:203], v[6:7], v[16:17]
	v_mul_f64 v[16:17], v[8:9], v[16:17]
	v_fma_f64 v[206:207], v[4:5], v[10:11], v[206:207]
	v_fma_f64 v[210:211], v[2:3], v[10:11], -v[12:13]
	scratch_load_b128 v[10:13], off, off offset:768
	ds_load_b128 v[2:5], v1 offset:1424
	v_add_f64 v[198:199], v[198:199], v[208:209]
	v_add_f64 v[200:201], v[200:201], v[204:205]
	v_fma_f64 v[202:203], v[8:9], v[14:15], v[202:203]
	v_fma_f64 v[14:15], v[6:7], v[14:15], -v[16:17]
	ds_load_b128 v[6:9], v1 offset:1440
	s_waitcnt vmcnt(8) lgkmcnt(1)
	v_mul_f64 v[204:205], v[2:3], v[20:21]
	v_mul_f64 v[20:21], v[4:5], v[20:21]
	v_add_f64 v[16:17], v[198:199], v[210:211]
	v_add_f64 v[198:199], v[200:201], v[206:207]
	s_waitcnt vmcnt(7) lgkmcnt(0)
	v_mul_f64 v[200:201], v[6:7], v[24:25]
	v_mul_f64 v[24:25], v[8:9], v[24:25]
	v_fma_f64 v[204:205], v[4:5], v[18:19], v[204:205]
	v_fma_f64 v[18:19], v[2:3], v[18:19], -v[20:21]
	ds_load_b128 v[2:5], v1 offset:1456
	v_add_f64 v[14:15], v[16:17], v[14:15]
	v_add_f64 v[16:17], v[198:199], v[202:203]
	v_fma_f64 v[198:199], v[8:9], v[22:23], v[200:201]
	v_fma_f64 v[22:23], v[6:7], v[22:23], -v[24:25]
	ds_load_b128 v[6:9], v1 offset:1472
	s_waitcnt vmcnt(5) lgkmcnt(0)
	v_mul_f64 v[200:201], v[6:7], v[32:33]
	v_mul_f64 v[32:33], v[8:9], v[32:33]
	v_add_f64 v[18:19], v[14:15], v[18:19]
	v_add_f64 v[24:25], v[16:17], v[204:205]
	scratch_load_b128 v[14:17], off, off offset:400
	v_mul_f64 v[20:21], v[2:3], v[28:29]
	v_mul_f64 v[28:29], v[4:5], v[28:29]
	v_add_f64 v[18:19], v[18:19], v[22:23]
	v_add_f64 v[22:23], v[24:25], v[198:199]
	s_delay_alu instid0(VALU_DEP_4) | instskip(NEXT) | instid1(VALU_DEP_4)
	v_fma_f64 v[20:21], v[4:5], v[26:27], v[20:21]
	v_fma_f64 v[26:27], v[2:3], v[26:27], -v[28:29]
	ds_load_b128 v[2:5], v1 offset:1488
	s_waitcnt vmcnt(5) lgkmcnt(0)
	v_mul_f64 v[24:25], v[2:3], v[40:41]
	v_mul_f64 v[28:29], v[4:5], v[40:41]
	v_fma_f64 v[40:41], v[8:9], v[30:31], v[200:201]
	v_fma_f64 v[30:31], v[6:7], v[30:31], -v[32:33]
	ds_load_b128 v[6:9], v1 offset:1504
	v_add_f64 v[20:21], v[22:23], v[20:21]
	v_add_f64 v[18:19], v[18:19], v[26:27]
	v_fma_f64 v[24:25], v[4:5], v[38:39], v[24:25]
	v_fma_f64 v[28:29], v[2:3], v[38:39], -v[28:29]
	ds_load_b128 v[2:5], v1 offset:1520
	s_waitcnt vmcnt(4) lgkmcnt(1)
	v_mul_f64 v[22:23], v[6:7], v[196:197]
	v_mul_f64 v[26:27], v[8:9], v[196:197]
	v_add_f64 v[20:21], v[20:21], v[40:41]
	v_add_f64 v[18:19], v[18:19], v[30:31]
	s_waitcnt vmcnt(3) lgkmcnt(0)
	v_mul_f64 v[30:31], v[2:3], v[36:37]
	v_mul_f64 v[32:33], v[4:5], v[36:37]
	v_fma_f64 v[22:23], v[8:9], v[194:195], v[22:23]
	v_fma_f64 v[26:27], v[6:7], v[194:195], -v[26:27]
	ds_load_b128 v[6:9], v1 offset:1536
	v_add_f64 v[20:21], v[20:21], v[24:25]
	v_add_f64 v[18:19], v[18:19], v[28:29]
	v_fma_f64 v[30:31], v[4:5], v[34:35], v[30:31]
	v_fma_f64 v[32:33], v[2:3], v[34:35], -v[32:33]
	ds_load_b128 v[2:5], v1 offset:1552
	s_waitcnt vmcnt(2) lgkmcnt(1)
	v_mul_f64 v[24:25], v[6:7], v[192:193]
	v_mul_f64 v[28:29], v[8:9], v[192:193]
	v_add_f64 v[20:21], v[20:21], v[22:23]
	v_add_f64 v[18:19], v[18:19], v[26:27]
	s_waitcnt vmcnt(1) lgkmcnt(0)
	v_mul_f64 v[22:23], v[2:3], v[12:13]
	v_mul_f64 v[12:13], v[4:5], v[12:13]
	v_fma_f64 v[8:9], v[8:9], v[190:191], v[24:25]
	v_fma_f64 v[6:7], v[6:7], v[190:191], -v[28:29]
	v_add_f64 v[20:21], v[20:21], v[30:31]
	v_add_f64 v[18:19], v[18:19], v[32:33]
	v_fma_f64 v[4:5], v[4:5], v[10:11], v[22:23]
	v_fma_f64 v[2:3], v[2:3], v[10:11], -v[12:13]
	s_delay_alu instid0(VALU_DEP_4) | instskip(NEXT) | instid1(VALU_DEP_4)
	v_add_f64 v[8:9], v[20:21], v[8:9]
	v_add_f64 v[6:7], v[18:19], v[6:7]
	s_delay_alu instid0(VALU_DEP_2) | instskip(NEXT) | instid1(VALU_DEP_2)
	v_add_f64 v[4:5], v[8:9], v[4:5]
	v_add_f64 v[2:3], v[6:7], v[2:3]
	s_waitcnt vmcnt(0)
	s_delay_alu instid0(VALU_DEP_2) | instskip(NEXT) | instid1(VALU_DEP_2)
	v_add_f64 v[4:5], v[16:17], -v[4:5]
	v_add_f64 v[2:3], v[14:15], -v[2:3]
	scratch_store_b128 off, v[2:5], off offset:400
	v_cmpx_lt_u32_e32 24, v140
	s_cbranch_execz .LBB112_259
; %bb.258:
	scratch_load_b128 v[5:8], v165, off
	v_mov_b32_e32 v2, v1
	v_mov_b32_e32 v3, v1
	;; [unrolled: 1-line block ×3, first 2 shown]
	scratch_store_b128 off, v[1:4], off offset:384
	s_waitcnt vmcnt(0)
	ds_store_b128 v189, v[5:8]
.LBB112_259:
	s_or_b32 exec_lo, exec_lo, s2
	s_waitcnt lgkmcnt(0)
	s_waitcnt_vscnt null, 0x0
	s_barrier
	buffer_gl0_inv
	s_clause 0x7
	scratch_load_b128 v[2:5], off, off offset:400
	scratch_load_b128 v[6:9], off, off offset:416
	;; [unrolled: 1-line block ×8, first 2 shown]
	ds_load_b128 v[34:37], v1 offset:1184
	ds_load_b128 v[190:193], v1 offset:1200
	s_clause 0x1
	scratch_load_b128 v[38:41], off, off offset:528
	scratch_load_b128 v[194:197], off, off offset:544
	s_mov_b32 s2, exec_lo
	s_waitcnt vmcnt(9) lgkmcnt(1)
	v_mul_f64 v[198:199], v[36:37], v[4:5]
	v_mul_f64 v[4:5], v[34:35], v[4:5]
	s_waitcnt vmcnt(8) lgkmcnt(0)
	v_mul_f64 v[200:201], v[190:191], v[8:9]
	v_mul_f64 v[8:9], v[192:193], v[8:9]
	s_delay_alu instid0(VALU_DEP_4) | instskip(NEXT) | instid1(VALU_DEP_4)
	v_fma_f64 v[198:199], v[34:35], v[2:3], -v[198:199]
	v_fma_f64 v[202:203], v[36:37], v[2:3], v[4:5]
	ds_load_b128 v[2:5], v1 offset:1216
	scratch_load_b128 v[34:37], off, off offset:560
	v_fma_f64 v[200:201], v[192:193], v[6:7], v[200:201]
	v_fma_f64 v[206:207], v[190:191], v[6:7], -v[8:9]
	scratch_load_b128 v[190:193], off, off offset:576
	ds_load_b128 v[6:9], v1 offset:1232
	s_waitcnt vmcnt(9) lgkmcnt(1)
	v_mul_f64 v[204:205], v[2:3], v[12:13]
	v_mul_f64 v[12:13], v[4:5], v[12:13]
	s_waitcnt vmcnt(8) lgkmcnt(0)
	v_mul_f64 v[208:209], v[6:7], v[16:17]
	v_mul_f64 v[16:17], v[8:9], v[16:17]
	v_add_f64 v[198:199], v[198:199], 0
	v_add_f64 v[202:203], v[202:203], 0
	v_fma_f64 v[204:205], v[4:5], v[10:11], v[204:205]
	v_fma_f64 v[210:211], v[2:3], v[10:11], -v[12:13]
	ds_load_b128 v[2:5], v1 offset:1248
	scratch_load_b128 v[10:13], off, off offset:592
	v_add_f64 v[198:199], v[198:199], v[206:207]
	v_add_f64 v[200:201], v[202:203], v[200:201]
	v_fma_f64 v[206:207], v[8:9], v[14:15], v[208:209]
	v_fma_f64 v[208:209], v[6:7], v[14:15], -v[16:17]
	scratch_load_b128 v[14:17], off, off offset:608
	ds_load_b128 v[6:9], v1 offset:1264
	s_waitcnt vmcnt(9) lgkmcnt(1)
	v_mul_f64 v[202:203], v[2:3], v[20:21]
	v_mul_f64 v[20:21], v[4:5], v[20:21]
	v_add_f64 v[198:199], v[198:199], v[210:211]
	v_add_f64 v[200:201], v[200:201], v[204:205]
	s_waitcnt vmcnt(8) lgkmcnt(0)
	v_mul_f64 v[204:205], v[6:7], v[24:25]
	v_mul_f64 v[24:25], v[8:9], v[24:25]
	v_fma_f64 v[202:203], v[4:5], v[18:19], v[202:203]
	v_fma_f64 v[210:211], v[2:3], v[18:19], -v[20:21]
	ds_load_b128 v[2:5], v1 offset:1280
	scratch_load_b128 v[18:21], off, off offset:624
	v_add_f64 v[198:199], v[198:199], v[208:209]
	v_add_f64 v[200:201], v[200:201], v[206:207]
	v_fma_f64 v[204:205], v[8:9], v[22:23], v[204:205]
	v_fma_f64 v[208:209], v[6:7], v[22:23], -v[24:25]
	scratch_load_b128 v[22:25], off, off offset:640
	ds_load_b128 v[6:9], v1 offset:1296
	s_waitcnt vmcnt(9) lgkmcnt(1)
	v_mul_f64 v[206:207], v[2:3], v[28:29]
	v_mul_f64 v[28:29], v[4:5], v[28:29]
	v_add_f64 v[198:199], v[198:199], v[210:211]
	v_add_f64 v[200:201], v[200:201], v[202:203]
	s_waitcnt vmcnt(8) lgkmcnt(0)
	v_mul_f64 v[202:203], v[6:7], v[32:33]
	v_mul_f64 v[32:33], v[8:9], v[32:33]
	v_fma_f64 v[206:207], v[4:5], v[26:27], v[206:207]
	v_fma_f64 v[210:211], v[2:3], v[26:27], -v[28:29]
	ds_load_b128 v[2:5], v1 offset:1312
	scratch_load_b128 v[26:29], off, off offset:656
	v_add_f64 v[198:199], v[198:199], v[208:209]
	v_add_f64 v[200:201], v[200:201], v[204:205]
	v_fma_f64 v[202:203], v[8:9], v[30:31], v[202:203]
	v_fma_f64 v[208:209], v[6:7], v[30:31], -v[32:33]
	ds_load_b128 v[6:9], v1 offset:1328
	s_waitcnt vmcnt(8) lgkmcnt(1)
	v_mul_f64 v[204:205], v[2:3], v[40:41]
	v_mul_f64 v[40:41], v[4:5], v[40:41]
	scratch_load_b128 v[30:33], off, off offset:672
	v_add_f64 v[198:199], v[198:199], v[210:211]
	v_add_f64 v[200:201], v[200:201], v[206:207]
	s_waitcnt vmcnt(8) lgkmcnt(0)
	v_mul_f64 v[206:207], v[6:7], v[196:197]
	v_mul_f64 v[196:197], v[8:9], v[196:197]
	v_fma_f64 v[204:205], v[4:5], v[38:39], v[204:205]
	v_fma_f64 v[210:211], v[2:3], v[38:39], -v[40:41]
	ds_load_b128 v[2:5], v1 offset:1344
	scratch_load_b128 v[38:41], off, off offset:688
	v_add_f64 v[198:199], v[198:199], v[208:209]
	v_add_f64 v[200:201], v[200:201], v[202:203]
	v_fma_f64 v[206:207], v[8:9], v[194:195], v[206:207]
	v_fma_f64 v[208:209], v[6:7], v[194:195], -v[196:197]
	ds_load_b128 v[6:9], v1 offset:1360
	scratch_load_b128 v[194:197], off, off offset:704
	s_waitcnt vmcnt(9) lgkmcnt(1)
	v_mul_f64 v[202:203], v[2:3], v[36:37]
	v_mul_f64 v[36:37], v[4:5], v[36:37]
	v_add_f64 v[198:199], v[198:199], v[210:211]
	v_add_f64 v[200:201], v[200:201], v[204:205]
	s_waitcnt vmcnt(8) lgkmcnt(0)
	v_mul_f64 v[204:205], v[6:7], v[192:193]
	v_mul_f64 v[192:193], v[8:9], v[192:193]
	v_fma_f64 v[202:203], v[4:5], v[34:35], v[202:203]
	v_fma_f64 v[210:211], v[2:3], v[34:35], -v[36:37]
	scratch_load_b128 v[34:37], off, off offset:720
	ds_load_b128 v[2:5], v1 offset:1376
	v_add_f64 v[198:199], v[198:199], v[208:209]
	v_add_f64 v[200:201], v[200:201], v[206:207]
	v_fma_f64 v[204:205], v[8:9], v[190:191], v[204:205]
	v_fma_f64 v[208:209], v[6:7], v[190:191], -v[192:193]
	ds_load_b128 v[6:9], v1 offset:1392
	s_waitcnt vmcnt(8) lgkmcnt(1)
	v_mul_f64 v[206:207], v[2:3], v[12:13]
	v_mul_f64 v[12:13], v[4:5], v[12:13]
	scratch_load_b128 v[190:193], off, off offset:736
	v_add_f64 v[198:199], v[198:199], v[210:211]
	v_add_f64 v[200:201], v[200:201], v[202:203]
	s_waitcnt vmcnt(8) lgkmcnt(0)
	v_mul_f64 v[202:203], v[6:7], v[16:17]
	v_mul_f64 v[16:17], v[8:9], v[16:17]
	v_fma_f64 v[206:207], v[4:5], v[10:11], v[206:207]
	v_fma_f64 v[210:211], v[2:3], v[10:11], -v[12:13]
	scratch_load_b128 v[10:13], off, off offset:752
	ds_load_b128 v[2:5], v1 offset:1408
	v_add_f64 v[198:199], v[198:199], v[208:209]
	v_add_f64 v[200:201], v[200:201], v[204:205]
	v_fma_f64 v[202:203], v[8:9], v[14:15], v[202:203]
	v_fma_f64 v[208:209], v[6:7], v[14:15], -v[16:17]
	ds_load_b128 v[6:9], v1 offset:1424
	s_waitcnt vmcnt(8) lgkmcnt(1)
	v_mul_f64 v[204:205], v[2:3], v[20:21]
	v_mul_f64 v[20:21], v[4:5], v[20:21]
	scratch_load_b128 v[14:17], off, off offset:768
	v_add_f64 v[198:199], v[198:199], v[210:211]
	v_add_f64 v[200:201], v[200:201], v[206:207]
	s_waitcnt vmcnt(8) lgkmcnt(0)
	v_mul_f64 v[206:207], v[6:7], v[24:25]
	v_mul_f64 v[24:25], v[8:9], v[24:25]
	v_fma_f64 v[204:205], v[4:5], v[18:19], v[204:205]
	v_fma_f64 v[18:19], v[2:3], v[18:19], -v[20:21]
	ds_load_b128 v[2:5], v1 offset:1440
	v_add_f64 v[20:21], v[198:199], v[208:209]
	v_add_f64 v[198:199], v[200:201], v[202:203]
	v_fma_f64 v[202:203], v[8:9], v[22:23], v[206:207]
	v_fma_f64 v[22:23], v[6:7], v[22:23], -v[24:25]
	ds_load_b128 v[6:9], v1 offset:1456
	s_waitcnt vmcnt(7) lgkmcnt(1)
	v_mul_f64 v[200:201], v[2:3], v[28:29]
	v_mul_f64 v[28:29], v[4:5], v[28:29]
	v_add_f64 v[18:19], v[20:21], v[18:19]
	v_add_f64 v[20:21], v[198:199], v[204:205]
	s_delay_alu instid0(VALU_DEP_4) | instskip(NEXT) | instid1(VALU_DEP_4)
	v_fma_f64 v[198:199], v[4:5], v[26:27], v[200:201]
	v_fma_f64 v[26:27], v[2:3], v[26:27], -v[28:29]
	ds_load_b128 v[2:5], v1 offset:1472
	v_add_f64 v[22:23], v[18:19], v[22:23]
	v_add_f64 v[28:29], v[20:21], v[202:203]
	scratch_load_b128 v[18:21], off, off offset:384
	s_waitcnt vmcnt(7) lgkmcnt(1)
	v_mul_f64 v[24:25], v[6:7], v[32:33]
	v_mul_f64 v[32:33], v[8:9], v[32:33]
	v_add_f64 v[22:23], v[22:23], v[26:27]
	v_add_f64 v[26:27], v[28:29], v[198:199]
	s_delay_alu instid0(VALU_DEP_4) | instskip(NEXT) | instid1(VALU_DEP_4)
	v_fma_f64 v[24:25], v[8:9], v[30:31], v[24:25]
	v_fma_f64 v[30:31], v[6:7], v[30:31], -v[32:33]
	ds_load_b128 v[6:9], v1 offset:1488
	s_waitcnt vmcnt(6) lgkmcnt(1)
	v_mul_f64 v[200:201], v[2:3], v[40:41]
	v_mul_f64 v[40:41], v[4:5], v[40:41]
	s_waitcnt vmcnt(5) lgkmcnt(0)
	v_mul_f64 v[28:29], v[6:7], v[196:197]
	v_mul_f64 v[32:33], v[8:9], v[196:197]
	v_add_f64 v[24:25], v[26:27], v[24:25]
	v_add_f64 v[22:23], v[22:23], v[30:31]
	v_fma_f64 v[196:197], v[4:5], v[38:39], v[200:201]
	v_fma_f64 v[38:39], v[2:3], v[38:39], -v[40:41]
	ds_load_b128 v[2:5], v1 offset:1504
	v_fma_f64 v[28:29], v[8:9], v[194:195], v[28:29]
	v_fma_f64 v[32:33], v[6:7], v[194:195], -v[32:33]
	ds_load_b128 v[6:9], v1 offset:1520
	s_waitcnt vmcnt(4) lgkmcnt(1)
	v_mul_f64 v[26:27], v[2:3], v[36:37]
	v_mul_f64 v[30:31], v[4:5], v[36:37]
	v_add_f64 v[24:25], v[24:25], v[196:197]
	v_add_f64 v[22:23], v[22:23], v[38:39]
	s_waitcnt vmcnt(3) lgkmcnt(0)
	v_mul_f64 v[36:37], v[6:7], v[192:193]
	v_mul_f64 v[38:39], v[8:9], v[192:193]
	v_fma_f64 v[26:27], v[4:5], v[34:35], v[26:27]
	v_fma_f64 v[30:31], v[2:3], v[34:35], -v[30:31]
	ds_load_b128 v[2:5], v1 offset:1536
	v_add_f64 v[24:25], v[24:25], v[28:29]
	v_add_f64 v[22:23], v[22:23], v[32:33]
	v_fma_f64 v[32:33], v[8:9], v[190:191], v[36:37]
	v_fma_f64 v[34:35], v[6:7], v[190:191], -v[38:39]
	ds_load_b128 v[6:9], v1 offset:1552
	s_waitcnt vmcnt(2) lgkmcnt(1)
	v_mul_f64 v[28:29], v[2:3], v[12:13]
	v_mul_f64 v[12:13], v[4:5], v[12:13]
	v_add_f64 v[24:25], v[24:25], v[26:27]
	v_add_f64 v[22:23], v[22:23], v[30:31]
	s_waitcnt vmcnt(1) lgkmcnt(0)
	v_mul_f64 v[26:27], v[6:7], v[16:17]
	v_mul_f64 v[16:17], v[8:9], v[16:17]
	v_fma_f64 v[4:5], v[4:5], v[10:11], v[28:29]
	v_fma_f64 v[1:2], v[2:3], v[10:11], -v[12:13]
	v_add_f64 v[12:13], v[24:25], v[32:33]
	v_add_f64 v[10:11], v[22:23], v[34:35]
	v_fma_f64 v[8:9], v[8:9], v[14:15], v[26:27]
	v_fma_f64 v[6:7], v[6:7], v[14:15], -v[16:17]
	s_delay_alu instid0(VALU_DEP_4) | instskip(NEXT) | instid1(VALU_DEP_4)
	v_add_f64 v[3:4], v[12:13], v[4:5]
	v_add_f64 v[1:2], v[10:11], v[1:2]
	s_delay_alu instid0(VALU_DEP_2) | instskip(NEXT) | instid1(VALU_DEP_2)
	v_add_f64 v[3:4], v[3:4], v[8:9]
	v_add_f64 v[1:2], v[1:2], v[6:7]
	s_waitcnt vmcnt(0)
	s_delay_alu instid0(VALU_DEP_2) | instskip(NEXT) | instid1(VALU_DEP_2)
	v_add_f64 v[3:4], v[20:21], -v[3:4]
	v_add_f64 v[1:2], v[18:19], -v[1:2]
	scratch_store_b128 off, v[1:4], off offset:384
	v_cmpx_lt_u32_e32 23, v140
	s_cbranch_execz .LBB112_261
; %bb.260:
	scratch_load_b128 v[1:4], v166, off
	v_mov_b32_e32 v5, 0
	s_delay_alu instid0(VALU_DEP_1)
	v_mov_b32_e32 v6, v5
	v_mov_b32_e32 v7, v5
	;; [unrolled: 1-line block ×3, first 2 shown]
	scratch_store_b128 off, v[5:8], off offset:368
	s_waitcnt vmcnt(0)
	ds_store_b128 v189, v[1:4]
.LBB112_261:
	s_or_b32 exec_lo, exec_lo, s2
	s_waitcnt lgkmcnt(0)
	s_waitcnt_vscnt null, 0x0
	s_barrier
	buffer_gl0_inv
	s_clause 0x7
	scratch_load_b128 v[2:5], off, off offset:384
	scratch_load_b128 v[6:9], off, off offset:400
	;; [unrolled: 1-line block ×8, first 2 shown]
	v_mov_b32_e32 v1, 0
	s_clause 0x1
	scratch_load_b128 v[38:41], off, off offset:512
	scratch_load_b128 v[194:197], off, off offset:528
	s_mov_b32 s2, exec_lo
	ds_load_b128 v[34:37], v1 offset:1168
	ds_load_b128 v[190:193], v1 offset:1184
	s_waitcnt vmcnt(9) lgkmcnt(1)
	v_mul_f64 v[198:199], v[36:37], v[4:5]
	v_mul_f64 v[4:5], v[34:35], v[4:5]
	s_waitcnt vmcnt(8) lgkmcnt(0)
	v_mul_f64 v[200:201], v[190:191], v[8:9]
	v_mul_f64 v[8:9], v[192:193], v[8:9]
	s_delay_alu instid0(VALU_DEP_4) | instskip(NEXT) | instid1(VALU_DEP_4)
	v_fma_f64 v[198:199], v[34:35], v[2:3], -v[198:199]
	v_fma_f64 v[202:203], v[36:37], v[2:3], v[4:5]
	ds_load_b128 v[2:5], v1 offset:1200
	scratch_load_b128 v[34:37], off, off offset:544
	v_fma_f64 v[200:201], v[192:193], v[6:7], v[200:201]
	v_fma_f64 v[206:207], v[190:191], v[6:7], -v[8:9]
	scratch_load_b128 v[190:193], off, off offset:560
	ds_load_b128 v[6:9], v1 offset:1216
	s_waitcnt vmcnt(9) lgkmcnt(1)
	v_mul_f64 v[204:205], v[2:3], v[12:13]
	v_mul_f64 v[12:13], v[4:5], v[12:13]
	s_waitcnt vmcnt(8) lgkmcnt(0)
	v_mul_f64 v[208:209], v[6:7], v[16:17]
	v_mul_f64 v[16:17], v[8:9], v[16:17]
	v_add_f64 v[198:199], v[198:199], 0
	v_add_f64 v[202:203], v[202:203], 0
	v_fma_f64 v[204:205], v[4:5], v[10:11], v[204:205]
	v_fma_f64 v[210:211], v[2:3], v[10:11], -v[12:13]
	ds_load_b128 v[2:5], v1 offset:1232
	scratch_load_b128 v[10:13], off, off offset:576
	v_add_f64 v[198:199], v[198:199], v[206:207]
	v_add_f64 v[200:201], v[202:203], v[200:201]
	v_fma_f64 v[206:207], v[8:9], v[14:15], v[208:209]
	v_fma_f64 v[208:209], v[6:7], v[14:15], -v[16:17]
	scratch_load_b128 v[14:17], off, off offset:592
	ds_load_b128 v[6:9], v1 offset:1248
	s_waitcnt vmcnt(9) lgkmcnt(1)
	v_mul_f64 v[202:203], v[2:3], v[20:21]
	v_mul_f64 v[20:21], v[4:5], v[20:21]
	v_add_f64 v[198:199], v[198:199], v[210:211]
	v_add_f64 v[200:201], v[200:201], v[204:205]
	s_waitcnt vmcnt(8) lgkmcnt(0)
	v_mul_f64 v[204:205], v[6:7], v[24:25]
	v_mul_f64 v[24:25], v[8:9], v[24:25]
	v_fma_f64 v[202:203], v[4:5], v[18:19], v[202:203]
	v_fma_f64 v[210:211], v[2:3], v[18:19], -v[20:21]
	ds_load_b128 v[2:5], v1 offset:1264
	scratch_load_b128 v[18:21], off, off offset:608
	v_add_f64 v[198:199], v[198:199], v[208:209]
	v_add_f64 v[200:201], v[200:201], v[206:207]
	v_fma_f64 v[204:205], v[8:9], v[22:23], v[204:205]
	v_fma_f64 v[208:209], v[6:7], v[22:23], -v[24:25]
	scratch_load_b128 v[22:25], off, off offset:624
	ds_load_b128 v[6:9], v1 offset:1280
	s_waitcnt vmcnt(9) lgkmcnt(1)
	v_mul_f64 v[206:207], v[2:3], v[28:29]
	v_mul_f64 v[28:29], v[4:5], v[28:29]
	v_add_f64 v[198:199], v[198:199], v[210:211]
	v_add_f64 v[200:201], v[200:201], v[202:203]
	s_waitcnt vmcnt(8) lgkmcnt(0)
	v_mul_f64 v[202:203], v[6:7], v[32:33]
	v_mul_f64 v[32:33], v[8:9], v[32:33]
	;; [unrolled: 18-line block ×3, first 2 shown]
	v_fma_f64 v[204:205], v[4:5], v[38:39], v[204:205]
	v_fma_f64 v[210:211], v[2:3], v[38:39], -v[40:41]
	ds_load_b128 v[2:5], v1 offset:1328
	scratch_load_b128 v[38:41], off, off offset:672
	v_add_f64 v[198:199], v[198:199], v[208:209]
	v_add_f64 v[200:201], v[200:201], v[202:203]
	v_fma_f64 v[206:207], v[8:9], v[194:195], v[206:207]
	v_fma_f64 v[208:209], v[6:7], v[194:195], -v[196:197]
	ds_load_b128 v[6:9], v1 offset:1344
	scratch_load_b128 v[194:197], off, off offset:688
	s_waitcnt vmcnt(9) lgkmcnt(1)
	v_mul_f64 v[202:203], v[2:3], v[36:37]
	v_mul_f64 v[36:37], v[4:5], v[36:37]
	v_add_f64 v[198:199], v[198:199], v[210:211]
	v_add_f64 v[200:201], v[200:201], v[204:205]
	s_waitcnt vmcnt(8) lgkmcnt(0)
	v_mul_f64 v[204:205], v[6:7], v[192:193]
	v_mul_f64 v[192:193], v[8:9], v[192:193]
	v_fma_f64 v[202:203], v[4:5], v[34:35], v[202:203]
	v_fma_f64 v[210:211], v[2:3], v[34:35], -v[36:37]
	scratch_load_b128 v[34:37], off, off offset:704
	ds_load_b128 v[2:5], v1 offset:1360
	v_add_f64 v[198:199], v[198:199], v[208:209]
	v_add_f64 v[200:201], v[200:201], v[206:207]
	v_fma_f64 v[204:205], v[8:9], v[190:191], v[204:205]
	v_fma_f64 v[208:209], v[6:7], v[190:191], -v[192:193]
	ds_load_b128 v[6:9], v1 offset:1376
	s_waitcnt vmcnt(8) lgkmcnt(1)
	v_mul_f64 v[206:207], v[2:3], v[12:13]
	v_mul_f64 v[12:13], v[4:5], v[12:13]
	scratch_load_b128 v[190:193], off, off offset:720
	v_add_f64 v[198:199], v[198:199], v[210:211]
	v_add_f64 v[200:201], v[200:201], v[202:203]
	s_waitcnt vmcnt(8) lgkmcnt(0)
	v_mul_f64 v[202:203], v[6:7], v[16:17]
	v_mul_f64 v[16:17], v[8:9], v[16:17]
	v_fma_f64 v[206:207], v[4:5], v[10:11], v[206:207]
	v_fma_f64 v[210:211], v[2:3], v[10:11], -v[12:13]
	scratch_load_b128 v[10:13], off, off offset:736
	ds_load_b128 v[2:5], v1 offset:1392
	v_add_f64 v[198:199], v[198:199], v[208:209]
	v_add_f64 v[200:201], v[200:201], v[204:205]
	v_fma_f64 v[202:203], v[8:9], v[14:15], v[202:203]
	v_fma_f64 v[208:209], v[6:7], v[14:15], -v[16:17]
	ds_load_b128 v[6:9], v1 offset:1408
	s_waitcnt vmcnt(8) lgkmcnt(1)
	v_mul_f64 v[204:205], v[2:3], v[20:21]
	v_mul_f64 v[20:21], v[4:5], v[20:21]
	scratch_load_b128 v[14:17], off, off offset:752
	v_add_f64 v[198:199], v[198:199], v[210:211]
	v_add_f64 v[200:201], v[200:201], v[206:207]
	s_waitcnt vmcnt(8) lgkmcnt(0)
	v_mul_f64 v[206:207], v[6:7], v[24:25]
	v_mul_f64 v[24:25], v[8:9], v[24:25]
	v_fma_f64 v[204:205], v[4:5], v[18:19], v[204:205]
	v_fma_f64 v[210:211], v[2:3], v[18:19], -v[20:21]
	scratch_load_b128 v[18:21], off, off offset:768
	ds_load_b128 v[2:5], v1 offset:1424
	v_add_f64 v[198:199], v[198:199], v[208:209]
	v_add_f64 v[200:201], v[200:201], v[202:203]
	v_fma_f64 v[206:207], v[8:9], v[22:23], v[206:207]
	v_fma_f64 v[22:23], v[6:7], v[22:23], -v[24:25]
	ds_load_b128 v[6:9], v1 offset:1440
	s_waitcnt vmcnt(8) lgkmcnt(1)
	v_mul_f64 v[202:203], v[2:3], v[28:29]
	v_mul_f64 v[28:29], v[4:5], v[28:29]
	v_add_f64 v[24:25], v[198:199], v[210:211]
	v_add_f64 v[198:199], v[200:201], v[204:205]
	s_waitcnt vmcnt(7) lgkmcnt(0)
	v_mul_f64 v[200:201], v[6:7], v[32:33]
	v_mul_f64 v[32:33], v[8:9], v[32:33]
	v_fma_f64 v[202:203], v[4:5], v[26:27], v[202:203]
	v_fma_f64 v[26:27], v[2:3], v[26:27], -v[28:29]
	ds_load_b128 v[2:5], v1 offset:1456
	v_add_f64 v[22:23], v[24:25], v[22:23]
	v_add_f64 v[24:25], v[198:199], v[206:207]
	v_fma_f64 v[198:199], v[8:9], v[30:31], v[200:201]
	v_fma_f64 v[30:31], v[6:7], v[30:31], -v[32:33]
	ds_load_b128 v[6:9], v1 offset:1472
	s_waitcnt vmcnt(5) lgkmcnt(0)
	v_mul_f64 v[200:201], v[6:7], v[196:197]
	v_mul_f64 v[196:197], v[8:9], v[196:197]
	v_add_f64 v[26:27], v[22:23], v[26:27]
	v_add_f64 v[32:33], v[24:25], v[202:203]
	scratch_load_b128 v[22:25], off, off offset:368
	v_mul_f64 v[28:29], v[2:3], v[40:41]
	v_mul_f64 v[40:41], v[4:5], v[40:41]
	v_add_f64 v[26:27], v[26:27], v[30:31]
	v_add_f64 v[30:31], v[32:33], v[198:199]
	s_delay_alu instid0(VALU_DEP_4) | instskip(NEXT) | instid1(VALU_DEP_4)
	v_fma_f64 v[28:29], v[4:5], v[38:39], v[28:29]
	v_fma_f64 v[38:39], v[2:3], v[38:39], -v[40:41]
	ds_load_b128 v[2:5], v1 offset:1488
	v_fma_f64 v[40:41], v[8:9], v[194:195], v[200:201]
	v_fma_f64 v[194:195], v[6:7], v[194:195], -v[196:197]
	ds_load_b128 v[6:9], v1 offset:1504
	s_waitcnt vmcnt(5) lgkmcnt(1)
	v_mul_f64 v[32:33], v[2:3], v[36:37]
	v_mul_f64 v[36:37], v[4:5], v[36:37]
	v_add_f64 v[28:29], v[30:31], v[28:29]
	v_add_f64 v[26:27], v[26:27], v[38:39]
	s_waitcnt vmcnt(4) lgkmcnt(0)
	v_mul_f64 v[30:31], v[6:7], v[192:193]
	v_mul_f64 v[38:39], v[8:9], v[192:193]
	v_fma_f64 v[32:33], v[4:5], v[34:35], v[32:33]
	v_fma_f64 v[34:35], v[2:3], v[34:35], -v[36:37]
	ds_load_b128 v[2:5], v1 offset:1520
	v_add_f64 v[28:29], v[28:29], v[40:41]
	v_add_f64 v[26:27], v[26:27], v[194:195]
	v_fma_f64 v[30:31], v[8:9], v[190:191], v[30:31]
	v_fma_f64 v[38:39], v[6:7], v[190:191], -v[38:39]
	ds_load_b128 v[6:9], v1 offset:1536
	s_waitcnt vmcnt(3) lgkmcnt(1)
	v_mul_f64 v[36:37], v[2:3], v[12:13]
	v_mul_f64 v[12:13], v[4:5], v[12:13]
	v_add_f64 v[28:29], v[28:29], v[32:33]
	v_add_f64 v[26:27], v[26:27], v[34:35]
	s_waitcnt vmcnt(2) lgkmcnt(0)
	v_mul_f64 v[32:33], v[6:7], v[16:17]
	v_mul_f64 v[16:17], v[8:9], v[16:17]
	v_fma_f64 v[34:35], v[4:5], v[10:11], v[36:37]
	v_fma_f64 v[10:11], v[2:3], v[10:11], -v[12:13]
	ds_load_b128 v[2:5], v1 offset:1552
	v_add_f64 v[12:13], v[26:27], v[38:39]
	v_add_f64 v[26:27], v[28:29], v[30:31]
	s_waitcnt vmcnt(1) lgkmcnt(0)
	v_mul_f64 v[28:29], v[2:3], v[20:21]
	v_mul_f64 v[20:21], v[4:5], v[20:21]
	v_fma_f64 v[8:9], v[8:9], v[14:15], v[32:33]
	v_fma_f64 v[6:7], v[6:7], v[14:15], -v[16:17]
	v_add_f64 v[10:11], v[12:13], v[10:11]
	v_add_f64 v[12:13], v[26:27], v[34:35]
	v_fma_f64 v[4:5], v[4:5], v[18:19], v[28:29]
	v_fma_f64 v[2:3], v[2:3], v[18:19], -v[20:21]
	s_delay_alu instid0(VALU_DEP_4) | instskip(NEXT) | instid1(VALU_DEP_4)
	v_add_f64 v[6:7], v[10:11], v[6:7]
	v_add_f64 v[8:9], v[12:13], v[8:9]
	s_delay_alu instid0(VALU_DEP_2) | instskip(NEXT) | instid1(VALU_DEP_2)
	v_add_f64 v[2:3], v[6:7], v[2:3]
	v_add_f64 v[4:5], v[8:9], v[4:5]
	s_waitcnt vmcnt(0)
	s_delay_alu instid0(VALU_DEP_2) | instskip(NEXT) | instid1(VALU_DEP_2)
	v_add_f64 v[2:3], v[22:23], -v[2:3]
	v_add_f64 v[4:5], v[24:25], -v[4:5]
	scratch_store_b128 off, v[2:5], off offset:368
	v_cmpx_lt_u32_e32 22, v140
	s_cbranch_execz .LBB112_263
; %bb.262:
	scratch_load_b128 v[5:8], v167, off
	v_mov_b32_e32 v2, v1
	v_mov_b32_e32 v3, v1
	;; [unrolled: 1-line block ×3, first 2 shown]
	scratch_store_b128 off, v[1:4], off offset:352
	s_waitcnt vmcnt(0)
	ds_store_b128 v189, v[5:8]
.LBB112_263:
	s_or_b32 exec_lo, exec_lo, s2
	s_waitcnt lgkmcnt(0)
	s_waitcnt_vscnt null, 0x0
	s_barrier
	buffer_gl0_inv
	s_clause 0x7
	scratch_load_b128 v[2:5], off, off offset:368
	scratch_load_b128 v[6:9], off, off offset:384
	;; [unrolled: 1-line block ×8, first 2 shown]
	ds_load_b128 v[38:41], v1 offset:1152
	ds_load_b128 v[190:193], v1 offset:1168
	s_clause 0x1
	scratch_load_b128 v[34:37], off, off offset:496
	scratch_load_b128 v[194:197], off, off offset:512
	s_mov_b32 s2, exec_lo
	s_waitcnt vmcnt(9) lgkmcnt(1)
	v_mul_f64 v[198:199], v[40:41], v[4:5]
	v_mul_f64 v[4:5], v[38:39], v[4:5]
	s_waitcnt vmcnt(8) lgkmcnt(0)
	v_mul_f64 v[200:201], v[190:191], v[8:9]
	v_mul_f64 v[8:9], v[192:193], v[8:9]
	s_delay_alu instid0(VALU_DEP_4) | instskip(NEXT) | instid1(VALU_DEP_4)
	v_fma_f64 v[198:199], v[38:39], v[2:3], -v[198:199]
	v_fma_f64 v[202:203], v[40:41], v[2:3], v[4:5]
	ds_load_b128 v[2:5], v1 offset:1184
	scratch_load_b128 v[38:41], off, off offset:528
	v_fma_f64 v[200:201], v[192:193], v[6:7], v[200:201]
	v_fma_f64 v[206:207], v[190:191], v[6:7], -v[8:9]
	scratch_load_b128 v[190:193], off, off offset:544
	ds_load_b128 v[6:9], v1 offset:1200
	s_waitcnt vmcnt(9) lgkmcnt(1)
	v_mul_f64 v[204:205], v[2:3], v[12:13]
	v_mul_f64 v[12:13], v[4:5], v[12:13]
	s_waitcnt vmcnt(8) lgkmcnt(0)
	v_mul_f64 v[208:209], v[6:7], v[16:17]
	v_mul_f64 v[16:17], v[8:9], v[16:17]
	v_add_f64 v[198:199], v[198:199], 0
	v_add_f64 v[202:203], v[202:203], 0
	v_fma_f64 v[204:205], v[4:5], v[10:11], v[204:205]
	v_fma_f64 v[210:211], v[2:3], v[10:11], -v[12:13]
	ds_load_b128 v[2:5], v1 offset:1216
	scratch_load_b128 v[10:13], off, off offset:560
	v_add_f64 v[198:199], v[198:199], v[206:207]
	v_add_f64 v[200:201], v[202:203], v[200:201]
	v_fma_f64 v[206:207], v[8:9], v[14:15], v[208:209]
	v_fma_f64 v[208:209], v[6:7], v[14:15], -v[16:17]
	scratch_load_b128 v[14:17], off, off offset:576
	ds_load_b128 v[6:9], v1 offset:1232
	s_waitcnt vmcnt(9) lgkmcnt(1)
	v_mul_f64 v[202:203], v[2:3], v[20:21]
	v_mul_f64 v[20:21], v[4:5], v[20:21]
	v_add_f64 v[198:199], v[198:199], v[210:211]
	v_add_f64 v[200:201], v[200:201], v[204:205]
	s_waitcnt vmcnt(8) lgkmcnt(0)
	v_mul_f64 v[204:205], v[6:7], v[24:25]
	v_mul_f64 v[24:25], v[8:9], v[24:25]
	v_fma_f64 v[202:203], v[4:5], v[18:19], v[202:203]
	v_fma_f64 v[210:211], v[2:3], v[18:19], -v[20:21]
	ds_load_b128 v[2:5], v1 offset:1248
	scratch_load_b128 v[18:21], off, off offset:592
	v_add_f64 v[198:199], v[198:199], v[208:209]
	v_add_f64 v[200:201], v[200:201], v[206:207]
	v_fma_f64 v[204:205], v[8:9], v[22:23], v[204:205]
	v_fma_f64 v[208:209], v[6:7], v[22:23], -v[24:25]
	scratch_load_b128 v[22:25], off, off offset:608
	ds_load_b128 v[6:9], v1 offset:1264
	s_waitcnt vmcnt(9) lgkmcnt(1)
	v_mul_f64 v[206:207], v[2:3], v[28:29]
	v_mul_f64 v[28:29], v[4:5], v[28:29]
	v_add_f64 v[198:199], v[198:199], v[210:211]
	v_add_f64 v[200:201], v[200:201], v[202:203]
	s_waitcnt vmcnt(8) lgkmcnt(0)
	v_mul_f64 v[202:203], v[6:7], v[32:33]
	v_mul_f64 v[32:33], v[8:9], v[32:33]
	;; [unrolled: 18-line block ×3, first 2 shown]
	v_fma_f64 v[204:205], v[4:5], v[34:35], v[204:205]
	v_fma_f64 v[210:211], v[2:3], v[34:35], -v[36:37]
	ds_load_b128 v[2:5], v1 offset:1312
	scratch_load_b128 v[34:37], off, off offset:656
	v_add_f64 v[198:199], v[198:199], v[208:209]
	v_add_f64 v[200:201], v[200:201], v[202:203]
	v_fma_f64 v[206:207], v[8:9], v[194:195], v[206:207]
	v_fma_f64 v[208:209], v[6:7], v[194:195], -v[196:197]
	ds_load_b128 v[6:9], v1 offset:1328
	scratch_load_b128 v[194:197], off, off offset:672
	s_waitcnt vmcnt(9) lgkmcnt(1)
	v_mul_f64 v[202:203], v[2:3], v[40:41]
	v_mul_f64 v[40:41], v[4:5], v[40:41]
	v_add_f64 v[198:199], v[198:199], v[210:211]
	v_add_f64 v[200:201], v[200:201], v[204:205]
	s_waitcnt vmcnt(8) lgkmcnt(0)
	v_mul_f64 v[204:205], v[6:7], v[192:193]
	v_mul_f64 v[192:193], v[8:9], v[192:193]
	v_fma_f64 v[202:203], v[4:5], v[38:39], v[202:203]
	v_fma_f64 v[210:211], v[2:3], v[38:39], -v[40:41]
	ds_load_b128 v[2:5], v1 offset:1344
	scratch_load_b128 v[38:41], off, off offset:688
	v_add_f64 v[198:199], v[198:199], v[208:209]
	v_add_f64 v[200:201], v[200:201], v[206:207]
	v_fma_f64 v[204:205], v[8:9], v[190:191], v[204:205]
	v_fma_f64 v[208:209], v[6:7], v[190:191], -v[192:193]
	ds_load_b128 v[6:9], v1 offset:1360
	s_waitcnt vmcnt(8) lgkmcnt(1)
	v_mul_f64 v[206:207], v[2:3], v[12:13]
	v_mul_f64 v[12:13], v[4:5], v[12:13]
	scratch_load_b128 v[190:193], off, off offset:704
	v_add_f64 v[198:199], v[198:199], v[210:211]
	v_add_f64 v[200:201], v[200:201], v[202:203]
	s_waitcnt vmcnt(8) lgkmcnt(0)
	v_mul_f64 v[202:203], v[6:7], v[16:17]
	v_mul_f64 v[16:17], v[8:9], v[16:17]
	v_fma_f64 v[206:207], v[4:5], v[10:11], v[206:207]
	v_fma_f64 v[210:211], v[2:3], v[10:11], -v[12:13]
	scratch_load_b128 v[10:13], off, off offset:720
	ds_load_b128 v[2:5], v1 offset:1376
	v_add_f64 v[198:199], v[198:199], v[208:209]
	v_add_f64 v[200:201], v[200:201], v[204:205]
	v_fma_f64 v[202:203], v[8:9], v[14:15], v[202:203]
	v_fma_f64 v[208:209], v[6:7], v[14:15], -v[16:17]
	ds_load_b128 v[6:9], v1 offset:1392
	s_waitcnt vmcnt(8) lgkmcnt(1)
	v_mul_f64 v[204:205], v[2:3], v[20:21]
	v_mul_f64 v[20:21], v[4:5], v[20:21]
	scratch_load_b128 v[14:17], off, off offset:736
	v_add_f64 v[198:199], v[198:199], v[210:211]
	v_add_f64 v[200:201], v[200:201], v[206:207]
	s_waitcnt vmcnt(8) lgkmcnt(0)
	v_mul_f64 v[206:207], v[6:7], v[24:25]
	v_mul_f64 v[24:25], v[8:9], v[24:25]
	v_fma_f64 v[204:205], v[4:5], v[18:19], v[204:205]
	v_fma_f64 v[210:211], v[2:3], v[18:19], -v[20:21]
	scratch_load_b128 v[18:21], off, off offset:752
	ds_load_b128 v[2:5], v1 offset:1408
	v_add_f64 v[198:199], v[198:199], v[208:209]
	v_add_f64 v[200:201], v[200:201], v[202:203]
	v_fma_f64 v[206:207], v[8:9], v[22:23], v[206:207]
	v_fma_f64 v[208:209], v[6:7], v[22:23], -v[24:25]
	ds_load_b128 v[6:9], v1 offset:1424
	s_waitcnt vmcnt(8) lgkmcnt(1)
	v_mul_f64 v[202:203], v[2:3], v[28:29]
	v_mul_f64 v[28:29], v[4:5], v[28:29]
	scratch_load_b128 v[22:25], off, off offset:768
	v_add_f64 v[198:199], v[198:199], v[210:211]
	v_add_f64 v[200:201], v[200:201], v[204:205]
	s_waitcnt vmcnt(8) lgkmcnt(0)
	v_mul_f64 v[204:205], v[6:7], v[32:33]
	v_mul_f64 v[32:33], v[8:9], v[32:33]
	v_fma_f64 v[202:203], v[4:5], v[26:27], v[202:203]
	v_fma_f64 v[26:27], v[2:3], v[26:27], -v[28:29]
	ds_load_b128 v[2:5], v1 offset:1440
	v_add_f64 v[28:29], v[198:199], v[208:209]
	v_add_f64 v[198:199], v[200:201], v[206:207]
	v_fma_f64 v[204:205], v[8:9], v[30:31], v[204:205]
	v_fma_f64 v[30:31], v[6:7], v[30:31], -v[32:33]
	ds_load_b128 v[6:9], v1 offset:1456
	s_waitcnt vmcnt(7) lgkmcnt(1)
	v_mul_f64 v[200:201], v[2:3], v[36:37]
	v_mul_f64 v[36:37], v[4:5], v[36:37]
	v_add_f64 v[26:27], v[28:29], v[26:27]
	v_add_f64 v[28:29], v[198:199], v[202:203]
	s_delay_alu instid0(VALU_DEP_4) | instskip(NEXT) | instid1(VALU_DEP_4)
	v_fma_f64 v[198:199], v[4:5], v[34:35], v[200:201]
	v_fma_f64 v[34:35], v[2:3], v[34:35], -v[36:37]
	ds_load_b128 v[2:5], v1 offset:1472
	v_add_f64 v[30:31], v[26:27], v[30:31]
	v_add_f64 v[36:37], v[28:29], v[204:205]
	scratch_load_b128 v[26:29], off, off offset:352
	s_waitcnt vmcnt(7) lgkmcnt(1)
	v_mul_f64 v[32:33], v[6:7], v[196:197]
	v_mul_f64 v[196:197], v[8:9], v[196:197]
	v_add_f64 v[30:31], v[30:31], v[34:35]
	v_add_f64 v[34:35], v[36:37], v[198:199]
	s_delay_alu instid0(VALU_DEP_4) | instskip(NEXT) | instid1(VALU_DEP_4)
	v_fma_f64 v[32:33], v[8:9], v[194:195], v[32:33]
	v_fma_f64 v[194:195], v[6:7], v[194:195], -v[196:197]
	ds_load_b128 v[6:9], v1 offset:1488
	s_waitcnt vmcnt(6) lgkmcnt(1)
	v_mul_f64 v[200:201], v[2:3], v[40:41]
	v_mul_f64 v[40:41], v[4:5], v[40:41]
	s_waitcnt vmcnt(5) lgkmcnt(0)
	v_mul_f64 v[36:37], v[6:7], v[192:193]
	v_mul_f64 v[192:193], v[8:9], v[192:193]
	v_add_f64 v[32:33], v[34:35], v[32:33]
	v_add_f64 v[30:31], v[30:31], v[194:195]
	v_fma_f64 v[196:197], v[4:5], v[38:39], v[200:201]
	v_fma_f64 v[38:39], v[2:3], v[38:39], -v[40:41]
	ds_load_b128 v[2:5], v1 offset:1504
	v_fma_f64 v[36:37], v[8:9], v[190:191], v[36:37]
	v_fma_f64 v[40:41], v[6:7], v[190:191], -v[192:193]
	ds_load_b128 v[6:9], v1 offset:1520
	s_waitcnt vmcnt(4) lgkmcnt(1)
	v_mul_f64 v[34:35], v[2:3], v[12:13]
	v_mul_f64 v[12:13], v[4:5], v[12:13]
	v_add_f64 v[32:33], v[32:33], v[196:197]
	v_add_f64 v[30:31], v[30:31], v[38:39]
	s_waitcnt vmcnt(3) lgkmcnt(0)
	v_mul_f64 v[38:39], v[6:7], v[16:17]
	v_mul_f64 v[16:17], v[8:9], v[16:17]
	v_fma_f64 v[34:35], v[4:5], v[10:11], v[34:35]
	v_fma_f64 v[10:11], v[2:3], v[10:11], -v[12:13]
	ds_load_b128 v[2:5], v1 offset:1536
	v_add_f64 v[12:13], v[30:31], v[40:41]
	v_add_f64 v[30:31], v[32:33], v[36:37]
	v_fma_f64 v[36:37], v[8:9], v[14:15], v[38:39]
	v_fma_f64 v[14:15], v[6:7], v[14:15], -v[16:17]
	ds_load_b128 v[6:9], v1 offset:1552
	s_waitcnt vmcnt(2) lgkmcnt(1)
	v_mul_f64 v[32:33], v[2:3], v[20:21]
	v_mul_f64 v[20:21], v[4:5], v[20:21]
	s_waitcnt vmcnt(1) lgkmcnt(0)
	v_mul_f64 v[16:17], v[6:7], v[24:25]
	v_mul_f64 v[24:25], v[8:9], v[24:25]
	v_add_f64 v[10:11], v[12:13], v[10:11]
	v_add_f64 v[12:13], v[30:31], v[34:35]
	v_fma_f64 v[4:5], v[4:5], v[18:19], v[32:33]
	v_fma_f64 v[1:2], v[2:3], v[18:19], -v[20:21]
	v_fma_f64 v[8:9], v[8:9], v[22:23], v[16:17]
	v_fma_f64 v[6:7], v[6:7], v[22:23], -v[24:25]
	v_add_f64 v[10:11], v[10:11], v[14:15]
	v_add_f64 v[12:13], v[12:13], v[36:37]
	s_delay_alu instid0(VALU_DEP_2) | instskip(NEXT) | instid1(VALU_DEP_2)
	v_add_f64 v[1:2], v[10:11], v[1:2]
	v_add_f64 v[3:4], v[12:13], v[4:5]
	s_delay_alu instid0(VALU_DEP_2) | instskip(NEXT) | instid1(VALU_DEP_2)
	v_add_f64 v[1:2], v[1:2], v[6:7]
	v_add_f64 v[3:4], v[3:4], v[8:9]
	s_waitcnt vmcnt(0)
	s_delay_alu instid0(VALU_DEP_2) | instskip(NEXT) | instid1(VALU_DEP_2)
	v_add_f64 v[1:2], v[26:27], -v[1:2]
	v_add_f64 v[3:4], v[28:29], -v[3:4]
	scratch_store_b128 off, v[1:4], off offset:352
	v_cmpx_lt_u32_e32 21, v140
	s_cbranch_execz .LBB112_265
; %bb.264:
	scratch_load_b128 v[1:4], v168, off
	v_mov_b32_e32 v5, 0
	s_delay_alu instid0(VALU_DEP_1)
	v_mov_b32_e32 v6, v5
	v_mov_b32_e32 v7, v5
	;; [unrolled: 1-line block ×3, first 2 shown]
	scratch_store_b128 off, v[5:8], off offset:336
	s_waitcnt vmcnt(0)
	ds_store_b128 v189, v[1:4]
.LBB112_265:
	s_or_b32 exec_lo, exec_lo, s2
	s_waitcnt lgkmcnt(0)
	s_waitcnt_vscnt null, 0x0
	s_barrier
	buffer_gl0_inv
	s_clause 0x7
	scratch_load_b128 v[2:5], off, off offset:352
	scratch_load_b128 v[6:9], off, off offset:368
	;; [unrolled: 1-line block ×8, first 2 shown]
	v_mov_b32_e32 v1, 0
	s_clause 0x1
	scratch_load_b128 v[34:37], off, off offset:480
	scratch_load_b128 v[194:197], off, off offset:496
	s_mov_b32 s2, exec_lo
	ds_load_b128 v[38:41], v1 offset:1136
	ds_load_b128 v[190:193], v1 offset:1152
	s_waitcnt vmcnt(9) lgkmcnt(1)
	v_mul_f64 v[198:199], v[40:41], v[4:5]
	v_mul_f64 v[4:5], v[38:39], v[4:5]
	s_waitcnt vmcnt(8) lgkmcnt(0)
	v_mul_f64 v[200:201], v[190:191], v[8:9]
	v_mul_f64 v[8:9], v[192:193], v[8:9]
	s_delay_alu instid0(VALU_DEP_4) | instskip(NEXT) | instid1(VALU_DEP_4)
	v_fma_f64 v[198:199], v[38:39], v[2:3], -v[198:199]
	v_fma_f64 v[202:203], v[40:41], v[2:3], v[4:5]
	ds_load_b128 v[2:5], v1 offset:1168
	scratch_load_b128 v[38:41], off, off offset:512
	v_fma_f64 v[200:201], v[192:193], v[6:7], v[200:201]
	v_fma_f64 v[206:207], v[190:191], v[6:7], -v[8:9]
	scratch_load_b128 v[190:193], off, off offset:528
	ds_load_b128 v[6:9], v1 offset:1184
	s_waitcnt vmcnt(9) lgkmcnt(1)
	v_mul_f64 v[204:205], v[2:3], v[12:13]
	v_mul_f64 v[12:13], v[4:5], v[12:13]
	s_waitcnt vmcnt(8) lgkmcnt(0)
	v_mul_f64 v[208:209], v[6:7], v[16:17]
	v_mul_f64 v[16:17], v[8:9], v[16:17]
	v_add_f64 v[198:199], v[198:199], 0
	v_add_f64 v[202:203], v[202:203], 0
	v_fma_f64 v[204:205], v[4:5], v[10:11], v[204:205]
	v_fma_f64 v[210:211], v[2:3], v[10:11], -v[12:13]
	ds_load_b128 v[2:5], v1 offset:1200
	scratch_load_b128 v[10:13], off, off offset:544
	v_add_f64 v[198:199], v[198:199], v[206:207]
	v_add_f64 v[200:201], v[202:203], v[200:201]
	v_fma_f64 v[206:207], v[8:9], v[14:15], v[208:209]
	v_fma_f64 v[208:209], v[6:7], v[14:15], -v[16:17]
	scratch_load_b128 v[14:17], off, off offset:560
	ds_load_b128 v[6:9], v1 offset:1216
	s_waitcnt vmcnt(9) lgkmcnt(1)
	v_mul_f64 v[202:203], v[2:3], v[20:21]
	v_mul_f64 v[20:21], v[4:5], v[20:21]
	v_add_f64 v[198:199], v[198:199], v[210:211]
	v_add_f64 v[200:201], v[200:201], v[204:205]
	s_waitcnt vmcnt(8) lgkmcnt(0)
	v_mul_f64 v[204:205], v[6:7], v[24:25]
	v_mul_f64 v[24:25], v[8:9], v[24:25]
	v_fma_f64 v[202:203], v[4:5], v[18:19], v[202:203]
	v_fma_f64 v[210:211], v[2:3], v[18:19], -v[20:21]
	ds_load_b128 v[2:5], v1 offset:1232
	scratch_load_b128 v[18:21], off, off offset:576
	v_add_f64 v[198:199], v[198:199], v[208:209]
	v_add_f64 v[200:201], v[200:201], v[206:207]
	v_fma_f64 v[204:205], v[8:9], v[22:23], v[204:205]
	v_fma_f64 v[208:209], v[6:7], v[22:23], -v[24:25]
	scratch_load_b128 v[22:25], off, off offset:592
	ds_load_b128 v[6:9], v1 offset:1248
	s_waitcnt vmcnt(9) lgkmcnt(1)
	v_mul_f64 v[206:207], v[2:3], v[28:29]
	v_mul_f64 v[28:29], v[4:5], v[28:29]
	v_add_f64 v[198:199], v[198:199], v[210:211]
	v_add_f64 v[200:201], v[200:201], v[202:203]
	s_waitcnt vmcnt(8) lgkmcnt(0)
	v_mul_f64 v[202:203], v[6:7], v[32:33]
	v_mul_f64 v[32:33], v[8:9], v[32:33]
	;; [unrolled: 18-line block ×4, first 2 shown]
	v_fma_f64 v[202:203], v[4:5], v[38:39], v[202:203]
	v_fma_f64 v[210:211], v[2:3], v[38:39], -v[40:41]
	ds_load_b128 v[2:5], v1 offset:1328
	scratch_load_b128 v[38:41], off, off offset:672
	v_add_f64 v[198:199], v[198:199], v[208:209]
	v_add_f64 v[200:201], v[200:201], v[206:207]
	v_fma_f64 v[204:205], v[8:9], v[190:191], v[204:205]
	v_fma_f64 v[208:209], v[6:7], v[190:191], -v[192:193]
	ds_load_b128 v[6:9], v1 offset:1344
	s_waitcnt vmcnt(8) lgkmcnt(1)
	v_mul_f64 v[206:207], v[2:3], v[12:13]
	v_mul_f64 v[12:13], v[4:5], v[12:13]
	scratch_load_b128 v[190:193], off, off offset:688
	v_add_f64 v[198:199], v[198:199], v[210:211]
	v_add_f64 v[200:201], v[200:201], v[202:203]
	s_waitcnt vmcnt(8) lgkmcnt(0)
	v_mul_f64 v[202:203], v[6:7], v[16:17]
	v_mul_f64 v[16:17], v[8:9], v[16:17]
	v_fma_f64 v[206:207], v[4:5], v[10:11], v[206:207]
	v_fma_f64 v[210:211], v[2:3], v[10:11], -v[12:13]
	scratch_load_b128 v[10:13], off, off offset:704
	ds_load_b128 v[2:5], v1 offset:1360
	v_add_f64 v[198:199], v[198:199], v[208:209]
	v_add_f64 v[200:201], v[200:201], v[204:205]
	v_fma_f64 v[202:203], v[8:9], v[14:15], v[202:203]
	v_fma_f64 v[208:209], v[6:7], v[14:15], -v[16:17]
	ds_load_b128 v[6:9], v1 offset:1376
	s_waitcnt vmcnt(8) lgkmcnt(1)
	v_mul_f64 v[204:205], v[2:3], v[20:21]
	v_mul_f64 v[20:21], v[4:5], v[20:21]
	scratch_load_b128 v[14:17], off, off offset:720
	v_add_f64 v[198:199], v[198:199], v[210:211]
	v_add_f64 v[200:201], v[200:201], v[206:207]
	s_waitcnt vmcnt(8) lgkmcnt(0)
	v_mul_f64 v[206:207], v[6:7], v[24:25]
	v_mul_f64 v[24:25], v[8:9], v[24:25]
	v_fma_f64 v[204:205], v[4:5], v[18:19], v[204:205]
	v_fma_f64 v[210:211], v[2:3], v[18:19], -v[20:21]
	scratch_load_b128 v[18:21], off, off offset:736
	ds_load_b128 v[2:5], v1 offset:1392
	;; [unrolled: 18-line block ×3, first 2 shown]
	v_add_f64 v[198:199], v[198:199], v[208:209]
	v_add_f64 v[200:201], v[200:201], v[206:207]
	v_fma_f64 v[204:205], v[8:9], v[30:31], v[204:205]
	v_fma_f64 v[30:31], v[6:7], v[30:31], -v[32:33]
	ds_load_b128 v[6:9], v1 offset:1440
	s_waitcnt vmcnt(8) lgkmcnt(1)
	v_mul_f64 v[206:207], v[2:3], v[36:37]
	v_mul_f64 v[36:37], v[4:5], v[36:37]
	v_add_f64 v[32:33], v[198:199], v[210:211]
	v_add_f64 v[198:199], v[200:201], v[202:203]
	s_waitcnt vmcnt(7) lgkmcnt(0)
	v_mul_f64 v[200:201], v[6:7], v[196:197]
	v_mul_f64 v[196:197], v[8:9], v[196:197]
	v_fma_f64 v[202:203], v[4:5], v[34:35], v[206:207]
	v_fma_f64 v[34:35], v[2:3], v[34:35], -v[36:37]
	ds_load_b128 v[2:5], v1 offset:1456
	v_add_f64 v[30:31], v[32:33], v[30:31]
	v_add_f64 v[32:33], v[198:199], v[204:205]
	v_fma_f64 v[198:199], v[8:9], v[194:195], v[200:201]
	v_fma_f64 v[194:195], v[6:7], v[194:195], -v[196:197]
	ds_load_b128 v[6:9], v1 offset:1472
	s_waitcnt vmcnt(5) lgkmcnt(0)
	v_mul_f64 v[200:201], v[6:7], v[192:193]
	v_mul_f64 v[192:193], v[8:9], v[192:193]
	v_add_f64 v[34:35], v[30:31], v[34:35]
	v_add_f64 v[196:197], v[32:33], v[202:203]
	scratch_load_b128 v[30:33], off, off offset:336
	v_mul_f64 v[36:37], v[2:3], v[40:41]
	v_mul_f64 v[40:41], v[4:5], v[40:41]
	v_add_f64 v[34:35], v[34:35], v[194:195]
	s_delay_alu instid0(VALU_DEP_3) | instskip(NEXT) | instid1(VALU_DEP_3)
	v_fma_f64 v[36:37], v[4:5], v[38:39], v[36:37]
	v_fma_f64 v[38:39], v[2:3], v[38:39], -v[40:41]
	v_add_f64 v[40:41], v[196:197], v[198:199]
	ds_load_b128 v[2:5], v1 offset:1488
	v_fma_f64 v[196:197], v[8:9], v[190:191], v[200:201]
	v_fma_f64 v[190:191], v[6:7], v[190:191], -v[192:193]
	ds_load_b128 v[6:9], v1 offset:1504
	s_waitcnt vmcnt(5) lgkmcnt(1)
	v_mul_f64 v[194:195], v[2:3], v[12:13]
	v_mul_f64 v[12:13], v[4:5], v[12:13]
	v_add_f64 v[34:35], v[34:35], v[38:39]
	v_add_f64 v[36:37], v[40:41], v[36:37]
	s_waitcnt vmcnt(4) lgkmcnt(0)
	v_mul_f64 v[38:39], v[6:7], v[16:17]
	v_mul_f64 v[16:17], v[8:9], v[16:17]
	v_fma_f64 v[40:41], v[4:5], v[10:11], v[194:195]
	v_fma_f64 v[10:11], v[2:3], v[10:11], -v[12:13]
	ds_load_b128 v[2:5], v1 offset:1520
	v_add_f64 v[12:13], v[34:35], v[190:191]
	v_add_f64 v[34:35], v[36:37], v[196:197]
	v_fma_f64 v[38:39], v[8:9], v[14:15], v[38:39]
	v_fma_f64 v[14:15], v[6:7], v[14:15], -v[16:17]
	ds_load_b128 v[6:9], v1 offset:1536
	s_waitcnt vmcnt(3) lgkmcnt(1)
	v_mul_f64 v[36:37], v[2:3], v[20:21]
	v_mul_f64 v[20:21], v[4:5], v[20:21]
	s_waitcnt vmcnt(2) lgkmcnt(0)
	v_mul_f64 v[16:17], v[6:7], v[24:25]
	v_mul_f64 v[24:25], v[8:9], v[24:25]
	v_add_f64 v[10:11], v[12:13], v[10:11]
	v_add_f64 v[12:13], v[34:35], v[40:41]
	v_fma_f64 v[34:35], v[4:5], v[18:19], v[36:37]
	v_fma_f64 v[18:19], v[2:3], v[18:19], -v[20:21]
	ds_load_b128 v[2:5], v1 offset:1552
	v_fma_f64 v[8:9], v[8:9], v[22:23], v[16:17]
	v_fma_f64 v[6:7], v[6:7], v[22:23], -v[24:25]
	s_waitcnt vmcnt(1) lgkmcnt(0)
	v_mul_f64 v[20:21], v[4:5], v[28:29]
	v_add_f64 v[10:11], v[10:11], v[14:15]
	v_add_f64 v[12:13], v[12:13], v[38:39]
	v_mul_f64 v[14:15], v[2:3], v[28:29]
	s_delay_alu instid0(VALU_DEP_4) | instskip(NEXT) | instid1(VALU_DEP_4)
	v_fma_f64 v[2:3], v[2:3], v[26:27], -v[20:21]
	v_add_f64 v[10:11], v[10:11], v[18:19]
	s_delay_alu instid0(VALU_DEP_4) | instskip(NEXT) | instid1(VALU_DEP_4)
	v_add_f64 v[12:13], v[12:13], v[34:35]
	v_fma_f64 v[4:5], v[4:5], v[26:27], v[14:15]
	s_delay_alu instid0(VALU_DEP_3) | instskip(NEXT) | instid1(VALU_DEP_3)
	v_add_f64 v[6:7], v[10:11], v[6:7]
	v_add_f64 v[8:9], v[12:13], v[8:9]
	s_delay_alu instid0(VALU_DEP_2) | instskip(NEXT) | instid1(VALU_DEP_2)
	v_add_f64 v[2:3], v[6:7], v[2:3]
	v_add_f64 v[4:5], v[8:9], v[4:5]
	s_waitcnt vmcnt(0)
	s_delay_alu instid0(VALU_DEP_2) | instskip(NEXT) | instid1(VALU_DEP_2)
	v_add_f64 v[2:3], v[30:31], -v[2:3]
	v_add_f64 v[4:5], v[32:33], -v[4:5]
	scratch_store_b128 off, v[2:5], off offset:336
	v_cmpx_lt_u32_e32 20, v140
	s_cbranch_execz .LBB112_267
; %bb.266:
	scratch_load_b128 v[5:8], v169, off
	v_mov_b32_e32 v2, v1
	v_mov_b32_e32 v3, v1
	;; [unrolled: 1-line block ×3, first 2 shown]
	scratch_store_b128 off, v[1:4], off offset:320
	s_waitcnt vmcnt(0)
	ds_store_b128 v189, v[5:8]
.LBB112_267:
	s_or_b32 exec_lo, exec_lo, s2
	s_waitcnt lgkmcnt(0)
	s_waitcnt_vscnt null, 0x0
	s_barrier
	buffer_gl0_inv
	s_clause 0x7
	scratch_load_b128 v[2:5], off, off offset:336
	scratch_load_b128 v[6:9], off, off offset:352
	;; [unrolled: 1-line block ×8, first 2 shown]
	ds_load_b128 v[38:41], v1 offset:1120
	ds_load_b128 v[190:193], v1 offset:1136
	s_clause 0x1
	scratch_load_b128 v[34:37], off, off offset:464
	scratch_load_b128 v[194:197], off, off offset:480
	s_mov_b32 s2, exec_lo
	s_waitcnt vmcnt(9) lgkmcnt(1)
	v_mul_f64 v[198:199], v[40:41], v[4:5]
	v_mul_f64 v[4:5], v[38:39], v[4:5]
	s_waitcnt vmcnt(8) lgkmcnt(0)
	v_mul_f64 v[200:201], v[190:191], v[8:9]
	v_mul_f64 v[8:9], v[192:193], v[8:9]
	s_delay_alu instid0(VALU_DEP_4) | instskip(NEXT) | instid1(VALU_DEP_4)
	v_fma_f64 v[198:199], v[38:39], v[2:3], -v[198:199]
	v_fma_f64 v[202:203], v[40:41], v[2:3], v[4:5]
	ds_load_b128 v[2:5], v1 offset:1152
	scratch_load_b128 v[38:41], off, off offset:496
	v_fma_f64 v[200:201], v[192:193], v[6:7], v[200:201]
	v_fma_f64 v[206:207], v[190:191], v[6:7], -v[8:9]
	scratch_load_b128 v[190:193], off, off offset:512
	ds_load_b128 v[6:9], v1 offset:1168
	s_waitcnt vmcnt(9) lgkmcnt(1)
	v_mul_f64 v[204:205], v[2:3], v[12:13]
	v_mul_f64 v[12:13], v[4:5], v[12:13]
	s_waitcnt vmcnt(8) lgkmcnt(0)
	v_mul_f64 v[208:209], v[6:7], v[16:17]
	v_mul_f64 v[16:17], v[8:9], v[16:17]
	v_add_f64 v[198:199], v[198:199], 0
	v_add_f64 v[202:203], v[202:203], 0
	v_fma_f64 v[204:205], v[4:5], v[10:11], v[204:205]
	v_fma_f64 v[210:211], v[2:3], v[10:11], -v[12:13]
	ds_load_b128 v[2:5], v1 offset:1184
	scratch_load_b128 v[10:13], off, off offset:528
	v_add_f64 v[198:199], v[198:199], v[206:207]
	v_add_f64 v[200:201], v[202:203], v[200:201]
	v_fma_f64 v[206:207], v[8:9], v[14:15], v[208:209]
	v_fma_f64 v[208:209], v[6:7], v[14:15], -v[16:17]
	scratch_load_b128 v[14:17], off, off offset:544
	ds_load_b128 v[6:9], v1 offset:1200
	s_waitcnt vmcnt(9) lgkmcnt(1)
	v_mul_f64 v[202:203], v[2:3], v[20:21]
	v_mul_f64 v[20:21], v[4:5], v[20:21]
	v_add_f64 v[198:199], v[198:199], v[210:211]
	v_add_f64 v[200:201], v[200:201], v[204:205]
	s_waitcnt vmcnt(8) lgkmcnt(0)
	v_mul_f64 v[204:205], v[6:7], v[24:25]
	v_mul_f64 v[24:25], v[8:9], v[24:25]
	v_fma_f64 v[202:203], v[4:5], v[18:19], v[202:203]
	v_fma_f64 v[210:211], v[2:3], v[18:19], -v[20:21]
	ds_load_b128 v[2:5], v1 offset:1216
	scratch_load_b128 v[18:21], off, off offset:560
	v_add_f64 v[198:199], v[198:199], v[208:209]
	v_add_f64 v[200:201], v[200:201], v[206:207]
	v_fma_f64 v[204:205], v[8:9], v[22:23], v[204:205]
	v_fma_f64 v[208:209], v[6:7], v[22:23], -v[24:25]
	scratch_load_b128 v[22:25], off, off offset:576
	ds_load_b128 v[6:9], v1 offset:1232
	s_waitcnt vmcnt(9) lgkmcnt(1)
	v_mul_f64 v[206:207], v[2:3], v[28:29]
	v_mul_f64 v[28:29], v[4:5], v[28:29]
	v_add_f64 v[198:199], v[198:199], v[210:211]
	v_add_f64 v[200:201], v[200:201], v[202:203]
	s_waitcnt vmcnt(8) lgkmcnt(0)
	v_mul_f64 v[202:203], v[6:7], v[32:33]
	v_mul_f64 v[32:33], v[8:9], v[32:33]
	;; [unrolled: 18-line block ×4, first 2 shown]
	v_fma_f64 v[202:203], v[4:5], v[38:39], v[202:203]
	v_fma_f64 v[210:211], v[2:3], v[38:39], -v[40:41]
	ds_load_b128 v[2:5], v1 offset:1312
	scratch_load_b128 v[38:41], off, off offset:656
	v_add_f64 v[198:199], v[198:199], v[208:209]
	v_add_f64 v[200:201], v[200:201], v[206:207]
	v_fma_f64 v[204:205], v[8:9], v[190:191], v[204:205]
	v_fma_f64 v[208:209], v[6:7], v[190:191], -v[192:193]
	ds_load_b128 v[6:9], v1 offset:1328
	s_waitcnt vmcnt(8) lgkmcnt(1)
	v_mul_f64 v[206:207], v[2:3], v[12:13]
	v_mul_f64 v[12:13], v[4:5], v[12:13]
	scratch_load_b128 v[190:193], off, off offset:672
	v_add_f64 v[198:199], v[198:199], v[210:211]
	v_add_f64 v[200:201], v[200:201], v[202:203]
	s_waitcnt vmcnt(8) lgkmcnt(0)
	v_mul_f64 v[202:203], v[6:7], v[16:17]
	v_mul_f64 v[16:17], v[8:9], v[16:17]
	v_fma_f64 v[206:207], v[4:5], v[10:11], v[206:207]
	v_fma_f64 v[210:211], v[2:3], v[10:11], -v[12:13]
	ds_load_b128 v[2:5], v1 offset:1344
	scratch_load_b128 v[10:13], off, off offset:688
	v_add_f64 v[198:199], v[198:199], v[208:209]
	v_add_f64 v[200:201], v[200:201], v[204:205]
	v_fma_f64 v[202:203], v[8:9], v[14:15], v[202:203]
	v_fma_f64 v[208:209], v[6:7], v[14:15], -v[16:17]
	ds_load_b128 v[6:9], v1 offset:1360
	s_waitcnt vmcnt(8) lgkmcnt(1)
	v_mul_f64 v[204:205], v[2:3], v[20:21]
	v_mul_f64 v[20:21], v[4:5], v[20:21]
	scratch_load_b128 v[14:17], off, off offset:704
	v_add_f64 v[198:199], v[198:199], v[210:211]
	v_add_f64 v[200:201], v[200:201], v[206:207]
	s_waitcnt vmcnt(8) lgkmcnt(0)
	v_mul_f64 v[206:207], v[6:7], v[24:25]
	v_mul_f64 v[24:25], v[8:9], v[24:25]
	v_fma_f64 v[204:205], v[4:5], v[18:19], v[204:205]
	v_fma_f64 v[210:211], v[2:3], v[18:19], -v[20:21]
	scratch_load_b128 v[18:21], off, off offset:720
	ds_load_b128 v[2:5], v1 offset:1376
	v_add_f64 v[198:199], v[198:199], v[208:209]
	v_add_f64 v[200:201], v[200:201], v[202:203]
	v_fma_f64 v[206:207], v[8:9], v[22:23], v[206:207]
	v_fma_f64 v[208:209], v[6:7], v[22:23], -v[24:25]
	ds_load_b128 v[6:9], v1 offset:1392
	s_waitcnt vmcnt(8) lgkmcnt(1)
	v_mul_f64 v[202:203], v[2:3], v[28:29]
	v_mul_f64 v[28:29], v[4:5], v[28:29]
	scratch_load_b128 v[22:25], off, off offset:736
	v_add_f64 v[198:199], v[198:199], v[210:211]
	v_add_f64 v[200:201], v[200:201], v[204:205]
	s_waitcnt vmcnt(8) lgkmcnt(0)
	v_mul_f64 v[204:205], v[6:7], v[32:33]
	v_mul_f64 v[32:33], v[8:9], v[32:33]
	v_fma_f64 v[202:203], v[4:5], v[26:27], v[202:203]
	v_fma_f64 v[210:211], v[2:3], v[26:27], -v[28:29]
	scratch_load_b128 v[26:29], off, off offset:752
	ds_load_b128 v[2:5], v1 offset:1408
	v_add_f64 v[198:199], v[198:199], v[208:209]
	v_add_f64 v[200:201], v[200:201], v[206:207]
	v_fma_f64 v[204:205], v[8:9], v[30:31], v[204:205]
	v_fma_f64 v[208:209], v[6:7], v[30:31], -v[32:33]
	ds_load_b128 v[6:9], v1 offset:1424
	s_waitcnt vmcnt(8) lgkmcnt(1)
	v_mul_f64 v[206:207], v[2:3], v[36:37]
	v_mul_f64 v[36:37], v[4:5], v[36:37]
	scratch_load_b128 v[30:33], off, off offset:768
	v_add_f64 v[198:199], v[198:199], v[210:211]
	v_add_f64 v[200:201], v[200:201], v[202:203]
	s_waitcnt vmcnt(8) lgkmcnt(0)
	v_mul_f64 v[202:203], v[6:7], v[196:197]
	v_mul_f64 v[196:197], v[8:9], v[196:197]
	v_fma_f64 v[206:207], v[4:5], v[34:35], v[206:207]
	v_fma_f64 v[34:35], v[2:3], v[34:35], -v[36:37]
	ds_load_b128 v[2:5], v1 offset:1440
	v_add_f64 v[36:37], v[198:199], v[208:209]
	v_add_f64 v[198:199], v[200:201], v[204:205]
	v_fma_f64 v[202:203], v[8:9], v[194:195], v[202:203]
	v_fma_f64 v[194:195], v[6:7], v[194:195], -v[196:197]
	ds_load_b128 v[6:9], v1 offset:1456
	s_waitcnt vmcnt(7) lgkmcnt(1)
	v_mul_f64 v[200:201], v[2:3], v[40:41]
	v_mul_f64 v[40:41], v[4:5], v[40:41]
	v_add_f64 v[34:35], v[36:37], v[34:35]
	v_add_f64 v[36:37], v[198:199], v[206:207]
	s_delay_alu instid0(VALU_DEP_4) | instskip(NEXT) | instid1(VALU_DEP_4)
	v_fma_f64 v[198:199], v[4:5], v[38:39], v[200:201]
	v_fma_f64 v[38:39], v[2:3], v[38:39], -v[40:41]
	ds_load_b128 v[2:5], v1 offset:1472
	v_add_f64 v[40:41], v[34:35], v[194:195]
	v_add_f64 v[194:195], v[36:37], v[202:203]
	scratch_load_b128 v[34:37], off, off offset:320
	s_waitcnt vmcnt(7) lgkmcnt(1)
	v_mul_f64 v[196:197], v[6:7], v[192:193]
	v_mul_f64 v[192:193], v[8:9], v[192:193]
	v_add_f64 v[38:39], v[40:41], v[38:39]
	v_add_f64 v[40:41], v[194:195], v[198:199]
	s_delay_alu instid0(VALU_DEP_4) | instskip(NEXT) | instid1(VALU_DEP_4)
	v_fma_f64 v[196:197], v[8:9], v[190:191], v[196:197]
	v_fma_f64 v[190:191], v[6:7], v[190:191], -v[192:193]
	ds_load_b128 v[6:9], v1 offset:1488
	s_waitcnt vmcnt(6) lgkmcnt(1)
	v_mul_f64 v[200:201], v[2:3], v[12:13]
	v_mul_f64 v[12:13], v[4:5], v[12:13]
	s_waitcnt vmcnt(5) lgkmcnt(0)
	v_mul_f64 v[192:193], v[6:7], v[16:17]
	v_mul_f64 v[16:17], v[8:9], v[16:17]
	s_delay_alu instid0(VALU_DEP_4) | instskip(NEXT) | instid1(VALU_DEP_4)
	v_fma_f64 v[194:195], v[4:5], v[10:11], v[200:201]
	v_fma_f64 v[10:11], v[2:3], v[10:11], -v[12:13]
	v_add_f64 v[12:13], v[38:39], v[190:191]
	v_add_f64 v[38:39], v[40:41], v[196:197]
	ds_load_b128 v[2:5], v1 offset:1504
	v_fma_f64 v[190:191], v[8:9], v[14:15], v[192:193]
	v_fma_f64 v[14:15], v[6:7], v[14:15], -v[16:17]
	ds_load_b128 v[6:9], v1 offset:1520
	s_waitcnt vmcnt(4) lgkmcnt(1)
	v_mul_f64 v[40:41], v[2:3], v[20:21]
	v_mul_f64 v[20:21], v[4:5], v[20:21]
	v_add_f64 v[10:11], v[12:13], v[10:11]
	v_add_f64 v[12:13], v[38:39], v[194:195]
	s_waitcnt vmcnt(3) lgkmcnt(0)
	v_mul_f64 v[16:17], v[6:7], v[24:25]
	v_mul_f64 v[24:25], v[8:9], v[24:25]
	v_fma_f64 v[38:39], v[4:5], v[18:19], v[40:41]
	v_fma_f64 v[18:19], v[2:3], v[18:19], -v[20:21]
	ds_load_b128 v[2:5], v1 offset:1536
	v_add_f64 v[10:11], v[10:11], v[14:15]
	v_add_f64 v[12:13], v[12:13], v[190:191]
	v_fma_f64 v[16:17], v[8:9], v[22:23], v[16:17]
	v_fma_f64 v[22:23], v[6:7], v[22:23], -v[24:25]
	ds_load_b128 v[6:9], v1 offset:1552
	s_waitcnt vmcnt(2) lgkmcnt(1)
	v_mul_f64 v[14:15], v[2:3], v[28:29]
	v_mul_f64 v[20:21], v[4:5], v[28:29]
	s_waitcnt vmcnt(1) lgkmcnt(0)
	v_mul_f64 v[24:25], v[8:9], v[32:33]
	v_add_f64 v[10:11], v[10:11], v[18:19]
	v_add_f64 v[12:13], v[12:13], v[38:39]
	v_mul_f64 v[18:19], v[6:7], v[32:33]
	v_fma_f64 v[4:5], v[4:5], v[26:27], v[14:15]
	v_fma_f64 v[1:2], v[2:3], v[26:27], -v[20:21]
	v_fma_f64 v[6:7], v[6:7], v[30:31], -v[24:25]
	v_add_f64 v[10:11], v[10:11], v[22:23]
	v_add_f64 v[12:13], v[12:13], v[16:17]
	v_fma_f64 v[8:9], v[8:9], v[30:31], v[18:19]
	s_delay_alu instid0(VALU_DEP_3) | instskip(NEXT) | instid1(VALU_DEP_3)
	v_add_f64 v[1:2], v[10:11], v[1:2]
	v_add_f64 v[3:4], v[12:13], v[4:5]
	s_delay_alu instid0(VALU_DEP_2) | instskip(NEXT) | instid1(VALU_DEP_2)
	v_add_f64 v[1:2], v[1:2], v[6:7]
	v_add_f64 v[3:4], v[3:4], v[8:9]
	s_waitcnt vmcnt(0)
	s_delay_alu instid0(VALU_DEP_2) | instskip(NEXT) | instid1(VALU_DEP_2)
	v_add_f64 v[1:2], v[34:35], -v[1:2]
	v_add_f64 v[3:4], v[36:37], -v[3:4]
	scratch_store_b128 off, v[1:4], off offset:320
	v_cmpx_lt_u32_e32 19, v140
	s_cbranch_execz .LBB112_269
; %bb.268:
	scratch_load_b128 v[1:4], v170, off
	v_mov_b32_e32 v5, 0
	s_delay_alu instid0(VALU_DEP_1)
	v_mov_b32_e32 v6, v5
	v_mov_b32_e32 v7, v5
	;; [unrolled: 1-line block ×3, first 2 shown]
	scratch_store_b128 off, v[5:8], off offset:304
	s_waitcnt vmcnt(0)
	ds_store_b128 v189, v[1:4]
.LBB112_269:
	s_or_b32 exec_lo, exec_lo, s2
	s_waitcnt lgkmcnt(0)
	s_waitcnt_vscnt null, 0x0
	s_barrier
	buffer_gl0_inv
	s_clause 0x7
	scratch_load_b128 v[2:5], off, off offset:320
	scratch_load_b128 v[6:9], off, off offset:336
	;; [unrolled: 1-line block ×8, first 2 shown]
	v_mov_b32_e32 v1, 0
	s_clause 0x1
	scratch_load_b128 v[34:37], off, off offset:448
	scratch_load_b128 v[194:197], off, off offset:464
	s_mov_b32 s2, exec_lo
	ds_load_b128 v[38:41], v1 offset:1104
	ds_load_b128 v[190:193], v1 offset:1120
	s_waitcnt vmcnt(9) lgkmcnt(1)
	v_mul_f64 v[198:199], v[40:41], v[4:5]
	v_mul_f64 v[4:5], v[38:39], v[4:5]
	s_waitcnt vmcnt(8) lgkmcnt(0)
	v_mul_f64 v[200:201], v[190:191], v[8:9]
	v_mul_f64 v[8:9], v[192:193], v[8:9]
	s_delay_alu instid0(VALU_DEP_4) | instskip(NEXT) | instid1(VALU_DEP_4)
	v_fma_f64 v[198:199], v[38:39], v[2:3], -v[198:199]
	v_fma_f64 v[202:203], v[40:41], v[2:3], v[4:5]
	ds_load_b128 v[2:5], v1 offset:1136
	scratch_load_b128 v[38:41], off, off offset:480
	v_fma_f64 v[200:201], v[192:193], v[6:7], v[200:201]
	v_fma_f64 v[206:207], v[190:191], v[6:7], -v[8:9]
	scratch_load_b128 v[190:193], off, off offset:496
	ds_load_b128 v[6:9], v1 offset:1152
	s_waitcnt vmcnt(9) lgkmcnt(1)
	v_mul_f64 v[204:205], v[2:3], v[12:13]
	v_mul_f64 v[12:13], v[4:5], v[12:13]
	s_waitcnt vmcnt(8) lgkmcnt(0)
	v_mul_f64 v[208:209], v[6:7], v[16:17]
	v_mul_f64 v[16:17], v[8:9], v[16:17]
	v_add_f64 v[198:199], v[198:199], 0
	v_add_f64 v[202:203], v[202:203], 0
	v_fma_f64 v[204:205], v[4:5], v[10:11], v[204:205]
	v_fma_f64 v[210:211], v[2:3], v[10:11], -v[12:13]
	ds_load_b128 v[2:5], v1 offset:1168
	scratch_load_b128 v[10:13], off, off offset:512
	v_add_f64 v[198:199], v[198:199], v[206:207]
	v_add_f64 v[200:201], v[202:203], v[200:201]
	v_fma_f64 v[206:207], v[8:9], v[14:15], v[208:209]
	v_fma_f64 v[208:209], v[6:7], v[14:15], -v[16:17]
	scratch_load_b128 v[14:17], off, off offset:528
	ds_load_b128 v[6:9], v1 offset:1184
	s_waitcnt vmcnt(9) lgkmcnt(1)
	v_mul_f64 v[202:203], v[2:3], v[20:21]
	v_mul_f64 v[20:21], v[4:5], v[20:21]
	v_add_f64 v[198:199], v[198:199], v[210:211]
	v_add_f64 v[200:201], v[200:201], v[204:205]
	s_waitcnt vmcnt(8) lgkmcnt(0)
	v_mul_f64 v[204:205], v[6:7], v[24:25]
	v_mul_f64 v[24:25], v[8:9], v[24:25]
	v_fma_f64 v[202:203], v[4:5], v[18:19], v[202:203]
	v_fma_f64 v[210:211], v[2:3], v[18:19], -v[20:21]
	ds_load_b128 v[2:5], v1 offset:1200
	scratch_load_b128 v[18:21], off, off offset:544
	v_add_f64 v[198:199], v[198:199], v[208:209]
	v_add_f64 v[200:201], v[200:201], v[206:207]
	v_fma_f64 v[204:205], v[8:9], v[22:23], v[204:205]
	v_fma_f64 v[208:209], v[6:7], v[22:23], -v[24:25]
	scratch_load_b128 v[22:25], off, off offset:560
	ds_load_b128 v[6:9], v1 offset:1216
	s_waitcnt vmcnt(9) lgkmcnt(1)
	v_mul_f64 v[206:207], v[2:3], v[28:29]
	v_mul_f64 v[28:29], v[4:5], v[28:29]
	v_add_f64 v[198:199], v[198:199], v[210:211]
	v_add_f64 v[200:201], v[200:201], v[202:203]
	s_waitcnt vmcnt(8) lgkmcnt(0)
	v_mul_f64 v[202:203], v[6:7], v[32:33]
	v_mul_f64 v[32:33], v[8:9], v[32:33]
	v_fma_f64 v[206:207], v[4:5], v[26:27], v[206:207]
	v_fma_f64 v[210:211], v[2:3], v[26:27], -v[28:29]
	ds_load_b128 v[2:5], v1 offset:1232
	scratch_load_b128 v[26:29], off, off offset:576
	v_add_f64 v[198:199], v[198:199], v[208:209]
	v_add_f64 v[200:201], v[200:201], v[204:205]
	v_fma_f64 v[202:203], v[8:9], v[30:31], v[202:203]
	v_fma_f64 v[208:209], v[6:7], v[30:31], -v[32:33]
	scratch_load_b128 v[30:33], off, off offset:592
	ds_load_b128 v[6:9], v1 offset:1248
	s_waitcnt vmcnt(9) lgkmcnt(1)
	v_mul_f64 v[204:205], v[2:3], v[36:37]
	v_mul_f64 v[36:37], v[4:5], v[36:37]
	v_add_f64 v[198:199], v[198:199], v[210:211]
	v_add_f64 v[200:201], v[200:201], v[206:207]
	s_waitcnt vmcnt(8) lgkmcnt(0)
	v_mul_f64 v[206:207], v[6:7], v[196:197]
	v_mul_f64 v[196:197], v[8:9], v[196:197]
	v_fma_f64 v[204:205], v[4:5], v[34:35], v[204:205]
	v_fma_f64 v[210:211], v[2:3], v[34:35], -v[36:37]
	ds_load_b128 v[2:5], v1 offset:1264
	scratch_load_b128 v[34:37], off, off offset:608
	v_add_f64 v[198:199], v[198:199], v[208:209]
	v_add_f64 v[200:201], v[200:201], v[202:203]
	v_fma_f64 v[206:207], v[8:9], v[194:195], v[206:207]
	v_fma_f64 v[208:209], v[6:7], v[194:195], -v[196:197]
	scratch_load_b128 v[194:197], off, off offset:624
	ds_load_b128 v[6:9], v1 offset:1280
	s_waitcnt vmcnt(9) lgkmcnt(1)
	v_mul_f64 v[202:203], v[2:3], v[40:41]
	v_mul_f64 v[40:41], v[4:5], v[40:41]
	v_add_f64 v[198:199], v[198:199], v[210:211]
	v_add_f64 v[200:201], v[200:201], v[204:205]
	s_waitcnt vmcnt(8) lgkmcnt(0)
	v_mul_f64 v[204:205], v[6:7], v[192:193]
	v_mul_f64 v[192:193], v[8:9], v[192:193]
	v_fma_f64 v[202:203], v[4:5], v[38:39], v[202:203]
	v_fma_f64 v[210:211], v[2:3], v[38:39], -v[40:41]
	ds_load_b128 v[2:5], v1 offset:1296
	scratch_load_b128 v[38:41], off, off offset:640
	v_add_f64 v[198:199], v[198:199], v[208:209]
	v_add_f64 v[200:201], v[200:201], v[206:207]
	v_fma_f64 v[204:205], v[8:9], v[190:191], v[204:205]
	v_fma_f64 v[208:209], v[6:7], v[190:191], -v[192:193]
	scratch_load_b128 v[190:193], off, off offset:656
	ds_load_b128 v[6:9], v1 offset:1312
	s_waitcnt vmcnt(9) lgkmcnt(1)
	v_mul_f64 v[206:207], v[2:3], v[12:13]
	v_mul_f64 v[12:13], v[4:5], v[12:13]
	v_add_f64 v[198:199], v[198:199], v[210:211]
	v_add_f64 v[200:201], v[200:201], v[202:203]
	s_waitcnt vmcnt(8) lgkmcnt(0)
	v_mul_f64 v[202:203], v[6:7], v[16:17]
	v_mul_f64 v[16:17], v[8:9], v[16:17]
	v_fma_f64 v[206:207], v[4:5], v[10:11], v[206:207]
	v_fma_f64 v[210:211], v[2:3], v[10:11], -v[12:13]
	ds_load_b128 v[2:5], v1 offset:1328
	scratch_load_b128 v[10:13], off, off offset:672
	v_add_f64 v[198:199], v[198:199], v[208:209]
	v_add_f64 v[200:201], v[200:201], v[204:205]
	v_fma_f64 v[202:203], v[8:9], v[14:15], v[202:203]
	v_fma_f64 v[208:209], v[6:7], v[14:15], -v[16:17]
	ds_load_b128 v[6:9], v1 offset:1344
	s_waitcnt vmcnt(8) lgkmcnt(1)
	v_mul_f64 v[204:205], v[2:3], v[20:21]
	v_mul_f64 v[20:21], v[4:5], v[20:21]
	scratch_load_b128 v[14:17], off, off offset:688
	v_add_f64 v[198:199], v[198:199], v[210:211]
	v_add_f64 v[200:201], v[200:201], v[206:207]
	s_waitcnt vmcnt(8) lgkmcnt(0)
	v_mul_f64 v[206:207], v[6:7], v[24:25]
	v_mul_f64 v[24:25], v[8:9], v[24:25]
	v_fma_f64 v[204:205], v[4:5], v[18:19], v[204:205]
	v_fma_f64 v[210:211], v[2:3], v[18:19], -v[20:21]
	scratch_load_b128 v[18:21], off, off offset:704
	ds_load_b128 v[2:5], v1 offset:1360
	v_add_f64 v[198:199], v[198:199], v[208:209]
	v_add_f64 v[200:201], v[200:201], v[202:203]
	v_fma_f64 v[206:207], v[8:9], v[22:23], v[206:207]
	v_fma_f64 v[208:209], v[6:7], v[22:23], -v[24:25]
	ds_load_b128 v[6:9], v1 offset:1376
	s_waitcnt vmcnt(8) lgkmcnt(1)
	v_mul_f64 v[202:203], v[2:3], v[28:29]
	v_mul_f64 v[28:29], v[4:5], v[28:29]
	scratch_load_b128 v[22:25], off, off offset:720
	v_add_f64 v[198:199], v[198:199], v[210:211]
	v_add_f64 v[200:201], v[200:201], v[204:205]
	s_waitcnt vmcnt(8) lgkmcnt(0)
	v_mul_f64 v[204:205], v[6:7], v[32:33]
	v_mul_f64 v[32:33], v[8:9], v[32:33]
	v_fma_f64 v[202:203], v[4:5], v[26:27], v[202:203]
	v_fma_f64 v[210:211], v[2:3], v[26:27], -v[28:29]
	scratch_load_b128 v[26:29], off, off offset:736
	ds_load_b128 v[2:5], v1 offset:1392
	;; [unrolled: 18-line block ×3, first 2 shown]
	v_add_f64 v[198:199], v[198:199], v[208:209]
	v_add_f64 v[200:201], v[200:201], v[204:205]
	v_fma_f64 v[202:203], v[8:9], v[194:195], v[202:203]
	v_fma_f64 v[194:195], v[6:7], v[194:195], -v[196:197]
	ds_load_b128 v[6:9], v1 offset:1440
	s_waitcnt vmcnt(8) lgkmcnt(1)
	v_mul_f64 v[204:205], v[2:3], v[40:41]
	v_mul_f64 v[40:41], v[4:5], v[40:41]
	v_add_f64 v[196:197], v[198:199], v[210:211]
	v_add_f64 v[198:199], v[200:201], v[206:207]
	s_waitcnt vmcnt(7) lgkmcnt(0)
	v_mul_f64 v[200:201], v[6:7], v[192:193]
	v_mul_f64 v[192:193], v[8:9], v[192:193]
	v_fma_f64 v[204:205], v[4:5], v[38:39], v[204:205]
	v_fma_f64 v[38:39], v[2:3], v[38:39], -v[40:41]
	ds_load_b128 v[2:5], v1 offset:1456
	v_add_f64 v[40:41], v[196:197], v[194:195]
	v_add_f64 v[194:195], v[198:199], v[202:203]
	v_fma_f64 v[198:199], v[8:9], v[190:191], v[200:201]
	v_fma_f64 v[190:191], v[6:7], v[190:191], -v[192:193]
	ds_load_b128 v[6:9], v1 offset:1472
	s_waitcnt vmcnt(5) lgkmcnt(0)
	v_mul_f64 v[200:201], v[6:7], v[16:17]
	v_mul_f64 v[16:17], v[8:9], v[16:17]
	v_add_f64 v[192:193], v[40:41], v[38:39]
	v_add_f64 v[194:195], v[194:195], v[204:205]
	scratch_load_b128 v[38:41], off, off offset:304
	v_mul_f64 v[196:197], v[2:3], v[12:13]
	v_mul_f64 v[12:13], v[4:5], v[12:13]
	s_delay_alu instid0(VALU_DEP_2) | instskip(NEXT) | instid1(VALU_DEP_2)
	v_fma_f64 v[196:197], v[4:5], v[10:11], v[196:197]
	v_fma_f64 v[10:11], v[2:3], v[10:11], -v[12:13]
	v_add_f64 v[12:13], v[192:193], v[190:191]
	v_add_f64 v[190:191], v[194:195], v[198:199]
	ds_load_b128 v[2:5], v1 offset:1488
	v_fma_f64 v[194:195], v[8:9], v[14:15], v[200:201]
	v_fma_f64 v[14:15], v[6:7], v[14:15], -v[16:17]
	ds_load_b128 v[6:9], v1 offset:1504
	s_waitcnt vmcnt(5) lgkmcnt(1)
	v_mul_f64 v[192:193], v[2:3], v[20:21]
	v_mul_f64 v[20:21], v[4:5], v[20:21]
	s_waitcnt vmcnt(4) lgkmcnt(0)
	v_mul_f64 v[16:17], v[6:7], v[24:25]
	v_mul_f64 v[24:25], v[8:9], v[24:25]
	v_add_f64 v[10:11], v[12:13], v[10:11]
	v_add_f64 v[12:13], v[190:191], v[196:197]
	v_fma_f64 v[190:191], v[4:5], v[18:19], v[192:193]
	v_fma_f64 v[18:19], v[2:3], v[18:19], -v[20:21]
	ds_load_b128 v[2:5], v1 offset:1520
	v_fma_f64 v[16:17], v[8:9], v[22:23], v[16:17]
	v_fma_f64 v[22:23], v[6:7], v[22:23], -v[24:25]
	ds_load_b128 v[6:9], v1 offset:1536
	v_add_f64 v[10:11], v[10:11], v[14:15]
	v_add_f64 v[12:13], v[12:13], v[194:195]
	s_waitcnt vmcnt(3) lgkmcnt(1)
	v_mul_f64 v[14:15], v[2:3], v[28:29]
	v_mul_f64 v[20:21], v[4:5], v[28:29]
	s_waitcnt vmcnt(2) lgkmcnt(0)
	v_mul_f64 v[24:25], v[8:9], v[32:33]
	v_add_f64 v[10:11], v[10:11], v[18:19]
	v_add_f64 v[12:13], v[12:13], v[190:191]
	v_mul_f64 v[18:19], v[6:7], v[32:33]
	v_fma_f64 v[14:15], v[4:5], v[26:27], v[14:15]
	v_fma_f64 v[20:21], v[2:3], v[26:27], -v[20:21]
	ds_load_b128 v[2:5], v1 offset:1552
	v_fma_f64 v[6:7], v[6:7], v[30:31], -v[24:25]
	v_add_f64 v[10:11], v[10:11], v[22:23]
	v_add_f64 v[12:13], v[12:13], v[16:17]
	s_waitcnt vmcnt(1) lgkmcnt(0)
	v_mul_f64 v[16:17], v[2:3], v[36:37]
	v_mul_f64 v[22:23], v[4:5], v[36:37]
	v_fma_f64 v[8:9], v[8:9], v[30:31], v[18:19]
	v_add_f64 v[10:11], v[10:11], v[20:21]
	v_add_f64 v[12:13], v[12:13], v[14:15]
	v_fma_f64 v[4:5], v[4:5], v[34:35], v[16:17]
	v_fma_f64 v[2:3], v[2:3], v[34:35], -v[22:23]
	s_delay_alu instid0(VALU_DEP_4) | instskip(NEXT) | instid1(VALU_DEP_4)
	v_add_f64 v[6:7], v[10:11], v[6:7]
	v_add_f64 v[8:9], v[12:13], v[8:9]
	s_delay_alu instid0(VALU_DEP_2) | instskip(NEXT) | instid1(VALU_DEP_2)
	v_add_f64 v[2:3], v[6:7], v[2:3]
	v_add_f64 v[4:5], v[8:9], v[4:5]
	s_waitcnt vmcnt(0)
	s_delay_alu instid0(VALU_DEP_2) | instskip(NEXT) | instid1(VALU_DEP_2)
	v_add_f64 v[2:3], v[38:39], -v[2:3]
	v_add_f64 v[4:5], v[40:41], -v[4:5]
	scratch_store_b128 off, v[2:5], off offset:304
	v_cmpx_lt_u32_e32 18, v140
	s_cbranch_execz .LBB112_271
; %bb.270:
	scratch_load_b128 v[5:8], v171, off
	v_mov_b32_e32 v2, v1
	v_mov_b32_e32 v3, v1
	;; [unrolled: 1-line block ×3, first 2 shown]
	scratch_store_b128 off, v[1:4], off offset:288
	s_waitcnt vmcnt(0)
	ds_store_b128 v189, v[5:8]
.LBB112_271:
	s_or_b32 exec_lo, exec_lo, s2
	s_waitcnt lgkmcnt(0)
	s_waitcnt_vscnt null, 0x0
	s_barrier
	buffer_gl0_inv
	s_clause 0x7
	scratch_load_b128 v[2:5], off, off offset:304
	scratch_load_b128 v[6:9], off, off offset:320
	;; [unrolled: 1-line block ×8, first 2 shown]
	ds_load_b128 v[38:41], v1 offset:1088
	ds_load_b128 v[190:193], v1 offset:1104
	s_clause 0x1
	scratch_load_b128 v[34:37], off, off offset:432
	scratch_load_b128 v[194:197], off, off offset:448
	s_mov_b32 s2, exec_lo
	s_waitcnt vmcnt(9) lgkmcnt(1)
	v_mul_f64 v[198:199], v[40:41], v[4:5]
	v_mul_f64 v[4:5], v[38:39], v[4:5]
	s_waitcnt vmcnt(8) lgkmcnt(0)
	v_mul_f64 v[200:201], v[190:191], v[8:9]
	v_mul_f64 v[8:9], v[192:193], v[8:9]
	s_delay_alu instid0(VALU_DEP_4) | instskip(NEXT) | instid1(VALU_DEP_4)
	v_fma_f64 v[198:199], v[38:39], v[2:3], -v[198:199]
	v_fma_f64 v[202:203], v[40:41], v[2:3], v[4:5]
	ds_load_b128 v[2:5], v1 offset:1120
	scratch_load_b128 v[38:41], off, off offset:464
	v_fma_f64 v[200:201], v[192:193], v[6:7], v[200:201]
	v_fma_f64 v[206:207], v[190:191], v[6:7], -v[8:9]
	scratch_load_b128 v[190:193], off, off offset:480
	ds_load_b128 v[6:9], v1 offset:1136
	s_waitcnt vmcnt(9) lgkmcnt(1)
	v_mul_f64 v[204:205], v[2:3], v[12:13]
	v_mul_f64 v[12:13], v[4:5], v[12:13]
	s_waitcnt vmcnt(8) lgkmcnt(0)
	v_mul_f64 v[208:209], v[6:7], v[16:17]
	v_mul_f64 v[16:17], v[8:9], v[16:17]
	v_add_f64 v[198:199], v[198:199], 0
	v_add_f64 v[202:203], v[202:203], 0
	v_fma_f64 v[204:205], v[4:5], v[10:11], v[204:205]
	v_fma_f64 v[210:211], v[2:3], v[10:11], -v[12:13]
	scratch_load_b128 v[10:13], off, off offset:496
	ds_load_b128 v[2:5], v1 offset:1152
	v_add_f64 v[198:199], v[198:199], v[206:207]
	v_add_f64 v[200:201], v[202:203], v[200:201]
	v_fma_f64 v[206:207], v[8:9], v[14:15], v[208:209]
	v_fma_f64 v[208:209], v[6:7], v[14:15], -v[16:17]
	ds_load_b128 v[6:9], v1 offset:1168
	scratch_load_b128 v[14:17], off, off offset:512
	s_waitcnt vmcnt(9) lgkmcnt(1)
	v_mul_f64 v[202:203], v[2:3], v[20:21]
	v_mul_f64 v[20:21], v[4:5], v[20:21]
	v_add_f64 v[198:199], v[198:199], v[210:211]
	v_add_f64 v[200:201], v[200:201], v[204:205]
	s_waitcnt vmcnt(8) lgkmcnt(0)
	v_mul_f64 v[204:205], v[6:7], v[24:25]
	v_mul_f64 v[24:25], v[8:9], v[24:25]
	v_fma_f64 v[202:203], v[4:5], v[18:19], v[202:203]
	v_fma_f64 v[210:211], v[2:3], v[18:19], -v[20:21]
	ds_load_b128 v[2:5], v1 offset:1184
	scratch_load_b128 v[18:21], off, off offset:528
	v_add_f64 v[198:199], v[198:199], v[208:209]
	v_add_f64 v[200:201], v[200:201], v[206:207]
	v_fma_f64 v[204:205], v[8:9], v[22:23], v[204:205]
	v_fma_f64 v[208:209], v[6:7], v[22:23], -v[24:25]
	scratch_load_b128 v[22:25], off, off offset:544
	ds_load_b128 v[6:9], v1 offset:1200
	s_waitcnt vmcnt(9) lgkmcnt(1)
	v_mul_f64 v[206:207], v[2:3], v[28:29]
	v_mul_f64 v[28:29], v[4:5], v[28:29]
	v_add_f64 v[198:199], v[198:199], v[210:211]
	v_add_f64 v[200:201], v[200:201], v[202:203]
	s_waitcnt vmcnt(8) lgkmcnt(0)
	v_mul_f64 v[202:203], v[6:7], v[32:33]
	v_mul_f64 v[32:33], v[8:9], v[32:33]
	v_fma_f64 v[206:207], v[4:5], v[26:27], v[206:207]
	v_fma_f64 v[210:211], v[2:3], v[26:27], -v[28:29]
	ds_load_b128 v[2:5], v1 offset:1216
	scratch_load_b128 v[26:29], off, off offset:560
	v_add_f64 v[198:199], v[198:199], v[208:209]
	v_add_f64 v[200:201], v[200:201], v[204:205]
	v_fma_f64 v[202:203], v[8:9], v[30:31], v[202:203]
	v_fma_f64 v[208:209], v[6:7], v[30:31], -v[32:33]
	scratch_load_b128 v[30:33], off, off offset:576
	ds_load_b128 v[6:9], v1 offset:1232
	;; [unrolled: 18-line block ×3, first 2 shown]
	s_waitcnt vmcnt(9) lgkmcnt(1)
	v_mul_f64 v[202:203], v[2:3], v[40:41]
	v_mul_f64 v[40:41], v[4:5], v[40:41]
	v_add_f64 v[198:199], v[198:199], v[210:211]
	v_add_f64 v[200:201], v[200:201], v[204:205]
	s_waitcnt vmcnt(8) lgkmcnt(0)
	v_mul_f64 v[204:205], v[6:7], v[192:193]
	v_mul_f64 v[192:193], v[8:9], v[192:193]
	v_fma_f64 v[202:203], v[4:5], v[38:39], v[202:203]
	v_fma_f64 v[210:211], v[2:3], v[38:39], -v[40:41]
	ds_load_b128 v[2:5], v1 offset:1280
	scratch_load_b128 v[38:41], off, off offset:624
	v_add_f64 v[198:199], v[198:199], v[208:209]
	v_add_f64 v[200:201], v[200:201], v[206:207]
	v_fma_f64 v[204:205], v[8:9], v[190:191], v[204:205]
	v_fma_f64 v[208:209], v[6:7], v[190:191], -v[192:193]
	ds_load_b128 v[6:9], v1 offset:1296
	s_waitcnt vmcnt(8) lgkmcnt(1)
	v_mul_f64 v[206:207], v[2:3], v[12:13]
	v_mul_f64 v[12:13], v[4:5], v[12:13]
	scratch_load_b128 v[190:193], off, off offset:640
	v_add_f64 v[198:199], v[198:199], v[210:211]
	v_add_f64 v[200:201], v[200:201], v[202:203]
	s_waitcnt vmcnt(8) lgkmcnt(0)
	v_mul_f64 v[202:203], v[6:7], v[16:17]
	v_mul_f64 v[16:17], v[8:9], v[16:17]
	v_fma_f64 v[206:207], v[4:5], v[10:11], v[206:207]
	v_fma_f64 v[210:211], v[2:3], v[10:11], -v[12:13]
	scratch_load_b128 v[10:13], off, off offset:656
	ds_load_b128 v[2:5], v1 offset:1312
	v_add_f64 v[198:199], v[198:199], v[208:209]
	v_add_f64 v[200:201], v[200:201], v[204:205]
	v_fma_f64 v[202:203], v[8:9], v[14:15], v[202:203]
	v_fma_f64 v[208:209], v[6:7], v[14:15], -v[16:17]
	ds_load_b128 v[6:9], v1 offset:1328
	s_waitcnt vmcnt(8) lgkmcnt(1)
	v_mul_f64 v[204:205], v[2:3], v[20:21]
	v_mul_f64 v[20:21], v[4:5], v[20:21]
	scratch_load_b128 v[14:17], off, off offset:672
	v_add_f64 v[198:199], v[198:199], v[210:211]
	v_add_f64 v[200:201], v[200:201], v[206:207]
	s_waitcnt vmcnt(8) lgkmcnt(0)
	v_mul_f64 v[206:207], v[6:7], v[24:25]
	v_mul_f64 v[24:25], v[8:9], v[24:25]
	v_fma_f64 v[204:205], v[4:5], v[18:19], v[204:205]
	v_fma_f64 v[210:211], v[2:3], v[18:19], -v[20:21]
	scratch_load_b128 v[18:21], off, off offset:688
	ds_load_b128 v[2:5], v1 offset:1344
	;; [unrolled: 18-line block ×4, first 2 shown]
	v_add_f64 v[198:199], v[198:199], v[208:209]
	v_add_f64 v[200:201], v[200:201], v[204:205]
	v_fma_f64 v[202:203], v[8:9], v[194:195], v[202:203]
	v_fma_f64 v[208:209], v[6:7], v[194:195], -v[196:197]
	ds_load_b128 v[6:9], v1 offset:1424
	s_waitcnt vmcnt(8) lgkmcnt(1)
	v_mul_f64 v[204:205], v[2:3], v[40:41]
	v_mul_f64 v[40:41], v[4:5], v[40:41]
	scratch_load_b128 v[194:197], off, off offset:768
	v_add_f64 v[198:199], v[198:199], v[210:211]
	v_add_f64 v[200:201], v[200:201], v[206:207]
	v_fma_f64 v[204:205], v[4:5], v[38:39], v[204:205]
	v_fma_f64 v[38:39], v[2:3], v[38:39], -v[40:41]
	ds_load_b128 v[2:5], v1 offset:1440
	v_add_f64 v[40:41], v[198:199], v[208:209]
	v_add_f64 v[198:199], v[200:201], v[202:203]
	s_waitcnt vmcnt(7) lgkmcnt(0)
	v_mul_f64 v[200:201], v[2:3], v[12:13]
	v_mul_f64 v[12:13], v[4:5], v[12:13]
	s_delay_alu instid0(VALU_DEP_4) | instskip(NEXT) | instid1(VALU_DEP_4)
	v_add_f64 v[38:39], v[40:41], v[38:39]
	v_add_f64 v[40:41], v[198:199], v[204:205]
	s_delay_alu instid0(VALU_DEP_4) | instskip(NEXT) | instid1(VALU_DEP_4)
	v_fma_f64 v[198:199], v[4:5], v[10:11], v[200:201]
	v_fma_f64 v[200:201], v[2:3], v[10:11], -v[12:13]
	scratch_load_b128 v[10:13], off, off offset:288
	v_mul_f64 v[206:207], v[6:7], v[192:193]
	v_mul_f64 v[192:193], v[8:9], v[192:193]
	ds_load_b128 v[2:5], v1 offset:1472
	v_fma_f64 v[202:203], v[8:9], v[190:191], v[206:207]
	v_fma_f64 v[190:191], v[6:7], v[190:191], -v[192:193]
	ds_load_b128 v[6:9], v1 offset:1456
	s_waitcnt vmcnt(7) lgkmcnt(0)
	v_mul_f64 v[192:193], v[6:7], v[16:17]
	v_mul_f64 v[16:17], v[8:9], v[16:17]
	v_add_f64 v[40:41], v[40:41], v[202:203]
	v_add_f64 v[38:39], v[38:39], v[190:191]
	s_waitcnt vmcnt(6)
	v_mul_f64 v[190:191], v[2:3], v[20:21]
	v_mul_f64 v[20:21], v[4:5], v[20:21]
	v_fma_f64 v[192:193], v[8:9], v[14:15], v[192:193]
	v_fma_f64 v[14:15], v[6:7], v[14:15], -v[16:17]
	ds_load_b128 v[6:9], v1 offset:1488
	v_add_f64 v[16:17], v[38:39], v[200:201]
	v_add_f64 v[38:39], v[40:41], v[198:199]
	v_fma_f64 v[190:191], v[4:5], v[18:19], v[190:191]
	v_fma_f64 v[18:19], v[2:3], v[18:19], -v[20:21]
	ds_load_b128 v[2:5], v1 offset:1504
	s_waitcnt vmcnt(5) lgkmcnt(1)
	v_mul_f64 v[40:41], v[6:7], v[24:25]
	v_mul_f64 v[24:25], v[8:9], v[24:25]
	s_waitcnt vmcnt(4) lgkmcnt(0)
	v_mul_f64 v[20:21], v[2:3], v[28:29]
	v_mul_f64 v[28:29], v[4:5], v[28:29]
	v_add_f64 v[14:15], v[16:17], v[14:15]
	v_add_f64 v[16:17], v[38:39], v[192:193]
	v_fma_f64 v[38:39], v[8:9], v[22:23], v[40:41]
	v_fma_f64 v[22:23], v[6:7], v[22:23], -v[24:25]
	ds_load_b128 v[6:9], v1 offset:1520
	v_fma_f64 v[20:21], v[4:5], v[26:27], v[20:21]
	v_fma_f64 v[26:27], v[2:3], v[26:27], -v[28:29]
	ds_load_b128 v[2:5], v1 offset:1536
	s_waitcnt vmcnt(3) lgkmcnt(1)
	v_mul_f64 v[24:25], v[8:9], v[32:33]
	v_add_f64 v[14:15], v[14:15], v[18:19]
	v_add_f64 v[16:17], v[16:17], v[190:191]
	v_mul_f64 v[18:19], v[6:7], v[32:33]
	s_waitcnt vmcnt(2) lgkmcnt(0)
	v_mul_f64 v[28:29], v[4:5], v[36:37]
	v_fma_f64 v[24:25], v[6:7], v[30:31], -v[24:25]
	v_add_f64 v[14:15], v[14:15], v[22:23]
	v_add_f64 v[16:17], v[16:17], v[38:39]
	v_mul_f64 v[22:23], v[2:3], v[36:37]
	v_fma_f64 v[18:19], v[8:9], v[30:31], v[18:19]
	ds_load_b128 v[6:9], v1 offset:1552
	v_fma_f64 v[1:2], v[2:3], v[34:35], -v[28:29]
	v_add_f64 v[14:15], v[14:15], v[26:27]
	v_add_f64 v[16:17], v[16:17], v[20:21]
	s_waitcnt vmcnt(1) lgkmcnt(0)
	v_mul_f64 v[20:21], v[6:7], v[196:197]
	v_mul_f64 v[26:27], v[8:9], v[196:197]
	v_fma_f64 v[4:5], v[4:5], v[34:35], v[22:23]
	v_add_f64 v[14:15], v[14:15], v[24:25]
	v_add_f64 v[16:17], v[16:17], v[18:19]
	v_fma_f64 v[8:9], v[8:9], v[194:195], v[20:21]
	v_fma_f64 v[6:7], v[6:7], v[194:195], -v[26:27]
	s_delay_alu instid0(VALU_DEP_4) | instskip(NEXT) | instid1(VALU_DEP_4)
	v_add_f64 v[1:2], v[14:15], v[1:2]
	v_add_f64 v[3:4], v[16:17], v[4:5]
	s_delay_alu instid0(VALU_DEP_2) | instskip(NEXT) | instid1(VALU_DEP_2)
	v_add_f64 v[1:2], v[1:2], v[6:7]
	v_add_f64 v[3:4], v[3:4], v[8:9]
	s_waitcnt vmcnt(0)
	s_delay_alu instid0(VALU_DEP_2) | instskip(NEXT) | instid1(VALU_DEP_2)
	v_add_f64 v[1:2], v[10:11], -v[1:2]
	v_add_f64 v[3:4], v[12:13], -v[3:4]
	scratch_store_b128 off, v[1:4], off offset:288
	v_cmpx_lt_u32_e32 17, v140
	s_cbranch_execz .LBB112_273
; %bb.272:
	scratch_load_b128 v[1:4], v172, off
	v_mov_b32_e32 v5, 0
	s_delay_alu instid0(VALU_DEP_1)
	v_mov_b32_e32 v6, v5
	v_mov_b32_e32 v7, v5
	;; [unrolled: 1-line block ×3, first 2 shown]
	scratch_store_b128 off, v[5:8], off offset:272
	s_waitcnt vmcnt(0)
	ds_store_b128 v189, v[1:4]
.LBB112_273:
	s_or_b32 exec_lo, exec_lo, s2
	s_waitcnt lgkmcnt(0)
	s_waitcnt_vscnt null, 0x0
	s_barrier
	buffer_gl0_inv
	s_clause 0x7
	scratch_load_b128 v[2:5], off, off offset:288
	scratch_load_b128 v[6:9], off, off offset:304
	;; [unrolled: 1-line block ×8, first 2 shown]
	v_mov_b32_e32 v1, 0
	s_clause 0x1
	scratch_load_b128 v[34:37], off, off offset:416
	scratch_load_b128 v[194:197], off, off offset:432
	s_mov_b32 s2, exec_lo
	ds_load_b128 v[38:41], v1 offset:1072
	ds_load_b128 v[190:193], v1 offset:1088
	s_waitcnt vmcnt(9) lgkmcnt(1)
	v_mul_f64 v[198:199], v[40:41], v[4:5]
	v_mul_f64 v[4:5], v[38:39], v[4:5]
	s_waitcnt vmcnt(8) lgkmcnt(0)
	v_mul_f64 v[200:201], v[190:191], v[8:9]
	v_mul_f64 v[8:9], v[192:193], v[8:9]
	s_delay_alu instid0(VALU_DEP_4) | instskip(NEXT) | instid1(VALU_DEP_4)
	v_fma_f64 v[198:199], v[38:39], v[2:3], -v[198:199]
	v_fma_f64 v[202:203], v[40:41], v[2:3], v[4:5]
	ds_load_b128 v[2:5], v1 offset:1104
	scratch_load_b128 v[38:41], off, off offset:448
	v_fma_f64 v[200:201], v[192:193], v[6:7], v[200:201]
	v_fma_f64 v[206:207], v[190:191], v[6:7], -v[8:9]
	scratch_load_b128 v[190:193], off, off offset:464
	ds_load_b128 v[6:9], v1 offset:1120
	s_waitcnt vmcnt(9) lgkmcnt(1)
	v_mul_f64 v[204:205], v[2:3], v[12:13]
	v_mul_f64 v[12:13], v[4:5], v[12:13]
	s_waitcnt vmcnt(8) lgkmcnt(0)
	v_mul_f64 v[208:209], v[6:7], v[16:17]
	v_mul_f64 v[16:17], v[8:9], v[16:17]
	v_add_f64 v[198:199], v[198:199], 0
	v_add_f64 v[202:203], v[202:203], 0
	v_fma_f64 v[204:205], v[4:5], v[10:11], v[204:205]
	v_fma_f64 v[210:211], v[2:3], v[10:11], -v[12:13]
	ds_load_b128 v[2:5], v1 offset:1136
	scratch_load_b128 v[10:13], off, off offset:480
	v_add_f64 v[198:199], v[198:199], v[206:207]
	v_add_f64 v[200:201], v[202:203], v[200:201]
	v_fma_f64 v[206:207], v[8:9], v[14:15], v[208:209]
	v_fma_f64 v[208:209], v[6:7], v[14:15], -v[16:17]
	scratch_load_b128 v[14:17], off, off offset:496
	ds_load_b128 v[6:9], v1 offset:1152
	s_waitcnt vmcnt(9) lgkmcnt(1)
	v_mul_f64 v[202:203], v[2:3], v[20:21]
	v_mul_f64 v[20:21], v[4:5], v[20:21]
	v_add_f64 v[198:199], v[198:199], v[210:211]
	v_add_f64 v[200:201], v[200:201], v[204:205]
	s_waitcnt vmcnt(8) lgkmcnt(0)
	v_mul_f64 v[204:205], v[6:7], v[24:25]
	v_mul_f64 v[24:25], v[8:9], v[24:25]
	v_fma_f64 v[202:203], v[4:5], v[18:19], v[202:203]
	v_fma_f64 v[210:211], v[2:3], v[18:19], -v[20:21]
	ds_load_b128 v[2:5], v1 offset:1168
	scratch_load_b128 v[18:21], off, off offset:512
	v_add_f64 v[198:199], v[198:199], v[208:209]
	v_add_f64 v[200:201], v[200:201], v[206:207]
	v_fma_f64 v[204:205], v[8:9], v[22:23], v[204:205]
	v_fma_f64 v[208:209], v[6:7], v[22:23], -v[24:25]
	scratch_load_b128 v[22:25], off, off offset:528
	ds_load_b128 v[6:9], v1 offset:1184
	s_waitcnt vmcnt(9) lgkmcnt(1)
	v_mul_f64 v[206:207], v[2:3], v[28:29]
	v_mul_f64 v[28:29], v[4:5], v[28:29]
	v_add_f64 v[198:199], v[198:199], v[210:211]
	v_add_f64 v[200:201], v[200:201], v[202:203]
	s_waitcnt vmcnt(8) lgkmcnt(0)
	v_mul_f64 v[202:203], v[6:7], v[32:33]
	v_mul_f64 v[32:33], v[8:9], v[32:33]
	;; [unrolled: 18-line block ×6, first 2 shown]
	v_fma_f64 v[204:205], v[4:5], v[18:19], v[204:205]
	v_fma_f64 v[210:211], v[2:3], v[18:19], -v[20:21]
	ds_load_b128 v[2:5], v1 offset:1328
	scratch_load_b128 v[18:21], off, off offset:672
	v_add_f64 v[198:199], v[198:199], v[208:209]
	v_add_f64 v[200:201], v[200:201], v[202:203]
	v_fma_f64 v[206:207], v[8:9], v[22:23], v[206:207]
	v_fma_f64 v[208:209], v[6:7], v[22:23], -v[24:25]
	ds_load_b128 v[6:9], v1 offset:1344
	s_waitcnt vmcnt(8) lgkmcnt(1)
	v_mul_f64 v[202:203], v[2:3], v[28:29]
	v_mul_f64 v[28:29], v[4:5], v[28:29]
	scratch_load_b128 v[22:25], off, off offset:688
	v_add_f64 v[198:199], v[198:199], v[210:211]
	v_add_f64 v[200:201], v[200:201], v[204:205]
	s_waitcnt vmcnt(8) lgkmcnt(0)
	v_mul_f64 v[204:205], v[6:7], v[32:33]
	v_mul_f64 v[32:33], v[8:9], v[32:33]
	v_fma_f64 v[202:203], v[4:5], v[26:27], v[202:203]
	v_fma_f64 v[210:211], v[2:3], v[26:27], -v[28:29]
	scratch_load_b128 v[26:29], off, off offset:704
	ds_load_b128 v[2:5], v1 offset:1360
	v_add_f64 v[198:199], v[198:199], v[208:209]
	v_add_f64 v[200:201], v[200:201], v[206:207]
	v_fma_f64 v[204:205], v[8:9], v[30:31], v[204:205]
	v_fma_f64 v[208:209], v[6:7], v[30:31], -v[32:33]
	ds_load_b128 v[6:9], v1 offset:1376
	s_waitcnt vmcnt(8) lgkmcnt(1)
	v_mul_f64 v[206:207], v[2:3], v[36:37]
	v_mul_f64 v[36:37], v[4:5], v[36:37]
	scratch_load_b128 v[30:33], off, off offset:720
	v_add_f64 v[198:199], v[198:199], v[210:211]
	v_add_f64 v[200:201], v[200:201], v[202:203]
	s_waitcnt vmcnt(8) lgkmcnt(0)
	v_mul_f64 v[202:203], v[6:7], v[196:197]
	v_mul_f64 v[196:197], v[8:9], v[196:197]
	v_fma_f64 v[206:207], v[4:5], v[34:35], v[206:207]
	v_fma_f64 v[210:211], v[2:3], v[34:35], -v[36:37]
	scratch_load_b128 v[34:37], off, off offset:736
	ds_load_b128 v[2:5], v1 offset:1392
	;; [unrolled: 18-line block ×3, first 2 shown]
	v_add_f64 v[198:199], v[198:199], v[208:209]
	v_add_f64 v[200:201], v[200:201], v[202:203]
	v_fma_f64 v[206:207], v[8:9], v[190:191], v[206:207]
	v_fma_f64 v[190:191], v[6:7], v[190:191], -v[192:193]
	ds_load_b128 v[6:9], v1 offset:1440
	s_waitcnt vmcnt(8) lgkmcnt(1)
	v_mul_f64 v[202:203], v[2:3], v[12:13]
	v_mul_f64 v[12:13], v[4:5], v[12:13]
	v_add_f64 v[192:193], v[198:199], v[210:211]
	v_add_f64 v[198:199], v[200:201], v[204:205]
	s_waitcnt vmcnt(7) lgkmcnt(0)
	v_mul_f64 v[200:201], v[6:7], v[16:17]
	v_mul_f64 v[16:17], v[8:9], v[16:17]
	v_fma_f64 v[202:203], v[4:5], v[10:11], v[202:203]
	v_fma_f64 v[10:11], v[2:3], v[10:11], -v[12:13]
	ds_load_b128 v[2:5], v1 offset:1456
	v_add_f64 v[12:13], v[192:193], v[190:191]
	v_add_f64 v[190:191], v[198:199], v[206:207]
	v_fma_f64 v[198:199], v[8:9], v[14:15], v[200:201]
	v_fma_f64 v[14:15], v[6:7], v[14:15], -v[16:17]
	ds_load_b128 v[6:9], v1 offset:1472
	s_waitcnt vmcnt(5) lgkmcnt(0)
	v_mul_f64 v[200:201], v[6:7], v[24:25]
	v_mul_f64 v[24:25], v[8:9], v[24:25]
	v_add_f64 v[16:17], v[12:13], v[10:11]
	v_add_f64 v[190:191], v[190:191], v[202:203]
	scratch_load_b128 v[10:13], off, off offset:272
	v_mul_f64 v[192:193], v[2:3], v[20:21]
	v_mul_f64 v[20:21], v[4:5], v[20:21]
	v_add_f64 v[14:15], v[16:17], v[14:15]
	v_add_f64 v[16:17], v[190:191], v[198:199]
	v_fma_f64 v[190:191], v[8:9], v[22:23], v[200:201]
	v_fma_f64 v[192:193], v[4:5], v[18:19], v[192:193]
	v_fma_f64 v[18:19], v[2:3], v[18:19], -v[20:21]
	ds_load_b128 v[2:5], v1 offset:1488
	v_fma_f64 v[22:23], v[6:7], v[22:23], -v[24:25]
	ds_load_b128 v[6:9], v1 offset:1504
	s_waitcnt vmcnt(5) lgkmcnt(1)
	v_mul_f64 v[20:21], v[2:3], v[28:29]
	v_mul_f64 v[28:29], v[4:5], v[28:29]
	s_waitcnt vmcnt(4) lgkmcnt(0)
	v_mul_f64 v[24:25], v[8:9], v[32:33]
	v_add_f64 v[16:17], v[16:17], v[192:193]
	v_add_f64 v[14:15], v[14:15], v[18:19]
	v_mul_f64 v[18:19], v[6:7], v[32:33]
	v_fma_f64 v[20:21], v[4:5], v[26:27], v[20:21]
	v_fma_f64 v[26:27], v[2:3], v[26:27], -v[28:29]
	ds_load_b128 v[2:5], v1 offset:1520
	v_fma_f64 v[24:25], v[6:7], v[30:31], -v[24:25]
	v_add_f64 v[16:17], v[16:17], v[190:191]
	v_add_f64 v[14:15], v[14:15], v[22:23]
	v_fma_f64 v[18:19], v[8:9], v[30:31], v[18:19]
	ds_load_b128 v[6:9], v1 offset:1536
	s_waitcnt vmcnt(3) lgkmcnt(1)
	v_mul_f64 v[22:23], v[2:3], v[36:37]
	v_mul_f64 v[28:29], v[4:5], v[36:37]
	v_add_f64 v[16:17], v[16:17], v[20:21]
	v_add_f64 v[14:15], v[14:15], v[26:27]
	s_waitcnt vmcnt(2) lgkmcnt(0)
	v_mul_f64 v[20:21], v[6:7], v[196:197]
	v_mul_f64 v[26:27], v[8:9], v[196:197]
	v_fma_f64 v[22:23], v[4:5], v[34:35], v[22:23]
	v_fma_f64 v[28:29], v[2:3], v[34:35], -v[28:29]
	ds_load_b128 v[2:5], v1 offset:1552
	v_add_f64 v[16:17], v[16:17], v[18:19]
	v_add_f64 v[14:15], v[14:15], v[24:25]
	s_waitcnt vmcnt(1) lgkmcnt(0)
	v_mul_f64 v[18:19], v[2:3], v[40:41]
	v_mul_f64 v[24:25], v[4:5], v[40:41]
	v_fma_f64 v[8:9], v[8:9], v[194:195], v[20:21]
	v_fma_f64 v[6:7], v[6:7], v[194:195], -v[26:27]
	v_add_f64 v[16:17], v[16:17], v[22:23]
	v_add_f64 v[14:15], v[14:15], v[28:29]
	v_fma_f64 v[4:5], v[4:5], v[38:39], v[18:19]
	v_fma_f64 v[2:3], v[2:3], v[38:39], -v[24:25]
	s_delay_alu instid0(VALU_DEP_4) | instskip(NEXT) | instid1(VALU_DEP_4)
	v_add_f64 v[8:9], v[16:17], v[8:9]
	v_add_f64 v[6:7], v[14:15], v[6:7]
	s_delay_alu instid0(VALU_DEP_2) | instskip(NEXT) | instid1(VALU_DEP_2)
	v_add_f64 v[4:5], v[8:9], v[4:5]
	v_add_f64 v[2:3], v[6:7], v[2:3]
	s_waitcnt vmcnt(0)
	s_delay_alu instid0(VALU_DEP_2) | instskip(NEXT) | instid1(VALU_DEP_2)
	v_add_f64 v[4:5], v[12:13], -v[4:5]
	v_add_f64 v[2:3], v[10:11], -v[2:3]
	scratch_store_b128 off, v[2:5], off offset:272
	v_cmpx_lt_u32_e32 16, v140
	s_cbranch_execz .LBB112_275
; %bb.274:
	scratch_load_b128 v[5:8], v173, off
	v_mov_b32_e32 v2, v1
	v_mov_b32_e32 v3, v1
	;; [unrolled: 1-line block ×3, first 2 shown]
	scratch_store_b128 off, v[1:4], off offset:256
	s_waitcnt vmcnt(0)
	ds_store_b128 v189, v[5:8]
.LBB112_275:
	s_or_b32 exec_lo, exec_lo, s2
	s_waitcnt lgkmcnt(0)
	s_waitcnt_vscnt null, 0x0
	s_barrier
	buffer_gl0_inv
	s_clause 0x7
	scratch_load_b128 v[2:5], off, off offset:272
	scratch_load_b128 v[6:9], off, off offset:288
	;; [unrolled: 1-line block ×8, first 2 shown]
	ds_load_b128 v[38:41], v1 offset:1056
	ds_load_b128 v[190:193], v1 offset:1072
	s_clause 0x1
	scratch_load_b128 v[34:37], off, off offset:400
	scratch_load_b128 v[194:197], off, off offset:416
	s_mov_b32 s2, exec_lo
	s_waitcnt vmcnt(9) lgkmcnt(1)
	v_mul_f64 v[198:199], v[40:41], v[4:5]
	v_mul_f64 v[4:5], v[38:39], v[4:5]
	s_waitcnt vmcnt(8) lgkmcnt(0)
	v_mul_f64 v[200:201], v[190:191], v[8:9]
	v_mul_f64 v[8:9], v[192:193], v[8:9]
	s_delay_alu instid0(VALU_DEP_4) | instskip(NEXT) | instid1(VALU_DEP_4)
	v_fma_f64 v[198:199], v[38:39], v[2:3], -v[198:199]
	v_fma_f64 v[202:203], v[40:41], v[2:3], v[4:5]
	ds_load_b128 v[2:5], v1 offset:1088
	scratch_load_b128 v[38:41], off, off offset:432
	v_fma_f64 v[200:201], v[192:193], v[6:7], v[200:201]
	v_fma_f64 v[206:207], v[190:191], v[6:7], -v[8:9]
	scratch_load_b128 v[190:193], off, off offset:448
	ds_load_b128 v[6:9], v1 offset:1104
	s_waitcnt vmcnt(9) lgkmcnt(1)
	v_mul_f64 v[204:205], v[2:3], v[12:13]
	v_mul_f64 v[12:13], v[4:5], v[12:13]
	s_waitcnt vmcnt(8) lgkmcnt(0)
	v_mul_f64 v[208:209], v[6:7], v[16:17]
	v_mul_f64 v[16:17], v[8:9], v[16:17]
	v_add_f64 v[198:199], v[198:199], 0
	v_add_f64 v[202:203], v[202:203], 0
	v_fma_f64 v[204:205], v[4:5], v[10:11], v[204:205]
	v_fma_f64 v[210:211], v[2:3], v[10:11], -v[12:13]
	ds_load_b128 v[2:5], v1 offset:1120
	scratch_load_b128 v[10:13], off, off offset:464
	v_add_f64 v[198:199], v[198:199], v[206:207]
	v_add_f64 v[200:201], v[202:203], v[200:201]
	v_fma_f64 v[206:207], v[8:9], v[14:15], v[208:209]
	v_fma_f64 v[208:209], v[6:7], v[14:15], -v[16:17]
	scratch_load_b128 v[14:17], off, off offset:480
	ds_load_b128 v[6:9], v1 offset:1136
	s_waitcnt vmcnt(9) lgkmcnt(1)
	v_mul_f64 v[202:203], v[2:3], v[20:21]
	v_mul_f64 v[20:21], v[4:5], v[20:21]
	v_add_f64 v[198:199], v[198:199], v[210:211]
	v_add_f64 v[200:201], v[200:201], v[204:205]
	s_waitcnt vmcnt(8) lgkmcnt(0)
	v_mul_f64 v[204:205], v[6:7], v[24:25]
	v_mul_f64 v[24:25], v[8:9], v[24:25]
	v_fma_f64 v[202:203], v[4:5], v[18:19], v[202:203]
	v_fma_f64 v[210:211], v[2:3], v[18:19], -v[20:21]
	ds_load_b128 v[2:5], v1 offset:1152
	scratch_load_b128 v[18:21], off, off offset:496
	v_add_f64 v[198:199], v[198:199], v[208:209]
	v_add_f64 v[200:201], v[200:201], v[206:207]
	v_fma_f64 v[204:205], v[8:9], v[22:23], v[204:205]
	v_fma_f64 v[208:209], v[6:7], v[22:23], -v[24:25]
	scratch_load_b128 v[22:25], off, off offset:512
	ds_load_b128 v[6:9], v1 offset:1168
	s_waitcnt vmcnt(9) lgkmcnt(1)
	v_mul_f64 v[206:207], v[2:3], v[28:29]
	v_mul_f64 v[28:29], v[4:5], v[28:29]
	v_add_f64 v[198:199], v[198:199], v[210:211]
	v_add_f64 v[200:201], v[200:201], v[202:203]
	s_waitcnt vmcnt(8) lgkmcnt(0)
	v_mul_f64 v[202:203], v[6:7], v[32:33]
	v_mul_f64 v[32:33], v[8:9], v[32:33]
	;; [unrolled: 18-line block ×6, first 2 shown]
	v_fma_f64 v[204:205], v[4:5], v[18:19], v[204:205]
	v_fma_f64 v[210:211], v[2:3], v[18:19], -v[20:21]
	ds_load_b128 v[2:5], v1 offset:1312
	scratch_load_b128 v[18:21], off, off offset:656
	v_add_f64 v[198:199], v[198:199], v[208:209]
	v_add_f64 v[200:201], v[200:201], v[202:203]
	v_fma_f64 v[206:207], v[8:9], v[22:23], v[206:207]
	v_fma_f64 v[208:209], v[6:7], v[22:23], -v[24:25]
	ds_load_b128 v[6:9], v1 offset:1328
	s_waitcnt vmcnt(8) lgkmcnt(1)
	v_mul_f64 v[202:203], v[2:3], v[28:29]
	v_mul_f64 v[28:29], v[4:5], v[28:29]
	scratch_load_b128 v[22:25], off, off offset:672
	v_add_f64 v[198:199], v[198:199], v[210:211]
	v_add_f64 v[200:201], v[200:201], v[204:205]
	s_waitcnt vmcnt(8) lgkmcnt(0)
	v_mul_f64 v[204:205], v[6:7], v[32:33]
	v_mul_f64 v[32:33], v[8:9], v[32:33]
	v_fma_f64 v[202:203], v[4:5], v[26:27], v[202:203]
	v_fma_f64 v[210:211], v[2:3], v[26:27], -v[28:29]
	ds_load_b128 v[2:5], v1 offset:1344
	scratch_load_b128 v[26:29], off, off offset:688
	v_add_f64 v[198:199], v[198:199], v[208:209]
	v_add_f64 v[200:201], v[200:201], v[206:207]
	v_fma_f64 v[204:205], v[8:9], v[30:31], v[204:205]
	v_fma_f64 v[208:209], v[6:7], v[30:31], -v[32:33]
	ds_load_b128 v[6:9], v1 offset:1360
	s_waitcnt vmcnt(8) lgkmcnt(1)
	v_mul_f64 v[206:207], v[2:3], v[36:37]
	v_mul_f64 v[36:37], v[4:5], v[36:37]
	scratch_load_b128 v[30:33], off, off offset:704
	v_add_f64 v[198:199], v[198:199], v[210:211]
	v_add_f64 v[200:201], v[200:201], v[202:203]
	s_waitcnt vmcnt(8) lgkmcnt(0)
	v_mul_f64 v[202:203], v[6:7], v[196:197]
	v_mul_f64 v[196:197], v[8:9], v[196:197]
	v_fma_f64 v[206:207], v[4:5], v[34:35], v[206:207]
	v_fma_f64 v[210:211], v[2:3], v[34:35], -v[36:37]
	scratch_load_b128 v[34:37], off, off offset:720
	ds_load_b128 v[2:5], v1 offset:1376
	v_add_f64 v[198:199], v[198:199], v[208:209]
	v_add_f64 v[200:201], v[200:201], v[204:205]
	v_fma_f64 v[202:203], v[8:9], v[194:195], v[202:203]
	v_fma_f64 v[208:209], v[6:7], v[194:195], -v[196:197]
	ds_load_b128 v[6:9], v1 offset:1392
	s_waitcnt vmcnt(8) lgkmcnt(1)
	v_mul_f64 v[204:205], v[2:3], v[40:41]
	v_mul_f64 v[40:41], v[4:5], v[40:41]
	scratch_load_b128 v[194:197], off, off offset:736
	v_add_f64 v[198:199], v[198:199], v[210:211]
	v_add_f64 v[200:201], v[200:201], v[206:207]
	s_waitcnt vmcnt(8) lgkmcnt(0)
	v_mul_f64 v[206:207], v[6:7], v[192:193]
	v_mul_f64 v[192:193], v[8:9], v[192:193]
	v_fma_f64 v[204:205], v[4:5], v[38:39], v[204:205]
	v_fma_f64 v[210:211], v[2:3], v[38:39], -v[40:41]
	scratch_load_b128 v[38:41], off, off offset:752
	ds_load_b128 v[2:5], v1 offset:1408
	v_add_f64 v[198:199], v[198:199], v[208:209]
	v_add_f64 v[200:201], v[200:201], v[202:203]
	v_fma_f64 v[206:207], v[8:9], v[190:191], v[206:207]
	v_fma_f64 v[208:209], v[6:7], v[190:191], -v[192:193]
	ds_load_b128 v[6:9], v1 offset:1424
	s_waitcnt vmcnt(8) lgkmcnt(1)
	v_mul_f64 v[202:203], v[2:3], v[12:13]
	v_mul_f64 v[12:13], v[4:5], v[12:13]
	scratch_load_b128 v[190:193], off, off offset:768
	v_add_f64 v[198:199], v[198:199], v[210:211]
	v_add_f64 v[200:201], v[200:201], v[204:205]
	s_waitcnt vmcnt(8) lgkmcnt(0)
	v_mul_f64 v[204:205], v[6:7], v[16:17]
	v_mul_f64 v[16:17], v[8:9], v[16:17]
	v_fma_f64 v[202:203], v[4:5], v[10:11], v[202:203]
	v_fma_f64 v[10:11], v[2:3], v[10:11], -v[12:13]
	ds_load_b128 v[2:5], v1 offset:1440
	v_add_f64 v[12:13], v[198:199], v[208:209]
	v_add_f64 v[198:199], v[200:201], v[206:207]
	v_fma_f64 v[204:205], v[8:9], v[14:15], v[204:205]
	v_fma_f64 v[14:15], v[6:7], v[14:15], -v[16:17]
	ds_load_b128 v[6:9], v1 offset:1456
	s_waitcnt vmcnt(7) lgkmcnt(1)
	v_mul_f64 v[200:201], v[2:3], v[20:21]
	v_mul_f64 v[20:21], v[4:5], v[20:21]
	v_add_f64 v[10:11], v[12:13], v[10:11]
	v_add_f64 v[12:13], v[198:199], v[202:203]
	s_delay_alu instid0(VALU_DEP_4) | instskip(NEXT) | instid1(VALU_DEP_4)
	v_fma_f64 v[198:199], v[4:5], v[18:19], v[200:201]
	v_fma_f64 v[18:19], v[2:3], v[18:19], -v[20:21]
	ds_load_b128 v[2:5], v1 offset:1472
	v_add_f64 v[14:15], v[10:11], v[14:15]
	v_add_f64 v[20:21], v[12:13], v[204:205]
	scratch_load_b128 v[10:13], off, off offset:256
	s_waitcnt vmcnt(7) lgkmcnt(1)
	v_mul_f64 v[16:17], v[6:7], v[24:25]
	v_mul_f64 v[24:25], v[8:9], v[24:25]
	v_add_f64 v[14:15], v[14:15], v[18:19]
	v_add_f64 v[18:19], v[20:21], v[198:199]
	s_delay_alu instid0(VALU_DEP_4) | instskip(NEXT) | instid1(VALU_DEP_4)
	v_fma_f64 v[16:17], v[8:9], v[22:23], v[16:17]
	v_fma_f64 v[22:23], v[6:7], v[22:23], -v[24:25]
	ds_load_b128 v[6:9], v1 offset:1488
	s_waitcnt vmcnt(6) lgkmcnt(1)
	v_mul_f64 v[200:201], v[2:3], v[28:29]
	v_mul_f64 v[28:29], v[4:5], v[28:29]
	s_waitcnt vmcnt(5) lgkmcnt(0)
	v_mul_f64 v[20:21], v[6:7], v[32:33]
	v_mul_f64 v[24:25], v[8:9], v[32:33]
	v_add_f64 v[16:17], v[18:19], v[16:17]
	v_add_f64 v[14:15], v[14:15], v[22:23]
	v_fma_f64 v[32:33], v[4:5], v[26:27], v[200:201]
	v_fma_f64 v[26:27], v[2:3], v[26:27], -v[28:29]
	ds_load_b128 v[2:5], v1 offset:1504
	v_fma_f64 v[20:21], v[8:9], v[30:31], v[20:21]
	v_fma_f64 v[24:25], v[6:7], v[30:31], -v[24:25]
	ds_load_b128 v[6:9], v1 offset:1520
	s_waitcnt vmcnt(4) lgkmcnt(1)
	v_mul_f64 v[18:19], v[2:3], v[36:37]
	v_mul_f64 v[22:23], v[4:5], v[36:37]
	v_add_f64 v[16:17], v[16:17], v[32:33]
	v_add_f64 v[14:15], v[14:15], v[26:27]
	s_waitcnt vmcnt(3) lgkmcnt(0)
	v_mul_f64 v[26:27], v[6:7], v[196:197]
	v_mul_f64 v[28:29], v[8:9], v[196:197]
	v_fma_f64 v[18:19], v[4:5], v[34:35], v[18:19]
	v_fma_f64 v[22:23], v[2:3], v[34:35], -v[22:23]
	ds_load_b128 v[2:5], v1 offset:1536
	v_add_f64 v[16:17], v[16:17], v[20:21]
	v_add_f64 v[14:15], v[14:15], v[24:25]
	v_fma_f64 v[26:27], v[8:9], v[194:195], v[26:27]
	v_fma_f64 v[28:29], v[6:7], v[194:195], -v[28:29]
	ds_load_b128 v[6:9], v1 offset:1552
	s_waitcnt vmcnt(2) lgkmcnt(1)
	v_mul_f64 v[20:21], v[2:3], v[40:41]
	v_mul_f64 v[24:25], v[4:5], v[40:41]
	v_add_f64 v[16:17], v[16:17], v[18:19]
	v_add_f64 v[14:15], v[14:15], v[22:23]
	s_waitcnt vmcnt(1) lgkmcnt(0)
	v_mul_f64 v[18:19], v[6:7], v[192:193]
	v_mul_f64 v[22:23], v[8:9], v[192:193]
	v_fma_f64 v[4:5], v[4:5], v[38:39], v[20:21]
	v_fma_f64 v[1:2], v[2:3], v[38:39], -v[24:25]
	v_add_f64 v[16:17], v[16:17], v[26:27]
	v_add_f64 v[14:15], v[14:15], v[28:29]
	v_fma_f64 v[8:9], v[8:9], v[190:191], v[18:19]
	v_fma_f64 v[6:7], v[6:7], v[190:191], -v[22:23]
	s_delay_alu instid0(VALU_DEP_4) | instskip(NEXT) | instid1(VALU_DEP_4)
	v_add_f64 v[3:4], v[16:17], v[4:5]
	v_add_f64 v[1:2], v[14:15], v[1:2]
	s_delay_alu instid0(VALU_DEP_2) | instskip(NEXT) | instid1(VALU_DEP_2)
	v_add_f64 v[3:4], v[3:4], v[8:9]
	v_add_f64 v[1:2], v[1:2], v[6:7]
	s_waitcnt vmcnt(0)
	s_delay_alu instid0(VALU_DEP_2) | instskip(NEXT) | instid1(VALU_DEP_2)
	v_add_f64 v[3:4], v[12:13], -v[3:4]
	v_add_f64 v[1:2], v[10:11], -v[1:2]
	scratch_store_b128 off, v[1:4], off offset:256
	v_cmpx_lt_u32_e32 15, v140
	s_cbranch_execz .LBB112_277
; %bb.276:
	scratch_load_b128 v[1:4], v174, off
	v_mov_b32_e32 v5, 0
	s_delay_alu instid0(VALU_DEP_1)
	v_mov_b32_e32 v6, v5
	v_mov_b32_e32 v7, v5
	;; [unrolled: 1-line block ×3, first 2 shown]
	scratch_store_b128 off, v[5:8], off offset:240
	s_waitcnt vmcnt(0)
	ds_store_b128 v189, v[1:4]
.LBB112_277:
	s_or_b32 exec_lo, exec_lo, s2
	s_waitcnt lgkmcnt(0)
	s_waitcnt_vscnt null, 0x0
	s_barrier
	buffer_gl0_inv
	s_clause 0x7
	scratch_load_b128 v[2:5], off, off offset:256
	scratch_load_b128 v[6:9], off, off offset:272
	scratch_load_b128 v[10:13], off, off offset:288
	scratch_load_b128 v[14:17], off, off offset:304
	scratch_load_b128 v[18:21], off, off offset:320
	scratch_load_b128 v[22:25], off, off offset:336
	scratch_load_b128 v[26:29], off, off offset:352
	scratch_load_b128 v[30:33], off, off offset:368
	v_mov_b32_e32 v1, 0
	s_clause 0x1
	scratch_load_b128 v[34:37], off, off offset:384
	scratch_load_b128 v[194:197], off, off offset:400
	s_mov_b32 s2, exec_lo
	ds_load_b128 v[38:41], v1 offset:1040
	ds_load_b128 v[190:193], v1 offset:1056
	s_waitcnt vmcnt(9) lgkmcnt(1)
	v_mul_f64 v[198:199], v[40:41], v[4:5]
	v_mul_f64 v[4:5], v[38:39], v[4:5]
	s_waitcnt vmcnt(8) lgkmcnt(0)
	v_mul_f64 v[200:201], v[190:191], v[8:9]
	v_mul_f64 v[8:9], v[192:193], v[8:9]
	s_delay_alu instid0(VALU_DEP_4) | instskip(NEXT) | instid1(VALU_DEP_4)
	v_fma_f64 v[198:199], v[38:39], v[2:3], -v[198:199]
	v_fma_f64 v[202:203], v[40:41], v[2:3], v[4:5]
	ds_load_b128 v[2:5], v1 offset:1072
	scratch_load_b128 v[38:41], off, off offset:416
	v_fma_f64 v[200:201], v[192:193], v[6:7], v[200:201]
	v_fma_f64 v[206:207], v[190:191], v[6:7], -v[8:9]
	scratch_load_b128 v[190:193], off, off offset:432
	ds_load_b128 v[6:9], v1 offset:1088
	s_waitcnt vmcnt(9) lgkmcnt(1)
	v_mul_f64 v[204:205], v[2:3], v[12:13]
	v_mul_f64 v[12:13], v[4:5], v[12:13]
	s_waitcnt vmcnt(8) lgkmcnt(0)
	v_mul_f64 v[208:209], v[6:7], v[16:17]
	v_mul_f64 v[16:17], v[8:9], v[16:17]
	v_add_f64 v[198:199], v[198:199], 0
	v_add_f64 v[202:203], v[202:203], 0
	v_fma_f64 v[204:205], v[4:5], v[10:11], v[204:205]
	v_fma_f64 v[210:211], v[2:3], v[10:11], -v[12:13]
	ds_load_b128 v[2:5], v1 offset:1104
	scratch_load_b128 v[10:13], off, off offset:448
	v_add_f64 v[198:199], v[198:199], v[206:207]
	v_add_f64 v[200:201], v[202:203], v[200:201]
	v_fma_f64 v[206:207], v[8:9], v[14:15], v[208:209]
	v_fma_f64 v[208:209], v[6:7], v[14:15], -v[16:17]
	scratch_load_b128 v[14:17], off, off offset:464
	ds_load_b128 v[6:9], v1 offset:1120
	s_waitcnt vmcnt(9) lgkmcnt(1)
	v_mul_f64 v[202:203], v[2:3], v[20:21]
	v_mul_f64 v[20:21], v[4:5], v[20:21]
	v_add_f64 v[198:199], v[198:199], v[210:211]
	v_add_f64 v[200:201], v[200:201], v[204:205]
	s_waitcnt vmcnt(8) lgkmcnt(0)
	v_mul_f64 v[204:205], v[6:7], v[24:25]
	v_mul_f64 v[24:25], v[8:9], v[24:25]
	v_fma_f64 v[202:203], v[4:5], v[18:19], v[202:203]
	v_fma_f64 v[210:211], v[2:3], v[18:19], -v[20:21]
	ds_load_b128 v[2:5], v1 offset:1136
	scratch_load_b128 v[18:21], off, off offset:480
	v_add_f64 v[198:199], v[198:199], v[208:209]
	v_add_f64 v[200:201], v[200:201], v[206:207]
	v_fma_f64 v[204:205], v[8:9], v[22:23], v[204:205]
	v_fma_f64 v[208:209], v[6:7], v[22:23], -v[24:25]
	scratch_load_b128 v[22:25], off, off offset:496
	ds_load_b128 v[6:9], v1 offset:1152
	s_waitcnt vmcnt(9) lgkmcnt(1)
	v_mul_f64 v[206:207], v[2:3], v[28:29]
	v_mul_f64 v[28:29], v[4:5], v[28:29]
	v_add_f64 v[198:199], v[198:199], v[210:211]
	v_add_f64 v[200:201], v[200:201], v[202:203]
	s_waitcnt vmcnt(8) lgkmcnt(0)
	v_mul_f64 v[202:203], v[6:7], v[32:33]
	v_mul_f64 v[32:33], v[8:9], v[32:33]
	;; [unrolled: 18-line block ×7, first 2 shown]
	v_fma_f64 v[202:203], v[4:5], v[26:27], v[202:203]
	v_fma_f64 v[210:211], v[2:3], v[26:27], -v[28:29]
	ds_load_b128 v[2:5], v1 offset:1328
	scratch_load_b128 v[26:29], off, off offset:672
	v_add_f64 v[198:199], v[198:199], v[208:209]
	v_add_f64 v[200:201], v[200:201], v[206:207]
	v_fma_f64 v[204:205], v[8:9], v[30:31], v[204:205]
	v_fma_f64 v[208:209], v[6:7], v[30:31], -v[32:33]
	ds_load_b128 v[6:9], v1 offset:1344
	s_waitcnt vmcnt(8) lgkmcnt(1)
	v_mul_f64 v[206:207], v[2:3], v[36:37]
	v_mul_f64 v[36:37], v[4:5], v[36:37]
	scratch_load_b128 v[30:33], off, off offset:688
	v_add_f64 v[198:199], v[198:199], v[210:211]
	v_add_f64 v[200:201], v[200:201], v[202:203]
	s_waitcnt vmcnt(8) lgkmcnt(0)
	v_mul_f64 v[202:203], v[6:7], v[196:197]
	v_mul_f64 v[196:197], v[8:9], v[196:197]
	v_fma_f64 v[206:207], v[4:5], v[34:35], v[206:207]
	v_fma_f64 v[210:211], v[2:3], v[34:35], -v[36:37]
	scratch_load_b128 v[34:37], off, off offset:704
	ds_load_b128 v[2:5], v1 offset:1360
	v_add_f64 v[198:199], v[198:199], v[208:209]
	v_add_f64 v[200:201], v[200:201], v[204:205]
	v_fma_f64 v[202:203], v[8:9], v[194:195], v[202:203]
	v_fma_f64 v[208:209], v[6:7], v[194:195], -v[196:197]
	ds_load_b128 v[6:9], v1 offset:1376
	s_waitcnt vmcnt(8) lgkmcnt(1)
	v_mul_f64 v[204:205], v[2:3], v[40:41]
	v_mul_f64 v[40:41], v[4:5], v[40:41]
	scratch_load_b128 v[194:197], off, off offset:720
	v_add_f64 v[198:199], v[198:199], v[210:211]
	v_add_f64 v[200:201], v[200:201], v[206:207]
	s_waitcnt vmcnt(8) lgkmcnt(0)
	v_mul_f64 v[206:207], v[6:7], v[192:193]
	v_mul_f64 v[192:193], v[8:9], v[192:193]
	v_fma_f64 v[204:205], v[4:5], v[38:39], v[204:205]
	v_fma_f64 v[210:211], v[2:3], v[38:39], -v[40:41]
	scratch_load_b128 v[38:41], off, off offset:736
	ds_load_b128 v[2:5], v1 offset:1392
	;; [unrolled: 18-line block ×3, first 2 shown]
	v_add_f64 v[198:199], v[198:199], v[208:209]
	v_add_f64 v[200:201], v[200:201], v[206:207]
	v_fma_f64 v[204:205], v[8:9], v[14:15], v[204:205]
	v_fma_f64 v[14:15], v[6:7], v[14:15], -v[16:17]
	ds_load_b128 v[6:9], v1 offset:1440
	s_waitcnt vmcnt(8) lgkmcnt(1)
	v_mul_f64 v[206:207], v[2:3], v[20:21]
	v_mul_f64 v[20:21], v[4:5], v[20:21]
	v_add_f64 v[16:17], v[198:199], v[210:211]
	v_add_f64 v[198:199], v[200:201], v[202:203]
	s_waitcnt vmcnt(7) lgkmcnt(0)
	v_mul_f64 v[200:201], v[6:7], v[24:25]
	v_mul_f64 v[24:25], v[8:9], v[24:25]
	v_fma_f64 v[202:203], v[4:5], v[18:19], v[206:207]
	v_fma_f64 v[18:19], v[2:3], v[18:19], -v[20:21]
	ds_load_b128 v[2:5], v1 offset:1456
	v_add_f64 v[14:15], v[16:17], v[14:15]
	v_add_f64 v[16:17], v[198:199], v[204:205]
	v_fma_f64 v[198:199], v[8:9], v[22:23], v[200:201]
	v_fma_f64 v[22:23], v[6:7], v[22:23], -v[24:25]
	ds_load_b128 v[6:9], v1 offset:1472
	s_waitcnt vmcnt(5) lgkmcnt(0)
	v_mul_f64 v[200:201], v[6:7], v[32:33]
	v_mul_f64 v[32:33], v[8:9], v[32:33]
	v_add_f64 v[18:19], v[14:15], v[18:19]
	v_add_f64 v[24:25], v[16:17], v[202:203]
	scratch_load_b128 v[14:17], off, off offset:240
	v_mul_f64 v[20:21], v[2:3], v[28:29]
	v_mul_f64 v[28:29], v[4:5], v[28:29]
	v_add_f64 v[18:19], v[18:19], v[22:23]
	v_add_f64 v[22:23], v[24:25], v[198:199]
	s_delay_alu instid0(VALU_DEP_4) | instskip(NEXT) | instid1(VALU_DEP_4)
	v_fma_f64 v[20:21], v[4:5], v[26:27], v[20:21]
	v_fma_f64 v[26:27], v[2:3], v[26:27], -v[28:29]
	ds_load_b128 v[2:5], v1 offset:1488
	s_waitcnt vmcnt(5) lgkmcnt(0)
	v_mul_f64 v[24:25], v[2:3], v[36:37]
	v_mul_f64 v[28:29], v[4:5], v[36:37]
	v_fma_f64 v[36:37], v[8:9], v[30:31], v[200:201]
	v_fma_f64 v[30:31], v[6:7], v[30:31], -v[32:33]
	ds_load_b128 v[6:9], v1 offset:1504
	v_add_f64 v[20:21], v[22:23], v[20:21]
	v_add_f64 v[18:19], v[18:19], v[26:27]
	v_fma_f64 v[24:25], v[4:5], v[34:35], v[24:25]
	v_fma_f64 v[28:29], v[2:3], v[34:35], -v[28:29]
	ds_load_b128 v[2:5], v1 offset:1520
	s_waitcnt vmcnt(4) lgkmcnt(1)
	v_mul_f64 v[22:23], v[6:7], v[196:197]
	v_mul_f64 v[26:27], v[8:9], v[196:197]
	v_add_f64 v[20:21], v[20:21], v[36:37]
	v_add_f64 v[18:19], v[18:19], v[30:31]
	s_waitcnt vmcnt(3) lgkmcnt(0)
	v_mul_f64 v[30:31], v[2:3], v[40:41]
	v_mul_f64 v[32:33], v[4:5], v[40:41]
	v_fma_f64 v[22:23], v[8:9], v[194:195], v[22:23]
	v_fma_f64 v[26:27], v[6:7], v[194:195], -v[26:27]
	ds_load_b128 v[6:9], v1 offset:1536
	v_add_f64 v[20:21], v[20:21], v[24:25]
	v_add_f64 v[18:19], v[18:19], v[28:29]
	v_fma_f64 v[30:31], v[4:5], v[38:39], v[30:31]
	v_fma_f64 v[32:33], v[2:3], v[38:39], -v[32:33]
	ds_load_b128 v[2:5], v1 offset:1552
	s_waitcnt vmcnt(2) lgkmcnt(1)
	v_mul_f64 v[24:25], v[6:7], v[192:193]
	v_mul_f64 v[28:29], v[8:9], v[192:193]
	v_add_f64 v[20:21], v[20:21], v[22:23]
	v_add_f64 v[18:19], v[18:19], v[26:27]
	s_waitcnt vmcnt(1) lgkmcnt(0)
	v_mul_f64 v[22:23], v[2:3], v[12:13]
	v_mul_f64 v[12:13], v[4:5], v[12:13]
	v_fma_f64 v[8:9], v[8:9], v[190:191], v[24:25]
	v_fma_f64 v[6:7], v[6:7], v[190:191], -v[28:29]
	v_add_f64 v[20:21], v[20:21], v[30:31]
	v_add_f64 v[18:19], v[18:19], v[32:33]
	v_fma_f64 v[4:5], v[4:5], v[10:11], v[22:23]
	v_fma_f64 v[2:3], v[2:3], v[10:11], -v[12:13]
	s_delay_alu instid0(VALU_DEP_4) | instskip(NEXT) | instid1(VALU_DEP_4)
	v_add_f64 v[8:9], v[20:21], v[8:9]
	v_add_f64 v[6:7], v[18:19], v[6:7]
	s_delay_alu instid0(VALU_DEP_2) | instskip(NEXT) | instid1(VALU_DEP_2)
	v_add_f64 v[4:5], v[8:9], v[4:5]
	v_add_f64 v[2:3], v[6:7], v[2:3]
	s_waitcnt vmcnt(0)
	s_delay_alu instid0(VALU_DEP_2) | instskip(NEXT) | instid1(VALU_DEP_2)
	v_add_f64 v[4:5], v[16:17], -v[4:5]
	v_add_f64 v[2:3], v[14:15], -v[2:3]
	scratch_store_b128 off, v[2:5], off offset:240
	v_cmpx_lt_u32_e32 14, v140
	s_cbranch_execz .LBB112_279
; %bb.278:
	scratch_load_b128 v[5:8], v175, off
	v_mov_b32_e32 v2, v1
	v_mov_b32_e32 v3, v1
	;; [unrolled: 1-line block ×3, first 2 shown]
	scratch_store_b128 off, v[1:4], off offset:224
	s_waitcnt vmcnt(0)
	ds_store_b128 v189, v[5:8]
.LBB112_279:
	s_or_b32 exec_lo, exec_lo, s2
	s_waitcnt lgkmcnt(0)
	s_waitcnt_vscnt null, 0x0
	s_barrier
	buffer_gl0_inv
	s_clause 0x7
	scratch_load_b128 v[2:5], off, off offset:240
	scratch_load_b128 v[6:9], off, off offset:256
	;; [unrolled: 1-line block ×8, first 2 shown]
	ds_load_b128 v[38:41], v1 offset:1024
	ds_load_b128 v[190:193], v1 offset:1040
	s_clause 0x1
	scratch_load_b128 v[34:37], off, off offset:368
	scratch_load_b128 v[194:197], off, off offset:384
	s_mov_b32 s2, exec_lo
	s_waitcnt vmcnt(9) lgkmcnt(1)
	v_mul_f64 v[198:199], v[40:41], v[4:5]
	v_mul_f64 v[4:5], v[38:39], v[4:5]
	s_waitcnt vmcnt(8) lgkmcnt(0)
	v_mul_f64 v[200:201], v[190:191], v[8:9]
	v_mul_f64 v[8:9], v[192:193], v[8:9]
	s_delay_alu instid0(VALU_DEP_4) | instskip(NEXT) | instid1(VALU_DEP_4)
	v_fma_f64 v[198:199], v[38:39], v[2:3], -v[198:199]
	v_fma_f64 v[202:203], v[40:41], v[2:3], v[4:5]
	ds_load_b128 v[2:5], v1 offset:1056
	scratch_load_b128 v[38:41], off, off offset:400
	v_fma_f64 v[200:201], v[192:193], v[6:7], v[200:201]
	v_fma_f64 v[206:207], v[190:191], v[6:7], -v[8:9]
	scratch_load_b128 v[190:193], off, off offset:416
	ds_load_b128 v[6:9], v1 offset:1072
	s_waitcnt vmcnt(9) lgkmcnt(1)
	v_mul_f64 v[204:205], v[2:3], v[12:13]
	v_mul_f64 v[12:13], v[4:5], v[12:13]
	s_waitcnt vmcnt(8) lgkmcnt(0)
	v_mul_f64 v[208:209], v[6:7], v[16:17]
	v_mul_f64 v[16:17], v[8:9], v[16:17]
	v_add_f64 v[198:199], v[198:199], 0
	v_add_f64 v[202:203], v[202:203], 0
	v_fma_f64 v[204:205], v[4:5], v[10:11], v[204:205]
	v_fma_f64 v[210:211], v[2:3], v[10:11], -v[12:13]
	ds_load_b128 v[2:5], v1 offset:1088
	scratch_load_b128 v[10:13], off, off offset:432
	v_add_f64 v[198:199], v[198:199], v[206:207]
	v_add_f64 v[200:201], v[202:203], v[200:201]
	v_fma_f64 v[206:207], v[8:9], v[14:15], v[208:209]
	v_fma_f64 v[208:209], v[6:7], v[14:15], -v[16:17]
	scratch_load_b128 v[14:17], off, off offset:448
	ds_load_b128 v[6:9], v1 offset:1104
	s_waitcnt vmcnt(9) lgkmcnt(1)
	v_mul_f64 v[202:203], v[2:3], v[20:21]
	v_mul_f64 v[20:21], v[4:5], v[20:21]
	v_add_f64 v[198:199], v[198:199], v[210:211]
	v_add_f64 v[200:201], v[200:201], v[204:205]
	s_waitcnt vmcnt(8) lgkmcnt(0)
	v_mul_f64 v[204:205], v[6:7], v[24:25]
	v_mul_f64 v[24:25], v[8:9], v[24:25]
	v_fma_f64 v[202:203], v[4:5], v[18:19], v[202:203]
	v_fma_f64 v[210:211], v[2:3], v[18:19], -v[20:21]
	ds_load_b128 v[2:5], v1 offset:1120
	scratch_load_b128 v[18:21], off, off offset:464
	v_add_f64 v[198:199], v[198:199], v[208:209]
	v_add_f64 v[200:201], v[200:201], v[206:207]
	v_fma_f64 v[204:205], v[8:9], v[22:23], v[204:205]
	v_fma_f64 v[208:209], v[6:7], v[22:23], -v[24:25]
	scratch_load_b128 v[22:25], off, off offset:480
	ds_load_b128 v[6:9], v1 offset:1136
	s_waitcnt vmcnt(9) lgkmcnt(1)
	v_mul_f64 v[206:207], v[2:3], v[28:29]
	v_mul_f64 v[28:29], v[4:5], v[28:29]
	v_add_f64 v[198:199], v[198:199], v[210:211]
	v_add_f64 v[200:201], v[200:201], v[202:203]
	s_waitcnt vmcnt(8) lgkmcnt(0)
	v_mul_f64 v[202:203], v[6:7], v[32:33]
	v_mul_f64 v[32:33], v[8:9], v[32:33]
	v_fma_f64 v[206:207], v[4:5], v[26:27], v[206:207]
	v_fma_f64 v[210:211], v[2:3], v[26:27], -v[28:29]
	ds_load_b128 v[2:5], v1 offset:1152
	scratch_load_b128 v[26:29], off, off offset:496
	v_add_f64 v[198:199], v[198:199], v[208:209]
	v_add_f64 v[200:201], v[200:201], v[204:205]
	v_fma_f64 v[202:203], v[8:9], v[30:31], v[202:203]
	v_fma_f64 v[208:209], v[6:7], v[30:31], -v[32:33]
	scratch_load_b128 v[30:33], off, off offset:512
	ds_load_b128 v[6:9], v1 offset:1168
	s_waitcnt vmcnt(9) lgkmcnt(1)
	v_mul_f64 v[204:205], v[2:3], v[36:37]
	v_mul_f64 v[36:37], v[4:5], v[36:37]
	v_add_f64 v[198:199], v[198:199], v[210:211]
	v_add_f64 v[200:201], v[200:201], v[206:207]
	s_waitcnt vmcnt(8) lgkmcnt(0)
	v_mul_f64 v[206:207], v[6:7], v[196:197]
	v_mul_f64 v[196:197], v[8:9], v[196:197]
	v_fma_f64 v[204:205], v[4:5], v[34:35], v[204:205]
	v_fma_f64 v[210:211], v[2:3], v[34:35], -v[36:37]
	ds_load_b128 v[2:5], v1 offset:1184
	scratch_load_b128 v[34:37], off, off offset:528
	v_add_f64 v[198:199], v[198:199], v[208:209]
	v_add_f64 v[200:201], v[200:201], v[202:203]
	v_fma_f64 v[206:207], v[8:9], v[194:195], v[206:207]
	v_fma_f64 v[208:209], v[6:7], v[194:195], -v[196:197]
	scratch_load_b128 v[194:197], off, off offset:544
	ds_load_b128 v[6:9], v1 offset:1200
	s_waitcnt vmcnt(9) lgkmcnt(1)
	v_mul_f64 v[202:203], v[2:3], v[40:41]
	v_mul_f64 v[40:41], v[4:5], v[40:41]
	v_add_f64 v[198:199], v[198:199], v[210:211]
	v_add_f64 v[200:201], v[200:201], v[204:205]
	s_waitcnt vmcnt(8) lgkmcnt(0)
	v_mul_f64 v[204:205], v[6:7], v[192:193]
	v_mul_f64 v[192:193], v[8:9], v[192:193]
	v_fma_f64 v[202:203], v[4:5], v[38:39], v[202:203]
	v_fma_f64 v[210:211], v[2:3], v[38:39], -v[40:41]
	ds_load_b128 v[2:5], v1 offset:1216
	scratch_load_b128 v[38:41], off, off offset:560
	v_add_f64 v[198:199], v[198:199], v[208:209]
	v_add_f64 v[200:201], v[200:201], v[206:207]
	v_fma_f64 v[204:205], v[8:9], v[190:191], v[204:205]
	v_fma_f64 v[208:209], v[6:7], v[190:191], -v[192:193]
	scratch_load_b128 v[190:193], off, off offset:576
	ds_load_b128 v[6:9], v1 offset:1232
	s_waitcnt vmcnt(9) lgkmcnt(1)
	v_mul_f64 v[206:207], v[2:3], v[12:13]
	v_mul_f64 v[12:13], v[4:5], v[12:13]
	v_add_f64 v[198:199], v[198:199], v[210:211]
	v_add_f64 v[200:201], v[200:201], v[202:203]
	s_waitcnt vmcnt(8) lgkmcnt(0)
	v_mul_f64 v[202:203], v[6:7], v[16:17]
	v_mul_f64 v[16:17], v[8:9], v[16:17]
	v_fma_f64 v[206:207], v[4:5], v[10:11], v[206:207]
	v_fma_f64 v[210:211], v[2:3], v[10:11], -v[12:13]
	ds_load_b128 v[2:5], v1 offset:1248
	scratch_load_b128 v[10:13], off, off offset:592
	v_add_f64 v[198:199], v[198:199], v[208:209]
	v_add_f64 v[200:201], v[200:201], v[204:205]
	v_fma_f64 v[202:203], v[8:9], v[14:15], v[202:203]
	v_fma_f64 v[208:209], v[6:7], v[14:15], -v[16:17]
	scratch_load_b128 v[14:17], off, off offset:608
	ds_load_b128 v[6:9], v1 offset:1264
	s_waitcnt vmcnt(9) lgkmcnt(1)
	v_mul_f64 v[204:205], v[2:3], v[20:21]
	v_mul_f64 v[20:21], v[4:5], v[20:21]
	v_add_f64 v[198:199], v[198:199], v[210:211]
	v_add_f64 v[200:201], v[200:201], v[206:207]
	s_waitcnt vmcnt(8) lgkmcnt(0)
	v_mul_f64 v[206:207], v[6:7], v[24:25]
	v_mul_f64 v[24:25], v[8:9], v[24:25]
	v_fma_f64 v[204:205], v[4:5], v[18:19], v[204:205]
	v_fma_f64 v[210:211], v[2:3], v[18:19], -v[20:21]
	ds_load_b128 v[2:5], v1 offset:1280
	scratch_load_b128 v[18:21], off, off offset:624
	v_add_f64 v[198:199], v[198:199], v[208:209]
	v_add_f64 v[200:201], v[200:201], v[202:203]
	v_fma_f64 v[206:207], v[8:9], v[22:23], v[206:207]
	v_fma_f64 v[208:209], v[6:7], v[22:23], -v[24:25]
	scratch_load_b128 v[22:25], off, off offset:640
	ds_load_b128 v[6:9], v1 offset:1296
	s_waitcnt vmcnt(9) lgkmcnt(1)
	v_mul_f64 v[202:203], v[2:3], v[28:29]
	v_mul_f64 v[28:29], v[4:5], v[28:29]
	v_add_f64 v[198:199], v[198:199], v[210:211]
	v_add_f64 v[200:201], v[200:201], v[204:205]
	s_waitcnt vmcnt(8) lgkmcnt(0)
	v_mul_f64 v[204:205], v[6:7], v[32:33]
	v_mul_f64 v[32:33], v[8:9], v[32:33]
	v_fma_f64 v[202:203], v[4:5], v[26:27], v[202:203]
	v_fma_f64 v[210:211], v[2:3], v[26:27], -v[28:29]
	ds_load_b128 v[2:5], v1 offset:1312
	scratch_load_b128 v[26:29], off, off offset:656
	v_add_f64 v[198:199], v[198:199], v[208:209]
	v_add_f64 v[200:201], v[200:201], v[206:207]
	v_fma_f64 v[204:205], v[8:9], v[30:31], v[204:205]
	v_fma_f64 v[208:209], v[6:7], v[30:31], -v[32:33]
	ds_load_b128 v[6:9], v1 offset:1328
	s_waitcnt vmcnt(8) lgkmcnt(1)
	v_mul_f64 v[206:207], v[2:3], v[36:37]
	v_mul_f64 v[36:37], v[4:5], v[36:37]
	scratch_load_b128 v[30:33], off, off offset:672
	v_add_f64 v[198:199], v[198:199], v[210:211]
	v_add_f64 v[200:201], v[200:201], v[202:203]
	s_waitcnt vmcnt(8) lgkmcnt(0)
	v_mul_f64 v[202:203], v[6:7], v[196:197]
	v_mul_f64 v[196:197], v[8:9], v[196:197]
	v_fma_f64 v[206:207], v[4:5], v[34:35], v[206:207]
	v_fma_f64 v[210:211], v[2:3], v[34:35], -v[36:37]
	ds_load_b128 v[2:5], v1 offset:1344
	scratch_load_b128 v[34:37], off, off offset:688
	v_add_f64 v[198:199], v[198:199], v[208:209]
	v_add_f64 v[200:201], v[200:201], v[204:205]
	v_fma_f64 v[202:203], v[8:9], v[194:195], v[202:203]
	v_fma_f64 v[208:209], v[6:7], v[194:195], -v[196:197]
	ds_load_b128 v[6:9], v1 offset:1360
	s_waitcnt vmcnt(8) lgkmcnt(1)
	v_mul_f64 v[204:205], v[2:3], v[40:41]
	v_mul_f64 v[40:41], v[4:5], v[40:41]
	scratch_load_b128 v[194:197], off, off offset:704
	v_add_f64 v[198:199], v[198:199], v[210:211]
	v_add_f64 v[200:201], v[200:201], v[206:207]
	s_waitcnt vmcnt(8) lgkmcnt(0)
	v_mul_f64 v[206:207], v[6:7], v[192:193]
	v_mul_f64 v[192:193], v[8:9], v[192:193]
	v_fma_f64 v[204:205], v[4:5], v[38:39], v[204:205]
	v_fma_f64 v[210:211], v[2:3], v[38:39], -v[40:41]
	scratch_load_b128 v[38:41], off, off offset:720
	ds_load_b128 v[2:5], v1 offset:1376
	v_add_f64 v[198:199], v[198:199], v[208:209]
	v_add_f64 v[200:201], v[200:201], v[202:203]
	v_fma_f64 v[206:207], v[8:9], v[190:191], v[206:207]
	v_fma_f64 v[208:209], v[6:7], v[190:191], -v[192:193]
	ds_load_b128 v[6:9], v1 offset:1392
	s_waitcnt vmcnt(8) lgkmcnt(1)
	v_mul_f64 v[202:203], v[2:3], v[12:13]
	v_mul_f64 v[12:13], v[4:5], v[12:13]
	scratch_load_b128 v[190:193], off, off offset:736
	v_add_f64 v[198:199], v[198:199], v[210:211]
	v_add_f64 v[200:201], v[200:201], v[204:205]
	s_waitcnt vmcnt(8) lgkmcnt(0)
	v_mul_f64 v[204:205], v[6:7], v[16:17]
	v_mul_f64 v[16:17], v[8:9], v[16:17]
	v_fma_f64 v[202:203], v[4:5], v[10:11], v[202:203]
	v_fma_f64 v[210:211], v[2:3], v[10:11], -v[12:13]
	scratch_load_b128 v[10:13], off, off offset:752
	ds_load_b128 v[2:5], v1 offset:1408
	v_add_f64 v[198:199], v[198:199], v[208:209]
	v_add_f64 v[200:201], v[200:201], v[206:207]
	v_fma_f64 v[204:205], v[8:9], v[14:15], v[204:205]
	v_fma_f64 v[208:209], v[6:7], v[14:15], -v[16:17]
	ds_load_b128 v[6:9], v1 offset:1424
	s_waitcnt vmcnt(8) lgkmcnt(1)
	v_mul_f64 v[206:207], v[2:3], v[20:21]
	v_mul_f64 v[20:21], v[4:5], v[20:21]
	scratch_load_b128 v[14:17], off, off offset:768
	v_add_f64 v[198:199], v[198:199], v[210:211]
	v_add_f64 v[200:201], v[200:201], v[202:203]
	s_waitcnt vmcnt(8) lgkmcnt(0)
	v_mul_f64 v[202:203], v[6:7], v[24:25]
	v_mul_f64 v[24:25], v[8:9], v[24:25]
	v_fma_f64 v[206:207], v[4:5], v[18:19], v[206:207]
	v_fma_f64 v[18:19], v[2:3], v[18:19], -v[20:21]
	ds_load_b128 v[2:5], v1 offset:1440
	v_add_f64 v[20:21], v[198:199], v[208:209]
	v_add_f64 v[198:199], v[200:201], v[204:205]
	v_fma_f64 v[202:203], v[8:9], v[22:23], v[202:203]
	v_fma_f64 v[22:23], v[6:7], v[22:23], -v[24:25]
	ds_load_b128 v[6:9], v1 offset:1456
	s_waitcnt vmcnt(7) lgkmcnt(1)
	v_mul_f64 v[200:201], v[2:3], v[28:29]
	v_mul_f64 v[28:29], v[4:5], v[28:29]
	v_add_f64 v[18:19], v[20:21], v[18:19]
	v_add_f64 v[20:21], v[198:199], v[206:207]
	s_delay_alu instid0(VALU_DEP_4) | instskip(NEXT) | instid1(VALU_DEP_4)
	v_fma_f64 v[198:199], v[4:5], v[26:27], v[200:201]
	v_fma_f64 v[26:27], v[2:3], v[26:27], -v[28:29]
	ds_load_b128 v[2:5], v1 offset:1472
	v_add_f64 v[22:23], v[18:19], v[22:23]
	v_add_f64 v[28:29], v[20:21], v[202:203]
	scratch_load_b128 v[18:21], off, off offset:224
	s_waitcnt vmcnt(7) lgkmcnt(1)
	v_mul_f64 v[24:25], v[6:7], v[32:33]
	v_mul_f64 v[32:33], v[8:9], v[32:33]
	v_add_f64 v[22:23], v[22:23], v[26:27]
	v_add_f64 v[26:27], v[28:29], v[198:199]
	s_delay_alu instid0(VALU_DEP_4) | instskip(NEXT) | instid1(VALU_DEP_4)
	v_fma_f64 v[24:25], v[8:9], v[30:31], v[24:25]
	v_fma_f64 v[30:31], v[6:7], v[30:31], -v[32:33]
	ds_load_b128 v[6:9], v1 offset:1488
	s_waitcnt vmcnt(6) lgkmcnt(1)
	v_mul_f64 v[200:201], v[2:3], v[36:37]
	v_mul_f64 v[36:37], v[4:5], v[36:37]
	s_waitcnt vmcnt(5) lgkmcnt(0)
	v_mul_f64 v[28:29], v[6:7], v[196:197]
	v_mul_f64 v[32:33], v[8:9], v[196:197]
	v_add_f64 v[24:25], v[26:27], v[24:25]
	v_add_f64 v[22:23], v[22:23], v[30:31]
	v_fma_f64 v[196:197], v[4:5], v[34:35], v[200:201]
	v_fma_f64 v[34:35], v[2:3], v[34:35], -v[36:37]
	ds_load_b128 v[2:5], v1 offset:1504
	v_fma_f64 v[28:29], v[8:9], v[194:195], v[28:29]
	v_fma_f64 v[32:33], v[6:7], v[194:195], -v[32:33]
	ds_load_b128 v[6:9], v1 offset:1520
	s_waitcnt vmcnt(4) lgkmcnt(1)
	v_mul_f64 v[26:27], v[2:3], v[40:41]
	v_mul_f64 v[30:31], v[4:5], v[40:41]
	v_add_f64 v[24:25], v[24:25], v[196:197]
	v_add_f64 v[22:23], v[22:23], v[34:35]
	s_waitcnt vmcnt(3) lgkmcnt(0)
	v_mul_f64 v[34:35], v[6:7], v[192:193]
	v_mul_f64 v[36:37], v[8:9], v[192:193]
	v_fma_f64 v[26:27], v[4:5], v[38:39], v[26:27]
	v_fma_f64 v[30:31], v[2:3], v[38:39], -v[30:31]
	ds_load_b128 v[2:5], v1 offset:1536
	v_add_f64 v[24:25], v[24:25], v[28:29]
	v_add_f64 v[22:23], v[22:23], v[32:33]
	v_fma_f64 v[32:33], v[8:9], v[190:191], v[34:35]
	v_fma_f64 v[34:35], v[6:7], v[190:191], -v[36:37]
	ds_load_b128 v[6:9], v1 offset:1552
	s_waitcnt vmcnt(2) lgkmcnt(1)
	v_mul_f64 v[28:29], v[2:3], v[12:13]
	v_mul_f64 v[12:13], v[4:5], v[12:13]
	v_add_f64 v[24:25], v[24:25], v[26:27]
	v_add_f64 v[22:23], v[22:23], v[30:31]
	s_waitcnt vmcnt(1) lgkmcnt(0)
	v_mul_f64 v[26:27], v[6:7], v[16:17]
	v_mul_f64 v[16:17], v[8:9], v[16:17]
	v_fma_f64 v[4:5], v[4:5], v[10:11], v[28:29]
	v_fma_f64 v[1:2], v[2:3], v[10:11], -v[12:13]
	v_add_f64 v[12:13], v[24:25], v[32:33]
	v_add_f64 v[10:11], v[22:23], v[34:35]
	v_fma_f64 v[8:9], v[8:9], v[14:15], v[26:27]
	v_fma_f64 v[6:7], v[6:7], v[14:15], -v[16:17]
	s_delay_alu instid0(VALU_DEP_4) | instskip(NEXT) | instid1(VALU_DEP_4)
	v_add_f64 v[3:4], v[12:13], v[4:5]
	v_add_f64 v[1:2], v[10:11], v[1:2]
	s_delay_alu instid0(VALU_DEP_2) | instskip(NEXT) | instid1(VALU_DEP_2)
	v_add_f64 v[3:4], v[3:4], v[8:9]
	v_add_f64 v[1:2], v[1:2], v[6:7]
	s_waitcnt vmcnt(0)
	s_delay_alu instid0(VALU_DEP_2) | instskip(NEXT) | instid1(VALU_DEP_2)
	v_add_f64 v[3:4], v[20:21], -v[3:4]
	v_add_f64 v[1:2], v[18:19], -v[1:2]
	scratch_store_b128 off, v[1:4], off offset:224
	v_cmpx_lt_u32_e32 13, v140
	s_cbranch_execz .LBB112_281
; %bb.280:
	scratch_load_b128 v[1:4], v176, off
	v_mov_b32_e32 v5, 0
	s_delay_alu instid0(VALU_DEP_1)
	v_mov_b32_e32 v6, v5
	v_mov_b32_e32 v7, v5
	;; [unrolled: 1-line block ×3, first 2 shown]
	scratch_store_b128 off, v[5:8], off offset:208
	s_waitcnt vmcnt(0)
	ds_store_b128 v189, v[1:4]
.LBB112_281:
	s_or_b32 exec_lo, exec_lo, s2
	s_waitcnt lgkmcnt(0)
	s_waitcnt_vscnt null, 0x0
	s_barrier
	buffer_gl0_inv
	s_clause 0x7
	scratch_load_b128 v[2:5], off, off offset:224
	scratch_load_b128 v[6:9], off, off offset:240
	;; [unrolled: 1-line block ×8, first 2 shown]
	v_mov_b32_e32 v1, 0
	s_clause 0x1
	scratch_load_b128 v[34:37], off, off offset:352
	scratch_load_b128 v[194:197], off, off offset:368
	s_mov_b32 s2, exec_lo
	ds_load_b128 v[38:41], v1 offset:1008
	ds_load_b128 v[190:193], v1 offset:1024
	s_waitcnt vmcnt(9) lgkmcnt(1)
	v_mul_f64 v[198:199], v[40:41], v[4:5]
	v_mul_f64 v[4:5], v[38:39], v[4:5]
	s_waitcnt vmcnt(8) lgkmcnt(0)
	v_mul_f64 v[200:201], v[190:191], v[8:9]
	v_mul_f64 v[8:9], v[192:193], v[8:9]
	s_delay_alu instid0(VALU_DEP_4) | instskip(NEXT) | instid1(VALU_DEP_4)
	v_fma_f64 v[198:199], v[38:39], v[2:3], -v[198:199]
	v_fma_f64 v[202:203], v[40:41], v[2:3], v[4:5]
	ds_load_b128 v[2:5], v1 offset:1040
	scratch_load_b128 v[38:41], off, off offset:384
	v_fma_f64 v[200:201], v[192:193], v[6:7], v[200:201]
	v_fma_f64 v[206:207], v[190:191], v[6:7], -v[8:9]
	scratch_load_b128 v[190:193], off, off offset:400
	ds_load_b128 v[6:9], v1 offset:1056
	s_waitcnt vmcnt(9) lgkmcnt(1)
	v_mul_f64 v[204:205], v[2:3], v[12:13]
	v_mul_f64 v[12:13], v[4:5], v[12:13]
	s_waitcnt vmcnt(8) lgkmcnt(0)
	v_mul_f64 v[208:209], v[6:7], v[16:17]
	v_mul_f64 v[16:17], v[8:9], v[16:17]
	v_add_f64 v[198:199], v[198:199], 0
	v_add_f64 v[202:203], v[202:203], 0
	v_fma_f64 v[204:205], v[4:5], v[10:11], v[204:205]
	v_fma_f64 v[210:211], v[2:3], v[10:11], -v[12:13]
	ds_load_b128 v[2:5], v1 offset:1072
	scratch_load_b128 v[10:13], off, off offset:416
	v_add_f64 v[198:199], v[198:199], v[206:207]
	v_add_f64 v[200:201], v[202:203], v[200:201]
	v_fma_f64 v[206:207], v[8:9], v[14:15], v[208:209]
	v_fma_f64 v[208:209], v[6:7], v[14:15], -v[16:17]
	scratch_load_b128 v[14:17], off, off offset:432
	ds_load_b128 v[6:9], v1 offset:1088
	s_waitcnt vmcnt(9) lgkmcnt(1)
	v_mul_f64 v[202:203], v[2:3], v[20:21]
	v_mul_f64 v[20:21], v[4:5], v[20:21]
	v_add_f64 v[198:199], v[198:199], v[210:211]
	v_add_f64 v[200:201], v[200:201], v[204:205]
	s_waitcnt vmcnt(8) lgkmcnt(0)
	v_mul_f64 v[204:205], v[6:7], v[24:25]
	v_mul_f64 v[24:25], v[8:9], v[24:25]
	v_fma_f64 v[202:203], v[4:5], v[18:19], v[202:203]
	v_fma_f64 v[210:211], v[2:3], v[18:19], -v[20:21]
	ds_load_b128 v[2:5], v1 offset:1104
	scratch_load_b128 v[18:21], off, off offset:448
	v_add_f64 v[198:199], v[198:199], v[208:209]
	v_add_f64 v[200:201], v[200:201], v[206:207]
	v_fma_f64 v[204:205], v[8:9], v[22:23], v[204:205]
	v_fma_f64 v[208:209], v[6:7], v[22:23], -v[24:25]
	scratch_load_b128 v[22:25], off, off offset:464
	ds_load_b128 v[6:9], v1 offset:1120
	s_waitcnt vmcnt(9) lgkmcnt(1)
	v_mul_f64 v[206:207], v[2:3], v[28:29]
	v_mul_f64 v[28:29], v[4:5], v[28:29]
	v_add_f64 v[198:199], v[198:199], v[210:211]
	v_add_f64 v[200:201], v[200:201], v[202:203]
	s_waitcnt vmcnt(8) lgkmcnt(0)
	v_mul_f64 v[202:203], v[6:7], v[32:33]
	v_mul_f64 v[32:33], v[8:9], v[32:33]
	v_fma_f64 v[206:207], v[4:5], v[26:27], v[206:207]
	v_fma_f64 v[210:211], v[2:3], v[26:27], -v[28:29]
	ds_load_b128 v[2:5], v1 offset:1136
	scratch_load_b128 v[26:29], off, off offset:480
	v_add_f64 v[198:199], v[198:199], v[208:209]
	v_add_f64 v[200:201], v[200:201], v[204:205]
	v_fma_f64 v[202:203], v[8:9], v[30:31], v[202:203]
	v_fma_f64 v[208:209], v[6:7], v[30:31], -v[32:33]
	scratch_load_b128 v[30:33], off, off offset:496
	ds_load_b128 v[6:9], v1 offset:1152
	s_waitcnt vmcnt(9) lgkmcnt(1)
	v_mul_f64 v[204:205], v[2:3], v[36:37]
	v_mul_f64 v[36:37], v[4:5], v[36:37]
	v_add_f64 v[198:199], v[198:199], v[210:211]
	v_add_f64 v[200:201], v[200:201], v[206:207]
	s_waitcnt vmcnt(8) lgkmcnt(0)
	v_mul_f64 v[206:207], v[6:7], v[196:197]
	v_mul_f64 v[196:197], v[8:9], v[196:197]
	v_fma_f64 v[204:205], v[4:5], v[34:35], v[204:205]
	v_fma_f64 v[210:211], v[2:3], v[34:35], -v[36:37]
	ds_load_b128 v[2:5], v1 offset:1168
	scratch_load_b128 v[34:37], off, off offset:512
	v_add_f64 v[198:199], v[198:199], v[208:209]
	v_add_f64 v[200:201], v[200:201], v[202:203]
	v_fma_f64 v[206:207], v[8:9], v[194:195], v[206:207]
	v_fma_f64 v[208:209], v[6:7], v[194:195], -v[196:197]
	scratch_load_b128 v[194:197], off, off offset:528
	ds_load_b128 v[6:9], v1 offset:1184
	s_waitcnt vmcnt(9) lgkmcnt(1)
	v_mul_f64 v[202:203], v[2:3], v[40:41]
	v_mul_f64 v[40:41], v[4:5], v[40:41]
	v_add_f64 v[198:199], v[198:199], v[210:211]
	v_add_f64 v[200:201], v[200:201], v[204:205]
	s_waitcnt vmcnt(8) lgkmcnt(0)
	v_mul_f64 v[204:205], v[6:7], v[192:193]
	v_mul_f64 v[192:193], v[8:9], v[192:193]
	v_fma_f64 v[202:203], v[4:5], v[38:39], v[202:203]
	v_fma_f64 v[210:211], v[2:3], v[38:39], -v[40:41]
	ds_load_b128 v[2:5], v1 offset:1200
	scratch_load_b128 v[38:41], off, off offset:544
	v_add_f64 v[198:199], v[198:199], v[208:209]
	v_add_f64 v[200:201], v[200:201], v[206:207]
	v_fma_f64 v[204:205], v[8:9], v[190:191], v[204:205]
	v_fma_f64 v[208:209], v[6:7], v[190:191], -v[192:193]
	scratch_load_b128 v[190:193], off, off offset:560
	ds_load_b128 v[6:9], v1 offset:1216
	s_waitcnt vmcnt(9) lgkmcnt(1)
	v_mul_f64 v[206:207], v[2:3], v[12:13]
	v_mul_f64 v[12:13], v[4:5], v[12:13]
	v_add_f64 v[198:199], v[198:199], v[210:211]
	v_add_f64 v[200:201], v[200:201], v[202:203]
	s_waitcnt vmcnt(8) lgkmcnt(0)
	v_mul_f64 v[202:203], v[6:7], v[16:17]
	v_mul_f64 v[16:17], v[8:9], v[16:17]
	v_fma_f64 v[206:207], v[4:5], v[10:11], v[206:207]
	v_fma_f64 v[210:211], v[2:3], v[10:11], -v[12:13]
	ds_load_b128 v[2:5], v1 offset:1232
	scratch_load_b128 v[10:13], off, off offset:576
	v_add_f64 v[198:199], v[198:199], v[208:209]
	v_add_f64 v[200:201], v[200:201], v[204:205]
	v_fma_f64 v[202:203], v[8:9], v[14:15], v[202:203]
	v_fma_f64 v[208:209], v[6:7], v[14:15], -v[16:17]
	scratch_load_b128 v[14:17], off, off offset:592
	ds_load_b128 v[6:9], v1 offset:1248
	s_waitcnt vmcnt(9) lgkmcnt(1)
	v_mul_f64 v[204:205], v[2:3], v[20:21]
	v_mul_f64 v[20:21], v[4:5], v[20:21]
	v_add_f64 v[198:199], v[198:199], v[210:211]
	v_add_f64 v[200:201], v[200:201], v[206:207]
	s_waitcnt vmcnt(8) lgkmcnt(0)
	v_mul_f64 v[206:207], v[6:7], v[24:25]
	v_mul_f64 v[24:25], v[8:9], v[24:25]
	v_fma_f64 v[204:205], v[4:5], v[18:19], v[204:205]
	v_fma_f64 v[210:211], v[2:3], v[18:19], -v[20:21]
	ds_load_b128 v[2:5], v1 offset:1264
	scratch_load_b128 v[18:21], off, off offset:608
	v_add_f64 v[198:199], v[198:199], v[208:209]
	v_add_f64 v[200:201], v[200:201], v[202:203]
	v_fma_f64 v[206:207], v[8:9], v[22:23], v[206:207]
	v_fma_f64 v[208:209], v[6:7], v[22:23], -v[24:25]
	scratch_load_b128 v[22:25], off, off offset:624
	ds_load_b128 v[6:9], v1 offset:1280
	s_waitcnt vmcnt(9) lgkmcnt(1)
	v_mul_f64 v[202:203], v[2:3], v[28:29]
	v_mul_f64 v[28:29], v[4:5], v[28:29]
	v_add_f64 v[198:199], v[198:199], v[210:211]
	v_add_f64 v[200:201], v[200:201], v[204:205]
	s_waitcnt vmcnt(8) lgkmcnt(0)
	v_mul_f64 v[204:205], v[6:7], v[32:33]
	v_mul_f64 v[32:33], v[8:9], v[32:33]
	v_fma_f64 v[202:203], v[4:5], v[26:27], v[202:203]
	v_fma_f64 v[210:211], v[2:3], v[26:27], -v[28:29]
	ds_load_b128 v[2:5], v1 offset:1296
	scratch_load_b128 v[26:29], off, off offset:640
	v_add_f64 v[198:199], v[198:199], v[208:209]
	v_add_f64 v[200:201], v[200:201], v[206:207]
	v_fma_f64 v[204:205], v[8:9], v[30:31], v[204:205]
	v_fma_f64 v[208:209], v[6:7], v[30:31], -v[32:33]
	scratch_load_b128 v[30:33], off, off offset:656
	ds_load_b128 v[6:9], v1 offset:1312
	s_waitcnt vmcnt(9) lgkmcnt(1)
	v_mul_f64 v[206:207], v[2:3], v[36:37]
	v_mul_f64 v[36:37], v[4:5], v[36:37]
	v_add_f64 v[198:199], v[198:199], v[210:211]
	v_add_f64 v[200:201], v[200:201], v[202:203]
	s_waitcnt vmcnt(8) lgkmcnt(0)
	v_mul_f64 v[202:203], v[6:7], v[196:197]
	v_mul_f64 v[196:197], v[8:9], v[196:197]
	v_fma_f64 v[206:207], v[4:5], v[34:35], v[206:207]
	v_fma_f64 v[210:211], v[2:3], v[34:35], -v[36:37]
	ds_load_b128 v[2:5], v1 offset:1328
	scratch_load_b128 v[34:37], off, off offset:672
	v_add_f64 v[198:199], v[198:199], v[208:209]
	v_add_f64 v[200:201], v[200:201], v[204:205]
	v_fma_f64 v[202:203], v[8:9], v[194:195], v[202:203]
	v_fma_f64 v[208:209], v[6:7], v[194:195], -v[196:197]
	ds_load_b128 v[6:9], v1 offset:1344
	s_waitcnt vmcnt(8) lgkmcnt(1)
	v_mul_f64 v[204:205], v[2:3], v[40:41]
	v_mul_f64 v[40:41], v[4:5], v[40:41]
	scratch_load_b128 v[194:197], off, off offset:688
	v_add_f64 v[198:199], v[198:199], v[210:211]
	v_add_f64 v[200:201], v[200:201], v[206:207]
	s_waitcnt vmcnt(8) lgkmcnt(0)
	v_mul_f64 v[206:207], v[6:7], v[192:193]
	v_mul_f64 v[192:193], v[8:9], v[192:193]
	v_fma_f64 v[204:205], v[4:5], v[38:39], v[204:205]
	v_fma_f64 v[210:211], v[2:3], v[38:39], -v[40:41]
	scratch_load_b128 v[38:41], off, off offset:704
	ds_load_b128 v[2:5], v1 offset:1360
	v_add_f64 v[198:199], v[198:199], v[208:209]
	v_add_f64 v[200:201], v[200:201], v[202:203]
	v_fma_f64 v[206:207], v[8:9], v[190:191], v[206:207]
	v_fma_f64 v[208:209], v[6:7], v[190:191], -v[192:193]
	ds_load_b128 v[6:9], v1 offset:1376
	s_waitcnt vmcnt(8) lgkmcnt(1)
	v_mul_f64 v[202:203], v[2:3], v[12:13]
	v_mul_f64 v[12:13], v[4:5], v[12:13]
	scratch_load_b128 v[190:193], off, off offset:720
	v_add_f64 v[198:199], v[198:199], v[210:211]
	v_add_f64 v[200:201], v[200:201], v[204:205]
	s_waitcnt vmcnt(8) lgkmcnt(0)
	v_mul_f64 v[204:205], v[6:7], v[16:17]
	v_mul_f64 v[16:17], v[8:9], v[16:17]
	v_fma_f64 v[202:203], v[4:5], v[10:11], v[202:203]
	v_fma_f64 v[210:211], v[2:3], v[10:11], -v[12:13]
	scratch_load_b128 v[10:13], off, off offset:736
	ds_load_b128 v[2:5], v1 offset:1392
	;; [unrolled: 18-line block ×3, first 2 shown]
	v_add_f64 v[198:199], v[198:199], v[208:209]
	v_add_f64 v[200:201], v[200:201], v[204:205]
	v_fma_f64 v[202:203], v[8:9], v[22:23], v[202:203]
	v_fma_f64 v[22:23], v[6:7], v[22:23], -v[24:25]
	ds_load_b128 v[6:9], v1 offset:1440
	s_waitcnt vmcnt(8) lgkmcnt(1)
	v_mul_f64 v[204:205], v[2:3], v[28:29]
	v_mul_f64 v[28:29], v[4:5], v[28:29]
	v_add_f64 v[24:25], v[198:199], v[210:211]
	v_add_f64 v[198:199], v[200:201], v[206:207]
	s_waitcnt vmcnt(7) lgkmcnt(0)
	v_mul_f64 v[200:201], v[6:7], v[32:33]
	v_mul_f64 v[32:33], v[8:9], v[32:33]
	v_fma_f64 v[204:205], v[4:5], v[26:27], v[204:205]
	v_fma_f64 v[26:27], v[2:3], v[26:27], -v[28:29]
	ds_load_b128 v[2:5], v1 offset:1456
	v_add_f64 v[22:23], v[24:25], v[22:23]
	v_add_f64 v[24:25], v[198:199], v[202:203]
	v_fma_f64 v[198:199], v[8:9], v[30:31], v[200:201]
	v_fma_f64 v[30:31], v[6:7], v[30:31], -v[32:33]
	ds_load_b128 v[6:9], v1 offset:1472
	s_waitcnt vmcnt(5) lgkmcnt(0)
	v_mul_f64 v[200:201], v[6:7], v[196:197]
	v_mul_f64 v[196:197], v[8:9], v[196:197]
	v_add_f64 v[26:27], v[22:23], v[26:27]
	v_add_f64 v[32:33], v[24:25], v[204:205]
	scratch_load_b128 v[22:25], off, off offset:208
	v_mul_f64 v[28:29], v[2:3], v[36:37]
	v_mul_f64 v[36:37], v[4:5], v[36:37]
	v_add_f64 v[26:27], v[26:27], v[30:31]
	v_add_f64 v[30:31], v[32:33], v[198:199]
	s_delay_alu instid0(VALU_DEP_4) | instskip(NEXT) | instid1(VALU_DEP_4)
	v_fma_f64 v[28:29], v[4:5], v[34:35], v[28:29]
	v_fma_f64 v[34:35], v[2:3], v[34:35], -v[36:37]
	ds_load_b128 v[2:5], v1 offset:1488
	s_waitcnt vmcnt(5) lgkmcnt(0)
	v_mul_f64 v[32:33], v[2:3], v[40:41]
	v_mul_f64 v[36:37], v[4:5], v[40:41]
	v_fma_f64 v[40:41], v[8:9], v[194:195], v[200:201]
	v_fma_f64 v[194:195], v[6:7], v[194:195], -v[196:197]
	ds_load_b128 v[6:9], v1 offset:1504
	v_add_f64 v[28:29], v[30:31], v[28:29]
	v_add_f64 v[26:27], v[26:27], v[34:35]
	v_fma_f64 v[32:33], v[4:5], v[38:39], v[32:33]
	v_fma_f64 v[36:37], v[2:3], v[38:39], -v[36:37]
	ds_load_b128 v[2:5], v1 offset:1520
	s_waitcnt vmcnt(4) lgkmcnt(1)
	v_mul_f64 v[30:31], v[6:7], v[192:193]
	v_mul_f64 v[34:35], v[8:9], v[192:193]
	v_add_f64 v[28:29], v[28:29], v[40:41]
	v_add_f64 v[26:27], v[26:27], v[194:195]
	s_waitcnt vmcnt(3) lgkmcnt(0)
	v_mul_f64 v[38:39], v[2:3], v[12:13]
	v_mul_f64 v[12:13], v[4:5], v[12:13]
	v_fma_f64 v[30:31], v[8:9], v[190:191], v[30:31]
	v_fma_f64 v[34:35], v[6:7], v[190:191], -v[34:35]
	ds_load_b128 v[6:9], v1 offset:1536
	v_add_f64 v[28:29], v[28:29], v[32:33]
	v_add_f64 v[26:27], v[26:27], v[36:37]
	v_fma_f64 v[36:37], v[4:5], v[10:11], v[38:39]
	v_fma_f64 v[10:11], v[2:3], v[10:11], -v[12:13]
	ds_load_b128 v[2:5], v1 offset:1552
	s_waitcnt vmcnt(2) lgkmcnt(1)
	v_mul_f64 v[32:33], v[6:7], v[16:17]
	v_mul_f64 v[16:17], v[8:9], v[16:17]
	v_add_f64 v[12:13], v[26:27], v[34:35]
	v_add_f64 v[26:27], v[28:29], v[30:31]
	s_waitcnt vmcnt(1) lgkmcnt(0)
	v_mul_f64 v[28:29], v[2:3], v[20:21]
	v_mul_f64 v[20:21], v[4:5], v[20:21]
	v_fma_f64 v[8:9], v[8:9], v[14:15], v[32:33]
	v_fma_f64 v[6:7], v[6:7], v[14:15], -v[16:17]
	v_add_f64 v[10:11], v[12:13], v[10:11]
	v_add_f64 v[12:13], v[26:27], v[36:37]
	v_fma_f64 v[4:5], v[4:5], v[18:19], v[28:29]
	v_fma_f64 v[2:3], v[2:3], v[18:19], -v[20:21]
	s_delay_alu instid0(VALU_DEP_4) | instskip(NEXT) | instid1(VALU_DEP_4)
	v_add_f64 v[6:7], v[10:11], v[6:7]
	v_add_f64 v[8:9], v[12:13], v[8:9]
	s_delay_alu instid0(VALU_DEP_2) | instskip(NEXT) | instid1(VALU_DEP_2)
	v_add_f64 v[2:3], v[6:7], v[2:3]
	v_add_f64 v[4:5], v[8:9], v[4:5]
	s_waitcnt vmcnt(0)
	s_delay_alu instid0(VALU_DEP_2) | instskip(NEXT) | instid1(VALU_DEP_2)
	v_add_f64 v[2:3], v[22:23], -v[2:3]
	v_add_f64 v[4:5], v[24:25], -v[4:5]
	scratch_store_b128 off, v[2:5], off offset:208
	v_cmpx_lt_u32_e32 12, v140
	s_cbranch_execz .LBB112_283
; %bb.282:
	scratch_load_b128 v[5:8], v177, off
	v_mov_b32_e32 v2, v1
	v_mov_b32_e32 v3, v1
	v_mov_b32_e32 v4, v1
	scratch_store_b128 off, v[1:4], off offset:192
	s_waitcnt vmcnt(0)
	ds_store_b128 v189, v[5:8]
.LBB112_283:
	s_or_b32 exec_lo, exec_lo, s2
	s_waitcnt lgkmcnt(0)
	s_waitcnt_vscnt null, 0x0
	s_barrier
	buffer_gl0_inv
	s_clause 0x7
	scratch_load_b128 v[2:5], off, off offset:208
	scratch_load_b128 v[6:9], off, off offset:224
	scratch_load_b128 v[10:13], off, off offset:240
	scratch_load_b128 v[14:17], off, off offset:256
	scratch_load_b128 v[18:21], off, off offset:272
	scratch_load_b128 v[22:25], off, off offset:288
	scratch_load_b128 v[26:29], off, off offset:304
	scratch_load_b128 v[30:33], off, off offset:320
	ds_load_b128 v[38:41], v1 offset:992
	ds_load_b128 v[190:193], v1 offset:1008
	s_clause 0x1
	scratch_load_b128 v[34:37], off, off offset:336
	scratch_load_b128 v[194:197], off, off offset:352
	s_mov_b32 s2, exec_lo
	s_waitcnt vmcnt(9) lgkmcnt(1)
	v_mul_f64 v[198:199], v[40:41], v[4:5]
	v_mul_f64 v[4:5], v[38:39], v[4:5]
	s_waitcnt vmcnt(8) lgkmcnt(0)
	v_mul_f64 v[200:201], v[190:191], v[8:9]
	v_mul_f64 v[8:9], v[192:193], v[8:9]
	s_delay_alu instid0(VALU_DEP_4) | instskip(NEXT) | instid1(VALU_DEP_4)
	v_fma_f64 v[198:199], v[38:39], v[2:3], -v[198:199]
	v_fma_f64 v[202:203], v[40:41], v[2:3], v[4:5]
	ds_load_b128 v[2:5], v1 offset:1024
	scratch_load_b128 v[38:41], off, off offset:368
	v_fma_f64 v[200:201], v[192:193], v[6:7], v[200:201]
	v_fma_f64 v[206:207], v[190:191], v[6:7], -v[8:9]
	scratch_load_b128 v[190:193], off, off offset:384
	ds_load_b128 v[6:9], v1 offset:1040
	s_waitcnt vmcnt(9) lgkmcnt(1)
	v_mul_f64 v[204:205], v[2:3], v[12:13]
	v_mul_f64 v[12:13], v[4:5], v[12:13]
	s_waitcnt vmcnt(8) lgkmcnt(0)
	v_mul_f64 v[208:209], v[6:7], v[16:17]
	v_mul_f64 v[16:17], v[8:9], v[16:17]
	v_add_f64 v[198:199], v[198:199], 0
	v_add_f64 v[202:203], v[202:203], 0
	v_fma_f64 v[204:205], v[4:5], v[10:11], v[204:205]
	v_fma_f64 v[210:211], v[2:3], v[10:11], -v[12:13]
	ds_load_b128 v[2:5], v1 offset:1056
	scratch_load_b128 v[10:13], off, off offset:400
	v_add_f64 v[198:199], v[198:199], v[206:207]
	v_add_f64 v[200:201], v[202:203], v[200:201]
	v_fma_f64 v[206:207], v[8:9], v[14:15], v[208:209]
	v_fma_f64 v[208:209], v[6:7], v[14:15], -v[16:17]
	scratch_load_b128 v[14:17], off, off offset:416
	ds_load_b128 v[6:9], v1 offset:1072
	s_waitcnt vmcnt(9) lgkmcnt(1)
	v_mul_f64 v[202:203], v[2:3], v[20:21]
	v_mul_f64 v[20:21], v[4:5], v[20:21]
	v_add_f64 v[198:199], v[198:199], v[210:211]
	v_add_f64 v[200:201], v[200:201], v[204:205]
	s_waitcnt vmcnt(8) lgkmcnt(0)
	v_mul_f64 v[204:205], v[6:7], v[24:25]
	v_mul_f64 v[24:25], v[8:9], v[24:25]
	v_fma_f64 v[202:203], v[4:5], v[18:19], v[202:203]
	v_fma_f64 v[210:211], v[2:3], v[18:19], -v[20:21]
	ds_load_b128 v[2:5], v1 offset:1088
	scratch_load_b128 v[18:21], off, off offset:432
	v_add_f64 v[198:199], v[198:199], v[208:209]
	v_add_f64 v[200:201], v[200:201], v[206:207]
	v_fma_f64 v[204:205], v[8:9], v[22:23], v[204:205]
	v_fma_f64 v[208:209], v[6:7], v[22:23], -v[24:25]
	scratch_load_b128 v[22:25], off, off offset:448
	ds_load_b128 v[6:9], v1 offset:1104
	s_waitcnt vmcnt(9) lgkmcnt(1)
	v_mul_f64 v[206:207], v[2:3], v[28:29]
	v_mul_f64 v[28:29], v[4:5], v[28:29]
	v_add_f64 v[198:199], v[198:199], v[210:211]
	v_add_f64 v[200:201], v[200:201], v[202:203]
	s_waitcnt vmcnt(8) lgkmcnt(0)
	v_mul_f64 v[202:203], v[6:7], v[32:33]
	v_mul_f64 v[32:33], v[8:9], v[32:33]
	;; [unrolled: 18-line block ×8, first 2 shown]
	v_fma_f64 v[206:207], v[4:5], v[34:35], v[206:207]
	v_fma_f64 v[210:211], v[2:3], v[34:35], -v[36:37]
	ds_load_b128 v[2:5], v1 offset:1312
	scratch_load_b128 v[34:37], off, off offset:656
	v_add_f64 v[198:199], v[198:199], v[208:209]
	v_add_f64 v[200:201], v[200:201], v[204:205]
	v_fma_f64 v[202:203], v[8:9], v[194:195], v[202:203]
	v_fma_f64 v[208:209], v[6:7], v[194:195], -v[196:197]
	ds_load_b128 v[6:9], v1 offset:1328
	s_waitcnt vmcnt(8) lgkmcnt(1)
	v_mul_f64 v[204:205], v[2:3], v[40:41]
	v_mul_f64 v[40:41], v[4:5], v[40:41]
	scratch_load_b128 v[194:197], off, off offset:672
	v_add_f64 v[198:199], v[198:199], v[210:211]
	v_add_f64 v[200:201], v[200:201], v[206:207]
	s_waitcnt vmcnt(8) lgkmcnt(0)
	v_mul_f64 v[206:207], v[6:7], v[192:193]
	v_mul_f64 v[192:193], v[8:9], v[192:193]
	v_fma_f64 v[204:205], v[4:5], v[38:39], v[204:205]
	v_fma_f64 v[210:211], v[2:3], v[38:39], -v[40:41]
	ds_load_b128 v[2:5], v1 offset:1344
	scratch_load_b128 v[38:41], off, off offset:688
	v_add_f64 v[198:199], v[198:199], v[208:209]
	v_add_f64 v[200:201], v[200:201], v[202:203]
	v_fma_f64 v[206:207], v[8:9], v[190:191], v[206:207]
	v_fma_f64 v[208:209], v[6:7], v[190:191], -v[192:193]
	ds_load_b128 v[6:9], v1 offset:1360
	s_waitcnt vmcnt(8) lgkmcnt(1)
	v_mul_f64 v[202:203], v[2:3], v[12:13]
	v_mul_f64 v[12:13], v[4:5], v[12:13]
	scratch_load_b128 v[190:193], off, off offset:704
	v_add_f64 v[198:199], v[198:199], v[210:211]
	v_add_f64 v[200:201], v[200:201], v[204:205]
	s_waitcnt vmcnt(8) lgkmcnt(0)
	v_mul_f64 v[204:205], v[6:7], v[16:17]
	v_mul_f64 v[16:17], v[8:9], v[16:17]
	v_fma_f64 v[202:203], v[4:5], v[10:11], v[202:203]
	v_fma_f64 v[210:211], v[2:3], v[10:11], -v[12:13]
	scratch_load_b128 v[10:13], off, off offset:720
	ds_load_b128 v[2:5], v1 offset:1376
	v_add_f64 v[198:199], v[198:199], v[208:209]
	v_add_f64 v[200:201], v[200:201], v[206:207]
	v_fma_f64 v[204:205], v[8:9], v[14:15], v[204:205]
	v_fma_f64 v[208:209], v[6:7], v[14:15], -v[16:17]
	ds_load_b128 v[6:9], v1 offset:1392
	s_waitcnt vmcnt(8) lgkmcnt(1)
	v_mul_f64 v[206:207], v[2:3], v[20:21]
	v_mul_f64 v[20:21], v[4:5], v[20:21]
	scratch_load_b128 v[14:17], off, off offset:736
	v_add_f64 v[198:199], v[198:199], v[210:211]
	v_add_f64 v[200:201], v[200:201], v[202:203]
	s_waitcnt vmcnt(8) lgkmcnt(0)
	v_mul_f64 v[202:203], v[6:7], v[24:25]
	v_mul_f64 v[24:25], v[8:9], v[24:25]
	v_fma_f64 v[206:207], v[4:5], v[18:19], v[206:207]
	v_fma_f64 v[210:211], v[2:3], v[18:19], -v[20:21]
	scratch_load_b128 v[18:21], off, off offset:752
	ds_load_b128 v[2:5], v1 offset:1408
	v_add_f64 v[198:199], v[198:199], v[208:209]
	v_add_f64 v[200:201], v[200:201], v[204:205]
	v_fma_f64 v[202:203], v[8:9], v[22:23], v[202:203]
	v_fma_f64 v[208:209], v[6:7], v[22:23], -v[24:25]
	ds_load_b128 v[6:9], v1 offset:1424
	s_waitcnt vmcnt(8) lgkmcnt(1)
	v_mul_f64 v[204:205], v[2:3], v[28:29]
	v_mul_f64 v[28:29], v[4:5], v[28:29]
	scratch_load_b128 v[22:25], off, off offset:768
	v_add_f64 v[198:199], v[198:199], v[210:211]
	v_add_f64 v[200:201], v[200:201], v[206:207]
	s_waitcnt vmcnt(8) lgkmcnt(0)
	v_mul_f64 v[206:207], v[6:7], v[32:33]
	v_mul_f64 v[32:33], v[8:9], v[32:33]
	v_fma_f64 v[204:205], v[4:5], v[26:27], v[204:205]
	v_fma_f64 v[26:27], v[2:3], v[26:27], -v[28:29]
	ds_load_b128 v[2:5], v1 offset:1440
	v_add_f64 v[28:29], v[198:199], v[208:209]
	v_add_f64 v[198:199], v[200:201], v[202:203]
	v_fma_f64 v[202:203], v[8:9], v[30:31], v[206:207]
	v_fma_f64 v[30:31], v[6:7], v[30:31], -v[32:33]
	ds_load_b128 v[6:9], v1 offset:1456
	s_waitcnt vmcnt(7) lgkmcnt(1)
	v_mul_f64 v[200:201], v[2:3], v[36:37]
	v_mul_f64 v[36:37], v[4:5], v[36:37]
	v_add_f64 v[26:27], v[28:29], v[26:27]
	v_add_f64 v[28:29], v[198:199], v[204:205]
	s_delay_alu instid0(VALU_DEP_4) | instskip(NEXT) | instid1(VALU_DEP_4)
	v_fma_f64 v[198:199], v[4:5], v[34:35], v[200:201]
	v_fma_f64 v[34:35], v[2:3], v[34:35], -v[36:37]
	ds_load_b128 v[2:5], v1 offset:1472
	v_add_f64 v[30:31], v[26:27], v[30:31]
	v_add_f64 v[36:37], v[28:29], v[202:203]
	scratch_load_b128 v[26:29], off, off offset:192
	s_waitcnt vmcnt(7) lgkmcnt(1)
	v_mul_f64 v[32:33], v[6:7], v[196:197]
	v_mul_f64 v[196:197], v[8:9], v[196:197]
	v_add_f64 v[30:31], v[30:31], v[34:35]
	v_add_f64 v[34:35], v[36:37], v[198:199]
	s_delay_alu instid0(VALU_DEP_4) | instskip(NEXT) | instid1(VALU_DEP_4)
	v_fma_f64 v[32:33], v[8:9], v[194:195], v[32:33]
	v_fma_f64 v[194:195], v[6:7], v[194:195], -v[196:197]
	ds_load_b128 v[6:9], v1 offset:1488
	s_waitcnt vmcnt(6) lgkmcnt(1)
	v_mul_f64 v[200:201], v[2:3], v[40:41]
	v_mul_f64 v[40:41], v[4:5], v[40:41]
	s_waitcnt vmcnt(5) lgkmcnt(0)
	v_mul_f64 v[36:37], v[6:7], v[192:193]
	v_mul_f64 v[192:193], v[8:9], v[192:193]
	v_add_f64 v[32:33], v[34:35], v[32:33]
	v_add_f64 v[30:31], v[30:31], v[194:195]
	v_fma_f64 v[196:197], v[4:5], v[38:39], v[200:201]
	v_fma_f64 v[38:39], v[2:3], v[38:39], -v[40:41]
	ds_load_b128 v[2:5], v1 offset:1504
	v_fma_f64 v[36:37], v[8:9], v[190:191], v[36:37]
	v_fma_f64 v[40:41], v[6:7], v[190:191], -v[192:193]
	ds_load_b128 v[6:9], v1 offset:1520
	s_waitcnt vmcnt(4) lgkmcnt(1)
	v_mul_f64 v[34:35], v[2:3], v[12:13]
	v_mul_f64 v[12:13], v[4:5], v[12:13]
	v_add_f64 v[32:33], v[32:33], v[196:197]
	v_add_f64 v[30:31], v[30:31], v[38:39]
	s_waitcnt vmcnt(3) lgkmcnt(0)
	v_mul_f64 v[38:39], v[6:7], v[16:17]
	v_mul_f64 v[16:17], v[8:9], v[16:17]
	v_fma_f64 v[34:35], v[4:5], v[10:11], v[34:35]
	v_fma_f64 v[10:11], v[2:3], v[10:11], -v[12:13]
	ds_load_b128 v[2:5], v1 offset:1536
	v_add_f64 v[12:13], v[30:31], v[40:41]
	v_add_f64 v[30:31], v[32:33], v[36:37]
	v_fma_f64 v[36:37], v[8:9], v[14:15], v[38:39]
	v_fma_f64 v[14:15], v[6:7], v[14:15], -v[16:17]
	ds_load_b128 v[6:9], v1 offset:1552
	s_waitcnt vmcnt(2) lgkmcnt(1)
	v_mul_f64 v[32:33], v[2:3], v[20:21]
	v_mul_f64 v[20:21], v[4:5], v[20:21]
	s_waitcnt vmcnt(1) lgkmcnt(0)
	v_mul_f64 v[16:17], v[6:7], v[24:25]
	v_mul_f64 v[24:25], v[8:9], v[24:25]
	v_add_f64 v[10:11], v[12:13], v[10:11]
	v_add_f64 v[12:13], v[30:31], v[34:35]
	v_fma_f64 v[4:5], v[4:5], v[18:19], v[32:33]
	v_fma_f64 v[1:2], v[2:3], v[18:19], -v[20:21]
	v_fma_f64 v[8:9], v[8:9], v[22:23], v[16:17]
	v_fma_f64 v[6:7], v[6:7], v[22:23], -v[24:25]
	v_add_f64 v[10:11], v[10:11], v[14:15]
	v_add_f64 v[12:13], v[12:13], v[36:37]
	s_delay_alu instid0(VALU_DEP_2) | instskip(NEXT) | instid1(VALU_DEP_2)
	v_add_f64 v[1:2], v[10:11], v[1:2]
	v_add_f64 v[3:4], v[12:13], v[4:5]
	s_delay_alu instid0(VALU_DEP_2) | instskip(NEXT) | instid1(VALU_DEP_2)
	v_add_f64 v[1:2], v[1:2], v[6:7]
	v_add_f64 v[3:4], v[3:4], v[8:9]
	s_waitcnt vmcnt(0)
	s_delay_alu instid0(VALU_DEP_2) | instskip(NEXT) | instid1(VALU_DEP_2)
	v_add_f64 v[1:2], v[26:27], -v[1:2]
	v_add_f64 v[3:4], v[28:29], -v[3:4]
	scratch_store_b128 off, v[1:4], off offset:192
	v_cmpx_lt_u32_e32 11, v140
	s_cbranch_execz .LBB112_285
; %bb.284:
	scratch_load_b128 v[1:4], v178, off
	v_mov_b32_e32 v5, 0
	s_delay_alu instid0(VALU_DEP_1)
	v_mov_b32_e32 v6, v5
	v_mov_b32_e32 v7, v5
	;; [unrolled: 1-line block ×3, first 2 shown]
	scratch_store_b128 off, v[5:8], off offset:176
	s_waitcnt vmcnt(0)
	ds_store_b128 v189, v[1:4]
.LBB112_285:
	s_or_b32 exec_lo, exec_lo, s2
	s_waitcnt lgkmcnt(0)
	s_waitcnt_vscnt null, 0x0
	s_barrier
	buffer_gl0_inv
	s_clause 0x7
	scratch_load_b128 v[2:5], off, off offset:192
	scratch_load_b128 v[6:9], off, off offset:208
	;; [unrolled: 1-line block ×8, first 2 shown]
	v_mov_b32_e32 v1, 0
	s_clause 0x1
	scratch_load_b128 v[34:37], off, off offset:320
	scratch_load_b128 v[194:197], off, off offset:336
	s_mov_b32 s2, exec_lo
	ds_load_b128 v[38:41], v1 offset:976
	ds_load_b128 v[190:193], v1 offset:992
	s_waitcnt vmcnt(9) lgkmcnt(1)
	v_mul_f64 v[198:199], v[40:41], v[4:5]
	v_mul_f64 v[4:5], v[38:39], v[4:5]
	s_waitcnt vmcnt(8) lgkmcnt(0)
	v_mul_f64 v[200:201], v[190:191], v[8:9]
	v_mul_f64 v[8:9], v[192:193], v[8:9]
	s_delay_alu instid0(VALU_DEP_4) | instskip(NEXT) | instid1(VALU_DEP_4)
	v_fma_f64 v[198:199], v[38:39], v[2:3], -v[198:199]
	v_fma_f64 v[202:203], v[40:41], v[2:3], v[4:5]
	ds_load_b128 v[2:5], v1 offset:1008
	scratch_load_b128 v[38:41], off, off offset:352
	v_fma_f64 v[200:201], v[192:193], v[6:7], v[200:201]
	v_fma_f64 v[206:207], v[190:191], v[6:7], -v[8:9]
	scratch_load_b128 v[190:193], off, off offset:368
	ds_load_b128 v[6:9], v1 offset:1024
	s_waitcnt vmcnt(9) lgkmcnt(1)
	v_mul_f64 v[204:205], v[2:3], v[12:13]
	v_mul_f64 v[12:13], v[4:5], v[12:13]
	s_waitcnt vmcnt(8) lgkmcnt(0)
	v_mul_f64 v[208:209], v[6:7], v[16:17]
	v_mul_f64 v[16:17], v[8:9], v[16:17]
	v_add_f64 v[198:199], v[198:199], 0
	v_add_f64 v[202:203], v[202:203], 0
	v_fma_f64 v[204:205], v[4:5], v[10:11], v[204:205]
	v_fma_f64 v[210:211], v[2:3], v[10:11], -v[12:13]
	ds_load_b128 v[2:5], v1 offset:1040
	scratch_load_b128 v[10:13], off, off offset:384
	v_add_f64 v[198:199], v[198:199], v[206:207]
	v_add_f64 v[200:201], v[202:203], v[200:201]
	v_fma_f64 v[206:207], v[8:9], v[14:15], v[208:209]
	v_fma_f64 v[208:209], v[6:7], v[14:15], -v[16:17]
	scratch_load_b128 v[14:17], off, off offset:400
	ds_load_b128 v[6:9], v1 offset:1056
	s_waitcnt vmcnt(9) lgkmcnt(1)
	v_mul_f64 v[202:203], v[2:3], v[20:21]
	v_mul_f64 v[20:21], v[4:5], v[20:21]
	v_add_f64 v[198:199], v[198:199], v[210:211]
	v_add_f64 v[200:201], v[200:201], v[204:205]
	s_waitcnt vmcnt(8) lgkmcnt(0)
	v_mul_f64 v[204:205], v[6:7], v[24:25]
	v_mul_f64 v[24:25], v[8:9], v[24:25]
	v_fma_f64 v[202:203], v[4:5], v[18:19], v[202:203]
	v_fma_f64 v[210:211], v[2:3], v[18:19], -v[20:21]
	ds_load_b128 v[2:5], v1 offset:1072
	scratch_load_b128 v[18:21], off, off offset:416
	v_add_f64 v[198:199], v[198:199], v[208:209]
	v_add_f64 v[200:201], v[200:201], v[206:207]
	v_fma_f64 v[204:205], v[8:9], v[22:23], v[204:205]
	v_fma_f64 v[208:209], v[6:7], v[22:23], -v[24:25]
	scratch_load_b128 v[22:25], off, off offset:432
	ds_load_b128 v[6:9], v1 offset:1088
	s_waitcnt vmcnt(9) lgkmcnt(1)
	v_mul_f64 v[206:207], v[2:3], v[28:29]
	v_mul_f64 v[28:29], v[4:5], v[28:29]
	v_add_f64 v[198:199], v[198:199], v[210:211]
	v_add_f64 v[200:201], v[200:201], v[202:203]
	s_waitcnt vmcnt(8) lgkmcnt(0)
	v_mul_f64 v[202:203], v[6:7], v[32:33]
	v_mul_f64 v[32:33], v[8:9], v[32:33]
	;; [unrolled: 18-line block ×9, first 2 shown]
	v_fma_f64 v[204:205], v[4:5], v[38:39], v[204:205]
	v_fma_f64 v[210:211], v[2:3], v[38:39], -v[40:41]
	ds_load_b128 v[2:5], v1 offset:1328
	scratch_load_b128 v[38:41], off, off offset:672
	v_add_f64 v[198:199], v[198:199], v[208:209]
	v_add_f64 v[200:201], v[200:201], v[202:203]
	v_fma_f64 v[206:207], v[8:9], v[190:191], v[206:207]
	v_fma_f64 v[208:209], v[6:7], v[190:191], -v[192:193]
	ds_load_b128 v[6:9], v1 offset:1344
	s_waitcnt vmcnt(8) lgkmcnt(1)
	v_mul_f64 v[202:203], v[2:3], v[12:13]
	v_mul_f64 v[12:13], v[4:5], v[12:13]
	scratch_load_b128 v[190:193], off, off offset:688
	v_add_f64 v[198:199], v[198:199], v[210:211]
	v_add_f64 v[200:201], v[200:201], v[204:205]
	s_waitcnt vmcnt(8) lgkmcnt(0)
	v_mul_f64 v[204:205], v[6:7], v[16:17]
	v_mul_f64 v[16:17], v[8:9], v[16:17]
	v_fma_f64 v[202:203], v[4:5], v[10:11], v[202:203]
	v_fma_f64 v[210:211], v[2:3], v[10:11], -v[12:13]
	scratch_load_b128 v[10:13], off, off offset:704
	ds_load_b128 v[2:5], v1 offset:1360
	v_add_f64 v[198:199], v[198:199], v[208:209]
	v_add_f64 v[200:201], v[200:201], v[206:207]
	v_fma_f64 v[204:205], v[8:9], v[14:15], v[204:205]
	v_fma_f64 v[208:209], v[6:7], v[14:15], -v[16:17]
	ds_load_b128 v[6:9], v1 offset:1376
	s_waitcnt vmcnt(8) lgkmcnt(1)
	v_mul_f64 v[206:207], v[2:3], v[20:21]
	v_mul_f64 v[20:21], v[4:5], v[20:21]
	scratch_load_b128 v[14:17], off, off offset:720
	v_add_f64 v[198:199], v[198:199], v[210:211]
	v_add_f64 v[200:201], v[200:201], v[202:203]
	s_waitcnt vmcnt(8) lgkmcnt(0)
	v_mul_f64 v[202:203], v[6:7], v[24:25]
	v_mul_f64 v[24:25], v[8:9], v[24:25]
	v_fma_f64 v[206:207], v[4:5], v[18:19], v[206:207]
	v_fma_f64 v[210:211], v[2:3], v[18:19], -v[20:21]
	scratch_load_b128 v[18:21], off, off offset:736
	ds_load_b128 v[2:5], v1 offset:1392
	;; [unrolled: 18-line block ×3, first 2 shown]
	v_add_f64 v[198:199], v[198:199], v[208:209]
	v_add_f64 v[200:201], v[200:201], v[202:203]
	v_fma_f64 v[206:207], v[8:9], v[30:31], v[206:207]
	v_fma_f64 v[30:31], v[6:7], v[30:31], -v[32:33]
	ds_load_b128 v[6:9], v1 offset:1440
	s_waitcnt vmcnt(8) lgkmcnt(1)
	v_mul_f64 v[202:203], v[2:3], v[36:37]
	v_mul_f64 v[36:37], v[4:5], v[36:37]
	v_add_f64 v[32:33], v[198:199], v[210:211]
	v_add_f64 v[198:199], v[200:201], v[204:205]
	s_waitcnt vmcnt(7) lgkmcnt(0)
	v_mul_f64 v[200:201], v[6:7], v[196:197]
	v_mul_f64 v[196:197], v[8:9], v[196:197]
	v_fma_f64 v[202:203], v[4:5], v[34:35], v[202:203]
	v_fma_f64 v[34:35], v[2:3], v[34:35], -v[36:37]
	ds_load_b128 v[2:5], v1 offset:1456
	v_add_f64 v[30:31], v[32:33], v[30:31]
	v_add_f64 v[32:33], v[198:199], v[206:207]
	v_fma_f64 v[198:199], v[8:9], v[194:195], v[200:201]
	v_fma_f64 v[194:195], v[6:7], v[194:195], -v[196:197]
	ds_load_b128 v[6:9], v1 offset:1472
	s_waitcnt vmcnt(5) lgkmcnt(0)
	v_mul_f64 v[200:201], v[6:7], v[192:193]
	v_mul_f64 v[192:193], v[8:9], v[192:193]
	v_add_f64 v[34:35], v[30:31], v[34:35]
	v_add_f64 v[196:197], v[32:33], v[202:203]
	scratch_load_b128 v[30:33], off, off offset:176
	v_mul_f64 v[36:37], v[2:3], v[40:41]
	v_mul_f64 v[40:41], v[4:5], v[40:41]
	v_add_f64 v[34:35], v[34:35], v[194:195]
	s_delay_alu instid0(VALU_DEP_3) | instskip(NEXT) | instid1(VALU_DEP_3)
	v_fma_f64 v[36:37], v[4:5], v[38:39], v[36:37]
	v_fma_f64 v[38:39], v[2:3], v[38:39], -v[40:41]
	v_add_f64 v[40:41], v[196:197], v[198:199]
	ds_load_b128 v[2:5], v1 offset:1488
	v_fma_f64 v[196:197], v[8:9], v[190:191], v[200:201]
	v_fma_f64 v[190:191], v[6:7], v[190:191], -v[192:193]
	ds_load_b128 v[6:9], v1 offset:1504
	s_waitcnt vmcnt(5) lgkmcnt(1)
	v_mul_f64 v[194:195], v[2:3], v[12:13]
	v_mul_f64 v[12:13], v[4:5], v[12:13]
	v_add_f64 v[34:35], v[34:35], v[38:39]
	v_add_f64 v[36:37], v[40:41], v[36:37]
	s_waitcnt vmcnt(4) lgkmcnt(0)
	v_mul_f64 v[38:39], v[6:7], v[16:17]
	v_mul_f64 v[16:17], v[8:9], v[16:17]
	v_fma_f64 v[40:41], v[4:5], v[10:11], v[194:195]
	v_fma_f64 v[10:11], v[2:3], v[10:11], -v[12:13]
	ds_load_b128 v[2:5], v1 offset:1520
	v_add_f64 v[12:13], v[34:35], v[190:191]
	v_add_f64 v[34:35], v[36:37], v[196:197]
	v_fma_f64 v[38:39], v[8:9], v[14:15], v[38:39]
	v_fma_f64 v[14:15], v[6:7], v[14:15], -v[16:17]
	ds_load_b128 v[6:9], v1 offset:1536
	s_waitcnt vmcnt(3) lgkmcnt(1)
	v_mul_f64 v[36:37], v[2:3], v[20:21]
	v_mul_f64 v[20:21], v[4:5], v[20:21]
	s_waitcnt vmcnt(2) lgkmcnt(0)
	v_mul_f64 v[16:17], v[6:7], v[24:25]
	v_mul_f64 v[24:25], v[8:9], v[24:25]
	v_add_f64 v[10:11], v[12:13], v[10:11]
	v_add_f64 v[12:13], v[34:35], v[40:41]
	v_fma_f64 v[34:35], v[4:5], v[18:19], v[36:37]
	v_fma_f64 v[18:19], v[2:3], v[18:19], -v[20:21]
	ds_load_b128 v[2:5], v1 offset:1552
	v_fma_f64 v[8:9], v[8:9], v[22:23], v[16:17]
	v_fma_f64 v[6:7], v[6:7], v[22:23], -v[24:25]
	s_waitcnt vmcnt(1) lgkmcnt(0)
	v_mul_f64 v[20:21], v[4:5], v[28:29]
	v_add_f64 v[10:11], v[10:11], v[14:15]
	v_add_f64 v[12:13], v[12:13], v[38:39]
	v_mul_f64 v[14:15], v[2:3], v[28:29]
	s_delay_alu instid0(VALU_DEP_4) | instskip(NEXT) | instid1(VALU_DEP_4)
	v_fma_f64 v[2:3], v[2:3], v[26:27], -v[20:21]
	v_add_f64 v[10:11], v[10:11], v[18:19]
	s_delay_alu instid0(VALU_DEP_4) | instskip(NEXT) | instid1(VALU_DEP_4)
	v_add_f64 v[12:13], v[12:13], v[34:35]
	v_fma_f64 v[4:5], v[4:5], v[26:27], v[14:15]
	s_delay_alu instid0(VALU_DEP_3) | instskip(NEXT) | instid1(VALU_DEP_3)
	v_add_f64 v[6:7], v[10:11], v[6:7]
	v_add_f64 v[8:9], v[12:13], v[8:9]
	s_delay_alu instid0(VALU_DEP_2) | instskip(NEXT) | instid1(VALU_DEP_2)
	v_add_f64 v[2:3], v[6:7], v[2:3]
	v_add_f64 v[4:5], v[8:9], v[4:5]
	s_waitcnt vmcnt(0)
	s_delay_alu instid0(VALU_DEP_2) | instskip(NEXT) | instid1(VALU_DEP_2)
	v_add_f64 v[2:3], v[30:31], -v[2:3]
	v_add_f64 v[4:5], v[32:33], -v[4:5]
	scratch_store_b128 off, v[2:5], off offset:176
	v_cmpx_lt_u32_e32 10, v140
	s_cbranch_execz .LBB112_287
; %bb.286:
	scratch_load_b128 v[5:8], v179, off
	v_mov_b32_e32 v2, v1
	v_mov_b32_e32 v3, v1
	;; [unrolled: 1-line block ×3, first 2 shown]
	scratch_store_b128 off, v[1:4], off offset:160
	s_waitcnt vmcnt(0)
	ds_store_b128 v189, v[5:8]
.LBB112_287:
	s_or_b32 exec_lo, exec_lo, s2
	s_waitcnt lgkmcnt(0)
	s_waitcnt_vscnt null, 0x0
	s_barrier
	buffer_gl0_inv
	s_clause 0x7
	scratch_load_b128 v[2:5], off, off offset:176
	scratch_load_b128 v[6:9], off, off offset:192
	;; [unrolled: 1-line block ×8, first 2 shown]
	ds_load_b128 v[38:41], v1 offset:960
	ds_load_b128 v[190:193], v1 offset:976
	s_clause 0x1
	scratch_load_b128 v[34:37], off, off offset:304
	scratch_load_b128 v[194:197], off, off offset:320
	s_mov_b32 s2, exec_lo
	s_waitcnt vmcnt(9) lgkmcnt(1)
	v_mul_f64 v[198:199], v[40:41], v[4:5]
	v_mul_f64 v[4:5], v[38:39], v[4:5]
	s_waitcnt vmcnt(8) lgkmcnt(0)
	v_mul_f64 v[200:201], v[190:191], v[8:9]
	v_mul_f64 v[8:9], v[192:193], v[8:9]
	s_delay_alu instid0(VALU_DEP_4) | instskip(NEXT) | instid1(VALU_DEP_4)
	v_fma_f64 v[198:199], v[38:39], v[2:3], -v[198:199]
	v_fma_f64 v[202:203], v[40:41], v[2:3], v[4:5]
	ds_load_b128 v[2:5], v1 offset:992
	scratch_load_b128 v[38:41], off, off offset:336
	v_fma_f64 v[200:201], v[192:193], v[6:7], v[200:201]
	v_fma_f64 v[206:207], v[190:191], v[6:7], -v[8:9]
	scratch_load_b128 v[190:193], off, off offset:352
	ds_load_b128 v[6:9], v1 offset:1008
	s_waitcnt vmcnt(9) lgkmcnt(1)
	v_mul_f64 v[204:205], v[2:3], v[12:13]
	v_mul_f64 v[12:13], v[4:5], v[12:13]
	s_waitcnt vmcnt(8) lgkmcnt(0)
	v_mul_f64 v[208:209], v[6:7], v[16:17]
	v_mul_f64 v[16:17], v[8:9], v[16:17]
	v_add_f64 v[198:199], v[198:199], 0
	v_add_f64 v[202:203], v[202:203], 0
	v_fma_f64 v[204:205], v[4:5], v[10:11], v[204:205]
	v_fma_f64 v[210:211], v[2:3], v[10:11], -v[12:13]
	ds_load_b128 v[2:5], v1 offset:1024
	scratch_load_b128 v[10:13], off, off offset:368
	v_add_f64 v[198:199], v[198:199], v[206:207]
	v_add_f64 v[200:201], v[202:203], v[200:201]
	v_fma_f64 v[206:207], v[8:9], v[14:15], v[208:209]
	v_fma_f64 v[208:209], v[6:7], v[14:15], -v[16:17]
	scratch_load_b128 v[14:17], off, off offset:384
	ds_load_b128 v[6:9], v1 offset:1040
	s_waitcnt vmcnt(9) lgkmcnt(1)
	v_mul_f64 v[202:203], v[2:3], v[20:21]
	v_mul_f64 v[20:21], v[4:5], v[20:21]
	v_add_f64 v[198:199], v[198:199], v[210:211]
	v_add_f64 v[200:201], v[200:201], v[204:205]
	s_waitcnt vmcnt(8) lgkmcnt(0)
	v_mul_f64 v[204:205], v[6:7], v[24:25]
	v_mul_f64 v[24:25], v[8:9], v[24:25]
	v_fma_f64 v[202:203], v[4:5], v[18:19], v[202:203]
	v_fma_f64 v[210:211], v[2:3], v[18:19], -v[20:21]
	ds_load_b128 v[2:5], v1 offset:1056
	scratch_load_b128 v[18:21], off, off offset:400
	v_add_f64 v[198:199], v[198:199], v[208:209]
	v_add_f64 v[200:201], v[200:201], v[206:207]
	v_fma_f64 v[204:205], v[8:9], v[22:23], v[204:205]
	v_fma_f64 v[208:209], v[6:7], v[22:23], -v[24:25]
	scratch_load_b128 v[22:25], off, off offset:416
	ds_load_b128 v[6:9], v1 offset:1072
	s_waitcnt vmcnt(9) lgkmcnt(1)
	v_mul_f64 v[206:207], v[2:3], v[28:29]
	v_mul_f64 v[28:29], v[4:5], v[28:29]
	v_add_f64 v[198:199], v[198:199], v[210:211]
	v_add_f64 v[200:201], v[200:201], v[202:203]
	s_waitcnt vmcnt(8) lgkmcnt(0)
	v_mul_f64 v[202:203], v[6:7], v[32:33]
	v_mul_f64 v[32:33], v[8:9], v[32:33]
	v_fma_f64 v[206:207], v[4:5], v[26:27], v[206:207]
	v_fma_f64 v[210:211], v[2:3], v[26:27], -v[28:29]
	ds_load_b128 v[2:5], v1 offset:1088
	scratch_load_b128 v[26:29], off, off offset:432
	v_add_f64 v[198:199], v[198:199], v[208:209]
	v_add_f64 v[200:201], v[200:201], v[204:205]
	v_fma_f64 v[202:203], v[8:9], v[30:31], v[202:203]
	v_fma_f64 v[208:209], v[6:7], v[30:31], -v[32:33]
	scratch_load_b128 v[30:33], off, off offset:448
	ds_load_b128 v[6:9], v1 offset:1104
	s_waitcnt vmcnt(9) lgkmcnt(1)
	v_mul_f64 v[204:205], v[2:3], v[36:37]
	v_mul_f64 v[36:37], v[4:5], v[36:37]
	v_add_f64 v[198:199], v[198:199], v[210:211]
	v_add_f64 v[200:201], v[200:201], v[206:207]
	s_waitcnt vmcnt(8) lgkmcnt(0)
	v_mul_f64 v[206:207], v[6:7], v[196:197]
	v_mul_f64 v[196:197], v[8:9], v[196:197]
	v_fma_f64 v[204:205], v[4:5], v[34:35], v[204:205]
	v_fma_f64 v[210:211], v[2:3], v[34:35], -v[36:37]
	ds_load_b128 v[2:5], v1 offset:1120
	scratch_load_b128 v[34:37], off, off offset:464
	v_add_f64 v[198:199], v[198:199], v[208:209]
	v_add_f64 v[200:201], v[200:201], v[202:203]
	v_fma_f64 v[206:207], v[8:9], v[194:195], v[206:207]
	v_fma_f64 v[208:209], v[6:7], v[194:195], -v[196:197]
	scratch_load_b128 v[194:197], off, off offset:480
	ds_load_b128 v[6:9], v1 offset:1136
	s_waitcnt vmcnt(9) lgkmcnt(1)
	v_mul_f64 v[202:203], v[2:3], v[40:41]
	v_mul_f64 v[40:41], v[4:5], v[40:41]
	v_add_f64 v[198:199], v[198:199], v[210:211]
	v_add_f64 v[200:201], v[200:201], v[204:205]
	s_waitcnt vmcnt(8) lgkmcnt(0)
	v_mul_f64 v[204:205], v[6:7], v[192:193]
	v_mul_f64 v[192:193], v[8:9], v[192:193]
	v_fma_f64 v[202:203], v[4:5], v[38:39], v[202:203]
	v_fma_f64 v[210:211], v[2:3], v[38:39], -v[40:41]
	ds_load_b128 v[2:5], v1 offset:1152
	scratch_load_b128 v[38:41], off, off offset:496
	v_add_f64 v[198:199], v[198:199], v[208:209]
	v_add_f64 v[200:201], v[200:201], v[206:207]
	v_fma_f64 v[204:205], v[8:9], v[190:191], v[204:205]
	v_fma_f64 v[208:209], v[6:7], v[190:191], -v[192:193]
	scratch_load_b128 v[190:193], off, off offset:512
	ds_load_b128 v[6:9], v1 offset:1168
	s_waitcnt vmcnt(9) lgkmcnt(1)
	v_mul_f64 v[206:207], v[2:3], v[12:13]
	v_mul_f64 v[12:13], v[4:5], v[12:13]
	v_add_f64 v[198:199], v[198:199], v[210:211]
	v_add_f64 v[200:201], v[200:201], v[202:203]
	s_waitcnt vmcnt(8) lgkmcnt(0)
	v_mul_f64 v[202:203], v[6:7], v[16:17]
	v_mul_f64 v[16:17], v[8:9], v[16:17]
	v_fma_f64 v[206:207], v[4:5], v[10:11], v[206:207]
	v_fma_f64 v[210:211], v[2:3], v[10:11], -v[12:13]
	ds_load_b128 v[2:5], v1 offset:1184
	scratch_load_b128 v[10:13], off, off offset:528
	v_add_f64 v[198:199], v[198:199], v[208:209]
	v_add_f64 v[200:201], v[200:201], v[204:205]
	v_fma_f64 v[202:203], v[8:9], v[14:15], v[202:203]
	v_fma_f64 v[208:209], v[6:7], v[14:15], -v[16:17]
	scratch_load_b128 v[14:17], off, off offset:544
	ds_load_b128 v[6:9], v1 offset:1200
	s_waitcnt vmcnt(9) lgkmcnt(1)
	v_mul_f64 v[204:205], v[2:3], v[20:21]
	v_mul_f64 v[20:21], v[4:5], v[20:21]
	v_add_f64 v[198:199], v[198:199], v[210:211]
	v_add_f64 v[200:201], v[200:201], v[206:207]
	s_waitcnt vmcnt(8) lgkmcnt(0)
	v_mul_f64 v[206:207], v[6:7], v[24:25]
	v_mul_f64 v[24:25], v[8:9], v[24:25]
	v_fma_f64 v[204:205], v[4:5], v[18:19], v[204:205]
	v_fma_f64 v[210:211], v[2:3], v[18:19], -v[20:21]
	ds_load_b128 v[2:5], v1 offset:1216
	scratch_load_b128 v[18:21], off, off offset:560
	v_add_f64 v[198:199], v[198:199], v[208:209]
	v_add_f64 v[200:201], v[200:201], v[202:203]
	v_fma_f64 v[206:207], v[8:9], v[22:23], v[206:207]
	v_fma_f64 v[208:209], v[6:7], v[22:23], -v[24:25]
	scratch_load_b128 v[22:25], off, off offset:576
	ds_load_b128 v[6:9], v1 offset:1232
	s_waitcnt vmcnt(9) lgkmcnt(1)
	v_mul_f64 v[202:203], v[2:3], v[28:29]
	v_mul_f64 v[28:29], v[4:5], v[28:29]
	v_add_f64 v[198:199], v[198:199], v[210:211]
	v_add_f64 v[200:201], v[200:201], v[204:205]
	s_waitcnt vmcnt(8) lgkmcnt(0)
	v_mul_f64 v[204:205], v[6:7], v[32:33]
	v_mul_f64 v[32:33], v[8:9], v[32:33]
	v_fma_f64 v[202:203], v[4:5], v[26:27], v[202:203]
	v_fma_f64 v[210:211], v[2:3], v[26:27], -v[28:29]
	ds_load_b128 v[2:5], v1 offset:1248
	scratch_load_b128 v[26:29], off, off offset:592
	v_add_f64 v[198:199], v[198:199], v[208:209]
	v_add_f64 v[200:201], v[200:201], v[206:207]
	v_fma_f64 v[204:205], v[8:9], v[30:31], v[204:205]
	v_fma_f64 v[208:209], v[6:7], v[30:31], -v[32:33]
	scratch_load_b128 v[30:33], off, off offset:608
	ds_load_b128 v[6:9], v1 offset:1264
	s_waitcnt vmcnt(9) lgkmcnt(1)
	v_mul_f64 v[206:207], v[2:3], v[36:37]
	v_mul_f64 v[36:37], v[4:5], v[36:37]
	v_add_f64 v[198:199], v[198:199], v[210:211]
	v_add_f64 v[200:201], v[200:201], v[202:203]
	s_waitcnt vmcnt(8) lgkmcnt(0)
	v_mul_f64 v[202:203], v[6:7], v[196:197]
	v_mul_f64 v[196:197], v[8:9], v[196:197]
	v_fma_f64 v[206:207], v[4:5], v[34:35], v[206:207]
	v_fma_f64 v[210:211], v[2:3], v[34:35], -v[36:37]
	ds_load_b128 v[2:5], v1 offset:1280
	scratch_load_b128 v[34:37], off, off offset:624
	v_add_f64 v[198:199], v[198:199], v[208:209]
	v_add_f64 v[200:201], v[200:201], v[204:205]
	v_fma_f64 v[202:203], v[8:9], v[194:195], v[202:203]
	v_fma_f64 v[208:209], v[6:7], v[194:195], -v[196:197]
	scratch_load_b128 v[194:197], off, off offset:640
	ds_load_b128 v[6:9], v1 offset:1296
	s_waitcnt vmcnt(9) lgkmcnt(1)
	v_mul_f64 v[204:205], v[2:3], v[40:41]
	v_mul_f64 v[40:41], v[4:5], v[40:41]
	v_add_f64 v[198:199], v[198:199], v[210:211]
	v_add_f64 v[200:201], v[200:201], v[206:207]
	s_waitcnt vmcnt(8) lgkmcnt(0)
	v_mul_f64 v[206:207], v[6:7], v[192:193]
	v_mul_f64 v[192:193], v[8:9], v[192:193]
	v_fma_f64 v[204:205], v[4:5], v[38:39], v[204:205]
	v_fma_f64 v[210:211], v[2:3], v[38:39], -v[40:41]
	ds_load_b128 v[2:5], v1 offset:1312
	scratch_load_b128 v[38:41], off, off offset:656
	v_add_f64 v[198:199], v[198:199], v[208:209]
	v_add_f64 v[200:201], v[200:201], v[202:203]
	v_fma_f64 v[206:207], v[8:9], v[190:191], v[206:207]
	v_fma_f64 v[208:209], v[6:7], v[190:191], -v[192:193]
	ds_load_b128 v[6:9], v1 offset:1328
	s_waitcnt vmcnt(8) lgkmcnt(1)
	v_mul_f64 v[202:203], v[2:3], v[12:13]
	v_mul_f64 v[12:13], v[4:5], v[12:13]
	scratch_load_b128 v[190:193], off, off offset:672
	v_add_f64 v[198:199], v[198:199], v[210:211]
	v_add_f64 v[200:201], v[200:201], v[204:205]
	s_waitcnt vmcnt(8) lgkmcnt(0)
	v_mul_f64 v[204:205], v[6:7], v[16:17]
	v_mul_f64 v[16:17], v[8:9], v[16:17]
	v_fma_f64 v[202:203], v[4:5], v[10:11], v[202:203]
	v_fma_f64 v[210:211], v[2:3], v[10:11], -v[12:13]
	ds_load_b128 v[2:5], v1 offset:1344
	scratch_load_b128 v[10:13], off, off offset:688
	v_add_f64 v[198:199], v[198:199], v[208:209]
	v_add_f64 v[200:201], v[200:201], v[206:207]
	v_fma_f64 v[204:205], v[8:9], v[14:15], v[204:205]
	v_fma_f64 v[208:209], v[6:7], v[14:15], -v[16:17]
	ds_load_b128 v[6:9], v1 offset:1360
	s_waitcnt vmcnt(8) lgkmcnt(1)
	v_mul_f64 v[206:207], v[2:3], v[20:21]
	v_mul_f64 v[20:21], v[4:5], v[20:21]
	scratch_load_b128 v[14:17], off, off offset:704
	v_add_f64 v[198:199], v[198:199], v[210:211]
	v_add_f64 v[200:201], v[200:201], v[202:203]
	s_waitcnt vmcnt(8) lgkmcnt(0)
	v_mul_f64 v[202:203], v[6:7], v[24:25]
	v_mul_f64 v[24:25], v[8:9], v[24:25]
	v_fma_f64 v[206:207], v[4:5], v[18:19], v[206:207]
	v_fma_f64 v[210:211], v[2:3], v[18:19], -v[20:21]
	scratch_load_b128 v[18:21], off, off offset:720
	ds_load_b128 v[2:5], v1 offset:1376
	v_add_f64 v[198:199], v[198:199], v[208:209]
	v_add_f64 v[200:201], v[200:201], v[204:205]
	v_fma_f64 v[202:203], v[8:9], v[22:23], v[202:203]
	v_fma_f64 v[208:209], v[6:7], v[22:23], -v[24:25]
	ds_load_b128 v[6:9], v1 offset:1392
	s_waitcnt vmcnt(8) lgkmcnt(1)
	v_mul_f64 v[204:205], v[2:3], v[28:29]
	v_mul_f64 v[28:29], v[4:5], v[28:29]
	scratch_load_b128 v[22:25], off, off offset:736
	v_add_f64 v[198:199], v[198:199], v[210:211]
	v_add_f64 v[200:201], v[200:201], v[206:207]
	s_waitcnt vmcnt(8) lgkmcnt(0)
	v_mul_f64 v[206:207], v[6:7], v[32:33]
	v_mul_f64 v[32:33], v[8:9], v[32:33]
	v_fma_f64 v[204:205], v[4:5], v[26:27], v[204:205]
	v_fma_f64 v[210:211], v[2:3], v[26:27], -v[28:29]
	scratch_load_b128 v[26:29], off, off offset:752
	ds_load_b128 v[2:5], v1 offset:1408
	v_add_f64 v[198:199], v[198:199], v[208:209]
	v_add_f64 v[200:201], v[200:201], v[202:203]
	v_fma_f64 v[206:207], v[8:9], v[30:31], v[206:207]
	v_fma_f64 v[208:209], v[6:7], v[30:31], -v[32:33]
	ds_load_b128 v[6:9], v1 offset:1424
	s_waitcnt vmcnt(8) lgkmcnt(1)
	v_mul_f64 v[202:203], v[2:3], v[36:37]
	v_mul_f64 v[36:37], v[4:5], v[36:37]
	scratch_load_b128 v[30:33], off, off offset:768
	v_add_f64 v[198:199], v[198:199], v[210:211]
	v_add_f64 v[200:201], v[200:201], v[204:205]
	s_waitcnt vmcnt(8) lgkmcnt(0)
	v_mul_f64 v[204:205], v[6:7], v[196:197]
	v_mul_f64 v[196:197], v[8:9], v[196:197]
	v_fma_f64 v[202:203], v[4:5], v[34:35], v[202:203]
	v_fma_f64 v[34:35], v[2:3], v[34:35], -v[36:37]
	ds_load_b128 v[2:5], v1 offset:1440
	v_add_f64 v[36:37], v[198:199], v[208:209]
	v_add_f64 v[198:199], v[200:201], v[206:207]
	v_fma_f64 v[204:205], v[8:9], v[194:195], v[204:205]
	v_fma_f64 v[194:195], v[6:7], v[194:195], -v[196:197]
	ds_load_b128 v[6:9], v1 offset:1456
	s_waitcnt vmcnt(7) lgkmcnt(1)
	v_mul_f64 v[200:201], v[2:3], v[40:41]
	v_mul_f64 v[40:41], v[4:5], v[40:41]
	v_add_f64 v[34:35], v[36:37], v[34:35]
	v_add_f64 v[36:37], v[198:199], v[202:203]
	s_delay_alu instid0(VALU_DEP_4) | instskip(NEXT) | instid1(VALU_DEP_4)
	v_fma_f64 v[198:199], v[4:5], v[38:39], v[200:201]
	v_fma_f64 v[38:39], v[2:3], v[38:39], -v[40:41]
	ds_load_b128 v[2:5], v1 offset:1472
	v_add_f64 v[40:41], v[34:35], v[194:195]
	v_add_f64 v[194:195], v[36:37], v[204:205]
	scratch_load_b128 v[34:37], off, off offset:160
	s_waitcnt vmcnt(7) lgkmcnt(1)
	v_mul_f64 v[196:197], v[6:7], v[192:193]
	v_mul_f64 v[192:193], v[8:9], v[192:193]
	v_add_f64 v[38:39], v[40:41], v[38:39]
	v_add_f64 v[40:41], v[194:195], v[198:199]
	s_delay_alu instid0(VALU_DEP_4) | instskip(NEXT) | instid1(VALU_DEP_4)
	v_fma_f64 v[196:197], v[8:9], v[190:191], v[196:197]
	v_fma_f64 v[190:191], v[6:7], v[190:191], -v[192:193]
	ds_load_b128 v[6:9], v1 offset:1488
	s_waitcnt vmcnt(6) lgkmcnt(1)
	v_mul_f64 v[200:201], v[2:3], v[12:13]
	v_mul_f64 v[12:13], v[4:5], v[12:13]
	s_waitcnt vmcnt(5) lgkmcnt(0)
	v_mul_f64 v[192:193], v[6:7], v[16:17]
	v_mul_f64 v[16:17], v[8:9], v[16:17]
	s_delay_alu instid0(VALU_DEP_4) | instskip(NEXT) | instid1(VALU_DEP_4)
	v_fma_f64 v[194:195], v[4:5], v[10:11], v[200:201]
	v_fma_f64 v[10:11], v[2:3], v[10:11], -v[12:13]
	v_add_f64 v[12:13], v[38:39], v[190:191]
	v_add_f64 v[38:39], v[40:41], v[196:197]
	ds_load_b128 v[2:5], v1 offset:1504
	v_fma_f64 v[190:191], v[8:9], v[14:15], v[192:193]
	v_fma_f64 v[14:15], v[6:7], v[14:15], -v[16:17]
	ds_load_b128 v[6:9], v1 offset:1520
	s_waitcnt vmcnt(4) lgkmcnt(1)
	v_mul_f64 v[40:41], v[2:3], v[20:21]
	v_mul_f64 v[20:21], v[4:5], v[20:21]
	v_add_f64 v[10:11], v[12:13], v[10:11]
	v_add_f64 v[12:13], v[38:39], v[194:195]
	s_waitcnt vmcnt(3) lgkmcnt(0)
	v_mul_f64 v[16:17], v[6:7], v[24:25]
	v_mul_f64 v[24:25], v[8:9], v[24:25]
	v_fma_f64 v[38:39], v[4:5], v[18:19], v[40:41]
	v_fma_f64 v[18:19], v[2:3], v[18:19], -v[20:21]
	ds_load_b128 v[2:5], v1 offset:1536
	v_add_f64 v[10:11], v[10:11], v[14:15]
	v_add_f64 v[12:13], v[12:13], v[190:191]
	v_fma_f64 v[16:17], v[8:9], v[22:23], v[16:17]
	v_fma_f64 v[22:23], v[6:7], v[22:23], -v[24:25]
	ds_load_b128 v[6:9], v1 offset:1552
	s_waitcnt vmcnt(2) lgkmcnt(1)
	v_mul_f64 v[14:15], v[2:3], v[28:29]
	v_mul_f64 v[20:21], v[4:5], v[28:29]
	s_waitcnt vmcnt(1) lgkmcnt(0)
	v_mul_f64 v[24:25], v[8:9], v[32:33]
	v_add_f64 v[10:11], v[10:11], v[18:19]
	v_add_f64 v[12:13], v[12:13], v[38:39]
	v_mul_f64 v[18:19], v[6:7], v[32:33]
	v_fma_f64 v[4:5], v[4:5], v[26:27], v[14:15]
	v_fma_f64 v[1:2], v[2:3], v[26:27], -v[20:21]
	v_fma_f64 v[6:7], v[6:7], v[30:31], -v[24:25]
	v_add_f64 v[10:11], v[10:11], v[22:23]
	v_add_f64 v[12:13], v[12:13], v[16:17]
	v_fma_f64 v[8:9], v[8:9], v[30:31], v[18:19]
	s_delay_alu instid0(VALU_DEP_3) | instskip(NEXT) | instid1(VALU_DEP_3)
	v_add_f64 v[1:2], v[10:11], v[1:2]
	v_add_f64 v[3:4], v[12:13], v[4:5]
	s_delay_alu instid0(VALU_DEP_2) | instskip(NEXT) | instid1(VALU_DEP_2)
	v_add_f64 v[1:2], v[1:2], v[6:7]
	v_add_f64 v[3:4], v[3:4], v[8:9]
	s_waitcnt vmcnt(0)
	s_delay_alu instid0(VALU_DEP_2) | instskip(NEXT) | instid1(VALU_DEP_2)
	v_add_f64 v[1:2], v[34:35], -v[1:2]
	v_add_f64 v[3:4], v[36:37], -v[3:4]
	scratch_store_b128 off, v[1:4], off offset:160
	v_cmpx_lt_u32_e32 9, v140
	s_cbranch_execz .LBB112_289
; %bb.288:
	scratch_load_b128 v[1:4], v180, off
	v_mov_b32_e32 v5, 0
	s_delay_alu instid0(VALU_DEP_1)
	v_mov_b32_e32 v6, v5
	v_mov_b32_e32 v7, v5
	;; [unrolled: 1-line block ×3, first 2 shown]
	scratch_store_b128 off, v[5:8], off offset:144
	s_waitcnt vmcnt(0)
	ds_store_b128 v189, v[1:4]
.LBB112_289:
	s_or_b32 exec_lo, exec_lo, s2
	s_waitcnt lgkmcnt(0)
	s_waitcnt_vscnt null, 0x0
	s_barrier
	buffer_gl0_inv
	s_clause 0x7
	scratch_load_b128 v[2:5], off, off offset:160
	scratch_load_b128 v[6:9], off, off offset:176
	;; [unrolled: 1-line block ×8, first 2 shown]
	v_mov_b32_e32 v1, 0
	s_clause 0x1
	scratch_load_b128 v[34:37], off, off offset:288
	scratch_load_b128 v[194:197], off, off offset:304
	s_mov_b32 s2, exec_lo
	ds_load_b128 v[38:41], v1 offset:944
	ds_load_b128 v[190:193], v1 offset:960
	s_waitcnt vmcnt(9) lgkmcnt(1)
	v_mul_f64 v[198:199], v[40:41], v[4:5]
	v_mul_f64 v[4:5], v[38:39], v[4:5]
	s_waitcnt vmcnt(8) lgkmcnt(0)
	v_mul_f64 v[200:201], v[190:191], v[8:9]
	v_mul_f64 v[8:9], v[192:193], v[8:9]
	s_delay_alu instid0(VALU_DEP_4) | instskip(NEXT) | instid1(VALU_DEP_4)
	v_fma_f64 v[198:199], v[38:39], v[2:3], -v[198:199]
	v_fma_f64 v[202:203], v[40:41], v[2:3], v[4:5]
	ds_load_b128 v[2:5], v1 offset:976
	scratch_load_b128 v[38:41], off, off offset:320
	v_fma_f64 v[200:201], v[192:193], v[6:7], v[200:201]
	v_fma_f64 v[206:207], v[190:191], v[6:7], -v[8:9]
	scratch_load_b128 v[190:193], off, off offset:336
	ds_load_b128 v[6:9], v1 offset:992
	s_waitcnt vmcnt(9) lgkmcnt(1)
	v_mul_f64 v[204:205], v[2:3], v[12:13]
	v_mul_f64 v[12:13], v[4:5], v[12:13]
	s_waitcnt vmcnt(8) lgkmcnt(0)
	v_mul_f64 v[208:209], v[6:7], v[16:17]
	v_mul_f64 v[16:17], v[8:9], v[16:17]
	v_add_f64 v[198:199], v[198:199], 0
	v_add_f64 v[202:203], v[202:203], 0
	v_fma_f64 v[204:205], v[4:5], v[10:11], v[204:205]
	v_fma_f64 v[210:211], v[2:3], v[10:11], -v[12:13]
	ds_load_b128 v[2:5], v1 offset:1008
	scratch_load_b128 v[10:13], off, off offset:352
	v_add_f64 v[198:199], v[198:199], v[206:207]
	v_add_f64 v[200:201], v[202:203], v[200:201]
	v_fma_f64 v[206:207], v[8:9], v[14:15], v[208:209]
	v_fma_f64 v[208:209], v[6:7], v[14:15], -v[16:17]
	scratch_load_b128 v[14:17], off, off offset:368
	ds_load_b128 v[6:9], v1 offset:1024
	s_waitcnt vmcnt(9) lgkmcnt(1)
	v_mul_f64 v[202:203], v[2:3], v[20:21]
	v_mul_f64 v[20:21], v[4:5], v[20:21]
	v_add_f64 v[198:199], v[198:199], v[210:211]
	v_add_f64 v[200:201], v[200:201], v[204:205]
	s_waitcnt vmcnt(8) lgkmcnt(0)
	v_mul_f64 v[204:205], v[6:7], v[24:25]
	v_mul_f64 v[24:25], v[8:9], v[24:25]
	v_fma_f64 v[202:203], v[4:5], v[18:19], v[202:203]
	v_fma_f64 v[210:211], v[2:3], v[18:19], -v[20:21]
	ds_load_b128 v[2:5], v1 offset:1040
	scratch_load_b128 v[18:21], off, off offset:384
	v_add_f64 v[198:199], v[198:199], v[208:209]
	v_add_f64 v[200:201], v[200:201], v[206:207]
	v_fma_f64 v[204:205], v[8:9], v[22:23], v[204:205]
	v_fma_f64 v[208:209], v[6:7], v[22:23], -v[24:25]
	scratch_load_b128 v[22:25], off, off offset:400
	ds_load_b128 v[6:9], v1 offset:1056
	s_waitcnt vmcnt(9) lgkmcnt(1)
	v_mul_f64 v[206:207], v[2:3], v[28:29]
	v_mul_f64 v[28:29], v[4:5], v[28:29]
	v_add_f64 v[198:199], v[198:199], v[210:211]
	v_add_f64 v[200:201], v[200:201], v[202:203]
	s_waitcnt vmcnt(8) lgkmcnt(0)
	v_mul_f64 v[202:203], v[6:7], v[32:33]
	v_mul_f64 v[32:33], v[8:9], v[32:33]
	;; [unrolled: 18-line block ×10, first 2 shown]
	v_fma_f64 v[202:203], v[4:5], v[10:11], v[202:203]
	v_fma_f64 v[210:211], v[2:3], v[10:11], -v[12:13]
	ds_load_b128 v[2:5], v1 offset:1328
	scratch_load_b128 v[10:13], off, off offset:672
	v_add_f64 v[198:199], v[198:199], v[208:209]
	v_add_f64 v[200:201], v[200:201], v[206:207]
	v_fma_f64 v[204:205], v[8:9], v[14:15], v[204:205]
	v_fma_f64 v[208:209], v[6:7], v[14:15], -v[16:17]
	ds_load_b128 v[6:9], v1 offset:1344
	s_waitcnt vmcnt(8) lgkmcnt(1)
	v_mul_f64 v[206:207], v[2:3], v[20:21]
	v_mul_f64 v[20:21], v[4:5], v[20:21]
	scratch_load_b128 v[14:17], off, off offset:688
	v_add_f64 v[198:199], v[198:199], v[210:211]
	v_add_f64 v[200:201], v[200:201], v[202:203]
	s_waitcnt vmcnt(8) lgkmcnt(0)
	v_mul_f64 v[202:203], v[6:7], v[24:25]
	v_mul_f64 v[24:25], v[8:9], v[24:25]
	v_fma_f64 v[206:207], v[4:5], v[18:19], v[206:207]
	v_fma_f64 v[210:211], v[2:3], v[18:19], -v[20:21]
	scratch_load_b128 v[18:21], off, off offset:704
	ds_load_b128 v[2:5], v1 offset:1360
	v_add_f64 v[198:199], v[198:199], v[208:209]
	v_add_f64 v[200:201], v[200:201], v[204:205]
	v_fma_f64 v[202:203], v[8:9], v[22:23], v[202:203]
	v_fma_f64 v[208:209], v[6:7], v[22:23], -v[24:25]
	ds_load_b128 v[6:9], v1 offset:1376
	s_waitcnt vmcnt(8) lgkmcnt(1)
	v_mul_f64 v[204:205], v[2:3], v[28:29]
	v_mul_f64 v[28:29], v[4:5], v[28:29]
	scratch_load_b128 v[22:25], off, off offset:720
	v_add_f64 v[198:199], v[198:199], v[210:211]
	v_add_f64 v[200:201], v[200:201], v[206:207]
	s_waitcnt vmcnt(8) lgkmcnt(0)
	v_mul_f64 v[206:207], v[6:7], v[32:33]
	v_mul_f64 v[32:33], v[8:9], v[32:33]
	v_fma_f64 v[204:205], v[4:5], v[26:27], v[204:205]
	v_fma_f64 v[210:211], v[2:3], v[26:27], -v[28:29]
	scratch_load_b128 v[26:29], off, off offset:736
	ds_load_b128 v[2:5], v1 offset:1392
	;; [unrolled: 18-line block ×3, first 2 shown]
	v_add_f64 v[198:199], v[198:199], v[208:209]
	v_add_f64 v[200:201], v[200:201], v[206:207]
	v_fma_f64 v[204:205], v[8:9], v[194:195], v[204:205]
	v_fma_f64 v[194:195], v[6:7], v[194:195], -v[196:197]
	ds_load_b128 v[6:9], v1 offset:1440
	s_waitcnt vmcnt(8) lgkmcnt(1)
	v_mul_f64 v[206:207], v[2:3], v[40:41]
	v_mul_f64 v[40:41], v[4:5], v[40:41]
	v_add_f64 v[196:197], v[198:199], v[210:211]
	v_add_f64 v[198:199], v[200:201], v[202:203]
	s_waitcnt vmcnt(7) lgkmcnt(0)
	v_mul_f64 v[200:201], v[6:7], v[192:193]
	v_mul_f64 v[192:193], v[8:9], v[192:193]
	v_fma_f64 v[202:203], v[4:5], v[38:39], v[206:207]
	v_fma_f64 v[38:39], v[2:3], v[38:39], -v[40:41]
	ds_load_b128 v[2:5], v1 offset:1456
	v_add_f64 v[40:41], v[196:197], v[194:195]
	v_add_f64 v[194:195], v[198:199], v[204:205]
	v_fma_f64 v[198:199], v[8:9], v[190:191], v[200:201]
	v_fma_f64 v[190:191], v[6:7], v[190:191], -v[192:193]
	ds_load_b128 v[6:9], v1 offset:1472
	s_waitcnt vmcnt(5) lgkmcnt(0)
	v_mul_f64 v[200:201], v[6:7], v[16:17]
	v_mul_f64 v[16:17], v[8:9], v[16:17]
	v_add_f64 v[192:193], v[40:41], v[38:39]
	v_add_f64 v[194:195], v[194:195], v[202:203]
	scratch_load_b128 v[38:41], off, off offset:144
	v_mul_f64 v[196:197], v[2:3], v[12:13]
	v_mul_f64 v[12:13], v[4:5], v[12:13]
	s_delay_alu instid0(VALU_DEP_2) | instskip(NEXT) | instid1(VALU_DEP_2)
	v_fma_f64 v[196:197], v[4:5], v[10:11], v[196:197]
	v_fma_f64 v[10:11], v[2:3], v[10:11], -v[12:13]
	v_add_f64 v[12:13], v[192:193], v[190:191]
	v_add_f64 v[190:191], v[194:195], v[198:199]
	ds_load_b128 v[2:5], v1 offset:1488
	v_fma_f64 v[194:195], v[8:9], v[14:15], v[200:201]
	v_fma_f64 v[14:15], v[6:7], v[14:15], -v[16:17]
	ds_load_b128 v[6:9], v1 offset:1504
	s_waitcnt vmcnt(5) lgkmcnt(1)
	v_mul_f64 v[192:193], v[2:3], v[20:21]
	v_mul_f64 v[20:21], v[4:5], v[20:21]
	s_waitcnt vmcnt(4) lgkmcnt(0)
	v_mul_f64 v[16:17], v[6:7], v[24:25]
	v_mul_f64 v[24:25], v[8:9], v[24:25]
	v_add_f64 v[10:11], v[12:13], v[10:11]
	v_add_f64 v[12:13], v[190:191], v[196:197]
	v_fma_f64 v[190:191], v[4:5], v[18:19], v[192:193]
	v_fma_f64 v[18:19], v[2:3], v[18:19], -v[20:21]
	ds_load_b128 v[2:5], v1 offset:1520
	v_fma_f64 v[16:17], v[8:9], v[22:23], v[16:17]
	v_fma_f64 v[22:23], v[6:7], v[22:23], -v[24:25]
	ds_load_b128 v[6:9], v1 offset:1536
	v_add_f64 v[10:11], v[10:11], v[14:15]
	v_add_f64 v[12:13], v[12:13], v[194:195]
	s_waitcnt vmcnt(3) lgkmcnt(1)
	v_mul_f64 v[14:15], v[2:3], v[28:29]
	v_mul_f64 v[20:21], v[4:5], v[28:29]
	s_waitcnt vmcnt(2) lgkmcnt(0)
	v_mul_f64 v[24:25], v[8:9], v[32:33]
	v_add_f64 v[10:11], v[10:11], v[18:19]
	v_add_f64 v[12:13], v[12:13], v[190:191]
	v_mul_f64 v[18:19], v[6:7], v[32:33]
	v_fma_f64 v[14:15], v[4:5], v[26:27], v[14:15]
	v_fma_f64 v[20:21], v[2:3], v[26:27], -v[20:21]
	ds_load_b128 v[2:5], v1 offset:1552
	v_fma_f64 v[6:7], v[6:7], v[30:31], -v[24:25]
	v_add_f64 v[10:11], v[10:11], v[22:23]
	v_add_f64 v[12:13], v[12:13], v[16:17]
	s_waitcnt vmcnt(1) lgkmcnt(0)
	v_mul_f64 v[16:17], v[2:3], v[36:37]
	v_mul_f64 v[22:23], v[4:5], v[36:37]
	v_fma_f64 v[8:9], v[8:9], v[30:31], v[18:19]
	v_add_f64 v[10:11], v[10:11], v[20:21]
	v_add_f64 v[12:13], v[12:13], v[14:15]
	v_fma_f64 v[4:5], v[4:5], v[34:35], v[16:17]
	v_fma_f64 v[2:3], v[2:3], v[34:35], -v[22:23]
	s_delay_alu instid0(VALU_DEP_4) | instskip(NEXT) | instid1(VALU_DEP_4)
	v_add_f64 v[6:7], v[10:11], v[6:7]
	v_add_f64 v[8:9], v[12:13], v[8:9]
	s_delay_alu instid0(VALU_DEP_2) | instskip(NEXT) | instid1(VALU_DEP_2)
	v_add_f64 v[2:3], v[6:7], v[2:3]
	v_add_f64 v[4:5], v[8:9], v[4:5]
	s_waitcnt vmcnt(0)
	s_delay_alu instid0(VALU_DEP_2) | instskip(NEXT) | instid1(VALU_DEP_2)
	v_add_f64 v[2:3], v[38:39], -v[2:3]
	v_add_f64 v[4:5], v[40:41], -v[4:5]
	scratch_store_b128 off, v[2:5], off offset:144
	v_cmpx_lt_u32_e32 8, v140
	s_cbranch_execz .LBB112_291
; %bb.290:
	scratch_load_b128 v[5:8], v181, off
	v_mov_b32_e32 v2, v1
	v_mov_b32_e32 v3, v1
	;; [unrolled: 1-line block ×3, first 2 shown]
	scratch_store_b128 off, v[1:4], off offset:128
	s_waitcnt vmcnt(0)
	ds_store_b128 v189, v[5:8]
.LBB112_291:
	s_or_b32 exec_lo, exec_lo, s2
	s_waitcnt lgkmcnt(0)
	s_waitcnt_vscnt null, 0x0
	s_barrier
	buffer_gl0_inv
	s_clause 0x7
	scratch_load_b128 v[2:5], off, off offset:144
	scratch_load_b128 v[6:9], off, off offset:160
	;; [unrolled: 1-line block ×8, first 2 shown]
	ds_load_b128 v[38:41], v1 offset:928
	ds_load_b128 v[190:193], v1 offset:944
	s_clause 0x1
	scratch_load_b128 v[34:37], off, off offset:272
	scratch_load_b128 v[194:197], off, off offset:288
	s_mov_b32 s2, exec_lo
	s_waitcnt vmcnt(9) lgkmcnt(1)
	v_mul_f64 v[198:199], v[40:41], v[4:5]
	v_mul_f64 v[4:5], v[38:39], v[4:5]
	s_waitcnt vmcnt(8) lgkmcnt(0)
	v_mul_f64 v[200:201], v[190:191], v[8:9]
	v_mul_f64 v[8:9], v[192:193], v[8:9]
	s_delay_alu instid0(VALU_DEP_4) | instskip(NEXT) | instid1(VALU_DEP_4)
	v_fma_f64 v[198:199], v[38:39], v[2:3], -v[198:199]
	v_fma_f64 v[202:203], v[40:41], v[2:3], v[4:5]
	ds_load_b128 v[2:5], v1 offset:960
	scratch_load_b128 v[38:41], off, off offset:304
	v_fma_f64 v[200:201], v[192:193], v[6:7], v[200:201]
	v_fma_f64 v[206:207], v[190:191], v[6:7], -v[8:9]
	scratch_load_b128 v[190:193], off, off offset:320
	ds_load_b128 v[6:9], v1 offset:976
	s_waitcnt vmcnt(9) lgkmcnt(1)
	v_mul_f64 v[204:205], v[2:3], v[12:13]
	v_mul_f64 v[12:13], v[4:5], v[12:13]
	s_waitcnt vmcnt(8) lgkmcnt(0)
	v_mul_f64 v[208:209], v[6:7], v[16:17]
	v_mul_f64 v[16:17], v[8:9], v[16:17]
	v_add_f64 v[198:199], v[198:199], 0
	v_add_f64 v[202:203], v[202:203], 0
	v_fma_f64 v[204:205], v[4:5], v[10:11], v[204:205]
	v_fma_f64 v[210:211], v[2:3], v[10:11], -v[12:13]
	ds_load_b128 v[2:5], v1 offset:992
	scratch_load_b128 v[10:13], off, off offset:336
	v_add_f64 v[198:199], v[198:199], v[206:207]
	v_add_f64 v[200:201], v[202:203], v[200:201]
	v_fma_f64 v[206:207], v[8:9], v[14:15], v[208:209]
	v_fma_f64 v[208:209], v[6:7], v[14:15], -v[16:17]
	scratch_load_b128 v[14:17], off, off offset:352
	ds_load_b128 v[6:9], v1 offset:1008
	s_waitcnt vmcnt(9) lgkmcnt(1)
	v_mul_f64 v[202:203], v[2:3], v[20:21]
	v_mul_f64 v[20:21], v[4:5], v[20:21]
	v_add_f64 v[198:199], v[198:199], v[210:211]
	v_add_f64 v[200:201], v[200:201], v[204:205]
	s_waitcnt vmcnt(8) lgkmcnt(0)
	v_mul_f64 v[204:205], v[6:7], v[24:25]
	v_mul_f64 v[24:25], v[8:9], v[24:25]
	v_fma_f64 v[202:203], v[4:5], v[18:19], v[202:203]
	v_fma_f64 v[210:211], v[2:3], v[18:19], -v[20:21]
	ds_load_b128 v[2:5], v1 offset:1024
	scratch_load_b128 v[18:21], off, off offset:368
	v_add_f64 v[198:199], v[198:199], v[208:209]
	v_add_f64 v[200:201], v[200:201], v[206:207]
	v_fma_f64 v[204:205], v[8:9], v[22:23], v[204:205]
	v_fma_f64 v[208:209], v[6:7], v[22:23], -v[24:25]
	scratch_load_b128 v[22:25], off, off offset:384
	ds_load_b128 v[6:9], v1 offset:1040
	s_waitcnt vmcnt(9) lgkmcnt(1)
	v_mul_f64 v[206:207], v[2:3], v[28:29]
	v_mul_f64 v[28:29], v[4:5], v[28:29]
	v_add_f64 v[198:199], v[198:199], v[210:211]
	v_add_f64 v[200:201], v[200:201], v[202:203]
	s_waitcnt vmcnt(8) lgkmcnt(0)
	v_mul_f64 v[202:203], v[6:7], v[32:33]
	v_mul_f64 v[32:33], v[8:9], v[32:33]
	;; [unrolled: 18-line block ×5, first 2 shown]
	v_fma_f64 v[206:207], v[4:5], v[10:11], v[206:207]
	v_fma_f64 v[210:211], v[2:3], v[10:11], -v[12:13]
	scratch_load_b128 v[10:13], off, off offset:496
	ds_load_b128 v[2:5], v1 offset:1152
	v_add_f64 v[198:199], v[198:199], v[208:209]
	v_add_f64 v[200:201], v[200:201], v[204:205]
	v_fma_f64 v[202:203], v[8:9], v[14:15], v[202:203]
	v_fma_f64 v[208:209], v[6:7], v[14:15], -v[16:17]
	ds_load_b128 v[6:9], v1 offset:1168
	s_waitcnt vmcnt(8) lgkmcnt(1)
	v_mul_f64 v[204:205], v[2:3], v[20:21]
	v_mul_f64 v[20:21], v[4:5], v[20:21]
	scratch_load_b128 v[14:17], off, off offset:512
	v_add_f64 v[198:199], v[198:199], v[210:211]
	v_add_f64 v[200:201], v[200:201], v[206:207]
	s_waitcnt vmcnt(8) lgkmcnt(0)
	v_mul_f64 v[206:207], v[6:7], v[24:25]
	v_mul_f64 v[24:25], v[8:9], v[24:25]
	v_fma_f64 v[204:205], v[4:5], v[18:19], v[204:205]
	v_fma_f64 v[210:211], v[2:3], v[18:19], -v[20:21]
	ds_load_b128 v[2:5], v1 offset:1184
	scratch_load_b128 v[18:21], off, off offset:528
	v_add_f64 v[198:199], v[198:199], v[208:209]
	v_add_f64 v[200:201], v[200:201], v[202:203]
	v_fma_f64 v[206:207], v[8:9], v[22:23], v[206:207]
	v_fma_f64 v[208:209], v[6:7], v[22:23], -v[24:25]
	scratch_load_b128 v[22:25], off, off offset:544
	ds_load_b128 v[6:9], v1 offset:1200
	s_waitcnt vmcnt(9) lgkmcnt(1)
	v_mul_f64 v[202:203], v[2:3], v[28:29]
	v_mul_f64 v[28:29], v[4:5], v[28:29]
	v_add_f64 v[198:199], v[198:199], v[210:211]
	v_add_f64 v[200:201], v[200:201], v[204:205]
	s_waitcnt vmcnt(8) lgkmcnt(0)
	v_mul_f64 v[204:205], v[6:7], v[32:33]
	v_mul_f64 v[32:33], v[8:9], v[32:33]
	v_fma_f64 v[202:203], v[4:5], v[26:27], v[202:203]
	v_fma_f64 v[210:211], v[2:3], v[26:27], -v[28:29]
	ds_load_b128 v[2:5], v1 offset:1216
	scratch_load_b128 v[26:29], off, off offset:560
	v_add_f64 v[198:199], v[198:199], v[208:209]
	v_add_f64 v[200:201], v[200:201], v[206:207]
	v_fma_f64 v[204:205], v[8:9], v[30:31], v[204:205]
	v_fma_f64 v[208:209], v[6:7], v[30:31], -v[32:33]
	scratch_load_b128 v[30:33], off, off offset:576
	ds_load_b128 v[6:9], v1 offset:1232
	s_waitcnt vmcnt(9) lgkmcnt(1)
	v_mul_f64 v[206:207], v[2:3], v[36:37]
	v_mul_f64 v[36:37], v[4:5], v[36:37]
	v_add_f64 v[198:199], v[198:199], v[210:211]
	v_add_f64 v[200:201], v[200:201], v[202:203]
	s_waitcnt vmcnt(8) lgkmcnt(0)
	v_mul_f64 v[202:203], v[6:7], v[196:197]
	v_mul_f64 v[196:197], v[8:9], v[196:197]
	v_fma_f64 v[206:207], v[4:5], v[34:35], v[206:207]
	v_fma_f64 v[210:211], v[2:3], v[34:35], -v[36:37]
	ds_load_b128 v[2:5], v1 offset:1248
	scratch_load_b128 v[34:37], off, off offset:592
	v_add_f64 v[198:199], v[198:199], v[208:209]
	v_add_f64 v[200:201], v[200:201], v[204:205]
	v_fma_f64 v[202:203], v[8:9], v[194:195], v[202:203]
	v_fma_f64 v[208:209], v[6:7], v[194:195], -v[196:197]
	scratch_load_b128 v[194:197], off, off offset:608
	ds_load_b128 v[6:9], v1 offset:1264
	s_waitcnt vmcnt(9) lgkmcnt(1)
	v_mul_f64 v[204:205], v[2:3], v[40:41]
	v_mul_f64 v[40:41], v[4:5], v[40:41]
	v_add_f64 v[198:199], v[198:199], v[210:211]
	v_add_f64 v[200:201], v[200:201], v[206:207]
	s_waitcnt vmcnt(8) lgkmcnt(0)
	v_mul_f64 v[206:207], v[6:7], v[192:193]
	v_mul_f64 v[192:193], v[8:9], v[192:193]
	v_fma_f64 v[204:205], v[4:5], v[38:39], v[204:205]
	v_fma_f64 v[210:211], v[2:3], v[38:39], -v[40:41]
	ds_load_b128 v[2:5], v1 offset:1280
	scratch_load_b128 v[38:41], off, off offset:624
	v_add_f64 v[198:199], v[198:199], v[208:209]
	v_add_f64 v[200:201], v[200:201], v[202:203]
	v_fma_f64 v[206:207], v[8:9], v[190:191], v[206:207]
	v_fma_f64 v[208:209], v[6:7], v[190:191], -v[192:193]
	ds_load_b128 v[6:9], v1 offset:1296
	s_waitcnt vmcnt(8) lgkmcnt(1)
	v_mul_f64 v[202:203], v[2:3], v[12:13]
	v_mul_f64 v[12:13], v[4:5], v[12:13]
	scratch_load_b128 v[190:193], off, off offset:640
	v_add_f64 v[198:199], v[198:199], v[210:211]
	v_add_f64 v[200:201], v[200:201], v[204:205]
	s_waitcnt vmcnt(8) lgkmcnt(0)
	v_mul_f64 v[204:205], v[6:7], v[16:17]
	v_mul_f64 v[16:17], v[8:9], v[16:17]
	v_fma_f64 v[202:203], v[4:5], v[10:11], v[202:203]
	v_fma_f64 v[210:211], v[2:3], v[10:11], -v[12:13]
	scratch_load_b128 v[10:13], off, off offset:656
	ds_load_b128 v[2:5], v1 offset:1312
	v_add_f64 v[198:199], v[198:199], v[208:209]
	v_add_f64 v[200:201], v[200:201], v[206:207]
	v_fma_f64 v[204:205], v[8:9], v[14:15], v[204:205]
	v_fma_f64 v[208:209], v[6:7], v[14:15], -v[16:17]
	ds_load_b128 v[6:9], v1 offset:1328
	s_waitcnt vmcnt(8) lgkmcnt(1)
	v_mul_f64 v[206:207], v[2:3], v[20:21]
	v_mul_f64 v[20:21], v[4:5], v[20:21]
	scratch_load_b128 v[14:17], off, off offset:672
	v_add_f64 v[198:199], v[198:199], v[210:211]
	v_add_f64 v[200:201], v[200:201], v[202:203]
	s_waitcnt vmcnt(8) lgkmcnt(0)
	v_mul_f64 v[202:203], v[6:7], v[24:25]
	v_mul_f64 v[24:25], v[8:9], v[24:25]
	v_fma_f64 v[206:207], v[4:5], v[18:19], v[206:207]
	v_fma_f64 v[210:211], v[2:3], v[18:19], -v[20:21]
	scratch_load_b128 v[18:21], off, off offset:688
	ds_load_b128 v[2:5], v1 offset:1344
	;; [unrolled: 18-line block ×4, first 2 shown]
	v_add_f64 v[198:199], v[198:199], v[208:209]
	v_add_f64 v[200:201], v[200:201], v[206:207]
	v_fma_f64 v[204:205], v[8:9], v[194:195], v[204:205]
	v_fma_f64 v[208:209], v[6:7], v[194:195], -v[196:197]
	ds_load_b128 v[6:9], v1 offset:1424
	s_waitcnt vmcnt(8) lgkmcnt(1)
	v_mul_f64 v[206:207], v[2:3], v[40:41]
	v_mul_f64 v[40:41], v[4:5], v[40:41]
	scratch_load_b128 v[194:197], off, off offset:768
	v_add_f64 v[198:199], v[198:199], v[210:211]
	v_add_f64 v[200:201], v[200:201], v[202:203]
	v_fma_f64 v[206:207], v[4:5], v[38:39], v[206:207]
	v_fma_f64 v[38:39], v[2:3], v[38:39], -v[40:41]
	ds_load_b128 v[2:5], v1 offset:1440
	v_add_f64 v[40:41], v[198:199], v[208:209]
	v_add_f64 v[198:199], v[200:201], v[204:205]
	s_waitcnt vmcnt(7) lgkmcnt(0)
	v_mul_f64 v[200:201], v[2:3], v[12:13]
	v_mul_f64 v[12:13], v[4:5], v[12:13]
	s_delay_alu instid0(VALU_DEP_4) | instskip(NEXT) | instid1(VALU_DEP_4)
	v_add_f64 v[38:39], v[40:41], v[38:39]
	v_add_f64 v[40:41], v[198:199], v[206:207]
	s_delay_alu instid0(VALU_DEP_4) | instskip(NEXT) | instid1(VALU_DEP_4)
	v_fma_f64 v[198:199], v[4:5], v[10:11], v[200:201]
	v_fma_f64 v[200:201], v[2:3], v[10:11], -v[12:13]
	scratch_load_b128 v[10:13], off, off offset:128
	v_mul_f64 v[202:203], v[6:7], v[192:193]
	v_mul_f64 v[192:193], v[8:9], v[192:193]
	ds_load_b128 v[2:5], v1 offset:1472
	v_fma_f64 v[202:203], v[8:9], v[190:191], v[202:203]
	v_fma_f64 v[190:191], v[6:7], v[190:191], -v[192:193]
	ds_load_b128 v[6:9], v1 offset:1456
	s_waitcnt vmcnt(7) lgkmcnt(0)
	v_mul_f64 v[192:193], v[6:7], v[16:17]
	v_mul_f64 v[16:17], v[8:9], v[16:17]
	v_add_f64 v[40:41], v[40:41], v[202:203]
	v_add_f64 v[38:39], v[38:39], v[190:191]
	s_waitcnt vmcnt(6)
	v_mul_f64 v[190:191], v[2:3], v[20:21]
	v_mul_f64 v[20:21], v[4:5], v[20:21]
	v_fma_f64 v[192:193], v[8:9], v[14:15], v[192:193]
	v_fma_f64 v[14:15], v[6:7], v[14:15], -v[16:17]
	ds_load_b128 v[6:9], v1 offset:1488
	v_add_f64 v[16:17], v[38:39], v[200:201]
	v_add_f64 v[38:39], v[40:41], v[198:199]
	v_fma_f64 v[190:191], v[4:5], v[18:19], v[190:191]
	v_fma_f64 v[18:19], v[2:3], v[18:19], -v[20:21]
	ds_load_b128 v[2:5], v1 offset:1504
	s_waitcnt vmcnt(5) lgkmcnt(1)
	v_mul_f64 v[40:41], v[6:7], v[24:25]
	v_mul_f64 v[24:25], v[8:9], v[24:25]
	s_waitcnt vmcnt(4) lgkmcnt(0)
	v_mul_f64 v[20:21], v[2:3], v[28:29]
	v_mul_f64 v[28:29], v[4:5], v[28:29]
	v_add_f64 v[14:15], v[16:17], v[14:15]
	v_add_f64 v[16:17], v[38:39], v[192:193]
	v_fma_f64 v[38:39], v[8:9], v[22:23], v[40:41]
	v_fma_f64 v[22:23], v[6:7], v[22:23], -v[24:25]
	ds_load_b128 v[6:9], v1 offset:1520
	v_fma_f64 v[20:21], v[4:5], v[26:27], v[20:21]
	v_fma_f64 v[26:27], v[2:3], v[26:27], -v[28:29]
	ds_load_b128 v[2:5], v1 offset:1536
	s_waitcnt vmcnt(3) lgkmcnt(1)
	v_mul_f64 v[24:25], v[8:9], v[32:33]
	v_add_f64 v[14:15], v[14:15], v[18:19]
	v_add_f64 v[16:17], v[16:17], v[190:191]
	v_mul_f64 v[18:19], v[6:7], v[32:33]
	s_waitcnt vmcnt(2) lgkmcnt(0)
	v_mul_f64 v[28:29], v[4:5], v[36:37]
	v_fma_f64 v[24:25], v[6:7], v[30:31], -v[24:25]
	v_add_f64 v[14:15], v[14:15], v[22:23]
	v_add_f64 v[16:17], v[16:17], v[38:39]
	v_mul_f64 v[22:23], v[2:3], v[36:37]
	v_fma_f64 v[18:19], v[8:9], v[30:31], v[18:19]
	ds_load_b128 v[6:9], v1 offset:1552
	v_fma_f64 v[1:2], v[2:3], v[34:35], -v[28:29]
	v_add_f64 v[14:15], v[14:15], v[26:27]
	v_add_f64 v[16:17], v[16:17], v[20:21]
	s_waitcnt vmcnt(1) lgkmcnt(0)
	v_mul_f64 v[20:21], v[6:7], v[196:197]
	v_mul_f64 v[26:27], v[8:9], v[196:197]
	v_fma_f64 v[4:5], v[4:5], v[34:35], v[22:23]
	v_add_f64 v[14:15], v[14:15], v[24:25]
	v_add_f64 v[16:17], v[16:17], v[18:19]
	v_fma_f64 v[8:9], v[8:9], v[194:195], v[20:21]
	v_fma_f64 v[6:7], v[6:7], v[194:195], -v[26:27]
	s_delay_alu instid0(VALU_DEP_4) | instskip(NEXT) | instid1(VALU_DEP_4)
	v_add_f64 v[1:2], v[14:15], v[1:2]
	v_add_f64 v[3:4], v[16:17], v[4:5]
	s_delay_alu instid0(VALU_DEP_2) | instskip(NEXT) | instid1(VALU_DEP_2)
	v_add_f64 v[1:2], v[1:2], v[6:7]
	v_add_f64 v[3:4], v[3:4], v[8:9]
	s_waitcnt vmcnt(0)
	s_delay_alu instid0(VALU_DEP_2) | instskip(NEXT) | instid1(VALU_DEP_2)
	v_add_f64 v[1:2], v[10:11], -v[1:2]
	v_add_f64 v[3:4], v[12:13], -v[3:4]
	scratch_store_b128 off, v[1:4], off offset:128
	v_cmpx_lt_u32_e32 7, v140
	s_cbranch_execz .LBB112_293
; %bb.292:
	scratch_load_b128 v[1:4], v182, off
	v_mov_b32_e32 v5, 0
	s_delay_alu instid0(VALU_DEP_1)
	v_mov_b32_e32 v6, v5
	v_mov_b32_e32 v7, v5
	;; [unrolled: 1-line block ×3, first 2 shown]
	scratch_store_b128 off, v[5:8], off offset:112
	s_waitcnt vmcnt(0)
	ds_store_b128 v189, v[1:4]
.LBB112_293:
	s_or_b32 exec_lo, exec_lo, s2
	s_waitcnt lgkmcnt(0)
	s_waitcnt_vscnt null, 0x0
	s_barrier
	buffer_gl0_inv
	s_clause 0x7
	scratch_load_b128 v[2:5], off, off offset:128
	scratch_load_b128 v[6:9], off, off offset:144
	;; [unrolled: 1-line block ×8, first 2 shown]
	v_mov_b32_e32 v1, 0
	s_clause 0x1
	scratch_load_b128 v[34:37], off, off offset:256
	scratch_load_b128 v[194:197], off, off offset:272
	s_mov_b32 s2, exec_lo
	ds_load_b128 v[38:41], v1 offset:912
	ds_load_b128 v[190:193], v1 offset:928
	s_waitcnt vmcnt(9) lgkmcnt(1)
	v_mul_f64 v[198:199], v[40:41], v[4:5]
	v_mul_f64 v[4:5], v[38:39], v[4:5]
	s_waitcnt vmcnt(8) lgkmcnt(0)
	v_mul_f64 v[200:201], v[190:191], v[8:9]
	v_mul_f64 v[8:9], v[192:193], v[8:9]
	s_delay_alu instid0(VALU_DEP_4) | instskip(NEXT) | instid1(VALU_DEP_4)
	v_fma_f64 v[198:199], v[38:39], v[2:3], -v[198:199]
	v_fma_f64 v[202:203], v[40:41], v[2:3], v[4:5]
	ds_load_b128 v[2:5], v1 offset:944
	scratch_load_b128 v[38:41], off, off offset:288
	v_fma_f64 v[200:201], v[192:193], v[6:7], v[200:201]
	v_fma_f64 v[206:207], v[190:191], v[6:7], -v[8:9]
	scratch_load_b128 v[190:193], off, off offset:304
	ds_load_b128 v[6:9], v1 offset:960
	s_waitcnt vmcnt(9) lgkmcnt(1)
	v_mul_f64 v[204:205], v[2:3], v[12:13]
	v_mul_f64 v[12:13], v[4:5], v[12:13]
	s_waitcnt vmcnt(8) lgkmcnt(0)
	v_mul_f64 v[208:209], v[6:7], v[16:17]
	v_mul_f64 v[16:17], v[8:9], v[16:17]
	v_add_f64 v[198:199], v[198:199], 0
	v_add_f64 v[202:203], v[202:203], 0
	v_fma_f64 v[204:205], v[4:5], v[10:11], v[204:205]
	v_fma_f64 v[210:211], v[2:3], v[10:11], -v[12:13]
	ds_load_b128 v[2:5], v1 offset:976
	scratch_load_b128 v[10:13], off, off offset:320
	v_add_f64 v[198:199], v[198:199], v[206:207]
	v_add_f64 v[200:201], v[202:203], v[200:201]
	v_fma_f64 v[206:207], v[8:9], v[14:15], v[208:209]
	v_fma_f64 v[208:209], v[6:7], v[14:15], -v[16:17]
	scratch_load_b128 v[14:17], off, off offset:336
	ds_load_b128 v[6:9], v1 offset:992
	s_waitcnt vmcnt(9) lgkmcnt(1)
	v_mul_f64 v[202:203], v[2:3], v[20:21]
	v_mul_f64 v[20:21], v[4:5], v[20:21]
	v_add_f64 v[198:199], v[198:199], v[210:211]
	v_add_f64 v[200:201], v[200:201], v[204:205]
	s_waitcnt vmcnt(8) lgkmcnt(0)
	v_mul_f64 v[204:205], v[6:7], v[24:25]
	v_mul_f64 v[24:25], v[8:9], v[24:25]
	v_fma_f64 v[202:203], v[4:5], v[18:19], v[202:203]
	v_fma_f64 v[210:211], v[2:3], v[18:19], -v[20:21]
	ds_load_b128 v[2:5], v1 offset:1008
	scratch_load_b128 v[18:21], off, off offset:352
	v_add_f64 v[198:199], v[198:199], v[208:209]
	v_add_f64 v[200:201], v[200:201], v[206:207]
	v_fma_f64 v[204:205], v[8:9], v[22:23], v[204:205]
	v_fma_f64 v[208:209], v[6:7], v[22:23], -v[24:25]
	scratch_load_b128 v[22:25], off, off offset:368
	ds_load_b128 v[6:9], v1 offset:1024
	s_waitcnt vmcnt(9) lgkmcnt(1)
	v_mul_f64 v[206:207], v[2:3], v[28:29]
	v_mul_f64 v[28:29], v[4:5], v[28:29]
	v_add_f64 v[198:199], v[198:199], v[210:211]
	v_add_f64 v[200:201], v[200:201], v[202:203]
	s_waitcnt vmcnt(8) lgkmcnt(0)
	v_mul_f64 v[202:203], v[6:7], v[32:33]
	v_mul_f64 v[32:33], v[8:9], v[32:33]
	;; [unrolled: 18-line block ×11, first 2 shown]
	v_fma_f64 v[206:207], v[4:5], v[18:19], v[206:207]
	v_fma_f64 v[210:211], v[2:3], v[18:19], -v[20:21]
	ds_load_b128 v[2:5], v1 offset:1328
	scratch_load_b128 v[18:21], off, off offset:672
	v_add_f64 v[198:199], v[198:199], v[208:209]
	v_add_f64 v[200:201], v[200:201], v[204:205]
	v_fma_f64 v[202:203], v[8:9], v[22:23], v[202:203]
	v_fma_f64 v[208:209], v[6:7], v[22:23], -v[24:25]
	ds_load_b128 v[6:9], v1 offset:1344
	s_waitcnt vmcnt(8) lgkmcnt(1)
	v_mul_f64 v[204:205], v[2:3], v[28:29]
	v_mul_f64 v[28:29], v[4:5], v[28:29]
	scratch_load_b128 v[22:25], off, off offset:688
	v_add_f64 v[198:199], v[198:199], v[210:211]
	v_add_f64 v[200:201], v[200:201], v[206:207]
	s_waitcnt vmcnt(8) lgkmcnt(0)
	v_mul_f64 v[206:207], v[6:7], v[32:33]
	v_mul_f64 v[32:33], v[8:9], v[32:33]
	v_fma_f64 v[204:205], v[4:5], v[26:27], v[204:205]
	v_fma_f64 v[210:211], v[2:3], v[26:27], -v[28:29]
	scratch_load_b128 v[26:29], off, off offset:704
	ds_load_b128 v[2:5], v1 offset:1360
	v_add_f64 v[198:199], v[198:199], v[208:209]
	v_add_f64 v[200:201], v[200:201], v[202:203]
	v_fma_f64 v[206:207], v[8:9], v[30:31], v[206:207]
	v_fma_f64 v[208:209], v[6:7], v[30:31], -v[32:33]
	ds_load_b128 v[6:9], v1 offset:1376
	s_waitcnt vmcnt(8) lgkmcnt(1)
	v_mul_f64 v[202:203], v[2:3], v[36:37]
	v_mul_f64 v[36:37], v[4:5], v[36:37]
	scratch_load_b128 v[30:33], off, off offset:720
	v_add_f64 v[198:199], v[198:199], v[210:211]
	v_add_f64 v[200:201], v[200:201], v[204:205]
	s_waitcnt vmcnt(8) lgkmcnt(0)
	v_mul_f64 v[204:205], v[6:7], v[196:197]
	v_mul_f64 v[196:197], v[8:9], v[196:197]
	v_fma_f64 v[202:203], v[4:5], v[34:35], v[202:203]
	v_fma_f64 v[210:211], v[2:3], v[34:35], -v[36:37]
	scratch_load_b128 v[34:37], off, off offset:736
	ds_load_b128 v[2:5], v1 offset:1392
	;; [unrolled: 18-line block ×3, first 2 shown]
	v_add_f64 v[198:199], v[198:199], v[208:209]
	v_add_f64 v[200:201], v[200:201], v[204:205]
	v_fma_f64 v[202:203], v[8:9], v[190:191], v[202:203]
	v_fma_f64 v[190:191], v[6:7], v[190:191], -v[192:193]
	ds_load_b128 v[6:9], v1 offset:1440
	s_waitcnt vmcnt(8) lgkmcnt(1)
	v_mul_f64 v[204:205], v[2:3], v[12:13]
	v_mul_f64 v[12:13], v[4:5], v[12:13]
	v_add_f64 v[192:193], v[198:199], v[210:211]
	v_add_f64 v[198:199], v[200:201], v[206:207]
	s_waitcnt vmcnt(7) lgkmcnt(0)
	v_mul_f64 v[200:201], v[6:7], v[16:17]
	v_mul_f64 v[16:17], v[8:9], v[16:17]
	v_fma_f64 v[204:205], v[4:5], v[10:11], v[204:205]
	v_fma_f64 v[10:11], v[2:3], v[10:11], -v[12:13]
	ds_load_b128 v[2:5], v1 offset:1456
	v_add_f64 v[12:13], v[192:193], v[190:191]
	v_add_f64 v[190:191], v[198:199], v[202:203]
	v_fma_f64 v[198:199], v[8:9], v[14:15], v[200:201]
	v_fma_f64 v[14:15], v[6:7], v[14:15], -v[16:17]
	ds_load_b128 v[6:9], v1 offset:1472
	s_waitcnt vmcnt(5) lgkmcnt(0)
	v_mul_f64 v[200:201], v[6:7], v[24:25]
	v_mul_f64 v[24:25], v[8:9], v[24:25]
	v_add_f64 v[16:17], v[12:13], v[10:11]
	v_add_f64 v[190:191], v[190:191], v[204:205]
	scratch_load_b128 v[10:13], off, off offset:112
	v_mul_f64 v[192:193], v[2:3], v[20:21]
	v_mul_f64 v[20:21], v[4:5], v[20:21]
	v_add_f64 v[14:15], v[16:17], v[14:15]
	v_add_f64 v[16:17], v[190:191], v[198:199]
	v_fma_f64 v[190:191], v[8:9], v[22:23], v[200:201]
	v_fma_f64 v[192:193], v[4:5], v[18:19], v[192:193]
	v_fma_f64 v[18:19], v[2:3], v[18:19], -v[20:21]
	ds_load_b128 v[2:5], v1 offset:1488
	v_fma_f64 v[22:23], v[6:7], v[22:23], -v[24:25]
	ds_load_b128 v[6:9], v1 offset:1504
	s_waitcnt vmcnt(5) lgkmcnt(1)
	v_mul_f64 v[20:21], v[2:3], v[28:29]
	v_mul_f64 v[28:29], v[4:5], v[28:29]
	s_waitcnt vmcnt(4) lgkmcnt(0)
	v_mul_f64 v[24:25], v[8:9], v[32:33]
	v_add_f64 v[16:17], v[16:17], v[192:193]
	v_add_f64 v[14:15], v[14:15], v[18:19]
	v_mul_f64 v[18:19], v[6:7], v[32:33]
	v_fma_f64 v[20:21], v[4:5], v[26:27], v[20:21]
	v_fma_f64 v[26:27], v[2:3], v[26:27], -v[28:29]
	ds_load_b128 v[2:5], v1 offset:1520
	v_fma_f64 v[24:25], v[6:7], v[30:31], -v[24:25]
	v_add_f64 v[16:17], v[16:17], v[190:191]
	v_add_f64 v[14:15], v[14:15], v[22:23]
	v_fma_f64 v[18:19], v[8:9], v[30:31], v[18:19]
	ds_load_b128 v[6:9], v1 offset:1536
	s_waitcnt vmcnt(3) lgkmcnt(1)
	v_mul_f64 v[22:23], v[2:3], v[36:37]
	v_mul_f64 v[28:29], v[4:5], v[36:37]
	v_add_f64 v[16:17], v[16:17], v[20:21]
	v_add_f64 v[14:15], v[14:15], v[26:27]
	s_waitcnt vmcnt(2) lgkmcnt(0)
	v_mul_f64 v[20:21], v[6:7], v[196:197]
	v_mul_f64 v[26:27], v[8:9], v[196:197]
	v_fma_f64 v[22:23], v[4:5], v[34:35], v[22:23]
	v_fma_f64 v[28:29], v[2:3], v[34:35], -v[28:29]
	ds_load_b128 v[2:5], v1 offset:1552
	v_add_f64 v[16:17], v[16:17], v[18:19]
	v_add_f64 v[14:15], v[14:15], v[24:25]
	s_waitcnt vmcnt(1) lgkmcnt(0)
	v_mul_f64 v[18:19], v[2:3], v[40:41]
	v_mul_f64 v[24:25], v[4:5], v[40:41]
	v_fma_f64 v[8:9], v[8:9], v[194:195], v[20:21]
	v_fma_f64 v[6:7], v[6:7], v[194:195], -v[26:27]
	v_add_f64 v[16:17], v[16:17], v[22:23]
	v_add_f64 v[14:15], v[14:15], v[28:29]
	v_fma_f64 v[4:5], v[4:5], v[38:39], v[18:19]
	v_fma_f64 v[2:3], v[2:3], v[38:39], -v[24:25]
	s_delay_alu instid0(VALU_DEP_4) | instskip(NEXT) | instid1(VALU_DEP_4)
	v_add_f64 v[8:9], v[16:17], v[8:9]
	v_add_f64 v[6:7], v[14:15], v[6:7]
	s_delay_alu instid0(VALU_DEP_2) | instskip(NEXT) | instid1(VALU_DEP_2)
	v_add_f64 v[4:5], v[8:9], v[4:5]
	v_add_f64 v[2:3], v[6:7], v[2:3]
	s_waitcnt vmcnt(0)
	s_delay_alu instid0(VALU_DEP_2) | instskip(NEXT) | instid1(VALU_DEP_2)
	v_add_f64 v[4:5], v[12:13], -v[4:5]
	v_add_f64 v[2:3], v[10:11], -v[2:3]
	scratch_store_b128 off, v[2:5], off offset:112
	v_cmpx_lt_u32_e32 6, v140
	s_cbranch_execz .LBB112_295
; %bb.294:
	scratch_load_b128 v[5:8], v183, off
	v_mov_b32_e32 v2, v1
	v_mov_b32_e32 v3, v1
	;; [unrolled: 1-line block ×3, first 2 shown]
	scratch_store_b128 off, v[1:4], off offset:96
	s_waitcnt vmcnt(0)
	ds_store_b128 v189, v[5:8]
.LBB112_295:
	s_or_b32 exec_lo, exec_lo, s2
	s_waitcnt lgkmcnt(0)
	s_waitcnt_vscnt null, 0x0
	s_barrier
	buffer_gl0_inv
	s_clause 0x7
	scratch_load_b128 v[2:5], off, off offset:112
	scratch_load_b128 v[6:9], off, off offset:128
	;; [unrolled: 1-line block ×8, first 2 shown]
	ds_load_b128 v[38:41], v1 offset:896
	ds_load_b128 v[190:193], v1 offset:912
	s_clause 0x1
	scratch_load_b128 v[34:37], off, off offset:240
	scratch_load_b128 v[194:197], off, off offset:256
	s_mov_b32 s2, exec_lo
	s_waitcnt vmcnt(9) lgkmcnt(1)
	v_mul_f64 v[198:199], v[40:41], v[4:5]
	v_mul_f64 v[4:5], v[38:39], v[4:5]
	s_waitcnt vmcnt(8) lgkmcnt(0)
	v_mul_f64 v[200:201], v[190:191], v[8:9]
	v_mul_f64 v[8:9], v[192:193], v[8:9]
	s_delay_alu instid0(VALU_DEP_4) | instskip(NEXT) | instid1(VALU_DEP_4)
	v_fma_f64 v[198:199], v[38:39], v[2:3], -v[198:199]
	v_fma_f64 v[202:203], v[40:41], v[2:3], v[4:5]
	ds_load_b128 v[2:5], v1 offset:928
	scratch_load_b128 v[38:41], off, off offset:272
	v_fma_f64 v[200:201], v[192:193], v[6:7], v[200:201]
	v_fma_f64 v[206:207], v[190:191], v[6:7], -v[8:9]
	scratch_load_b128 v[190:193], off, off offset:288
	ds_load_b128 v[6:9], v1 offset:944
	s_waitcnt vmcnt(9) lgkmcnt(1)
	v_mul_f64 v[204:205], v[2:3], v[12:13]
	v_mul_f64 v[12:13], v[4:5], v[12:13]
	s_waitcnt vmcnt(8) lgkmcnt(0)
	v_mul_f64 v[208:209], v[6:7], v[16:17]
	v_mul_f64 v[16:17], v[8:9], v[16:17]
	v_add_f64 v[198:199], v[198:199], 0
	v_add_f64 v[202:203], v[202:203], 0
	v_fma_f64 v[204:205], v[4:5], v[10:11], v[204:205]
	v_fma_f64 v[210:211], v[2:3], v[10:11], -v[12:13]
	ds_load_b128 v[2:5], v1 offset:960
	scratch_load_b128 v[10:13], off, off offset:304
	v_add_f64 v[198:199], v[198:199], v[206:207]
	v_add_f64 v[200:201], v[202:203], v[200:201]
	v_fma_f64 v[206:207], v[8:9], v[14:15], v[208:209]
	v_fma_f64 v[208:209], v[6:7], v[14:15], -v[16:17]
	scratch_load_b128 v[14:17], off, off offset:320
	ds_load_b128 v[6:9], v1 offset:976
	s_waitcnt vmcnt(9) lgkmcnt(1)
	v_mul_f64 v[202:203], v[2:3], v[20:21]
	v_mul_f64 v[20:21], v[4:5], v[20:21]
	v_add_f64 v[198:199], v[198:199], v[210:211]
	v_add_f64 v[200:201], v[200:201], v[204:205]
	s_waitcnt vmcnt(8) lgkmcnt(0)
	v_mul_f64 v[204:205], v[6:7], v[24:25]
	v_mul_f64 v[24:25], v[8:9], v[24:25]
	v_fma_f64 v[202:203], v[4:5], v[18:19], v[202:203]
	v_fma_f64 v[210:211], v[2:3], v[18:19], -v[20:21]
	ds_load_b128 v[2:5], v1 offset:992
	scratch_load_b128 v[18:21], off, off offset:336
	v_add_f64 v[198:199], v[198:199], v[208:209]
	v_add_f64 v[200:201], v[200:201], v[206:207]
	v_fma_f64 v[204:205], v[8:9], v[22:23], v[204:205]
	v_fma_f64 v[208:209], v[6:7], v[22:23], -v[24:25]
	scratch_load_b128 v[22:25], off, off offset:352
	ds_load_b128 v[6:9], v1 offset:1008
	s_waitcnt vmcnt(9) lgkmcnt(1)
	v_mul_f64 v[206:207], v[2:3], v[28:29]
	v_mul_f64 v[28:29], v[4:5], v[28:29]
	v_add_f64 v[198:199], v[198:199], v[210:211]
	v_add_f64 v[200:201], v[200:201], v[202:203]
	s_waitcnt vmcnt(8) lgkmcnt(0)
	v_mul_f64 v[202:203], v[6:7], v[32:33]
	v_mul_f64 v[32:33], v[8:9], v[32:33]
	;; [unrolled: 18-line block ×11, first 2 shown]
	v_fma_f64 v[206:207], v[4:5], v[18:19], v[206:207]
	v_fma_f64 v[210:211], v[2:3], v[18:19], -v[20:21]
	ds_load_b128 v[2:5], v1 offset:1312
	scratch_load_b128 v[18:21], off, off offset:656
	v_add_f64 v[198:199], v[198:199], v[208:209]
	v_add_f64 v[200:201], v[200:201], v[204:205]
	v_fma_f64 v[202:203], v[8:9], v[22:23], v[202:203]
	v_fma_f64 v[208:209], v[6:7], v[22:23], -v[24:25]
	ds_load_b128 v[6:9], v1 offset:1328
	s_waitcnt vmcnt(8) lgkmcnt(1)
	v_mul_f64 v[204:205], v[2:3], v[28:29]
	v_mul_f64 v[28:29], v[4:5], v[28:29]
	scratch_load_b128 v[22:25], off, off offset:672
	v_add_f64 v[198:199], v[198:199], v[210:211]
	v_add_f64 v[200:201], v[200:201], v[206:207]
	s_waitcnt vmcnt(8) lgkmcnt(0)
	v_mul_f64 v[206:207], v[6:7], v[32:33]
	v_mul_f64 v[32:33], v[8:9], v[32:33]
	v_fma_f64 v[204:205], v[4:5], v[26:27], v[204:205]
	v_fma_f64 v[210:211], v[2:3], v[26:27], -v[28:29]
	ds_load_b128 v[2:5], v1 offset:1344
	scratch_load_b128 v[26:29], off, off offset:688
	v_add_f64 v[198:199], v[198:199], v[208:209]
	v_add_f64 v[200:201], v[200:201], v[202:203]
	v_fma_f64 v[206:207], v[8:9], v[30:31], v[206:207]
	v_fma_f64 v[208:209], v[6:7], v[30:31], -v[32:33]
	ds_load_b128 v[6:9], v1 offset:1360
	s_waitcnt vmcnt(8) lgkmcnt(1)
	v_mul_f64 v[202:203], v[2:3], v[36:37]
	v_mul_f64 v[36:37], v[4:5], v[36:37]
	scratch_load_b128 v[30:33], off, off offset:704
	v_add_f64 v[198:199], v[198:199], v[210:211]
	v_add_f64 v[200:201], v[200:201], v[204:205]
	s_waitcnt vmcnt(8) lgkmcnt(0)
	v_mul_f64 v[204:205], v[6:7], v[196:197]
	v_mul_f64 v[196:197], v[8:9], v[196:197]
	v_fma_f64 v[202:203], v[4:5], v[34:35], v[202:203]
	v_fma_f64 v[210:211], v[2:3], v[34:35], -v[36:37]
	scratch_load_b128 v[34:37], off, off offset:720
	ds_load_b128 v[2:5], v1 offset:1376
	v_add_f64 v[198:199], v[198:199], v[208:209]
	v_add_f64 v[200:201], v[200:201], v[206:207]
	v_fma_f64 v[204:205], v[8:9], v[194:195], v[204:205]
	v_fma_f64 v[208:209], v[6:7], v[194:195], -v[196:197]
	ds_load_b128 v[6:9], v1 offset:1392
	s_waitcnt vmcnt(8) lgkmcnt(1)
	v_mul_f64 v[206:207], v[2:3], v[40:41]
	v_mul_f64 v[40:41], v[4:5], v[40:41]
	scratch_load_b128 v[194:197], off, off offset:736
	v_add_f64 v[198:199], v[198:199], v[210:211]
	v_add_f64 v[200:201], v[200:201], v[202:203]
	s_waitcnt vmcnt(8) lgkmcnt(0)
	v_mul_f64 v[202:203], v[6:7], v[192:193]
	v_mul_f64 v[192:193], v[8:9], v[192:193]
	v_fma_f64 v[206:207], v[4:5], v[38:39], v[206:207]
	v_fma_f64 v[210:211], v[2:3], v[38:39], -v[40:41]
	scratch_load_b128 v[38:41], off, off offset:752
	ds_load_b128 v[2:5], v1 offset:1408
	v_add_f64 v[198:199], v[198:199], v[208:209]
	v_add_f64 v[200:201], v[200:201], v[204:205]
	v_fma_f64 v[202:203], v[8:9], v[190:191], v[202:203]
	v_fma_f64 v[208:209], v[6:7], v[190:191], -v[192:193]
	ds_load_b128 v[6:9], v1 offset:1424
	s_waitcnt vmcnt(8) lgkmcnt(1)
	v_mul_f64 v[204:205], v[2:3], v[12:13]
	v_mul_f64 v[12:13], v[4:5], v[12:13]
	scratch_load_b128 v[190:193], off, off offset:768
	v_add_f64 v[198:199], v[198:199], v[210:211]
	v_add_f64 v[200:201], v[200:201], v[206:207]
	s_waitcnt vmcnt(8) lgkmcnt(0)
	v_mul_f64 v[206:207], v[6:7], v[16:17]
	v_mul_f64 v[16:17], v[8:9], v[16:17]
	v_fma_f64 v[204:205], v[4:5], v[10:11], v[204:205]
	v_fma_f64 v[10:11], v[2:3], v[10:11], -v[12:13]
	ds_load_b128 v[2:5], v1 offset:1440
	v_add_f64 v[12:13], v[198:199], v[208:209]
	v_add_f64 v[198:199], v[200:201], v[202:203]
	v_fma_f64 v[202:203], v[8:9], v[14:15], v[206:207]
	v_fma_f64 v[14:15], v[6:7], v[14:15], -v[16:17]
	ds_load_b128 v[6:9], v1 offset:1456
	s_waitcnt vmcnt(7) lgkmcnt(1)
	v_mul_f64 v[200:201], v[2:3], v[20:21]
	v_mul_f64 v[20:21], v[4:5], v[20:21]
	v_add_f64 v[10:11], v[12:13], v[10:11]
	v_add_f64 v[12:13], v[198:199], v[204:205]
	s_delay_alu instid0(VALU_DEP_4) | instskip(NEXT) | instid1(VALU_DEP_4)
	v_fma_f64 v[198:199], v[4:5], v[18:19], v[200:201]
	v_fma_f64 v[18:19], v[2:3], v[18:19], -v[20:21]
	ds_load_b128 v[2:5], v1 offset:1472
	v_add_f64 v[14:15], v[10:11], v[14:15]
	v_add_f64 v[20:21], v[12:13], v[202:203]
	scratch_load_b128 v[10:13], off, off offset:96
	s_waitcnt vmcnt(7) lgkmcnt(1)
	v_mul_f64 v[16:17], v[6:7], v[24:25]
	v_mul_f64 v[24:25], v[8:9], v[24:25]
	v_add_f64 v[14:15], v[14:15], v[18:19]
	v_add_f64 v[18:19], v[20:21], v[198:199]
	s_delay_alu instid0(VALU_DEP_4) | instskip(NEXT) | instid1(VALU_DEP_4)
	v_fma_f64 v[16:17], v[8:9], v[22:23], v[16:17]
	v_fma_f64 v[22:23], v[6:7], v[22:23], -v[24:25]
	ds_load_b128 v[6:9], v1 offset:1488
	s_waitcnt vmcnt(6) lgkmcnt(1)
	v_mul_f64 v[200:201], v[2:3], v[28:29]
	v_mul_f64 v[28:29], v[4:5], v[28:29]
	s_waitcnt vmcnt(5) lgkmcnt(0)
	v_mul_f64 v[20:21], v[6:7], v[32:33]
	v_mul_f64 v[24:25], v[8:9], v[32:33]
	v_add_f64 v[16:17], v[18:19], v[16:17]
	v_add_f64 v[14:15], v[14:15], v[22:23]
	v_fma_f64 v[32:33], v[4:5], v[26:27], v[200:201]
	v_fma_f64 v[26:27], v[2:3], v[26:27], -v[28:29]
	ds_load_b128 v[2:5], v1 offset:1504
	v_fma_f64 v[20:21], v[8:9], v[30:31], v[20:21]
	v_fma_f64 v[24:25], v[6:7], v[30:31], -v[24:25]
	ds_load_b128 v[6:9], v1 offset:1520
	s_waitcnt vmcnt(4) lgkmcnt(1)
	v_mul_f64 v[18:19], v[2:3], v[36:37]
	v_mul_f64 v[22:23], v[4:5], v[36:37]
	v_add_f64 v[16:17], v[16:17], v[32:33]
	v_add_f64 v[14:15], v[14:15], v[26:27]
	s_waitcnt vmcnt(3) lgkmcnt(0)
	v_mul_f64 v[26:27], v[6:7], v[196:197]
	v_mul_f64 v[28:29], v[8:9], v[196:197]
	v_fma_f64 v[18:19], v[4:5], v[34:35], v[18:19]
	v_fma_f64 v[22:23], v[2:3], v[34:35], -v[22:23]
	ds_load_b128 v[2:5], v1 offset:1536
	v_add_f64 v[16:17], v[16:17], v[20:21]
	v_add_f64 v[14:15], v[14:15], v[24:25]
	v_fma_f64 v[26:27], v[8:9], v[194:195], v[26:27]
	v_fma_f64 v[28:29], v[6:7], v[194:195], -v[28:29]
	ds_load_b128 v[6:9], v1 offset:1552
	s_waitcnt vmcnt(2) lgkmcnt(1)
	v_mul_f64 v[20:21], v[2:3], v[40:41]
	v_mul_f64 v[24:25], v[4:5], v[40:41]
	v_add_f64 v[16:17], v[16:17], v[18:19]
	v_add_f64 v[14:15], v[14:15], v[22:23]
	s_waitcnt vmcnt(1) lgkmcnt(0)
	v_mul_f64 v[18:19], v[6:7], v[192:193]
	v_mul_f64 v[22:23], v[8:9], v[192:193]
	v_fma_f64 v[4:5], v[4:5], v[38:39], v[20:21]
	v_fma_f64 v[1:2], v[2:3], v[38:39], -v[24:25]
	v_add_f64 v[16:17], v[16:17], v[26:27]
	v_add_f64 v[14:15], v[14:15], v[28:29]
	v_fma_f64 v[8:9], v[8:9], v[190:191], v[18:19]
	v_fma_f64 v[6:7], v[6:7], v[190:191], -v[22:23]
	s_delay_alu instid0(VALU_DEP_4) | instskip(NEXT) | instid1(VALU_DEP_4)
	v_add_f64 v[3:4], v[16:17], v[4:5]
	v_add_f64 v[1:2], v[14:15], v[1:2]
	s_delay_alu instid0(VALU_DEP_2) | instskip(NEXT) | instid1(VALU_DEP_2)
	v_add_f64 v[3:4], v[3:4], v[8:9]
	v_add_f64 v[1:2], v[1:2], v[6:7]
	s_waitcnt vmcnt(0)
	s_delay_alu instid0(VALU_DEP_2) | instskip(NEXT) | instid1(VALU_DEP_2)
	v_add_f64 v[3:4], v[12:13], -v[3:4]
	v_add_f64 v[1:2], v[10:11], -v[1:2]
	scratch_store_b128 off, v[1:4], off offset:96
	v_cmpx_lt_u32_e32 5, v140
	s_cbranch_execz .LBB112_297
; %bb.296:
	scratch_load_b128 v[1:4], v184, off
	v_mov_b32_e32 v5, 0
	s_delay_alu instid0(VALU_DEP_1)
	v_mov_b32_e32 v6, v5
	v_mov_b32_e32 v7, v5
	;; [unrolled: 1-line block ×3, first 2 shown]
	scratch_store_b128 off, v[5:8], off offset:80
	s_waitcnt vmcnt(0)
	ds_store_b128 v189, v[1:4]
.LBB112_297:
	s_or_b32 exec_lo, exec_lo, s2
	s_waitcnt lgkmcnt(0)
	s_waitcnt_vscnt null, 0x0
	s_barrier
	buffer_gl0_inv
	s_clause 0x7
	scratch_load_b128 v[2:5], off, off offset:96
	scratch_load_b128 v[6:9], off, off offset:112
	;; [unrolled: 1-line block ×8, first 2 shown]
	v_mov_b32_e32 v1, 0
	s_clause 0x1
	scratch_load_b128 v[34:37], off, off offset:224
	scratch_load_b128 v[194:197], off, off offset:240
	s_mov_b32 s2, exec_lo
	ds_load_b128 v[38:41], v1 offset:880
	ds_load_b128 v[190:193], v1 offset:896
	s_waitcnt vmcnt(9) lgkmcnt(1)
	v_mul_f64 v[198:199], v[40:41], v[4:5]
	v_mul_f64 v[4:5], v[38:39], v[4:5]
	s_waitcnt vmcnt(8) lgkmcnt(0)
	v_mul_f64 v[200:201], v[190:191], v[8:9]
	v_mul_f64 v[8:9], v[192:193], v[8:9]
	s_delay_alu instid0(VALU_DEP_4) | instskip(NEXT) | instid1(VALU_DEP_4)
	v_fma_f64 v[198:199], v[38:39], v[2:3], -v[198:199]
	v_fma_f64 v[202:203], v[40:41], v[2:3], v[4:5]
	ds_load_b128 v[2:5], v1 offset:912
	scratch_load_b128 v[38:41], off, off offset:256
	v_fma_f64 v[200:201], v[192:193], v[6:7], v[200:201]
	v_fma_f64 v[206:207], v[190:191], v[6:7], -v[8:9]
	scratch_load_b128 v[190:193], off, off offset:272
	ds_load_b128 v[6:9], v1 offset:928
	s_waitcnt vmcnt(9) lgkmcnt(1)
	v_mul_f64 v[204:205], v[2:3], v[12:13]
	v_mul_f64 v[12:13], v[4:5], v[12:13]
	s_waitcnt vmcnt(8) lgkmcnt(0)
	v_mul_f64 v[208:209], v[6:7], v[16:17]
	v_mul_f64 v[16:17], v[8:9], v[16:17]
	v_add_f64 v[198:199], v[198:199], 0
	v_add_f64 v[202:203], v[202:203], 0
	v_fma_f64 v[204:205], v[4:5], v[10:11], v[204:205]
	v_fma_f64 v[210:211], v[2:3], v[10:11], -v[12:13]
	ds_load_b128 v[2:5], v1 offset:944
	scratch_load_b128 v[10:13], off, off offset:288
	v_add_f64 v[198:199], v[198:199], v[206:207]
	v_add_f64 v[200:201], v[202:203], v[200:201]
	v_fma_f64 v[206:207], v[8:9], v[14:15], v[208:209]
	v_fma_f64 v[208:209], v[6:7], v[14:15], -v[16:17]
	scratch_load_b128 v[14:17], off, off offset:304
	ds_load_b128 v[6:9], v1 offset:960
	s_waitcnt vmcnt(9) lgkmcnt(1)
	v_mul_f64 v[202:203], v[2:3], v[20:21]
	v_mul_f64 v[20:21], v[4:5], v[20:21]
	v_add_f64 v[198:199], v[198:199], v[210:211]
	v_add_f64 v[200:201], v[200:201], v[204:205]
	s_waitcnt vmcnt(8) lgkmcnt(0)
	v_mul_f64 v[204:205], v[6:7], v[24:25]
	v_mul_f64 v[24:25], v[8:9], v[24:25]
	v_fma_f64 v[202:203], v[4:5], v[18:19], v[202:203]
	v_fma_f64 v[210:211], v[2:3], v[18:19], -v[20:21]
	ds_load_b128 v[2:5], v1 offset:976
	scratch_load_b128 v[18:21], off, off offset:320
	v_add_f64 v[198:199], v[198:199], v[208:209]
	v_add_f64 v[200:201], v[200:201], v[206:207]
	v_fma_f64 v[204:205], v[8:9], v[22:23], v[204:205]
	v_fma_f64 v[208:209], v[6:7], v[22:23], -v[24:25]
	scratch_load_b128 v[22:25], off, off offset:336
	ds_load_b128 v[6:9], v1 offset:992
	s_waitcnt vmcnt(9) lgkmcnt(1)
	v_mul_f64 v[206:207], v[2:3], v[28:29]
	v_mul_f64 v[28:29], v[4:5], v[28:29]
	v_add_f64 v[198:199], v[198:199], v[210:211]
	v_add_f64 v[200:201], v[200:201], v[202:203]
	s_waitcnt vmcnt(8) lgkmcnt(0)
	v_mul_f64 v[202:203], v[6:7], v[32:33]
	v_mul_f64 v[32:33], v[8:9], v[32:33]
	;; [unrolled: 18-line block ×12, first 2 shown]
	v_fma_f64 v[204:205], v[4:5], v[26:27], v[204:205]
	v_fma_f64 v[210:211], v[2:3], v[26:27], -v[28:29]
	ds_load_b128 v[2:5], v1 offset:1328
	scratch_load_b128 v[26:29], off, off offset:672
	v_add_f64 v[198:199], v[198:199], v[208:209]
	v_add_f64 v[200:201], v[200:201], v[202:203]
	v_fma_f64 v[206:207], v[8:9], v[30:31], v[206:207]
	v_fma_f64 v[208:209], v[6:7], v[30:31], -v[32:33]
	ds_load_b128 v[6:9], v1 offset:1344
	s_waitcnt vmcnt(8) lgkmcnt(1)
	v_mul_f64 v[202:203], v[2:3], v[36:37]
	v_mul_f64 v[36:37], v[4:5], v[36:37]
	scratch_load_b128 v[30:33], off, off offset:688
	v_add_f64 v[198:199], v[198:199], v[210:211]
	v_add_f64 v[200:201], v[200:201], v[204:205]
	s_waitcnt vmcnt(8) lgkmcnt(0)
	v_mul_f64 v[204:205], v[6:7], v[196:197]
	v_mul_f64 v[196:197], v[8:9], v[196:197]
	v_fma_f64 v[202:203], v[4:5], v[34:35], v[202:203]
	v_fma_f64 v[210:211], v[2:3], v[34:35], -v[36:37]
	scratch_load_b128 v[34:37], off, off offset:704
	ds_load_b128 v[2:5], v1 offset:1360
	v_add_f64 v[198:199], v[198:199], v[208:209]
	v_add_f64 v[200:201], v[200:201], v[206:207]
	v_fma_f64 v[204:205], v[8:9], v[194:195], v[204:205]
	v_fma_f64 v[208:209], v[6:7], v[194:195], -v[196:197]
	ds_load_b128 v[6:9], v1 offset:1376
	s_waitcnt vmcnt(8) lgkmcnt(1)
	v_mul_f64 v[206:207], v[2:3], v[40:41]
	v_mul_f64 v[40:41], v[4:5], v[40:41]
	scratch_load_b128 v[194:197], off, off offset:720
	v_add_f64 v[198:199], v[198:199], v[210:211]
	v_add_f64 v[200:201], v[200:201], v[202:203]
	s_waitcnt vmcnt(8) lgkmcnt(0)
	v_mul_f64 v[202:203], v[6:7], v[192:193]
	v_mul_f64 v[192:193], v[8:9], v[192:193]
	v_fma_f64 v[206:207], v[4:5], v[38:39], v[206:207]
	v_fma_f64 v[210:211], v[2:3], v[38:39], -v[40:41]
	scratch_load_b128 v[38:41], off, off offset:736
	ds_load_b128 v[2:5], v1 offset:1392
	;; [unrolled: 18-line block ×3, first 2 shown]
	v_add_f64 v[198:199], v[198:199], v[208:209]
	v_add_f64 v[200:201], v[200:201], v[202:203]
	v_fma_f64 v[206:207], v[8:9], v[14:15], v[206:207]
	v_fma_f64 v[14:15], v[6:7], v[14:15], -v[16:17]
	ds_load_b128 v[6:9], v1 offset:1440
	s_waitcnt vmcnt(8) lgkmcnt(1)
	v_mul_f64 v[202:203], v[2:3], v[20:21]
	v_mul_f64 v[20:21], v[4:5], v[20:21]
	v_add_f64 v[16:17], v[198:199], v[210:211]
	v_add_f64 v[198:199], v[200:201], v[204:205]
	s_waitcnt vmcnt(7) lgkmcnt(0)
	v_mul_f64 v[200:201], v[6:7], v[24:25]
	v_mul_f64 v[24:25], v[8:9], v[24:25]
	v_fma_f64 v[202:203], v[4:5], v[18:19], v[202:203]
	v_fma_f64 v[18:19], v[2:3], v[18:19], -v[20:21]
	ds_load_b128 v[2:5], v1 offset:1456
	v_add_f64 v[14:15], v[16:17], v[14:15]
	v_add_f64 v[16:17], v[198:199], v[206:207]
	v_fma_f64 v[198:199], v[8:9], v[22:23], v[200:201]
	v_fma_f64 v[22:23], v[6:7], v[22:23], -v[24:25]
	ds_load_b128 v[6:9], v1 offset:1472
	s_waitcnt vmcnt(5) lgkmcnt(0)
	v_mul_f64 v[200:201], v[6:7], v[32:33]
	v_mul_f64 v[32:33], v[8:9], v[32:33]
	v_add_f64 v[18:19], v[14:15], v[18:19]
	v_add_f64 v[24:25], v[16:17], v[202:203]
	scratch_load_b128 v[14:17], off, off offset:80
	v_mul_f64 v[20:21], v[2:3], v[28:29]
	v_mul_f64 v[28:29], v[4:5], v[28:29]
	v_add_f64 v[18:19], v[18:19], v[22:23]
	v_add_f64 v[22:23], v[24:25], v[198:199]
	s_delay_alu instid0(VALU_DEP_4) | instskip(NEXT) | instid1(VALU_DEP_4)
	v_fma_f64 v[20:21], v[4:5], v[26:27], v[20:21]
	v_fma_f64 v[26:27], v[2:3], v[26:27], -v[28:29]
	ds_load_b128 v[2:5], v1 offset:1488
	s_waitcnt vmcnt(5) lgkmcnt(0)
	v_mul_f64 v[24:25], v[2:3], v[36:37]
	v_mul_f64 v[28:29], v[4:5], v[36:37]
	v_fma_f64 v[36:37], v[8:9], v[30:31], v[200:201]
	v_fma_f64 v[30:31], v[6:7], v[30:31], -v[32:33]
	ds_load_b128 v[6:9], v1 offset:1504
	v_add_f64 v[20:21], v[22:23], v[20:21]
	v_add_f64 v[18:19], v[18:19], v[26:27]
	v_fma_f64 v[24:25], v[4:5], v[34:35], v[24:25]
	v_fma_f64 v[28:29], v[2:3], v[34:35], -v[28:29]
	ds_load_b128 v[2:5], v1 offset:1520
	s_waitcnt vmcnt(4) lgkmcnt(1)
	v_mul_f64 v[22:23], v[6:7], v[196:197]
	v_mul_f64 v[26:27], v[8:9], v[196:197]
	v_add_f64 v[20:21], v[20:21], v[36:37]
	v_add_f64 v[18:19], v[18:19], v[30:31]
	s_waitcnt vmcnt(3) lgkmcnt(0)
	v_mul_f64 v[30:31], v[2:3], v[40:41]
	v_mul_f64 v[32:33], v[4:5], v[40:41]
	v_fma_f64 v[22:23], v[8:9], v[194:195], v[22:23]
	v_fma_f64 v[26:27], v[6:7], v[194:195], -v[26:27]
	ds_load_b128 v[6:9], v1 offset:1536
	v_add_f64 v[20:21], v[20:21], v[24:25]
	v_add_f64 v[18:19], v[18:19], v[28:29]
	v_fma_f64 v[30:31], v[4:5], v[38:39], v[30:31]
	v_fma_f64 v[32:33], v[2:3], v[38:39], -v[32:33]
	ds_load_b128 v[2:5], v1 offset:1552
	s_waitcnt vmcnt(2) lgkmcnt(1)
	v_mul_f64 v[24:25], v[6:7], v[192:193]
	v_mul_f64 v[28:29], v[8:9], v[192:193]
	v_add_f64 v[20:21], v[20:21], v[22:23]
	v_add_f64 v[18:19], v[18:19], v[26:27]
	s_waitcnt vmcnt(1) lgkmcnt(0)
	v_mul_f64 v[22:23], v[2:3], v[12:13]
	v_mul_f64 v[12:13], v[4:5], v[12:13]
	v_fma_f64 v[8:9], v[8:9], v[190:191], v[24:25]
	v_fma_f64 v[6:7], v[6:7], v[190:191], -v[28:29]
	v_add_f64 v[20:21], v[20:21], v[30:31]
	v_add_f64 v[18:19], v[18:19], v[32:33]
	v_fma_f64 v[4:5], v[4:5], v[10:11], v[22:23]
	v_fma_f64 v[2:3], v[2:3], v[10:11], -v[12:13]
	s_delay_alu instid0(VALU_DEP_4) | instskip(NEXT) | instid1(VALU_DEP_4)
	v_add_f64 v[8:9], v[20:21], v[8:9]
	v_add_f64 v[6:7], v[18:19], v[6:7]
	s_delay_alu instid0(VALU_DEP_2) | instskip(NEXT) | instid1(VALU_DEP_2)
	v_add_f64 v[4:5], v[8:9], v[4:5]
	v_add_f64 v[2:3], v[6:7], v[2:3]
	s_waitcnt vmcnt(0)
	s_delay_alu instid0(VALU_DEP_2) | instskip(NEXT) | instid1(VALU_DEP_2)
	v_add_f64 v[4:5], v[16:17], -v[4:5]
	v_add_f64 v[2:3], v[14:15], -v[2:3]
	scratch_store_b128 off, v[2:5], off offset:80
	v_cmpx_lt_u32_e32 4, v140
	s_cbranch_execz .LBB112_299
; %bb.298:
	scratch_load_b128 v[5:8], v185, off
	v_mov_b32_e32 v2, v1
	v_mov_b32_e32 v3, v1
	v_mov_b32_e32 v4, v1
	scratch_store_b128 off, v[1:4], off offset:64
	s_waitcnt vmcnt(0)
	ds_store_b128 v189, v[5:8]
.LBB112_299:
	s_or_b32 exec_lo, exec_lo, s2
	s_waitcnt lgkmcnt(0)
	s_waitcnt_vscnt null, 0x0
	s_barrier
	buffer_gl0_inv
	s_clause 0x7
	scratch_load_b128 v[2:5], off, off offset:80
	scratch_load_b128 v[6:9], off, off offset:96
	;; [unrolled: 1-line block ×8, first 2 shown]
	ds_load_b128 v[38:41], v1 offset:864
	ds_load_b128 v[190:193], v1 offset:880
	s_clause 0x1
	scratch_load_b128 v[34:37], off, off offset:208
	scratch_load_b128 v[194:197], off, off offset:224
	s_mov_b32 s2, exec_lo
	s_waitcnt vmcnt(9) lgkmcnt(1)
	v_mul_f64 v[198:199], v[40:41], v[4:5]
	v_mul_f64 v[4:5], v[38:39], v[4:5]
	s_waitcnt vmcnt(8) lgkmcnt(0)
	v_mul_f64 v[200:201], v[190:191], v[8:9]
	v_mul_f64 v[8:9], v[192:193], v[8:9]
	s_delay_alu instid0(VALU_DEP_4) | instskip(NEXT) | instid1(VALU_DEP_4)
	v_fma_f64 v[198:199], v[38:39], v[2:3], -v[198:199]
	v_fma_f64 v[202:203], v[40:41], v[2:3], v[4:5]
	ds_load_b128 v[2:5], v1 offset:896
	scratch_load_b128 v[38:41], off, off offset:240
	v_fma_f64 v[200:201], v[192:193], v[6:7], v[200:201]
	v_fma_f64 v[206:207], v[190:191], v[6:7], -v[8:9]
	scratch_load_b128 v[190:193], off, off offset:256
	ds_load_b128 v[6:9], v1 offset:912
	s_waitcnt vmcnt(9) lgkmcnt(1)
	v_mul_f64 v[204:205], v[2:3], v[12:13]
	v_mul_f64 v[12:13], v[4:5], v[12:13]
	s_waitcnt vmcnt(8) lgkmcnt(0)
	v_mul_f64 v[208:209], v[6:7], v[16:17]
	v_mul_f64 v[16:17], v[8:9], v[16:17]
	v_add_f64 v[198:199], v[198:199], 0
	v_add_f64 v[202:203], v[202:203], 0
	v_fma_f64 v[204:205], v[4:5], v[10:11], v[204:205]
	v_fma_f64 v[210:211], v[2:3], v[10:11], -v[12:13]
	ds_load_b128 v[2:5], v1 offset:928
	scratch_load_b128 v[10:13], off, off offset:272
	v_add_f64 v[198:199], v[198:199], v[206:207]
	v_add_f64 v[200:201], v[202:203], v[200:201]
	v_fma_f64 v[206:207], v[8:9], v[14:15], v[208:209]
	v_fma_f64 v[208:209], v[6:7], v[14:15], -v[16:17]
	scratch_load_b128 v[14:17], off, off offset:288
	ds_load_b128 v[6:9], v1 offset:944
	s_waitcnt vmcnt(9) lgkmcnt(1)
	v_mul_f64 v[202:203], v[2:3], v[20:21]
	v_mul_f64 v[20:21], v[4:5], v[20:21]
	v_add_f64 v[198:199], v[198:199], v[210:211]
	v_add_f64 v[200:201], v[200:201], v[204:205]
	s_waitcnt vmcnt(8) lgkmcnt(0)
	v_mul_f64 v[204:205], v[6:7], v[24:25]
	v_mul_f64 v[24:25], v[8:9], v[24:25]
	v_fma_f64 v[202:203], v[4:5], v[18:19], v[202:203]
	v_fma_f64 v[210:211], v[2:3], v[18:19], -v[20:21]
	ds_load_b128 v[2:5], v1 offset:960
	scratch_load_b128 v[18:21], off, off offset:304
	v_add_f64 v[198:199], v[198:199], v[208:209]
	v_add_f64 v[200:201], v[200:201], v[206:207]
	v_fma_f64 v[204:205], v[8:9], v[22:23], v[204:205]
	v_fma_f64 v[208:209], v[6:7], v[22:23], -v[24:25]
	scratch_load_b128 v[22:25], off, off offset:320
	ds_load_b128 v[6:9], v1 offset:976
	s_waitcnt vmcnt(9) lgkmcnt(1)
	v_mul_f64 v[206:207], v[2:3], v[28:29]
	v_mul_f64 v[28:29], v[4:5], v[28:29]
	v_add_f64 v[198:199], v[198:199], v[210:211]
	v_add_f64 v[200:201], v[200:201], v[202:203]
	s_waitcnt vmcnt(8) lgkmcnt(0)
	v_mul_f64 v[202:203], v[6:7], v[32:33]
	v_mul_f64 v[32:33], v[8:9], v[32:33]
	;; [unrolled: 18-line block ×12, first 2 shown]
	v_fma_f64 v[204:205], v[4:5], v[26:27], v[204:205]
	v_fma_f64 v[210:211], v[2:3], v[26:27], -v[28:29]
	ds_load_b128 v[2:5], v1 offset:1312
	scratch_load_b128 v[26:29], off, off offset:656
	v_add_f64 v[198:199], v[198:199], v[208:209]
	v_add_f64 v[200:201], v[200:201], v[202:203]
	v_fma_f64 v[206:207], v[8:9], v[30:31], v[206:207]
	v_fma_f64 v[208:209], v[6:7], v[30:31], -v[32:33]
	ds_load_b128 v[6:9], v1 offset:1328
	s_waitcnt vmcnt(8) lgkmcnt(1)
	v_mul_f64 v[202:203], v[2:3], v[36:37]
	v_mul_f64 v[36:37], v[4:5], v[36:37]
	scratch_load_b128 v[30:33], off, off offset:672
	v_add_f64 v[198:199], v[198:199], v[210:211]
	v_add_f64 v[200:201], v[200:201], v[204:205]
	s_waitcnt vmcnt(8) lgkmcnt(0)
	v_mul_f64 v[204:205], v[6:7], v[196:197]
	v_mul_f64 v[196:197], v[8:9], v[196:197]
	v_fma_f64 v[202:203], v[4:5], v[34:35], v[202:203]
	v_fma_f64 v[210:211], v[2:3], v[34:35], -v[36:37]
	ds_load_b128 v[2:5], v1 offset:1344
	scratch_load_b128 v[34:37], off, off offset:688
	v_add_f64 v[198:199], v[198:199], v[208:209]
	v_add_f64 v[200:201], v[200:201], v[206:207]
	v_fma_f64 v[204:205], v[8:9], v[194:195], v[204:205]
	v_fma_f64 v[208:209], v[6:7], v[194:195], -v[196:197]
	ds_load_b128 v[6:9], v1 offset:1360
	s_waitcnt vmcnt(8) lgkmcnt(1)
	v_mul_f64 v[206:207], v[2:3], v[40:41]
	v_mul_f64 v[40:41], v[4:5], v[40:41]
	scratch_load_b128 v[194:197], off, off offset:704
	v_add_f64 v[198:199], v[198:199], v[210:211]
	v_add_f64 v[200:201], v[200:201], v[202:203]
	s_waitcnt vmcnt(8) lgkmcnt(0)
	v_mul_f64 v[202:203], v[6:7], v[192:193]
	v_mul_f64 v[192:193], v[8:9], v[192:193]
	v_fma_f64 v[206:207], v[4:5], v[38:39], v[206:207]
	v_fma_f64 v[210:211], v[2:3], v[38:39], -v[40:41]
	scratch_load_b128 v[38:41], off, off offset:720
	ds_load_b128 v[2:5], v1 offset:1376
	v_add_f64 v[198:199], v[198:199], v[208:209]
	v_add_f64 v[200:201], v[200:201], v[204:205]
	v_fma_f64 v[202:203], v[8:9], v[190:191], v[202:203]
	v_fma_f64 v[208:209], v[6:7], v[190:191], -v[192:193]
	ds_load_b128 v[6:9], v1 offset:1392
	s_waitcnt vmcnt(8) lgkmcnt(1)
	v_mul_f64 v[204:205], v[2:3], v[12:13]
	v_mul_f64 v[12:13], v[4:5], v[12:13]
	scratch_load_b128 v[190:193], off, off offset:736
	v_add_f64 v[198:199], v[198:199], v[210:211]
	v_add_f64 v[200:201], v[200:201], v[206:207]
	s_waitcnt vmcnt(8) lgkmcnt(0)
	v_mul_f64 v[206:207], v[6:7], v[16:17]
	v_mul_f64 v[16:17], v[8:9], v[16:17]
	v_fma_f64 v[204:205], v[4:5], v[10:11], v[204:205]
	v_fma_f64 v[210:211], v[2:3], v[10:11], -v[12:13]
	scratch_load_b128 v[10:13], off, off offset:752
	ds_load_b128 v[2:5], v1 offset:1408
	v_add_f64 v[198:199], v[198:199], v[208:209]
	v_add_f64 v[200:201], v[200:201], v[202:203]
	v_fma_f64 v[206:207], v[8:9], v[14:15], v[206:207]
	v_fma_f64 v[208:209], v[6:7], v[14:15], -v[16:17]
	ds_load_b128 v[6:9], v1 offset:1424
	s_waitcnt vmcnt(8) lgkmcnt(1)
	v_mul_f64 v[202:203], v[2:3], v[20:21]
	v_mul_f64 v[20:21], v[4:5], v[20:21]
	scratch_load_b128 v[14:17], off, off offset:768
	v_add_f64 v[198:199], v[198:199], v[210:211]
	v_add_f64 v[200:201], v[200:201], v[204:205]
	s_waitcnt vmcnt(8) lgkmcnt(0)
	v_mul_f64 v[204:205], v[6:7], v[24:25]
	v_mul_f64 v[24:25], v[8:9], v[24:25]
	v_fma_f64 v[202:203], v[4:5], v[18:19], v[202:203]
	v_fma_f64 v[18:19], v[2:3], v[18:19], -v[20:21]
	ds_load_b128 v[2:5], v1 offset:1440
	v_add_f64 v[20:21], v[198:199], v[208:209]
	v_add_f64 v[198:199], v[200:201], v[206:207]
	v_fma_f64 v[204:205], v[8:9], v[22:23], v[204:205]
	v_fma_f64 v[22:23], v[6:7], v[22:23], -v[24:25]
	ds_load_b128 v[6:9], v1 offset:1456
	s_waitcnt vmcnt(7) lgkmcnt(1)
	v_mul_f64 v[200:201], v[2:3], v[28:29]
	v_mul_f64 v[28:29], v[4:5], v[28:29]
	v_add_f64 v[18:19], v[20:21], v[18:19]
	v_add_f64 v[20:21], v[198:199], v[202:203]
	s_delay_alu instid0(VALU_DEP_4) | instskip(NEXT) | instid1(VALU_DEP_4)
	v_fma_f64 v[198:199], v[4:5], v[26:27], v[200:201]
	v_fma_f64 v[26:27], v[2:3], v[26:27], -v[28:29]
	ds_load_b128 v[2:5], v1 offset:1472
	v_add_f64 v[22:23], v[18:19], v[22:23]
	v_add_f64 v[28:29], v[20:21], v[204:205]
	scratch_load_b128 v[18:21], off, off offset:64
	s_waitcnt vmcnt(7) lgkmcnt(1)
	v_mul_f64 v[24:25], v[6:7], v[32:33]
	v_mul_f64 v[32:33], v[8:9], v[32:33]
	v_add_f64 v[22:23], v[22:23], v[26:27]
	v_add_f64 v[26:27], v[28:29], v[198:199]
	s_delay_alu instid0(VALU_DEP_4) | instskip(NEXT) | instid1(VALU_DEP_4)
	v_fma_f64 v[24:25], v[8:9], v[30:31], v[24:25]
	v_fma_f64 v[30:31], v[6:7], v[30:31], -v[32:33]
	ds_load_b128 v[6:9], v1 offset:1488
	s_waitcnt vmcnt(6) lgkmcnt(1)
	v_mul_f64 v[200:201], v[2:3], v[36:37]
	v_mul_f64 v[36:37], v[4:5], v[36:37]
	s_waitcnt vmcnt(5) lgkmcnt(0)
	v_mul_f64 v[28:29], v[6:7], v[196:197]
	v_mul_f64 v[32:33], v[8:9], v[196:197]
	v_add_f64 v[24:25], v[26:27], v[24:25]
	v_add_f64 v[22:23], v[22:23], v[30:31]
	v_fma_f64 v[196:197], v[4:5], v[34:35], v[200:201]
	v_fma_f64 v[34:35], v[2:3], v[34:35], -v[36:37]
	ds_load_b128 v[2:5], v1 offset:1504
	v_fma_f64 v[28:29], v[8:9], v[194:195], v[28:29]
	v_fma_f64 v[32:33], v[6:7], v[194:195], -v[32:33]
	ds_load_b128 v[6:9], v1 offset:1520
	s_waitcnt vmcnt(4) lgkmcnt(1)
	v_mul_f64 v[26:27], v[2:3], v[40:41]
	v_mul_f64 v[30:31], v[4:5], v[40:41]
	v_add_f64 v[24:25], v[24:25], v[196:197]
	v_add_f64 v[22:23], v[22:23], v[34:35]
	s_waitcnt vmcnt(3) lgkmcnt(0)
	v_mul_f64 v[34:35], v[6:7], v[192:193]
	v_mul_f64 v[36:37], v[8:9], v[192:193]
	v_fma_f64 v[26:27], v[4:5], v[38:39], v[26:27]
	v_fma_f64 v[30:31], v[2:3], v[38:39], -v[30:31]
	ds_load_b128 v[2:5], v1 offset:1536
	v_add_f64 v[24:25], v[24:25], v[28:29]
	v_add_f64 v[22:23], v[22:23], v[32:33]
	v_fma_f64 v[32:33], v[8:9], v[190:191], v[34:35]
	v_fma_f64 v[34:35], v[6:7], v[190:191], -v[36:37]
	ds_load_b128 v[6:9], v1 offset:1552
	s_waitcnt vmcnt(2) lgkmcnt(1)
	v_mul_f64 v[28:29], v[2:3], v[12:13]
	v_mul_f64 v[12:13], v[4:5], v[12:13]
	v_add_f64 v[24:25], v[24:25], v[26:27]
	v_add_f64 v[22:23], v[22:23], v[30:31]
	s_waitcnt vmcnt(1) lgkmcnt(0)
	v_mul_f64 v[26:27], v[6:7], v[16:17]
	v_mul_f64 v[16:17], v[8:9], v[16:17]
	v_fma_f64 v[4:5], v[4:5], v[10:11], v[28:29]
	v_fma_f64 v[1:2], v[2:3], v[10:11], -v[12:13]
	v_add_f64 v[12:13], v[24:25], v[32:33]
	v_add_f64 v[10:11], v[22:23], v[34:35]
	v_fma_f64 v[8:9], v[8:9], v[14:15], v[26:27]
	v_fma_f64 v[6:7], v[6:7], v[14:15], -v[16:17]
	s_delay_alu instid0(VALU_DEP_4) | instskip(NEXT) | instid1(VALU_DEP_4)
	v_add_f64 v[3:4], v[12:13], v[4:5]
	v_add_f64 v[1:2], v[10:11], v[1:2]
	s_delay_alu instid0(VALU_DEP_2) | instskip(NEXT) | instid1(VALU_DEP_2)
	v_add_f64 v[3:4], v[3:4], v[8:9]
	v_add_f64 v[1:2], v[1:2], v[6:7]
	s_waitcnt vmcnt(0)
	s_delay_alu instid0(VALU_DEP_2) | instskip(NEXT) | instid1(VALU_DEP_2)
	v_add_f64 v[3:4], v[20:21], -v[3:4]
	v_add_f64 v[1:2], v[18:19], -v[1:2]
	scratch_store_b128 off, v[1:4], off offset:64
	v_cmpx_lt_u32_e32 3, v140
	s_cbranch_execz .LBB112_301
; %bb.300:
	scratch_load_b128 v[1:4], v186, off
	v_mov_b32_e32 v5, 0
	s_delay_alu instid0(VALU_DEP_1)
	v_mov_b32_e32 v6, v5
	v_mov_b32_e32 v7, v5
	;; [unrolled: 1-line block ×3, first 2 shown]
	scratch_store_b128 off, v[5:8], off offset:48
	s_waitcnt vmcnt(0)
	ds_store_b128 v189, v[1:4]
.LBB112_301:
	s_or_b32 exec_lo, exec_lo, s2
	s_waitcnt lgkmcnt(0)
	s_waitcnt_vscnt null, 0x0
	s_barrier
	buffer_gl0_inv
	s_clause 0x7
	scratch_load_b128 v[2:5], off, off offset:64
	scratch_load_b128 v[6:9], off, off offset:80
	;; [unrolled: 1-line block ×8, first 2 shown]
	v_mov_b32_e32 v1, 0
	s_clause 0x1
	scratch_load_b128 v[34:37], off, off offset:192
	scratch_load_b128 v[194:197], off, off offset:208
	s_mov_b32 s2, exec_lo
	ds_load_b128 v[38:41], v1 offset:848
	ds_load_b128 v[190:193], v1 offset:864
	s_waitcnt vmcnt(9) lgkmcnt(1)
	v_mul_f64 v[198:199], v[40:41], v[4:5]
	v_mul_f64 v[4:5], v[38:39], v[4:5]
	s_waitcnt vmcnt(8) lgkmcnt(0)
	v_mul_f64 v[200:201], v[190:191], v[8:9]
	v_mul_f64 v[8:9], v[192:193], v[8:9]
	s_delay_alu instid0(VALU_DEP_4) | instskip(NEXT) | instid1(VALU_DEP_4)
	v_fma_f64 v[198:199], v[38:39], v[2:3], -v[198:199]
	v_fma_f64 v[202:203], v[40:41], v[2:3], v[4:5]
	ds_load_b128 v[2:5], v1 offset:880
	scratch_load_b128 v[38:41], off, off offset:224
	v_fma_f64 v[200:201], v[192:193], v[6:7], v[200:201]
	v_fma_f64 v[206:207], v[190:191], v[6:7], -v[8:9]
	scratch_load_b128 v[190:193], off, off offset:240
	ds_load_b128 v[6:9], v1 offset:896
	s_waitcnt vmcnt(9) lgkmcnt(1)
	v_mul_f64 v[204:205], v[2:3], v[12:13]
	v_mul_f64 v[12:13], v[4:5], v[12:13]
	s_waitcnt vmcnt(8) lgkmcnt(0)
	v_mul_f64 v[208:209], v[6:7], v[16:17]
	v_mul_f64 v[16:17], v[8:9], v[16:17]
	v_add_f64 v[198:199], v[198:199], 0
	v_add_f64 v[202:203], v[202:203], 0
	v_fma_f64 v[204:205], v[4:5], v[10:11], v[204:205]
	v_fma_f64 v[210:211], v[2:3], v[10:11], -v[12:13]
	ds_load_b128 v[2:5], v1 offset:912
	scratch_load_b128 v[10:13], off, off offset:256
	v_add_f64 v[198:199], v[198:199], v[206:207]
	v_add_f64 v[200:201], v[202:203], v[200:201]
	v_fma_f64 v[206:207], v[8:9], v[14:15], v[208:209]
	v_fma_f64 v[208:209], v[6:7], v[14:15], -v[16:17]
	scratch_load_b128 v[14:17], off, off offset:272
	ds_load_b128 v[6:9], v1 offset:928
	s_waitcnt vmcnt(9) lgkmcnt(1)
	v_mul_f64 v[202:203], v[2:3], v[20:21]
	v_mul_f64 v[20:21], v[4:5], v[20:21]
	v_add_f64 v[198:199], v[198:199], v[210:211]
	v_add_f64 v[200:201], v[200:201], v[204:205]
	s_waitcnt vmcnt(8) lgkmcnt(0)
	v_mul_f64 v[204:205], v[6:7], v[24:25]
	v_mul_f64 v[24:25], v[8:9], v[24:25]
	v_fma_f64 v[202:203], v[4:5], v[18:19], v[202:203]
	v_fma_f64 v[210:211], v[2:3], v[18:19], -v[20:21]
	ds_load_b128 v[2:5], v1 offset:944
	scratch_load_b128 v[18:21], off, off offset:288
	v_add_f64 v[198:199], v[198:199], v[208:209]
	v_add_f64 v[200:201], v[200:201], v[206:207]
	v_fma_f64 v[204:205], v[8:9], v[22:23], v[204:205]
	v_fma_f64 v[208:209], v[6:7], v[22:23], -v[24:25]
	scratch_load_b128 v[22:25], off, off offset:304
	ds_load_b128 v[6:9], v1 offset:960
	s_waitcnt vmcnt(9) lgkmcnt(1)
	v_mul_f64 v[206:207], v[2:3], v[28:29]
	v_mul_f64 v[28:29], v[4:5], v[28:29]
	v_add_f64 v[198:199], v[198:199], v[210:211]
	v_add_f64 v[200:201], v[200:201], v[202:203]
	s_waitcnt vmcnt(8) lgkmcnt(0)
	v_mul_f64 v[202:203], v[6:7], v[32:33]
	v_mul_f64 v[32:33], v[8:9], v[32:33]
	;; [unrolled: 18-line block ×13, first 2 shown]
	v_fma_f64 v[202:203], v[4:5], v[34:35], v[202:203]
	v_fma_f64 v[210:211], v[2:3], v[34:35], -v[36:37]
	ds_load_b128 v[2:5], v1 offset:1328
	scratch_load_b128 v[34:37], off, off offset:672
	v_add_f64 v[198:199], v[198:199], v[208:209]
	v_add_f64 v[200:201], v[200:201], v[206:207]
	v_fma_f64 v[204:205], v[8:9], v[194:195], v[204:205]
	v_fma_f64 v[208:209], v[6:7], v[194:195], -v[196:197]
	ds_load_b128 v[6:9], v1 offset:1344
	s_waitcnt vmcnt(8) lgkmcnt(1)
	v_mul_f64 v[206:207], v[2:3], v[40:41]
	v_mul_f64 v[40:41], v[4:5], v[40:41]
	scratch_load_b128 v[194:197], off, off offset:688
	v_add_f64 v[198:199], v[198:199], v[210:211]
	v_add_f64 v[200:201], v[200:201], v[202:203]
	s_waitcnt vmcnt(8) lgkmcnt(0)
	v_mul_f64 v[202:203], v[6:7], v[192:193]
	v_mul_f64 v[192:193], v[8:9], v[192:193]
	v_fma_f64 v[206:207], v[4:5], v[38:39], v[206:207]
	v_fma_f64 v[210:211], v[2:3], v[38:39], -v[40:41]
	scratch_load_b128 v[38:41], off, off offset:704
	ds_load_b128 v[2:5], v1 offset:1360
	v_add_f64 v[198:199], v[198:199], v[208:209]
	v_add_f64 v[200:201], v[200:201], v[204:205]
	v_fma_f64 v[202:203], v[8:9], v[190:191], v[202:203]
	v_fma_f64 v[208:209], v[6:7], v[190:191], -v[192:193]
	ds_load_b128 v[6:9], v1 offset:1376
	s_waitcnt vmcnt(8) lgkmcnt(1)
	v_mul_f64 v[204:205], v[2:3], v[12:13]
	v_mul_f64 v[12:13], v[4:5], v[12:13]
	scratch_load_b128 v[190:193], off, off offset:720
	v_add_f64 v[198:199], v[198:199], v[210:211]
	v_add_f64 v[200:201], v[200:201], v[206:207]
	s_waitcnt vmcnt(8) lgkmcnt(0)
	v_mul_f64 v[206:207], v[6:7], v[16:17]
	v_mul_f64 v[16:17], v[8:9], v[16:17]
	v_fma_f64 v[204:205], v[4:5], v[10:11], v[204:205]
	v_fma_f64 v[210:211], v[2:3], v[10:11], -v[12:13]
	scratch_load_b128 v[10:13], off, off offset:736
	ds_load_b128 v[2:5], v1 offset:1392
	;; [unrolled: 18-line block ×3, first 2 shown]
	v_add_f64 v[198:199], v[198:199], v[208:209]
	v_add_f64 v[200:201], v[200:201], v[206:207]
	v_fma_f64 v[204:205], v[8:9], v[22:23], v[204:205]
	v_fma_f64 v[22:23], v[6:7], v[22:23], -v[24:25]
	ds_load_b128 v[6:9], v1 offset:1440
	s_waitcnt vmcnt(8) lgkmcnt(1)
	v_mul_f64 v[206:207], v[2:3], v[28:29]
	v_mul_f64 v[28:29], v[4:5], v[28:29]
	v_add_f64 v[24:25], v[198:199], v[210:211]
	v_add_f64 v[198:199], v[200:201], v[202:203]
	s_waitcnt vmcnt(7) lgkmcnt(0)
	v_mul_f64 v[200:201], v[6:7], v[32:33]
	v_mul_f64 v[32:33], v[8:9], v[32:33]
	v_fma_f64 v[202:203], v[4:5], v[26:27], v[206:207]
	v_fma_f64 v[26:27], v[2:3], v[26:27], -v[28:29]
	ds_load_b128 v[2:5], v1 offset:1456
	v_add_f64 v[22:23], v[24:25], v[22:23]
	v_add_f64 v[24:25], v[198:199], v[204:205]
	v_fma_f64 v[198:199], v[8:9], v[30:31], v[200:201]
	v_fma_f64 v[30:31], v[6:7], v[30:31], -v[32:33]
	ds_load_b128 v[6:9], v1 offset:1472
	s_waitcnt vmcnt(5) lgkmcnt(0)
	v_mul_f64 v[200:201], v[6:7], v[196:197]
	v_mul_f64 v[196:197], v[8:9], v[196:197]
	v_add_f64 v[26:27], v[22:23], v[26:27]
	v_add_f64 v[32:33], v[24:25], v[202:203]
	scratch_load_b128 v[22:25], off, off offset:48
	v_mul_f64 v[28:29], v[2:3], v[36:37]
	v_mul_f64 v[36:37], v[4:5], v[36:37]
	v_add_f64 v[26:27], v[26:27], v[30:31]
	v_add_f64 v[30:31], v[32:33], v[198:199]
	s_delay_alu instid0(VALU_DEP_4) | instskip(NEXT) | instid1(VALU_DEP_4)
	v_fma_f64 v[28:29], v[4:5], v[34:35], v[28:29]
	v_fma_f64 v[34:35], v[2:3], v[34:35], -v[36:37]
	ds_load_b128 v[2:5], v1 offset:1488
	s_waitcnt vmcnt(5) lgkmcnt(0)
	v_mul_f64 v[32:33], v[2:3], v[40:41]
	v_mul_f64 v[36:37], v[4:5], v[40:41]
	v_fma_f64 v[40:41], v[8:9], v[194:195], v[200:201]
	v_fma_f64 v[194:195], v[6:7], v[194:195], -v[196:197]
	ds_load_b128 v[6:9], v1 offset:1504
	v_add_f64 v[28:29], v[30:31], v[28:29]
	v_add_f64 v[26:27], v[26:27], v[34:35]
	v_fma_f64 v[32:33], v[4:5], v[38:39], v[32:33]
	v_fma_f64 v[36:37], v[2:3], v[38:39], -v[36:37]
	ds_load_b128 v[2:5], v1 offset:1520
	s_waitcnt vmcnt(4) lgkmcnt(1)
	v_mul_f64 v[30:31], v[6:7], v[192:193]
	v_mul_f64 v[34:35], v[8:9], v[192:193]
	v_add_f64 v[28:29], v[28:29], v[40:41]
	v_add_f64 v[26:27], v[26:27], v[194:195]
	s_waitcnt vmcnt(3) lgkmcnt(0)
	v_mul_f64 v[38:39], v[2:3], v[12:13]
	v_mul_f64 v[12:13], v[4:5], v[12:13]
	v_fma_f64 v[30:31], v[8:9], v[190:191], v[30:31]
	v_fma_f64 v[34:35], v[6:7], v[190:191], -v[34:35]
	ds_load_b128 v[6:9], v1 offset:1536
	v_add_f64 v[28:29], v[28:29], v[32:33]
	v_add_f64 v[26:27], v[26:27], v[36:37]
	v_fma_f64 v[36:37], v[4:5], v[10:11], v[38:39]
	v_fma_f64 v[10:11], v[2:3], v[10:11], -v[12:13]
	ds_load_b128 v[2:5], v1 offset:1552
	s_waitcnt vmcnt(2) lgkmcnt(1)
	v_mul_f64 v[32:33], v[6:7], v[16:17]
	v_mul_f64 v[16:17], v[8:9], v[16:17]
	v_add_f64 v[12:13], v[26:27], v[34:35]
	v_add_f64 v[26:27], v[28:29], v[30:31]
	s_waitcnt vmcnt(1) lgkmcnt(0)
	v_mul_f64 v[28:29], v[2:3], v[20:21]
	v_mul_f64 v[20:21], v[4:5], v[20:21]
	v_fma_f64 v[8:9], v[8:9], v[14:15], v[32:33]
	v_fma_f64 v[6:7], v[6:7], v[14:15], -v[16:17]
	v_add_f64 v[10:11], v[12:13], v[10:11]
	v_add_f64 v[12:13], v[26:27], v[36:37]
	v_fma_f64 v[4:5], v[4:5], v[18:19], v[28:29]
	v_fma_f64 v[2:3], v[2:3], v[18:19], -v[20:21]
	s_delay_alu instid0(VALU_DEP_4) | instskip(NEXT) | instid1(VALU_DEP_4)
	v_add_f64 v[6:7], v[10:11], v[6:7]
	v_add_f64 v[8:9], v[12:13], v[8:9]
	s_delay_alu instid0(VALU_DEP_2) | instskip(NEXT) | instid1(VALU_DEP_2)
	v_add_f64 v[2:3], v[6:7], v[2:3]
	v_add_f64 v[4:5], v[8:9], v[4:5]
	s_waitcnt vmcnt(0)
	s_delay_alu instid0(VALU_DEP_2) | instskip(NEXT) | instid1(VALU_DEP_2)
	v_add_f64 v[2:3], v[22:23], -v[2:3]
	v_add_f64 v[4:5], v[24:25], -v[4:5]
	scratch_store_b128 off, v[2:5], off offset:48
	v_cmpx_lt_u32_e32 2, v140
	s_cbranch_execz .LBB112_303
; %bb.302:
	scratch_load_b128 v[5:8], v187, off
	v_mov_b32_e32 v2, v1
	v_mov_b32_e32 v3, v1
	;; [unrolled: 1-line block ×3, first 2 shown]
	scratch_store_b128 off, v[1:4], off offset:32
	s_waitcnt vmcnt(0)
	ds_store_b128 v189, v[5:8]
.LBB112_303:
	s_or_b32 exec_lo, exec_lo, s2
	s_waitcnt lgkmcnt(0)
	s_waitcnt_vscnt null, 0x0
	s_barrier
	buffer_gl0_inv
	s_clause 0x7
	scratch_load_b128 v[2:5], off, off offset:48
	scratch_load_b128 v[6:9], off, off offset:64
	;; [unrolled: 1-line block ×8, first 2 shown]
	ds_load_b128 v[38:41], v1 offset:832
	ds_load_b128 v[190:193], v1 offset:848
	s_clause 0x1
	scratch_load_b128 v[34:37], off, off offset:176
	scratch_load_b128 v[194:197], off, off offset:192
	s_mov_b32 s2, exec_lo
	s_waitcnt vmcnt(9) lgkmcnt(1)
	v_mul_f64 v[198:199], v[40:41], v[4:5]
	v_mul_f64 v[4:5], v[38:39], v[4:5]
	s_waitcnt vmcnt(8) lgkmcnt(0)
	v_mul_f64 v[200:201], v[190:191], v[8:9]
	v_mul_f64 v[8:9], v[192:193], v[8:9]
	s_delay_alu instid0(VALU_DEP_4) | instskip(NEXT) | instid1(VALU_DEP_4)
	v_fma_f64 v[198:199], v[38:39], v[2:3], -v[198:199]
	v_fma_f64 v[202:203], v[40:41], v[2:3], v[4:5]
	ds_load_b128 v[2:5], v1 offset:864
	scratch_load_b128 v[38:41], off, off offset:208
	v_fma_f64 v[200:201], v[192:193], v[6:7], v[200:201]
	v_fma_f64 v[206:207], v[190:191], v[6:7], -v[8:9]
	scratch_load_b128 v[190:193], off, off offset:224
	ds_load_b128 v[6:9], v1 offset:880
	s_waitcnt vmcnt(9) lgkmcnt(1)
	v_mul_f64 v[204:205], v[2:3], v[12:13]
	v_mul_f64 v[12:13], v[4:5], v[12:13]
	s_waitcnt vmcnt(8) lgkmcnt(0)
	v_mul_f64 v[208:209], v[6:7], v[16:17]
	v_mul_f64 v[16:17], v[8:9], v[16:17]
	v_add_f64 v[198:199], v[198:199], 0
	v_add_f64 v[202:203], v[202:203], 0
	v_fma_f64 v[204:205], v[4:5], v[10:11], v[204:205]
	v_fma_f64 v[210:211], v[2:3], v[10:11], -v[12:13]
	ds_load_b128 v[2:5], v1 offset:896
	scratch_load_b128 v[10:13], off, off offset:240
	v_add_f64 v[198:199], v[198:199], v[206:207]
	v_add_f64 v[200:201], v[202:203], v[200:201]
	v_fma_f64 v[206:207], v[8:9], v[14:15], v[208:209]
	v_fma_f64 v[208:209], v[6:7], v[14:15], -v[16:17]
	scratch_load_b128 v[14:17], off, off offset:256
	ds_load_b128 v[6:9], v1 offset:912
	s_waitcnt vmcnt(9) lgkmcnt(1)
	v_mul_f64 v[202:203], v[2:3], v[20:21]
	v_mul_f64 v[20:21], v[4:5], v[20:21]
	v_add_f64 v[198:199], v[198:199], v[210:211]
	v_add_f64 v[200:201], v[200:201], v[204:205]
	s_waitcnt vmcnt(8) lgkmcnt(0)
	v_mul_f64 v[204:205], v[6:7], v[24:25]
	v_mul_f64 v[24:25], v[8:9], v[24:25]
	v_fma_f64 v[202:203], v[4:5], v[18:19], v[202:203]
	v_fma_f64 v[210:211], v[2:3], v[18:19], -v[20:21]
	ds_load_b128 v[2:5], v1 offset:928
	scratch_load_b128 v[18:21], off, off offset:272
	v_add_f64 v[198:199], v[198:199], v[208:209]
	v_add_f64 v[200:201], v[200:201], v[206:207]
	v_fma_f64 v[204:205], v[8:9], v[22:23], v[204:205]
	v_fma_f64 v[208:209], v[6:7], v[22:23], -v[24:25]
	scratch_load_b128 v[22:25], off, off offset:288
	ds_load_b128 v[6:9], v1 offset:944
	s_waitcnt vmcnt(9) lgkmcnt(1)
	v_mul_f64 v[206:207], v[2:3], v[28:29]
	v_mul_f64 v[28:29], v[4:5], v[28:29]
	v_add_f64 v[198:199], v[198:199], v[210:211]
	v_add_f64 v[200:201], v[200:201], v[202:203]
	s_waitcnt vmcnt(8) lgkmcnt(0)
	v_mul_f64 v[202:203], v[6:7], v[32:33]
	v_mul_f64 v[32:33], v[8:9], v[32:33]
	;; [unrolled: 18-line block ×13, first 2 shown]
	v_fma_f64 v[202:203], v[4:5], v[34:35], v[202:203]
	v_fma_f64 v[210:211], v[2:3], v[34:35], -v[36:37]
	ds_load_b128 v[2:5], v1 offset:1312
	scratch_load_b128 v[34:37], off, off offset:656
	v_add_f64 v[198:199], v[198:199], v[208:209]
	v_add_f64 v[200:201], v[200:201], v[206:207]
	v_fma_f64 v[204:205], v[8:9], v[194:195], v[204:205]
	v_fma_f64 v[208:209], v[6:7], v[194:195], -v[196:197]
	ds_load_b128 v[6:9], v1 offset:1328
	s_waitcnt vmcnt(8) lgkmcnt(1)
	v_mul_f64 v[206:207], v[2:3], v[40:41]
	v_mul_f64 v[40:41], v[4:5], v[40:41]
	scratch_load_b128 v[194:197], off, off offset:672
	v_add_f64 v[198:199], v[198:199], v[210:211]
	v_add_f64 v[200:201], v[200:201], v[202:203]
	s_waitcnt vmcnt(8) lgkmcnt(0)
	v_mul_f64 v[202:203], v[6:7], v[192:193]
	v_mul_f64 v[192:193], v[8:9], v[192:193]
	v_fma_f64 v[206:207], v[4:5], v[38:39], v[206:207]
	v_fma_f64 v[210:211], v[2:3], v[38:39], -v[40:41]
	ds_load_b128 v[2:5], v1 offset:1344
	scratch_load_b128 v[38:41], off, off offset:688
	v_add_f64 v[198:199], v[198:199], v[208:209]
	v_add_f64 v[200:201], v[200:201], v[204:205]
	v_fma_f64 v[202:203], v[8:9], v[190:191], v[202:203]
	v_fma_f64 v[208:209], v[6:7], v[190:191], -v[192:193]
	ds_load_b128 v[6:9], v1 offset:1360
	s_waitcnt vmcnt(8) lgkmcnt(1)
	v_mul_f64 v[204:205], v[2:3], v[12:13]
	v_mul_f64 v[12:13], v[4:5], v[12:13]
	scratch_load_b128 v[190:193], off, off offset:704
	v_add_f64 v[198:199], v[198:199], v[210:211]
	v_add_f64 v[200:201], v[200:201], v[206:207]
	s_waitcnt vmcnt(8) lgkmcnt(0)
	v_mul_f64 v[206:207], v[6:7], v[16:17]
	v_mul_f64 v[16:17], v[8:9], v[16:17]
	v_fma_f64 v[204:205], v[4:5], v[10:11], v[204:205]
	v_fma_f64 v[210:211], v[2:3], v[10:11], -v[12:13]
	scratch_load_b128 v[10:13], off, off offset:720
	ds_load_b128 v[2:5], v1 offset:1376
	v_add_f64 v[198:199], v[198:199], v[208:209]
	v_add_f64 v[200:201], v[200:201], v[202:203]
	v_fma_f64 v[206:207], v[8:9], v[14:15], v[206:207]
	v_fma_f64 v[208:209], v[6:7], v[14:15], -v[16:17]
	ds_load_b128 v[6:9], v1 offset:1392
	s_waitcnt vmcnt(8) lgkmcnt(1)
	v_mul_f64 v[202:203], v[2:3], v[20:21]
	v_mul_f64 v[20:21], v[4:5], v[20:21]
	scratch_load_b128 v[14:17], off, off offset:736
	v_add_f64 v[198:199], v[198:199], v[210:211]
	v_add_f64 v[200:201], v[200:201], v[204:205]
	s_waitcnt vmcnt(8) lgkmcnt(0)
	v_mul_f64 v[204:205], v[6:7], v[24:25]
	v_mul_f64 v[24:25], v[8:9], v[24:25]
	v_fma_f64 v[202:203], v[4:5], v[18:19], v[202:203]
	v_fma_f64 v[210:211], v[2:3], v[18:19], -v[20:21]
	scratch_load_b128 v[18:21], off, off offset:752
	ds_load_b128 v[2:5], v1 offset:1408
	v_add_f64 v[198:199], v[198:199], v[208:209]
	v_add_f64 v[200:201], v[200:201], v[206:207]
	v_fma_f64 v[204:205], v[8:9], v[22:23], v[204:205]
	v_fma_f64 v[208:209], v[6:7], v[22:23], -v[24:25]
	ds_load_b128 v[6:9], v1 offset:1424
	s_waitcnt vmcnt(8) lgkmcnt(1)
	v_mul_f64 v[206:207], v[2:3], v[28:29]
	v_mul_f64 v[28:29], v[4:5], v[28:29]
	scratch_load_b128 v[22:25], off, off offset:768
	v_add_f64 v[198:199], v[198:199], v[210:211]
	v_add_f64 v[200:201], v[200:201], v[202:203]
	s_waitcnt vmcnt(8) lgkmcnt(0)
	v_mul_f64 v[202:203], v[6:7], v[32:33]
	v_mul_f64 v[32:33], v[8:9], v[32:33]
	v_fma_f64 v[206:207], v[4:5], v[26:27], v[206:207]
	v_fma_f64 v[26:27], v[2:3], v[26:27], -v[28:29]
	ds_load_b128 v[2:5], v1 offset:1440
	v_add_f64 v[28:29], v[198:199], v[208:209]
	v_add_f64 v[198:199], v[200:201], v[204:205]
	v_fma_f64 v[202:203], v[8:9], v[30:31], v[202:203]
	v_fma_f64 v[30:31], v[6:7], v[30:31], -v[32:33]
	ds_load_b128 v[6:9], v1 offset:1456
	s_waitcnt vmcnt(7) lgkmcnt(1)
	v_mul_f64 v[200:201], v[2:3], v[36:37]
	v_mul_f64 v[36:37], v[4:5], v[36:37]
	v_add_f64 v[26:27], v[28:29], v[26:27]
	v_add_f64 v[28:29], v[198:199], v[206:207]
	s_delay_alu instid0(VALU_DEP_4) | instskip(NEXT) | instid1(VALU_DEP_4)
	v_fma_f64 v[198:199], v[4:5], v[34:35], v[200:201]
	v_fma_f64 v[34:35], v[2:3], v[34:35], -v[36:37]
	ds_load_b128 v[2:5], v1 offset:1472
	v_add_f64 v[30:31], v[26:27], v[30:31]
	v_add_f64 v[36:37], v[28:29], v[202:203]
	scratch_load_b128 v[26:29], off, off offset:32
	s_waitcnt vmcnt(7) lgkmcnt(1)
	v_mul_f64 v[32:33], v[6:7], v[196:197]
	v_mul_f64 v[196:197], v[8:9], v[196:197]
	v_add_f64 v[30:31], v[30:31], v[34:35]
	v_add_f64 v[34:35], v[36:37], v[198:199]
	s_delay_alu instid0(VALU_DEP_4) | instskip(NEXT) | instid1(VALU_DEP_4)
	v_fma_f64 v[32:33], v[8:9], v[194:195], v[32:33]
	v_fma_f64 v[194:195], v[6:7], v[194:195], -v[196:197]
	ds_load_b128 v[6:9], v1 offset:1488
	s_waitcnt vmcnt(6) lgkmcnt(1)
	v_mul_f64 v[200:201], v[2:3], v[40:41]
	v_mul_f64 v[40:41], v[4:5], v[40:41]
	s_waitcnt vmcnt(5) lgkmcnt(0)
	v_mul_f64 v[36:37], v[6:7], v[192:193]
	v_mul_f64 v[192:193], v[8:9], v[192:193]
	v_add_f64 v[32:33], v[34:35], v[32:33]
	v_add_f64 v[30:31], v[30:31], v[194:195]
	v_fma_f64 v[196:197], v[4:5], v[38:39], v[200:201]
	v_fma_f64 v[38:39], v[2:3], v[38:39], -v[40:41]
	ds_load_b128 v[2:5], v1 offset:1504
	v_fma_f64 v[36:37], v[8:9], v[190:191], v[36:37]
	v_fma_f64 v[40:41], v[6:7], v[190:191], -v[192:193]
	ds_load_b128 v[6:9], v1 offset:1520
	s_waitcnt vmcnt(4) lgkmcnt(1)
	v_mul_f64 v[34:35], v[2:3], v[12:13]
	v_mul_f64 v[12:13], v[4:5], v[12:13]
	v_add_f64 v[32:33], v[32:33], v[196:197]
	v_add_f64 v[30:31], v[30:31], v[38:39]
	s_waitcnt vmcnt(3) lgkmcnt(0)
	v_mul_f64 v[38:39], v[6:7], v[16:17]
	v_mul_f64 v[16:17], v[8:9], v[16:17]
	v_fma_f64 v[34:35], v[4:5], v[10:11], v[34:35]
	v_fma_f64 v[10:11], v[2:3], v[10:11], -v[12:13]
	ds_load_b128 v[2:5], v1 offset:1536
	v_add_f64 v[12:13], v[30:31], v[40:41]
	v_add_f64 v[30:31], v[32:33], v[36:37]
	v_fma_f64 v[36:37], v[8:9], v[14:15], v[38:39]
	v_fma_f64 v[14:15], v[6:7], v[14:15], -v[16:17]
	ds_load_b128 v[6:9], v1 offset:1552
	s_waitcnt vmcnt(2) lgkmcnt(1)
	v_mul_f64 v[32:33], v[2:3], v[20:21]
	v_mul_f64 v[20:21], v[4:5], v[20:21]
	s_waitcnt vmcnt(1) lgkmcnt(0)
	v_mul_f64 v[16:17], v[6:7], v[24:25]
	v_mul_f64 v[24:25], v[8:9], v[24:25]
	v_add_f64 v[10:11], v[12:13], v[10:11]
	v_add_f64 v[12:13], v[30:31], v[34:35]
	v_fma_f64 v[4:5], v[4:5], v[18:19], v[32:33]
	v_fma_f64 v[1:2], v[2:3], v[18:19], -v[20:21]
	v_fma_f64 v[8:9], v[8:9], v[22:23], v[16:17]
	v_fma_f64 v[6:7], v[6:7], v[22:23], -v[24:25]
	v_add_f64 v[10:11], v[10:11], v[14:15]
	v_add_f64 v[12:13], v[12:13], v[36:37]
	s_delay_alu instid0(VALU_DEP_2) | instskip(NEXT) | instid1(VALU_DEP_2)
	v_add_f64 v[1:2], v[10:11], v[1:2]
	v_add_f64 v[3:4], v[12:13], v[4:5]
	s_delay_alu instid0(VALU_DEP_2) | instskip(NEXT) | instid1(VALU_DEP_2)
	v_add_f64 v[1:2], v[1:2], v[6:7]
	v_add_f64 v[3:4], v[3:4], v[8:9]
	s_waitcnt vmcnt(0)
	s_delay_alu instid0(VALU_DEP_2) | instskip(NEXT) | instid1(VALU_DEP_2)
	v_add_f64 v[1:2], v[26:27], -v[1:2]
	v_add_f64 v[3:4], v[28:29], -v[3:4]
	scratch_store_b128 off, v[1:4], off offset:32
	v_cmpx_lt_u32_e32 1, v140
	s_cbranch_execz .LBB112_305
; %bb.304:
	scratch_load_b128 v[1:4], v188, off
	v_mov_b32_e32 v5, 0
	s_delay_alu instid0(VALU_DEP_1)
	v_mov_b32_e32 v6, v5
	v_mov_b32_e32 v7, v5
	;; [unrolled: 1-line block ×3, first 2 shown]
	scratch_store_b128 off, v[5:8], off offset:16
	s_waitcnt vmcnt(0)
	ds_store_b128 v189, v[1:4]
.LBB112_305:
	s_or_b32 exec_lo, exec_lo, s2
	s_waitcnt lgkmcnt(0)
	s_waitcnt_vscnt null, 0x0
	s_barrier
	buffer_gl0_inv
	s_clause 0x7
	scratch_load_b128 v[2:5], off, off offset:32
	scratch_load_b128 v[6:9], off, off offset:48
	;; [unrolled: 1-line block ×8, first 2 shown]
	v_mov_b32_e32 v1, 0
	s_clause 0x1
	scratch_load_b128 v[34:37], off, off offset:160
	scratch_load_b128 v[194:197], off, off offset:176
	s_mov_b32 s2, exec_lo
	ds_load_b128 v[38:41], v1 offset:816
	ds_load_b128 v[190:193], v1 offset:832
	s_waitcnt vmcnt(9) lgkmcnt(1)
	v_mul_f64 v[198:199], v[40:41], v[4:5]
	v_mul_f64 v[4:5], v[38:39], v[4:5]
	s_waitcnt vmcnt(8) lgkmcnt(0)
	v_mul_f64 v[200:201], v[190:191], v[8:9]
	v_mul_f64 v[8:9], v[192:193], v[8:9]
	s_delay_alu instid0(VALU_DEP_4) | instskip(NEXT) | instid1(VALU_DEP_4)
	v_fma_f64 v[198:199], v[38:39], v[2:3], -v[198:199]
	v_fma_f64 v[202:203], v[40:41], v[2:3], v[4:5]
	ds_load_b128 v[2:5], v1 offset:848
	scratch_load_b128 v[38:41], off, off offset:192
	v_fma_f64 v[200:201], v[192:193], v[6:7], v[200:201]
	v_fma_f64 v[206:207], v[190:191], v[6:7], -v[8:9]
	scratch_load_b128 v[190:193], off, off offset:208
	ds_load_b128 v[6:9], v1 offset:864
	s_waitcnt vmcnt(9) lgkmcnt(1)
	v_mul_f64 v[204:205], v[2:3], v[12:13]
	v_mul_f64 v[12:13], v[4:5], v[12:13]
	s_waitcnt vmcnt(8) lgkmcnt(0)
	v_mul_f64 v[208:209], v[6:7], v[16:17]
	v_mul_f64 v[16:17], v[8:9], v[16:17]
	v_add_f64 v[198:199], v[198:199], 0
	v_add_f64 v[202:203], v[202:203], 0
	v_fma_f64 v[204:205], v[4:5], v[10:11], v[204:205]
	v_fma_f64 v[210:211], v[2:3], v[10:11], -v[12:13]
	ds_load_b128 v[2:5], v1 offset:880
	scratch_load_b128 v[10:13], off, off offset:224
	v_add_f64 v[198:199], v[198:199], v[206:207]
	v_add_f64 v[200:201], v[202:203], v[200:201]
	v_fma_f64 v[206:207], v[8:9], v[14:15], v[208:209]
	v_fma_f64 v[208:209], v[6:7], v[14:15], -v[16:17]
	scratch_load_b128 v[14:17], off, off offset:240
	ds_load_b128 v[6:9], v1 offset:896
	s_waitcnt vmcnt(9) lgkmcnt(1)
	v_mul_f64 v[202:203], v[2:3], v[20:21]
	v_mul_f64 v[20:21], v[4:5], v[20:21]
	v_add_f64 v[198:199], v[198:199], v[210:211]
	v_add_f64 v[200:201], v[200:201], v[204:205]
	s_waitcnt vmcnt(8) lgkmcnt(0)
	v_mul_f64 v[204:205], v[6:7], v[24:25]
	v_mul_f64 v[24:25], v[8:9], v[24:25]
	v_fma_f64 v[202:203], v[4:5], v[18:19], v[202:203]
	v_fma_f64 v[210:211], v[2:3], v[18:19], -v[20:21]
	ds_load_b128 v[2:5], v1 offset:912
	scratch_load_b128 v[18:21], off, off offset:256
	v_add_f64 v[198:199], v[198:199], v[208:209]
	v_add_f64 v[200:201], v[200:201], v[206:207]
	v_fma_f64 v[204:205], v[8:9], v[22:23], v[204:205]
	v_fma_f64 v[208:209], v[6:7], v[22:23], -v[24:25]
	scratch_load_b128 v[22:25], off, off offset:272
	ds_load_b128 v[6:9], v1 offset:928
	s_waitcnt vmcnt(9) lgkmcnt(1)
	v_mul_f64 v[206:207], v[2:3], v[28:29]
	v_mul_f64 v[28:29], v[4:5], v[28:29]
	v_add_f64 v[198:199], v[198:199], v[210:211]
	v_add_f64 v[200:201], v[200:201], v[202:203]
	s_waitcnt vmcnt(8) lgkmcnt(0)
	v_mul_f64 v[202:203], v[6:7], v[32:33]
	v_mul_f64 v[32:33], v[8:9], v[32:33]
	;; [unrolled: 18-line block ×14, first 2 shown]
	v_fma_f64 v[206:207], v[4:5], v[38:39], v[206:207]
	v_fma_f64 v[210:211], v[2:3], v[38:39], -v[40:41]
	ds_load_b128 v[2:5], v1 offset:1328
	scratch_load_b128 v[38:41], off, off offset:672
	v_add_f64 v[198:199], v[198:199], v[208:209]
	v_add_f64 v[200:201], v[200:201], v[204:205]
	v_fma_f64 v[202:203], v[8:9], v[190:191], v[202:203]
	v_fma_f64 v[208:209], v[6:7], v[190:191], -v[192:193]
	ds_load_b128 v[6:9], v1 offset:1344
	s_waitcnt vmcnt(8) lgkmcnt(1)
	v_mul_f64 v[204:205], v[2:3], v[12:13]
	v_mul_f64 v[12:13], v[4:5], v[12:13]
	scratch_load_b128 v[190:193], off, off offset:688
	v_add_f64 v[198:199], v[198:199], v[210:211]
	v_add_f64 v[200:201], v[200:201], v[206:207]
	s_waitcnt vmcnt(8) lgkmcnt(0)
	v_mul_f64 v[206:207], v[6:7], v[16:17]
	v_mul_f64 v[16:17], v[8:9], v[16:17]
	v_fma_f64 v[204:205], v[4:5], v[10:11], v[204:205]
	v_fma_f64 v[210:211], v[2:3], v[10:11], -v[12:13]
	scratch_load_b128 v[10:13], off, off offset:704
	ds_load_b128 v[2:5], v1 offset:1360
	v_add_f64 v[198:199], v[198:199], v[208:209]
	v_add_f64 v[200:201], v[200:201], v[202:203]
	v_fma_f64 v[206:207], v[8:9], v[14:15], v[206:207]
	v_fma_f64 v[208:209], v[6:7], v[14:15], -v[16:17]
	ds_load_b128 v[6:9], v1 offset:1376
	s_waitcnt vmcnt(8) lgkmcnt(1)
	v_mul_f64 v[202:203], v[2:3], v[20:21]
	v_mul_f64 v[20:21], v[4:5], v[20:21]
	scratch_load_b128 v[14:17], off, off offset:720
	v_add_f64 v[198:199], v[198:199], v[210:211]
	v_add_f64 v[200:201], v[200:201], v[204:205]
	s_waitcnt vmcnt(8) lgkmcnt(0)
	v_mul_f64 v[204:205], v[6:7], v[24:25]
	v_mul_f64 v[24:25], v[8:9], v[24:25]
	v_fma_f64 v[202:203], v[4:5], v[18:19], v[202:203]
	v_fma_f64 v[210:211], v[2:3], v[18:19], -v[20:21]
	scratch_load_b128 v[18:21], off, off offset:736
	ds_load_b128 v[2:5], v1 offset:1392
	;; [unrolled: 18-line block ×3, first 2 shown]
	v_add_f64 v[198:199], v[198:199], v[208:209]
	v_add_f64 v[200:201], v[200:201], v[204:205]
	v_fma_f64 v[202:203], v[8:9], v[30:31], v[202:203]
	v_fma_f64 v[30:31], v[6:7], v[30:31], -v[32:33]
	ds_load_b128 v[6:9], v1 offset:1440
	s_waitcnt vmcnt(8) lgkmcnt(1)
	v_mul_f64 v[204:205], v[2:3], v[36:37]
	v_mul_f64 v[36:37], v[4:5], v[36:37]
	v_add_f64 v[32:33], v[198:199], v[210:211]
	v_add_f64 v[198:199], v[200:201], v[206:207]
	s_waitcnt vmcnt(7) lgkmcnt(0)
	v_mul_f64 v[200:201], v[6:7], v[196:197]
	v_mul_f64 v[196:197], v[8:9], v[196:197]
	v_fma_f64 v[204:205], v[4:5], v[34:35], v[204:205]
	v_fma_f64 v[34:35], v[2:3], v[34:35], -v[36:37]
	ds_load_b128 v[2:5], v1 offset:1456
	v_add_f64 v[30:31], v[32:33], v[30:31]
	v_add_f64 v[32:33], v[198:199], v[202:203]
	v_fma_f64 v[198:199], v[8:9], v[194:195], v[200:201]
	v_fma_f64 v[194:195], v[6:7], v[194:195], -v[196:197]
	ds_load_b128 v[6:9], v1 offset:1472
	s_waitcnt vmcnt(5) lgkmcnt(0)
	v_mul_f64 v[200:201], v[6:7], v[192:193]
	v_mul_f64 v[192:193], v[8:9], v[192:193]
	v_add_f64 v[34:35], v[30:31], v[34:35]
	v_add_f64 v[196:197], v[32:33], v[204:205]
	scratch_load_b128 v[30:33], off, off offset:16
	v_mul_f64 v[36:37], v[2:3], v[40:41]
	v_mul_f64 v[40:41], v[4:5], v[40:41]
	v_add_f64 v[34:35], v[34:35], v[194:195]
	s_delay_alu instid0(VALU_DEP_3) | instskip(NEXT) | instid1(VALU_DEP_3)
	v_fma_f64 v[36:37], v[4:5], v[38:39], v[36:37]
	v_fma_f64 v[38:39], v[2:3], v[38:39], -v[40:41]
	v_add_f64 v[40:41], v[196:197], v[198:199]
	ds_load_b128 v[2:5], v1 offset:1488
	v_fma_f64 v[196:197], v[8:9], v[190:191], v[200:201]
	v_fma_f64 v[190:191], v[6:7], v[190:191], -v[192:193]
	ds_load_b128 v[6:9], v1 offset:1504
	s_waitcnt vmcnt(5) lgkmcnt(1)
	v_mul_f64 v[194:195], v[2:3], v[12:13]
	v_mul_f64 v[12:13], v[4:5], v[12:13]
	v_add_f64 v[34:35], v[34:35], v[38:39]
	v_add_f64 v[36:37], v[40:41], v[36:37]
	s_waitcnt vmcnt(4) lgkmcnt(0)
	v_mul_f64 v[38:39], v[6:7], v[16:17]
	v_mul_f64 v[16:17], v[8:9], v[16:17]
	v_fma_f64 v[40:41], v[4:5], v[10:11], v[194:195]
	v_fma_f64 v[10:11], v[2:3], v[10:11], -v[12:13]
	ds_load_b128 v[2:5], v1 offset:1520
	v_add_f64 v[12:13], v[34:35], v[190:191]
	v_add_f64 v[34:35], v[36:37], v[196:197]
	v_fma_f64 v[38:39], v[8:9], v[14:15], v[38:39]
	v_fma_f64 v[14:15], v[6:7], v[14:15], -v[16:17]
	ds_load_b128 v[6:9], v1 offset:1536
	s_waitcnt vmcnt(3) lgkmcnt(1)
	v_mul_f64 v[36:37], v[2:3], v[20:21]
	v_mul_f64 v[20:21], v[4:5], v[20:21]
	s_waitcnt vmcnt(2) lgkmcnt(0)
	v_mul_f64 v[16:17], v[6:7], v[24:25]
	v_mul_f64 v[24:25], v[8:9], v[24:25]
	v_add_f64 v[10:11], v[12:13], v[10:11]
	v_add_f64 v[12:13], v[34:35], v[40:41]
	v_fma_f64 v[34:35], v[4:5], v[18:19], v[36:37]
	v_fma_f64 v[18:19], v[2:3], v[18:19], -v[20:21]
	ds_load_b128 v[2:5], v1 offset:1552
	v_fma_f64 v[8:9], v[8:9], v[22:23], v[16:17]
	v_fma_f64 v[6:7], v[6:7], v[22:23], -v[24:25]
	s_waitcnt vmcnt(1) lgkmcnt(0)
	v_mul_f64 v[20:21], v[4:5], v[28:29]
	v_add_f64 v[10:11], v[10:11], v[14:15]
	v_add_f64 v[12:13], v[12:13], v[38:39]
	v_mul_f64 v[14:15], v[2:3], v[28:29]
	s_delay_alu instid0(VALU_DEP_4) | instskip(NEXT) | instid1(VALU_DEP_4)
	v_fma_f64 v[2:3], v[2:3], v[26:27], -v[20:21]
	v_add_f64 v[10:11], v[10:11], v[18:19]
	s_delay_alu instid0(VALU_DEP_4) | instskip(NEXT) | instid1(VALU_DEP_4)
	v_add_f64 v[12:13], v[12:13], v[34:35]
	v_fma_f64 v[4:5], v[4:5], v[26:27], v[14:15]
	s_delay_alu instid0(VALU_DEP_3) | instskip(NEXT) | instid1(VALU_DEP_3)
	v_add_f64 v[6:7], v[10:11], v[6:7]
	v_add_f64 v[8:9], v[12:13], v[8:9]
	s_delay_alu instid0(VALU_DEP_2) | instskip(NEXT) | instid1(VALU_DEP_2)
	v_add_f64 v[2:3], v[6:7], v[2:3]
	v_add_f64 v[4:5], v[8:9], v[4:5]
	s_waitcnt vmcnt(0)
	s_delay_alu instid0(VALU_DEP_2) | instskip(NEXT) | instid1(VALU_DEP_2)
	v_add_f64 v[2:3], v[30:31], -v[2:3]
	v_add_f64 v[4:5], v[32:33], -v[4:5]
	scratch_store_b128 off, v[2:5], off offset:16
	v_cmpx_ne_u32_e32 0, v140
	s_cbranch_execz .LBB112_307
; %bb.306:
	scratch_load_b128 v[5:8], off, off
	v_mov_b32_e32 v2, v1
	v_mov_b32_e32 v3, v1
	;; [unrolled: 1-line block ×3, first 2 shown]
	scratch_store_b128 off, v[1:4], off
	s_waitcnt vmcnt(0)
	ds_store_b128 v189, v[5:8]
.LBB112_307:
	s_or_b32 exec_lo, exec_lo, s2
	s_waitcnt lgkmcnt(0)
	s_waitcnt_vscnt null, 0x0
	s_barrier
	buffer_gl0_inv
	s_clause 0x7
	scratch_load_b128 v[2:5], off, off offset:16
	scratch_load_b128 v[6:9], off, off offset:32
	;; [unrolled: 1-line block ×8, first 2 shown]
	ds_load_b128 v[38:41], v1 offset:800
	ds_load_b128 v[189:192], v1 offset:816
	s_clause 0x1
	scratch_load_b128 v[34:37], off, off offset:144
	scratch_load_b128 v[193:196], off, off offset:160
	s_and_b32 vcc_lo, exec_lo, s14
	s_waitcnt vmcnt(9) lgkmcnt(1)
	v_mul_f64 v[197:198], v[40:41], v[4:5]
	v_mul_f64 v[4:5], v[38:39], v[4:5]
	s_waitcnt vmcnt(8) lgkmcnt(0)
	v_mul_f64 v[199:200], v[189:190], v[8:9]
	v_mul_f64 v[8:9], v[191:192], v[8:9]
	s_delay_alu instid0(VALU_DEP_4) | instskip(NEXT) | instid1(VALU_DEP_4)
	v_fma_f64 v[197:198], v[38:39], v[2:3], -v[197:198]
	v_fma_f64 v[201:202], v[40:41], v[2:3], v[4:5]
	ds_load_b128 v[2:5], v1 offset:832
	scratch_load_b128 v[38:41], off, off offset:176
	v_fma_f64 v[199:200], v[191:192], v[6:7], v[199:200]
	v_fma_f64 v[205:206], v[189:190], v[6:7], -v[8:9]
	scratch_load_b128 v[189:192], off, off offset:192
	ds_load_b128 v[6:9], v1 offset:848
	s_waitcnt vmcnt(9) lgkmcnt(1)
	v_mul_f64 v[203:204], v[2:3], v[12:13]
	v_mul_f64 v[12:13], v[4:5], v[12:13]
	s_waitcnt vmcnt(8) lgkmcnt(0)
	v_mul_f64 v[207:208], v[6:7], v[16:17]
	v_mul_f64 v[16:17], v[8:9], v[16:17]
	v_add_f64 v[197:198], v[197:198], 0
	v_add_f64 v[201:202], v[201:202], 0
	v_fma_f64 v[203:204], v[4:5], v[10:11], v[203:204]
	v_fma_f64 v[209:210], v[2:3], v[10:11], -v[12:13]
	ds_load_b128 v[2:5], v1 offset:864
	scratch_load_b128 v[10:13], off, off offset:208
	v_add_f64 v[197:198], v[197:198], v[205:206]
	v_add_f64 v[199:200], v[201:202], v[199:200]
	v_fma_f64 v[205:206], v[8:9], v[14:15], v[207:208]
	v_fma_f64 v[207:208], v[6:7], v[14:15], -v[16:17]
	scratch_load_b128 v[14:17], off, off offset:224
	ds_load_b128 v[6:9], v1 offset:880
	s_waitcnt vmcnt(9) lgkmcnt(1)
	v_mul_f64 v[201:202], v[2:3], v[20:21]
	v_mul_f64 v[20:21], v[4:5], v[20:21]
	v_add_f64 v[197:198], v[197:198], v[209:210]
	v_add_f64 v[199:200], v[199:200], v[203:204]
	s_waitcnt vmcnt(8) lgkmcnt(0)
	v_mul_f64 v[203:204], v[6:7], v[24:25]
	v_mul_f64 v[24:25], v[8:9], v[24:25]
	v_fma_f64 v[201:202], v[4:5], v[18:19], v[201:202]
	v_fma_f64 v[209:210], v[2:3], v[18:19], -v[20:21]
	ds_load_b128 v[2:5], v1 offset:896
	scratch_load_b128 v[18:21], off, off offset:240
	v_add_f64 v[197:198], v[197:198], v[207:208]
	v_add_f64 v[199:200], v[199:200], v[205:206]
	v_fma_f64 v[203:204], v[8:9], v[22:23], v[203:204]
	v_fma_f64 v[207:208], v[6:7], v[22:23], -v[24:25]
	scratch_load_b128 v[22:25], off, off offset:256
	ds_load_b128 v[6:9], v1 offset:912
	s_waitcnt vmcnt(9) lgkmcnt(1)
	v_mul_f64 v[205:206], v[2:3], v[28:29]
	v_mul_f64 v[28:29], v[4:5], v[28:29]
	v_add_f64 v[197:198], v[197:198], v[209:210]
	v_add_f64 v[199:200], v[199:200], v[201:202]
	s_waitcnt vmcnt(8) lgkmcnt(0)
	v_mul_f64 v[201:202], v[6:7], v[32:33]
	v_mul_f64 v[32:33], v[8:9], v[32:33]
	;; [unrolled: 18-line block ×14, first 2 shown]
	v_fma_f64 v[205:206], v[4:5], v[38:39], v[205:206]
	v_fma_f64 v[209:210], v[2:3], v[38:39], -v[40:41]
	ds_load_b128 v[2:5], v1 offset:1312
	scratch_load_b128 v[38:41], off, off offset:656
	v_add_f64 v[197:198], v[197:198], v[207:208]
	v_add_f64 v[199:200], v[199:200], v[203:204]
	v_fma_f64 v[201:202], v[8:9], v[189:190], v[201:202]
	v_fma_f64 v[207:208], v[6:7], v[189:190], -v[191:192]
	ds_load_b128 v[6:9], v1 offset:1328
	s_waitcnt vmcnt(8) lgkmcnt(1)
	v_mul_f64 v[203:204], v[2:3], v[12:13]
	v_mul_f64 v[12:13], v[4:5], v[12:13]
	scratch_load_b128 v[189:192], off, off offset:672
	v_add_f64 v[197:198], v[197:198], v[209:210]
	v_add_f64 v[199:200], v[199:200], v[205:206]
	s_waitcnt vmcnt(8) lgkmcnt(0)
	v_mul_f64 v[205:206], v[6:7], v[16:17]
	v_mul_f64 v[16:17], v[8:9], v[16:17]
	v_fma_f64 v[203:204], v[4:5], v[10:11], v[203:204]
	v_fma_f64 v[209:210], v[2:3], v[10:11], -v[12:13]
	ds_load_b128 v[2:5], v1 offset:1344
	scratch_load_b128 v[10:13], off, off offset:688
	v_add_f64 v[197:198], v[197:198], v[207:208]
	v_add_f64 v[199:200], v[199:200], v[201:202]
	v_fma_f64 v[205:206], v[8:9], v[14:15], v[205:206]
	v_fma_f64 v[207:208], v[6:7], v[14:15], -v[16:17]
	ds_load_b128 v[6:9], v1 offset:1360
	s_waitcnt vmcnt(8) lgkmcnt(1)
	v_mul_f64 v[201:202], v[2:3], v[20:21]
	v_mul_f64 v[20:21], v[4:5], v[20:21]
	scratch_load_b128 v[14:17], off, off offset:704
	v_add_f64 v[197:198], v[197:198], v[209:210]
	v_add_f64 v[199:200], v[199:200], v[203:204]
	s_waitcnt vmcnt(8) lgkmcnt(0)
	v_mul_f64 v[203:204], v[6:7], v[24:25]
	v_mul_f64 v[24:25], v[8:9], v[24:25]
	v_fma_f64 v[201:202], v[4:5], v[18:19], v[201:202]
	v_fma_f64 v[209:210], v[2:3], v[18:19], -v[20:21]
	scratch_load_b128 v[18:21], off, off offset:720
	ds_load_b128 v[2:5], v1 offset:1376
	v_add_f64 v[197:198], v[197:198], v[207:208]
	v_add_f64 v[199:200], v[199:200], v[205:206]
	v_fma_f64 v[203:204], v[8:9], v[22:23], v[203:204]
	v_fma_f64 v[207:208], v[6:7], v[22:23], -v[24:25]
	ds_load_b128 v[6:9], v1 offset:1392
	s_waitcnt vmcnt(8) lgkmcnt(1)
	v_mul_f64 v[205:206], v[2:3], v[28:29]
	v_mul_f64 v[28:29], v[4:5], v[28:29]
	scratch_load_b128 v[22:25], off, off offset:736
	v_add_f64 v[197:198], v[197:198], v[209:210]
	v_add_f64 v[199:200], v[199:200], v[201:202]
	s_waitcnt vmcnt(8) lgkmcnt(0)
	v_mul_f64 v[201:202], v[6:7], v[32:33]
	v_mul_f64 v[32:33], v[8:9], v[32:33]
	v_fma_f64 v[205:206], v[4:5], v[26:27], v[205:206]
	v_fma_f64 v[209:210], v[2:3], v[26:27], -v[28:29]
	scratch_load_b128 v[26:29], off, off offset:752
	ds_load_b128 v[2:5], v1 offset:1408
	v_add_f64 v[197:198], v[197:198], v[207:208]
	v_add_f64 v[199:200], v[199:200], v[203:204]
	v_fma_f64 v[201:202], v[8:9], v[30:31], v[201:202]
	v_fma_f64 v[207:208], v[6:7], v[30:31], -v[32:33]
	ds_load_b128 v[6:9], v1 offset:1424
	s_waitcnt vmcnt(8) lgkmcnt(1)
	v_mul_f64 v[203:204], v[2:3], v[36:37]
	v_mul_f64 v[36:37], v[4:5], v[36:37]
	scratch_load_b128 v[30:33], off, off offset:768
	v_add_f64 v[197:198], v[197:198], v[209:210]
	v_add_f64 v[199:200], v[199:200], v[205:206]
	s_waitcnt vmcnt(8) lgkmcnt(0)
	v_mul_f64 v[205:206], v[6:7], v[195:196]
	v_mul_f64 v[195:196], v[8:9], v[195:196]
	v_fma_f64 v[203:204], v[4:5], v[34:35], v[203:204]
	v_fma_f64 v[34:35], v[2:3], v[34:35], -v[36:37]
	ds_load_b128 v[2:5], v1 offset:1440
	v_add_f64 v[36:37], v[197:198], v[207:208]
	v_add_f64 v[197:198], v[199:200], v[201:202]
	v_fma_f64 v[201:202], v[8:9], v[193:194], v[205:206]
	v_fma_f64 v[193:194], v[6:7], v[193:194], -v[195:196]
	ds_load_b128 v[6:9], v1 offset:1456
	s_waitcnt vmcnt(7) lgkmcnt(1)
	v_mul_f64 v[199:200], v[2:3], v[40:41]
	v_mul_f64 v[40:41], v[4:5], v[40:41]
	v_add_f64 v[34:35], v[36:37], v[34:35]
	v_add_f64 v[36:37], v[197:198], v[203:204]
	s_delay_alu instid0(VALU_DEP_4) | instskip(NEXT) | instid1(VALU_DEP_4)
	v_fma_f64 v[197:198], v[4:5], v[38:39], v[199:200]
	v_fma_f64 v[38:39], v[2:3], v[38:39], -v[40:41]
	ds_load_b128 v[2:5], v1 offset:1472
	v_add_f64 v[40:41], v[34:35], v[193:194]
	v_add_f64 v[193:194], v[36:37], v[201:202]
	scratch_load_b128 v[34:37], off, off
	s_waitcnt vmcnt(7) lgkmcnt(1)
	v_mul_f64 v[195:196], v[6:7], v[191:192]
	v_mul_f64 v[191:192], v[8:9], v[191:192]
	v_add_f64 v[38:39], v[40:41], v[38:39]
	v_add_f64 v[40:41], v[193:194], v[197:198]
	s_delay_alu instid0(VALU_DEP_4) | instskip(NEXT) | instid1(VALU_DEP_4)
	v_fma_f64 v[195:196], v[8:9], v[189:190], v[195:196]
	v_fma_f64 v[189:190], v[6:7], v[189:190], -v[191:192]
	ds_load_b128 v[6:9], v1 offset:1488
	s_waitcnt vmcnt(6) lgkmcnt(1)
	v_mul_f64 v[199:200], v[2:3], v[12:13]
	v_mul_f64 v[12:13], v[4:5], v[12:13]
	s_waitcnt vmcnt(5) lgkmcnt(0)
	v_mul_f64 v[191:192], v[6:7], v[16:17]
	v_mul_f64 v[16:17], v[8:9], v[16:17]
	s_delay_alu instid0(VALU_DEP_4) | instskip(NEXT) | instid1(VALU_DEP_4)
	v_fma_f64 v[193:194], v[4:5], v[10:11], v[199:200]
	v_fma_f64 v[10:11], v[2:3], v[10:11], -v[12:13]
	v_add_f64 v[12:13], v[38:39], v[189:190]
	v_add_f64 v[38:39], v[40:41], v[195:196]
	ds_load_b128 v[2:5], v1 offset:1504
	v_fma_f64 v[189:190], v[8:9], v[14:15], v[191:192]
	v_fma_f64 v[14:15], v[6:7], v[14:15], -v[16:17]
	ds_load_b128 v[6:9], v1 offset:1520
	s_waitcnt vmcnt(4) lgkmcnt(1)
	v_mul_f64 v[40:41], v[2:3], v[20:21]
	v_mul_f64 v[20:21], v[4:5], v[20:21]
	v_add_f64 v[10:11], v[12:13], v[10:11]
	v_add_f64 v[12:13], v[38:39], v[193:194]
	s_waitcnt vmcnt(3) lgkmcnt(0)
	v_mul_f64 v[16:17], v[6:7], v[24:25]
	v_mul_f64 v[24:25], v[8:9], v[24:25]
	v_fma_f64 v[38:39], v[4:5], v[18:19], v[40:41]
	v_fma_f64 v[18:19], v[2:3], v[18:19], -v[20:21]
	ds_load_b128 v[2:5], v1 offset:1536
	v_add_f64 v[10:11], v[10:11], v[14:15]
	v_add_f64 v[12:13], v[12:13], v[189:190]
	v_fma_f64 v[16:17], v[8:9], v[22:23], v[16:17]
	v_fma_f64 v[22:23], v[6:7], v[22:23], -v[24:25]
	ds_load_b128 v[6:9], v1 offset:1552
	s_waitcnt vmcnt(2) lgkmcnt(1)
	v_mul_f64 v[14:15], v[2:3], v[28:29]
	v_mul_f64 v[20:21], v[4:5], v[28:29]
	s_waitcnt vmcnt(1) lgkmcnt(0)
	v_mul_f64 v[24:25], v[8:9], v[32:33]
	v_add_f64 v[10:11], v[10:11], v[18:19]
	v_add_f64 v[12:13], v[12:13], v[38:39]
	v_mul_f64 v[18:19], v[6:7], v[32:33]
	v_fma_f64 v[4:5], v[4:5], v[26:27], v[14:15]
	v_fma_f64 v[1:2], v[2:3], v[26:27], -v[20:21]
	v_fma_f64 v[6:7], v[6:7], v[30:31], -v[24:25]
	v_add_f64 v[10:11], v[10:11], v[22:23]
	v_add_f64 v[12:13], v[12:13], v[16:17]
	v_fma_f64 v[8:9], v[8:9], v[30:31], v[18:19]
	s_delay_alu instid0(VALU_DEP_3) | instskip(NEXT) | instid1(VALU_DEP_3)
	v_add_f64 v[1:2], v[10:11], v[1:2]
	v_add_f64 v[3:4], v[12:13], v[4:5]
	s_delay_alu instid0(VALU_DEP_2) | instskip(NEXT) | instid1(VALU_DEP_2)
	v_add_f64 v[1:2], v[1:2], v[6:7]
	v_add_f64 v[3:4], v[3:4], v[8:9]
	s_waitcnt vmcnt(0)
	s_delay_alu instid0(VALU_DEP_2) | instskip(NEXT) | instid1(VALU_DEP_2)
	v_add_f64 v[1:2], v[34:35], -v[1:2]
	v_add_f64 v[3:4], v[36:37], -v[3:4]
	scratch_store_b128 off, v[1:4], off
	s_cbranch_vccz .LBB112_405
; %bb.308:
	v_dual_mov_b32 v1, s8 :: v_dual_mov_b32 v2, s9
	s_load_b64 s[0:1], s[0:1], 0x4
	flat_load_b32 v1, v[1:2] offset:188
	v_bfe_u32 v2, v0, 10, 10
	v_bfe_u32 v0, v0, 20, 10
	s_waitcnt lgkmcnt(0)
	s_lshr_b32 s0, s0, 16
	s_delay_alu instid0(VALU_DEP_2) | instskip(SKIP_1) | instid1(SALU_CYCLE_1)
	v_mul_u32_u24_e32 v2, s1, v2
	s_mul_i32 s0, s0, s1
	v_mul_u32_u24_e32 v3, s0, v140
	s_mov_b32 s0, exec_lo
	s_delay_alu instid0(VALU_DEP_1) | instskip(NEXT) | instid1(VALU_DEP_1)
	v_add3_u32 v0, v3, v2, v0
	v_lshl_add_u32 v0, v0, 4, 0x628
	s_waitcnt vmcnt(0)
	v_cmpx_ne_u32_e32 48, v1
	s_cbranch_execz .LBB112_310
; %bb.309:
	v_lshl_add_u32 v9, v1, 4, 0
	s_clause 0x1
	scratch_load_b128 v[1:4], v143, off
	scratch_load_b128 v[5:8], v9, off offset:-16
	s_waitcnt vmcnt(1)
	ds_store_2addr_b64 v0, v[1:2], v[3:4] offset1:1
	s_waitcnt vmcnt(0)
	s_clause 0x1
	scratch_store_b128 v143, v[5:8], off
	scratch_store_b128 v9, v[1:4], off offset:-16
.LBB112_310:
	s_or_b32 exec_lo, exec_lo, s0
	v_dual_mov_b32 v1, s8 :: v_dual_mov_b32 v2, s9
	s_mov_b32 s0, exec_lo
	flat_load_b32 v1, v[1:2] offset:184
	s_waitcnt vmcnt(0) lgkmcnt(0)
	v_cmpx_ne_u32_e32 47, v1
	s_cbranch_execz .LBB112_312
; %bb.311:
	v_lshl_add_u32 v9, v1, 4, 0
	s_clause 0x1
	scratch_load_b128 v[1:4], v144, off
	scratch_load_b128 v[5:8], v9, off offset:-16
	s_waitcnt vmcnt(1)
	ds_store_2addr_b64 v0, v[1:2], v[3:4] offset1:1
	s_waitcnt vmcnt(0)
	s_clause 0x1
	scratch_store_b128 v144, v[5:8], off
	scratch_store_b128 v9, v[1:4], off offset:-16
.LBB112_312:
	s_or_b32 exec_lo, exec_lo, s0
	v_dual_mov_b32 v1, s8 :: v_dual_mov_b32 v2, s9
	s_mov_b32 s0, exec_lo
	flat_load_b32 v1, v[1:2] offset:180
	s_waitcnt vmcnt(0) lgkmcnt(0)
	;; [unrolled: 19-line block ×46, first 2 shown]
	v_cmpx_ne_u32_e32 2, v1
	s_cbranch_execz .LBB112_402
; %bb.401:
	v_lshl_add_u32 v9, v1, 4, 0
	s_clause 0x1
	scratch_load_b128 v[1:4], v188, off
	scratch_load_b128 v[5:8], v9, off offset:-16
	s_waitcnt vmcnt(1)
	ds_store_2addr_b64 v0, v[1:2], v[3:4] offset1:1
	s_waitcnt vmcnt(0)
	s_clause 0x1
	scratch_store_b128 v188, v[5:8], off
	scratch_store_b128 v9, v[1:4], off offset:-16
.LBB112_402:
	s_or_b32 exec_lo, exec_lo, s0
	v_dual_mov_b32 v1, s8 :: v_dual_mov_b32 v2, s9
	s_mov_b32 s0, exec_lo
	flat_load_b32 v1, v[1:2]
	s_waitcnt vmcnt(0) lgkmcnt(0)
	v_cmpx_ne_u32_e32 1, v1
	s_cbranch_execz .LBB112_404
; %bb.403:
	v_lshl_add_u32 v9, v1, 4, 0
	scratch_load_b128 v[1:4], off, off
	scratch_load_b128 v[5:8], v9, off offset:-16
	s_waitcnt vmcnt(1)
	ds_store_2addr_b64 v0, v[1:2], v[3:4] offset1:1
	s_waitcnt vmcnt(0)
	scratch_store_b128 off, v[5:8], off
	scratch_store_b128 v9, v[1:4], off offset:-16
.LBB112_404:
	s_or_b32 exec_lo, exec_lo, s0
.LBB112_405:
	scratch_load_b128 v[0:3], off, off
	s_clause 0x13
	scratch_load_b128 v[4:7], v188, off
	scratch_load_b128 v[8:11], v187, off
	;; [unrolled: 1-line block ×20, first 2 shown]
	s_waitcnt vmcnt(20)
	global_store_b128 v[42:43], v[0:3], off
	s_clause 0x1
	scratch_load_b128 v[0:3], v168, off
	scratch_load_b128 v[40:43], v167, off
	s_waitcnt vmcnt(21)
	global_store_b128 v[44:45], v[4:7], off
	s_clause 0x1
	scratch_load_b128 v[4:7], v166, off
	scratch_load_b128 v[165:168], v165, off
	;; [unrolled: 5-line block ×14, first 2 shown]
	s_waitcnt vmcnt(34)
	global_store_b128 v[70:71], v[175:178], off
	s_waitcnt vmcnt(33)
	global_store_b128 v[72:73], v[195:198], off
	;; [unrolled: 2-line block ×35, first 2 shown]
	s_endpgm
	.section	.rodata,"a",@progbits
	.p2align	6, 0x0
	.amdhsa_kernel _ZN9rocsolver6v33100L18getri_kernel_smallILi49E19rocblas_complex_numIdEPKPS3_EEvT1_iilPiilS8_bb
		.amdhsa_group_segment_fixed_size 2600
		.amdhsa_private_segment_fixed_size 800
		.amdhsa_kernarg_size 60
		.amdhsa_user_sgpr_count 15
		.amdhsa_user_sgpr_dispatch_ptr 1
		.amdhsa_user_sgpr_queue_ptr 0
		.amdhsa_user_sgpr_kernarg_segment_ptr 1
		.amdhsa_user_sgpr_dispatch_id 0
		.amdhsa_user_sgpr_private_segment_size 0
		.amdhsa_wavefront_size32 1
		.amdhsa_uses_dynamic_stack 0
		.amdhsa_enable_private_segment 1
		.amdhsa_system_sgpr_workgroup_id_x 1
		.amdhsa_system_sgpr_workgroup_id_y 0
		.amdhsa_system_sgpr_workgroup_id_z 0
		.amdhsa_system_sgpr_workgroup_info 0
		.amdhsa_system_vgpr_workitem_id 2
		.amdhsa_next_free_vgpr 249
		.amdhsa_next_free_sgpr 55
		.amdhsa_reserve_vcc 1
		.amdhsa_float_round_mode_32 0
		.amdhsa_float_round_mode_16_64 0
		.amdhsa_float_denorm_mode_32 3
		.amdhsa_float_denorm_mode_16_64 3
		.amdhsa_dx10_clamp 1
		.amdhsa_ieee_mode 1
		.amdhsa_fp16_overflow 0
		.amdhsa_workgroup_processor_mode 1
		.amdhsa_memory_ordered 1
		.amdhsa_forward_progress 0
		.amdhsa_shared_vgpr_count 0
		.amdhsa_exception_fp_ieee_invalid_op 0
		.amdhsa_exception_fp_denorm_src 0
		.amdhsa_exception_fp_ieee_div_zero 0
		.amdhsa_exception_fp_ieee_overflow 0
		.amdhsa_exception_fp_ieee_underflow 0
		.amdhsa_exception_fp_ieee_inexact 0
		.amdhsa_exception_int_div_zero 0
	.end_amdhsa_kernel
	.section	.text._ZN9rocsolver6v33100L18getri_kernel_smallILi49E19rocblas_complex_numIdEPKPS3_EEvT1_iilPiilS8_bb,"axG",@progbits,_ZN9rocsolver6v33100L18getri_kernel_smallILi49E19rocblas_complex_numIdEPKPS3_EEvT1_iilPiilS8_bb,comdat
.Lfunc_end112:
	.size	_ZN9rocsolver6v33100L18getri_kernel_smallILi49E19rocblas_complex_numIdEPKPS3_EEvT1_iilPiilS8_bb, .Lfunc_end112-_ZN9rocsolver6v33100L18getri_kernel_smallILi49E19rocblas_complex_numIdEPKPS3_EEvT1_iilPiilS8_bb
                                        ; -- End function
	.section	.AMDGPU.csdata,"",@progbits
; Kernel info:
; codeLenInByte = 110524
; NumSgprs: 57
; NumVgprs: 249
; ScratchSize: 800
; MemoryBound: 0
; FloatMode: 240
; IeeeMode: 1
; LDSByteSize: 2600 bytes/workgroup (compile time only)
; SGPRBlocks: 7
; VGPRBlocks: 31
; NumSGPRsForWavesPerEU: 57
; NumVGPRsForWavesPerEU: 249
; Occupancy: 5
; WaveLimiterHint : 1
; COMPUTE_PGM_RSRC2:SCRATCH_EN: 1
; COMPUTE_PGM_RSRC2:USER_SGPR: 15
; COMPUTE_PGM_RSRC2:TRAP_HANDLER: 0
; COMPUTE_PGM_RSRC2:TGID_X_EN: 1
; COMPUTE_PGM_RSRC2:TGID_Y_EN: 0
; COMPUTE_PGM_RSRC2:TGID_Z_EN: 0
; COMPUTE_PGM_RSRC2:TIDIG_COMP_CNT: 2
	.section	.text._ZN9rocsolver6v33100L18getri_kernel_smallILi50E19rocblas_complex_numIdEPKPS3_EEvT1_iilPiilS8_bb,"axG",@progbits,_ZN9rocsolver6v33100L18getri_kernel_smallILi50E19rocblas_complex_numIdEPKPS3_EEvT1_iilPiilS8_bb,comdat
	.globl	_ZN9rocsolver6v33100L18getri_kernel_smallILi50E19rocblas_complex_numIdEPKPS3_EEvT1_iilPiilS8_bb ; -- Begin function _ZN9rocsolver6v33100L18getri_kernel_smallILi50E19rocblas_complex_numIdEPKPS3_EEvT1_iilPiilS8_bb
	.p2align	8
	.type	_ZN9rocsolver6v33100L18getri_kernel_smallILi50E19rocblas_complex_numIdEPKPS3_EEvT1_iilPiilS8_bb,@function
_ZN9rocsolver6v33100L18getri_kernel_smallILi50E19rocblas_complex_numIdEPKPS3_EEvT1_iilPiilS8_bb: ; @_ZN9rocsolver6v33100L18getri_kernel_smallILi50E19rocblas_complex_numIdEPKPS3_EEvT1_iilPiilS8_bb
; %bb.0:
	v_and_b32_e32 v142, 0x3ff, v0
	s_mov_b32 s4, exec_lo
	s_delay_alu instid0(VALU_DEP_1)
	v_cmpx_gt_u32_e32 50, v142
	s_cbranch_execz .LBB113_214
; %bb.1:
	s_mov_b32 s10, s15
	s_clause 0x2
	s_load_b32 s15, s[2:3], 0x38
	s_load_b64 s[8:9], s[2:3], 0x0
	s_load_b128 s[4:7], s[2:3], 0x28
	s_waitcnt lgkmcnt(0)
	s_bitcmp1_b32 s15, 8
	s_cselect_b32 s14, -1, 0
	s_ashr_i32 s11, s10, 31
	s_delay_alu instid0(SALU_CYCLE_1) | instskip(NEXT) | instid1(SALU_CYCLE_1)
	s_lshl_b64 s[12:13], s[10:11], 3
	s_add_u32 s8, s8, s12
	s_addc_u32 s9, s9, s13
	s_load_b64 s[12:13], s[8:9], 0x0
	s_bfe_u32 s8, s15, 0x10008
	s_delay_alu instid0(SALU_CYCLE_1)
	s_cmp_eq_u32 s8, 0
                                        ; implicit-def: $sgpr8_sgpr9
	s_cbranch_scc1 .LBB113_3
; %bb.2:
	s_clause 0x1
	s_load_b32 s8, s[2:3], 0x20
	s_load_b64 s[16:17], s[2:3], 0x18
	s_mul_i32 s5, s10, s5
	s_mul_hi_u32 s9, s10, s4
	s_mul_i32 s18, s11, s4
	s_add_i32 s5, s9, s5
	s_mul_i32 s4, s10, s4
	s_add_i32 s5, s5, s18
	s_delay_alu instid0(SALU_CYCLE_1)
	s_lshl_b64 s[4:5], s[4:5], 2
	s_waitcnt lgkmcnt(0)
	s_ashr_i32 s9, s8, 31
	s_add_u32 s16, s16, s4
	s_addc_u32 s17, s17, s5
	s_lshl_b64 s[4:5], s[8:9], 2
	s_delay_alu instid0(SALU_CYCLE_1)
	s_add_u32 s8, s16, s4
	s_addc_u32 s9, s17, s5
.LBB113_3:
	s_load_b64 s[2:3], s[2:3], 0x8
	v_lshlrev_b32_e32 v13, 4, v142
	s_movk_i32 s18, 0xd0
	s_movk_i32 s19, 0xe0
	;; [unrolled: 1-line block ×18, first 2 shown]
	s_waitcnt lgkmcnt(0)
	v_add3_u32 v1, s3, s3, v142
	s_ashr_i32 s5, s2, 31
	s_mov_b32 s4, s2
	s_mov_b32 s16, s3
	s_lshl_b64 s[4:5], s[4:5], 4
	v_add_nc_u32_e32 v7, s3, v1
	v_ashrrev_i32_e32 v2, 31, v1
	s_add_u32 s4, s12, s4
	s_addc_u32 s5, s13, s5
	v_add_co_u32 v42, s2, s4, v13
	v_add_nc_u32_e32 v9, s3, v7
	s_ashr_i32 s17, s3, 31
	v_add_co_ci_u32_e64 v43, null, s5, 0, s2
	v_lshlrev_b64 v[1:2], 4, v[1:2]
	s_lshl_b64 s[12:13], s[16:17], 4
	v_add_nc_u32_e32 v11, s3, v9
	v_add_co_u32 v46, vcc_lo, v42, s12
	v_ashrrev_i32_e32 v8, 31, v7
	v_add_co_ci_u32_e32 v47, vcc_lo, s13, v43, vcc_lo
	v_add_co_u32 v44, vcc_lo, s4, v1
	v_add_nc_u32_e32 v1, s3, v11
	v_ashrrev_i32_e32 v10, 31, v9
	v_lshlrev_b64 v[18:19], 4, v[7:8]
	v_ashrrev_i32_e32 v12, 31, v11
	v_add_co_ci_u32_e32 v45, vcc_lo, s5, v2, vcc_lo
	v_add_nc_u32_e32 v26, s3, v1
	v_lshlrev_b64 v[20:21], 4, v[9:10]
	v_add_co_u32 v50, vcc_lo, s4, v18
	v_lshlrev_b64 v[11:12], 4, v[11:12]
	v_ashrrev_i32_e32 v2, 31, v1
	v_add_nc_u32_e32 v28, s3, v26
	v_add_co_ci_u32_e32 v51, vcc_lo, s5, v19, vcc_lo
	v_add_co_u32 v48, vcc_lo, s4, v20
	v_add_co_ci_u32_e32 v49, vcc_lo, s5, v21, vcc_lo
	v_lshlrev_b64 v[1:2], 4, v[1:2]
	v_add_co_u32 v54, vcc_lo, s4, v11
	v_add_nc_u32_e32 v11, s3, v28
	v_ashrrev_i32_e32 v27, 31, v26
	v_add_co_ci_u32_e32 v55, vcc_lo, s5, v12, vcc_lo
	v_add_co_u32 v52, vcc_lo, s4, v1
	s_delay_alu instid0(VALU_DEP_4)
	v_add_nc_u32_e32 v1, s3, v11
	v_ashrrev_i32_e32 v29, 31, v28
	v_lshlrev_b64 v[34:35], 4, v[26:27]
	v_ashrrev_i32_e32 v12, 31, v11
	v_add_co_ci_u32_e32 v53, vcc_lo, s5, v2, vcc_lo
	v_add_nc_u32_e32 v60, s3, v1
	v_lshlrev_b64 v[36:37], 4, v[28:29]
	v_add_co_u32 v58, vcc_lo, s4, v34
	v_lshlrev_b64 v[11:12], 4, v[11:12]
	v_ashrrev_i32_e32 v2, 31, v1
	v_add_nc_u32_e32 v64, s3, v60
	v_add_co_ci_u32_e32 v59, vcc_lo, s5, v35, vcc_lo
	v_add_co_u32 v56, vcc_lo, s4, v36
	v_add_co_ci_u32_e32 v57, vcc_lo, s5, v37, vcc_lo
	v_lshlrev_b64 v[1:2], 4, v[1:2]
	v_ashrrev_i32_e32 v61, 31, v60
	v_add_co_u32 v62, vcc_lo, s4, v11
	v_add_nc_u32_e32 v11, s3, v64
	v_add_co_ci_u32_e32 v63, vcc_lo, s5, v12, vcc_lo
	s_delay_alu instid0(VALU_DEP_4) | instskip(SKIP_1) | instid1(VALU_DEP_4)
	v_lshlrev_b64 v[66:67], 4, v[60:61]
	v_add_co_u32 v60, vcc_lo, s4, v1
	v_add_nc_u32_e32 v1, s3, v11
	v_ashrrev_i32_e32 v65, 31, v64
	v_ashrrev_i32_e32 v12, 31, v11
	v_add_co_ci_u32_e32 v61, vcc_lo, s5, v2, vcc_lo
	s_delay_alu instid0(VALU_DEP_4) | instskip(NEXT) | instid1(VALU_DEP_4)
	v_add_nc_u32_e32 v70, s3, v1
	v_lshlrev_b64 v[68:69], 4, v[64:65]
	v_add_co_u32 v64, vcc_lo, s4, v66
	v_lshlrev_b64 v[11:12], 4, v[11:12]
	v_ashrrev_i32_e32 v2, 31, v1
	v_add_nc_u32_e32 v72, s3, v70
	v_add_co_ci_u32_e32 v65, vcc_lo, s5, v67, vcc_lo
	v_add_co_u32 v66, vcc_lo, s4, v68
	v_add_co_ci_u32_e32 v67, vcc_lo, s5, v69, vcc_lo
	v_lshlrev_b64 v[1:2], 4, v[1:2]
	v_ashrrev_i32_e32 v71, 31, v70
	v_add_co_u32 v68, vcc_lo, s4, v11
	v_add_nc_u32_e32 v11, s3, v72
	s_clause 0x6
	global_load_b128 v[3:6], v13, s[4:5]
	global_load_b128 v[7:10], v[46:47], off
	global_load_b128 v[14:17], v[44:45], off
	;; [unrolled: 1-line block ×6, first 2 shown]
	v_add_co_ci_u32_e32 v69, vcc_lo, s5, v12, vcc_lo
	s_clause 0x1
	global_load_b128 v[34:37], v[58:59], off
	global_load_b128 v[38:41], v[56:57], off
	v_lshlrev_b64 v[74:75], 4, v[70:71]
	v_add_co_u32 v70, vcc_lo, s4, v1
	v_add_nc_u32_e32 v1, s3, v11
	s_clause 0x1
	global_load_b128 v[118:121], v[62:63], off
	global_load_b128 v[122:125], v[60:61], off
	v_ashrrev_i32_e32 v73, 31, v72
	v_ashrrev_i32_e32 v12, 31, v11
	s_clause 0x1
	global_load_b128 v[126:129], v[64:65], off
	global_load_b128 v[130:133], v[66:67], off
	v_add_nc_u32_e32 v78, s3, v1
	v_add_co_ci_u32_e32 v71, vcc_lo, s5, v2, vcc_lo
	v_lshlrev_b64 v[76:77], 4, v[72:73]
	v_add_co_u32 v72, vcc_lo, s4, v74
	v_lshlrev_b64 v[11:12], 4, v[11:12]
	v_add_nc_u32_e32 v80, s3, v78
	v_add_co_ci_u32_e32 v73, vcc_lo, s5, v75, vcc_lo
	v_ashrrev_i32_e32 v2, 31, v1
	v_add_co_u32 v74, vcc_lo, s4, v76
	v_add_co_ci_u32_e32 v75, vcc_lo, s5, v77, vcc_lo
	v_ashrrev_i32_e32 v79, 31, v78
	v_add_co_u32 v76, vcc_lo, s4, v11
	v_add_nc_u32_e32 v11, s3, v80
	v_lshlrev_b64 v[1:2], 4, v[1:2]
	v_ashrrev_i32_e32 v81, 31, v80
	s_clause 0x1
	global_load_b128 v[134:137], v[68:69], off
	global_load_b128 v[138:141], v[70:71], off
	v_lshlrev_b64 v[82:83], 4, v[78:79]
	v_add_co_ci_u32_e32 v77, vcc_lo, s5, v12, vcc_lo
	v_ashrrev_i32_e32 v12, 31, v11
	v_add_co_u32 v78, vcc_lo, s4, v1
	v_lshlrev_b64 v[84:85], 4, v[80:81]
	v_add_co_ci_u32_e32 v79, vcc_lo, s5, v2, vcc_lo
	v_add_nc_u32_e32 v1, s3, v11
	v_add_co_u32 v80, vcc_lo, s4, v82
	v_lshlrev_b64 v[11:12], 4, v[11:12]
	v_add_co_ci_u32_e32 v81, vcc_lo, s5, v83, vcc_lo
	v_add_co_u32 v82, vcc_lo, s4, v84
	v_add_co_ci_u32_e32 v83, vcc_lo, s5, v85, vcc_lo
	s_delay_alu instid0(VALU_DEP_4)
	v_add_co_u32 v84, vcc_lo, s4, v11
	s_clause 0x1
	global_load_b128 v[143:146], v[72:73], off
	global_load_b128 v[147:150], v[74:75], off
	v_add_co_ci_u32_e32 v85, vcc_lo, s5, v12, vcc_lo
	s_clause 0x4
	global_load_b128 v[151:154], v[76:77], off
	global_load_b128 v[155:158], v[78:79], off
	;; [unrolled: 1-line block ×5, first 2 shown]
	v_add_nc_u32_e32 v88, s3, v1
	v_ashrrev_i32_e32 v2, 31, v1
	s_movk_i32 s2, 0x50
	s_movk_i32 s12, 0x90
	;; [unrolled: 1-line block ×3, first 2 shown]
	v_add_nc_u32_e32 v90, s3, v88
	v_lshlrev_b64 v[1:2], 4, v[1:2]
	v_ashrrev_i32_e32 v89, 31, v88
	s_movk_i32 s16, 0xb0
	s_movk_i32 s17, 0xc0
	v_add_nc_u32_e32 v11, s3, v90
	v_ashrrev_i32_e32 v91, 31, v90
	v_add_co_u32 v86, vcc_lo, s4, v1
	v_lshlrev_b64 v[88:89], 4, v[88:89]
	s_delay_alu instid0(VALU_DEP_4) | instskip(NEXT) | instid1(VALU_DEP_4)
	v_add_nc_u32_e32 v1, s3, v11
	v_lshlrev_b64 v[90:91], 4, v[90:91]
	v_ashrrev_i32_e32 v12, 31, v11
	v_add_co_ci_u32_e32 v87, vcc_lo, s5, v2, vcc_lo
	s_delay_alu instid0(VALU_DEP_4) | instskip(SKIP_2) | instid1(VALU_DEP_3)
	v_add_nc_u32_e32 v96, s3, v1
	v_add_co_u32 v88, vcc_lo, s4, v88
	v_add_co_ci_u32_e32 v89, vcc_lo, s5, v89, vcc_lo
	v_add_nc_u32_e32 v98, s3, v96
	v_lshlrev_b64 v[11:12], 4, v[11:12]
	v_ashrrev_i32_e32 v2, 31, v1
	v_add_co_u32 v92, vcc_lo, s4, v90
	s_delay_alu instid0(VALU_DEP_4) | instskip(SKIP_3) | instid1(VALU_DEP_4)
	v_add_nc_u32_e32 v100, s3, v98
	v_add_co_ci_u32_e32 v93, vcc_lo, s5, v91, vcc_lo
	v_ashrrev_i32_e32 v97, 31, v96
	v_lshlrev_b64 v[1:2], 4, v[1:2]
	v_add_nc_u32_e32 v102, s3, v100
	v_ashrrev_i32_e32 v99, 31, v98
	v_ashrrev_i32_e32 v101, 31, v100
	s_clause 0x2
	global_load_b128 v[171:174], v[86:87], off
	global_load_b128 v[175:178], v[88:89], off
	global_load_b128 v[179:182], v[92:93], off
	v_add_nc_u32_e32 v104, s3, v102
	v_lshlrev_b64 v[190:191], 4, v[98:99]
	v_ashrrev_i32_e32 v103, 31, v102
	v_lshlrev_b64 v[200:201], 4, v[100:101]
	s_movk_i32 s37, 0x1f0
	v_add_nc_u32_e32 v106, s3, v104
	v_ashrrev_i32_e32 v105, 31, v104
	s_movk_i32 s38, 0x200
	s_movk_i32 s39, 0x210
	s_movk_i32 s40, 0x220
	v_add_nc_u32_e32 v108, s3, v106
	v_ashrrev_i32_e32 v107, 31, v106
	s_movk_i32 s41, 0x230
	s_movk_i32 s42, 0x240
	;; [unrolled: 5-line block ×6, first 2 shown]
	s_movk_i32 s55, 0x310
	v_add_nc_u32_e32 v183, s3, v116
	v_ashrrev_i32_e32 v117, 31, v116
	s_bitcmp0_b32 s15, 0
	s_delay_alu instid0(VALU_DEP_2) | instskip(SKIP_1) | instid1(VALU_DEP_3)
	v_add_nc_u32_e32 v185, s3, v183
	v_ashrrev_i32_e32 v184, 31, v183
	v_lshlrev_b64 v[204:205], 4, v[116:117]
	s_delay_alu instid0(VALU_DEP_3) | instskip(SKIP_1) | instid1(VALU_DEP_4)
	v_add_nc_u32_e32 v187, s3, v185
	v_ashrrev_i32_e32 v186, 31, v185
	v_lshlrev_b64 v[183:184], 4, v[183:184]
	s_delay_alu instid0(VALU_DEP_3) | instskip(SKIP_1) | instid1(VALU_DEP_2)
	v_add_nc_u32_e32 v189, s3, v187
	v_ashrrev_i32_e32 v188, 31, v187
	v_add_nc_u32_e32 v212, s3, v189
	s_delay_alu instid0(VALU_DEP_1) | instskip(SKIP_1) | instid1(VALU_DEP_2)
	v_add_nc_u32_e32 v220, s3, v212
	v_ashrrev_i32_e32 v213, 31, v212
	v_add_nc_u32_e32 v222, s3, v220
	v_ashrrev_i32_e32 v221, 31, v220
	s_delay_alu instid0(VALU_DEP_2) | instskip(SKIP_1) | instid1(VALU_DEP_2)
	v_add_nc_u32_e32 v228, s3, v222
	v_ashrrev_i32_e32 v223, 31, v222
	v_add_nc_u32_e32 v230, s3, v228
	v_ashrrev_i32_e32 v229, 31, v228
	s_delay_alu instid0(VALU_DEP_2) | instskip(SKIP_1) | instid1(VALU_DEP_2)
	v_add_nc_u32_e32 v232, s3, v230
	v_ashrrev_i32_e32 v231, 31, v230
	v_add_nc_u32_e32 v234, s3, v232
	v_ashrrev_i32_e32 v233, 31, v232
	s_delay_alu instid0(VALU_DEP_2) | instskip(SKIP_2) | instid1(VALU_DEP_2)
	v_add_nc_u32_e32 v94, s3, v234
	v_ashrrev_i32_e32 v235, 31, v234
	s_movk_i32 s3, 0x60
	v_ashrrev_i32_e32 v95, 31, v94
	s_delay_alu instid0(VALU_DEP_1) | instskip(SKIP_3) | instid1(VALU_DEP_4)
	v_lshlrev_b64 v[90:91], 4, v[94:95]
	v_add_co_u32 v94, vcc_lo, s4, v11
	v_add_co_ci_u32_e32 v95, vcc_lo, s5, v12, vcc_lo
	v_lshlrev_b64 v[11:12], 4, v[96:97]
	v_add_co_u32 v90, vcc_lo, s4, v90
	v_add_co_ci_u32_e32 v91, vcc_lo, s5, v91, vcc_lo
	v_add_co_u32 v96, vcc_lo, s4, v1
	v_add_co_ci_u32_e32 v97, vcc_lo, s5, v2, vcc_lo
	v_add_co_u32 v98, vcc_lo, s4, v11
	v_add_co_ci_u32_e32 v99, vcc_lo, s5, v12, vcc_lo
	v_add_co_u32 v100, vcc_lo, s4, v190
	v_add_co_ci_u32_e32 v101, vcc_lo, s5, v191, vcc_lo
	v_lshlrev_b64 v[190:191], 4, v[102:103]
	v_add_co_u32 v102, vcc_lo, s4, v200
	v_add_co_ci_u32_e32 v103, vcc_lo, s5, v201, vcc_lo
	v_lshlrev_b64 v[200:201], 4, v[104:105]
	s_delay_alu instid0(VALU_DEP_4) | instskip(SKIP_2) | instid1(VALU_DEP_4)
	v_add_co_u32 v104, vcc_lo, s4, v190
	v_add_co_ci_u32_e32 v105, vcc_lo, s5, v191, vcc_lo
	v_lshlrev_b64 v[190:191], 4, v[106:107]
	v_add_co_u32 v106, vcc_lo, s4, v200
	v_add_co_ci_u32_e32 v107, vcc_lo, s5, v201, vcc_lo
	v_lshlrev_b64 v[200:201], 4, v[108:109]
	s_delay_alu instid0(VALU_DEP_4) | instskip(SKIP_2) | instid1(VALU_DEP_4)
	v_add_co_u32 v108, vcc_lo, s4, v190
	v_add_co_ci_u32_e32 v109, vcc_lo, s5, v191, vcc_lo
	v_lshlrev_b64 v[190:191], 4, v[110:111]
	v_add_co_u32 v110, vcc_lo, s4, v200
	v_add_co_ci_u32_e32 v111, vcc_lo, s5, v201, vcc_lo
	v_lshlrev_b64 v[200:201], 4, v[112:113]
	s_delay_alu instid0(VALU_DEP_4) | instskip(SKIP_2) | instid1(VALU_DEP_4)
	v_add_co_u32 v112, vcc_lo, s4, v190
	v_add_co_ci_u32_e32 v113, vcc_lo, s5, v191, vcc_lo
	v_lshlrev_b64 v[190:191], 4, v[114:115]
	v_add_co_u32 v114, vcc_lo, s4, v200
	global_load_b128 v[192:195], v[90:91], off
	v_add_co_ci_u32_e32 v115, vcc_lo, s5, v201, vcc_lo
	v_add_co_u32 v116, vcc_lo, s4, v190
	v_add_co_ci_u32_e32 v117, vcc_lo, s5, v191, vcc_lo
	v_ashrrev_i32_e32 v190, 31, v189
	v_add_nc_u32_e64 v191, 0, 16
	s_waitcnt vmcnt(25)
	scratch_store_b128 off, v[3:6], off
	s_clause 0x1
	global_load_b128 v[1:4], v[94:95], off
	global_load_b128 v[196:199], v[96:97], off
	s_waitcnt vmcnt(26)
	scratch_store_b128 off, v[7:10], off offset:16
	s_waitcnt vmcnt(25)
	scratch_store_b128 off, v[14:17], off offset:32
	s_clause 0x1
	global_load_b128 v[5:8], v[98:99], off
	global_load_b128 v[9:12], v[100:101], off
	s_waitcnt vmcnt(26)
	scratch_store_b128 off, v[18:21], off offset:48
	s_waitcnt vmcnt(25)
	scratch_store_b128 off, v[22:25], off offset:64
	;; [unrolled: 7-line block ×5, first 2 shown]
	v_add_co_u32 v118, vcc_lo, s4, v204
	v_lshlrev_b64 v[122:123], 4, v[185:186]
	v_add_co_ci_u32_e32 v119, vcc_lo, s5, v205, vcc_lo
	v_add_co_u32 v120, vcc_lo, s4, v183
	v_lshlrev_b64 v[124:125], 4, v[187:188]
	v_add_co_ci_u32_e32 v121, vcc_lo, s5, v184, vcc_lo
	s_clause 0x1
	global_load_b128 v[38:41], v[114:115], off
	global_load_b128 v[200:203], v[116:117], off
	s_waitcnt vmcnt(26)
	scratch_store_b128 off, v[126:129], off offset:176
	s_waitcnt vmcnt(25)
	scratch_store_b128 off, v[130:133], off offset:192
	v_add_co_u32 v122, vcc_lo, s4, v122
	v_lshlrev_b64 v[126:127], 4, v[189:190]
	v_add_co_ci_u32_e32 v123, vcc_lo, s5, v123, vcc_lo
	v_add_co_u32 v124, vcc_lo, s4, v124
	v_lshlrev_b64 v[128:129], 4, v[212:213]
	v_add_co_ci_u32_e32 v125, vcc_lo, s5, v125, vcc_lo
	;; [unrolled: 3-line block ×4, first 2 shown]
	s_clause 0x1
	global_load_b128 v[204:207], v[118:119], off
	global_load_b128 v[208:211], v[120:121], off
	s_waitcnt vmcnt(26)
	scratch_store_b128 off, v[134:137], off offset:208
	s_waitcnt vmcnt(25)
	scratch_store_b128 off, v[138:141], off offset:224
	v_add_co_u32 v130, vcc_lo, s4, v130
	v_lshlrev_b64 v[134:135], 4, v[228:229]
	v_add_co_ci_u32_e32 v131, vcc_lo, s5, v131, vcc_lo
	v_add_co_u32 v132, vcc_lo, s4, v132
	v_lshlrev_b64 v[136:137], 4, v[230:231]
	v_add_co_ci_u32_e32 v133, vcc_lo, s5, v133, vcc_lo
	v_add_co_u32 v134, vcc_lo, s4, v134
	v_lshlrev_b64 v[138:139], 4, v[232:233]
	v_add_co_ci_u32_e32 v135, vcc_lo, s5, v135, vcc_lo
	v_add_co_u32 v136, vcc_lo, s4, v136
	v_lshlrev_b64 v[140:141], 4, v[234:235]
	v_add_co_ci_u32_e32 v137, vcc_lo, s5, v137, vcc_lo
	v_add_co_u32 v138, vcc_lo, s4, v138
	s_clause 0x1
	global_load_b128 v[212:215], v[122:123], off
	global_load_b128 v[216:219], v[124:125], off
	s_waitcnt vmcnt(26)
	scratch_store_b128 off, v[143:146], off offset:240
	s_waitcnt vmcnt(25)
	scratch_store_b128 off, v[147:150], off offset:256
	v_add_co_ci_u32_e32 v139, vcc_lo, s5, v139, vcc_lo
	s_clause 0x1
	global_load_b128 v[220:223], v[126:127], off
	global_load_b128 v[224:227], v[128:129], off
	s_waitcnt vmcnt(26)
	scratch_store_b128 off, v[151:154], off offset:272
	s_waitcnt vmcnt(25)
	scratch_store_b128 off, v[155:158], off offset:288
	v_add_co_u32 v140, vcc_lo, s4, v140
	s_clause 0x1
	global_load_b128 v[148:151], v[130:131], off
	global_load_b128 v[228:231], v[132:133], off
	s_waitcnt vmcnt(26)
	scratch_store_b128 off, v[159:162], off offset:304
	s_waitcnt vmcnt(25)
	scratch_store_b128 off, v[163:166], off offset:320
	s_clause 0x1
	global_load_b128 v[232:235], v[134:135], off
	global_load_b128 v[236:239], v[136:137], off
	v_add_co_ci_u32_e32 v141, vcc_lo, s5, v141, vcc_lo
	global_load_b128 v[240:243], v[138:139], off
	s_movk_i32 s4, 0x70
	s_movk_i32 s5, 0x80
	global_load_b128 v[244:247], v[140:141], off
	s_waitcnt vmcnt(28)
	scratch_store_b128 off, v[167:170], off offset:336
	v_add_nc_u32_e64 v190, 0, 32
	v_add_nc_u32_e64 v189, 0, 48
	;; [unrolled: 1-line block ×15, first 2 shown]
	s_waitcnt vmcnt(27)
	scratch_store_b128 off, v[171:174], off offset:352
	s_waitcnt vmcnt(26)
	scratch_store_b128 off, v[175:178], off offset:368
	;; [unrolled: 2-line block ×3, first 2 shown]
	v_add_nc_u32_e64 v182, s13, 0
	v_add_nc_u32_e64 v181, s16, 0
	;; [unrolled: 1-line block ×29, first 2 shown]
	s_mov_b32 s3, -1
	s_waitcnt vmcnt(23)
	scratch_store_b128 off, v[1:4], off offset:400
	s_waitcnt vmcnt(22)
	scratch_store_b128 off, v[196:199], off offset:416
	;; [unrolled: 2-line block ×23, first 2 shown]
	v_add_nc_u32_e64 v151, s52, 0
	v_add_nc_u32_e64 v150, s53, 0
	;; [unrolled: 1-line block ×4, first 2 shown]
	s_waitcnt vmcnt(0)
	s_clause 0x1
	scratch_store_b128 off, v[244:247], off offset:768
	scratch_store_b128 off, v[192:195], off offset:784
	s_cbranch_scc1 .LBB113_212
; %bb.4:
	v_cmp_eq_u32_e64 s2, 0, v142
	s_delay_alu instid0(VALU_DEP_1)
	s_and_saveexec_b32 s3, s2
	s_cbranch_execz .LBB113_6
; %bb.5:
	v_mov_b32_e32 v1, 0
	ds_store_b32 v1, v1 offset:1600
.LBB113_6:
	s_or_b32 exec_lo, exec_lo, s3
	s_waitcnt lgkmcnt(0)
	s_waitcnt_vscnt null, 0x0
	s_barrier
	buffer_gl0_inv
	scratch_load_b128 v[1:4], v13, off
	s_waitcnt vmcnt(0)
	v_cmp_eq_f64_e32 vcc_lo, 0, v[1:2]
	v_cmp_eq_f64_e64 s3, 0, v[3:4]
	s_delay_alu instid0(VALU_DEP_1) | instskip(NEXT) | instid1(SALU_CYCLE_1)
	s_and_b32 s3, vcc_lo, s3
	s_and_saveexec_b32 s4, s3
	s_cbranch_execz .LBB113_10
; %bb.7:
	v_mov_b32_e32 v1, 0
	s_mov_b32 s5, 0
	ds_load_b32 v2, v1 offset:1600
	s_waitcnt lgkmcnt(0)
	v_readfirstlane_b32 s3, v2
	v_add_nc_u32_e32 v2, 1, v142
	s_delay_alu instid0(VALU_DEP_2) | instskip(NEXT) | instid1(VALU_DEP_1)
	s_cmp_eq_u32 s3, 0
	v_cmp_gt_i32_e32 vcc_lo, s3, v2
	s_cselect_b32 s12, -1, 0
	s_delay_alu instid0(SALU_CYCLE_1) | instskip(NEXT) | instid1(SALU_CYCLE_1)
	s_or_b32 s12, s12, vcc_lo
	s_and_b32 exec_lo, exec_lo, s12
	s_cbranch_execz .LBB113_10
; %bb.8:
	v_mov_b32_e32 v3, s3
.LBB113_9:                              ; =>This Inner Loop Header: Depth=1
	ds_cmpstore_rtn_b32 v3, v1, v2, v3 offset:1600
	s_waitcnt lgkmcnt(0)
	v_cmp_ne_u32_e32 vcc_lo, 0, v3
	v_cmp_le_i32_e64 s3, v3, v2
	s_delay_alu instid0(VALU_DEP_1) | instskip(NEXT) | instid1(SALU_CYCLE_1)
	s_and_b32 s3, vcc_lo, s3
	s_and_b32 s3, exec_lo, s3
	s_delay_alu instid0(SALU_CYCLE_1) | instskip(NEXT) | instid1(SALU_CYCLE_1)
	s_or_b32 s5, s3, s5
	s_and_not1_b32 exec_lo, exec_lo, s5
	s_cbranch_execnz .LBB113_9
.LBB113_10:
	s_or_b32 exec_lo, exec_lo, s4
	v_mov_b32_e32 v1, 0
	s_barrier
	buffer_gl0_inv
	ds_load_b32 v2, v1 offset:1600
	s_and_saveexec_b32 s3, s2
	s_cbranch_execz .LBB113_12
; %bb.11:
	s_lshl_b64 s[4:5], s[10:11], 2
	s_delay_alu instid0(SALU_CYCLE_1)
	s_add_u32 s4, s6, s4
	s_addc_u32 s5, s7, s5
	s_waitcnt lgkmcnt(0)
	global_store_b32 v1, v2, s[4:5]
.LBB113_12:
	s_or_b32 exec_lo, exec_lo, s3
	s_waitcnt lgkmcnt(0)
	v_cmp_ne_u32_e32 vcc_lo, 0, v2
	s_mov_b32 s3, 0
	s_cbranch_vccnz .LBB113_212
; %bb.13:
	v_add_nc_u32_e32 v14, 0, v13
                                        ; implicit-def: $vgpr9_vgpr10
	scratch_load_b128 v[1:4], v14, off
	s_waitcnt vmcnt(0)
	v_mov_b32_e32 v5, v1
	v_cmp_gt_f64_e32 vcc_lo, 0, v[1:2]
	v_xor_b32_e32 v6, 0x80000000, v2
	v_xor_b32_e32 v7, 0x80000000, v4
	s_delay_alu instid0(VALU_DEP_2) | instskip(SKIP_1) | instid1(VALU_DEP_3)
	v_cndmask_b32_e32 v6, v2, v6, vcc_lo
	v_cmp_gt_f64_e32 vcc_lo, 0, v[3:4]
	v_dual_cndmask_b32 v8, v4, v7 :: v_dual_mov_b32 v7, v3
	s_delay_alu instid0(VALU_DEP_1) | instskip(SKIP_1) | instid1(SALU_CYCLE_1)
	v_cmp_ngt_f64_e32 vcc_lo, v[5:6], v[7:8]
                                        ; implicit-def: $vgpr5_vgpr6
	s_and_saveexec_b32 s3, vcc_lo
	s_xor_b32 s3, exec_lo, s3
	s_cbranch_execz .LBB113_15
; %bb.14:
	v_div_scale_f64 v[5:6], null, v[3:4], v[3:4], v[1:2]
	v_div_scale_f64 v[11:12], vcc_lo, v[1:2], v[3:4], v[1:2]
	s_delay_alu instid0(VALU_DEP_2) | instskip(SKIP_2) | instid1(VALU_DEP_1)
	v_rcp_f64_e32 v[7:8], v[5:6]
	s_waitcnt_depctr 0xfff
	v_fma_f64 v[9:10], -v[5:6], v[7:8], 1.0
	v_fma_f64 v[7:8], v[7:8], v[9:10], v[7:8]
	s_delay_alu instid0(VALU_DEP_1) | instskip(NEXT) | instid1(VALU_DEP_1)
	v_fma_f64 v[9:10], -v[5:6], v[7:8], 1.0
	v_fma_f64 v[7:8], v[7:8], v[9:10], v[7:8]
	s_delay_alu instid0(VALU_DEP_1) | instskip(NEXT) | instid1(VALU_DEP_1)
	v_mul_f64 v[9:10], v[11:12], v[7:8]
	v_fma_f64 v[5:6], -v[5:6], v[9:10], v[11:12]
	s_delay_alu instid0(VALU_DEP_1) | instskip(NEXT) | instid1(VALU_DEP_1)
	v_div_fmas_f64 v[5:6], v[5:6], v[7:8], v[9:10]
	v_div_fixup_f64 v[5:6], v[5:6], v[3:4], v[1:2]
	s_delay_alu instid0(VALU_DEP_1) | instskip(NEXT) | instid1(VALU_DEP_1)
	v_fma_f64 v[1:2], v[1:2], v[5:6], v[3:4]
	v_div_scale_f64 v[3:4], null, v[1:2], v[1:2], 1.0
	v_div_scale_f64 v[11:12], vcc_lo, 1.0, v[1:2], 1.0
	s_delay_alu instid0(VALU_DEP_2) | instskip(SKIP_2) | instid1(VALU_DEP_1)
	v_rcp_f64_e32 v[7:8], v[3:4]
	s_waitcnt_depctr 0xfff
	v_fma_f64 v[9:10], -v[3:4], v[7:8], 1.0
	v_fma_f64 v[7:8], v[7:8], v[9:10], v[7:8]
	s_delay_alu instid0(VALU_DEP_1) | instskip(NEXT) | instid1(VALU_DEP_1)
	v_fma_f64 v[9:10], -v[3:4], v[7:8], 1.0
	v_fma_f64 v[7:8], v[7:8], v[9:10], v[7:8]
	s_delay_alu instid0(VALU_DEP_1) | instskip(NEXT) | instid1(VALU_DEP_1)
	v_mul_f64 v[9:10], v[11:12], v[7:8]
	v_fma_f64 v[3:4], -v[3:4], v[9:10], v[11:12]
	s_delay_alu instid0(VALU_DEP_1) | instskip(NEXT) | instid1(VALU_DEP_1)
	v_div_fmas_f64 v[3:4], v[3:4], v[7:8], v[9:10]
	v_div_fixup_f64 v[7:8], v[3:4], v[1:2], 1.0
                                        ; implicit-def: $vgpr1_vgpr2
	s_delay_alu instid0(VALU_DEP_1) | instskip(SKIP_1) | instid1(VALU_DEP_2)
	v_mul_f64 v[5:6], v[5:6], v[7:8]
	v_xor_b32_e32 v8, 0x80000000, v8
	v_xor_b32_e32 v10, 0x80000000, v6
	s_delay_alu instid0(VALU_DEP_3)
	v_mov_b32_e32 v9, v5
.LBB113_15:
	s_and_not1_saveexec_b32 s3, s3
	s_cbranch_execz .LBB113_17
; %bb.16:
	v_div_scale_f64 v[5:6], null, v[1:2], v[1:2], v[3:4]
	v_div_scale_f64 v[11:12], vcc_lo, v[3:4], v[1:2], v[3:4]
	s_delay_alu instid0(VALU_DEP_2) | instskip(SKIP_2) | instid1(VALU_DEP_1)
	v_rcp_f64_e32 v[7:8], v[5:6]
	s_waitcnt_depctr 0xfff
	v_fma_f64 v[9:10], -v[5:6], v[7:8], 1.0
	v_fma_f64 v[7:8], v[7:8], v[9:10], v[7:8]
	s_delay_alu instid0(VALU_DEP_1) | instskip(NEXT) | instid1(VALU_DEP_1)
	v_fma_f64 v[9:10], -v[5:6], v[7:8], 1.0
	v_fma_f64 v[7:8], v[7:8], v[9:10], v[7:8]
	s_delay_alu instid0(VALU_DEP_1) | instskip(NEXT) | instid1(VALU_DEP_1)
	v_mul_f64 v[9:10], v[11:12], v[7:8]
	v_fma_f64 v[5:6], -v[5:6], v[9:10], v[11:12]
	s_delay_alu instid0(VALU_DEP_1) | instskip(NEXT) | instid1(VALU_DEP_1)
	v_div_fmas_f64 v[5:6], v[5:6], v[7:8], v[9:10]
	v_div_fixup_f64 v[7:8], v[5:6], v[1:2], v[3:4]
	s_delay_alu instid0(VALU_DEP_1) | instskip(NEXT) | instid1(VALU_DEP_1)
	v_fma_f64 v[1:2], v[3:4], v[7:8], v[1:2]
	v_div_scale_f64 v[3:4], null, v[1:2], v[1:2], 1.0
	s_delay_alu instid0(VALU_DEP_1) | instskip(SKIP_2) | instid1(VALU_DEP_1)
	v_rcp_f64_e32 v[5:6], v[3:4]
	s_waitcnt_depctr 0xfff
	v_fma_f64 v[9:10], -v[3:4], v[5:6], 1.0
	v_fma_f64 v[5:6], v[5:6], v[9:10], v[5:6]
	s_delay_alu instid0(VALU_DEP_1) | instskip(NEXT) | instid1(VALU_DEP_1)
	v_fma_f64 v[9:10], -v[3:4], v[5:6], 1.0
	v_fma_f64 v[5:6], v[5:6], v[9:10], v[5:6]
	v_div_scale_f64 v[9:10], vcc_lo, 1.0, v[1:2], 1.0
	s_delay_alu instid0(VALU_DEP_1) | instskip(NEXT) | instid1(VALU_DEP_1)
	v_mul_f64 v[11:12], v[9:10], v[5:6]
	v_fma_f64 v[3:4], -v[3:4], v[11:12], v[9:10]
	s_delay_alu instid0(VALU_DEP_1) | instskip(NEXT) | instid1(VALU_DEP_1)
	v_div_fmas_f64 v[3:4], v[3:4], v[5:6], v[11:12]
	v_div_fixup_f64 v[5:6], v[3:4], v[1:2], 1.0
	s_delay_alu instid0(VALU_DEP_1)
	v_mul_f64 v[7:8], v[7:8], -v[5:6]
	v_xor_b32_e32 v10, 0x80000000, v6
	v_mov_b32_e32 v9, v5
.LBB113_17:
	s_or_b32 exec_lo, exec_lo, s3
	scratch_store_b128 v14, v[5:8], off
	scratch_load_b128 v[1:4], v191, off
	v_xor_b32_e32 v12, 0x80000000, v8
	v_mov_b32_e32 v11, v7
	v_add_nc_u32_e32 v5, 0x320, v13
	ds_store_b128 v13, v[9:12]
	s_waitcnt vmcnt(0)
	ds_store_b128 v13, v[1:4] offset:800
	s_waitcnt lgkmcnt(0)
	s_waitcnt_vscnt null, 0x0
	s_barrier
	buffer_gl0_inv
	s_and_saveexec_b32 s3, s2
	s_cbranch_execz .LBB113_19
; %bb.18:
	scratch_load_b128 v[1:4], v14, off
	ds_load_b128 v[6:9], v5
	v_mov_b32_e32 v10, 0
	ds_load_b128 v[15:18], v10 offset:16
	s_waitcnt vmcnt(0) lgkmcnt(1)
	v_mul_f64 v[10:11], v[6:7], v[3:4]
	v_mul_f64 v[3:4], v[8:9], v[3:4]
	s_delay_alu instid0(VALU_DEP_2) | instskip(NEXT) | instid1(VALU_DEP_2)
	v_fma_f64 v[8:9], v[8:9], v[1:2], v[10:11]
	v_fma_f64 v[1:2], v[6:7], v[1:2], -v[3:4]
	s_delay_alu instid0(VALU_DEP_2) | instskip(NEXT) | instid1(VALU_DEP_2)
	v_add_f64 v[3:4], v[8:9], 0
	v_add_f64 v[1:2], v[1:2], 0
	s_waitcnt lgkmcnt(0)
	s_delay_alu instid0(VALU_DEP_2) | instskip(NEXT) | instid1(VALU_DEP_2)
	v_mul_f64 v[6:7], v[3:4], v[17:18]
	v_mul_f64 v[8:9], v[1:2], v[17:18]
	s_delay_alu instid0(VALU_DEP_2) | instskip(NEXT) | instid1(VALU_DEP_2)
	v_fma_f64 v[1:2], v[1:2], v[15:16], -v[6:7]
	v_fma_f64 v[3:4], v[3:4], v[15:16], v[8:9]
	scratch_store_b128 off, v[1:4], off offset:16
.LBB113_19:
	s_or_b32 exec_lo, exec_lo, s3
	s_waitcnt_vscnt null, 0x0
	s_barrier
	buffer_gl0_inv
	scratch_load_b128 v[1:4], v190, off
	s_mov_b32 s3, exec_lo
	s_waitcnt vmcnt(0)
	ds_store_b128 v5, v[1:4]
	s_waitcnt lgkmcnt(0)
	s_barrier
	buffer_gl0_inv
	v_cmpx_gt_u32_e32 2, v142
	s_cbranch_execz .LBB113_23
; %bb.20:
	scratch_load_b128 v[1:4], v14, off
	ds_load_b128 v[6:9], v5
	s_waitcnt vmcnt(0) lgkmcnt(0)
	v_mul_f64 v[10:11], v[8:9], v[3:4]
	v_mul_f64 v[3:4], v[6:7], v[3:4]
	s_delay_alu instid0(VALU_DEP_2) | instskip(NEXT) | instid1(VALU_DEP_2)
	v_fma_f64 v[6:7], v[6:7], v[1:2], -v[10:11]
	v_fma_f64 v[3:4], v[8:9], v[1:2], v[3:4]
	s_delay_alu instid0(VALU_DEP_2) | instskip(NEXT) | instid1(VALU_DEP_2)
	v_add_f64 v[1:2], v[6:7], 0
	v_add_f64 v[3:4], v[3:4], 0
	s_and_saveexec_b32 s4, s2
	s_cbranch_execz .LBB113_22
; %bb.21:
	scratch_load_b128 v[6:9], off, off offset:16
	v_mov_b32_e32 v10, 0
	ds_load_b128 v[15:18], v10 offset:816
	s_waitcnt vmcnt(0) lgkmcnt(0)
	v_mul_f64 v[10:11], v[15:16], v[8:9]
	v_mul_f64 v[8:9], v[17:18], v[8:9]
	s_delay_alu instid0(VALU_DEP_2) | instskip(NEXT) | instid1(VALU_DEP_2)
	v_fma_f64 v[10:11], v[17:18], v[6:7], v[10:11]
	v_fma_f64 v[6:7], v[15:16], v[6:7], -v[8:9]
	s_delay_alu instid0(VALU_DEP_2) | instskip(NEXT) | instid1(VALU_DEP_2)
	v_add_f64 v[3:4], v[3:4], v[10:11]
	v_add_f64 v[1:2], v[1:2], v[6:7]
.LBB113_22:
	s_or_b32 exec_lo, exec_lo, s4
	v_mov_b32_e32 v6, 0
	ds_load_b128 v[6:9], v6 offset:32
	s_waitcnt lgkmcnt(0)
	v_mul_f64 v[10:11], v[3:4], v[8:9]
	v_mul_f64 v[8:9], v[1:2], v[8:9]
	s_delay_alu instid0(VALU_DEP_2) | instskip(NEXT) | instid1(VALU_DEP_2)
	v_fma_f64 v[1:2], v[1:2], v[6:7], -v[10:11]
	v_fma_f64 v[3:4], v[3:4], v[6:7], v[8:9]
	scratch_store_b128 off, v[1:4], off offset:32
.LBB113_23:
	s_or_b32 exec_lo, exec_lo, s3
	s_waitcnt_vscnt null, 0x0
	s_barrier
	buffer_gl0_inv
	scratch_load_b128 v[1:4], v189, off
	v_add_nc_u32_e32 v6, -1, v142
	s_mov_b32 s2, exec_lo
	s_waitcnt vmcnt(0)
	ds_store_b128 v5, v[1:4]
	s_waitcnt lgkmcnt(0)
	s_barrier
	buffer_gl0_inv
	v_cmpx_gt_u32_e32 3, v142
	s_cbranch_execz .LBB113_27
; %bb.24:
	v_dual_mov_b32 v1, 0 :: v_dual_add_nc_u32 v8, 0x320, v13
	v_dual_mov_b32 v2, 0 :: v_dual_add_nc_u32 v7, -1, v142
	v_or_b32_e32 v9, 8, v14
	s_mov_b32 s3, 0
	s_delay_alu instid0(VALU_DEP_2)
	v_dual_mov_b32 v4, v2 :: v_dual_mov_b32 v3, v1
	.p2align	6
.LBB113_25:                             ; =>This Inner Loop Header: Depth=1
	scratch_load_b128 v[15:18], v9, off offset:-8
	ds_load_b128 v[19:22], v8
	v_add_nc_u32_e32 v7, 1, v7
	v_add_nc_u32_e32 v8, 16, v8
	;; [unrolled: 1-line block ×3, first 2 shown]
	s_delay_alu instid0(VALU_DEP_3) | instskip(SKIP_4) | instid1(VALU_DEP_2)
	v_cmp_lt_u32_e32 vcc_lo, 1, v7
	s_or_b32 s3, vcc_lo, s3
	s_waitcnt vmcnt(0) lgkmcnt(0)
	v_mul_f64 v[10:11], v[21:22], v[17:18]
	v_mul_f64 v[17:18], v[19:20], v[17:18]
	v_fma_f64 v[10:11], v[19:20], v[15:16], -v[10:11]
	s_delay_alu instid0(VALU_DEP_2) | instskip(NEXT) | instid1(VALU_DEP_2)
	v_fma_f64 v[15:16], v[21:22], v[15:16], v[17:18]
	v_add_f64 v[3:4], v[3:4], v[10:11]
	s_delay_alu instid0(VALU_DEP_2)
	v_add_f64 v[1:2], v[1:2], v[15:16]
	s_and_not1_b32 exec_lo, exec_lo, s3
	s_cbranch_execnz .LBB113_25
; %bb.26:
	s_or_b32 exec_lo, exec_lo, s3
	v_mov_b32_e32 v7, 0
	ds_load_b128 v[7:10], v7 offset:48
	s_waitcnt lgkmcnt(0)
	v_mul_f64 v[11:12], v[1:2], v[9:10]
	v_mul_f64 v[15:16], v[3:4], v[9:10]
	s_delay_alu instid0(VALU_DEP_2) | instskip(NEXT) | instid1(VALU_DEP_2)
	v_fma_f64 v[9:10], v[3:4], v[7:8], -v[11:12]
	v_fma_f64 v[11:12], v[1:2], v[7:8], v[15:16]
	scratch_store_b128 off, v[9:12], off offset:48
.LBB113_27:
	s_or_b32 exec_lo, exec_lo, s2
	s_waitcnt_vscnt null, 0x0
	s_barrier
	buffer_gl0_inv
	scratch_load_b128 v[1:4], v188, off
	s_mov_b32 s2, exec_lo
	s_waitcnt vmcnt(0)
	ds_store_b128 v5, v[1:4]
	s_waitcnt lgkmcnt(0)
	s_barrier
	buffer_gl0_inv
	v_cmpx_gt_u32_e32 4, v142
	s_cbranch_execz .LBB113_31
; %bb.28:
	v_dual_mov_b32 v1, 0 :: v_dual_add_nc_u32 v8, 0x320, v13
	v_dual_mov_b32 v2, 0 :: v_dual_add_nc_u32 v7, -1, v142
	v_or_b32_e32 v9, 8, v14
	s_mov_b32 s3, 0
	s_delay_alu instid0(VALU_DEP_2)
	v_dual_mov_b32 v4, v2 :: v_dual_mov_b32 v3, v1
	.p2align	6
.LBB113_29:                             ; =>This Inner Loop Header: Depth=1
	scratch_load_b128 v[15:18], v9, off offset:-8
	ds_load_b128 v[19:22], v8
	v_add_nc_u32_e32 v7, 1, v7
	v_add_nc_u32_e32 v8, 16, v8
	;; [unrolled: 1-line block ×3, first 2 shown]
	s_delay_alu instid0(VALU_DEP_3) | instskip(SKIP_4) | instid1(VALU_DEP_2)
	v_cmp_lt_u32_e32 vcc_lo, 2, v7
	s_or_b32 s3, vcc_lo, s3
	s_waitcnt vmcnt(0) lgkmcnt(0)
	v_mul_f64 v[10:11], v[21:22], v[17:18]
	v_mul_f64 v[17:18], v[19:20], v[17:18]
	v_fma_f64 v[10:11], v[19:20], v[15:16], -v[10:11]
	s_delay_alu instid0(VALU_DEP_2) | instskip(NEXT) | instid1(VALU_DEP_2)
	v_fma_f64 v[15:16], v[21:22], v[15:16], v[17:18]
	v_add_f64 v[3:4], v[3:4], v[10:11]
	s_delay_alu instid0(VALU_DEP_2)
	v_add_f64 v[1:2], v[1:2], v[15:16]
	s_and_not1_b32 exec_lo, exec_lo, s3
	s_cbranch_execnz .LBB113_29
; %bb.30:
	s_or_b32 exec_lo, exec_lo, s3
	v_mov_b32_e32 v7, 0
	ds_load_b128 v[7:10], v7 offset:64
	s_waitcnt lgkmcnt(0)
	v_mul_f64 v[11:12], v[1:2], v[9:10]
	v_mul_f64 v[15:16], v[3:4], v[9:10]
	s_delay_alu instid0(VALU_DEP_2) | instskip(NEXT) | instid1(VALU_DEP_2)
	v_fma_f64 v[9:10], v[3:4], v[7:8], -v[11:12]
	v_fma_f64 v[11:12], v[1:2], v[7:8], v[15:16]
	scratch_store_b128 off, v[9:12], off offset:64
.LBB113_31:
	s_or_b32 exec_lo, exec_lo, s2
	s_waitcnt_vscnt null, 0x0
	s_barrier
	buffer_gl0_inv
	scratch_load_b128 v[1:4], v187, off
	s_mov_b32 s2, exec_lo
	s_waitcnt vmcnt(0)
	ds_store_b128 v5, v[1:4]
	s_waitcnt lgkmcnt(0)
	s_barrier
	buffer_gl0_inv
	v_cmpx_gt_u32_e32 5, v142
	s_cbranch_execz .LBB113_35
; %bb.32:
	v_dual_mov_b32 v1, 0 :: v_dual_add_nc_u32 v8, 0x320, v13
	v_dual_mov_b32 v2, 0 :: v_dual_add_nc_u32 v7, -1, v142
	v_or_b32_e32 v9, 8, v14
	s_mov_b32 s3, 0
	s_delay_alu instid0(VALU_DEP_2)
	v_dual_mov_b32 v4, v2 :: v_dual_mov_b32 v3, v1
	.p2align	6
.LBB113_33:                             ; =>This Inner Loop Header: Depth=1
	scratch_load_b128 v[15:18], v9, off offset:-8
	ds_load_b128 v[19:22], v8
	v_add_nc_u32_e32 v7, 1, v7
	v_add_nc_u32_e32 v8, 16, v8
	;; [unrolled: 1-line block ×3, first 2 shown]
	s_delay_alu instid0(VALU_DEP_3) | instskip(SKIP_4) | instid1(VALU_DEP_2)
	v_cmp_lt_u32_e32 vcc_lo, 3, v7
	s_or_b32 s3, vcc_lo, s3
	s_waitcnt vmcnt(0) lgkmcnt(0)
	v_mul_f64 v[10:11], v[21:22], v[17:18]
	v_mul_f64 v[17:18], v[19:20], v[17:18]
	v_fma_f64 v[10:11], v[19:20], v[15:16], -v[10:11]
	s_delay_alu instid0(VALU_DEP_2) | instskip(NEXT) | instid1(VALU_DEP_2)
	v_fma_f64 v[15:16], v[21:22], v[15:16], v[17:18]
	v_add_f64 v[3:4], v[3:4], v[10:11]
	s_delay_alu instid0(VALU_DEP_2)
	v_add_f64 v[1:2], v[1:2], v[15:16]
	s_and_not1_b32 exec_lo, exec_lo, s3
	s_cbranch_execnz .LBB113_33
; %bb.34:
	s_or_b32 exec_lo, exec_lo, s3
	v_mov_b32_e32 v7, 0
	ds_load_b128 v[7:10], v7 offset:80
	s_waitcnt lgkmcnt(0)
	v_mul_f64 v[11:12], v[1:2], v[9:10]
	v_mul_f64 v[15:16], v[3:4], v[9:10]
	s_delay_alu instid0(VALU_DEP_2) | instskip(NEXT) | instid1(VALU_DEP_2)
	v_fma_f64 v[9:10], v[3:4], v[7:8], -v[11:12]
	v_fma_f64 v[11:12], v[1:2], v[7:8], v[15:16]
	scratch_store_b128 off, v[9:12], off offset:80
.LBB113_35:
	s_or_b32 exec_lo, exec_lo, s2
	s_waitcnt_vscnt null, 0x0
	s_barrier
	buffer_gl0_inv
	scratch_load_b128 v[1:4], v186, off
	s_mov_b32 s2, exec_lo
	s_waitcnt vmcnt(0)
	ds_store_b128 v5, v[1:4]
	s_waitcnt lgkmcnt(0)
	s_barrier
	buffer_gl0_inv
	v_cmpx_gt_u32_e32 6, v142
	s_cbranch_execz .LBB113_39
; %bb.36:
	v_dual_mov_b32 v1, 0 :: v_dual_add_nc_u32 v8, 0x320, v13
	v_dual_mov_b32 v2, 0 :: v_dual_add_nc_u32 v7, -1, v142
	v_or_b32_e32 v9, 8, v14
	s_mov_b32 s3, 0
	s_delay_alu instid0(VALU_DEP_2)
	v_dual_mov_b32 v4, v2 :: v_dual_mov_b32 v3, v1
	.p2align	6
.LBB113_37:                             ; =>This Inner Loop Header: Depth=1
	scratch_load_b128 v[15:18], v9, off offset:-8
	ds_load_b128 v[19:22], v8
	v_add_nc_u32_e32 v7, 1, v7
	v_add_nc_u32_e32 v8, 16, v8
	;; [unrolled: 1-line block ×3, first 2 shown]
	s_delay_alu instid0(VALU_DEP_3) | instskip(SKIP_4) | instid1(VALU_DEP_2)
	v_cmp_lt_u32_e32 vcc_lo, 4, v7
	s_or_b32 s3, vcc_lo, s3
	s_waitcnt vmcnt(0) lgkmcnt(0)
	v_mul_f64 v[10:11], v[21:22], v[17:18]
	v_mul_f64 v[17:18], v[19:20], v[17:18]
	v_fma_f64 v[10:11], v[19:20], v[15:16], -v[10:11]
	s_delay_alu instid0(VALU_DEP_2) | instskip(NEXT) | instid1(VALU_DEP_2)
	v_fma_f64 v[15:16], v[21:22], v[15:16], v[17:18]
	v_add_f64 v[3:4], v[3:4], v[10:11]
	s_delay_alu instid0(VALU_DEP_2)
	v_add_f64 v[1:2], v[1:2], v[15:16]
	s_and_not1_b32 exec_lo, exec_lo, s3
	s_cbranch_execnz .LBB113_37
; %bb.38:
	s_or_b32 exec_lo, exec_lo, s3
	v_mov_b32_e32 v7, 0
	ds_load_b128 v[7:10], v7 offset:96
	s_waitcnt lgkmcnt(0)
	v_mul_f64 v[11:12], v[1:2], v[9:10]
	v_mul_f64 v[15:16], v[3:4], v[9:10]
	s_delay_alu instid0(VALU_DEP_2) | instskip(NEXT) | instid1(VALU_DEP_2)
	v_fma_f64 v[9:10], v[3:4], v[7:8], -v[11:12]
	v_fma_f64 v[11:12], v[1:2], v[7:8], v[15:16]
	scratch_store_b128 off, v[9:12], off offset:96
.LBB113_39:
	s_or_b32 exec_lo, exec_lo, s2
	s_waitcnt_vscnt null, 0x0
	s_barrier
	buffer_gl0_inv
	scratch_load_b128 v[1:4], v185, off
	s_mov_b32 s2, exec_lo
	s_waitcnt vmcnt(0)
	ds_store_b128 v5, v[1:4]
	s_waitcnt lgkmcnt(0)
	s_barrier
	buffer_gl0_inv
	v_cmpx_gt_u32_e32 7, v142
	s_cbranch_execz .LBB113_43
; %bb.40:
	v_dual_mov_b32 v1, 0 :: v_dual_add_nc_u32 v8, 0x320, v13
	v_dual_mov_b32 v2, 0 :: v_dual_add_nc_u32 v7, -1, v142
	v_or_b32_e32 v9, 8, v14
	s_mov_b32 s3, 0
	s_delay_alu instid0(VALU_DEP_2)
	v_dual_mov_b32 v4, v2 :: v_dual_mov_b32 v3, v1
	.p2align	6
.LBB113_41:                             ; =>This Inner Loop Header: Depth=1
	scratch_load_b128 v[15:18], v9, off offset:-8
	ds_load_b128 v[19:22], v8
	v_add_nc_u32_e32 v7, 1, v7
	v_add_nc_u32_e32 v8, 16, v8
	;; [unrolled: 1-line block ×3, first 2 shown]
	s_delay_alu instid0(VALU_DEP_3) | instskip(SKIP_4) | instid1(VALU_DEP_2)
	v_cmp_lt_u32_e32 vcc_lo, 5, v7
	s_or_b32 s3, vcc_lo, s3
	s_waitcnt vmcnt(0) lgkmcnt(0)
	v_mul_f64 v[10:11], v[21:22], v[17:18]
	v_mul_f64 v[17:18], v[19:20], v[17:18]
	v_fma_f64 v[10:11], v[19:20], v[15:16], -v[10:11]
	s_delay_alu instid0(VALU_DEP_2) | instskip(NEXT) | instid1(VALU_DEP_2)
	v_fma_f64 v[15:16], v[21:22], v[15:16], v[17:18]
	v_add_f64 v[3:4], v[3:4], v[10:11]
	s_delay_alu instid0(VALU_DEP_2)
	v_add_f64 v[1:2], v[1:2], v[15:16]
	s_and_not1_b32 exec_lo, exec_lo, s3
	s_cbranch_execnz .LBB113_41
; %bb.42:
	s_or_b32 exec_lo, exec_lo, s3
	v_mov_b32_e32 v7, 0
	ds_load_b128 v[7:10], v7 offset:112
	s_waitcnt lgkmcnt(0)
	v_mul_f64 v[11:12], v[1:2], v[9:10]
	v_mul_f64 v[15:16], v[3:4], v[9:10]
	s_delay_alu instid0(VALU_DEP_2) | instskip(NEXT) | instid1(VALU_DEP_2)
	v_fma_f64 v[9:10], v[3:4], v[7:8], -v[11:12]
	v_fma_f64 v[11:12], v[1:2], v[7:8], v[15:16]
	scratch_store_b128 off, v[9:12], off offset:112
.LBB113_43:
	s_or_b32 exec_lo, exec_lo, s2
	s_waitcnt_vscnt null, 0x0
	s_barrier
	buffer_gl0_inv
	scratch_load_b128 v[1:4], v184, off
	s_mov_b32 s2, exec_lo
	s_waitcnt vmcnt(0)
	ds_store_b128 v5, v[1:4]
	s_waitcnt lgkmcnt(0)
	s_barrier
	buffer_gl0_inv
	v_cmpx_gt_u32_e32 8, v142
	s_cbranch_execz .LBB113_47
; %bb.44:
	v_dual_mov_b32 v1, 0 :: v_dual_add_nc_u32 v8, 0x320, v13
	v_dual_mov_b32 v2, 0 :: v_dual_add_nc_u32 v7, -1, v142
	v_or_b32_e32 v9, 8, v14
	s_mov_b32 s3, 0
	s_delay_alu instid0(VALU_DEP_2)
	v_dual_mov_b32 v4, v2 :: v_dual_mov_b32 v3, v1
	.p2align	6
.LBB113_45:                             ; =>This Inner Loop Header: Depth=1
	scratch_load_b128 v[15:18], v9, off offset:-8
	ds_load_b128 v[19:22], v8
	v_add_nc_u32_e32 v7, 1, v7
	v_add_nc_u32_e32 v8, 16, v8
	;; [unrolled: 1-line block ×3, first 2 shown]
	s_delay_alu instid0(VALU_DEP_3) | instskip(SKIP_4) | instid1(VALU_DEP_2)
	v_cmp_lt_u32_e32 vcc_lo, 6, v7
	s_or_b32 s3, vcc_lo, s3
	s_waitcnt vmcnt(0) lgkmcnt(0)
	v_mul_f64 v[10:11], v[21:22], v[17:18]
	v_mul_f64 v[17:18], v[19:20], v[17:18]
	v_fma_f64 v[10:11], v[19:20], v[15:16], -v[10:11]
	s_delay_alu instid0(VALU_DEP_2) | instskip(NEXT) | instid1(VALU_DEP_2)
	v_fma_f64 v[15:16], v[21:22], v[15:16], v[17:18]
	v_add_f64 v[3:4], v[3:4], v[10:11]
	s_delay_alu instid0(VALU_DEP_2)
	v_add_f64 v[1:2], v[1:2], v[15:16]
	s_and_not1_b32 exec_lo, exec_lo, s3
	s_cbranch_execnz .LBB113_45
; %bb.46:
	s_or_b32 exec_lo, exec_lo, s3
	v_mov_b32_e32 v7, 0
	ds_load_b128 v[7:10], v7 offset:128
	s_waitcnt lgkmcnt(0)
	v_mul_f64 v[11:12], v[1:2], v[9:10]
	v_mul_f64 v[15:16], v[3:4], v[9:10]
	s_delay_alu instid0(VALU_DEP_2) | instskip(NEXT) | instid1(VALU_DEP_2)
	v_fma_f64 v[9:10], v[3:4], v[7:8], -v[11:12]
	v_fma_f64 v[11:12], v[1:2], v[7:8], v[15:16]
	scratch_store_b128 off, v[9:12], off offset:128
.LBB113_47:
	s_or_b32 exec_lo, exec_lo, s2
	s_waitcnt_vscnt null, 0x0
	s_barrier
	buffer_gl0_inv
	scratch_load_b128 v[1:4], v183, off
	s_mov_b32 s2, exec_lo
	s_waitcnt vmcnt(0)
	ds_store_b128 v5, v[1:4]
	s_waitcnt lgkmcnt(0)
	s_barrier
	buffer_gl0_inv
	v_cmpx_gt_u32_e32 9, v142
	s_cbranch_execz .LBB113_51
; %bb.48:
	v_dual_mov_b32 v1, 0 :: v_dual_add_nc_u32 v8, 0x320, v13
	v_dual_mov_b32 v2, 0 :: v_dual_add_nc_u32 v7, -1, v142
	v_or_b32_e32 v9, 8, v14
	s_mov_b32 s3, 0
	s_delay_alu instid0(VALU_DEP_2)
	v_dual_mov_b32 v4, v2 :: v_dual_mov_b32 v3, v1
	.p2align	6
.LBB113_49:                             ; =>This Inner Loop Header: Depth=1
	scratch_load_b128 v[15:18], v9, off offset:-8
	ds_load_b128 v[19:22], v8
	v_add_nc_u32_e32 v7, 1, v7
	v_add_nc_u32_e32 v8, 16, v8
	v_add_nc_u32_e32 v9, 16, v9
	s_delay_alu instid0(VALU_DEP_3) | instskip(SKIP_4) | instid1(VALU_DEP_2)
	v_cmp_lt_u32_e32 vcc_lo, 7, v7
	s_or_b32 s3, vcc_lo, s3
	s_waitcnt vmcnt(0) lgkmcnt(0)
	v_mul_f64 v[10:11], v[21:22], v[17:18]
	v_mul_f64 v[17:18], v[19:20], v[17:18]
	v_fma_f64 v[10:11], v[19:20], v[15:16], -v[10:11]
	s_delay_alu instid0(VALU_DEP_2) | instskip(NEXT) | instid1(VALU_DEP_2)
	v_fma_f64 v[15:16], v[21:22], v[15:16], v[17:18]
	v_add_f64 v[3:4], v[3:4], v[10:11]
	s_delay_alu instid0(VALU_DEP_2)
	v_add_f64 v[1:2], v[1:2], v[15:16]
	s_and_not1_b32 exec_lo, exec_lo, s3
	s_cbranch_execnz .LBB113_49
; %bb.50:
	s_or_b32 exec_lo, exec_lo, s3
	v_mov_b32_e32 v7, 0
	ds_load_b128 v[7:10], v7 offset:144
	s_waitcnt lgkmcnt(0)
	v_mul_f64 v[11:12], v[1:2], v[9:10]
	v_mul_f64 v[15:16], v[3:4], v[9:10]
	s_delay_alu instid0(VALU_DEP_2) | instskip(NEXT) | instid1(VALU_DEP_2)
	v_fma_f64 v[9:10], v[3:4], v[7:8], -v[11:12]
	v_fma_f64 v[11:12], v[1:2], v[7:8], v[15:16]
	scratch_store_b128 off, v[9:12], off offset:144
.LBB113_51:
	s_or_b32 exec_lo, exec_lo, s2
	s_waitcnt_vscnt null, 0x0
	s_barrier
	buffer_gl0_inv
	scratch_load_b128 v[1:4], v182, off
	s_mov_b32 s2, exec_lo
	s_waitcnt vmcnt(0)
	ds_store_b128 v5, v[1:4]
	s_waitcnt lgkmcnt(0)
	s_barrier
	buffer_gl0_inv
	v_cmpx_gt_u32_e32 10, v142
	s_cbranch_execz .LBB113_55
; %bb.52:
	v_dual_mov_b32 v1, 0 :: v_dual_add_nc_u32 v8, 0x320, v13
	v_dual_mov_b32 v2, 0 :: v_dual_add_nc_u32 v7, -1, v142
	v_or_b32_e32 v9, 8, v14
	s_mov_b32 s3, 0
	s_delay_alu instid0(VALU_DEP_2)
	v_dual_mov_b32 v4, v2 :: v_dual_mov_b32 v3, v1
	.p2align	6
.LBB113_53:                             ; =>This Inner Loop Header: Depth=1
	scratch_load_b128 v[15:18], v9, off offset:-8
	ds_load_b128 v[19:22], v8
	v_add_nc_u32_e32 v7, 1, v7
	v_add_nc_u32_e32 v8, 16, v8
	v_add_nc_u32_e32 v9, 16, v9
	s_delay_alu instid0(VALU_DEP_3) | instskip(SKIP_4) | instid1(VALU_DEP_2)
	v_cmp_lt_u32_e32 vcc_lo, 8, v7
	s_or_b32 s3, vcc_lo, s3
	s_waitcnt vmcnt(0) lgkmcnt(0)
	v_mul_f64 v[10:11], v[21:22], v[17:18]
	v_mul_f64 v[17:18], v[19:20], v[17:18]
	v_fma_f64 v[10:11], v[19:20], v[15:16], -v[10:11]
	s_delay_alu instid0(VALU_DEP_2) | instskip(NEXT) | instid1(VALU_DEP_2)
	v_fma_f64 v[15:16], v[21:22], v[15:16], v[17:18]
	v_add_f64 v[3:4], v[3:4], v[10:11]
	s_delay_alu instid0(VALU_DEP_2)
	v_add_f64 v[1:2], v[1:2], v[15:16]
	s_and_not1_b32 exec_lo, exec_lo, s3
	s_cbranch_execnz .LBB113_53
; %bb.54:
	s_or_b32 exec_lo, exec_lo, s3
	v_mov_b32_e32 v7, 0
	ds_load_b128 v[7:10], v7 offset:160
	s_waitcnt lgkmcnt(0)
	v_mul_f64 v[11:12], v[1:2], v[9:10]
	v_mul_f64 v[15:16], v[3:4], v[9:10]
	s_delay_alu instid0(VALU_DEP_2) | instskip(NEXT) | instid1(VALU_DEP_2)
	v_fma_f64 v[9:10], v[3:4], v[7:8], -v[11:12]
	v_fma_f64 v[11:12], v[1:2], v[7:8], v[15:16]
	scratch_store_b128 off, v[9:12], off offset:160
.LBB113_55:
	s_or_b32 exec_lo, exec_lo, s2
	s_waitcnt_vscnt null, 0x0
	s_barrier
	buffer_gl0_inv
	scratch_load_b128 v[1:4], v181, off
	s_mov_b32 s2, exec_lo
	s_waitcnt vmcnt(0)
	ds_store_b128 v5, v[1:4]
	s_waitcnt lgkmcnt(0)
	s_barrier
	buffer_gl0_inv
	v_cmpx_gt_u32_e32 11, v142
	s_cbranch_execz .LBB113_59
; %bb.56:
	v_dual_mov_b32 v1, 0 :: v_dual_add_nc_u32 v8, 0x320, v13
	v_dual_mov_b32 v2, 0 :: v_dual_add_nc_u32 v7, -1, v142
	v_or_b32_e32 v9, 8, v14
	s_mov_b32 s3, 0
	s_delay_alu instid0(VALU_DEP_2)
	v_dual_mov_b32 v4, v2 :: v_dual_mov_b32 v3, v1
	.p2align	6
.LBB113_57:                             ; =>This Inner Loop Header: Depth=1
	scratch_load_b128 v[15:18], v9, off offset:-8
	ds_load_b128 v[19:22], v8
	v_add_nc_u32_e32 v7, 1, v7
	v_add_nc_u32_e32 v8, 16, v8
	;; [unrolled: 1-line block ×3, first 2 shown]
	s_delay_alu instid0(VALU_DEP_3) | instskip(SKIP_4) | instid1(VALU_DEP_2)
	v_cmp_lt_u32_e32 vcc_lo, 9, v7
	s_or_b32 s3, vcc_lo, s3
	s_waitcnt vmcnt(0) lgkmcnt(0)
	v_mul_f64 v[10:11], v[21:22], v[17:18]
	v_mul_f64 v[17:18], v[19:20], v[17:18]
	v_fma_f64 v[10:11], v[19:20], v[15:16], -v[10:11]
	s_delay_alu instid0(VALU_DEP_2) | instskip(NEXT) | instid1(VALU_DEP_2)
	v_fma_f64 v[15:16], v[21:22], v[15:16], v[17:18]
	v_add_f64 v[3:4], v[3:4], v[10:11]
	s_delay_alu instid0(VALU_DEP_2)
	v_add_f64 v[1:2], v[1:2], v[15:16]
	s_and_not1_b32 exec_lo, exec_lo, s3
	s_cbranch_execnz .LBB113_57
; %bb.58:
	s_or_b32 exec_lo, exec_lo, s3
	v_mov_b32_e32 v7, 0
	ds_load_b128 v[7:10], v7 offset:176
	s_waitcnt lgkmcnt(0)
	v_mul_f64 v[11:12], v[1:2], v[9:10]
	v_mul_f64 v[15:16], v[3:4], v[9:10]
	s_delay_alu instid0(VALU_DEP_2) | instskip(NEXT) | instid1(VALU_DEP_2)
	v_fma_f64 v[9:10], v[3:4], v[7:8], -v[11:12]
	v_fma_f64 v[11:12], v[1:2], v[7:8], v[15:16]
	scratch_store_b128 off, v[9:12], off offset:176
.LBB113_59:
	s_or_b32 exec_lo, exec_lo, s2
	s_waitcnt_vscnt null, 0x0
	s_barrier
	buffer_gl0_inv
	scratch_load_b128 v[1:4], v180, off
	s_mov_b32 s2, exec_lo
	s_waitcnt vmcnt(0)
	ds_store_b128 v5, v[1:4]
	s_waitcnt lgkmcnt(0)
	s_barrier
	buffer_gl0_inv
	v_cmpx_gt_u32_e32 12, v142
	s_cbranch_execz .LBB113_63
; %bb.60:
	v_dual_mov_b32 v1, 0 :: v_dual_add_nc_u32 v8, 0x320, v13
	v_dual_mov_b32 v2, 0 :: v_dual_add_nc_u32 v7, -1, v142
	v_or_b32_e32 v9, 8, v14
	s_mov_b32 s3, 0
	s_delay_alu instid0(VALU_DEP_2)
	v_dual_mov_b32 v4, v2 :: v_dual_mov_b32 v3, v1
	.p2align	6
.LBB113_61:                             ; =>This Inner Loop Header: Depth=1
	scratch_load_b128 v[15:18], v9, off offset:-8
	ds_load_b128 v[19:22], v8
	v_add_nc_u32_e32 v7, 1, v7
	v_add_nc_u32_e32 v8, 16, v8
	;; [unrolled: 1-line block ×3, first 2 shown]
	s_delay_alu instid0(VALU_DEP_3) | instskip(SKIP_4) | instid1(VALU_DEP_2)
	v_cmp_lt_u32_e32 vcc_lo, 10, v7
	s_or_b32 s3, vcc_lo, s3
	s_waitcnt vmcnt(0) lgkmcnt(0)
	v_mul_f64 v[10:11], v[21:22], v[17:18]
	v_mul_f64 v[17:18], v[19:20], v[17:18]
	v_fma_f64 v[10:11], v[19:20], v[15:16], -v[10:11]
	s_delay_alu instid0(VALU_DEP_2) | instskip(NEXT) | instid1(VALU_DEP_2)
	v_fma_f64 v[15:16], v[21:22], v[15:16], v[17:18]
	v_add_f64 v[3:4], v[3:4], v[10:11]
	s_delay_alu instid0(VALU_DEP_2)
	v_add_f64 v[1:2], v[1:2], v[15:16]
	s_and_not1_b32 exec_lo, exec_lo, s3
	s_cbranch_execnz .LBB113_61
; %bb.62:
	s_or_b32 exec_lo, exec_lo, s3
	v_mov_b32_e32 v7, 0
	ds_load_b128 v[7:10], v7 offset:192
	s_waitcnt lgkmcnt(0)
	v_mul_f64 v[11:12], v[1:2], v[9:10]
	v_mul_f64 v[15:16], v[3:4], v[9:10]
	s_delay_alu instid0(VALU_DEP_2) | instskip(NEXT) | instid1(VALU_DEP_2)
	v_fma_f64 v[9:10], v[3:4], v[7:8], -v[11:12]
	v_fma_f64 v[11:12], v[1:2], v[7:8], v[15:16]
	scratch_store_b128 off, v[9:12], off offset:192
.LBB113_63:
	s_or_b32 exec_lo, exec_lo, s2
	s_waitcnt_vscnt null, 0x0
	s_barrier
	buffer_gl0_inv
	scratch_load_b128 v[1:4], v179, off
	s_mov_b32 s2, exec_lo
	s_waitcnt vmcnt(0)
	ds_store_b128 v5, v[1:4]
	s_waitcnt lgkmcnt(0)
	s_barrier
	buffer_gl0_inv
	v_cmpx_gt_u32_e32 13, v142
	s_cbranch_execz .LBB113_67
; %bb.64:
	v_dual_mov_b32 v1, 0 :: v_dual_add_nc_u32 v8, 0x320, v13
	v_dual_mov_b32 v2, 0 :: v_dual_add_nc_u32 v7, -1, v142
	v_or_b32_e32 v9, 8, v14
	s_mov_b32 s3, 0
	s_delay_alu instid0(VALU_DEP_2)
	v_dual_mov_b32 v4, v2 :: v_dual_mov_b32 v3, v1
	.p2align	6
.LBB113_65:                             ; =>This Inner Loop Header: Depth=1
	scratch_load_b128 v[15:18], v9, off offset:-8
	ds_load_b128 v[19:22], v8
	v_add_nc_u32_e32 v7, 1, v7
	v_add_nc_u32_e32 v8, 16, v8
	;; [unrolled: 1-line block ×3, first 2 shown]
	s_delay_alu instid0(VALU_DEP_3) | instskip(SKIP_4) | instid1(VALU_DEP_2)
	v_cmp_lt_u32_e32 vcc_lo, 11, v7
	s_or_b32 s3, vcc_lo, s3
	s_waitcnt vmcnt(0) lgkmcnt(0)
	v_mul_f64 v[10:11], v[21:22], v[17:18]
	v_mul_f64 v[17:18], v[19:20], v[17:18]
	v_fma_f64 v[10:11], v[19:20], v[15:16], -v[10:11]
	s_delay_alu instid0(VALU_DEP_2) | instskip(NEXT) | instid1(VALU_DEP_2)
	v_fma_f64 v[15:16], v[21:22], v[15:16], v[17:18]
	v_add_f64 v[3:4], v[3:4], v[10:11]
	s_delay_alu instid0(VALU_DEP_2)
	v_add_f64 v[1:2], v[1:2], v[15:16]
	s_and_not1_b32 exec_lo, exec_lo, s3
	s_cbranch_execnz .LBB113_65
; %bb.66:
	s_or_b32 exec_lo, exec_lo, s3
	v_mov_b32_e32 v7, 0
	ds_load_b128 v[7:10], v7 offset:208
	s_waitcnt lgkmcnt(0)
	v_mul_f64 v[11:12], v[1:2], v[9:10]
	v_mul_f64 v[15:16], v[3:4], v[9:10]
	s_delay_alu instid0(VALU_DEP_2) | instskip(NEXT) | instid1(VALU_DEP_2)
	v_fma_f64 v[9:10], v[3:4], v[7:8], -v[11:12]
	v_fma_f64 v[11:12], v[1:2], v[7:8], v[15:16]
	scratch_store_b128 off, v[9:12], off offset:208
.LBB113_67:
	s_or_b32 exec_lo, exec_lo, s2
	s_waitcnt_vscnt null, 0x0
	s_barrier
	buffer_gl0_inv
	scratch_load_b128 v[1:4], v178, off
	s_mov_b32 s2, exec_lo
	s_waitcnt vmcnt(0)
	ds_store_b128 v5, v[1:4]
	s_waitcnt lgkmcnt(0)
	s_barrier
	buffer_gl0_inv
	v_cmpx_gt_u32_e32 14, v142
	s_cbranch_execz .LBB113_71
; %bb.68:
	v_dual_mov_b32 v1, 0 :: v_dual_add_nc_u32 v8, 0x320, v13
	v_dual_mov_b32 v2, 0 :: v_dual_add_nc_u32 v7, -1, v142
	v_or_b32_e32 v9, 8, v14
	s_mov_b32 s3, 0
	s_delay_alu instid0(VALU_DEP_2)
	v_dual_mov_b32 v4, v2 :: v_dual_mov_b32 v3, v1
	.p2align	6
.LBB113_69:                             ; =>This Inner Loop Header: Depth=1
	scratch_load_b128 v[15:18], v9, off offset:-8
	ds_load_b128 v[19:22], v8
	v_add_nc_u32_e32 v7, 1, v7
	v_add_nc_u32_e32 v8, 16, v8
	v_add_nc_u32_e32 v9, 16, v9
	s_delay_alu instid0(VALU_DEP_3) | instskip(SKIP_4) | instid1(VALU_DEP_2)
	v_cmp_lt_u32_e32 vcc_lo, 12, v7
	s_or_b32 s3, vcc_lo, s3
	s_waitcnt vmcnt(0) lgkmcnt(0)
	v_mul_f64 v[10:11], v[21:22], v[17:18]
	v_mul_f64 v[17:18], v[19:20], v[17:18]
	v_fma_f64 v[10:11], v[19:20], v[15:16], -v[10:11]
	s_delay_alu instid0(VALU_DEP_2) | instskip(NEXT) | instid1(VALU_DEP_2)
	v_fma_f64 v[15:16], v[21:22], v[15:16], v[17:18]
	v_add_f64 v[3:4], v[3:4], v[10:11]
	s_delay_alu instid0(VALU_DEP_2)
	v_add_f64 v[1:2], v[1:2], v[15:16]
	s_and_not1_b32 exec_lo, exec_lo, s3
	s_cbranch_execnz .LBB113_69
; %bb.70:
	s_or_b32 exec_lo, exec_lo, s3
	v_mov_b32_e32 v7, 0
	ds_load_b128 v[7:10], v7 offset:224
	s_waitcnt lgkmcnt(0)
	v_mul_f64 v[11:12], v[1:2], v[9:10]
	v_mul_f64 v[15:16], v[3:4], v[9:10]
	s_delay_alu instid0(VALU_DEP_2) | instskip(NEXT) | instid1(VALU_DEP_2)
	v_fma_f64 v[9:10], v[3:4], v[7:8], -v[11:12]
	v_fma_f64 v[11:12], v[1:2], v[7:8], v[15:16]
	scratch_store_b128 off, v[9:12], off offset:224
.LBB113_71:
	s_or_b32 exec_lo, exec_lo, s2
	s_waitcnt_vscnt null, 0x0
	s_barrier
	buffer_gl0_inv
	scratch_load_b128 v[1:4], v177, off
	s_mov_b32 s2, exec_lo
	s_waitcnt vmcnt(0)
	ds_store_b128 v5, v[1:4]
	s_waitcnt lgkmcnt(0)
	s_barrier
	buffer_gl0_inv
	v_cmpx_gt_u32_e32 15, v142
	s_cbranch_execz .LBB113_75
; %bb.72:
	v_dual_mov_b32 v1, 0 :: v_dual_add_nc_u32 v8, 0x320, v13
	v_dual_mov_b32 v2, 0 :: v_dual_add_nc_u32 v7, -1, v142
	v_or_b32_e32 v9, 8, v14
	s_mov_b32 s3, 0
	s_delay_alu instid0(VALU_DEP_2)
	v_dual_mov_b32 v4, v2 :: v_dual_mov_b32 v3, v1
	.p2align	6
.LBB113_73:                             ; =>This Inner Loop Header: Depth=1
	scratch_load_b128 v[15:18], v9, off offset:-8
	ds_load_b128 v[19:22], v8
	v_add_nc_u32_e32 v7, 1, v7
	v_add_nc_u32_e32 v8, 16, v8
	;; [unrolled: 1-line block ×3, first 2 shown]
	s_delay_alu instid0(VALU_DEP_3) | instskip(SKIP_4) | instid1(VALU_DEP_2)
	v_cmp_lt_u32_e32 vcc_lo, 13, v7
	s_or_b32 s3, vcc_lo, s3
	s_waitcnt vmcnt(0) lgkmcnt(0)
	v_mul_f64 v[10:11], v[21:22], v[17:18]
	v_mul_f64 v[17:18], v[19:20], v[17:18]
	v_fma_f64 v[10:11], v[19:20], v[15:16], -v[10:11]
	s_delay_alu instid0(VALU_DEP_2) | instskip(NEXT) | instid1(VALU_DEP_2)
	v_fma_f64 v[15:16], v[21:22], v[15:16], v[17:18]
	v_add_f64 v[3:4], v[3:4], v[10:11]
	s_delay_alu instid0(VALU_DEP_2)
	v_add_f64 v[1:2], v[1:2], v[15:16]
	s_and_not1_b32 exec_lo, exec_lo, s3
	s_cbranch_execnz .LBB113_73
; %bb.74:
	s_or_b32 exec_lo, exec_lo, s3
	v_mov_b32_e32 v7, 0
	ds_load_b128 v[7:10], v7 offset:240
	s_waitcnt lgkmcnt(0)
	v_mul_f64 v[11:12], v[1:2], v[9:10]
	v_mul_f64 v[15:16], v[3:4], v[9:10]
	s_delay_alu instid0(VALU_DEP_2) | instskip(NEXT) | instid1(VALU_DEP_2)
	v_fma_f64 v[9:10], v[3:4], v[7:8], -v[11:12]
	v_fma_f64 v[11:12], v[1:2], v[7:8], v[15:16]
	scratch_store_b128 off, v[9:12], off offset:240
.LBB113_75:
	s_or_b32 exec_lo, exec_lo, s2
	s_waitcnt_vscnt null, 0x0
	s_barrier
	buffer_gl0_inv
	scratch_load_b128 v[1:4], v176, off
	s_mov_b32 s2, exec_lo
	s_waitcnt vmcnt(0)
	ds_store_b128 v5, v[1:4]
	s_waitcnt lgkmcnt(0)
	s_barrier
	buffer_gl0_inv
	v_cmpx_gt_u32_e32 16, v142
	s_cbranch_execz .LBB113_79
; %bb.76:
	v_dual_mov_b32 v1, 0 :: v_dual_add_nc_u32 v8, 0x320, v13
	v_dual_mov_b32 v2, 0 :: v_dual_add_nc_u32 v7, -1, v142
	v_or_b32_e32 v9, 8, v14
	s_mov_b32 s3, 0
	s_delay_alu instid0(VALU_DEP_2)
	v_dual_mov_b32 v4, v2 :: v_dual_mov_b32 v3, v1
	.p2align	6
.LBB113_77:                             ; =>This Inner Loop Header: Depth=1
	scratch_load_b128 v[15:18], v9, off offset:-8
	ds_load_b128 v[19:22], v8
	v_add_nc_u32_e32 v7, 1, v7
	v_add_nc_u32_e32 v8, 16, v8
	;; [unrolled: 1-line block ×3, first 2 shown]
	s_delay_alu instid0(VALU_DEP_3) | instskip(SKIP_4) | instid1(VALU_DEP_2)
	v_cmp_lt_u32_e32 vcc_lo, 14, v7
	s_or_b32 s3, vcc_lo, s3
	s_waitcnt vmcnt(0) lgkmcnt(0)
	v_mul_f64 v[10:11], v[21:22], v[17:18]
	v_mul_f64 v[17:18], v[19:20], v[17:18]
	v_fma_f64 v[10:11], v[19:20], v[15:16], -v[10:11]
	s_delay_alu instid0(VALU_DEP_2) | instskip(NEXT) | instid1(VALU_DEP_2)
	v_fma_f64 v[15:16], v[21:22], v[15:16], v[17:18]
	v_add_f64 v[3:4], v[3:4], v[10:11]
	s_delay_alu instid0(VALU_DEP_2)
	v_add_f64 v[1:2], v[1:2], v[15:16]
	s_and_not1_b32 exec_lo, exec_lo, s3
	s_cbranch_execnz .LBB113_77
; %bb.78:
	s_or_b32 exec_lo, exec_lo, s3
	v_mov_b32_e32 v7, 0
	ds_load_b128 v[7:10], v7 offset:256
	s_waitcnt lgkmcnt(0)
	v_mul_f64 v[11:12], v[1:2], v[9:10]
	v_mul_f64 v[15:16], v[3:4], v[9:10]
	s_delay_alu instid0(VALU_DEP_2) | instskip(NEXT) | instid1(VALU_DEP_2)
	v_fma_f64 v[9:10], v[3:4], v[7:8], -v[11:12]
	v_fma_f64 v[11:12], v[1:2], v[7:8], v[15:16]
	scratch_store_b128 off, v[9:12], off offset:256
.LBB113_79:
	s_or_b32 exec_lo, exec_lo, s2
	s_waitcnt_vscnt null, 0x0
	s_barrier
	buffer_gl0_inv
	scratch_load_b128 v[1:4], v175, off
	s_mov_b32 s2, exec_lo
	s_waitcnt vmcnt(0)
	ds_store_b128 v5, v[1:4]
	s_waitcnt lgkmcnt(0)
	s_barrier
	buffer_gl0_inv
	v_cmpx_gt_u32_e32 17, v142
	s_cbranch_execz .LBB113_83
; %bb.80:
	v_dual_mov_b32 v1, 0 :: v_dual_add_nc_u32 v8, 0x320, v13
	v_dual_mov_b32 v2, 0 :: v_dual_add_nc_u32 v7, -1, v142
	v_or_b32_e32 v9, 8, v14
	s_mov_b32 s3, 0
	s_delay_alu instid0(VALU_DEP_2)
	v_dual_mov_b32 v4, v2 :: v_dual_mov_b32 v3, v1
	.p2align	6
.LBB113_81:                             ; =>This Inner Loop Header: Depth=1
	scratch_load_b128 v[15:18], v9, off offset:-8
	ds_load_b128 v[19:22], v8
	v_add_nc_u32_e32 v7, 1, v7
	v_add_nc_u32_e32 v8, 16, v8
	;; [unrolled: 1-line block ×3, first 2 shown]
	s_delay_alu instid0(VALU_DEP_3) | instskip(SKIP_4) | instid1(VALU_DEP_2)
	v_cmp_lt_u32_e32 vcc_lo, 15, v7
	s_or_b32 s3, vcc_lo, s3
	s_waitcnt vmcnt(0) lgkmcnt(0)
	v_mul_f64 v[10:11], v[21:22], v[17:18]
	v_mul_f64 v[17:18], v[19:20], v[17:18]
	v_fma_f64 v[10:11], v[19:20], v[15:16], -v[10:11]
	s_delay_alu instid0(VALU_DEP_2) | instskip(NEXT) | instid1(VALU_DEP_2)
	v_fma_f64 v[15:16], v[21:22], v[15:16], v[17:18]
	v_add_f64 v[3:4], v[3:4], v[10:11]
	s_delay_alu instid0(VALU_DEP_2)
	v_add_f64 v[1:2], v[1:2], v[15:16]
	s_and_not1_b32 exec_lo, exec_lo, s3
	s_cbranch_execnz .LBB113_81
; %bb.82:
	s_or_b32 exec_lo, exec_lo, s3
	v_mov_b32_e32 v7, 0
	ds_load_b128 v[7:10], v7 offset:272
	s_waitcnt lgkmcnt(0)
	v_mul_f64 v[11:12], v[1:2], v[9:10]
	v_mul_f64 v[15:16], v[3:4], v[9:10]
	s_delay_alu instid0(VALU_DEP_2) | instskip(NEXT) | instid1(VALU_DEP_2)
	v_fma_f64 v[9:10], v[3:4], v[7:8], -v[11:12]
	v_fma_f64 v[11:12], v[1:2], v[7:8], v[15:16]
	scratch_store_b128 off, v[9:12], off offset:272
.LBB113_83:
	s_or_b32 exec_lo, exec_lo, s2
	s_waitcnt_vscnt null, 0x0
	s_barrier
	buffer_gl0_inv
	scratch_load_b128 v[1:4], v173, off
	s_mov_b32 s2, exec_lo
	s_waitcnt vmcnt(0)
	ds_store_b128 v5, v[1:4]
	s_waitcnt lgkmcnt(0)
	s_barrier
	buffer_gl0_inv
	v_cmpx_gt_u32_e32 18, v142
	s_cbranch_execz .LBB113_87
; %bb.84:
	v_dual_mov_b32 v1, 0 :: v_dual_add_nc_u32 v8, 0x320, v13
	v_dual_mov_b32 v2, 0 :: v_dual_add_nc_u32 v7, -1, v142
	v_or_b32_e32 v9, 8, v14
	s_mov_b32 s3, 0
	s_delay_alu instid0(VALU_DEP_2)
	v_dual_mov_b32 v4, v2 :: v_dual_mov_b32 v3, v1
	.p2align	6
.LBB113_85:                             ; =>This Inner Loop Header: Depth=1
	scratch_load_b128 v[15:18], v9, off offset:-8
	ds_load_b128 v[19:22], v8
	v_add_nc_u32_e32 v7, 1, v7
	v_add_nc_u32_e32 v8, 16, v8
	;; [unrolled: 1-line block ×3, first 2 shown]
	s_delay_alu instid0(VALU_DEP_3) | instskip(SKIP_4) | instid1(VALU_DEP_2)
	v_cmp_lt_u32_e32 vcc_lo, 16, v7
	s_or_b32 s3, vcc_lo, s3
	s_waitcnt vmcnt(0) lgkmcnt(0)
	v_mul_f64 v[10:11], v[21:22], v[17:18]
	v_mul_f64 v[17:18], v[19:20], v[17:18]
	v_fma_f64 v[10:11], v[19:20], v[15:16], -v[10:11]
	s_delay_alu instid0(VALU_DEP_2) | instskip(NEXT) | instid1(VALU_DEP_2)
	v_fma_f64 v[15:16], v[21:22], v[15:16], v[17:18]
	v_add_f64 v[3:4], v[3:4], v[10:11]
	s_delay_alu instid0(VALU_DEP_2)
	v_add_f64 v[1:2], v[1:2], v[15:16]
	s_and_not1_b32 exec_lo, exec_lo, s3
	s_cbranch_execnz .LBB113_85
; %bb.86:
	s_or_b32 exec_lo, exec_lo, s3
	v_mov_b32_e32 v7, 0
	ds_load_b128 v[7:10], v7 offset:288
	s_waitcnt lgkmcnt(0)
	v_mul_f64 v[11:12], v[1:2], v[9:10]
	v_mul_f64 v[15:16], v[3:4], v[9:10]
	s_delay_alu instid0(VALU_DEP_2) | instskip(NEXT) | instid1(VALU_DEP_2)
	v_fma_f64 v[9:10], v[3:4], v[7:8], -v[11:12]
	v_fma_f64 v[11:12], v[1:2], v[7:8], v[15:16]
	scratch_store_b128 off, v[9:12], off offset:288
.LBB113_87:
	s_or_b32 exec_lo, exec_lo, s2
	s_waitcnt_vscnt null, 0x0
	s_barrier
	buffer_gl0_inv
	scratch_load_b128 v[1:4], v174, off
	s_mov_b32 s2, exec_lo
	s_waitcnt vmcnt(0)
	ds_store_b128 v5, v[1:4]
	s_waitcnt lgkmcnt(0)
	s_barrier
	buffer_gl0_inv
	v_cmpx_gt_u32_e32 19, v142
	s_cbranch_execz .LBB113_91
; %bb.88:
	v_dual_mov_b32 v1, 0 :: v_dual_add_nc_u32 v8, 0x320, v13
	v_dual_mov_b32 v2, 0 :: v_dual_add_nc_u32 v7, -1, v142
	v_or_b32_e32 v9, 8, v14
	s_mov_b32 s3, 0
	s_delay_alu instid0(VALU_DEP_2)
	v_dual_mov_b32 v4, v2 :: v_dual_mov_b32 v3, v1
	.p2align	6
.LBB113_89:                             ; =>This Inner Loop Header: Depth=1
	scratch_load_b128 v[15:18], v9, off offset:-8
	ds_load_b128 v[19:22], v8
	v_add_nc_u32_e32 v7, 1, v7
	v_add_nc_u32_e32 v8, 16, v8
	;; [unrolled: 1-line block ×3, first 2 shown]
	s_delay_alu instid0(VALU_DEP_3) | instskip(SKIP_4) | instid1(VALU_DEP_2)
	v_cmp_lt_u32_e32 vcc_lo, 17, v7
	s_or_b32 s3, vcc_lo, s3
	s_waitcnt vmcnt(0) lgkmcnt(0)
	v_mul_f64 v[10:11], v[21:22], v[17:18]
	v_mul_f64 v[17:18], v[19:20], v[17:18]
	v_fma_f64 v[10:11], v[19:20], v[15:16], -v[10:11]
	s_delay_alu instid0(VALU_DEP_2) | instskip(NEXT) | instid1(VALU_DEP_2)
	v_fma_f64 v[15:16], v[21:22], v[15:16], v[17:18]
	v_add_f64 v[3:4], v[3:4], v[10:11]
	s_delay_alu instid0(VALU_DEP_2)
	v_add_f64 v[1:2], v[1:2], v[15:16]
	s_and_not1_b32 exec_lo, exec_lo, s3
	s_cbranch_execnz .LBB113_89
; %bb.90:
	s_or_b32 exec_lo, exec_lo, s3
	v_mov_b32_e32 v7, 0
	ds_load_b128 v[7:10], v7 offset:304
	s_waitcnt lgkmcnt(0)
	v_mul_f64 v[11:12], v[1:2], v[9:10]
	v_mul_f64 v[15:16], v[3:4], v[9:10]
	s_delay_alu instid0(VALU_DEP_2) | instskip(NEXT) | instid1(VALU_DEP_2)
	v_fma_f64 v[9:10], v[3:4], v[7:8], -v[11:12]
	v_fma_f64 v[11:12], v[1:2], v[7:8], v[15:16]
	scratch_store_b128 off, v[9:12], off offset:304
.LBB113_91:
	s_or_b32 exec_lo, exec_lo, s2
	s_waitcnt_vscnt null, 0x0
	s_barrier
	buffer_gl0_inv
	scratch_load_b128 v[1:4], v172, off
	s_mov_b32 s2, exec_lo
	s_waitcnt vmcnt(0)
	ds_store_b128 v5, v[1:4]
	s_waitcnt lgkmcnt(0)
	s_barrier
	buffer_gl0_inv
	v_cmpx_gt_u32_e32 20, v142
	s_cbranch_execz .LBB113_95
; %bb.92:
	v_dual_mov_b32 v1, 0 :: v_dual_add_nc_u32 v8, 0x320, v13
	v_dual_mov_b32 v2, 0 :: v_dual_add_nc_u32 v7, -1, v142
	v_or_b32_e32 v9, 8, v14
	s_mov_b32 s3, 0
	s_delay_alu instid0(VALU_DEP_2)
	v_dual_mov_b32 v4, v2 :: v_dual_mov_b32 v3, v1
	.p2align	6
.LBB113_93:                             ; =>This Inner Loop Header: Depth=1
	scratch_load_b128 v[15:18], v9, off offset:-8
	ds_load_b128 v[19:22], v8
	v_add_nc_u32_e32 v7, 1, v7
	v_add_nc_u32_e32 v8, 16, v8
	;; [unrolled: 1-line block ×3, first 2 shown]
	s_delay_alu instid0(VALU_DEP_3) | instskip(SKIP_4) | instid1(VALU_DEP_2)
	v_cmp_lt_u32_e32 vcc_lo, 18, v7
	s_or_b32 s3, vcc_lo, s3
	s_waitcnt vmcnt(0) lgkmcnt(0)
	v_mul_f64 v[10:11], v[21:22], v[17:18]
	v_mul_f64 v[17:18], v[19:20], v[17:18]
	v_fma_f64 v[10:11], v[19:20], v[15:16], -v[10:11]
	s_delay_alu instid0(VALU_DEP_2) | instskip(NEXT) | instid1(VALU_DEP_2)
	v_fma_f64 v[15:16], v[21:22], v[15:16], v[17:18]
	v_add_f64 v[3:4], v[3:4], v[10:11]
	s_delay_alu instid0(VALU_DEP_2)
	v_add_f64 v[1:2], v[1:2], v[15:16]
	s_and_not1_b32 exec_lo, exec_lo, s3
	s_cbranch_execnz .LBB113_93
; %bb.94:
	s_or_b32 exec_lo, exec_lo, s3
	v_mov_b32_e32 v7, 0
	ds_load_b128 v[7:10], v7 offset:320
	s_waitcnt lgkmcnt(0)
	v_mul_f64 v[11:12], v[1:2], v[9:10]
	v_mul_f64 v[15:16], v[3:4], v[9:10]
	s_delay_alu instid0(VALU_DEP_2) | instskip(NEXT) | instid1(VALU_DEP_2)
	v_fma_f64 v[9:10], v[3:4], v[7:8], -v[11:12]
	v_fma_f64 v[11:12], v[1:2], v[7:8], v[15:16]
	scratch_store_b128 off, v[9:12], off offset:320
.LBB113_95:
	s_or_b32 exec_lo, exec_lo, s2
	s_waitcnt_vscnt null, 0x0
	s_barrier
	buffer_gl0_inv
	scratch_load_b128 v[1:4], v171, off
	s_mov_b32 s2, exec_lo
	s_waitcnt vmcnt(0)
	ds_store_b128 v5, v[1:4]
	s_waitcnt lgkmcnt(0)
	s_barrier
	buffer_gl0_inv
	v_cmpx_gt_u32_e32 21, v142
	s_cbranch_execz .LBB113_99
; %bb.96:
	v_dual_mov_b32 v1, 0 :: v_dual_add_nc_u32 v8, 0x320, v13
	v_dual_mov_b32 v2, 0 :: v_dual_add_nc_u32 v7, -1, v142
	v_or_b32_e32 v9, 8, v14
	s_mov_b32 s3, 0
	s_delay_alu instid0(VALU_DEP_2)
	v_dual_mov_b32 v4, v2 :: v_dual_mov_b32 v3, v1
	.p2align	6
.LBB113_97:                             ; =>This Inner Loop Header: Depth=1
	scratch_load_b128 v[15:18], v9, off offset:-8
	ds_load_b128 v[19:22], v8
	v_add_nc_u32_e32 v7, 1, v7
	v_add_nc_u32_e32 v8, 16, v8
	;; [unrolled: 1-line block ×3, first 2 shown]
	s_delay_alu instid0(VALU_DEP_3) | instskip(SKIP_4) | instid1(VALU_DEP_2)
	v_cmp_lt_u32_e32 vcc_lo, 19, v7
	s_or_b32 s3, vcc_lo, s3
	s_waitcnt vmcnt(0) lgkmcnt(0)
	v_mul_f64 v[10:11], v[21:22], v[17:18]
	v_mul_f64 v[17:18], v[19:20], v[17:18]
	v_fma_f64 v[10:11], v[19:20], v[15:16], -v[10:11]
	s_delay_alu instid0(VALU_DEP_2) | instskip(NEXT) | instid1(VALU_DEP_2)
	v_fma_f64 v[15:16], v[21:22], v[15:16], v[17:18]
	v_add_f64 v[3:4], v[3:4], v[10:11]
	s_delay_alu instid0(VALU_DEP_2)
	v_add_f64 v[1:2], v[1:2], v[15:16]
	s_and_not1_b32 exec_lo, exec_lo, s3
	s_cbranch_execnz .LBB113_97
; %bb.98:
	s_or_b32 exec_lo, exec_lo, s3
	v_mov_b32_e32 v7, 0
	ds_load_b128 v[7:10], v7 offset:336
	s_waitcnt lgkmcnt(0)
	v_mul_f64 v[11:12], v[1:2], v[9:10]
	v_mul_f64 v[15:16], v[3:4], v[9:10]
	s_delay_alu instid0(VALU_DEP_2) | instskip(NEXT) | instid1(VALU_DEP_2)
	v_fma_f64 v[9:10], v[3:4], v[7:8], -v[11:12]
	v_fma_f64 v[11:12], v[1:2], v[7:8], v[15:16]
	scratch_store_b128 off, v[9:12], off offset:336
.LBB113_99:
	s_or_b32 exec_lo, exec_lo, s2
	s_waitcnt_vscnt null, 0x0
	s_barrier
	buffer_gl0_inv
	scratch_load_b128 v[1:4], v169, off
	s_mov_b32 s2, exec_lo
	s_waitcnt vmcnt(0)
	ds_store_b128 v5, v[1:4]
	s_waitcnt lgkmcnt(0)
	s_barrier
	buffer_gl0_inv
	v_cmpx_gt_u32_e32 22, v142
	s_cbranch_execz .LBB113_103
; %bb.100:
	v_dual_mov_b32 v1, 0 :: v_dual_add_nc_u32 v8, 0x320, v13
	v_dual_mov_b32 v2, 0 :: v_dual_add_nc_u32 v7, -1, v142
	v_or_b32_e32 v9, 8, v14
	s_mov_b32 s3, 0
	s_delay_alu instid0(VALU_DEP_2)
	v_dual_mov_b32 v4, v2 :: v_dual_mov_b32 v3, v1
	.p2align	6
.LBB113_101:                            ; =>This Inner Loop Header: Depth=1
	scratch_load_b128 v[15:18], v9, off offset:-8
	ds_load_b128 v[19:22], v8
	v_add_nc_u32_e32 v7, 1, v7
	v_add_nc_u32_e32 v8, 16, v8
	;; [unrolled: 1-line block ×3, first 2 shown]
	s_delay_alu instid0(VALU_DEP_3) | instskip(SKIP_4) | instid1(VALU_DEP_2)
	v_cmp_lt_u32_e32 vcc_lo, 20, v7
	s_or_b32 s3, vcc_lo, s3
	s_waitcnt vmcnt(0) lgkmcnt(0)
	v_mul_f64 v[10:11], v[21:22], v[17:18]
	v_mul_f64 v[17:18], v[19:20], v[17:18]
	v_fma_f64 v[10:11], v[19:20], v[15:16], -v[10:11]
	s_delay_alu instid0(VALU_DEP_2) | instskip(NEXT) | instid1(VALU_DEP_2)
	v_fma_f64 v[15:16], v[21:22], v[15:16], v[17:18]
	v_add_f64 v[3:4], v[3:4], v[10:11]
	s_delay_alu instid0(VALU_DEP_2)
	v_add_f64 v[1:2], v[1:2], v[15:16]
	s_and_not1_b32 exec_lo, exec_lo, s3
	s_cbranch_execnz .LBB113_101
; %bb.102:
	s_or_b32 exec_lo, exec_lo, s3
	v_mov_b32_e32 v7, 0
	ds_load_b128 v[7:10], v7 offset:352
	s_waitcnt lgkmcnt(0)
	v_mul_f64 v[11:12], v[1:2], v[9:10]
	v_mul_f64 v[15:16], v[3:4], v[9:10]
	s_delay_alu instid0(VALU_DEP_2) | instskip(NEXT) | instid1(VALU_DEP_2)
	v_fma_f64 v[9:10], v[3:4], v[7:8], -v[11:12]
	v_fma_f64 v[11:12], v[1:2], v[7:8], v[15:16]
	scratch_store_b128 off, v[9:12], off offset:352
.LBB113_103:
	s_or_b32 exec_lo, exec_lo, s2
	s_waitcnt_vscnt null, 0x0
	s_barrier
	buffer_gl0_inv
	scratch_load_b128 v[1:4], v170, off
	s_mov_b32 s2, exec_lo
	s_waitcnt vmcnt(0)
	ds_store_b128 v5, v[1:4]
	s_waitcnt lgkmcnt(0)
	s_barrier
	buffer_gl0_inv
	v_cmpx_gt_u32_e32 23, v142
	s_cbranch_execz .LBB113_107
; %bb.104:
	v_dual_mov_b32 v1, 0 :: v_dual_add_nc_u32 v8, 0x320, v13
	v_dual_mov_b32 v2, 0 :: v_dual_add_nc_u32 v7, -1, v142
	v_or_b32_e32 v9, 8, v14
	s_mov_b32 s3, 0
	s_delay_alu instid0(VALU_DEP_2)
	v_dual_mov_b32 v4, v2 :: v_dual_mov_b32 v3, v1
	.p2align	6
.LBB113_105:                            ; =>This Inner Loop Header: Depth=1
	scratch_load_b128 v[15:18], v9, off offset:-8
	ds_load_b128 v[19:22], v8
	v_add_nc_u32_e32 v7, 1, v7
	v_add_nc_u32_e32 v8, 16, v8
	;; [unrolled: 1-line block ×3, first 2 shown]
	s_delay_alu instid0(VALU_DEP_3) | instskip(SKIP_4) | instid1(VALU_DEP_2)
	v_cmp_lt_u32_e32 vcc_lo, 21, v7
	s_or_b32 s3, vcc_lo, s3
	s_waitcnt vmcnt(0) lgkmcnt(0)
	v_mul_f64 v[10:11], v[21:22], v[17:18]
	v_mul_f64 v[17:18], v[19:20], v[17:18]
	v_fma_f64 v[10:11], v[19:20], v[15:16], -v[10:11]
	s_delay_alu instid0(VALU_DEP_2) | instskip(NEXT) | instid1(VALU_DEP_2)
	v_fma_f64 v[15:16], v[21:22], v[15:16], v[17:18]
	v_add_f64 v[3:4], v[3:4], v[10:11]
	s_delay_alu instid0(VALU_DEP_2)
	v_add_f64 v[1:2], v[1:2], v[15:16]
	s_and_not1_b32 exec_lo, exec_lo, s3
	s_cbranch_execnz .LBB113_105
; %bb.106:
	s_or_b32 exec_lo, exec_lo, s3
	v_mov_b32_e32 v7, 0
	ds_load_b128 v[7:10], v7 offset:368
	s_waitcnt lgkmcnt(0)
	v_mul_f64 v[11:12], v[1:2], v[9:10]
	v_mul_f64 v[15:16], v[3:4], v[9:10]
	s_delay_alu instid0(VALU_DEP_2) | instskip(NEXT) | instid1(VALU_DEP_2)
	v_fma_f64 v[9:10], v[3:4], v[7:8], -v[11:12]
	v_fma_f64 v[11:12], v[1:2], v[7:8], v[15:16]
	scratch_store_b128 off, v[9:12], off offset:368
.LBB113_107:
	s_or_b32 exec_lo, exec_lo, s2
	s_waitcnt_vscnt null, 0x0
	s_barrier
	buffer_gl0_inv
	scratch_load_b128 v[1:4], v168, off
	s_mov_b32 s2, exec_lo
	s_waitcnt vmcnt(0)
	ds_store_b128 v5, v[1:4]
	s_waitcnt lgkmcnt(0)
	s_barrier
	buffer_gl0_inv
	v_cmpx_gt_u32_e32 24, v142
	s_cbranch_execz .LBB113_111
; %bb.108:
	v_dual_mov_b32 v1, 0 :: v_dual_add_nc_u32 v8, 0x320, v13
	v_dual_mov_b32 v2, 0 :: v_dual_add_nc_u32 v7, -1, v142
	v_or_b32_e32 v9, 8, v14
	s_mov_b32 s3, 0
	s_delay_alu instid0(VALU_DEP_2)
	v_dual_mov_b32 v4, v2 :: v_dual_mov_b32 v3, v1
	.p2align	6
.LBB113_109:                            ; =>This Inner Loop Header: Depth=1
	scratch_load_b128 v[15:18], v9, off offset:-8
	ds_load_b128 v[19:22], v8
	v_add_nc_u32_e32 v7, 1, v7
	v_add_nc_u32_e32 v8, 16, v8
	;; [unrolled: 1-line block ×3, first 2 shown]
	s_delay_alu instid0(VALU_DEP_3) | instskip(SKIP_4) | instid1(VALU_DEP_2)
	v_cmp_lt_u32_e32 vcc_lo, 22, v7
	s_or_b32 s3, vcc_lo, s3
	s_waitcnt vmcnt(0) lgkmcnt(0)
	v_mul_f64 v[10:11], v[21:22], v[17:18]
	v_mul_f64 v[17:18], v[19:20], v[17:18]
	v_fma_f64 v[10:11], v[19:20], v[15:16], -v[10:11]
	s_delay_alu instid0(VALU_DEP_2) | instskip(NEXT) | instid1(VALU_DEP_2)
	v_fma_f64 v[15:16], v[21:22], v[15:16], v[17:18]
	v_add_f64 v[3:4], v[3:4], v[10:11]
	s_delay_alu instid0(VALU_DEP_2)
	v_add_f64 v[1:2], v[1:2], v[15:16]
	s_and_not1_b32 exec_lo, exec_lo, s3
	s_cbranch_execnz .LBB113_109
; %bb.110:
	s_or_b32 exec_lo, exec_lo, s3
	v_mov_b32_e32 v7, 0
	ds_load_b128 v[7:10], v7 offset:384
	s_waitcnt lgkmcnt(0)
	v_mul_f64 v[11:12], v[1:2], v[9:10]
	v_mul_f64 v[15:16], v[3:4], v[9:10]
	s_delay_alu instid0(VALU_DEP_2) | instskip(NEXT) | instid1(VALU_DEP_2)
	v_fma_f64 v[9:10], v[3:4], v[7:8], -v[11:12]
	v_fma_f64 v[11:12], v[1:2], v[7:8], v[15:16]
	scratch_store_b128 off, v[9:12], off offset:384
.LBB113_111:
	s_or_b32 exec_lo, exec_lo, s2
	s_waitcnt_vscnt null, 0x0
	s_barrier
	buffer_gl0_inv
	scratch_load_b128 v[1:4], v167, off
	s_mov_b32 s2, exec_lo
	s_waitcnt vmcnt(0)
	ds_store_b128 v5, v[1:4]
	s_waitcnt lgkmcnt(0)
	s_barrier
	buffer_gl0_inv
	v_cmpx_gt_u32_e32 25, v142
	s_cbranch_execz .LBB113_115
; %bb.112:
	v_dual_mov_b32 v1, 0 :: v_dual_add_nc_u32 v8, 0x320, v13
	v_dual_mov_b32 v2, 0 :: v_dual_add_nc_u32 v7, -1, v142
	v_or_b32_e32 v9, 8, v14
	s_mov_b32 s3, 0
	s_delay_alu instid0(VALU_DEP_2)
	v_dual_mov_b32 v4, v2 :: v_dual_mov_b32 v3, v1
	.p2align	6
.LBB113_113:                            ; =>This Inner Loop Header: Depth=1
	scratch_load_b128 v[15:18], v9, off offset:-8
	ds_load_b128 v[19:22], v8
	v_add_nc_u32_e32 v7, 1, v7
	v_add_nc_u32_e32 v8, 16, v8
	;; [unrolled: 1-line block ×3, first 2 shown]
	s_delay_alu instid0(VALU_DEP_3) | instskip(SKIP_4) | instid1(VALU_DEP_2)
	v_cmp_lt_u32_e32 vcc_lo, 23, v7
	s_or_b32 s3, vcc_lo, s3
	s_waitcnt vmcnt(0) lgkmcnt(0)
	v_mul_f64 v[10:11], v[21:22], v[17:18]
	v_mul_f64 v[17:18], v[19:20], v[17:18]
	v_fma_f64 v[10:11], v[19:20], v[15:16], -v[10:11]
	s_delay_alu instid0(VALU_DEP_2) | instskip(NEXT) | instid1(VALU_DEP_2)
	v_fma_f64 v[15:16], v[21:22], v[15:16], v[17:18]
	v_add_f64 v[3:4], v[3:4], v[10:11]
	s_delay_alu instid0(VALU_DEP_2)
	v_add_f64 v[1:2], v[1:2], v[15:16]
	s_and_not1_b32 exec_lo, exec_lo, s3
	s_cbranch_execnz .LBB113_113
; %bb.114:
	s_or_b32 exec_lo, exec_lo, s3
	v_mov_b32_e32 v7, 0
	ds_load_b128 v[7:10], v7 offset:400
	s_waitcnt lgkmcnt(0)
	v_mul_f64 v[11:12], v[1:2], v[9:10]
	v_mul_f64 v[15:16], v[3:4], v[9:10]
	s_delay_alu instid0(VALU_DEP_2) | instskip(NEXT) | instid1(VALU_DEP_2)
	v_fma_f64 v[9:10], v[3:4], v[7:8], -v[11:12]
	v_fma_f64 v[11:12], v[1:2], v[7:8], v[15:16]
	scratch_store_b128 off, v[9:12], off offset:400
.LBB113_115:
	s_or_b32 exec_lo, exec_lo, s2
	s_waitcnt_vscnt null, 0x0
	s_barrier
	buffer_gl0_inv
	scratch_load_b128 v[1:4], v165, off
	s_mov_b32 s2, exec_lo
	s_waitcnt vmcnt(0)
	ds_store_b128 v5, v[1:4]
	s_waitcnt lgkmcnt(0)
	s_barrier
	buffer_gl0_inv
	v_cmpx_gt_u32_e32 26, v142
	s_cbranch_execz .LBB113_119
; %bb.116:
	v_dual_mov_b32 v1, 0 :: v_dual_add_nc_u32 v8, 0x320, v13
	v_dual_mov_b32 v2, 0 :: v_dual_add_nc_u32 v7, -1, v142
	v_or_b32_e32 v9, 8, v14
	s_mov_b32 s3, 0
	s_delay_alu instid0(VALU_DEP_2)
	v_dual_mov_b32 v4, v2 :: v_dual_mov_b32 v3, v1
	.p2align	6
.LBB113_117:                            ; =>This Inner Loop Header: Depth=1
	scratch_load_b128 v[15:18], v9, off offset:-8
	ds_load_b128 v[19:22], v8
	v_add_nc_u32_e32 v7, 1, v7
	v_add_nc_u32_e32 v8, 16, v8
	;; [unrolled: 1-line block ×3, first 2 shown]
	s_delay_alu instid0(VALU_DEP_3) | instskip(SKIP_4) | instid1(VALU_DEP_2)
	v_cmp_lt_u32_e32 vcc_lo, 24, v7
	s_or_b32 s3, vcc_lo, s3
	s_waitcnt vmcnt(0) lgkmcnt(0)
	v_mul_f64 v[10:11], v[21:22], v[17:18]
	v_mul_f64 v[17:18], v[19:20], v[17:18]
	v_fma_f64 v[10:11], v[19:20], v[15:16], -v[10:11]
	s_delay_alu instid0(VALU_DEP_2) | instskip(NEXT) | instid1(VALU_DEP_2)
	v_fma_f64 v[15:16], v[21:22], v[15:16], v[17:18]
	v_add_f64 v[3:4], v[3:4], v[10:11]
	s_delay_alu instid0(VALU_DEP_2)
	v_add_f64 v[1:2], v[1:2], v[15:16]
	s_and_not1_b32 exec_lo, exec_lo, s3
	s_cbranch_execnz .LBB113_117
; %bb.118:
	s_or_b32 exec_lo, exec_lo, s3
	v_mov_b32_e32 v7, 0
	ds_load_b128 v[7:10], v7 offset:416
	s_waitcnt lgkmcnt(0)
	v_mul_f64 v[11:12], v[1:2], v[9:10]
	v_mul_f64 v[15:16], v[3:4], v[9:10]
	s_delay_alu instid0(VALU_DEP_2) | instskip(NEXT) | instid1(VALU_DEP_2)
	v_fma_f64 v[9:10], v[3:4], v[7:8], -v[11:12]
	v_fma_f64 v[11:12], v[1:2], v[7:8], v[15:16]
	scratch_store_b128 off, v[9:12], off offset:416
.LBB113_119:
	s_or_b32 exec_lo, exec_lo, s2
	s_waitcnt_vscnt null, 0x0
	s_barrier
	buffer_gl0_inv
	scratch_load_b128 v[1:4], v166, off
	s_mov_b32 s2, exec_lo
	s_waitcnt vmcnt(0)
	ds_store_b128 v5, v[1:4]
	s_waitcnt lgkmcnt(0)
	s_barrier
	buffer_gl0_inv
	v_cmpx_gt_u32_e32 27, v142
	s_cbranch_execz .LBB113_123
; %bb.120:
	v_dual_mov_b32 v1, 0 :: v_dual_add_nc_u32 v8, 0x320, v13
	v_dual_mov_b32 v2, 0 :: v_dual_add_nc_u32 v7, -1, v142
	v_or_b32_e32 v9, 8, v14
	s_mov_b32 s3, 0
	s_delay_alu instid0(VALU_DEP_2)
	v_dual_mov_b32 v4, v2 :: v_dual_mov_b32 v3, v1
	.p2align	6
.LBB113_121:                            ; =>This Inner Loop Header: Depth=1
	scratch_load_b128 v[15:18], v9, off offset:-8
	ds_load_b128 v[19:22], v8
	v_add_nc_u32_e32 v7, 1, v7
	v_add_nc_u32_e32 v8, 16, v8
	;; [unrolled: 1-line block ×3, first 2 shown]
	s_delay_alu instid0(VALU_DEP_3) | instskip(SKIP_4) | instid1(VALU_DEP_2)
	v_cmp_lt_u32_e32 vcc_lo, 25, v7
	s_or_b32 s3, vcc_lo, s3
	s_waitcnt vmcnt(0) lgkmcnt(0)
	v_mul_f64 v[10:11], v[21:22], v[17:18]
	v_mul_f64 v[17:18], v[19:20], v[17:18]
	v_fma_f64 v[10:11], v[19:20], v[15:16], -v[10:11]
	s_delay_alu instid0(VALU_DEP_2) | instskip(NEXT) | instid1(VALU_DEP_2)
	v_fma_f64 v[15:16], v[21:22], v[15:16], v[17:18]
	v_add_f64 v[3:4], v[3:4], v[10:11]
	s_delay_alu instid0(VALU_DEP_2)
	v_add_f64 v[1:2], v[1:2], v[15:16]
	s_and_not1_b32 exec_lo, exec_lo, s3
	s_cbranch_execnz .LBB113_121
; %bb.122:
	s_or_b32 exec_lo, exec_lo, s3
	v_mov_b32_e32 v7, 0
	ds_load_b128 v[7:10], v7 offset:432
	s_waitcnt lgkmcnt(0)
	v_mul_f64 v[11:12], v[1:2], v[9:10]
	v_mul_f64 v[15:16], v[3:4], v[9:10]
	s_delay_alu instid0(VALU_DEP_2) | instskip(NEXT) | instid1(VALU_DEP_2)
	v_fma_f64 v[9:10], v[3:4], v[7:8], -v[11:12]
	v_fma_f64 v[11:12], v[1:2], v[7:8], v[15:16]
	scratch_store_b128 off, v[9:12], off offset:432
.LBB113_123:
	s_or_b32 exec_lo, exec_lo, s2
	s_waitcnt_vscnt null, 0x0
	s_barrier
	buffer_gl0_inv
	scratch_load_b128 v[1:4], v164, off
	s_mov_b32 s2, exec_lo
	s_waitcnt vmcnt(0)
	ds_store_b128 v5, v[1:4]
	s_waitcnt lgkmcnt(0)
	s_barrier
	buffer_gl0_inv
	v_cmpx_gt_u32_e32 28, v142
	s_cbranch_execz .LBB113_127
; %bb.124:
	v_dual_mov_b32 v1, 0 :: v_dual_add_nc_u32 v8, 0x320, v13
	v_dual_mov_b32 v2, 0 :: v_dual_add_nc_u32 v7, -1, v142
	v_or_b32_e32 v9, 8, v14
	s_mov_b32 s3, 0
	s_delay_alu instid0(VALU_DEP_2)
	v_dual_mov_b32 v4, v2 :: v_dual_mov_b32 v3, v1
	.p2align	6
.LBB113_125:                            ; =>This Inner Loop Header: Depth=1
	scratch_load_b128 v[15:18], v9, off offset:-8
	ds_load_b128 v[19:22], v8
	v_add_nc_u32_e32 v7, 1, v7
	v_add_nc_u32_e32 v8, 16, v8
	;; [unrolled: 1-line block ×3, first 2 shown]
	s_delay_alu instid0(VALU_DEP_3) | instskip(SKIP_4) | instid1(VALU_DEP_2)
	v_cmp_lt_u32_e32 vcc_lo, 26, v7
	s_or_b32 s3, vcc_lo, s3
	s_waitcnt vmcnt(0) lgkmcnt(0)
	v_mul_f64 v[10:11], v[21:22], v[17:18]
	v_mul_f64 v[17:18], v[19:20], v[17:18]
	v_fma_f64 v[10:11], v[19:20], v[15:16], -v[10:11]
	s_delay_alu instid0(VALU_DEP_2) | instskip(NEXT) | instid1(VALU_DEP_2)
	v_fma_f64 v[15:16], v[21:22], v[15:16], v[17:18]
	v_add_f64 v[3:4], v[3:4], v[10:11]
	s_delay_alu instid0(VALU_DEP_2)
	v_add_f64 v[1:2], v[1:2], v[15:16]
	s_and_not1_b32 exec_lo, exec_lo, s3
	s_cbranch_execnz .LBB113_125
; %bb.126:
	s_or_b32 exec_lo, exec_lo, s3
	v_mov_b32_e32 v7, 0
	ds_load_b128 v[7:10], v7 offset:448
	s_waitcnt lgkmcnt(0)
	v_mul_f64 v[11:12], v[1:2], v[9:10]
	v_mul_f64 v[15:16], v[3:4], v[9:10]
	s_delay_alu instid0(VALU_DEP_2) | instskip(NEXT) | instid1(VALU_DEP_2)
	v_fma_f64 v[9:10], v[3:4], v[7:8], -v[11:12]
	v_fma_f64 v[11:12], v[1:2], v[7:8], v[15:16]
	scratch_store_b128 off, v[9:12], off offset:448
.LBB113_127:
	s_or_b32 exec_lo, exec_lo, s2
	s_waitcnt_vscnt null, 0x0
	s_barrier
	buffer_gl0_inv
	scratch_load_b128 v[1:4], v163, off
	s_mov_b32 s2, exec_lo
	s_waitcnt vmcnt(0)
	ds_store_b128 v5, v[1:4]
	s_waitcnt lgkmcnt(0)
	s_barrier
	buffer_gl0_inv
	v_cmpx_gt_u32_e32 29, v142
	s_cbranch_execz .LBB113_131
; %bb.128:
	v_dual_mov_b32 v1, 0 :: v_dual_add_nc_u32 v8, 0x320, v13
	v_dual_mov_b32 v2, 0 :: v_dual_add_nc_u32 v7, -1, v142
	v_or_b32_e32 v9, 8, v14
	s_mov_b32 s3, 0
	s_delay_alu instid0(VALU_DEP_2)
	v_dual_mov_b32 v4, v2 :: v_dual_mov_b32 v3, v1
	.p2align	6
.LBB113_129:                            ; =>This Inner Loop Header: Depth=1
	scratch_load_b128 v[15:18], v9, off offset:-8
	ds_load_b128 v[19:22], v8
	v_add_nc_u32_e32 v7, 1, v7
	v_add_nc_u32_e32 v8, 16, v8
	;; [unrolled: 1-line block ×3, first 2 shown]
	s_delay_alu instid0(VALU_DEP_3) | instskip(SKIP_4) | instid1(VALU_DEP_2)
	v_cmp_lt_u32_e32 vcc_lo, 27, v7
	s_or_b32 s3, vcc_lo, s3
	s_waitcnt vmcnt(0) lgkmcnt(0)
	v_mul_f64 v[10:11], v[21:22], v[17:18]
	v_mul_f64 v[17:18], v[19:20], v[17:18]
	v_fma_f64 v[10:11], v[19:20], v[15:16], -v[10:11]
	s_delay_alu instid0(VALU_DEP_2) | instskip(NEXT) | instid1(VALU_DEP_2)
	v_fma_f64 v[15:16], v[21:22], v[15:16], v[17:18]
	v_add_f64 v[3:4], v[3:4], v[10:11]
	s_delay_alu instid0(VALU_DEP_2)
	v_add_f64 v[1:2], v[1:2], v[15:16]
	s_and_not1_b32 exec_lo, exec_lo, s3
	s_cbranch_execnz .LBB113_129
; %bb.130:
	s_or_b32 exec_lo, exec_lo, s3
	v_mov_b32_e32 v7, 0
	ds_load_b128 v[7:10], v7 offset:464
	s_waitcnt lgkmcnt(0)
	v_mul_f64 v[11:12], v[1:2], v[9:10]
	v_mul_f64 v[15:16], v[3:4], v[9:10]
	s_delay_alu instid0(VALU_DEP_2) | instskip(NEXT) | instid1(VALU_DEP_2)
	v_fma_f64 v[9:10], v[3:4], v[7:8], -v[11:12]
	v_fma_f64 v[11:12], v[1:2], v[7:8], v[15:16]
	scratch_store_b128 off, v[9:12], off offset:464
.LBB113_131:
	s_or_b32 exec_lo, exec_lo, s2
	s_waitcnt_vscnt null, 0x0
	s_barrier
	buffer_gl0_inv
	scratch_load_b128 v[1:4], v161, off
	s_mov_b32 s2, exec_lo
	s_waitcnt vmcnt(0)
	ds_store_b128 v5, v[1:4]
	s_waitcnt lgkmcnt(0)
	s_barrier
	buffer_gl0_inv
	v_cmpx_gt_u32_e32 30, v142
	s_cbranch_execz .LBB113_135
; %bb.132:
	v_dual_mov_b32 v1, 0 :: v_dual_add_nc_u32 v8, 0x320, v13
	v_dual_mov_b32 v2, 0 :: v_dual_add_nc_u32 v7, -1, v142
	v_or_b32_e32 v9, 8, v14
	s_mov_b32 s3, 0
	s_delay_alu instid0(VALU_DEP_2)
	v_dual_mov_b32 v4, v2 :: v_dual_mov_b32 v3, v1
	.p2align	6
.LBB113_133:                            ; =>This Inner Loop Header: Depth=1
	scratch_load_b128 v[15:18], v9, off offset:-8
	ds_load_b128 v[19:22], v8
	v_add_nc_u32_e32 v7, 1, v7
	v_add_nc_u32_e32 v8, 16, v8
	;; [unrolled: 1-line block ×3, first 2 shown]
	s_delay_alu instid0(VALU_DEP_3) | instskip(SKIP_4) | instid1(VALU_DEP_2)
	v_cmp_lt_u32_e32 vcc_lo, 28, v7
	s_or_b32 s3, vcc_lo, s3
	s_waitcnt vmcnt(0) lgkmcnt(0)
	v_mul_f64 v[10:11], v[21:22], v[17:18]
	v_mul_f64 v[17:18], v[19:20], v[17:18]
	v_fma_f64 v[10:11], v[19:20], v[15:16], -v[10:11]
	s_delay_alu instid0(VALU_DEP_2) | instskip(NEXT) | instid1(VALU_DEP_2)
	v_fma_f64 v[15:16], v[21:22], v[15:16], v[17:18]
	v_add_f64 v[3:4], v[3:4], v[10:11]
	s_delay_alu instid0(VALU_DEP_2)
	v_add_f64 v[1:2], v[1:2], v[15:16]
	s_and_not1_b32 exec_lo, exec_lo, s3
	s_cbranch_execnz .LBB113_133
; %bb.134:
	s_or_b32 exec_lo, exec_lo, s3
	v_mov_b32_e32 v7, 0
	ds_load_b128 v[7:10], v7 offset:480
	s_waitcnt lgkmcnt(0)
	v_mul_f64 v[11:12], v[1:2], v[9:10]
	v_mul_f64 v[15:16], v[3:4], v[9:10]
	s_delay_alu instid0(VALU_DEP_2) | instskip(NEXT) | instid1(VALU_DEP_2)
	v_fma_f64 v[9:10], v[3:4], v[7:8], -v[11:12]
	v_fma_f64 v[11:12], v[1:2], v[7:8], v[15:16]
	scratch_store_b128 off, v[9:12], off offset:480
.LBB113_135:
	s_or_b32 exec_lo, exec_lo, s2
	s_waitcnt_vscnt null, 0x0
	s_barrier
	buffer_gl0_inv
	scratch_load_b128 v[1:4], v162, off
	s_mov_b32 s2, exec_lo
	s_waitcnt vmcnt(0)
	ds_store_b128 v5, v[1:4]
	s_waitcnt lgkmcnt(0)
	s_barrier
	buffer_gl0_inv
	v_cmpx_gt_u32_e32 31, v142
	s_cbranch_execz .LBB113_139
; %bb.136:
	v_dual_mov_b32 v1, 0 :: v_dual_add_nc_u32 v8, 0x320, v13
	v_dual_mov_b32 v2, 0 :: v_dual_add_nc_u32 v7, -1, v142
	v_or_b32_e32 v9, 8, v14
	s_mov_b32 s3, 0
	s_delay_alu instid0(VALU_DEP_2)
	v_dual_mov_b32 v4, v2 :: v_dual_mov_b32 v3, v1
	.p2align	6
.LBB113_137:                            ; =>This Inner Loop Header: Depth=1
	scratch_load_b128 v[15:18], v9, off offset:-8
	ds_load_b128 v[19:22], v8
	v_add_nc_u32_e32 v7, 1, v7
	v_add_nc_u32_e32 v8, 16, v8
	;; [unrolled: 1-line block ×3, first 2 shown]
	s_delay_alu instid0(VALU_DEP_3) | instskip(SKIP_4) | instid1(VALU_DEP_2)
	v_cmp_lt_u32_e32 vcc_lo, 29, v7
	s_or_b32 s3, vcc_lo, s3
	s_waitcnt vmcnt(0) lgkmcnt(0)
	v_mul_f64 v[10:11], v[21:22], v[17:18]
	v_mul_f64 v[17:18], v[19:20], v[17:18]
	v_fma_f64 v[10:11], v[19:20], v[15:16], -v[10:11]
	s_delay_alu instid0(VALU_DEP_2) | instskip(NEXT) | instid1(VALU_DEP_2)
	v_fma_f64 v[15:16], v[21:22], v[15:16], v[17:18]
	v_add_f64 v[3:4], v[3:4], v[10:11]
	s_delay_alu instid0(VALU_DEP_2)
	v_add_f64 v[1:2], v[1:2], v[15:16]
	s_and_not1_b32 exec_lo, exec_lo, s3
	s_cbranch_execnz .LBB113_137
; %bb.138:
	s_or_b32 exec_lo, exec_lo, s3
	v_mov_b32_e32 v7, 0
	ds_load_b128 v[7:10], v7 offset:496
	s_waitcnt lgkmcnt(0)
	v_mul_f64 v[11:12], v[1:2], v[9:10]
	v_mul_f64 v[15:16], v[3:4], v[9:10]
	s_delay_alu instid0(VALU_DEP_2) | instskip(NEXT) | instid1(VALU_DEP_2)
	v_fma_f64 v[9:10], v[3:4], v[7:8], -v[11:12]
	v_fma_f64 v[11:12], v[1:2], v[7:8], v[15:16]
	scratch_store_b128 off, v[9:12], off offset:496
.LBB113_139:
	s_or_b32 exec_lo, exec_lo, s2
	s_waitcnt_vscnt null, 0x0
	s_barrier
	buffer_gl0_inv
	scratch_load_b128 v[1:4], v160, off
	s_mov_b32 s2, exec_lo
	s_waitcnt vmcnt(0)
	ds_store_b128 v5, v[1:4]
	s_waitcnt lgkmcnt(0)
	s_barrier
	buffer_gl0_inv
	v_cmpx_gt_u32_e32 32, v142
	s_cbranch_execz .LBB113_143
; %bb.140:
	v_dual_mov_b32 v1, 0 :: v_dual_add_nc_u32 v8, 0x320, v13
	v_dual_mov_b32 v2, 0 :: v_dual_add_nc_u32 v7, -1, v142
	v_or_b32_e32 v9, 8, v14
	s_mov_b32 s3, 0
	s_delay_alu instid0(VALU_DEP_2)
	v_dual_mov_b32 v4, v2 :: v_dual_mov_b32 v3, v1
	.p2align	6
.LBB113_141:                            ; =>This Inner Loop Header: Depth=1
	scratch_load_b128 v[15:18], v9, off offset:-8
	ds_load_b128 v[19:22], v8
	v_add_nc_u32_e32 v7, 1, v7
	v_add_nc_u32_e32 v8, 16, v8
	;; [unrolled: 1-line block ×3, first 2 shown]
	s_delay_alu instid0(VALU_DEP_3) | instskip(SKIP_4) | instid1(VALU_DEP_2)
	v_cmp_lt_u32_e32 vcc_lo, 30, v7
	s_or_b32 s3, vcc_lo, s3
	s_waitcnt vmcnt(0) lgkmcnt(0)
	v_mul_f64 v[10:11], v[21:22], v[17:18]
	v_mul_f64 v[17:18], v[19:20], v[17:18]
	v_fma_f64 v[10:11], v[19:20], v[15:16], -v[10:11]
	s_delay_alu instid0(VALU_DEP_2) | instskip(NEXT) | instid1(VALU_DEP_2)
	v_fma_f64 v[15:16], v[21:22], v[15:16], v[17:18]
	v_add_f64 v[3:4], v[3:4], v[10:11]
	s_delay_alu instid0(VALU_DEP_2)
	v_add_f64 v[1:2], v[1:2], v[15:16]
	s_and_not1_b32 exec_lo, exec_lo, s3
	s_cbranch_execnz .LBB113_141
; %bb.142:
	s_or_b32 exec_lo, exec_lo, s3
	v_mov_b32_e32 v7, 0
	ds_load_b128 v[7:10], v7 offset:512
	s_waitcnt lgkmcnt(0)
	v_mul_f64 v[11:12], v[1:2], v[9:10]
	v_mul_f64 v[15:16], v[3:4], v[9:10]
	s_delay_alu instid0(VALU_DEP_2) | instskip(NEXT) | instid1(VALU_DEP_2)
	v_fma_f64 v[9:10], v[3:4], v[7:8], -v[11:12]
	v_fma_f64 v[11:12], v[1:2], v[7:8], v[15:16]
	scratch_store_b128 off, v[9:12], off offset:512
.LBB113_143:
	s_or_b32 exec_lo, exec_lo, s2
	s_waitcnt_vscnt null, 0x0
	s_barrier
	buffer_gl0_inv
	scratch_load_b128 v[1:4], v159, off
	s_mov_b32 s2, exec_lo
	s_waitcnt vmcnt(0)
	ds_store_b128 v5, v[1:4]
	s_waitcnt lgkmcnt(0)
	s_barrier
	buffer_gl0_inv
	v_cmpx_gt_u32_e32 33, v142
	s_cbranch_execz .LBB113_147
; %bb.144:
	v_dual_mov_b32 v1, 0 :: v_dual_add_nc_u32 v8, 0x320, v13
	v_dual_mov_b32 v2, 0 :: v_dual_add_nc_u32 v7, -1, v142
	v_or_b32_e32 v9, 8, v14
	s_mov_b32 s3, 0
	s_delay_alu instid0(VALU_DEP_2)
	v_dual_mov_b32 v4, v2 :: v_dual_mov_b32 v3, v1
	.p2align	6
.LBB113_145:                            ; =>This Inner Loop Header: Depth=1
	scratch_load_b128 v[15:18], v9, off offset:-8
	ds_load_b128 v[19:22], v8
	v_add_nc_u32_e32 v7, 1, v7
	v_add_nc_u32_e32 v8, 16, v8
	;; [unrolled: 1-line block ×3, first 2 shown]
	s_delay_alu instid0(VALU_DEP_3) | instskip(SKIP_4) | instid1(VALU_DEP_2)
	v_cmp_lt_u32_e32 vcc_lo, 31, v7
	s_or_b32 s3, vcc_lo, s3
	s_waitcnt vmcnt(0) lgkmcnt(0)
	v_mul_f64 v[10:11], v[21:22], v[17:18]
	v_mul_f64 v[17:18], v[19:20], v[17:18]
	v_fma_f64 v[10:11], v[19:20], v[15:16], -v[10:11]
	s_delay_alu instid0(VALU_DEP_2) | instskip(NEXT) | instid1(VALU_DEP_2)
	v_fma_f64 v[15:16], v[21:22], v[15:16], v[17:18]
	v_add_f64 v[3:4], v[3:4], v[10:11]
	s_delay_alu instid0(VALU_DEP_2)
	v_add_f64 v[1:2], v[1:2], v[15:16]
	s_and_not1_b32 exec_lo, exec_lo, s3
	s_cbranch_execnz .LBB113_145
; %bb.146:
	s_or_b32 exec_lo, exec_lo, s3
	v_mov_b32_e32 v7, 0
	ds_load_b128 v[7:10], v7 offset:528
	s_waitcnt lgkmcnt(0)
	v_mul_f64 v[11:12], v[1:2], v[9:10]
	v_mul_f64 v[15:16], v[3:4], v[9:10]
	s_delay_alu instid0(VALU_DEP_2) | instskip(NEXT) | instid1(VALU_DEP_2)
	v_fma_f64 v[9:10], v[3:4], v[7:8], -v[11:12]
	v_fma_f64 v[11:12], v[1:2], v[7:8], v[15:16]
	scratch_store_b128 off, v[9:12], off offset:528
.LBB113_147:
	s_or_b32 exec_lo, exec_lo, s2
	s_waitcnt_vscnt null, 0x0
	s_barrier
	buffer_gl0_inv
	scratch_load_b128 v[1:4], v157, off
	s_mov_b32 s2, exec_lo
	s_waitcnt vmcnt(0)
	ds_store_b128 v5, v[1:4]
	s_waitcnt lgkmcnt(0)
	s_barrier
	buffer_gl0_inv
	v_cmpx_gt_u32_e32 34, v142
	s_cbranch_execz .LBB113_151
; %bb.148:
	v_dual_mov_b32 v1, 0 :: v_dual_add_nc_u32 v8, 0x320, v13
	v_dual_mov_b32 v2, 0 :: v_dual_add_nc_u32 v7, -1, v142
	v_or_b32_e32 v9, 8, v14
	s_mov_b32 s3, 0
	s_delay_alu instid0(VALU_DEP_2)
	v_dual_mov_b32 v4, v2 :: v_dual_mov_b32 v3, v1
	.p2align	6
.LBB113_149:                            ; =>This Inner Loop Header: Depth=1
	scratch_load_b128 v[15:18], v9, off offset:-8
	ds_load_b128 v[19:22], v8
	v_add_nc_u32_e32 v7, 1, v7
	v_add_nc_u32_e32 v8, 16, v8
	;; [unrolled: 1-line block ×3, first 2 shown]
	s_delay_alu instid0(VALU_DEP_3) | instskip(SKIP_4) | instid1(VALU_DEP_2)
	v_cmp_lt_u32_e32 vcc_lo, 32, v7
	s_or_b32 s3, vcc_lo, s3
	s_waitcnt vmcnt(0) lgkmcnt(0)
	v_mul_f64 v[10:11], v[21:22], v[17:18]
	v_mul_f64 v[17:18], v[19:20], v[17:18]
	v_fma_f64 v[10:11], v[19:20], v[15:16], -v[10:11]
	s_delay_alu instid0(VALU_DEP_2) | instskip(NEXT) | instid1(VALU_DEP_2)
	v_fma_f64 v[15:16], v[21:22], v[15:16], v[17:18]
	v_add_f64 v[3:4], v[3:4], v[10:11]
	s_delay_alu instid0(VALU_DEP_2)
	v_add_f64 v[1:2], v[1:2], v[15:16]
	s_and_not1_b32 exec_lo, exec_lo, s3
	s_cbranch_execnz .LBB113_149
; %bb.150:
	s_or_b32 exec_lo, exec_lo, s3
	v_mov_b32_e32 v7, 0
	ds_load_b128 v[7:10], v7 offset:544
	s_waitcnt lgkmcnt(0)
	v_mul_f64 v[11:12], v[1:2], v[9:10]
	v_mul_f64 v[15:16], v[3:4], v[9:10]
	s_delay_alu instid0(VALU_DEP_2) | instskip(NEXT) | instid1(VALU_DEP_2)
	v_fma_f64 v[9:10], v[3:4], v[7:8], -v[11:12]
	v_fma_f64 v[11:12], v[1:2], v[7:8], v[15:16]
	scratch_store_b128 off, v[9:12], off offset:544
.LBB113_151:
	s_or_b32 exec_lo, exec_lo, s2
	s_waitcnt_vscnt null, 0x0
	s_barrier
	buffer_gl0_inv
	scratch_load_b128 v[1:4], v158, off
	s_mov_b32 s2, exec_lo
	s_waitcnt vmcnt(0)
	ds_store_b128 v5, v[1:4]
	s_waitcnt lgkmcnt(0)
	s_barrier
	buffer_gl0_inv
	v_cmpx_gt_u32_e32 35, v142
	s_cbranch_execz .LBB113_155
; %bb.152:
	v_dual_mov_b32 v1, 0 :: v_dual_add_nc_u32 v8, 0x320, v13
	v_dual_mov_b32 v2, 0 :: v_dual_add_nc_u32 v7, -1, v142
	v_or_b32_e32 v9, 8, v14
	s_mov_b32 s3, 0
	s_delay_alu instid0(VALU_DEP_2)
	v_dual_mov_b32 v4, v2 :: v_dual_mov_b32 v3, v1
	.p2align	6
.LBB113_153:                            ; =>This Inner Loop Header: Depth=1
	scratch_load_b128 v[15:18], v9, off offset:-8
	ds_load_b128 v[19:22], v8
	v_add_nc_u32_e32 v7, 1, v7
	v_add_nc_u32_e32 v8, 16, v8
	;; [unrolled: 1-line block ×3, first 2 shown]
	s_delay_alu instid0(VALU_DEP_3) | instskip(SKIP_4) | instid1(VALU_DEP_2)
	v_cmp_lt_u32_e32 vcc_lo, 33, v7
	s_or_b32 s3, vcc_lo, s3
	s_waitcnt vmcnt(0) lgkmcnt(0)
	v_mul_f64 v[10:11], v[21:22], v[17:18]
	v_mul_f64 v[17:18], v[19:20], v[17:18]
	v_fma_f64 v[10:11], v[19:20], v[15:16], -v[10:11]
	s_delay_alu instid0(VALU_DEP_2) | instskip(NEXT) | instid1(VALU_DEP_2)
	v_fma_f64 v[15:16], v[21:22], v[15:16], v[17:18]
	v_add_f64 v[3:4], v[3:4], v[10:11]
	s_delay_alu instid0(VALU_DEP_2)
	v_add_f64 v[1:2], v[1:2], v[15:16]
	s_and_not1_b32 exec_lo, exec_lo, s3
	s_cbranch_execnz .LBB113_153
; %bb.154:
	s_or_b32 exec_lo, exec_lo, s3
	v_mov_b32_e32 v7, 0
	ds_load_b128 v[7:10], v7 offset:560
	s_waitcnt lgkmcnt(0)
	v_mul_f64 v[11:12], v[1:2], v[9:10]
	v_mul_f64 v[15:16], v[3:4], v[9:10]
	s_delay_alu instid0(VALU_DEP_2) | instskip(NEXT) | instid1(VALU_DEP_2)
	v_fma_f64 v[9:10], v[3:4], v[7:8], -v[11:12]
	v_fma_f64 v[11:12], v[1:2], v[7:8], v[15:16]
	scratch_store_b128 off, v[9:12], off offset:560
.LBB113_155:
	s_or_b32 exec_lo, exec_lo, s2
	s_waitcnt_vscnt null, 0x0
	s_barrier
	buffer_gl0_inv
	scratch_load_b128 v[1:4], v155, off
	s_mov_b32 s2, exec_lo
	s_waitcnt vmcnt(0)
	ds_store_b128 v5, v[1:4]
	s_waitcnt lgkmcnt(0)
	s_barrier
	buffer_gl0_inv
	v_cmpx_gt_u32_e32 36, v142
	s_cbranch_execz .LBB113_159
; %bb.156:
	v_dual_mov_b32 v1, 0 :: v_dual_add_nc_u32 v8, 0x320, v13
	v_dual_mov_b32 v2, 0 :: v_dual_add_nc_u32 v7, -1, v142
	v_or_b32_e32 v9, 8, v14
	s_mov_b32 s3, 0
	s_delay_alu instid0(VALU_DEP_2)
	v_dual_mov_b32 v4, v2 :: v_dual_mov_b32 v3, v1
	.p2align	6
.LBB113_157:                            ; =>This Inner Loop Header: Depth=1
	scratch_load_b128 v[15:18], v9, off offset:-8
	ds_load_b128 v[19:22], v8
	v_add_nc_u32_e32 v7, 1, v7
	v_add_nc_u32_e32 v8, 16, v8
	;; [unrolled: 1-line block ×3, first 2 shown]
	s_delay_alu instid0(VALU_DEP_3) | instskip(SKIP_4) | instid1(VALU_DEP_2)
	v_cmp_lt_u32_e32 vcc_lo, 34, v7
	s_or_b32 s3, vcc_lo, s3
	s_waitcnt vmcnt(0) lgkmcnt(0)
	v_mul_f64 v[10:11], v[21:22], v[17:18]
	v_mul_f64 v[17:18], v[19:20], v[17:18]
	v_fma_f64 v[10:11], v[19:20], v[15:16], -v[10:11]
	s_delay_alu instid0(VALU_DEP_2) | instskip(NEXT) | instid1(VALU_DEP_2)
	v_fma_f64 v[15:16], v[21:22], v[15:16], v[17:18]
	v_add_f64 v[3:4], v[3:4], v[10:11]
	s_delay_alu instid0(VALU_DEP_2)
	v_add_f64 v[1:2], v[1:2], v[15:16]
	s_and_not1_b32 exec_lo, exec_lo, s3
	s_cbranch_execnz .LBB113_157
; %bb.158:
	s_or_b32 exec_lo, exec_lo, s3
	v_mov_b32_e32 v7, 0
	ds_load_b128 v[7:10], v7 offset:576
	s_waitcnt lgkmcnt(0)
	v_mul_f64 v[11:12], v[1:2], v[9:10]
	v_mul_f64 v[15:16], v[3:4], v[9:10]
	s_delay_alu instid0(VALU_DEP_2) | instskip(NEXT) | instid1(VALU_DEP_2)
	v_fma_f64 v[9:10], v[3:4], v[7:8], -v[11:12]
	v_fma_f64 v[11:12], v[1:2], v[7:8], v[15:16]
	scratch_store_b128 off, v[9:12], off offset:576
.LBB113_159:
	s_or_b32 exec_lo, exec_lo, s2
	s_waitcnt_vscnt null, 0x0
	s_barrier
	buffer_gl0_inv
	scratch_load_b128 v[1:4], v154, off
	s_mov_b32 s2, exec_lo
	s_waitcnt vmcnt(0)
	ds_store_b128 v5, v[1:4]
	s_waitcnt lgkmcnt(0)
	s_barrier
	buffer_gl0_inv
	v_cmpx_gt_u32_e32 37, v142
	s_cbranch_execz .LBB113_163
; %bb.160:
	v_dual_mov_b32 v1, 0 :: v_dual_add_nc_u32 v8, 0x320, v13
	v_dual_mov_b32 v2, 0 :: v_dual_add_nc_u32 v7, -1, v142
	v_or_b32_e32 v9, 8, v14
	s_mov_b32 s3, 0
	s_delay_alu instid0(VALU_DEP_2)
	v_dual_mov_b32 v4, v2 :: v_dual_mov_b32 v3, v1
	.p2align	6
.LBB113_161:                            ; =>This Inner Loop Header: Depth=1
	scratch_load_b128 v[15:18], v9, off offset:-8
	ds_load_b128 v[19:22], v8
	v_add_nc_u32_e32 v7, 1, v7
	v_add_nc_u32_e32 v8, 16, v8
	v_add_nc_u32_e32 v9, 16, v9
	s_delay_alu instid0(VALU_DEP_3) | instskip(SKIP_4) | instid1(VALU_DEP_2)
	v_cmp_lt_u32_e32 vcc_lo, 35, v7
	s_or_b32 s3, vcc_lo, s3
	s_waitcnt vmcnt(0) lgkmcnt(0)
	v_mul_f64 v[10:11], v[21:22], v[17:18]
	v_mul_f64 v[17:18], v[19:20], v[17:18]
	v_fma_f64 v[10:11], v[19:20], v[15:16], -v[10:11]
	s_delay_alu instid0(VALU_DEP_2) | instskip(NEXT) | instid1(VALU_DEP_2)
	v_fma_f64 v[15:16], v[21:22], v[15:16], v[17:18]
	v_add_f64 v[3:4], v[3:4], v[10:11]
	s_delay_alu instid0(VALU_DEP_2)
	v_add_f64 v[1:2], v[1:2], v[15:16]
	s_and_not1_b32 exec_lo, exec_lo, s3
	s_cbranch_execnz .LBB113_161
; %bb.162:
	s_or_b32 exec_lo, exec_lo, s3
	v_mov_b32_e32 v7, 0
	ds_load_b128 v[7:10], v7 offset:592
	s_waitcnt lgkmcnt(0)
	v_mul_f64 v[11:12], v[1:2], v[9:10]
	v_mul_f64 v[15:16], v[3:4], v[9:10]
	s_delay_alu instid0(VALU_DEP_2) | instskip(NEXT) | instid1(VALU_DEP_2)
	v_fma_f64 v[9:10], v[3:4], v[7:8], -v[11:12]
	v_fma_f64 v[11:12], v[1:2], v[7:8], v[15:16]
	scratch_store_b128 off, v[9:12], off offset:592
.LBB113_163:
	s_or_b32 exec_lo, exec_lo, s2
	s_waitcnt_vscnt null, 0x0
	s_barrier
	buffer_gl0_inv
	scratch_load_b128 v[1:4], v146, off
	s_mov_b32 s2, exec_lo
	s_waitcnt vmcnt(0)
	ds_store_b128 v5, v[1:4]
	s_waitcnt lgkmcnt(0)
	s_barrier
	buffer_gl0_inv
	v_cmpx_gt_u32_e32 38, v142
	s_cbranch_execz .LBB113_167
; %bb.164:
	v_dual_mov_b32 v1, 0 :: v_dual_add_nc_u32 v8, 0x320, v13
	v_dual_mov_b32 v2, 0 :: v_dual_add_nc_u32 v7, -1, v142
	v_or_b32_e32 v9, 8, v14
	s_mov_b32 s3, 0
	s_delay_alu instid0(VALU_DEP_2)
	v_dual_mov_b32 v4, v2 :: v_dual_mov_b32 v3, v1
	.p2align	6
.LBB113_165:                            ; =>This Inner Loop Header: Depth=1
	scratch_load_b128 v[15:18], v9, off offset:-8
	ds_load_b128 v[19:22], v8
	v_add_nc_u32_e32 v7, 1, v7
	v_add_nc_u32_e32 v8, 16, v8
	;; [unrolled: 1-line block ×3, first 2 shown]
	s_delay_alu instid0(VALU_DEP_3) | instskip(SKIP_4) | instid1(VALU_DEP_2)
	v_cmp_lt_u32_e32 vcc_lo, 36, v7
	s_or_b32 s3, vcc_lo, s3
	s_waitcnt vmcnt(0) lgkmcnt(0)
	v_mul_f64 v[10:11], v[21:22], v[17:18]
	v_mul_f64 v[17:18], v[19:20], v[17:18]
	v_fma_f64 v[10:11], v[19:20], v[15:16], -v[10:11]
	s_delay_alu instid0(VALU_DEP_2) | instskip(NEXT) | instid1(VALU_DEP_2)
	v_fma_f64 v[15:16], v[21:22], v[15:16], v[17:18]
	v_add_f64 v[3:4], v[3:4], v[10:11]
	s_delay_alu instid0(VALU_DEP_2)
	v_add_f64 v[1:2], v[1:2], v[15:16]
	s_and_not1_b32 exec_lo, exec_lo, s3
	s_cbranch_execnz .LBB113_165
; %bb.166:
	s_or_b32 exec_lo, exec_lo, s3
	v_mov_b32_e32 v7, 0
	ds_load_b128 v[7:10], v7 offset:608
	s_waitcnt lgkmcnt(0)
	v_mul_f64 v[11:12], v[1:2], v[9:10]
	v_mul_f64 v[15:16], v[3:4], v[9:10]
	s_delay_alu instid0(VALU_DEP_2) | instskip(NEXT) | instid1(VALU_DEP_2)
	v_fma_f64 v[9:10], v[3:4], v[7:8], -v[11:12]
	v_fma_f64 v[11:12], v[1:2], v[7:8], v[15:16]
	scratch_store_b128 off, v[9:12], off offset:608
.LBB113_167:
	s_or_b32 exec_lo, exec_lo, s2
	s_waitcnt_vscnt null, 0x0
	s_barrier
	buffer_gl0_inv
	scratch_load_b128 v[1:4], v147, off
	s_mov_b32 s2, exec_lo
	s_waitcnt vmcnt(0)
	ds_store_b128 v5, v[1:4]
	s_waitcnt lgkmcnt(0)
	s_barrier
	buffer_gl0_inv
	v_cmpx_gt_u32_e32 39, v142
	s_cbranch_execz .LBB113_171
; %bb.168:
	v_dual_mov_b32 v1, 0 :: v_dual_add_nc_u32 v8, 0x320, v13
	v_dual_mov_b32 v2, 0 :: v_dual_add_nc_u32 v7, -1, v142
	v_or_b32_e32 v9, 8, v14
	s_mov_b32 s3, 0
	s_delay_alu instid0(VALU_DEP_2)
	v_dual_mov_b32 v4, v2 :: v_dual_mov_b32 v3, v1
	.p2align	6
.LBB113_169:                            ; =>This Inner Loop Header: Depth=1
	scratch_load_b128 v[15:18], v9, off offset:-8
	ds_load_b128 v[19:22], v8
	v_add_nc_u32_e32 v7, 1, v7
	v_add_nc_u32_e32 v8, 16, v8
	;; [unrolled: 1-line block ×3, first 2 shown]
	s_delay_alu instid0(VALU_DEP_3) | instskip(SKIP_4) | instid1(VALU_DEP_2)
	v_cmp_lt_u32_e32 vcc_lo, 37, v7
	s_or_b32 s3, vcc_lo, s3
	s_waitcnt vmcnt(0) lgkmcnt(0)
	v_mul_f64 v[10:11], v[21:22], v[17:18]
	v_mul_f64 v[17:18], v[19:20], v[17:18]
	v_fma_f64 v[10:11], v[19:20], v[15:16], -v[10:11]
	s_delay_alu instid0(VALU_DEP_2) | instskip(NEXT) | instid1(VALU_DEP_2)
	v_fma_f64 v[15:16], v[21:22], v[15:16], v[17:18]
	v_add_f64 v[3:4], v[3:4], v[10:11]
	s_delay_alu instid0(VALU_DEP_2)
	v_add_f64 v[1:2], v[1:2], v[15:16]
	s_and_not1_b32 exec_lo, exec_lo, s3
	s_cbranch_execnz .LBB113_169
; %bb.170:
	s_or_b32 exec_lo, exec_lo, s3
	v_mov_b32_e32 v7, 0
	ds_load_b128 v[7:10], v7 offset:624
	s_waitcnt lgkmcnt(0)
	v_mul_f64 v[11:12], v[1:2], v[9:10]
	v_mul_f64 v[15:16], v[3:4], v[9:10]
	s_delay_alu instid0(VALU_DEP_2) | instskip(NEXT) | instid1(VALU_DEP_2)
	v_fma_f64 v[9:10], v[3:4], v[7:8], -v[11:12]
	v_fma_f64 v[11:12], v[1:2], v[7:8], v[15:16]
	scratch_store_b128 off, v[9:12], off offset:624
.LBB113_171:
	s_or_b32 exec_lo, exec_lo, s2
	s_waitcnt_vscnt null, 0x0
	s_barrier
	buffer_gl0_inv
	scratch_load_b128 v[1:4], v145, off
	s_mov_b32 s2, exec_lo
	s_waitcnt vmcnt(0)
	ds_store_b128 v5, v[1:4]
	s_waitcnt lgkmcnt(0)
	s_barrier
	buffer_gl0_inv
	v_cmpx_gt_u32_e32 40, v142
	s_cbranch_execz .LBB113_175
; %bb.172:
	v_dual_mov_b32 v1, 0 :: v_dual_add_nc_u32 v8, 0x320, v13
	v_dual_mov_b32 v2, 0 :: v_dual_add_nc_u32 v7, -1, v142
	v_or_b32_e32 v9, 8, v14
	s_mov_b32 s3, 0
	s_delay_alu instid0(VALU_DEP_2)
	v_dual_mov_b32 v4, v2 :: v_dual_mov_b32 v3, v1
	.p2align	6
.LBB113_173:                            ; =>This Inner Loop Header: Depth=1
	scratch_load_b128 v[15:18], v9, off offset:-8
	ds_load_b128 v[19:22], v8
	v_add_nc_u32_e32 v7, 1, v7
	v_add_nc_u32_e32 v8, 16, v8
	;; [unrolled: 1-line block ×3, first 2 shown]
	s_delay_alu instid0(VALU_DEP_3) | instskip(SKIP_4) | instid1(VALU_DEP_2)
	v_cmp_lt_u32_e32 vcc_lo, 38, v7
	s_or_b32 s3, vcc_lo, s3
	s_waitcnt vmcnt(0) lgkmcnt(0)
	v_mul_f64 v[10:11], v[21:22], v[17:18]
	v_mul_f64 v[17:18], v[19:20], v[17:18]
	v_fma_f64 v[10:11], v[19:20], v[15:16], -v[10:11]
	s_delay_alu instid0(VALU_DEP_2) | instskip(NEXT) | instid1(VALU_DEP_2)
	v_fma_f64 v[15:16], v[21:22], v[15:16], v[17:18]
	v_add_f64 v[3:4], v[3:4], v[10:11]
	s_delay_alu instid0(VALU_DEP_2)
	v_add_f64 v[1:2], v[1:2], v[15:16]
	s_and_not1_b32 exec_lo, exec_lo, s3
	s_cbranch_execnz .LBB113_173
; %bb.174:
	s_or_b32 exec_lo, exec_lo, s3
	v_mov_b32_e32 v7, 0
	ds_load_b128 v[7:10], v7 offset:640
	s_waitcnt lgkmcnt(0)
	v_mul_f64 v[11:12], v[1:2], v[9:10]
	v_mul_f64 v[15:16], v[3:4], v[9:10]
	s_delay_alu instid0(VALU_DEP_2) | instskip(NEXT) | instid1(VALU_DEP_2)
	v_fma_f64 v[9:10], v[3:4], v[7:8], -v[11:12]
	v_fma_f64 v[11:12], v[1:2], v[7:8], v[15:16]
	scratch_store_b128 off, v[9:12], off offset:640
.LBB113_175:
	s_or_b32 exec_lo, exec_lo, s2
	s_waitcnt_vscnt null, 0x0
	s_barrier
	buffer_gl0_inv
	scratch_load_b128 v[1:4], v144, off
	s_mov_b32 s2, exec_lo
	s_waitcnt vmcnt(0)
	ds_store_b128 v5, v[1:4]
	s_waitcnt lgkmcnt(0)
	s_barrier
	buffer_gl0_inv
	v_cmpx_gt_u32_e32 41, v142
	s_cbranch_execz .LBB113_179
; %bb.176:
	v_dual_mov_b32 v1, 0 :: v_dual_add_nc_u32 v8, 0x320, v13
	v_dual_mov_b32 v2, 0 :: v_dual_add_nc_u32 v7, -1, v142
	v_or_b32_e32 v9, 8, v14
	s_mov_b32 s3, 0
	s_delay_alu instid0(VALU_DEP_2)
	v_dual_mov_b32 v4, v2 :: v_dual_mov_b32 v3, v1
	.p2align	6
.LBB113_177:                            ; =>This Inner Loop Header: Depth=1
	scratch_load_b128 v[15:18], v9, off offset:-8
	ds_load_b128 v[19:22], v8
	v_add_nc_u32_e32 v7, 1, v7
	v_add_nc_u32_e32 v8, 16, v8
	;; [unrolled: 1-line block ×3, first 2 shown]
	s_delay_alu instid0(VALU_DEP_3) | instskip(SKIP_4) | instid1(VALU_DEP_2)
	v_cmp_lt_u32_e32 vcc_lo, 39, v7
	s_or_b32 s3, vcc_lo, s3
	s_waitcnt vmcnt(0) lgkmcnt(0)
	v_mul_f64 v[10:11], v[21:22], v[17:18]
	v_mul_f64 v[17:18], v[19:20], v[17:18]
	v_fma_f64 v[10:11], v[19:20], v[15:16], -v[10:11]
	s_delay_alu instid0(VALU_DEP_2) | instskip(NEXT) | instid1(VALU_DEP_2)
	v_fma_f64 v[15:16], v[21:22], v[15:16], v[17:18]
	v_add_f64 v[3:4], v[3:4], v[10:11]
	s_delay_alu instid0(VALU_DEP_2)
	v_add_f64 v[1:2], v[1:2], v[15:16]
	s_and_not1_b32 exec_lo, exec_lo, s3
	s_cbranch_execnz .LBB113_177
; %bb.178:
	s_or_b32 exec_lo, exec_lo, s3
	v_mov_b32_e32 v7, 0
	ds_load_b128 v[7:10], v7 offset:656
	s_waitcnt lgkmcnt(0)
	v_mul_f64 v[11:12], v[1:2], v[9:10]
	v_mul_f64 v[15:16], v[3:4], v[9:10]
	s_delay_alu instid0(VALU_DEP_2) | instskip(NEXT) | instid1(VALU_DEP_2)
	v_fma_f64 v[9:10], v[3:4], v[7:8], -v[11:12]
	v_fma_f64 v[11:12], v[1:2], v[7:8], v[15:16]
	scratch_store_b128 off, v[9:12], off offset:656
.LBB113_179:
	s_or_b32 exec_lo, exec_lo, s2
	s_waitcnt_vscnt null, 0x0
	s_barrier
	buffer_gl0_inv
	scratch_load_b128 v[1:4], v143, off
	s_mov_b32 s2, exec_lo
	s_waitcnt vmcnt(0)
	ds_store_b128 v5, v[1:4]
	s_waitcnt lgkmcnt(0)
	s_barrier
	buffer_gl0_inv
	v_cmpx_gt_u32_e32 42, v142
	s_cbranch_execz .LBB113_183
; %bb.180:
	v_dual_mov_b32 v1, 0 :: v_dual_add_nc_u32 v8, 0x320, v13
	v_dual_mov_b32 v2, 0 :: v_dual_add_nc_u32 v7, -1, v142
	v_or_b32_e32 v9, 8, v14
	s_mov_b32 s3, 0
	s_delay_alu instid0(VALU_DEP_2)
	v_dual_mov_b32 v4, v2 :: v_dual_mov_b32 v3, v1
	.p2align	6
.LBB113_181:                            ; =>This Inner Loop Header: Depth=1
	scratch_load_b128 v[15:18], v9, off offset:-8
	ds_load_b128 v[19:22], v8
	v_add_nc_u32_e32 v7, 1, v7
	v_add_nc_u32_e32 v8, 16, v8
	v_add_nc_u32_e32 v9, 16, v9
	s_delay_alu instid0(VALU_DEP_3) | instskip(SKIP_4) | instid1(VALU_DEP_2)
	v_cmp_lt_u32_e32 vcc_lo, 40, v7
	s_or_b32 s3, vcc_lo, s3
	s_waitcnt vmcnt(0) lgkmcnt(0)
	v_mul_f64 v[10:11], v[21:22], v[17:18]
	v_mul_f64 v[17:18], v[19:20], v[17:18]
	v_fma_f64 v[10:11], v[19:20], v[15:16], -v[10:11]
	s_delay_alu instid0(VALU_DEP_2) | instskip(NEXT) | instid1(VALU_DEP_2)
	v_fma_f64 v[15:16], v[21:22], v[15:16], v[17:18]
	v_add_f64 v[3:4], v[3:4], v[10:11]
	s_delay_alu instid0(VALU_DEP_2)
	v_add_f64 v[1:2], v[1:2], v[15:16]
	s_and_not1_b32 exec_lo, exec_lo, s3
	s_cbranch_execnz .LBB113_181
; %bb.182:
	s_or_b32 exec_lo, exec_lo, s3
	v_mov_b32_e32 v7, 0
	ds_load_b128 v[7:10], v7 offset:672
	s_waitcnt lgkmcnt(0)
	v_mul_f64 v[11:12], v[1:2], v[9:10]
	v_mul_f64 v[15:16], v[3:4], v[9:10]
	s_delay_alu instid0(VALU_DEP_2) | instskip(NEXT) | instid1(VALU_DEP_2)
	v_fma_f64 v[9:10], v[3:4], v[7:8], -v[11:12]
	v_fma_f64 v[11:12], v[1:2], v[7:8], v[15:16]
	scratch_store_b128 off, v[9:12], off offset:672
.LBB113_183:
	s_or_b32 exec_lo, exec_lo, s2
	s_waitcnt_vscnt null, 0x0
	s_barrier
	buffer_gl0_inv
	scratch_load_b128 v[1:4], v156, off
	s_mov_b32 s2, exec_lo
	s_waitcnt vmcnt(0)
	ds_store_b128 v5, v[1:4]
	s_waitcnt lgkmcnt(0)
	s_barrier
	buffer_gl0_inv
	v_cmpx_gt_u32_e32 43, v142
	s_cbranch_execz .LBB113_187
; %bb.184:
	v_dual_mov_b32 v1, 0 :: v_dual_add_nc_u32 v8, 0x320, v13
	v_dual_mov_b32 v2, 0 :: v_dual_add_nc_u32 v7, -1, v142
	v_or_b32_e32 v9, 8, v14
	s_mov_b32 s3, 0
	s_delay_alu instid0(VALU_DEP_2)
	v_dual_mov_b32 v4, v2 :: v_dual_mov_b32 v3, v1
	.p2align	6
.LBB113_185:                            ; =>This Inner Loop Header: Depth=1
	scratch_load_b128 v[15:18], v9, off offset:-8
	ds_load_b128 v[19:22], v8
	v_add_nc_u32_e32 v7, 1, v7
	v_add_nc_u32_e32 v8, 16, v8
	;; [unrolled: 1-line block ×3, first 2 shown]
	s_delay_alu instid0(VALU_DEP_3) | instskip(SKIP_4) | instid1(VALU_DEP_2)
	v_cmp_lt_u32_e32 vcc_lo, 41, v7
	s_or_b32 s3, vcc_lo, s3
	s_waitcnt vmcnt(0) lgkmcnt(0)
	v_mul_f64 v[10:11], v[21:22], v[17:18]
	v_mul_f64 v[17:18], v[19:20], v[17:18]
	v_fma_f64 v[10:11], v[19:20], v[15:16], -v[10:11]
	s_delay_alu instid0(VALU_DEP_2) | instskip(NEXT) | instid1(VALU_DEP_2)
	v_fma_f64 v[15:16], v[21:22], v[15:16], v[17:18]
	v_add_f64 v[3:4], v[3:4], v[10:11]
	s_delay_alu instid0(VALU_DEP_2)
	v_add_f64 v[1:2], v[1:2], v[15:16]
	s_and_not1_b32 exec_lo, exec_lo, s3
	s_cbranch_execnz .LBB113_185
; %bb.186:
	s_or_b32 exec_lo, exec_lo, s3
	v_mov_b32_e32 v7, 0
	ds_load_b128 v[7:10], v7 offset:688
	s_waitcnt lgkmcnt(0)
	v_mul_f64 v[11:12], v[1:2], v[9:10]
	v_mul_f64 v[15:16], v[3:4], v[9:10]
	s_delay_alu instid0(VALU_DEP_2) | instskip(NEXT) | instid1(VALU_DEP_2)
	v_fma_f64 v[9:10], v[3:4], v[7:8], -v[11:12]
	v_fma_f64 v[11:12], v[1:2], v[7:8], v[15:16]
	scratch_store_b128 off, v[9:12], off offset:688
.LBB113_187:
	s_or_b32 exec_lo, exec_lo, s2
	s_waitcnt_vscnt null, 0x0
	s_barrier
	buffer_gl0_inv
	scratch_load_b128 v[1:4], v153, off
	s_mov_b32 s2, exec_lo
	s_waitcnt vmcnt(0)
	ds_store_b128 v5, v[1:4]
	s_waitcnt lgkmcnt(0)
	s_barrier
	buffer_gl0_inv
	v_cmpx_gt_u32_e32 44, v142
	s_cbranch_execz .LBB113_191
; %bb.188:
	v_dual_mov_b32 v1, 0 :: v_dual_add_nc_u32 v8, 0x320, v13
	v_dual_mov_b32 v2, 0 :: v_dual_add_nc_u32 v7, -1, v142
	v_or_b32_e32 v9, 8, v14
	s_mov_b32 s3, 0
	s_delay_alu instid0(VALU_DEP_2)
	v_dual_mov_b32 v4, v2 :: v_dual_mov_b32 v3, v1
	.p2align	6
.LBB113_189:                            ; =>This Inner Loop Header: Depth=1
	scratch_load_b128 v[15:18], v9, off offset:-8
	ds_load_b128 v[19:22], v8
	v_add_nc_u32_e32 v7, 1, v7
	v_add_nc_u32_e32 v8, 16, v8
	;; [unrolled: 1-line block ×3, first 2 shown]
	s_delay_alu instid0(VALU_DEP_3) | instskip(SKIP_4) | instid1(VALU_DEP_2)
	v_cmp_lt_u32_e32 vcc_lo, 42, v7
	s_or_b32 s3, vcc_lo, s3
	s_waitcnt vmcnt(0) lgkmcnt(0)
	v_mul_f64 v[10:11], v[21:22], v[17:18]
	v_mul_f64 v[17:18], v[19:20], v[17:18]
	v_fma_f64 v[10:11], v[19:20], v[15:16], -v[10:11]
	s_delay_alu instid0(VALU_DEP_2) | instskip(NEXT) | instid1(VALU_DEP_2)
	v_fma_f64 v[15:16], v[21:22], v[15:16], v[17:18]
	v_add_f64 v[3:4], v[3:4], v[10:11]
	s_delay_alu instid0(VALU_DEP_2)
	v_add_f64 v[1:2], v[1:2], v[15:16]
	s_and_not1_b32 exec_lo, exec_lo, s3
	s_cbranch_execnz .LBB113_189
; %bb.190:
	s_or_b32 exec_lo, exec_lo, s3
	v_mov_b32_e32 v7, 0
	ds_load_b128 v[7:10], v7 offset:704
	s_waitcnt lgkmcnt(0)
	v_mul_f64 v[11:12], v[1:2], v[9:10]
	v_mul_f64 v[15:16], v[3:4], v[9:10]
	s_delay_alu instid0(VALU_DEP_2) | instskip(NEXT) | instid1(VALU_DEP_2)
	v_fma_f64 v[9:10], v[3:4], v[7:8], -v[11:12]
	v_fma_f64 v[11:12], v[1:2], v[7:8], v[15:16]
	scratch_store_b128 off, v[9:12], off offset:704
.LBB113_191:
	s_or_b32 exec_lo, exec_lo, s2
	s_waitcnt_vscnt null, 0x0
	s_barrier
	buffer_gl0_inv
	scratch_load_b128 v[1:4], v152, off
	s_mov_b32 s2, exec_lo
	s_waitcnt vmcnt(0)
	ds_store_b128 v5, v[1:4]
	s_waitcnt lgkmcnt(0)
	s_barrier
	buffer_gl0_inv
	v_cmpx_gt_u32_e32 45, v142
	s_cbranch_execz .LBB113_195
; %bb.192:
	v_dual_mov_b32 v1, 0 :: v_dual_add_nc_u32 v8, 0x320, v13
	v_dual_mov_b32 v2, 0 :: v_dual_add_nc_u32 v7, -1, v142
	v_or_b32_e32 v9, 8, v14
	s_mov_b32 s3, 0
	s_delay_alu instid0(VALU_DEP_2)
	v_dual_mov_b32 v4, v2 :: v_dual_mov_b32 v3, v1
	.p2align	6
.LBB113_193:                            ; =>This Inner Loop Header: Depth=1
	scratch_load_b128 v[15:18], v9, off offset:-8
	ds_load_b128 v[19:22], v8
	v_add_nc_u32_e32 v7, 1, v7
	v_add_nc_u32_e32 v8, 16, v8
	;; [unrolled: 1-line block ×3, first 2 shown]
	s_delay_alu instid0(VALU_DEP_3) | instskip(SKIP_4) | instid1(VALU_DEP_2)
	v_cmp_lt_u32_e32 vcc_lo, 43, v7
	s_or_b32 s3, vcc_lo, s3
	s_waitcnt vmcnt(0) lgkmcnt(0)
	v_mul_f64 v[10:11], v[21:22], v[17:18]
	v_mul_f64 v[17:18], v[19:20], v[17:18]
	v_fma_f64 v[10:11], v[19:20], v[15:16], -v[10:11]
	s_delay_alu instid0(VALU_DEP_2) | instskip(NEXT) | instid1(VALU_DEP_2)
	v_fma_f64 v[15:16], v[21:22], v[15:16], v[17:18]
	v_add_f64 v[3:4], v[3:4], v[10:11]
	s_delay_alu instid0(VALU_DEP_2)
	v_add_f64 v[1:2], v[1:2], v[15:16]
	s_and_not1_b32 exec_lo, exec_lo, s3
	s_cbranch_execnz .LBB113_193
; %bb.194:
	s_or_b32 exec_lo, exec_lo, s3
	v_mov_b32_e32 v7, 0
	ds_load_b128 v[7:10], v7 offset:720
	s_waitcnt lgkmcnt(0)
	v_mul_f64 v[11:12], v[1:2], v[9:10]
	v_mul_f64 v[15:16], v[3:4], v[9:10]
	s_delay_alu instid0(VALU_DEP_2) | instskip(NEXT) | instid1(VALU_DEP_2)
	v_fma_f64 v[9:10], v[3:4], v[7:8], -v[11:12]
	v_fma_f64 v[11:12], v[1:2], v[7:8], v[15:16]
	scratch_store_b128 off, v[9:12], off offset:720
.LBB113_195:
	s_or_b32 exec_lo, exec_lo, s2
	s_waitcnt_vscnt null, 0x0
	s_barrier
	buffer_gl0_inv
	scratch_load_b128 v[1:4], v151, off
	s_mov_b32 s2, exec_lo
	s_waitcnt vmcnt(0)
	ds_store_b128 v5, v[1:4]
	s_waitcnt lgkmcnt(0)
	s_barrier
	buffer_gl0_inv
	v_cmpx_gt_u32_e32 46, v142
	s_cbranch_execz .LBB113_199
; %bb.196:
	v_dual_mov_b32 v1, 0 :: v_dual_add_nc_u32 v8, 0x320, v13
	v_dual_mov_b32 v2, 0 :: v_dual_add_nc_u32 v7, -1, v142
	v_or_b32_e32 v9, 8, v14
	s_mov_b32 s3, 0
	s_delay_alu instid0(VALU_DEP_2)
	v_dual_mov_b32 v4, v2 :: v_dual_mov_b32 v3, v1
	.p2align	6
.LBB113_197:                            ; =>This Inner Loop Header: Depth=1
	scratch_load_b128 v[15:18], v9, off offset:-8
	ds_load_b128 v[19:22], v8
	v_add_nc_u32_e32 v7, 1, v7
	v_add_nc_u32_e32 v8, 16, v8
	;; [unrolled: 1-line block ×3, first 2 shown]
	s_delay_alu instid0(VALU_DEP_3) | instskip(SKIP_4) | instid1(VALU_DEP_2)
	v_cmp_lt_u32_e32 vcc_lo, 44, v7
	s_or_b32 s3, vcc_lo, s3
	s_waitcnt vmcnt(0) lgkmcnt(0)
	v_mul_f64 v[10:11], v[21:22], v[17:18]
	v_mul_f64 v[17:18], v[19:20], v[17:18]
	v_fma_f64 v[10:11], v[19:20], v[15:16], -v[10:11]
	s_delay_alu instid0(VALU_DEP_2) | instskip(NEXT) | instid1(VALU_DEP_2)
	v_fma_f64 v[15:16], v[21:22], v[15:16], v[17:18]
	v_add_f64 v[3:4], v[3:4], v[10:11]
	s_delay_alu instid0(VALU_DEP_2)
	v_add_f64 v[1:2], v[1:2], v[15:16]
	s_and_not1_b32 exec_lo, exec_lo, s3
	s_cbranch_execnz .LBB113_197
; %bb.198:
	s_or_b32 exec_lo, exec_lo, s3
	v_mov_b32_e32 v7, 0
	ds_load_b128 v[7:10], v7 offset:736
	s_waitcnt lgkmcnt(0)
	v_mul_f64 v[11:12], v[1:2], v[9:10]
	v_mul_f64 v[15:16], v[3:4], v[9:10]
	s_delay_alu instid0(VALU_DEP_2) | instskip(NEXT) | instid1(VALU_DEP_2)
	v_fma_f64 v[9:10], v[3:4], v[7:8], -v[11:12]
	v_fma_f64 v[11:12], v[1:2], v[7:8], v[15:16]
	scratch_store_b128 off, v[9:12], off offset:736
.LBB113_199:
	s_or_b32 exec_lo, exec_lo, s2
	s_waitcnt_vscnt null, 0x0
	s_barrier
	buffer_gl0_inv
	scratch_load_b128 v[1:4], v150, off
	s_mov_b32 s2, exec_lo
	s_waitcnt vmcnt(0)
	ds_store_b128 v5, v[1:4]
	s_waitcnt lgkmcnt(0)
	s_barrier
	buffer_gl0_inv
	v_cmpx_gt_u32_e32 47, v142
	s_cbranch_execz .LBB113_203
; %bb.200:
	v_dual_mov_b32 v1, 0 :: v_dual_add_nc_u32 v8, 0x320, v13
	v_dual_mov_b32 v2, 0 :: v_dual_add_nc_u32 v7, -1, v142
	v_or_b32_e32 v9, 8, v14
	s_mov_b32 s3, 0
	s_delay_alu instid0(VALU_DEP_2)
	v_dual_mov_b32 v4, v2 :: v_dual_mov_b32 v3, v1
	.p2align	6
.LBB113_201:                            ; =>This Inner Loop Header: Depth=1
	scratch_load_b128 v[15:18], v9, off offset:-8
	ds_load_b128 v[19:22], v8
	v_add_nc_u32_e32 v7, 1, v7
	v_add_nc_u32_e32 v8, 16, v8
	;; [unrolled: 1-line block ×3, first 2 shown]
	s_delay_alu instid0(VALU_DEP_3) | instskip(SKIP_4) | instid1(VALU_DEP_2)
	v_cmp_lt_u32_e32 vcc_lo, 45, v7
	s_or_b32 s3, vcc_lo, s3
	s_waitcnt vmcnt(0) lgkmcnt(0)
	v_mul_f64 v[10:11], v[21:22], v[17:18]
	v_mul_f64 v[17:18], v[19:20], v[17:18]
	v_fma_f64 v[10:11], v[19:20], v[15:16], -v[10:11]
	s_delay_alu instid0(VALU_DEP_2) | instskip(NEXT) | instid1(VALU_DEP_2)
	v_fma_f64 v[15:16], v[21:22], v[15:16], v[17:18]
	v_add_f64 v[3:4], v[3:4], v[10:11]
	s_delay_alu instid0(VALU_DEP_2)
	v_add_f64 v[1:2], v[1:2], v[15:16]
	s_and_not1_b32 exec_lo, exec_lo, s3
	s_cbranch_execnz .LBB113_201
; %bb.202:
	s_or_b32 exec_lo, exec_lo, s3
	v_mov_b32_e32 v7, 0
	ds_load_b128 v[7:10], v7 offset:752
	s_waitcnt lgkmcnt(0)
	v_mul_f64 v[11:12], v[1:2], v[9:10]
	v_mul_f64 v[15:16], v[3:4], v[9:10]
	s_delay_alu instid0(VALU_DEP_2) | instskip(NEXT) | instid1(VALU_DEP_2)
	v_fma_f64 v[9:10], v[3:4], v[7:8], -v[11:12]
	v_fma_f64 v[11:12], v[1:2], v[7:8], v[15:16]
	scratch_store_b128 off, v[9:12], off offset:752
.LBB113_203:
	s_or_b32 exec_lo, exec_lo, s2
	s_waitcnt_vscnt null, 0x0
	s_barrier
	buffer_gl0_inv
	scratch_load_b128 v[1:4], v149, off
	s_mov_b32 s2, exec_lo
	s_waitcnt vmcnt(0)
	ds_store_b128 v5, v[1:4]
	s_waitcnt lgkmcnt(0)
	s_barrier
	buffer_gl0_inv
	v_cmpx_gt_u32_e32 48, v142
	s_cbranch_execz .LBB113_207
; %bb.204:
	v_dual_mov_b32 v1, 0 :: v_dual_add_nc_u32 v8, 0x320, v13
	v_dual_mov_b32 v2, 0 :: v_dual_add_nc_u32 v7, -1, v142
	v_or_b32_e32 v9, 8, v14
	s_mov_b32 s3, 0
	s_delay_alu instid0(VALU_DEP_2)
	v_dual_mov_b32 v4, v2 :: v_dual_mov_b32 v3, v1
	.p2align	6
.LBB113_205:                            ; =>This Inner Loop Header: Depth=1
	scratch_load_b128 v[10:13], v9, off offset:-8
	ds_load_b128 v[15:18], v8
	v_add_nc_u32_e32 v7, 1, v7
	v_add_nc_u32_e32 v8, 16, v8
	;; [unrolled: 1-line block ×3, first 2 shown]
	s_delay_alu instid0(VALU_DEP_3) | instskip(SKIP_4) | instid1(VALU_DEP_2)
	v_cmp_lt_u32_e32 vcc_lo, 46, v7
	s_or_b32 s3, vcc_lo, s3
	s_waitcnt vmcnt(0) lgkmcnt(0)
	v_mul_f64 v[19:20], v[17:18], v[12:13]
	v_mul_f64 v[12:13], v[15:16], v[12:13]
	v_fma_f64 v[15:16], v[15:16], v[10:11], -v[19:20]
	s_delay_alu instid0(VALU_DEP_2) | instskip(NEXT) | instid1(VALU_DEP_2)
	v_fma_f64 v[10:11], v[17:18], v[10:11], v[12:13]
	v_add_f64 v[3:4], v[3:4], v[15:16]
	s_delay_alu instid0(VALU_DEP_2)
	v_add_f64 v[1:2], v[1:2], v[10:11]
	s_and_not1_b32 exec_lo, exec_lo, s3
	s_cbranch_execnz .LBB113_205
; %bb.206:
	s_or_b32 exec_lo, exec_lo, s3
	v_mov_b32_e32 v7, 0
	ds_load_b128 v[7:10], v7 offset:768
	s_waitcnt lgkmcnt(0)
	v_mul_f64 v[11:12], v[1:2], v[9:10]
	v_mul_f64 v[15:16], v[3:4], v[9:10]
	s_delay_alu instid0(VALU_DEP_2) | instskip(NEXT) | instid1(VALU_DEP_2)
	v_fma_f64 v[9:10], v[3:4], v[7:8], -v[11:12]
	v_fma_f64 v[11:12], v[1:2], v[7:8], v[15:16]
	scratch_store_b128 off, v[9:12], off offset:768
.LBB113_207:
	s_or_b32 exec_lo, exec_lo, s2
	s_waitcnt_vscnt null, 0x0
	s_barrier
	buffer_gl0_inv
	scratch_load_b128 v[1:4], v148, off
	s_mov_b32 s2, exec_lo
	s_waitcnt vmcnt(0)
	ds_store_b128 v5, v[1:4]
	s_waitcnt lgkmcnt(0)
	s_barrier
	buffer_gl0_inv
	v_cmpx_ne_u32_e32 49, v142
	s_cbranch_execz .LBB113_211
; %bb.208:
	v_mov_b32_e32 v1, 0
	v_mov_b32_e32 v2, 0
	v_or_b32_e32 v7, 8, v14
	s_mov_b32 s3, 0
	s_delay_alu instid0(VALU_DEP_2)
	v_dual_mov_b32 v4, v2 :: v_dual_mov_b32 v3, v1
	.p2align	6
.LBB113_209:                            ; =>This Inner Loop Header: Depth=1
	scratch_load_b128 v[8:11], v7, off offset:-8
	ds_load_b128 v[12:15], v5
	v_add_nc_u32_e32 v6, 1, v6
	v_add_nc_u32_e32 v5, 16, v5
	;; [unrolled: 1-line block ×3, first 2 shown]
	s_delay_alu instid0(VALU_DEP_3) | instskip(SKIP_4) | instid1(VALU_DEP_2)
	v_cmp_lt_u32_e32 vcc_lo, 47, v6
	s_or_b32 s3, vcc_lo, s3
	s_waitcnt vmcnt(0) lgkmcnt(0)
	v_mul_f64 v[16:17], v[14:15], v[10:11]
	v_mul_f64 v[10:11], v[12:13], v[10:11]
	v_fma_f64 v[12:13], v[12:13], v[8:9], -v[16:17]
	s_delay_alu instid0(VALU_DEP_2) | instskip(NEXT) | instid1(VALU_DEP_2)
	v_fma_f64 v[8:9], v[14:15], v[8:9], v[10:11]
	v_add_f64 v[3:4], v[3:4], v[12:13]
	s_delay_alu instid0(VALU_DEP_2)
	v_add_f64 v[1:2], v[1:2], v[8:9]
	s_and_not1_b32 exec_lo, exec_lo, s3
	s_cbranch_execnz .LBB113_209
; %bb.210:
	s_or_b32 exec_lo, exec_lo, s3
	v_mov_b32_e32 v5, 0
	ds_load_b128 v[5:8], v5 offset:784
	s_waitcnt lgkmcnt(0)
	v_mul_f64 v[9:10], v[1:2], v[7:8]
	v_mul_f64 v[7:8], v[3:4], v[7:8]
	s_delay_alu instid0(VALU_DEP_2) | instskip(NEXT) | instid1(VALU_DEP_2)
	v_fma_f64 v[3:4], v[3:4], v[5:6], -v[9:10]
	v_fma_f64 v[5:6], v[1:2], v[5:6], v[7:8]
	scratch_store_b128 off, v[3:6], off offset:784
.LBB113_211:
	s_or_b32 exec_lo, exec_lo, s2
	s_mov_b32 s3, -1
	s_waitcnt_vscnt null, 0x0
	s_barrier
	buffer_gl0_inv
.LBB113_212:
	s_and_b32 vcc_lo, exec_lo, s3
	s_cbranch_vccz .LBB113_214
; %bb.213:
	s_lshl_b64 s[2:3], s[10:11], 2
	v_mov_b32_e32 v1, 0
	s_add_u32 s2, s6, s2
	s_addc_u32 s3, s7, s3
	global_load_b32 v1, v1, s[2:3]
	s_waitcnt vmcnt(0)
	v_cmp_ne_u32_e32 vcc_lo, 0, v1
	s_cbranch_vccz .LBB113_215
.LBB113_214:
	s_endpgm
.LBB113_215:
	v_lshl_add_u32 v192, v142, 4, 0x320
	s_mov_b32 s2, exec_lo
	v_cmpx_eq_u32_e32 49, v142
	s_cbranch_execz .LBB113_217
; %bb.216:
	scratch_load_b128 v[1:4], v149, off
	v_mov_b32_e32 v5, 0
	s_delay_alu instid0(VALU_DEP_1)
	v_mov_b32_e32 v6, v5
	v_mov_b32_e32 v7, v5
	;; [unrolled: 1-line block ×3, first 2 shown]
	scratch_store_b128 off, v[5:8], off offset:768
	s_waitcnt vmcnt(0)
	ds_store_b128 v192, v[1:4]
.LBB113_217:
	s_or_b32 exec_lo, exec_lo, s2
	s_waitcnt lgkmcnt(0)
	s_waitcnt_vscnt null, 0x0
	s_barrier
	buffer_gl0_inv
	s_clause 0x1
	scratch_load_b128 v[2:5], off, off offset:784
	scratch_load_b128 v[6:9], off, off offset:768
	v_mov_b32_e32 v1, 0
	s_mov_b32 s2, exec_lo
	ds_load_b128 v[10:13], v1 offset:1584
	s_waitcnt vmcnt(1) lgkmcnt(0)
	v_mul_f64 v[14:15], v[12:13], v[4:5]
	v_mul_f64 v[4:5], v[10:11], v[4:5]
	s_delay_alu instid0(VALU_DEP_2) | instskip(NEXT) | instid1(VALU_DEP_2)
	v_fma_f64 v[10:11], v[10:11], v[2:3], -v[14:15]
	v_fma_f64 v[2:3], v[12:13], v[2:3], v[4:5]
	s_delay_alu instid0(VALU_DEP_2) | instskip(NEXT) | instid1(VALU_DEP_2)
	v_add_f64 v[4:5], v[10:11], 0
	v_add_f64 v[10:11], v[2:3], 0
	s_waitcnt vmcnt(0)
	s_delay_alu instid0(VALU_DEP_2) | instskip(NEXT) | instid1(VALU_DEP_2)
	v_add_f64 v[2:3], v[6:7], -v[4:5]
	v_add_f64 v[4:5], v[8:9], -v[10:11]
	scratch_store_b128 off, v[2:5], off offset:768
	v_cmpx_lt_u32_e32 47, v142
	s_cbranch_execz .LBB113_219
; %bb.218:
	scratch_load_b128 v[5:8], v150, off
	v_mov_b32_e32 v2, v1
	v_mov_b32_e32 v3, v1
	;; [unrolled: 1-line block ×3, first 2 shown]
	scratch_store_b128 off, v[1:4], off offset:752
	s_waitcnt vmcnt(0)
	ds_store_b128 v192, v[5:8]
.LBB113_219:
	s_or_b32 exec_lo, exec_lo, s2
	s_waitcnt lgkmcnt(0)
	s_waitcnt_vscnt null, 0x0
	s_barrier
	buffer_gl0_inv
	s_clause 0x2
	scratch_load_b128 v[2:5], off, off offset:768
	scratch_load_b128 v[6:9], off, off offset:784
	scratch_load_b128 v[10:13], off, off offset:752
	ds_load_b128 v[14:17], v1 offset:1568
	ds_load_b128 v[18:21], v1 offset:1584
	s_mov_b32 s2, exec_lo
	s_waitcnt vmcnt(2) lgkmcnt(1)
	v_mul_f64 v[22:23], v[16:17], v[4:5]
	v_mul_f64 v[4:5], v[14:15], v[4:5]
	s_waitcnt vmcnt(1) lgkmcnt(0)
	v_mul_f64 v[24:25], v[18:19], v[8:9]
	v_mul_f64 v[8:9], v[20:21], v[8:9]
	s_delay_alu instid0(VALU_DEP_4) | instskip(NEXT) | instid1(VALU_DEP_4)
	v_fma_f64 v[14:15], v[14:15], v[2:3], -v[22:23]
	v_fma_f64 v[1:2], v[16:17], v[2:3], v[4:5]
	s_delay_alu instid0(VALU_DEP_4) | instskip(NEXT) | instid1(VALU_DEP_4)
	v_fma_f64 v[3:4], v[20:21], v[6:7], v[24:25]
	v_fma_f64 v[5:6], v[18:19], v[6:7], -v[8:9]
	s_delay_alu instid0(VALU_DEP_4) | instskip(NEXT) | instid1(VALU_DEP_4)
	v_add_f64 v[7:8], v[14:15], 0
	v_add_f64 v[1:2], v[1:2], 0
	s_delay_alu instid0(VALU_DEP_2) | instskip(NEXT) | instid1(VALU_DEP_2)
	v_add_f64 v[5:6], v[7:8], v[5:6]
	v_add_f64 v[3:4], v[1:2], v[3:4]
	s_waitcnt vmcnt(0)
	s_delay_alu instid0(VALU_DEP_2) | instskip(NEXT) | instid1(VALU_DEP_2)
	v_add_f64 v[1:2], v[10:11], -v[5:6]
	v_add_f64 v[3:4], v[12:13], -v[3:4]
	scratch_store_b128 off, v[1:4], off offset:752
	v_cmpx_lt_u32_e32 46, v142
	s_cbranch_execz .LBB113_221
; %bb.220:
	scratch_load_b128 v[1:4], v151, off
	v_mov_b32_e32 v5, 0
	s_delay_alu instid0(VALU_DEP_1)
	v_mov_b32_e32 v6, v5
	v_mov_b32_e32 v7, v5
	;; [unrolled: 1-line block ×3, first 2 shown]
	scratch_store_b128 off, v[5:8], off offset:736
	s_waitcnt vmcnt(0)
	ds_store_b128 v192, v[1:4]
.LBB113_221:
	s_or_b32 exec_lo, exec_lo, s2
	s_waitcnt lgkmcnt(0)
	s_waitcnt_vscnt null, 0x0
	s_barrier
	buffer_gl0_inv
	s_clause 0x3
	scratch_load_b128 v[2:5], off, off offset:752
	scratch_load_b128 v[6:9], off, off offset:768
	scratch_load_b128 v[10:13], off, off offset:784
	scratch_load_b128 v[14:17], off, off offset:736
	v_mov_b32_e32 v1, 0
	ds_load_b128 v[18:21], v1 offset:1552
	ds_load_b128 v[22:25], v1 offset:1568
	s_mov_b32 s2, exec_lo
	s_waitcnt vmcnt(3) lgkmcnt(1)
	v_mul_f64 v[26:27], v[20:21], v[4:5]
	v_mul_f64 v[4:5], v[18:19], v[4:5]
	s_waitcnt vmcnt(2) lgkmcnt(0)
	v_mul_f64 v[28:29], v[22:23], v[8:9]
	v_mul_f64 v[8:9], v[24:25], v[8:9]
	s_delay_alu instid0(VALU_DEP_4) | instskip(NEXT) | instid1(VALU_DEP_4)
	v_fma_f64 v[18:19], v[18:19], v[2:3], -v[26:27]
	v_fma_f64 v[20:21], v[20:21], v[2:3], v[4:5]
	ds_load_b128 v[2:5], v1 offset:1584
	v_fma_f64 v[24:25], v[24:25], v[6:7], v[28:29]
	v_fma_f64 v[6:7], v[22:23], v[6:7], -v[8:9]
	s_waitcnt vmcnt(1) lgkmcnt(0)
	v_mul_f64 v[26:27], v[2:3], v[12:13]
	v_mul_f64 v[12:13], v[4:5], v[12:13]
	v_add_f64 v[8:9], v[18:19], 0
	v_add_f64 v[18:19], v[20:21], 0
	s_delay_alu instid0(VALU_DEP_4) | instskip(NEXT) | instid1(VALU_DEP_4)
	v_fma_f64 v[4:5], v[4:5], v[10:11], v[26:27]
	v_fma_f64 v[2:3], v[2:3], v[10:11], -v[12:13]
	s_delay_alu instid0(VALU_DEP_4) | instskip(NEXT) | instid1(VALU_DEP_4)
	v_add_f64 v[6:7], v[8:9], v[6:7]
	v_add_f64 v[8:9], v[18:19], v[24:25]
	s_delay_alu instid0(VALU_DEP_2) | instskip(NEXT) | instid1(VALU_DEP_2)
	v_add_f64 v[2:3], v[6:7], v[2:3]
	v_add_f64 v[4:5], v[8:9], v[4:5]
	s_waitcnt vmcnt(0)
	s_delay_alu instid0(VALU_DEP_2) | instskip(NEXT) | instid1(VALU_DEP_2)
	v_add_f64 v[2:3], v[14:15], -v[2:3]
	v_add_f64 v[4:5], v[16:17], -v[4:5]
	scratch_store_b128 off, v[2:5], off offset:736
	v_cmpx_lt_u32_e32 45, v142
	s_cbranch_execz .LBB113_223
; %bb.222:
	scratch_load_b128 v[5:8], v152, off
	v_mov_b32_e32 v2, v1
	v_mov_b32_e32 v3, v1
	;; [unrolled: 1-line block ×3, first 2 shown]
	scratch_store_b128 off, v[1:4], off offset:720
	s_waitcnt vmcnt(0)
	ds_store_b128 v192, v[5:8]
.LBB113_223:
	s_or_b32 exec_lo, exec_lo, s2
	s_waitcnt lgkmcnt(0)
	s_waitcnt_vscnt null, 0x0
	s_barrier
	buffer_gl0_inv
	s_clause 0x4
	scratch_load_b128 v[2:5], off, off offset:736
	scratch_load_b128 v[6:9], off, off offset:752
	scratch_load_b128 v[10:13], off, off offset:768
	scratch_load_b128 v[14:17], off, off offset:784
	scratch_load_b128 v[18:21], off, off offset:720
	ds_load_b128 v[22:25], v1 offset:1536
	ds_load_b128 v[26:29], v1 offset:1552
	s_mov_b32 s2, exec_lo
	s_waitcnt vmcnt(4) lgkmcnt(1)
	v_mul_f64 v[30:31], v[24:25], v[4:5]
	v_mul_f64 v[4:5], v[22:23], v[4:5]
	s_waitcnt vmcnt(3) lgkmcnt(0)
	v_mul_f64 v[32:33], v[26:27], v[8:9]
	v_mul_f64 v[8:9], v[28:29], v[8:9]
	s_delay_alu instid0(VALU_DEP_4) | instskip(NEXT) | instid1(VALU_DEP_4)
	v_fma_f64 v[30:31], v[22:23], v[2:3], -v[30:31]
	v_fma_f64 v[34:35], v[24:25], v[2:3], v[4:5]
	ds_load_b128 v[2:5], v1 offset:1568
	ds_load_b128 v[22:25], v1 offset:1584
	v_fma_f64 v[28:29], v[28:29], v[6:7], v[32:33]
	v_fma_f64 v[6:7], v[26:27], v[6:7], -v[8:9]
	s_waitcnt vmcnt(2) lgkmcnt(1)
	v_mul_f64 v[36:37], v[2:3], v[12:13]
	v_mul_f64 v[12:13], v[4:5], v[12:13]
	v_add_f64 v[8:9], v[30:31], 0
	v_add_f64 v[26:27], v[34:35], 0
	s_waitcnt vmcnt(1) lgkmcnt(0)
	v_mul_f64 v[30:31], v[22:23], v[16:17]
	v_mul_f64 v[16:17], v[24:25], v[16:17]
	v_fma_f64 v[4:5], v[4:5], v[10:11], v[36:37]
	v_fma_f64 v[1:2], v[2:3], v[10:11], -v[12:13]
	v_add_f64 v[6:7], v[8:9], v[6:7]
	v_add_f64 v[8:9], v[26:27], v[28:29]
	v_fma_f64 v[10:11], v[24:25], v[14:15], v[30:31]
	v_fma_f64 v[12:13], v[22:23], v[14:15], -v[16:17]
	s_delay_alu instid0(VALU_DEP_4) | instskip(NEXT) | instid1(VALU_DEP_4)
	v_add_f64 v[1:2], v[6:7], v[1:2]
	v_add_f64 v[3:4], v[8:9], v[4:5]
	s_delay_alu instid0(VALU_DEP_2) | instskip(NEXT) | instid1(VALU_DEP_2)
	v_add_f64 v[1:2], v[1:2], v[12:13]
	v_add_f64 v[3:4], v[3:4], v[10:11]
	s_waitcnt vmcnt(0)
	s_delay_alu instid0(VALU_DEP_2) | instskip(NEXT) | instid1(VALU_DEP_2)
	v_add_f64 v[1:2], v[18:19], -v[1:2]
	v_add_f64 v[3:4], v[20:21], -v[3:4]
	scratch_store_b128 off, v[1:4], off offset:720
	v_cmpx_lt_u32_e32 44, v142
	s_cbranch_execz .LBB113_225
; %bb.224:
	scratch_load_b128 v[1:4], v153, off
	v_mov_b32_e32 v5, 0
	s_delay_alu instid0(VALU_DEP_1)
	v_mov_b32_e32 v6, v5
	v_mov_b32_e32 v7, v5
	;; [unrolled: 1-line block ×3, first 2 shown]
	scratch_store_b128 off, v[5:8], off offset:704
	s_waitcnt vmcnt(0)
	ds_store_b128 v192, v[1:4]
.LBB113_225:
	s_or_b32 exec_lo, exec_lo, s2
	s_waitcnt lgkmcnt(0)
	s_waitcnt_vscnt null, 0x0
	s_barrier
	buffer_gl0_inv
	s_clause 0x5
	scratch_load_b128 v[2:5], off, off offset:720
	scratch_load_b128 v[6:9], off, off offset:736
	;; [unrolled: 1-line block ×6, first 2 shown]
	v_mov_b32_e32 v1, 0
	ds_load_b128 v[26:29], v1 offset:1520
	ds_load_b128 v[30:33], v1 offset:1536
	s_mov_b32 s2, exec_lo
	s_waitcnt vmcnt(5) lgkmcnt(1)
	v_mul_f64 v[34:35], v[28:29], v[4:5]
	v_mul_f64 v[4:5], v[26:27], v[4:5]
	s_waitcnt vmcnt(4) lgkmcnt(0)
	v_mul_f64 v[36:37], v[30:31], v[8:9]
	v_mul_f64 v[8:9], v[32:33], v[8:9]
	s_delay_alu instid0(VALU_DEP_4) | instskip(NEXT) | instid1(VALU_DEP_4)
	v_fma_f64 v[34:35], v[26:27], v[2:3], -v[34:35]
	v_fma_f64 v[38:39], v[28:29], v[2:3], v[4:5]
	ds_load_b128 v[2:5], v1 offset:1552
	ds_load_b128 v[26:29], v1 offset:1568
	v_fma_f64 v[32:33], v[32:33], v[6:7], v[36:37]
	v_fma_f64 v[6:7], v[30:31], v[6:7], -v[8:9]
	s_waitcnt vmcnt(3) lgkmcnt(1)
	v_mul_f64 v[40:41], v[2:3], v[12:13]
	v_mul_f64 v[12:13], v[4:5], v[12:13]
	v_add_f64 v[8:9], v[34:35], 0
	v_add_f64 v[30:31], v[38:39], 0
	s_waitcnt vmcnt(2) lgkmcnt(0)
	v_mul_f64 v[34:35], v[26:27], v[16:17]
	v_mul_f64 v[16:17], v[28:29], v[16:17]
	v_fma_f64 v[36:37], v[4:5], v[10:11], v[40:41]
	v_fma_f64 v[10:11], v[2:3], v[10:11], -v[12:13]
	ds_load_b128 v[2:5], v1 offset:1584
	v_add_f64 v[6:7], v[8:9], v[6:7]
	v_add_f64 v[8:9], v[30:31], v[32:33]
	v_fma_f64 v[28:29], v[28:29], v[14:15], v[34:35]
	v_fma_f64 v[14:15], v[26:27], v[14:15], -v[16:17]
	s_waitcnt vmcnt(1) lgkmcnt(0)
	v_mul_f64 v[12:13], v[2:3], v[20:21]
	v_mul_f64 v[20:21], v[4:5], v[20:21]
	v_add_f64 v[6:7], v[6:7], v[10:11]
	v_add_f64 v[8:9], v[8:9], v[36:37]
	s_delay_alu instid0(VALU_DEP_4) | instskip(NEXT) | instid1(VALU_DEP_4)
	v_fma_f64 v[4:5], v[4:5], v[18:19], v[12:13]
	v_fma_f64 v[2:3], v[2:3], v[18:19], -v[20:21]
	s_delay_alu instid0(VALU_DEP_4) | instskip(NEXT) | instid1(VALU_DEP_4)
	v_add_f64 v[6:7], v[6:7], v[14:15]
	v_add_f64 v[8:9], v[8:9], v[28:29]
	s_delay_alu instid0(VALU_DEP_2) | instskip(NEXT) | instid1(VALU_DEP_2)
	v_add_f64 v[2:3], v[6:7], v[2:3]
	v_add_f64 v[4:5], v[8:9], v[4:5]
	s_waitcnt vmcnt(0)
	s_delay_alu instid0(VALU_DEP_2) | instskip(NEXT) | instid1(VALU_DEP_2)
	v_add_f64 v[2:3], v[22:23], -v[2:3]
	v_add_f64 v[4:5], v[24:25], -v[4:5]
	scratch_store_b128 off, v[2:5], off offset:704
	v_cmpx_lt_u32_e32 43, v142
	s_cbranch_execz .LBB113_227
; %bb.226:
	scratch_load_b128 v[5:8], v156, off
	v_mov_b32_e32 v2, v1
	v_mov_b32_e32 v3, v1
	;; [unrolled: 1-line block ×3, first 2 shown]
	scratch_store_b128 off, v[1:4], off offset:688
	s_waitcnt vmcnt(0)
	ds_store_b128 v192, v[5:8]
.LBB113_227:
	s_or_b32 exec_lo, exec_lo, s2
	s_waitcnt lgkmcnt(0)
	s_waitcnt_vscnt null, 0x0
	s_barrier
	buffer_gl0_inv
	s_clause 0x5
	scratch_load_b128 v[2:5], off, off offset:704
	scratch_load_b128 v[6:9], off, off offset:720
	;; [unrolled: 1-line block ×6, first 2 shown]
	ds_load_b128 v[26:29], v1 offset:1504
	ds_load_b128 v[34:37], v1 offset:1520
	scratch_load_b128 v[30:33], off, off offset:688
	s_mov_b32 s2, exec_lo
	s_waitcnt vmcnt(6) lgkmcnt(1)
	v_mul_f64 v[38:39], v[28:29], v[4:5]
	v_mul_f64 v[4:5], v[26:27], v[4:5]
	s_waitcnt vmcnt(5) lgkmcnt(0)
	v_mul_f64 v[40:41], v[34:35], v[8:9]
	v_mul_f64 v[8:9], v[36:37], v[8:9]
	s_delay_alu instid0(VALU_DEP_4) | instskip(NEXT) | instid1(VALU_DEP_4)
	v_fma_f64 v[38:39], v[26:27], v[2:3], -v[38:39]
	v_fma_f64 v[193:194], v[28:29], v[2:3], v[4:5]
	ds_load_b128 v[2:5], v1 offset:1536
	ds_load_b128 v[26:29], v1 offset:1552
	v_fma_f64 v[36:37], v[36:37], v[6:7], v[40:41]
	v_fma_f64 v[6:7], v[34:35], v[6:7], -v[8:9]
	s_waitcnt vmcnt(4) lgkmcnt(1)
	v_mul_f64 v[195:196], v[2:3], v[12:13]
	v_mul_f64 v[12:13], v[4:5], v[12:13]
	v_add_f64 v[8:9], v[38:39], 0
	v_add_f64 v[34:35], v[193:194], 0
	s_waitcnt vmcnt(3) lgkmcnt(0)
	v_mul_f64 v[38:39], v[26:27], v[16:17]
	v_mul_f64 v[16:17], v[28:29], v[16:17]
	v_fma_f64 v[40:41], v[4:5], v[10:11], v[195:196]
	v_fma_f64 v[10:11], v[2:3], v[10:11], -v[12:13]
	v_add_f64 v[12:13], v[8:9], v[6:7]
	v_add_f64 v[34:35], v[34:35], v[36:37]
	ds_load_b128 v[2:5], v1 offset:1568
	ds_load_b128 v[6:9], v1 offset:1584
	v_fma_f64 v[28:29], v[28:29], v[14:15], v[38:39]
	v_fma_f64 v[14:15], v[26:27], v[14:15], -v[16:17]
	s_waitcnt vmcnt(2) lgkmcnt(1)
	v_mul_f64 v[36:37], v[2:3], v[20:21]
	v_mul_f64 v[20:21], v[4:5], v[20:21]
	s_waitcnt vmcnt(1) lgkmcnt(0)
	v_mul_f64 v[16:17], v[6:7], v[24:25]
	v_mul_f64 v[24:25], v[8:9], v[24:25]
	v_add_f64 v[10:11], v[12:13], v[10:11]
	v_add_f64 v[12:13], v[34:35], v[40:41]
	v_fma_f64 v[4:5], v[4:5], v[18:19], v[36:37]
	v_fma_f64 v[1:2], v[2:3], v[18:19], -v[20:21]
	v_fma_f64 v[8:9], v[8:9], v[22:23], v[16:17]
	v_fma_f64 v[6:7], v[6:7], v[22:23], -v[24:25]
	v_add_f64 v[10:11], v[10:11], v[14:15]
	v_add_f64 v[12:13], v[12:13], v[28:29]
	s_delay_alu instid0(VALU_DEP_2) | instskip(NEXT) | instid1(VALU_DEP_2)
	v_add_f64 v[1:2], v[10:11], v[1:2]
	v_add_f64 v[3:4], v[12:13], v[4:5]
	s_delay_alu instid0(VALU_DEP_2) | instskip(NEXT) | instid1(VALU_DEP_2)
	v_add_f64 v[1:2], v[1:2], v[6:7]
	v_add_f64 v[3:4], v[3:4], v[8:9]
	s_waitcnt vmcnt(0)
	s_delay_alu instid0(VALU_DEP_2) | instskip(NEXT) | instid1(VALU_DEP_2)
	v_add_f64 v[1:2], v[30:31], -v[1:2]
	v_add_f64 v[3:4], v[32:33], -v[3:4]
	scratch_store_b128 off, v[1:4], off offset:688
	v_cmpx_lt_u32_e32 42, v142
	s_cbranch_execz .LBB113_229
; %bb.228:
	scratch_load_b128 v[1:4], v143, off
	v_mov_b32_e32 v5, 0
	s_delay_alu instid0(VALU_DEP_1)
	v_mov_b32_e32 v6, v5
	v_mov_b32_e32 v7, v5
	;; [unrolled: 1-line block ×3, first 2 shown]
	scratch_store_b128 off, v[5:8], off offset:672
	s_waitcnt vmcnt(0)
	ds_store_b128 v192, v[1:4]
.LBB113_229:
	s_or_b32 exec_lo, exec_lo, s2
	s_waitcnt lgkmcnt(0)
	s_waitcnt_vscnt null, 0x0
	s_barrier
	buffer_gl0_inv
	s_clause 0x6
	scratch_load_b128 v[2:5], off, off offset:688
	scratch_load_b128 v[6:9], off, off offset:704
	;; [unrolled: 1-line block ×7, first 2 shown]
	v_mov_b32_e32 v1, 0
	scratch_load_b128 v[34:37], off, off offset:672
	s_mov_b32 s2, exec_lo
	ds_load_b128 v[30:33], v1 offset:1488
	ds_load_b128 v[38:41], v1 offset:1504
	s_waitcnt vmcnt(7) lgkmcnt(1)
	v_mul_f64 v[193:194], v[32:33], v[4:5]
	v_mul_f64 v[4:5], v[30:31], v[4:5]
	s_waitcnt vmcnt(6) lgkmcnt(0)
	v_mul_f64 v[195:196], v[38:39], v[8:9]
	v_mul_f64 v[8:9], v[40:41], v[8:9]
	s_delay_alu instid0(VALU_DEP_4) | instskip(NEXT) | instid1(VALU_DEP_4)
	v_fma_f64 v[193:194], v[30:31], v[2:3], -v[193:194]
	v_fma_f64 v[197:198], v[32:33], v[2:3], v[4:5]
	ds_load_b128 v[2:5], v1 offset:1520
	ds_load_b128 v[30:33], v1 offset:1536
	v_fma_f64 v[40:41], v[40:41], v[6:7], v[195:196]
	v_fma_f64 v[6:7], v[38:39], v[6:7], -v[8:9]
	s_waitcnt vmcnt(5) lgkmcnt(1)
	v_mul_f64 v[199:200], v[2:3], v[12:13]
	v_mul_f64 v[12:13], v[4:5], v[12:13]
	v_add_f64 v[8:9], v[193:194], 0
	v_add_f64 v[38:39], v[197:198], 0
	s_waitcnt vmcnt(4) lgkmcnt(0)
	v_mul_f64 v[193:194], v[30:31], v[16:17]
	v_mul_f64 v[16:17], v[32:33], v[16:17]
	v_fma_f64 v[195:196], v[4:5], v[10:11], v[199:200]
	v_fma_f64 v[10:11], v[2:3], v[10:11], -v[12:13]
	v_add_f64 v[12:13], v[8:9], v[6:7]
	v_add_f64 v[38:39], v[38:39], v[40:41]
	ds_load_b128 v[2:5], v1 offset:1552
	ds_load_b128 v[6:9], v1 offset:1568
	v_fma_f64 v[32:33], v[32:33], v[14:15], v[193:194]
	v_fma_f64 v[14:15], v[30:31], v[14:15], -v[16:17]
	s_waitcnt vmcnt(3) lgkmcnt(1)
	v_mul_f64 v[40:41], v[2:3], v[20:21]
	v_mul_f64 v[20:21], v[4:5], v[20:21]
	s_waitcnt vmcnt(2) lgkmcnt(0)
	v_mul_f64 v[16:17], v[6:7], v[24:25]
	v_mul_f64 v[24:25], v[8:9], v[24:25]
	v_add_f64 v[10:11], v[12:13], v[10:11]
	v_add_f64 v[12:13], v[38:39], v[195:196]
	v_fma_f64 v[30:31], v[4:5], v[18:19], v[40:41]
	v_fma_f64 v[18:19], v[2:3], v[18:19], -v[20:21]
	ds_load_b128 v[2:5], v1 offset:1584
	v_fma_f64 v[8:9], v[8:9], v[22:23], v[16:17]
	v_fma_f64 v[6:7], v[6:7], v[22:23], -v[24:25]
	v_add_f64 v[10:11], v[10:11], v[14:15]
	v_add_f64 v[12:13], v[12:13], v[32:33]
	s_waitcnt vmcnt(1) lgkmcnt(0)
	v_mul_f64 v[14:15], v[2:3], v[28:29]
	v_mul_f64 v[20:21], v[4:5], v[28:29]
	s_delay_alu instid0(VALU_DEP_4) | instskip(NEXT) | instid1(VALU_DEP_4)
	v_add_f64 v[10:11], v[10:11], v[18:19]
	v_add_f64 v[12:13], v[12:13], v[30:31]
	s_delay_alu instid0(VALU_DEP_4) | instskip(NEXT) | instid1(VALU_DEP_4)
	v_fma_f64 v[4:5], v[4:5], v[26:27], v[14:15]
	v_fma_f64 v[2:3], v[2:3], v[26:27], -v[20:21]
	s_delay_alu instid0(VALU_DEP_4) | instskip(NEXT) | instid1(VALU_DEP_4)
	v_add_f64 v[6:7], v[10:11], v[6:7]
	v_add_f64 v[8:9], v[12:13], v[8:9]
	s_delay_alu instid0(VALU_DEP_2) | instskip(NEXT) | instid1(VALU_DEP_2)
	v_add_f64 v[2:3], v[6:7], v[2:3]
	v_add_f64 v[4:5], v[8:9], v[4:5]
	s_waitcnt vmcnt(0)
	s_delay_alu instid0(VALU_DEP_2) | instskip(NEXT) | instid1(VALU_DEP_2)
	v_add_f64 v[2:3], v[34:35], -v[2:3]
	v_add_f64 v[4:5], v[36:37], -v[4:5]
	scratch_store_b128 off, v[2:5], off offset:672
	v_cmpx_lt_u32_e32 41, v142
	s_cbranch_execz .LBB113_231
; %bb.230:
	scratch_load_b128 v[5:8], v144, off
	v_mov_b32_e32 v2, v1
	v_mov_b32_e32 v3, v1
	;; [unrolled: 1-line block ×3, first 2 shown]
	scratch_store_b128 off, v[1:4], off offset:656
	s_waitcnt vmcnt(0)
	ds_store_b128 v192, v[5:8]
.LBB113_231:
	s_or_b32 exec_lo, exec_lo, s2
	s_waitcnt lgkmcnt(0)
	s_waitcnt_vscnt null, 0x0
	s_barrier
	buffer_gl0_inv
	s_clause 0x7
	scratch_load_b128 v[2:5], off, off offset:672
	scratch_load_b128 v[6:9], off, off offset:688
	;; [unrolled: 1-line block ×8, first 2 shown]
	ds_load_b128 v[34:37], v1 offset:1472
	ds_load_b128 v[38:41], v1 offset:1488
	scratch_load_b128 v[193:196], off, off offset:656
	s_mov_b32 s2, exec_lo
	s_waitcnt vmcnt(8) lgkmcnt(1)
	v_mul_f64 v[197:198], v[36:37], v[4:5]
	v_mul_f64 v[4:5], v[34:35], v[4:5]
	s_waitcnt vmcnt(7) lgkmcnt(0)
	v_mul_f64 v[199:200], v[38:39], v[8:9]
	v_mul_f64 v[8:9], v[40:41], v[8:9]
	s_delay_alu instid0(VALU_DEP_4) | instskip(NEXT) | instid1(VALU_DEP_4)
	v_fma_f64 v[197:198], v[34:35], v[2:3], -v[197:198]
	v_fma_f64 v[201:202], v[36:37], v[2:3], v[4:5]
	ds_load_b128 v[2:5], v1 offset:1504
	ds_load_b128 v[34:37], v1 offset:1520
	v_fma_f64 v[40:41], v[40:41], v[6:7], v[199:200]
	v_fma_f64 v[6:7], v[38:39], v[6:7], -v[8:9]
	s_waitcnt vmcnt(6) lgkmcnt(1)
	v_mul_f64 v[203:204], v[2:3], v[12:13]
	v_mul_f64 v[12:13], v[4:5], v[12:13]
	v_add_f64 v[8:9], v[197:198], 0
	v_add_f64 v[38:39], v[201:202], 0
	s_waitcnt vmcnt(5) lgkmcnt(0)
	v_mul_f64 v[197:198], v[34:35], v[16:17]
	v_mul_f64 v[16:17], v[36:37], v[16:17]
	v_fma_f64 v[199:200], v[4:5], v[10:11], v[203:204]
	v_fma_f64 v[10:11], v[2:3], v[10:11], -v[12:13]
	v_add_f64 v[12:13], v[8:9], v[6:7]
	v_add_f64 v[38:39], v[38:39], v[40:41]
	ds_load_b128 v[2:5], v1 offset:1536
	ds_load_b128 v[6:9], v1 offset:1552
	v_fma_f64 v[36:37], v[36:37], v[14:15], v[197:198]
	v_fma_f64 v[14:15], v[34:35], v[14:15], -v[16:17]
	s_waitcnt vmcnt(4) lgkmcnt(1)
	v_mul_f64 v[40:41], v[2:3], v[20:21]
	v_mul_f64 v[20:21], v[4:5], v[20:21]
	s_waitcnt vmcnt(3) lgkmcnt(0)
	v_mul_f64 v[16:17], v[6:7], v[24:25]
	v_mul_f64 v[24:25], v[8:9], v[24:25]
	v_add_f64 v[10:11], v[12:13], v[10:11]
	v_add_f64 v[12:13], v[38:39], v[199:200]
	v_fma_f64 v[34:35], v[4:5], v[18:19], v[40:41]
	v_fma_f64 v[18:19], v[2:3], v[18:19], -v[20:21]
	v_fma_f64 v[8:9], v[8:9], v[22:23], v[16:17]
	v_fma_f64 v[6:7], v[6:7], v[22:23], -v[24:25]
	v_add_f64 v[14:15], v[10:11], v[14:15]
	v_add_f64 v[20:21], v[12:13], v[36:37]
	ds_load_b128 v[2:5], v1 offset:1568
	ds_load_b128 v[10:13], v1 offset:1584
	s_waitcnt vmcnt(2) lgkmcnt(1)
	v_mul_f64 v[36:37], v[2:3], v[28:29]
	v_mul_f64 v[28:29], v[4:5], v[28:29]
	v_add_f64 v[14:15], v[14:15], v[18:19]
	v_add_f64 v[16:17], v[20:21], v[34:35]
	s_waitcnt vmcnt(1) lgkmcnt(0)
	v_mul_f64 v[18:19], v[10:11], v[32:33]
	v_mul_f64 v[20:21], v[12:13], v[32:33]
	v_fma_f64 v[4:5], v[4:5], v[26:27], v[36:37]
	v_fma_f64 v[1:2], v[2:3], v[26:27], -v[28:29]
	v_add_f64 v[6:7], v[14:15], v[6:7]
	v_add_f64 v[8:9], v[16:17], v[8:9]
	v_fma_f64 v[12:13], v[12:13], v[30:31], v[18:19]
	v_fma_f64 v[10:11], v[10:11], v[30:31], -v[20:21]
	s_delay_alu instid0(VALU_DEP_4) | instskip(NEXT) | instid1(VALU_DEP_4)
	v_add_f64 v[1:2], v[6:7], v[1:2]
	v_add_f64 v[3:4], v[8:9], v[4:5]
	s_delay_alu instid0(VALU_DEP_2) | instskip(NEXT) | instid1(VALU_DEP_2)
	v_add_f64 v[1:2], v[1:2], v[10:11]
	v_add_f64 v[3:4], v[3:4], v[12:13]
	s_waitcnt vmcnt(0)
	s_delay_alu instid0(VALU_DEP_2) | instskip(NEXT) | instid1(VALU_DEP_2)
	v_add_f64 v[1:2], v[193:194], -v[1:2]
	v_add_f64 v[3:4], v[195:196], -v[3:4]
	scratch_store_b128 off, v[1:4], off offset:656
	v_cmpx_lt_u32_e32 40, v142
	s_cbranch_execz .LBB113_233
; %bb.232:
	scratch_load_b128 v[1:4], v145, off
	v_mov_b32_e32 v5, 0
	s_delay_alu instid0(VALU_DEP_1)
	v_mov_b32_e32 v6, v5
	v_mov_b32_e32 v7, v5
	;; [unrolled: 1-line block ×3, first 2 shown]
	scratch_store_b128 off, v[5:8], off offset:640
	s_waitcnt vmcnt(0)
	ds_store_b128 v192, v[1:4]
.LBB113_233:
	s_or_b32 exec_lo, exec_lo, s2
	s_waitcnt lgkmcnt(0)
	s_waitcnt_vscnt null, 0x0
	s_barrier
	buffer_gl0_inv
	s_clause 0x7
	scratch_load_b128 v[2:5], off, off offset:656
	scratch_load_b128 v[6:9], off, off offset:672
	;; [unrolled: 1-line block ×8, first 2 shown]
	v_mov_b32_e32 v1, 0
	s_mov_b32 s2, exec_lo
	ds_load_b128 v[34:37], v1 offset:1456
	s_clause 0x1
	scratch_load_b128 v[38:41], off, off offset:784
	scratch_load_b128 v[193:196], off, off offset:640
	ds_load_b128 v[197:200], v1 offset:1472
	s_waitcnt vmcnt(9) lgkmcnt(1)
	v_mul_f64 v[201:202], v[36:37], v[4:5]
	v_mul_f64 v[4:5], v[34:35], v[4:5]
	s_waitcnt vmcnt(8) lgkmcnt(0)
	v_mul_f64 v[203:204], v[197:198], v[8:9]
	v_mul_f64 v[8:9], v[199:200], v[8:9]
	s_delay_alu instid0(VALU_DEP_4) | instskip(NEXT) | instid1(VALU_DEP_4)
	v_fma_f64 v[201:202], v[34:35], v[2:3], -v[201:202]
	v_fma_f64 v[205:206], v[36:37], v[2:3], v[4:5]
	ds_load_b128 v[2:5], v1 offset:1488
	ds_load_b128 v[34:37], v1 offset:1504
	v_fma_f64 v[199:200], v[199:200], v[6:7], v[203:204]
	v_fma_f64 v[6:7], v[197:198], v[6:7], -v[8:9]
	s_waitcnt vmcnt(7) lgkmcnt(1)
	v_mul_f64 v[207:208], v[2:3], v[12:13]
	v_mul_f64 v[12:13], v[4:5], v[12:13]
	v_add_f64 v[8:9], v[201:202], 0
	v_add_f64 v[197:198], v[205:206], 0
	s_waitcnt vmcnt(6) lgkmcnt(0)
	v_mul_f64 v[201:202], v[34:35], v[16:17]
	v_mul_f64 v[16:17], v[36:37], v[16:17]
	v_fma_f64 v[203:204], v[4:5], v[10:11], v[207:208]
	v_fma_f64 v[10:11], v[2:3], v[10:11], -v[12:13]
	v_add_f64 v[12:13], v[8:9], v[6:7]
	v_add_f64 v[197:198], v[197:198], v[199:200]
	ds_load_b128 v[2:5], v1 offset:1520
	ds_load_b128 v[6:9], v1 offset:1536
	v_fma_f64 v[36:37], v[36:37], v[14:15], v[201:202]
	v_fma_f64 v[14:15], v[34:35], v[14:15], -v[16:17]
	s_waitcnt vmcnt(5) lgkmcnt(1)
	v_mul_f64 v[199:200], v[2:3], v[20:21]
	v_mul_f64 v[20:21], v[4:5], v[20:21]
	s_waitcnt vmcnt(4) lgkmcnt(0)
	v_mul_f64 v[16:17], v[6:7], v[24:25]
	v_mul_f64 v[24:25], v[8:9], v[24:25]
	v_add_f64 v[10:11], v[12:13], v[10:11]
	v_add_f64 v[12:13], v[197:198], v[203:204]
	v_fma_f64 v[34:35], v[4:5], v[18:19], v[199:200]
	v_fma_f64 v[18:19], v[2:3], v[18:19], -v[20:21]
	v_fma_f64 v[8:9], v[8:9], v[22:23], v[16:17]
	v_fma_f64 v[6:7], v[6:7], v[22:23], -v[24:25]
	v_add_f64 v[14:15], v[10:11], v[14:15]
	v_add_f64 v[20:21], v[12:13], v[36:37]
	ds_load_b128 v[2:5], v1 offset:1552
	ds_load_b128 v[10:13], v1 offset:1568
	s_waitcnt vmcnt(3) lgkmcnt(1)
	v_mul_f64 v[36:37], v[2:3], v[28:29]
	v_mul_f64 v[28:29], v[4:5], v[28:29]
	v_add_f64 v[14:15], v[14:15], v[18:19]
	v_add_f64 v[16:17], v[20:21], v[34:35]
	s_waitcnt vmcnt(2) lgkmcnt(0)
	v_mul_f64 v[18:19], v[10:11], v[32:33]
	v_mul_f64 v[20:21], v[12:13], v[32:33]
	v_fma_f64 v[22:23], v[4:5], v[26:27], v[36:37]
	v_fma_f64 v[24:25], v[2:3], v[26:27], -v[28:29]
	ds_load_b128 v[2:5], v1 offset:1584
	v_add_f64 v[6:7], v[14:15], v[6:7]
	v_add_f64 v[8:9], v[16:17], v[8:9]
	v_fma_f64 v[12:13], v[12:13], v[30:31], v[18:19]
	v_fma_f64 v[10:11], v[10:11], v[30:31], -v[20:21]
	s_waitcnt vmcnt(1) lgkmcnt(0)
	v_mul_f64 v[14:15], v[2:3], v[40:41]
	v_mul_f64 v[16:17], v[4:5], v[40:41]
	v_add_f64 v[6:7], v[6:7], v[24:25]
	v_add_f64 v[8:9], v[8:9], v[22:23]
	s_delay_alu instid0(VALU_DEP_4) | instskip(NEXT) | instid1(VALU_DEP_4)
	v_fma_f64 v[4:5], v[4:5], v[38:39], v[14:15]
	v_fma_f64 v[2:3], v[2:3], v[38:39], -v[16:17]
	s_delay_alu instid0(VALU_DEP_4) | instskip(NEXT) | instid1(VALU_DEP_4)
	v_add_f64 v[6:7], v[6:7], v[10:11]
	v_add_f64 v[8:9], v[8:9], v[12:13]
	s_delay_alu instid0(VALU_DEP_2) | instskip(NEXT) | instid1(VALU_DEP_2)
	v_add_f64 v[2:3], v[6:7], v[2:3]
	v_add_f64 v[4:5], v[8:9], v[4:5]
	s_waitcnt vmcnt(0)
	s_delay_alu instid0(VALU_DEP_2) | instskip(NEXT) | instid1(VALU_DEP_2)
	v_add_f64 v[2:3], v[193:194], -v[2:3]
	v_add_f64 v[4:5], v[195:196], -v[4:5]
	scratch_store_b128 off, v[2:5], off offset:640
	v_cmpx_lt_u32_e32 39, v142
	s_cbranch_execz .LBB113_235
; %bb.234:
	scratch_load_b128 v[5:8], v147, off
	v_mov_b32_e32 v2, v1
	v_mov_b32_e32 v3, v1
	;; [unrolled: 1-line block ×3, first 2 shown]
	scratch_store_b128 off, v[1:4], off offset:624
	s_waitcnt vmcnt(0)
	ds_store_b128 v192, v[5:8]
.LBB113_235:
	s_or_b32 exec_lo, exec_lo, s2
	s_waitcnt lgkmcnt(0)
	s_waitcnt_vscnt null, 0x0
	s_barrier
	buffer_gl0_inv
	s_clause 0x8
	scratch_load_b128 v[2:5], off, off offset:640
	scratch_load_b128 v[6:9], off, off offset:656
	;; [unrolled: 1-line block ×9, first 2 shown]
	ds_load_b128 v[38:41], v1 offset:1440
	ds_load_b128 v[193:196], v1 offset:1456
	s_clause 0x1
	scratch_load_b128 v[197:200], off, off offset:624
	scratch_load_b128 v[201:204], off, off offset:784
	s_mov_b32 s2, exec_lo
	s_waitcnt vmcnt(10) lgkmcnt(1)
	v_mul_f64 v[205:206], v[40:41], v[4:5]
	v_mul_f64 v[4:5], v[38:39], v[4:5]
	s_waitcnt vmcnt(9) lgkmcnt(0)
	v_mul_f64 v[207:208], v[193:194], v[8:9]
	v_mul_f64 v[8:9], v[195:196], v[8:9]
	s_delay_alu instid0(VALU_DEP_4) | instskip(NEXT) | instid1(VALU_DEP_4)
	v_fma_f64 v[205:206], v[38:39], v[2:3], -v[205:206]
	v_fma_f64 v[209:210], v[40:41], v[2:3], v[4:5]
	ds_load_b128 v[2:5], v1 offset:1472
	ds_load_b128 v[38:41], v1 offset:1488
	v_fma_f64 v[195:196], v[195:196], v[6:7], v[207:208]
	v_fma_f64 v[6:7], v[193:194], v[6:7], -v[8:9]
	s_waitcnt vmcnt(8) lgkmcnt(1)
	v_mul_f64 v[211:212], v[2:3], v[12:13]
	v_mul_f64 v[12:13], v[4:5], v[12:13]
	v_add_f64 v[8:9], v[205:206], 0
	v_add_f64 v[193:194], v[209:210], 0
	s_waitcnt vmcnt(7) lgkmcnt(0)
	v_mul_f64 v[205:206], v[38:39], v[16:17]
	v_mul_f64 v[16:17], v[40:41], v[16:17]
	v_fma_f64 v[207:208], v[4:5], v[10:11], v[211:212]
	v_fma_f64 v[10:11], v[2:3], v[10:11], -v[12:13]
	v_add_f64 v[12:13], v[8:9], v[6:7]
	v_add_f64 v[193:194], v[193:194], v[195:196]
	ds_load_b128 v[2:5], v1 offset:1504
	ds_load_b128 v[6:9], v1 offset:1520
	v_fma_f64 v[40:41], v[40:41], v[14:15], v[205:206]
	v_fma_f64 v[14:15], v[38:39], v[14:15], -v[16:17]
	s_waitcnt vmcnt(6) lgkmcnt(1)
	v_mul_f64 v[195:196], v[2:3], v[20:21]
	v_mul_f64 v[20:21], v[4:5], v[20:21]
	s_waitcnt vmcnt(5) lgkmcnt(0)
	v_mul_f64 v[16:17], v[6:7], v[24:25]
	v_mul_f64 v[24:25], v[8:9], v[24:25]
	v_add_f64 v[10:11], v[12:13], v[10:11]
	v_add_f64 v[12:13], v[193:194], v[207:208]
	v_fma_f64 v[38:39], v[4:5], v[18:19], v[195:196]
	v_fma_f64 v[18:19], v[2:3], v[18:19], -v[20:21]
	v_fma_f64 v[8:9], v[8:9], v[22:23], v[16:17]
	v_fma_f64 v[6:7], v[6:7], v[22:23], -v[24:25]
	v_add_f64 v[14:15], v[10:11], v[14:15]
	v_add_f64 v[20:21], v[12:13], v[40:41]
	ds_load_b128 v[2:5], v1 offset:1536
	ds_load_b128 v[10:13], v1 offset:1552
	s_waitcnt vmcnt(4) lgkmcnt(1)
	v_mul_f64 v[40:41], v[2:3], v[28:29]
	v_mul_f64 v[28:29], v[4:5], v[28:29]
	v_add_f64 v[14:15], v[14:15], v[18:19]
	v_add_f64 v[16:17], v[20:21], v[38:39]
	s_waitcnt vmcnt(3) lgkmcnt(0)
	v_mul_f64 v[18:19], v[10:11], v[32:33]
	v_mul_f64 v[20:21], v[12:13], v[32:33]
	v_fma_f64 v[22:23], v[4:5], v[26:27], v[40:41]
	v_fma_f64 v[24:25], v[2:3], v[26:27], -v[28:29]
	v_add_f64 v[14:15], v[14:15], v[6:7]
	v_add_f64 v[16:17], v[16:17], v[8:9]
	ds_load_b128 v[2:5], v1 offset:1568
	ds_load_b128 v[6:9], v1 offset:1584
	v_fma_f64 v[12:13], v[12:13], v[30:31], v[18:19]
	v_fma_f64 v[10:11], v[10:11], v[30:31], -v[20:21]
	s_waitcnt vmcnt(2) lgkmcnt(1)
	v_mul_f64 v[26:27], v[2:3], v[36:37]
	v_mul_f64 v[28:29], v[4:5], v[36:37]
	s_waitcnt vmcnt(0) lgkmcnt(0)
	v_mul_f64 v[18:19], v[6:7], v[203:204]
	v_mul_f64 v[20:21], v[8:9], v[203:204]
	v_add_f64 v[14:15], v[14:15], v[24:25]
	v_add_f64 v[16:17], v[16:17], v[22:23]
	v_fma_f64 v[4:5], v[4:5], v[34:35], v[26:27]
	v_fma_f64 v[1:2], v[2:3], v[34:35], -v[28:29]
	v_fma_f64 v[8:9], v[8:9], v[201:202], v[18:19]
	v_fma_f64 v[6:7], v[6:7], v[201:202], -v[20:21]
	v_add_f64 v[10:11], v[14:15], v[10:11]
	v_add_f64 v[12:13], v[16:17], v[12:13]
	s_delay_alu instid0(VALU_DEP_2) | instskip(NEXT) | instid1(VALU_DEP_2)
	v_add_f64 v[1:2], v[10:11], v[1:2]
	v_add_f64 v[3:4], v[12:13], v[4:5]
	s_delay_alu instid0(VALU_DEP_2) | instskip(NEXT) | instid1(VALU_DEP_2)
	v_add_f64 v[1:2], v[1:2], v[6:7]
	v_add_f64 v[3:4], v[3:4], v[8:9]
	s_delay_alu instid0(VALU_DEP_2) | instskip(NEXT) | instid1(VALU_DEP_2)
	v_add_f64 v[1:2], v[197:198], -v[1:2]
	v_add_f64 v[3:4], v[199:200], -v[3:4]
	scratch_store_b128 off, v[1:4], off offset:624
	v_cmpx_lt_u32_e32 38, v142
	s_cbranch_execz .LBB113_237
; %bb.236:
	scratch_load_b128 v[1:4], v146, off
	v_mov_b32_e32 v5, 0
	s_delay_alu instid0(VALU_DEP_1)
	v_mov_b32_e32 v6, v5
	v_mov_b32_e32 v7, v5
	;; [unrolled: 1-line block ×3, first 2 shown]
	scratch_store_b128 off, v[5:8], off offset:608
	s_waitcnt vmcnt(0)
	ds_store_b128 v192, v[1:4]
.LBB113_237:
	s_or_b32 exec_lo, exec_lo, s2
	s_waitcnt lgkmcnt(0)
	s_waitcnt_vscnt null, 0x0
	s_barrier
	buffer_gl0_inv
	s_clause 0x7
	scratch_load_b128 v[2:5], off, off offset:624
	scratch_load_b128 v[6:9], off, off offset:640
	;; [unrolled: 1-line block ×8, first 2 shown]
	v_mov_b32_e32 v1, 0
	s_clause 0x1
	scratch_load_b128 v[38:41], off, off offset:752
	scratch_load_b128 v[197:200], off, off offset:768
	s_mov_b32 s2, exec_lo
	ds_load_b128 v[34:37], v1 offset:1424
	ds_load_b128 v[193:196], v1 offset:1440
	s_waitcnt vmcnt(9) lgkmcnt(1)
	v_mul_f64 v[201:202], v[36:37], v[4:5]
	v_mul_f64 v[4:5], v[34:35], v[4:5]
	s_waitcnt vmcnt(8) lgkmcnt(0)
	v_mul_f64 v[203:204], v[193:194], v[8:9]
	v_mul_f64 v[8:9], v[195:196], v[8:9]
	s_delay_alu instid0(VALU_DEP_4) | instskip(NEXT) | instid1(VALU_DEP_4)
	v_fma_f64 v[201:202], v[34:35], v[2:3], -v[201:202]
	v_fma_f64 v[205:206], v[36:37], v[2:3], v[4:5]
	ds_load_b128 v[2:5], v1 offset:1456
	scratch_load_b128 v[34:37], off, off offset:784
	v_fma_f64 v[195:196], v[195:196], v[6:7], v[203:204]
	v_fma_f64 v[193:194], v[193:194], v[6:7], -v[8:9]
	ds_load_b128 v[6:9], v1 offset:1472
	s_waitcnt vmcnt(8) lgkmcnt(1)
	v_mul_f64 v[207:208], v[2:3], v[12:13]
	v_mul_f64 v[12:13], v[4:5], v[12:13]
	v_add_f64 v[201:202], v[201:202], 0
	v_add_f64 v[203:204], v[205:206], 0
	s_waitcnt vmcnt(7) lgkmcnt(0)
	v_mul_f64 v[205:206], v[6:7], v[16:17]
	v_mul_f64 v[16:17], v[8:9], v[16:17]
	v_fma_f64 v[207:208], v[4:5], v[10:11], v[207:208]
	v_fma_f64 v[10:11], v[2:3], v[10:11], -v[12:13]
	ds_load_b128 v[2:5], v1 offset:1488
	v_add_f64 v[12:13], v[201:202], v[193:194]
	v_add_f64 v[193:194], v[203:204], v[195:196]
	v_fma_f64 v[201:202], v[8:9], v[14:15], v[205:206]
	v_fma_f64 v[14:15], v[6:7], v[14:15], -v[16:17]
	ds_load_b128 v[6:9], v1 offset:1504
	s_waitcnt vmcnt(6) lgkmcnt(1)
	v_mul_f64 v[195:196], v[2:3], v[20:21]
	v_mul_f64 v[20:21], v[4:5], v[20:21]
	s_waitcnt vmcnt(5) lgkmcnt(0)
	v_mul_f64 v[203:204], v[6:7], v[24:25]
	v_mul_f64 v[24:25], v[8:9], v[24:25]
	v_add_f64 v[16:17], v[12:13], v[10:11]
	v_add_f64 v[193:194], v[193:194], v[207:208]
	scratch_load_b128 v[10:13], off, off offset:608
	v_fma_f64 v[195:196], v[4:5], v[18:19], v[195:196]
	v_fma_f64 v[18:19], v[2:3], v[18:19], -v[20:21]
	ds_load_b128 v[2:5], v1 offset:1520
	v_add_f64 v[14:15], v[16:17], v[14:15]
	v_add_f64 v[16:17], v[193:194], v[201:202]
	v_fma_f64 v[193:194], v[8:9], v[22:23], v[203:204]
	v_fma_f64 v[22:23], v[6:7], v[22:23], -v[24:25]
	ds_load_b128 v[6:9], v1 offset:1536
	s_waitcnt vmcnt(5) lgkmcnt(1)
	v_mul_f64 v[20:21], v[2:3], v[28:29]
	v_mul_f64 v[28:29], v[4:5], v[28:29]
	s_waitcnt vmcnt(4) lgkmcnt(0)
	v_mul_f64 v[24:25], v[8:9], v[32:33]
	v_add_f64 v[14:15], v[14:15], v[18:19]
	v_add_f64 v[16:17], v[16:17], v[195:196]
	v_mul_f64 v[18:19], v[6:7], v[32:33]
	v_fma_f64 v[20:21], v[4:5], v[26:27], v[20:21]
	v_fma_f64 v[26:27], v[2:3], v[26:27], -v[28:29]
	ds_load_b128 v[2:5], v1 offset:1552
	v_fma_f64 v[24:25], v[6:7], v[30:31], -v[24:25]
	v_add_f64 v[14:15], v[14:15], v[22:23]
	v_add_f64 v[16:17], v[16:17], v[193:194]
	v_fma_f64 v[18:19], v[8:9], v[30:31], v[18:19]
	ds_load_b128 v[6:9], v1 offset:1568
	s_waitcnt vmcnt(3) lgkmcnt(1)
	v_mul_f64 v[22:23], v[2:3], v[40:41]
	v_mul_f64 v[28:29], v[4:5], v[40:41]
	v_add_f64 v[14:15], v[14:15], v[26:27]
	v_add_f64 v[16:17], v[16:17], v[20:21]
	s_waitcnt vmcnt(2) lgkmcnt(0)
	v_mul_f64 v[20:21], v[6:7], v[199:200]
	v_mul_f64 v[26:27], v[8:9], v[199:200]
	v_fma_f64 v[22:23], v[4:5], v[38:39], v[22:23]
	v_fma_f64 v[28:29], v[2:3], v[38:39], -v[28:29]
	ds_load_b128 v[2:5], v1 offset:1584
	v_add_f64 v[14:15], v[14:15], v[24:25]
	v_add_f64 v[16:17], v[16:17], v[18:19]
	v_fma_f64 v[8:9], v[8:9], v[197:198], v[20:21]
	v_fma_f64 v[6:7], v[6:7], v[197:198], -v[26:27]
	s_waitcnt vmcnt(1) lgkmcnt(0)
	v_mul_f64 v[18:19], v[2:3], v[36:37]
	v_mul_f64 v[24:25], v[4:5], v[36:37]
	v_add_f64 v[14:15], v[14:15], v[28:29]
	v_add_f64 v[16:17], v[16:17], v[22:23]
	s_delay_alu instid0(VALU_DEP_4) | instskip(NEXT) | instid1(VALU_DEP_4)
	v_fma_f64 v[4:5], v[4:5], v[34:35], v[18:19]
	v_fma_f64 v[2:3], v[2:3], v[34:35], -v[24:25]
	s_delay_alu instid0(VALU_DEP_4) | instskip(NEXT) | instid1(VALU_DEP_4)
	v_add_f64 v[6:7], v[14:15], v[6:7]
	v_add_f64 v[8:9], v[16:17], v[8:9]
	s_delay_alu instid0(VALU_DEP_2) | instskip(NEXT) | instid1(VALU_DEP_2)
	v_add_f64 v[2:3], v[6:7], v[2:3]
	v_add_f64 v[4:5], v[8:9], v[4:5]
	s_waitcnt vmcnt(0)
	s_delay_alu instid0(VALU_DEP_2) | instskip(NEXT) | instid1(VALU_DEP_2)
	v_add_f64 v[2:3], v[10:11], -v[2:3]
	v_add_f64 v[4:5], v[12:13], -v[4:5]
	scratch_store_b128 off, v[2:5], off offset:608
	v_cmpx_lt_u32_e32 37, v142
	s_cbranch_execz .LBB113_239
; %bb.238:
	scratch_load_b128 v[5:8], v154, off
	v_mov_b32_e32 v2, v1
	v_mov_b32_e32 v3, v1
	;; [unrolled: 1-line block ×3, first 2 shown]
	scratch_store_b128 off, v[1:4], off offset:592
	s_waitcnt vmcnt(0)
	ds_store_b128 v192, v[5:8]
.LBB113_239:
	s_or_b32 exec_lo, exec_lo, s2
	s_waitcnt lgkmcnt(0)
	s_waitcnt_vscnt null, 0x0
	s_barrier
	buffer_gl0_inv
	s_clause 0x7
	scratch_load_b128 v[2:5], off, off offset:608
	scratch_load_b128 v[6:9], off, off offset:624
	;; [unrolled: 1-line block ×8, first 2 shown]
	ds_load_b128 v[34:37], v1 offset:1408
	ds_load_b128 v[193:196], v1 offset:1424
	s_clause 0x1
	scratch_load_b128 v[38:41], off, off offset:736
	scratch_load_b128 v[197:200], off, off offset:752
	s_mov_b32 s2, exec_lo
	s_waitcnt vmcnt(9) lgkmcnt(1)
	v_mul_f64 v[201:202], v[36:37], v[4:5]
	v_mul_f64 v[4:5], v[34:35], v[4:5]
	s_waitcnt vmcnt(8) lgkmcnt(0)
	v_mul_f64 v[203:204], v[193:194], v[8:9]
	v_mul_f64 v[8:9], v[195:196], v[8:9]
	s_delay_alu instid0(VALU_DEP_4) | instskip(NEXT) | instid1(VALU_DEP_4)
	v_fma_f64 v[201:202], v[34:35], v[2:3], -v[201:202]
	v_fma_f64 v[205:206], v[36:37], v[2:3], v[4:5]
	scratch_load_b128 v[34:37], off, off offset:768
	ds_load_b128 v[2:5], v1 offset:1440
	v_fma_f64 v[203:204], v[195:196], v[6:7], v[203:204]
	v_fma_f64 v[209:210], v[193:194], v[6:7], -v[8:9]
	ds_load_b128 v[6:9], v1 offset:1456
	scratch_load_b128 v[193:196], off, off offset:784
	s_waitcnt vmcnt(9) lgkmcnt(1)
	v_mul_f64 v[207:208], v[2:3], v[12:13]
	v_mul_f64 v[12:13], v[4:5], v[12:13]
	s_waitcnt vmcnt(8) lgkmcnt(0)
	v_mul_f64 v[211:212], v[6:7], v[16:17]
	v_mul_f64 v[16:17], v[8:9], v[16:17]
	v_add_f64 v[201:202], v[201:202], 0
	v_add_f64 v[205:206], v[205:206], 0
	v_fma_f64 v[207:208], v[4:5], v[10:11], v[207:208]
	v_fma_f64 v[10:11], v[2:3], v[10:11], -v[12:13]
	ds_load_b128 v[2:5], v1 offset:1472
	v_add_f64 v[12:13], v[201:202], v[209:210]
	v_add_f64 v[201:202], v[205:206], v[203:204]
	v_fma_f64 v[205:206], v[8:9], v[14:15], v[211:212]
	v_fma_f64 v[14:15], v[6:7], v[14:15], -v[16:17]
	ds_load_b128 v[6:9], v1 offset:1488
	s_waitcnt vmcnt(7) lgkmcnt(1)
	v_mul_f64 v[203:204], v[2:3], v[20:21]
	v_mul_f64 v[20:21], v[4:5], v[20:21]
	s_waitcnt vmcnt(6) lgkmcnt(0)
	v_mul_f64 v[16:17], v[6:7], v[24:25]
	v_mul_f64 v[24:25], v[8:9], v[24:25]
	v_add_f64 v[10:11], v[12:13], v[10:11]
	v_add_f64 v[12:13], v[201:202], v[207:208]
	v_fma_f64 v[201:202], v[4:5], v[18:19], v[203:204]
	v_fma_f64 v[18:19], v[2:3], v[18:19], -v[20:21]
	ds_load_b128 v[2:5], v1 offset:1504
	v_fma_f64 v[16:17], v[8:9], v[22:23], v[16:17]
	v_fma_f64 v[22:23], v[6:7], v[22:23], -v[24:25]
	ds_load_b128 v[6:9], v1 offset:1520
	s_waitcnt vmcnt(5) lgkmcnt(1)
	v_mul_f64 v[203:204], v[2:3], v[28:29]
	v_mul_f64 v[28:29], v[4:5], v[28:29]
	v_add_f64 v[14:15], v[10:11], v[14:15]
	v_add_f64 v[20:21], v[12:13], v[205:206]
	scratch_load_b128 v[10:13], off, off offset:592
	s_waitcnt vmcnt(5) lgkmcnt(0)
	v_mul_f64 v[24:25], v[8:9], v[32:33]
	v_add_f64 v[14:15], v[14:15], v[18:19]
	v_add_f64 v[18:19], v[20:21], v[201:202]
	v_mul_f64 v[20:21], v[6:7], v[32:33]
	v_fma_f64 v[32:33], v[4:5], v[26:27], v[203:204]
	v_fma_f64 v[26:27], v[2:3], v[26:27], -v[28:29]
	ds_load_b128 v[2:5], v1 offset:1536
	v_fma_f64 v[24:25], v[6:7], v[30:31], -v[24:25]
	v_add_f64 v[14:15], v[14:15], v[22:23]
	v_add_f64 v[16:17], v[18:19], v[16:17]
	v_fma_f64 v[20:21], v[8:9], v[30:31], v[20:21]
	ds_load_b128 v[6:9], v1 offset:1552
	s_waitcnt vmcnt(4) lgkmcnt(1)
	v_mul_f64 v[18:19], v[2:3], v[40:41]
	v_mul_f64 v[22:23], v[4:5], v[40:41]
	s_waitcnt vmcnt(3) lgkmcnt(0)
	v_mul_f64 v[28:29], v[8:9], v[199:200]
	v_add_f64 v[14:15], v[14:15], v[26:27]
	v_add_f64 v[16:17], v[16:17], v[32:33]
	v_mul_f64 v[26:27], v[6:7], v[199:200]
	v_fma_f64 v[18:19], v[4:5], v[38:39], v[18:19]
	v_fma_f64 v[22:23], v[2:3], v[38:39], -v[22:23]
	ds_load_b128 v[2:5], v1 offset:1568
	v_fma_f64 v[28:29], v[6:7], v[197:198], -v[28:29]
	v_add_f64 v[14:15], v[14:15], v[24:25]
	v_add_f64 v[16:17], v[16:17], v[20:21]
	v_fma_f64 v[26:27], v[8:9], v[197:198], v[26:27]
	ds_load_b128 v[6:9], v1 offset:1584
	s_waitcnt vmcnt(2) lgkmcnt(1)
	v_mul_f64 v[20:21], v[2:3], v[36:37]
	v_mul_f64 v[24:25], v[4:5], v[36:37]
	v_add_f64 v[14:15], v[14:15], v[22:23]
	v_add_f64 v[16:17], v[16:17], v[18:19]
	s_waitcnt vmcnt(1) lgkmcnt(0)
	v_mul_f64 v[18:19], v[6:7], v[195:196]
	v_mul_f64 v[22:23], v[8:9], v[195:196]
	v_fma_f64 v[4:5], v[4:5], v[34:35], v[20:21]
	v_fma_f64 v[1:2], v[2:3], v[34:35], -v[24:25]
	v_add_f64 v[14:15], v[14:15], v[28:29]
	v_add_f64 v[16:17], v[16:17], v[26:27]
	v_fma_f64 v[8:9], v[8:9], v[193:194], v[18:19]
	v_fma_f64 v[6:7], v[6:7], v[193:194], -v[22:23]
	s_delay_alu instid0(VALU_DEP_4) | instskip(NEXT) | instid1(VALU_DEP_4)
	v_add_f64 v[1:2], v[14:15], v[1:2]
	v_add_f64 v[3:4], v[16:17], v[4:5]
	s_delay_alu instid0(VALU_DEP_2) | instskip(NEXT) | instid1(VALU_DEP_2)
	v_add_f64 v[1:2], v[1:2], v[6:7]
	v_add_f64 v[3:4], v[3:4], v[8:9]
	s_waitcnt vmcnt(0)
	s_delay_alu instid0(VALU_DEP_2) | instskip(NEXT) | instid1(VALU_DEP_2)
	v_add_f64 v[1:2], v[10:11], -v[1:2]
	v_add_f64 v[3:4], v[12:13], -v[3:4]
	scratch_store_b128 off, v[1:4], off offset:592
	v_cmpx_lt_u32_e32 36, v142
	s_cbranch_execz .LBB113_241
; %bb.240:
	scratch_load_b128 v[1:4], v155, off
	v_mov_b32_e32 v5, 0
	s_delay_alu instid0(VALU_DEP_1)
	v_mov_b32_e32 v6, v5
	v_mov_b32_e32 v7, v5
	v_mov_b32_e32 v8, v5
	scratch_store_b128 off, v[5:8], off offset:576
	s_waitcnt vmcnt(0)
	ds_store_b128 v192, v[1:4]
.LBB113_241:
	s_or_b32 exec_lo, exec_lo, s2
	s_waitcnt lgkmcnt(0)
	s_waitcnt_vscnt null, 0x0
	s_barrier
	buffer_gl0_inv
	s_clause 0x7
	scratch_load_b128 v[2:5], off, off offset:592
	scratch_load_b128 v[6:9], off, off offset:608
	;; [unrolled: 1-line block ×8, first 2 shown]
	v_mov_b32_e32 v1, 0
	s_clause 0x1
	scratch_load_b128 v[38:41], off, off offset:720
	scratch_load_b128 v[197:200], off, off offset:736
	s_mov_b32 s2, exec_lo
	ds_load_b128 v[34:37], v1 offset:1392
	ds_load_b128 v[193:196], v1 offset:1408
	s_waitcnt vmcnt(9) lgkmcnt(1)
	v_mul_f64 v[201:202], v[36:37], v[4:5]
	v_mul_f64 v[4:5], v[34:35], v[4:5]
	s_waitcnt vmcnt(8) lgkmcnt(0)
	v_mul_f64 v[203:204], v[193:194], v[8:9]
	v_mul_f64 v[8:9], v[195:196], v[8:9]
	s_delay_alu instid0(VALU_DEP_4) | instskip(NEXT) | instid1(VALU_DEP_4)
	v_fma_f64 v[201:202], v[34:35], v[2:3], -v[201:202]
	v_fma_f64 v[205:206], v[36:37], v[2:3], v[4:5]
	ds_load_b128 v[2:5], v1 offset:1424
	scratch_load_b128 v[34:37], off, off offset:752
	v_fma_f64 v[203:204], v[195:196], v[6:7], v[203:204]
	v_fma_f64 v[209:210], v[193:194], v[6:7], -v[8:9]
	ds_load_b128 v[6:9], v1 offset:1440
	scratch_load_b128 v[193:196], off, off offset:768
	s_waitcnt vmcnt(9) lgkmcnt(1)
	v_mul_f64 v[207:208], v[2:3], v[12:13]
	v_mul_f64 v[12:13], v[4:5], v[12:13]
	s_waitcnt vmcnt(8) lgkmcnt(0)
	v_mul_f64 v[211:212], v[6:7], v[16:17]
	v_mul_f64 v[16:17], v[8:9], v[16:17]
	v_add_f64 v[201:202], v[201:202], 0
	v_add_f64 v[205:206], v[205:206], 0
	v_fma_f64 v[207:208], v[4:5], v[10:11], v[207:208]
	v_fma_f64 v[213:214], v[2:3], v[10:11], -v[12:13]
	scratch_load_b128 v[10:13], off, off offset:784
	ds_load_b128 v[2:5], v1 offset:1456
	v_add_f64 v[201:202], v[201:202], v[209:210]
	v_add_f64 v[203:204], v[205:206], v[203:204]
	v_fma_f64 v[209:210], v[8:9], v[14:15], v[211:212]
	v_fma_f64 v[14:15], v[6:7], v[14:15], -v[16:17]
	ds_load_b128 v[6:9], v1 offset:1472
	s_waitcnt vmcnt(8) lgkmcnt(1)
	v_mul_f64 v[205:206], v[2:3], v[20:21]
	v_mul_f64 v[20:21], v[4:5], v[20:21]
	v_add_f64 v[16:17], v[201:202], v[213:214]
	v_add_f64 v[201:202], v[203:204], v[207:208]
	s_waitcnt vmcnt(7) lgkmcnt(0)
	v_mul_f64 v[203:204], v[6:7], v[24:25]
	v_mul_f64 v[24:25], v[8:9], v[24:25]
	v_fma_f64 v[205:206], v[4:5], v[18:19], v[205:206]
	v_fma_f64 v[18:19], v[2:3], v[18:19], -v[20:21]
	ds_load_b128 v[2:5], v1 offset:1488
	v_add_f64 v[14:15], v[16:17], v[14:15]
	v_add_f64 v[16:17], v[201:202], v[209:210]
	v_fma_f64 v[201:202], v[8:9], v[22:23], v[203:204]
	v_fma_f64 v[22:23], v[6:7], v[22:23], -v[24:25]
	ds_load_b128 v[6:9], v1 offset:1504
	s_waitcnt vmcnt(6) lgkmcnt(1)
	v_mul_f64 v[20:21], v[2:3], v[28:29]
	v_mul_f64 v[28:29], v[4:5], v[28:29]
	s_waitcnt vmcnt(5) lgkmcnt(0)
	v_mul_f64 v[203:204], v[6:7], v[32:33]
	v_mul_f64 v[32:33], v[8:9], v[32:33]
	v_add_f64 v[18:19], v[14:15], v[18:19]
	v_add_f64 v[24:25], v[16:17], v[205:206]
	scratch_load_b128 v[14:17], off, off offset:576
	v_fma_f64 v[20:21], v[4:5], v[26:27], v[20:21]
	v_fma_f64 v[26:27], v[2:3], v[26:27], -v[28:29]
	ds_load_b128 v[2:5], v1 offset:1520
	s_waitcnt vmcnt(5) lgkmcnt(0)
	v_mul_f64 v[28:29], v[4:5], v[40:41]
	v_add_f64 v[18:19], v[18:19], v[22:23]
	v_add_f64 v[22:23], v[24:25], v[201:202]
	v_mul_f64 v[24:25], v[2:3], v[40:41]
	v_fma_f64 v[40:41], v[8:9], v[30:31], v[203:204]
	v_fma_f64 v[30:31], v[6:7], v[30:31], -v[32:33]
	ds_load_b128 v[6:9], v1 offset:1536
	v_fma_f64 v[28:29], v[2:3], v[38:39], -v[28:29]
	v_add_f64 v[18:19], v[18:19], v[26:27]
	v_add_f64 v[20:21], v[22:23], v[20:21]
	v_fma_f64 v[24:25], v[4:5], v[38:39], v[24:25]
	ds_load_b128 v[2:5], v1 offset:1552
	s_waitcnt vmcnt(4) lgkmcnt(1)
	v_mul_f64 v[22:23], v[6:7], v[199:200]
	v_mul_f64 v[26:27], v[8:9], v[199:200]
	v_add_f64 v[18:19], v[18:19], v[30:31]
	v_add_f64 v[20:21], v[20:21], v[40:41]
	s_delay_alu instid0(VALU_DEP_4) | instskip(NEXT) | instid1(VALU_DEP_4)
	v_fma_f64 v[22:23], v[8:9], v[197:198], v[22:23]
	v_fma_f64 v[26:27], v[6:7], v[197:198], -v[26:27]
	ds_load_b128 v[6:9], v1 offset:1568
	s_waitcnt vmcnt(3) lgkmcnt(1)
	v_mul_f64 v[30:31], v[2:3], v[36:37]
	v_mul_f64 v[32:33], v[4:5], v[36:37]
	v_add_f64 v[18:19], v[18:19], v[28:29]
	v_add_f64 v[20:21], v[20:21], v[24:25]
	s_delay_alu instid0(VALU_DEP_4) | instskip(NEXT) | instid1(VALU_DEP_4)
	v_fma_f64 v[30:31], v[4:5], v[34:35], v[30:31]
	v_fma_f64 v[32:33], v[2:3], v[34:35], -v[32:33]
	ds_load_b128 v[2:5], v1 offset:1584
	s_waitcnt vmcnt(2) lgkmcnt(1)
	v_mul_f64 v[24:25], v[6:7], v[195:196]
	v_mul_f64 v[28:29], v[8:9], v[195:196]
	v_add_f64 v[18:19], v[18:19], v[26:27]
	v_add_f64 v[20:21], v[20:21], v[22:23]
	s_waitcnt vmcnt(1) lgkmcnt(0)
	v_mul_f64 v[22:23], v[2:3], v[12:13]
	v_mul_f64 v[12:13], v[4:5], v[12:13]
	v_fma_f64 v[8:9], v[8:9], v[193:194], v[24:25]
	v_fma_f64 v[6:7], v[6:7], v[193:194], -v[28:29]
	v_add_f64 v[18:19], v[18:19], v[32:33]
	v_add_f64 v[20:21], v[20:21], v[30:31]
	v_fma_f64 v[4:5], v[4:5], v[10:11], v[22:23]
	v_fma_f64 v[2:3], v[2:3], v[10:11], -v[12:13]
	s_delay_alu instid0(VALU_DEP_4) | instskip(NEXT) | instid1(VALU_DEP_4)
	v_add_f64 v[6:7], v[18:19], v[6:7]
	v_add_f64 v[8:9], v[20:21], v[8:9]
	s_delay_alu instid0(VALU_DEP_2) | instskip(NEXT) | instid1(VALU_DEP_2)
	v_add_f64 v[2:3], v[6:7], v[2:3]
	v_add_f64 v[4:5], v[8:9], v[4:5]
	s_waitcnt vmcnt(0)
	s_delay_alu instid0(VALU_DEP_2) | instskip(NEXT) | instid1(VALU_DEP_2)
	v_add_f64 v[2:3], v[14:15], -v[2:3]
	v_add_f64 v[4:5], v[16:17], -v[4:5]
	scratch_store_b128 off, v[2:5], off offset:576
	v_cmpx_lt_u32_e32 35, v142
	s_cbranch_execz .LBB113_243
; %bb.242:
	scratch_load_b128 v[5:8], v158, off
	v_mov_b32_e32 v2, v1
	v_mov_b32_e32 v3, v1
	;; [unrolled: 1-line block ×3, first 2 shown]
	scratch_store_b128 off, v[1:4], off offset:560
	s_waitcnt vmcnt(0)
	ds_store_b128 v192, v[5:8]
.LBB113_243:
	s_or_b32 exec_lo, exec_lo, s2
	s_waitcnt lgkmcnt(0)
	s_waitcnt_vscnt null, 0x0
	s_barrier
	buffer_gl0_inv
	s_clause 0x7
	scratch_load_b128 v[2:5], off, off offset:576
	scratch_load_b128 v[6:9], off, off offset:592
	;; [unrolled: 1-line block ×8, first 2 shown]
	ds_load_b128 v[34:37], v1 offset:1376
	ds_load_b128 v[193:196], v1 offset:1392
	s_clause 0x1
	scratch_load_b128 v[38:41], off, off offset:704
	scratch_load_b128 v[197:200], off, off offset:720
	s_mov_b32 s2, exec_lo
	s_waitcnt vmcnt(9) lgkmcnt(1)
	v_mul_f64 v[201:202], v[36:37], v[4:5]
	v_mul_f64 v[4:5], v[34:35], v[4:5]
	s_waitcnt vmcnt(8) lgkmcnt(0)
	v_mul_f64 v[203:204], v[193:194], v[8:9]
	v_mul_f64 v[8:9], v[195:196], v[8:9]
	s_delay_alu instid0(VALU_DEP_4) | instskip(NEXT) | instid1(VALU_DEP_4)
	v_fma_f64 v[201:202], v[34:35], v[2:3], -v[201:202]
	v_fma_f64 v[205:206], v[36:37], v[2:3], v[4:5]
	scratch_load_b128 v[34:37], off, off offset:736
	ds_load_b128 v[2:5], v1 offset:1408
	v_fma_f64 v[203:204], v[195:196], v[6:7], v[203:204]
	v_fma_f64 v[209:210], v[193:194], v[6:7], -v[8:9]
	ds_load_b128 v[6:9], v1 offset:1424
	scratch_load_b128 v[193:196], off, off offset:752
	s_waitcnt vmcnt(9) lgkmcnt(1)
	v_mul_f64 v[207:208], v[2:3], v[12:13]
	v_mul_f64 v[12:13], v[4:5], v[12:13]
	s_waitcnt vmcnt(8) lgkmcnt(0)
	v_mul_f64 v[211:212], v[6:7], v[16:17]
	v_mul_f64 v[16:17], v[8:9], v[16:17]
	v_add_f64 v[201:202], v[201:202], 0
	v_add_f64 v[205:206], v[205:206], 0
	v_fma_f64 v[207:208], v[4:5], v[10:11], v[207:208]
	v_fma_f64 v[213:214], v[2:3], v[10:11], -v[12:13]
	scratch_load_b128 v[10:13], off, off offset:768
	ds_load_b128 v[2:5], v1 offset:1440
	v_add_f64 v[201:202], v[201:202], v[209:210]
	v_add_f64 v[203:204], v[205:206], v[203:204]
	v_fma_f64 v[209:210], v[8:9], v[14:15], v[211:212]
	v_fma_f64 v[211:212], v[6:7], v[14:15], -v[16:17]
	ds_load_b128 v[6:9], v1 offset:1456
	scratch_load_b128 v[14:17], off, off offset:784
	s_waitcnt vmcnt(9) lgkmcnt(1)
	v_mul_f64 v[205:206], v[2:3], v[20:21]
	v_mul_f64 v[20:21], v[4:5], v[20:21]
	v_add_f64 v[201:202], v[201:202], v[213:214]
	v_add_f64 v[203:204], v[203:204], v[207:208]
	s_waitcnt vmcnt(8) lgkmcnt(0)
	v_mul_f64 v[207:208], v[6:7], v[24:25]
	v_mul_f64 v[24:25], v[8:9], v[24:25]
	v_fma_f64 v[205:206], v[4:5], v[18:19], v[205:206]
	v_fma_f64 v[18:19], v[2:3], v[18:19], -v[20:21]
	ds_load_b128 v[2:5], v1 offset:1472
	v_add_f64 v[20:21], v[201:202], v[211:212]
	v_add_f64 v[201:202], v[203:204], v[209:210]
	v_fma_f64 v[207:208], v[8:9], v[22:23], v[207:208]
	v_fma_f64 v[22:23], v[6:7], v[22:23], -v[24:25]
	ds_load_b128 v[6:9], v1 offset:1488
	s_waitcnt vmcnt(7) lgkmcnt(1)
	v_mul_f64 v[203:204], v[2:3], v[28:29]
	v_mul_f64 v[28:29], v[4:5], v[28:29]
	s_waitcnt vmcnt(6) lgkmcnt(0)
	v_mul_f64 v[24:25], v[6:7], v[32:33]
	v_mul_f64 v[32:33], v[8:9], v[32:33]
	v_add_f64 v[18:19], v[20:21], v[18:19]
	v_add_f64 v[20:21], v[201:202], v[205:206]
	v_fma_f64 v[201:202], v[4:5], v[26:27], v[203:204]
	v_fma_f64 v[26:27], v[2:3], v[26:27], -v[28:29]
	ds_load_b128 v[2:5], v1 offset:1504
	v_fma_f64 v[24:25], v[8:9], v[30:31], v[24:25]
	v_fma_f64 v[30:31], v[6:7], v[30:31], -v[32:33]
	ds_load_b128 v[6:9], v1 offset:1520
	v_add_f64 v[22:23], v[18:19], v[22:23]
	v_add_f64 v[28:29], v[20:21], v[207:208]
	scratch_load_b128 v[18:21], off, off offset:560
	s_waitcnt vmcnt(6) lgkmcnt(1)
	v_mul_f64 v[203:204], v[2:3], v[40:41]
	v_mul_f64 v[40:41], v[4:5], v[40:41]
	s_waitcnt vmcnt(5) lgkmcnt(0)
	v_mul_f64 v[32:33], v[8:9], v[199:200]
	v_add_f64 v[22:23], v[22:23], v[26:27]
	v_add_f64 v[26:27], v[28:29], v[201:202]
	v_mul_f64 v[28:29], v[6:7], v[199:200]
	v_fma_f64 v[199:200], v[4:5], v[38:39], v[203:204]
	v_fma_f64 v[38:39], v[2:3], v[38:39], -v[40:41]
	ds_load_b128 v[2:5], v1 offset:1536
	v_fma_f64 v[32:33], v[6:7], v[197:198], -v[32:33]
	v_add_f64 v[22:23], v[22:23], v[30:31]
	v_add_f64 v[24:25], v[26:27], v[24:25]
	v_fma_f64 v[28:29], v[8:9], v[197:198], v[28:29]
	ds_load_b128 v[6:9], v1 offset:1552
	s_waitcnt vmcnt(4) lgkmcnt(1)
	v_mul_f64 v[26:27], v[2:3], v[36:37]
	v_mul_f64 v[30:31], v[4:5], v[36:37]
	s_waitcnt vmcnt(3) lgkmcnt(0)
	v_mul_f64 v[36:37], v[6:7], v[195:196]
	v_add_f64 v[22:23], v[22:23], v[38:39]
	v_add_f64 v[24:25], v[24:25], v[199:200]
	v_mul_f64 v[38:39], v[8:9], v[195:196]
	v_fma_f64 v[26:27], v[4:5], v[34:35], v[26:27]
	v_fma_f64 v[30:31], v[2:3], v[34:35], -v[30:31]
	ds_load_b128 v[2:5], v1 offset:1568
	v_add_f64 v[22:23], v[22:23], v[32:33]
	v_add_f64 v[24:25], v[24:25], v[28:29]
	v_fma_f64 v[32:33], v[8:9], v[193:194], v[36:37]
	v_fma_f64 v[34:35], v[6:7], v[193:194], -v[38:39]
	ds_load_b128 v[6:9], v1 offset:1584
	s_waitcnt vmcnt(2) lgkmcnt(1)
	v_mul_f64 v[28:29], v[2:3], v[12:13]
	v_mul_f64 v[12:13], v[4:5], v[12:13]
	v_add_f64 v[22:23], v[22:23], v[30:31]
	v_add_f64 v[24:25], v[24:25], v[26:27]
	s_waitcnt vmcnt(1) lgkmcnt(0)
	v_mul_f64 v[26:27], v[6:7], v[16:17]
	v_mul_f64 v[16:17], v[8:9], v[16:17]
	v_fma_f64 v[4:5], v[4:5], v[10:11], v[28:29]
	v_fma_f64 v[1:2], v[2:3], v[10:11], -v[12:13]
	v_add_f64 v[10:11], v[22:23], v[34:35]
	v_add_f64 v[12:13], v[24:25], v[32:33]
	v_fma_f64 v[8:9], v[8:9], v[14:15], v[26:27]
	v_fma_f64 v[6:7], v[6:7], v[14:15], -v[16:17]
	s_delay_alu instid0(VALU_DEP_4) | instskip(NEXT) | instid1(VALU_DEP_4)
	v_add_f64 v[1:2], v[10:11], v[1:2]
	v_add_f64 v[3:4], v[12:13], v[4:5]
	s_delay_alu instid0(VALU_DEP_2) | instskip(NEXT) | instid1(VALU_DEP_2)
	v_add_f64 v[1:2], v[1:2], v[6:7]
	v_add_f64 v[3:4], v[3:4], v[8:9]
	s_waitcnt vmcnt(0)
	s_delay_alu instid0(VALU_DEP_2) | instskip(NEXT) | instid1(VALU_DEP_2)
	v_add_f64 v[1:2], v[18:19], -v[1:2]
	v_add_f64 v[3:4], v[20:21], -v[3:4]
	scratch_store_b128 off, v[1:4], off offset:560
	v_cmpx_lt_u32_e32 34, v142
	s_cbranch_execz .LBB113_245
; %bb.244:
	scratch_load_b128 v[1:4], v157, off
	v_mov_b32_e32 v5, 0
	s_delay_alu instid0(VALU_DEP_1)
	v_mov_b32_e32 v6, v5
	v_mov_b32_e32 v7, v5
	;; [unrolled: 1-line block ×3, first 2 shown]
	scratch_store_b128 off, v[5:8], off offset:544
	s_waitcnt vmcnt(0)
	ds_store_b128 v192, v[1:4]
.LBB113_245:
	s_or_b32 exec_lo, exec_lo, s2
	s_waitcnt lgkmcnt(0)
	s_waitcnt_vscnt null, 0x0
	s_barrier
	buffer_gl0_inv
	s_clause 0x7
	scratch_load_b128 v[2:5], off, off offset:560
	scratch_load_b128 v[6:9], off, off offset:576
	;; [unrolled: 1-line block ×8, first 2 shown]
	v_mov_b32_e32 v1, 0
	s_clause 0x1
	scratch_load_b128 v[38:41], off, off offset:688
	scratch_load_b128 v[197:200], off, off offset:704
	s_mov_b32 s2, exec_lo
	ds_load_b128 v[34:37], v1 offset:1360
	ds_load_b128 v[193:196], v1 offset:1376
	s_waitcnt vmcnt(9) lgkmcnt(1)
	v_mul_f64 v[201:202], v[36:37], v[4:5]
	v_mul_f64 v[4:5], v[34:35], v[4:5]
	s_waitcnt vmcnt(8) lgkmcnt(0)
	v_mul_f64 v[203:204], v[193:194], v[8:9]
	v_mul_f64 v[8:9], v[195:196], v[8:9]
	s_delay_alu instid0(VALU_DEP_4) | instskip(NEXT) | instid1(VALU_DEP_4)
	v_fma_f64 v[201:202], v[34:35], v[2:3], -v[201:202]
	v_fma_f64 v[205:206], v[36:37], v[2:3], v[4:5]
	ds_load_b128 v[2:5], v1 offset:1392
	scratch_load_b128 v[34:37], off, off offset:720
	v_fma_f64 v[203:204], v[195:196], v[6:7], v[203:204]
	v_fma_f64 v[209:210], v[193:194], v[6:7], -v[8:9]
	ds_load_b128 v[6:9], v1 offset:1408
	scratch_load_b128 v[193:196], off, off offset:736
	s_waitcnt vmcnt(9) lgkmcnt(1)
	v_mul_f64 v[207:208], v[2:3], v[12:13]
	v_mul_f64 v[12:13], v[4:5], v[12:13]
	s_waitcnt vmcnt(8) lgkmcnt(0)
	v_mul_f64 v[211:212], v[6:7], v[16:17]
	v_mul_f64 v[16:17], v[8:9], v[16:17]
	v_add_f64 v[201:202], v[201:202], 0
	v_add_f64 v[205:206], v[205:206], 0
	v_fma_f64 v[207:208], v[4:5], v[10:11], v[207:208]
	v_fma_f64 v[213:214], v[2:3], v[10:11], -v[12:13]
	scratch_load_b128 v[10:13], off, off offset:752
	ds_load_b128 v[2:5], v1 offset:1424
	v_add_f64 v[201:202], v[201:202], v[209:210]
	v_add_f64 v[203:204], v[205:206], v[203:204]
	v_fma_f64 v[209:210], v[8:9], v[14:15], v[211:212]
	v_fma_f64 v[211:212], v[6:7], v[14:15], -v[16:17]
	ds_load_b128 v[6:9], v1 offset:1440
	scratch_load_b128 v[14:17], off, off offset:768
	s_waitcnt vmcnt(9) lgkmcnt(1)
	v_mul_f64 v[205:206], v[2:3], v[20:21]
	v_mul_f64 v[20:21], v[4:5], v[20:21]
	v_add_f64 v[201:202], v[201:202], v[213:214]
	v_add_f64 v[203:204], v[203:204], v[207:208]
	s_waitcnt vmcnt(8) lgkmcnt(0)
	v_mul_f64 v[207:208], v[6:7], v[24:25]
	v_mul_f64 v[24:25], v[8:9], v[24:25]
	v_fma_f64 v[205:206], v[4:5], v[18:19], v[205:206]
	v_fma_f64 v[213:214], v[2:3], v[18:19], -v[20:21]
	scratch_load_b128 v[18:21], off, off offset:784
	ds_load_b128 v[2:5], v1 offset:1456
	v_add_f64 v[201:202], v[201:202], v[211:212]
	v_add_f64 v[203:204], v[203:204], v[209:210]
	v_fma_f64 v[207:208], v[8:9], v[22:23], v[207:208]
	v_fma_f64 v[22:23], v[6:7], v[22:23], -v[24:25]
	ds_load_b128 v[6:9], v1 offset:1472
	s_waitcnt vmcnt(8) lgkmcnt(1)
	v_mul_f64 v[209:210], v[2:3], v[28:29]
	v_mul_f64 v[28:29], v[4:5], v[28:29]
	v_add_f64 v[24:25], v[201:202], v[213:214]
	v_add_f64 v[201:202], v[203:204], v[205:206]
	s_waitcnt vmcnt(7) lgkmcnt(0)
	v_mul_f64 v[203:204], v[6:7], v[32:33]
	v_mul_f64 v[32:33], v[8:9], v[32:33]
	v_fma_f64 v[205:206], v[4:5], v[26:27], v[209:210]
	v_fma_f64 v[26:27], v[2:3], v[26:27], -v[28:29]
	ds_load_b128 v[2:5], v1 offset:1488
	v_add_f64 v[22:23], v[24:25], v[22:23]
	v_add_f64 v[24:25], v[201:202], v[207:208]
	v_fma_f64 v[201:202], v[8:9], v[30:31], v[203:204]
	v_fma_f64 v[30:31], v[6:7], v[30:31], -v[32:33]
	ds_load_b128 v[6:9], v1 offset:1504
	s_waitcnt vmcnt(5) lgkmcnt(0)
	v_mul_f64 v[203:204], v[6:7], v[199:200]
	v_mul_f64 v[199:200], v[8:9], v[199:200]
	v_add_f64 v[26:27], v[22:23], v[26:27]
	v_add_f64 v[32:33], v[24:25], v[205:206]
	scratch_load_b128 v[22:25], off, off offset:544
	v_mul_f64 v[28:29], v[2:3], v[40:41]
	v_mul_f64 v[40:41], v[4:5], v[40:41]
	v_add_f64 v[26:27], v[26:27], v[30:31]
	v_add_f64 v[30:31], v[32:33], v[201:202]
	s_delay_alu instid0(VALU_DEP_4) | instskip(NEXT) | instid1(VALU_DEP_4)
	v_fma_f64 v[28:29], v[4:5], v[38:39], v[28:29]
	v_fma_f64 v[38:39], v[2:3], v[38:39], -v[40:41]
	ds_load_b128 v[2:5], v1 offset:1520
	v_fma_f64 v[40:41], v[8:9], v[197:198], v[203:204]
	v_fma_f64 v[197:198], v[6:7], v[197:198], -v[199:200]
	ds_load_b128 v[6:9], v1 offset:1536
	s_waitcnt vmcnt(5) lgkmcnt(1)
	v_mul_f64 v[32:33], v[2:3], v[36:37]
	v_mul_f64 v[36:37], v[4:5], v[36:37]
	v_add_f64 v[28:29], v[30:31], v[28:29]
	v_add_f64 v[26:27], v[26:27], v[38:39]
	s_waitcnt vmcnt(4) lgkmcnt(0)
	v_mul_f64 v[30:31], v[6:7], v[195:196]
	v_mul_f64 v[38:39], v[8:9], v[195:196]
	v_fma_f64 v[32:33], v[4:5], v[34:35], v[32:33]
	v_fma_f64 v[34:35], v[2:3], v[34:35], -v[36:37]
	ds_load_b128 v[2:5], v1 offset:1552
	v_add_f64 v[28:29], v[28:29], v[40:41]
	v_add_f64 v[26:27], v[26:27], v[197:198]
	v_fma_f64 v[30:31], v[8:9], v[193:194], v[30:31]
	v_fma_f64 v[38:39], v[6:7], v[193:194], -v[38:39]
	ds_load_b128 v[6:9], v1 offset:1568
	s_waitcnt vmcnt(3) lgkmcnt(1)
	v_mul_f64 v[36:37], v[2:3], v[12:13]
	v_mul_f64 v[12:13], v[4:5], v[12:13]
	v_add_f64 v[28:29], v[28:29], v[32:33]
	v_add_f64 v[26:27], v[26:27], v[34:35]
	s_waitcnt vmcnt(2) lgkmcnt(0)
	v_mul_f64 v[32:33], v[6:7], v[16:17]
	v_mul_f64 v[16:17], v[8:9], v[16:17]
	v_fma_f64 v[34:35], v[4:5], v[10:11], v[36:37]
	v_fma_f64 v[10:11], v[2:3], v[10:11], -v[12:13]
	ds_load_b128 v[2:5], v1 offset:1584
	v_add_f64 v[12:13], v[26:27], v[38:39]
	v_add_f64 v[26:27], v[28:29], v[30:31]
	s_waitcnt vmcnt(1) lgkmcnt(0)
	v_mul_f64 v[28:29], v[2:3], v[20:21]
	v_mul_f64 v[20:21], v[4:5], v[20:21]
	v_fma_f64 v[8:9], v[8:9], v[14:15], v[32:33]
	v_fma_f64 v[6:7], v[6:7], v[14:15], -v[16:17]
	v_add_f64 v[10:11], v[12:13], v[10:11]
	v_add_f64 v[12:13], v[26:27], v[34:35]
	v_fma_f64 v[4:5], v[4:5], v[18:19], v[28:29]
	v_fma_f64 v[2:3], v[2:3], v[18:19], -v[20:21]
	s_delay_alu instid0(VALU_DEP_4) | instskip(NEXT) | instid1(VALU_DEP_4)
	v_add_f64 v[6:7], v[10:11], v[6:7]
	v_add_f64 v[8:9], v[12:13], v[8:9]
	s_delay_alu instid0(VALU_DEP_2) | instskip(NEXT) | instid1(VALU_DEP_2)
	v_add_f64 v[2:3], v[6:7], v[2:3]
	v_add_f64 v[4:5], v[8:9], v[4:5]
	s_waitcnt vmcnt(0)
	s_delay_alu instid0(VALU_DEP_2) | instskip(NEXT) | instid1(VALU_DEP_2)
	v_add_f64 v[2:3], v[22:23], -v[2:3]
	v_add_f64 v[4:5], v[24:25], -v[4:5]
	scratch_store_b128 off, v[2:5], off offset:544
	v_cmpx_lt_u32_e32 33, v142
	s_cbranch_execz .LBB113_247
; %bb.246:
	scratch_load_b128 v[5:8], v159, off
	v_mov_b32_e32 v2, v1
	v_mov_b32_e32 v3, v1
	;; [unrolled: 1-line block ×3, first 2 shown]
	scratch_store_b128 off, v[1:4], off offset:528
	s_waitcnt vmcnt(0)
	ds_store_b128 v192, v[5:8]
.LBB113_247:
	s_or_b32 exec_lo, exec_lo, s2
	s_waitcnt lgkmcnt(0)
	s_waitcnt_vscnt null, 0x0
	s_barrier
	buffer_gl0_inv
	s_clause 0x7
	scratch_load_b128 v[2:5], off, off offset:544
	scratch_load_b128 v[6:9], off, off offset:560
	scratch_load_b128 v[10:13], off, off offset:576
	scratch_load_b128 v[14:17], off, off offset:592
	scratch_load_b128 v[18:21], off, off offset:608
	scratch_load_b128 v[22:25], off, off offset:624
	scratch_load_b128 v[26:29], off, off offset:640
	scratch_load_b128 v[30:33], off, off offset:656
	ds_load_b128 v[34:37], v1 offset:1344
	ds_load_b128 v[193:196], v1 offset:1360
	s_clause 0x1
	scratch_load_b128 v[38:41], off, off offset:672
	scratch_load_b128 v[197:200], off, off offset:688
	s_mov_b32 s2, exec_lo
	s_waitcnt vmcnt(9) lgkmcnt(1)
	v_mul_f64 v[201:202], v[36:37], v[4:5]
	v_mul_f64 v[4:5], v[34:35], v[4:5]
	s_waitcnt vmcnt(8) lgkmcnt(0)
	v_mul_f64 v[203:204], v[193:194], v[8:9]
	v_mul_f64 v[8:9], v[195:196], v[8:9]
	s_delay_alu instid0(VALU_DEP_4) | instskip(NEXT) | instid1(VALU_DEP_4)
	v_fma_f64 v[201:202], v[34:35], v[2:3], -v[201:202]
	v_fma_f64 v[205:206], v[36:37], v[2:3], v[4:5]
	ds_load_b128 v[2:5], v1 offset:1376
	scratch_load_b128 v[34:37], off, off offset:704
	v_fma_f64 v[203:204], v[195:196], v[6:7], v[203:204]
	v_fma_f64 v[209:210], v[193:194], v[6:7], -v[8:9]
	ds_load_b128 v[6:9], v1 offset:1392
	scratch_load_b128 v[193:196], off, off offset:720
	s_waitcnt vmcnt(9) lgkmcnt(1)
	v_mul_f64 v[207:208], v[2:3], v[12:13]
	v_mul_f64 v[12:13], v[4:5], v[12:13]
	s_waitcnt vmcnt(8) lgkmcnt(0)
	v_mul_f64 v[211:212], v[6:7], v[16:17]
	v_mul_f64 v[16:17], v[8:9], v[16:17]
	v_add_f64 v[201:202], v[201:202], 0
	v_add_f64 v[205:206], v[205:206], 0
	v_fma_f64 v[207:208], v[4:5], v[10:11], v[207:208]
	v_fma_f64 v[213:214], v[2:3], v[10:11], -v[12:13]
	scratch_load_b128 v[10:13], off, off offset:736
	ds_load_b128 v[2:5], v1 offset:1408
	v_add_f64 v[201:202], v[201:202], v[209:210]
	v_add_f64 v[203:204], v[205:206], v[203:204]
	v_fma_f64 v[209:210], v[8:9], v[14:15], v[211:212]
	v_fma_f64 v[211:212], v[6:7], v[14:15], -v[16:17]
	ds_load_b128 v[6:9], v1 offset:1424
	scratch_load_b128 v[14:17], off, off offset:752
	s_waitcnt vmcnt(9) lgkmcnt(1)
	v_mul_f64 v[205:206], v[2:3], v[20:21]
	v_mul_f64 v[20:21], v[4:5], v[20:21]
	v_add_f64 v[201:202], v[201:202], v[213:214]
	v_add_f64 v[203:204], v[203:204], v[207:208]
	s_waitcnt vmcnt(8) lgkmcnt(0)
	v_mul_f64 v[207:208], v[6:7], v[24:25]
	v_mul_f64 v[24:25], v[8:9], v[24:25]
	v_fma_f64 v[205:206], v[4:5], v[18:19], v[205:206]
	v_fma_f64 v[213:214], v[2:3], v[18:19], -v[20:21]
	scratch_load_b128 v[18:21], off, off offset:768
	ds_load_b128 v[2:5], v1 offset:1440
	v_add_f64 v[201:202], v[201:202], v[211:212]
	v_add_f64 v[203:204], v[203:204], v[209:210]
	v_fma_f64 v[207:208], v[8:9], v[22:23], v[207:208]
	v_fma_f64 v[211:212], v[6:7], v[22:23], -v[24:25]
	ds_load_b128 v[6:9], v1 offset:1456
	s_waitcnt vmcnt(8) lgkmcnt(1)
	v_mul_f64 v[209:210], v[2:3], v[28:29]
	v_mul_f64 v[28:29], v[4:5], v[28:29]
	scratch_load_b128 v[22:25], off, off offset:784
	v_add_f64 v[201:202], v[201:202], v[213:214]
	v_add_f64 v[203:204], v[203:204], v[205:206]
	s_waitcnt vmcnt(8) lgkmcnt(0)
	v_mul_f64 v[205:206], v[6:7], v[32:33]
	v_mul_f64 v[32:33], v[8:9], v[32:33]
	v_fma_f64 v[209:210], v[4:5], v[26:27], v[209:210]
	v_fma_f64 v[26:27], v[2:3], v[26:27], -v[28:29]
	ds_load_b128 v[2:5], v1 offset:1472
	v_add_f64 v[28:29], v[201:202], v[211:212]
	v_add_f64 v[201:202], v[203:204], v[207:208]
	v_fma_f64 v[205:206], v[8:9], v[30:31], v[205:206]
	v_fma_f64 v[30:31], v[6:7], v[30:31], -v[32:33]
	ds_load_b128 v[6:9], v1 offset:1488
	s_waitcnt vmcnt(7) lgkmcnt(1)
	v_mul_f64 v[203:204], v[2:3], v[40:41]
	v_mul_f64 v[40:41], v[4:5], v[40:41]
	v_add_f64 v[26:27], v[28:29], v[26:27]
	v_add_f64 v[28:29], v[201:202], v[209:210]
	s_delay_alu instid0(VALU_DEP_4) | instskip(NEXT) | instid1(VALU_DEP_4)
	v_fma_f64 v[201:202], v[4:5], v[38:39], v[203:204]
	v_fma_f64 v[38:39], v[2:3], v[38:39], -v[40:41]
	ds_load_b128 v[2:5], v1 offset:1504
	v_add_f64 v[30:31], v[26:27], v[30:31]
	v_add_f64 v[40:41], v[28:29], v[205:206]
	scratch_load_b128 v[26:29], off, off offset:528
	s_waitcnt vmcnt(7) lgkmcnt(1)
	v_mul_f64 v[32:33], v[6:7], v[199:200]
	v_mul_f64 v[199:200], v[8:9], v[199:200]
	v_add_f64 v[30:31], v[30:31], v[38:39]
	v_add_f64 v[38:39], v[40:41], v[201:202]
	s_delay_alu instid0(VALU_DEP_4) | instskip(NEXT) | instid1(VALU_DEP_4)
	v_fma_f64 v[32:33], v[8:9], v[197:198], v[32:33]
	v_fma_f64 v[197:198], v[6:7], v[197:198], -v[199:200]
	ds_load_b128 v[6:9], v1 offset:1520
	s_waitcnt vmcnt(6) lgkmcnt(1)
	v_mul_f64 v[203:204], v[2:3], v[36:37]
	v_mul_f64 v[36:37], v[4:5], v[36:37]
	s_waitcnt vmcnt(5) lgkmcnt(0)
	v_mul_f64 v[40:41], v[6:7], v[195:196]
	v_mul_f64 v[195:196], v[8:9], v[195:196]
	v_add_f64 v[32:33], v[38:39], v[32:33]
	v_add_f64 v[30:31], v[30:31], v[197:198]
	v_fma_f64 v[199:200], v[4:5], v[34:35], v[203:204]
	v_fma_f64 v[34:35], v[2:3], v[34:35], -v[36:37]
	ds_load_b128 v[2:5], v1 offset:1536
	v_fma_f64 v[38:39], v[8:9], v[193:194], v[40:41]
	v_fma_f64 v[40:41], v[6:7], v[193:194], -v[195:196]
	ds_load_b128 v[6:9], v1 offset:1552
	s_waitcnt vmcnt(4) lgkmcnt(1)
	v_mul_f64 v[36:37], v[2:3], v[12:13]
	v_mul_f64 v[12:13], v[4:5], v[12:13]
	v_add_f64 v[32:33], v[32:33], v[199:200]
	v_add_f64 v[30:31], v[30:31], v[34:35]
	s_waitcnt vmcnt(3) lgkmcnt(0)
	v_mul_f64 v[34:35], v[6:7], v[16:17]
	v_mul_f64 v[16:17], v[8:9], v[16:17]
	v_fma_f64 v[36:37], v[4:5], v[10:11], v[36:37]
	v_fma_f64 v[10:11], v[2:3], v[10:11], -v[12:13]
	ds_load_b128 v[2:5], v1 offset:1568
	v_add_f64 v[12:13], v[30:31], v[40:41]
	v_add_f64 v[30:31], v[32:33], v[38:39]
	v_fma_f64 v[34:35], v[8:9], v[14:15], v[34:35]
	v_fma_f64 v[14:15], v[6:7], v[14:15], -v[16:17]
	ds_load_b128 v[6:9], v1 offset:1584
	s_waitcnt vmcnt(2) lgkmcnt(1)
	v_mul_f64 v[32:33], v[2:3], v[20:21]
	v_mul_f64 v[20:21], v[4:5], v[20:21]
	s_waitcnt vmcnt(1) lgkmcnt(0)
	v_mul_f64 v[16:17], v[6:7], v[24:25]
	v_mul_f64 v[24:25], v[8:9], v[24:25]
	v_add_f64 v[10:11], v[12:13], v[10:11]
	v_add_f64 v[12:13], v[30:31], v[36:37]
	v_fma_f64 v[4:5], v[4:5], v[18:19], v[32:33]
	v_fma_f64 v[1:2], v[2:3], v[18:19], -v[20:21]
	v_fma_f64 v[8:9], v[8:9], v[22:23], v[16:17]
	v_fma_f64 v[6:7], v[6:7], v[22:23], -v[24:25]
	v_add_f64 v[10:11], v[10:11], v[14:15]
	v_add_f64 v[12:13], v[12:13], v[34:35]
	s_delay_alu instid0(VALU_DEP_2) | instskip(NEXT) | instid1(VALU_DEP_2)
	v_add_f64 v[1:2], v[10:11], v[1:2]
	v_add_f64 v[3:4], v[12:13], v[4:5]
	s_delay_alu instid0(VALU_DEP_2) | instskip(NEXT) | instid1(VALU_DEP_2)
	v_add_f64 v[1:2], v[1:2], v[6:7]
	v_add_f64 v[3:4], v[3:4], v[8:9]
	s_waitcnt vmcnt(0)
	s_delay_alu instid0(VALU_DEP_2) | instskip(NEXT) | instid1(VALU_DEP_2)
	v_add_f64 v[1:2], v[26:27], -v[1:2]
	v_add_f64 v[3:4], v[28:29], -v[3:4]
	scratch_store_b128 off, v[1:4], off offset:528
	v_cmpx_lt_u32_e32 32, v142
	s_cbranch_execz .LBB113_249
; %bb.248:
	scratch_load_b128 v[1:4], v160, off
	v_mov_b32_e32 v5, 0
	s_delay_alu instid0(VALU_DEP_1)
	v_mov_b32_e32 v6, v5
	v_mov_b32_e32 v7, v5
	;; [unrolled: 1-line block ×3, first 2 shown]
	scratch_store_b128 off, v[5:8], off offset:512
	s_waitcnt vmcnt(0)
	ds_store_b128 v192, v[1:4]
.LBB113_249:
	s_or_b32 exec_lo, exec_lo, s2
	s_waitcnt lgkmcnt(0)
	s_waitcnt_vscnt null, 0x0
	s_barrier
	buffer_gl0_inv
	s_clause 0x7
	scratch_load_b128 v[2:5], off, off offset:528
	scratch_load_b128 v[6:9], off, off offset:544
	;; [unrolled: 1-line block ×8, first 2 shown]
	v_mov_b32_e32 v1, 0
	s_clause 0x1
	scratch_load_b128 v[38:41], off, off offset:656
	scratch_load_b128 v[197:200], off, off offset:672
	s_mov_b32 s2, exec_lo
	ds_load_b128 v[34:37], v1 offset:1328
	ds_load_b128 v[193:196], v1 offset:1344
	s_waitcnt vmcnt(9) lgkmcnt(1)
	v_mul_f64 v[201:202], v[36:37], v[4:5]
	v_mul_f64 v[4:5], v[34:35], v[4:5]
	s_waitcnt vmcnt(8) lgkmcnt(0)
	v_mul_f64 v[203:204], v[193:194], v[8:9]
	v_mul_f64 v[8:9], v[195:196], v[8:9]
	s_delay_alu instid0(VALU_DEP_4) | instskip(NEXT) | instid1(VALU_DEP_4)
	v_fma_f64 v[201:202], v[34:35], v[2:3], -v[201:202]
	v_fma_f64 v[205:206], v[36:37], v[2:3], v[4:5]
	ds_load_b128 v[2:5], v1 offset:1360
	scratch_load_b128 v[34:37], off, off offset:688
	v_fma_f64 v[203:204], v[195:196], v[6:7], v[203:204]
	v_fma_f64 v[209:210], v[193:194], v[6:7], -v[8:9]
	ds_load_b128 v[6:9], v1 offset:1376
	scratch_load_b128 v[193:196], off, off offset:704
	s_waitcnt vmcnt(9) lgkmcnt(1)
	v_mul_f64 v[207:208], v[2:3], v[12:13]
	v_mul_f64 v[12:13], v[4:5], v[12:13]
	s_waitcnt vmcnt(8) lgkmcnt(0)
	v_mul_f64 v[211:212], v[6:7], v[16:17]
	v_mul_f64 v[16:17], v[8:9], v[16:17]
	v_add_f64 v[201:202], v[201:202], 0
	v_add_f64 v[205:206], v[205:206], 0
	v_fma_f64 v[207:208], v[4:5], v[10:11], v[207:208]
	v_fma_f64 v[213:214], v[2:3], v[10:11], -v[12:13]
	scratch_load_b128 v[10:13], off, off offset:720
	ds_load_b128 v[2:5], v1 offset:1392
	v_add_f64 v[201:202], v[201:202], v[209:210]
	v_add_f64 v[203:204], v[205:206], v[203:204]
	v_fma_f64 v[209:210], v[8:9], v[14:15], v[211:212]
	v_fma_f64 v[211:212], v[6:7], v[14:15], -v[16:17]
	ds_load_b128 v[6:9], v1 offset:1408
	scratch_load_b128 v[14:17], off, off offset:736
	s_waitcnt vmcnt(9) lgkmcnt(1)
	v_mul_f64 v[205:206], v[2:3], v[20:21]
	v_mul_f64 v[20:21], v[4:5], v[20:21]
	v_add_f64 v[201:202], v[201:202], v[213:214]
	v_add_f64 v[203:204], v[203:204], v[207:208]
	s_waitcnt vmcnt(8) lgkmcnt(0)
	v_mul_f64 v[207:208], v[6:7], v[24:25]
	v_mul_f64 v[24:25], v[8:9], v[24:25]
	v_fma_f64 v[205:206], v[4:5], v[18:19], v[205:206]
	v_fma_f64 v[213:214], v[2:3], v[18:19], -v[20:21]
	scratch_load_b128 v[18:21], off, off offset:752
	ds_load_b128 v[2:5], v1 offset:1424
	v_add_f64 v[201:202], v[201:202], v[211:212]
	v_add_f64 v[203:204], v[203:204], v[209:210]
	v_fma_f64 v[207:208], v[8:9], v[22:23], v[207:208]
	v_fma_f64 v[211:212], v[6:7], v[22:23], -v[24:25]
	ds_load_b128 v[6:9], v1 offset:1440
	s_waitcnt vmcnt(8) lgkmcnt(1)
	v_mul_f64 v[209:210], v[2:3], v[28:29]
	v_mul_f64 v[28:29], v[4:5], v[28:29]
	scratch_load_b128 v[22:25], off, off offset:768
	v_add_f64 v[201:202], v[201:202], v[213:214]
	v_add_f64 v[203:204], v[203:204], v[205:206]
	s_waitcnt vmcnt(8) lgkmcnt(0)
	v_mul_f64 v[205:206], v[6:7], v[32:33]
	v_mul_f64 v[32:33], v[8:9], v[32:33]
	v_fma_f64 v[209:210], v[4:5], v[26:27], v[209:210]
	v_fma_f64 v[213:214], v[2:3], v[26:27], -v[28:29]
	scratch_load_b128 v[26:29], off, off offset:784
	ds_load_b128 v[2:5], v1 offset:1456
	v_add_f64 v[201:202], v[201:202], v[211:212]
	v_add_f64 v[203:204], v[203:204], v[207:208]
	v_fma_f64 v[205:206], v[8:9], v[30:31], v[205:206]
	v_fma_f64 v[30:31], v[6:7], v[30:31], -v[32:33]
	ds_load_b128 v[6:9], v1 offset:1472
	s_waitcnt vmcnt(8) lgkmcnt(1)
	v_mul_f64 v[207:208], v[2:3], v[40:41]
	v_mul_f64 v[40:41], v[4:5], v[40:41]
	v_add_f64 v[32:33], v[201:202], v[213:214]
	v_add_f64 v[201:202], v[203:204], v[209:210]
	s_waitcnt vmcnt(7) lgkmcnt(0)
	v_mul_f64 v[203:204], v[6:7], v[199:200]
	v_mul_f64 v[199:200], v[8:9], v[199:200]
	v_fma_f64 v[207:208], v[4:5], v[38:39], v[207:208]
	v_fma_f64 v[38:39], v[2:3], v[38:39], -v[40:41]
	ds_load_b128 v[2:5], v1 offset:1488
	v_add_f64 v[30:31], v[32:33], v[30:31]
	v_add_f64 v[32:33], v[201:202], v[205:206]
	v_fma_f64 v[201:202], v[8:9], v[197:198], v[203:204]
	v_fma_f64 v[197:198], v[6:7], v[197:198], -v[199:200]
	ds_load_b128 v[6:9], v1 offset:1504
	s_waitcnt vmcnt(5) lgkmcnt(0)
	v_mul_f64 v[203:204], v[6:7], v[195:196]
	v_mul_f64 v[195:196], v[8:9], v[195:196]
	v_add_f64 v[38:39], v[30:31], v[38:39]
	v_add_f64 v[199:200], v[32:33], v[207:208]
	scratch_load_b128 v[30:33], off, off offset:512
	v_mul_f64 v[40:41], v[2:3], v[36:37]
	v_mul_f64 v[36:37], v[4:5], v[36:37]
	s_delay_alu instid0(VALU_DEP_2) | instskip(NEXT) | instid1(VALU_DEP_2)
	v_fma_f64 v[40:41], v[4:5], v[34:35], v[40:41]
	v_fma_f64 v[34:35], v[2:3], v[34:35], -v[36:37]
	v_add_f64 v[36:37], v[38:39], v[197:198]
	v_add_f64 v[38:39], v[199:200], v[201:202]
	ds_load_b128 v[2:5], v1 offset:1520
	v_fma_f64 v[199:200], v[8:9], v[193:194], v[203:204]
	v_fma_f64 v[193:194], v[6:7], v[193:194], -v[195:196]
	ds_load_b128 v[6:9], v1 offset:1536
	s_waitcnt vmcnt(5) lgkmcnt(1)
	v_mul_f64 v[197:198], v[2:3], v[12:13]
	v_mul_f64 v[12:13], v[4:5], v[12:13]
	v_add_f64 v[34:35], v[36:37], v[34:35]
	v_add_f64 v[36:37], v[38:39], v[40:41]
	s_waitcnt vmcnt(4) lgkmcnt(0)
	v_mul_f64 v[38:39], v[6:7], v[16:17]
	v_mul_f64 v[16:17], v[8:9], v[16:17]
	v_fma_f64 v[40:41], v[4:5], v[10:11], v[197:198]
	v_fma_f64 v[10:11], v[2:3], v[10:11], -v[12:13]
	ds_load_b128 v[2:5], v1 offset:1552
	v_add_f64 v[12:13], v[34:35], v[193:194]
	v_add_f64 v[34:35], v[36:37], v[199:200]
	v_fma_f64 v[38:39], v[8:9], v[14:15], v[38:39]
	v_fma_f64 v[14:15], v[6:7], v[14:15], -v[16:17]
	ds_load_b128 v[6:9], v1 offset:1568
	s_waitcnt vmcnt(3) lgkmcnt(1)
	v_mul_f64 v[36:37], v[2:3], v[20:21]
	v_mul_f64 v[20:21], v[4:5], v[20:21]
	s_waitcnt vmcnt(2) lgkmcnt(0)
	v_mul_f64 v[16:17], v[6:7], v[24:25]
	v_mul_f64 v[24:25], v[8:9], v[24:25]
	v_add_f64 v[10:11], v[12:13], v[10:11]
	v_add_f64 v[12:13], v[34:35], v[40:41]
	v_fma_f64 v[34:35], v[4:5], v[18:19], v[36:37]
	v_fma_f64 v[18:19], v[2:3], v[18:19], -v[20:21]
	ds_load_b128 v[2:5], v1 offset:1584
	v_fma_f64 v[8:9], v[8:9], v[22:23], v[16:17]
	v_fma_f64 v[6:7], v[6:7], v[22:23], -v[24:25]
	s_waitcnt vmcnt(1) lgkmcnt(0)
	v_mul_f64 v[20:21], v[4:5], v[28:29]
	v_add_f64 v[10:11], v[10:11], v[14:15]
	v_add_f64 v[12:13], v[12:13], v[38:39]
	v_mul_f64 v[14:15], v[2:3], v[28:29]
	s_delay_alu instid0(VALU_DEP_4) | instskip(NEXT) | instid1(VALU_DEP_4)
	v_fma_f64 v[2:3], v[2:3], v[26:27], -v[20:21]
	v_add_f64 v[10:11], v[10:11], v[18:19]
	s_delay_alu instid0(VALU_DEP_4) | instskip(NEXT) | instid1(VALU_DEP_4)
	v_add_f64 v[12:13], v[12:13], v[34:35]
	v_fma_f64 v[4:5], v[4:5], v[26:27], v[14:15]
	s_delay_alu instid0(VALU_DEP_3) | instskip(NEXT) | instid1(VALU_DEP_3)
	v_add_f64 v[6:7], v[10:11], v[6:7]
	v_add_f64 v[8:9], v[12:13], v[8:9]
	s_delay_alu instid0(VALU_DEP_2) | instskip(NEXT) | instid1(VALU_DEP_2)
	v_add_f64 v[2:3], v[6:7], v[2:3]
	v_add_f64 v[4:5], v[8:9], v[4:5]
	s_waitcnt vmcnt(0)
	s_delay_alu instid0(VALU_DEP_2) | instskip(NEXT) | instid1(VALU_DEP_2)
	v_add_f64 v[2:3], v[30:31], -v[2:3]
	v_add_f64 v[4:5], v[32:33], -v[4:5]
	scratch_store_b128 off, v[2:5], off offset:512
	v_cmpx_lt_u32_e32 31, v142
	s_cbranch_execz .LBB113_251
; %bb.250:
	scratch_load_b128 v[5:8], v162, off
	v_mov_b32_e32 v2, v1
	v_mov_b32_e32 v3, v1
	;; [unrolled: 1-line block ×3, first 2 shown]
	scratch_store_b128 off, v[1:4], off offset:496
	s_waitcnt vmcnt(0)
	ds_store_b128 v192, v[5:8]
.LBB113_251:
	s_or_b32 exec_lo, exec_lo, s2
	s_waitcnt lgkmcnt(0)
	s_waitcnt_vscnt null, 0x0
	s_barrier
	buffer_gl0_inv
	s_clause 0x7
	scratch_load_b128 v[2:5], off, off offset:512
	scratch_load_b128 v[6:9], off, off offset:528
	;; [unrolled: 1-line block ×8, first 2 shown]
	ds_load_b128 v[34:37], v1 offset:1312
	ds_load_b128 v[193:196], v1 offset:1328
	s_clause 0x1
	scratch_load_b128 v[38:41], off, off offset:640
	scratch_load_b128 v[197:200], off, off offset:656
	s_mov_b32 s2, exec_lo
	s_waitcnt vmcnt(9) lgkmcnt(1)
	v_mul_f64 v[201:202], v[36:37], v[4:5]
	v_mul_f64 v[4:5], v[34:35], v[4:5]
	s_waitcnt vmcnt(8) lgkmcnt(0)
	v_mul_f64 v[203:204], v[193:194], v[8:9]
	v_mul_f64 v[8:9], v[195:196], v[8:9]
	s_delay_alu instid0(VALU_DEP_4) | instskip(NEXT) | instid1(VALU_DEP_4)
	v_fma_f64 v[201:202], v[34:35], v[2:3], -v[201:202]
	v_fma_f64 v[205:206], v[36:37], v[2:3], v[4:5]
	scratch_load_b128 v[34:37], off, off offset:672
	ds_load_b128 v[2:5], v1 offset:1344
	v_fma_f64 v[203:204], v[195:196], v[6:7], v[203:204]
	v_fma_f64 v[209:210], v[193:194], v[6:7], -v[8:9]
	ds_load_b128 v[6:9], v1 offset:1360
	scratch_load_b128 v[193:196], off, off offset:688
	s_waitcnt vmcnt(9) lgkmcnt(1)
	v_mul_f64 v[207:208], v[2:3], v[12:13]
	v_mul_f64 v[12:13], v[4:5], v[12:13]
	s_waitcnt vmcnt(8) lgkmcnt(0)
	v_mul_f64 v[211:212], v[6:7], v[16:17]
	v_mul_f64 v[16:17], v[8:9], v[16:17]
	v_add_f64 v[201:202], v[201:202], 0
	v_add_f64 v[205:206], v[205:206], 0
	v_fma_f64 v[207:208], v[4:5], v[10:11], v[207:208]
	v_fma_f64 v[213:214], v[2:3], v[10:11], -v[12:13]
	scratch_load_b128 v[10:13], off, off offset:704
	ds_load_b128 v[2:5], v1 offset:1376
	v_add_f64 v[201:202], v[201:202], v[209:210]
	v_add_f64 v[203:204], v[205:206], v[203:204]
	v_fma_f64 v[209:210], v[8:9], v[14:15], v[211:212]
	v_fma_f64 v[211:212], v[6:7], v[14:15], -v[16:17]
	ds_load_b128 v[6:9], v1 offset:1392
	scratch_load_b128 v[14:17], off, off offset:720
	s_waitcnt vmcnt(9) lgkmcnt(1)
	v_mul_f64 v[205:206], v[2:3], v[20:21]
	v_mul_f64 v[20:21], v[4:5], v[20:21]
	v_add_f64 v[201:202], v[201:202], v[213:214]
	v_add_f64 v[203:204], v[203:204], v[207:208]
	s_waitcnt vmcnt(8) lgkmcnt(0)
	v_mul_f64 v[207:208], v[6:7], v[24:25]
	v_mul_f64 v[24:25], v[8:9], v[24:25]
	v_fma_f64 v[205:206], v[4:5], v[18:19], v[205:206]
	v_fma_f64 v[213:214], v[2:3], v[18:19], -v[20:21]
	scratch_load_b128 v[18:21], off, off offset:736
	ds_load_b128 v[2:5], v1 offset:1408
	v_add_f64 v[201:202], v[201:202], v[211:212]
	v_add_f64 v[203:204], v[203:204], v[209:210]
	v_fma_f64 v[207:208], v[8:9], v[22:23], v[207:208]
	v_fma_f64 v[211:212], v[6:7], v[22:23], -v[24:25]
	ds_load_b128 v[6:9], v1 offset:1424
	s_waitcnt vmcnt(8) lgkmcnt(1)
	v_mul_f64 v[209:210], v[2:3], v[28:29]
	v_mul_f64 v[28:29], v[4:5], v[28:29]
	scratch_load_b128 v[22:25], off, off offset:752
	v_add_f64 v[201:202], v[201:202], v[213:214]
	v_add_f64 v[203:204], v[203:204], v[205:206]
	s_waitcnt vmcnt(8) lgkmcnt(0)
	v_mul_f64 v[205:206], v[6:7], v[32:33]
	v_mul_f64 v[32:33], v[8:9], v[32:33]
	v_fma_f64 v[209:210], v[4:5], v[26:27], v[209:210]
	v_fma_f64 v[213:214], v[2:3], v[26:27], -v[28:29]
	scratch_load_b128 v[26:29], off, off offset:768
	ds_load_b128 v[2:5], v1 offset:1440
	v_add_f64 v[201:202], v[201:202], v[211:212]
	v_add_f64 v[203:204], v[203:204], v[207:208]
	v_fma_f64 v[205:206], v[8:9], v[30:31], v[205:206]
	v_fma_f64 v[211:212], v[6:7], v[30:31], -v[32:33]
	ds_load_b128 v[6:9], v1 offset:1456
	s_waitcnt vmcnt(8) lgkmcnt(1)
	v_mul_f64 v[207:208], v[2:3], v[40:41]
	v_mul_f64 v[40:41], v[4:5], v[40:41]
	scratch_load_b128 v[30:33], off, off offset:784
	v_add_f64 v[201:202], v[201:202], v[213:214]
	v_add_f64 v[203:204], v[203:204], v[209:210]
	v_fma_f64 v[207:208], v[4:5], v[38:39], v[207:208]
	v_fma_f64 v[38:39], v[2:3], v[38:39], -v[40:41]
	ds_load_b128 v[2:5], v1 offset:1472
	v_add_f64 v[40:41], v[201:202], v[211:212]
	v_add_f64 v[201:202], v[203:204], v[205:206]
	s_waitcnt vmcnt(7) lgkmcnt(0)
	v_mul_f64 v[203:204], v[2:3], v[36:37]
	v_mul_f64 v[36:37], v[4:5], v[36:37]
	s_delay_alu instid0(VALU_DEP_4) | instskip(NEXT) | instid1(VALU_DEP_4)
	v_add_f64 v[38:39], v[40:41], v[38:39]
	v_add_f64 v[40:41], v[201:202], v[207:208]
	s_delay_alu instid0(VALU_DEP_4) | instskip(NEXT) | instid1(VALU_DEP_4)
	v_fma_f64 v[201:202], v[4:5], v[34:35], v[203:204]
	v_fma_f64 v[203:204], v[2:3], v[34:35], -v[36:37]
	scratch_load_b128 v[34:37], off, off offset:496
	v_mul_f64 v[209:210], v[6:7], v[199:200]
	v_mul_f64 v[199:200], v[8:9], v[199:200]
	ds_load_b128 v[2:5], v1 offset:1504
	v_fma_f64 v[205:206], v[8:9], v[197:198], v[209:210]
	v_fma_f64 v[197:198], v[6:7], v[197:198], -v[199:200]
	ds_load_b128 v[6:9], v1 offset:1488
	s_waitcnt vmcnt(7) lgkmcnt(0)
	v_mul_f64 v[199:200], v[6:7], v[195:196]
	v_mul_f64 v[195:196], v[8:9], v[195:196]
	v_add_f64 v[40:41], v[40:41], v[205:206]
	v_add_f64 v[38:39], v[38:39], v[197:198]
	s_waitcnt vmcnt(6)
	v_mul_f64 v[197:198], v[2:3], v[12:13]
	v_mul_f64 v[12:13], v[4:5], v[12:13]
	v_fma_f64 v[199:200], v[8:9], v[193:194], v[199:200]
	v_fma_f64 v[193:194], v[6:7], v[193:194], -v[195:196]
	ds_load_b128 v[6:9], v1 offset:1520
	v_add_f64 v[40:41], v[40:41], v[201:202]
	v_add_f64 v[38:39], v[38:39], v[203:204]
	v_fma_f64 v[197:198], v[4:5], v[10:11], v[197:198]
	v_fma_f64 v[10:11], v[2:3], v[10:11], -v[12:13]
	ds_load_b128 v[2:5], v1 offset:1536
	s_waitcnt vmcnt(5) lgkmcnt(1)
	v_mul_f64 v[195:196], v[6:7], v[16:17]
	v_mul_f64 v[16:17], v[8:9], v[16:17]
	v_add_f64 v[12:13], v[38:39], v[193:194]
	v_add_f64 v[38:39], v[40:41], v[199:200]
	s_waitcnt vmcnt(4) lgkmcnt(0)
	v_mul_f64 v[40:41], v[2:3], v[20:21]
	v_mul_f64 v[20:21], v[4:5], v[20:21]
	v_fma_f64 v[193:194], v[8:9], v[14:15], v[195:196]
	v_fma_f64 v[14:15], v[6:7], v[14:15], -v[16:17]
	ds_load_b128 v[6:9], v1 offset:1552
	v_add_f64 v[10:11], v[12:13], v[10:11]
	v_add_f64 v[12:13], v[38:39], v[197:198]
	v_fma_f64 v[38:39], v[4:5], v[18:19], v[40:41]
	v_fma_f64 v[18:19], v[2:3], v[18:19], -v[20:21]
	ds_load_b128 v[2:5], v1 offset:1568
	s_waitcnt vmcnt(3) lgkmcnt(1)
	v_mul_f64 v[16:17], v[6:7], v[24:25]
	v_mul_f64 v[24:25], v[8:9], v[24:25]
	s_waitcnt vmcnt(2) lgkmcnt(0)
	v_mul_f64 v[20:21], v[4:5], v[28:29]
	v_add_f64 v[10:11], v[10:11], v[14:15]
	v_add_f64 v[12:13], v[12:13], v[193:194]
	v_mul_f64 v[14:15], v[2:3], v[28:29]
	v_fma_f64 v[16:17], v[8:9], v[22:23], v[16:17]
	v_fma_f64 v[22:23], v[6:7], v[22:23], -v[24:25]
	ds_load_b128 v[6:9], v1 offset:1584
	v_fma_f64 v[1:2], v[2:3], v[26:27], -v[20:21]
	s_waitcnt vmcnt(1) lgkmcnt(0)
	v_mul_f64 v[24:25], v[8:9], v[32:33]
	v_add_f64 v[10:11], v[10:11], v[18:19]
	v_add_f64 v[12:13], v[12:13], v[38:39]
	v_mul_f64 v[18:19], v[6:7], v[32:33]
	v_fma_f64 v[4:5], v[4:5], v[26:27], v[14:15]
	v_fma_f64 v[6:7], v[6:7], v[30:31], -v[24:25]
	v_add_f64 v[10:11], v[10:11], v[22:23]
	v_add_f64 v[12:13], v[12:13], v[16:17]
	v_fma_f64 v[8:9], v[8:9], v[30:31], v[18:19]
	s_delay_alu instid0(VALU_DEP_3) | instskip(NEXT) | instid1(VALU_DEP_3)
	v_add_f64 v[1:2], v[10:11], v[1:2]
	v_add_f64 v[3:4], v[12:13], v[4:5]
	s_delay_alu instid0(VALU_DEP_2) | instskip(NEXT) | instid1(VALU_DEP_2)
	v_add_f64 v[1:2], v[1:2], v[6:7]
	v_add_f64 v[3:4], v[3:4], v[8:9]
	s_waitcnt vmcnt(0)
	s_delay_alu instid0(VALU_DEP_2) | instskip(NEXT) | instid1(VALU_DEP_2)
	v_add_f64 v[1:2], v[34:35], -v[1:2]
	v_add_f64 v[3:4], v[36:37], -v[3:4]
	scratch_store_b128 off, v[1:4], off offset:496
	v_cmpx_lt_u32_e32 30, v142
	s_cbranch_execz .LBB113_253
; %bb.252:
	scratch_load_b128 v[1:4], v161, off
	v_mov_b32_e32 v5, 0
	s_delay_alu instid0(VALU_DEP_1)
	v_mov_b32_e32 v6, v5
	v_mov_b32_e32 v7, v5
	;; [unrolled: 1-line block ×3, first 2 shown]
	scratch_store_b128 off, v[5:8], off offset:480
	s_waitcnt vmcnt(0)
	ds_store_b128 v192, v[1:4]
.LBB113_253:
	s_or_b32 exec_lo, exec_lo, s2
	s_waitcnt lgkmcnt(0)
	s_waitcnt_vscnt null, 0x0
	s_barrier
	buffer_gl0_inv
	s_clause 0x7
	scratch_load_b128 v[2:5], off, off offset:496
	scratch_load_b128 v[6:9], off, off offset:512
	;; [unrolled: 1-line block ×8, first 2 shown]
	v_mov_b32_e32 v1, 0
	s_clause 0x1
	scratch_load_b128 v[38:41], off, off offset:624
	scratch_load_b128 v[197:200], off, off offset:640
	s_mov_b32 s2, exec_lo
	ds_load_b128 v[34:37], v1 offset:1296
	ds_load_b128 v[193:196], v1 offset:1312
	s_waitcnt vmcnt(9) lgkmcnt(1)
	v_mul_f64 v[201:202], v[36:37], v[4:5]
	v_mul_f64 v[4:5], v[34:35], v[4:5]
	s_waitcnt vmcnt(8) lgkmcnt(0)
	v_mul_f64 v[203:204], v[193:194], v[8:9]
	v_mul_f64 v[8:9], v[195:196], v[8:9]
	s_delay_alu instid0(VALU_DEP_4) | instskip(NEXT) | instid1(VALU_DEP_4)
	v_fma_f64 v[201:202], v[34:35], v[2:3], -v[201:202]
	v_fma_f64 v[205:206], v[36:37], v[2:3], v[4:5]
	ds_load_b128 v[2:5], v1 offset:1328
	scratch_load_b128 v[34:37], off, off offset:656
	v_fma_f64 v[203:204], v[195:196], v[6:7], v[203:204]
	v_fma_f64 v[209:210], v[193:194], v[6:7], -v[8:9]
	scratch_load_b128 v[193:196], off, off offset:672
	ds_load_b128 v[6:9], v1 offset:1344
	s_waitcnt vmcnt(9) lgkmcnt(1)
	v_mul_f64 v[207:208], v[2:3], v[12:13]
	v_mul_f64 v[12:13], v[4:5], v[12:13]
	s_waitcnt vmcnt(8) lgkmcnt(0)
	v_mul_f64 v[211:212], v[6:7], v[16:17]
	v_mul_f64 v[16:17], v[8:9], v[16:17]
	v_add_f64 v[201:202], v[201:202], 0
	v_add_f64 v[205:206], v[205:206], 0
	v_fma_f64 v[207:208], v[4:5], v[10:11], v[207:208]
	v_fma_f64 v[213:214], v[2:3], v[10:11], -v[12:13]
	ds_load_b128 v[2:5], v1 offset:1360
	scratch_load_b128 v[10:13], off, off offset:688
	v_add_f64 v[201:202], v[201:202], v[209:210]
	v_add_f64 v[203:204], v[205:206], v[203:204]
	v_fma_f64 v[209:210], v[8:9], v[14:15], v[211:212]
	v_fma_f64 v[211:212], v[6:7], v[14:15], -v[16:17]
	ds_load_b128 v[6:9], v1 offset:1376
	scratch_load_b128 v[14:17], off, off offset:704
	s_waitcnt vmcnt(9) lgkmcnt(1)
	v_mul_f64 v[205:206], v[2:3], v[20:21]
	v_mul_f64 v[20:21], v[4:5], v[20:21]
	v_add_f64 v[201:202], v[201:202], v[213:214]
	v_add_f64 v[203:204], v[203:204], v[207:208]
	s_waitcnt vmcnt(8) lgkmcnt(0)
	v_mul_f64 v[207:208], v[6:7], v[24:25]
	v_mul_f64 v[24:25], v[8:9], v[24:25]
	v_fma_f64 v[205:206], v[4:5], v[18:19], v[205:206]
	v_fma_f64 v[213:214], v[2:3], v[18:19], -v[20:21]
	scratch_load_b128 v[18:21], off, off offset:720
	ds_load_b128 v[2:5], v1 offset:1392
	v_add_f64 v[201:202], v[201:202], v[211:212]
	v_add_f64 v[203:204], v[203:204], v[209:210]
	v_fma_f64 v[207:208], v[8:9], v[22:23], v[207:208]
	v_fma_f64 v[211:212], v[6:7], v[22:23], -v[24:25]
	ds_load_b128 v[6:9], v1 offset:1408
	s_waitcnt vmcnt(8) lgkmcnt(1)
	v_mul_f64 v[209:210], v[2:3], v[28:29]
	v_mul_f64 v[28:29], v[4:5], v[28:29]
	scratch_load_b128 v[22:25], off, off offset:736
	v_add_f64 v[201:202], v[201:202], v[213:214]
	v_add_f64 v[203:204], v[203:204], v[205:206]
	s_waitcnt vmcnt(8) lgkmcnt(0)
	v_mul_f64 v[205:206], v[6:7], v[32:33]
	v_mul_f64 v[32:33], v[8:9], v[32:33]
	v_fma_f64 v[209:210], v[4:5], v[26:27], v[209:210]
	v_fma_f64 v[213:214], v[2:3], v[26:27], -v[28:29]
	scratch_load_b128 v[26:29], off, off offset:752
	ds_load_b128 v[2:5], v1 offset:1424
	v_add_f64 v[201:202], v[201:202], v[211:212]
	v_add_f64 v[203:204], v[203:204], v[207:208]
	v_fma_f64 v[205:206], v[8:9], v[30:31], v[205:206]
	v_fma_f64 v[211:212], v[6:7], v[30:31], -v[32:33]
	ds_load_b128 v[6:9], v1 offset:1440
	s_waitcnt vmcnt(8) lgkmcnt(1)
	v_mul_f64 v[207:208], v[2:3], v[40:41]
	v_mul_f64 v[40:41], v[4:5], v[40:41]
	scratch_load_b128 v[30:33], off, off offset:768
	v_add_f64 v[201:202], v[201:202], v[213:214]
	v_add_f64 v[203:204], v[203:204], v[209:210]
	s_waitcnt vmcnt(8) lgkmcnt(0)
	v_mul_f64 v[209:210], v[6:7], v[199:200]
	v_mul_f64 v[199:200], v[8:9], v[199:200]
	v_fma_f64 v[207:208], v[4:5], v[38:39], v[207:208]
	v_fma_f64 v[213:214], v[2:3], v[38:39], -v[40:41]
	scratch_load_b128 v[38:41], off, off offset:784
	ds_load_b128 v[2:5], v1 offset:1456
	v_add_f64 v[201:202], v[201:202], v[211:212]
	v_add_f64 v[203:204], v[203:204], v[205:206]
	v_fma_f64 v[209:210], v[8:9], v[197:198], v[209:210]
	v_fma_f64 v[197:198], v[6:7], v[197:198], -v[199:200]
	ds_load_b128 v[6:9], v1 offset:1472
	s_waitcnt vmcnt(8) lgkmcnt(1)
	v_mul_f64 v[205:206], v[2:3], v[36:37]
	v_mul_f64 v[36:37], v[4:5], v[36:37]
	v_add_f64 v[199:200], v[201:202], v[213:214]
	v_add_f64 v[201:202], v[203:204], v[207:208]
	s_waitcnt vmcnt(7) lgkmcnt(0)
	v_mul_f64 v[203:204], v[6:7], v[195:196]
	v_mul_f64 v[195:196], v[8:9], v[195:196]
	v_fma_f64 v[205:206], v[4:5], v[34:35], v[205:206]
	v_fma_f64 v[34:35], v[2:3], v[34:35], -v[36:37]
	ds_load_b128 v[2:5], v1 offset:1488
	v_add_f64 v[36:37], v[199:200], v[197:198]
	v_add_f64 v[197:198], v[201:202], v[209:210]
	v_fma_f64 v[201:202], v[8:9], v[193:194], v[203:204]
	v_fma_f64 v[193:194], v[6:7], v[193:194], -v[195:196]
	ds_load_b128 v[6:9], v1 offset:1504
	s_waitcnt vmcnt(5) lgkmcnt(0)
	v_mul_f64 v[203:204], v[6:7], v[16:17]
	v_mul_f64 v[16:17], v[8:9], v[16:17]
	v_add_f64 v[195:196], v[36:37], v[34:35]
	v_add_f64 v[197:198], v[197:198], v[205:206]
	scratch_load_b128 v[34:37], off, off offset:480
	v_mul_f64 v[199:200], v[2:3], v[12:13]
	v_mul_f64 v[12:13], v[4:5], v[12:13]
	s_delay_alu instid0(VALU_DEP_2) | instskip(NEXT) | instid1(VALU_DEP_2)
	v_fma_f64 v[199:200], v[4:5], v[10:11], v[199:200]
	v_fma_f64 v[10:11], v[2:3], v[10:11], -v[12:13]
	v_add_f64 v[12:13], v[195:196], v[193:194]
	v_add_f64 v[193:194], v[197:198], v[201:202]
	ds_load_b128 v[2:5], v1 offset:1520
	v_fma_f64 v[197:198], v[8:9], v[14:15], v[203:204]
	v_fma_f64 v[14:15], v[6:7], v[14:15], -v[16:17]
	ds_load_b128 v[6:9], v1 offset:1536
	s_waitcnt vmcnt(5) lgkmcnt(1)
	v_mul_f64 v[195:196], v[2:3], v[20:21]
	v_mul_f64 v[20:21], v[4:5], v[20:21]
	s_waitcnt vmcnt(4) lgkmcnt(0)
	v_mul_f64 v[16:17], v[6:7], v[24:25]
	v_mul_f64 v[24:25], v[8:9], v[24:25]
	v_add_f64 v[10:11], v[12:13], v[10:11]
	v_add_f64 v[12:13], v[193:194], v[199:200]
	v_fma_f64 v[193:194], v[4:5], v[18:19], v[195:196]
	v_fma_f64 v[18:19], v[2:3], v[18:19], -v[20:21]
	ds_load_b128 v[2:5], v1 offset:1552
	v_fma_f64 v[16:17], v[8:9], v[22:23], v[16:17]
	v_fma_f64 v[22:23], v[6:7], v[22:23], -v[24:25]
	ds_load_b128 v[6:9], v1 offset:1568
	v_add_f64 v[10:11], v[10:11], v[14:15]
	v_add_f64 v[12:13], v[12:13], v[197:198]
	s_waitcnt vmcnt(3) lgkmcnt(1)
	v_mul_f64 v[14:15], v[2:3], v[28:29]
	v_mul_f64 v[20:21], v[4:5], v[28:29]
	s_waitcnt vmcnt(2) lgkmcnt(0)
	v_mul_f64 v[24:25], v[8:9], v[32:33]
	v_add_f64 v[10:11], v[10:11], v[18:19]
	v_add_f64 v[12:13], v[12:13], v[193:194]
	v_mul_f64 v[18:19], v[6:7], v[32:33]
	v_fma_f64 v[14:15], v[4:5], v[26:27], v[14:15]
	v_fma_f64 v[20:21], v[2:3], v[26:27], -v[20:21]
	ds_load_b128 v[2:5], v1 offset:1584
	v_fma_f64 v[6:7], v[6:7], v[30:31], -v[24:25]
	v_add_f64 v[10:11], v[10:11], v[22:23]
	v_add_f64 v[12:13], v[12:13], v[16:17]
	s_waitcnt vmcnt(1) lgkmcnt(0)
	v_mul_f64 v[16:17], v[2:3], v[40:41]
	v_mul_f64 v[22:23], v[4:5], v[40:41]
	v_fma_f64 v[8:9], v[8:9], v[30:31], v[18:19]
	v_add_f64 v[10:11], v[10:11], v[20:21]
	v_add_f64 v[12:13], v[12:13], v[14:15]
	v_fma_f64 v[4:5], v[4:5], v[38:39], v[16:17]
	v_fma_f64 v[2:3], v[2:3], v[38:39], -v[22:23]
	s_delay_alu instid0(VALU_DEP_4) | instskip(NEXT) | instid1(VALU_DEP_4)
	v_add_f64 v[6:7], v[10:11], v[6:7]
	v_add_f64 v[8:9], v[12:13], v[8:9]
	s_delay_alu instid0(VALU_DEP_2) | instskip(NEXT) | instid1(VALU_DEP_2)
	v_add_f64 v[2:3], v[6:7], v[2:3]
	v_add_f64 v[4:5], v[8:9], v[4:5]
	s_waitcnt vmcnt(0)
	s_delay_alu instid0(VALU_DEP_2) | instskip(NEXT) | instid1(VALU_DEP_2)
	v_add_f64 v[2:3], v[34:35], -v[2:3]
	v_add_f64 v[4:5], v[36:37], -v[4:5]
	scratch_store_b128 off, v[2:5], off offset:480
	v_cmpx_lt_u32_e32 29, v142
	s_cbranch_execz .LBB113_255
; %bb.254:
	scratch_load_b128 v[5:8], v163, off
	v_mov_b32_e32 v2, v1
	v_mov_b32_e32 v3, v1
	;; [unrolled: 1-line block ×3, first 2 shown]
	scratch_store_b128 off, v[1:4], off offset:464
	s_waitcnt vmcnt(0)
	ds_store_b128 v192, v[5:8]
.LBB113_255:
	s_or_b32 exec_lo, exec_lo, s2
	s_waitcnt lgkmcnt(0)
	s_waitcnt_vscnt null, 0x0
	s_barrier
	buffer_gl0_inv
	s_clause 0x7
	scratch_load_b128 v[2:5], off, off offset:480
	scratch_load_b128 v[6:9], off, off offset:496
	;; [unrolled: 1-line block ×8, first 2 shown]
	ds_load_b128 v[34:37], v1 offset:1280
	ds_load_b128 v[193:196], v1 offset:1296
	s_clause 0x1
	scratch_load_b128 v[38:41], off, off offset:608
	scratch_load_b128 v[197:200], off, off offset:624
	s_mov_b32 s2, exec_lo
	s_waitcnt vmcnt(9) lgkmcnt(1)
	v_mul_f64 v[201:202], v[36:37], v[4:5]
	v_mul_f64 v[4:5], v[34:35], v[4:5]
	s_waitcnt vmcnt(8) lgkmcnt(0)
	v_mul_f64 v[203:204], v[193:194], v[8:9]
	v_mul_f64 v[8:9], v[195:196], v[8:9]
	s_delay_alu instid0(VALU_DEP_4) | instskip(NEXT) | instid1(VALU_DEP_4)
	v_fma_f64 v[201:202], v[34:35], v[2:3], -v[201:202]
	v_fma_f64 v[205:206], v[36:37], v[2:3], v[4:5]
	ds_load_b128 v[2:5], v1 offset:1312
	scratch_load_b128 v[34:37], off, off offset:640
	v_fma_f64 v[203:204], v[195:196], v[6:7], v[203:204]
	v_fma_f64 v[209:210], v[193:194], v[6:7], -v[8:9]
	ds_load_b128 v[6:9], v1 offset:1328
	scratch_load_b128 v[193:196], off, off offset:656
	s_waitcnt vmcnt(9) lgkmcnt(1)
	v_mul_f64 v[207:208], v[2:3], v[12:13]
	v_mul_f64 v[12:13], v[4:5], v[12:13]
	s_waitcnt vmcnt(8) lgkmcnt(0)
	v_mul_f64 v[211:212], v[6:7], v[16:17]
	v_mul_f64 v[16:17], v[8:9], v[16:17]
	v_add_f64 v[201:202], v[201:202], 0
	v_add_f64 v[205:206], v[205:206], 0
	v_fma_f64 v[207:208], v[4:5], v[10:11], v[207:208]
	v_fma_f64 v[213:214], v[2:3], v[10:11], -v[12:13]
	scratch_load_b128 v[10:13], off, off offset:672
	ds_load_b128 v[2:5], v1 offset:1344
	v_add_f64 v[201:202], v[201:202], v[209:210]
	v_add_f64 v[203:204], v[205:206], v[203:204]
	v_fma_f64 v[209:210], v[8:9], v[14:15], v[211:212]
	v_fma_f64 v[211:212], v[6:7], v[14:15], -v[16:17]
	ds_load_b128 v[6:9], v1 offset:1360
	scratch_load_b128 v[14:17], off, off offset:688
	s_waitcnt vmcnt(9) lgkmcnt(1)
	v_mul_f64 v[205:206], v[2:3], v[20:21]
	v_mul_f64 v[20:21], v[4:5], v[20:21]
	v_add_f64 v[201:202], v[201:202], v[213:214]
	v_add_f64 v[203:204], v[203:204], v[207:208]
	s_waitcnt vmcnt(8) lgkmcnt(0)
	v_mul_f64 v[207:208], v[6:7], v[24:25]
	v_mul_f64 v[24:25], v[8:9], v[24:25]
	v_fma_f64 v[205:206], v[4:5], v[18:19], v[205:206]
	v_fma_f64 v[213:214], v[2:3], v[18:19], -v[20:21]
	scratch_load_b128 v[18:21], off, off offset:704
	ds_load_b128 v[2:5], v1 offset:1376
	v_add_f64 v[201:202], v[201:202], v[211:212]
	v_add_f64 v[203:204], v[203:204], v[209:210]
	v_fma_f64 v[207:208], v[8:9], v[22:23], v[207:208]
	v_fma_f64 v[211:212], v[6:7], v[22:23], -v[24:25]
	ds_load_b128 v[6:9], v1 offset:1392
	s_waitcnt vmcnt(8) lgkmcnt(1)
	v_mul_f64 v[209:210], v[2:3], v[28:29]
	v_mul_f64 v[28:29], v[4:5], v[28:29]
	scratch_load_b128 v[22:25], off, off offset:720
	v_add_f64 v[201:202], v[201:202], v[213:214]
	v_add_f64 v[203:204], v[203:204], v[205:206]
	s_waitcnt vmcnt(8) lgkmcnt(0)
	v_mul_f64 v[205:206], v[6:7], v[32:33]
	v_mul_f64 v[32:33], v[8:9], v[32:33]
	v_fma_f64 v[209:210], v[4:5], v[26:27], v[209:210]
	v_fma_f64 v[213:214], v[2:3], v[26:27], -v[28:29]
	scratch_load_b128 v[26:29], off, off offset:736
	ds_load_b128 v[2:5], v1 offset:1408
	v_add_f64 v[201:202], v[201:202], v[211:212]
	v_add_f64 v[203:204], v[203:204], v[207:208]
	v_fma_f64 v[205:206], v[8:9], v[30:31], v[205:206]
	v_fma_f64 v[211:212], v[6:7], v[30:31], -v[32:33]
	ds_load_b128 v[6:9], v1 offset:1424
	s_waitcnt vmcnt(8) lgkmcnt(1)
	v_mul_f64 v[207:208], v[2:3], v[40:41]
	v_mul_f64 v[40:41], v[4:5], v[40:41]
	scratch_load_b128 v[30:33], off, off offset:752
	v_add_f64 v[201:202], v[201:202], v[213:214]
	v_add_f64 v[203:204], v[203:204], v[209:210]
	s_waitcnt vmcnt(8) lgkmcnt(0)
	v_mul_f64 v[209:210], v[6:7], v[199:200]
	v_mul_f64 v[199:200], v[8:9], v[199:200]
	v_fma_f64 v[207:208], v[4:5], v[38:39], v[207:208]
	v_fma_f64 v[213:214], v[2:3], v[38:39], -v[40:41]
	scratch_load_b128 v[38:41], off, off offset:768
	ds_load_b128 v[2:5], v1 offset:1440
	v_add_f64 v[201:202], v[201:202], v[211:212]
	v_add_f64 v[203:204], v[203:204], v[205:206]
	v_fma_f64 v[209:210], v[8:9], v[197:198], v[209:210]
	v_fma_f64 v[211:212], v[6:7], v[197:198], -v[199:200]
	ds_load_b128 v[6:9], v1 offset:1456
	scratch_load_b128 v[197:200], off, off offset:784
	s_waitcnt vmcnt(9) lgkmcnt(1)
	v_mul_f64 v[205:206], v[2:3], v[36:37]
	v_mul_f64 v[36:37], v[4:5], v[36:37]
	v_add_f64 v[201:202], v[201:202], v[213:214]
	v_add_f64 v[203:204], v[203:204], v[207:208]
	s_delay_alu instid0(VALU_DEP_4) | instskip(NEXT) | instid1(VALU_DEP_4)
	v_fma_f64 v[205:206], v[4:5], v[34:35], v[205:206]
	v_fma_f64 v[34:35], v[2:3], v[34:35], -v[36:37]
	ds_load_b128 v[2:5], v1 offset:1472
	v_add_f64 v[36:37], v[201:202], v[211:212]
	v_add_f64 v[201:202], v[203:204], v[209:210]
	s_waitcnt vmcnt(7) lgkmcnt(0)
	v_mul_f64 v[203:204], v[2:3], v[12:13]
	v_mul_f64 v[12:13], v[4:5], v[12:13]
	s_delay_alu instid0(VALU_DEP_4) | instskip(NEXT) | instid1(VALU_DEP_4)
	v_add_f64 v[34:35], v[36:37], v[34:35]
	v_add_f64 v[36:37], v[201:202], v[205:206]
	s_delay_alu instid0(VALU_DEP_4) | instskip(NEXT) | instid1(VALU_DEP_4)
	v_fma_f64 v[201:202], v[4:5], v[10:11], v[203:204]
	v_fma_f64 v[203:204], v[2:3], v[10:11], -v[12:13]
	scratch_load_b128 v[10:13], off, off offset:464
	v_mul_f64 v[207:208], v[6:7], v[195:196]
	v_mul_f64 v[195:196], v[8:9], v[195:196]
	ds_load_b128 v[2:5], v1 offset:1504
	v_fma_f64 v[207:208], v[8:9], v[193:194], v[207:208]
	v_fma_f64 v[193:194], v[6:7], v[193:194], -v[195:196]
	ds_load_b128 v[6:9], v1 offset:1488
	s_waitcnt vmcnt(7) lgkmcnt(0)
	v_mul_f64 v[195:196], v[6:7], v[16:17]
	v_mul_f64 v[16:17], v[8:9], v[16:17]
	v_add_f64 v[36:37], v[36:37], v[207:208]
	v_add_f64 v[34:35], v[34:35], v[193:194]
	s_waitcnt vmcnt(6)
	v_mul_f64 v[193:194], v[2:3], v[20:21]
	v_mul_f64 v[20:21], v[4:5], v[20:21]
	v_fma_f64 v[195:196], v[8:9], v[14:15], v[195:196]
	v_fma_f64 v[14:15], v[6:7], v[14:15], -v[16:17]
	ds_load_b128 v[6:9], v1 offset:1520
	v_add_f64 v[16:17], v[34:35], v[203:204]
	v_add_f64 v[34:35], v[36:37], v[201:202]
	v_fma_f64 v[193:194], v[4:5], v[18:19], v[193:194]
	v_fma_f64 v[18:19], v[2:3], v[18:19], -v[20:21]
	ds_load_b128 v[2:5], v1 offset:1536
	s_waitcnt vmcnt(5) lgkmcnt(1)
	v_mul_f64 v[36:37], v[6:7], v[24:25]
	v_mul_f64 v[24:25], v[8:9], v[24:25]
	s_waitcnt vmcnt(4) lgkmcnt(0)
	v_mul_f64 v[20:21], v[2:3], v[28:29]
	v_mul_f64 v[28:29], v[4:5], v[28:29]
	v_add_f64 v[14:15], v[16:17], v[14:15]
	v_add_f64 v[16:17], v[34:35], v[195:196]
	v_fma_f64 v[34:35], v[8:9], v[22:23], v[36:37]
	v_fma_f64 v[22:23], v[6:7], v[22:23], -v[24:25]
	ds_load_b128 v[6:9], v1 offset:1552
	v_fma_f64 v[20:21], v[4:5], v[26:27], v[20:21]
	v_fma_f64 v[26:27], v[2:3], v[26:27], -v[28:29]
	ds_load_b128 v[2:5], v1 offset:1568
	s_waitcnt vmcnt(3) lgkmcnt(1)
	v_mul_f64 v[24:25], v[8:9], v[32:33]
	v_add_f64 v[14:15], v[14:15], v[18:19]
	v_add_f64 v[16:17], v[16:17], v[193:194]
	v_mul_f64 v[18:19], v[6:7], v[32:33]
	s_waitcnt vmcnt(2) lgkmcnt(0)
	v_mul_f64 v[28:29], v[4:5], v[40:41]
	v_fma_f64 v[24:25], v[6:7], v[30:31], -v[24:25]
	v_add_f64 v[14:15], v[14:15], v[22:23]
	v_add_f64 v[16:17], v[16:17], v[34:35]
	v_mul_f64 v[22:23], v[2:3], v[40:41]
	v_fma_f64 v[18:19], v[8:9], v[30:31], v[18:19]
	ds_load_b128 v[6:9], v1 offset:1584
	v_fma_f64 v[1:2], v[2:3], v[38:39], -v[28:29]
	v_add_f64 v[14:15], v[14:15], v[26:27]
	v_add_f64 v[16:17], v[16:17], v[20:21]
	s_waitcnt vmcnt(1) lgkmcnt(0)
	v_mul_f64 v[20:21], v[6:7], v[199:200]
	v_mul_f64 v[26:27], v[8:9], v[199:200]
	v_fma_f64 v[4:5], v[4:5], v[38:39], v[22:23]
	v_add_f64 v[14:15], v[14:15], v[24:25]
	v_add_f64 v[16:17], v[16:17], v[18:19]
	v_fma_f64 v[8:9], v[8:9], v[197:198], v[20:21]
	v_fma_f64 v[6:7], v[6:7], v[197:198], -v[26:27]
	s_delay_alu instid0(VALU_DEP_4) | instskip(NEXT) | instid1(VALU_DEP_4)
	v_add_f64 v[1:2], v[14:15], v[1:2]
	v_add_f64 v[3:4], v[16:17], v[4:5]
	s_delay_alu instid0(VALU_DEP_2) | instskip(NEXT) | instid1(VALU_DEP_2)
	v_add_f64 v[1:2], v[1:2], v[6:7]
	v_add_f64 v[3:4], v[3:4], v[8:9]
	s_waitcnt vmcnt(0)
	s_delay_alu instid0(VALU_DEP_2) | instskip(NEXT) | instid1(VALU_DEP_2)
	v_add_f64 v[1:2], v[10:11], -v[1:2]
	v_add_f64 v[3:4], v[12:13], -v[3:4]
	scratch_store_b128 off, v[1:4], off offset:464
	v_cmpx_lt_u32_e32 28, v142
	s_cbranch_execz .LBB113_257
; %bb.256:
	scratch_load_b128 v[1:4], v164, off
	v_mov_b32_e32 v5, 0
	s_delay_alu instid0(VALU_DEP_1)
	v_mov_b32_e32 v6, v5
	v_mov_b32_e32 v7, v5
	;; [unrolled: 1-line block ×3, first 2 shown]
	scratch_store_b128 off, v[5:8], off offset:448
	s_waitcnt vmcnt(0)
	ds_store_b128 v192, v[1:4]
.LBB113_257:
	s_or_b32 exec_lo, exec_lo, s2
	s_waitcnt lgkmcnt(0)
	s_waitcnt_vscnt null, 0x0
	s_barrier
	buffer_gl0_inv
	s_clause 0x7
	scratch_load_b128 v[2:5], off, off offset:464
	scratch_load_b128 v[6:9], off, off offset:480
	;; [unrolled: 1-line block ×8, first 2 shown]
	v_mov_b32_e32 v1, 0
	s_clause 0x1
	scratch_load_b128 v[38:41], off, off offset:592
	scratch_load_b128 v[197:200], off, off offset:608
	s_mov_b32 s2, exec_lo
	ds_load_b128 v[34:37], v1 offset:1264
	ds_load_b128 v[193:196], v1 offset:1280
	s_waitcnt vmcnt(9) lgkmcnt(1)
	v_mul_f64 v[201:202], v[36:37], v[4:5]
	v_mul_f64 v[4:5], v[34:35], v[4:5]
	s_waitcnt vmcnt(8) lgkmcnt(0)
	v_mul_f64 v[203:204], v[193:194], v[8:9]
	v_mul_f64 v[8:9], v[195:196], v[8:9]
	s_delay_alu instid0(VALU_DEP_4) | instskip(NEXT) | instid1(VALU_DEP_4)
	v_fma_f64 v[201:202], v[34:35], v[2:3], -v[201:202]
	v_fma_f64 v[205:206], v[36:37], v[2:3], v[4:5]
	ds_load_b128 v[2:5], v1 offset:1296
	scratch_load_b128 v[34:37], off, off offset:624
	v_fma_f64 v[203:204], v[195:196], v[6:7], v[203:204]
	v_fma_f64 v[209:210], v[193:194], v[6:7], -v[8:9]
	scratch_load_b128 v[193:196], off, off offset:640
	ds_load_b128 v[6:9], v1 offset:1312
	s_waitcnt vmcnt(9) lgkmcnt(1)
	v_mul_f64 v[207:208], v[2:3], v[12:13]
	v_mul_f64 v[12:13], v[4:5], v[12:13]
	s_waitcnt vmcnt(8) lgkmcnt(0)
	v_mul_f64 v[211:212], v[6:7], v[16:17]
	v_mul_f64 v[16:17], v[8:9], v[16:17]
	v_add_f64 v[201:202], v[201:202], 0
	v_add_f64 v[205:206], v[205:206], 0
	v_fma_f64 v[207:208], v[4:5], v[10:11], v[207:208]
	v_fma_f64 v[213:214], v[2:3], v[10:11], -v[12:13]
	ds_load_b128 v[2:5], v1 offset:1328
	scratch_load_b128 v[10:13], off, off offset:656
	v_add_f64 v[201:202], v[201:202], v[209:210]
	v_add_f64 v[203:204], v[205:206], v[203:204]
	v_fma_f64 v[209:210], v[8:9], v[14:15], v[211:212]
	v_fma_f64 v[211:212], v[6:7], v[14:15], -v[16:17]
	scratch_load_b128 v[14:17], off, off offset:672
	ds_load_b128 v[6:9], v1 offset:1344
	s_waitcnt vmcnt(9) lgkmcnt(1)
	v_mul_f64 v[205:206], v[2:3], v[20:21]
	v_mul_f64 v[20:21], v[4:5], v[20:21]
	v_add_f64 v[201:202], v[201:202], v[213:214]
	v_add_f64 v[203:204], v[203:204], v[207:208]
	s_waitcnt vmcnt(8) lgkmcnt(0)
	v_mul_f64 v[207:208], v[6:7], v[24:25]
	v_mul_f64 v[24:25], v[8:9], v[24:25]
	v_fma_f64 v[205:206], v[4:5], v[18:19], v[205:206]
	v_fma_f64 v[213:214], v[2:3], v[18:19], -v[20:21]
	ds_load_b128 v[2:5], v1 offset:1360
	scratch_load_b128 v[18:21], off, off offset:688
	v_add_f64 v[201:202], v[201:202], v[211:212]
	v_add_f64 v[203:204], v[203:204], v[209:210]
	v_fma_f64 v[207:208], v[8:9], v[22:23], v[207:208]
	v_fma_f64 v[211:212], v[6:7], v[22:23], -v[24:25]
	ds_load_b128 v[6:9], v1 offset:1376
	s_waitcnt vmcnt(8) lgkmcnt(1)
	v_mul_f64 v[209:210], v[2:3], v[28:29]
	v_mul_f64 v[28:29], v[4:5], v[28:29]
	scratch_load_b128 v[22:25], off, off offset:704
	v_add_f64 v[201:202], v[201:202], v[213:214]
	v_add_f64 v[203:204], v[203:204], v[205:206]
	s_waitcnt vmcnt(8) lgkmcnt(0)
	v_mul_f64 v[205:206], v[6:7], v[32:33]
	v_mul_f64 v[32:33], v[8:9], v[32:33]
	v_fma_f64 v[209:210], v[4:5], v[26:27], v[209:210]
	v_fma_f64 v[213:214], v[2:3], v[26:27], -v[28:29]
	scratch_load_b128 v[26:29], off, off offset:720
	ds_load_b128 v[2:5], v1 offset:1392
	v_add_f64 v[201:202], v[201:202], v[211:212]
	v_add_f64 v[203:204], v[203:204], v[207:208]
	v_fma_f64 v[205:206], v[8:9], v[30:31], v[205:206]
	v_fma_f64 v[211:212], v[6:7], v[30:31], -v[32:33]
	ds_load_b128 v[6:9], v1 offset:1408
	s_waitcnt vmcnt(8) lgkmcnt(1)
	v_mul_f64 v[207:208], v[2:3], v[40:41]
	v_mul_f64 v[40:41], v[4:5], v[40:41]
	scratch_load_b128 v[30:33], off, off offset:736
	v_add_f64 v[201:202], v[201:202], v[213:214]
	v_add_f64 v[203:204], v[203:204], v[209:210]
	s_waitcnt vmcnt(8) lgkmcnt(0)
	v_mul_f64 v[209:210], v[6:7], v[199:200]
	v_mul_f64 v[199:200], v[8:9], v[199:200]
	v_fma_f64 v[207:208], v[4:5], v[38:39], v[207:208]
	v_fma_f64 v[213:214], v[2:3], v[38:39], -v[40:41]
	scratch_load_b128 v[38:41], off, off offset:752
	ds_load_b128 v[2:5], v1 offset:1424
	v_add_f64 v[201:202], v[201:202], v[211:212]
	v_add_f64 v[203:204], v[203:204], v[205:206]
	v_fma_f64 v[209:210], v[8:9], v[197:198], v[209:210]
	v_fma_f64 v[211:212], v[6:7], v[197:198], -v[199:200]
	ds_load_b128 v[6:9], v1 offset:1440
	scratch_load_b128 v[197:200], off, off offset:768
	s_waitcnt vmcnt(9) lgkmcnt(1)
	v_mul_f64 v[205:206], v[2:3], v[36:37]
	v_mul_f64 v[36:37], v[4:5], v[36:37]
	v_add_f64 v[201:202], v[201:202], v[213:214]
	v_add_f64 v[203:204], v[203:204], v[207:208]
	s_waitcnt vmcnt(8) lgkmcnt(0)
	v_mul_f64 v[207:208], v[6:7], v[195:196]
	v_mul_f64 v[195:196], v[8:9], v[195:196]
	v_fma_f64 v[205:206], v[4:5], v[34:35], v[205:206]
	v_fma_f64 v[213:214], v[2:3], v[34:35], -v[36:37]
	scratch_load_b128 v[34:37], off, off offset:784
	ds_load_b128 v[2:5], v1 offset:1456
	v_add_f64 v[201:202], v[201:202], v[211:212]
	v_add_f64 v[203:204], v[203:204], v[209:210]
	v_fma_f64 v[207:208], v[8:9], v[193:194], v[207:208]
	v_fma_f64 v[193:194], v[6:7], v[193:194], -v[195:196]
	ds_load_b128 v[6:9], v1 offset:1472
	s_waitcnt vmcnt(8) lgkmcnt(1)
	v_mul_f64 v[209:210], v[2:3], v[12:13]
	v_mul_f64 v[12:13], v[4:5], v[12:13]
	v_add_f64 v[195:196], v[201:202], v[213:214]
	v_add_f64 v[201:202], v[203:204], v[205:206]
	s_waitcnt vmcnt(7) lgkmcnt(0)
	v_mul_f64 v[203:204], v[6:7], v[16:17]
	v_mul_f64 v[16:17], v[8:9], v[16:17]
	v_fma_f64 v[205:206], v[4:5], v[10:11], v[209:210]
	v_fma_f64 v[10:11], v[2:3], v[10:11], -v[12:13]
	ds_load_b128 v[2:5], v1 offset:1488
	v_add_f64 v[12:13], v[195:196], v[193:194]
	v_add_f64 v[193:194], v[201:202], v[207:208]
	v_fma_f64 v[201:202], v[8:9], v[14:15], v[203:204]
	v_fma_f64 v[14:15], v[6:7], v[14:15], -v[16:17]
	ds_load_b128 v[6:9], v1 offset:1504
	s_waitcnt vmcnt(5) lgkmcnt(0)
	v_mul_f64 v[203:204], v[6:7], v[24:25]
	v_mul_f64 v[24:25], v[8:9], v[24:25]
	v_add_f64 v[16:17], v[12:13], v[10:11]
	v_add_f64 v[193:194], v[193:194], v[205:206]
	scratch_load_b128 v[10:13], off, off offset:448
	v_mul_f64 v[195:196], v[2:3], v[20:21]
	v_mul_f64 v[20:21], v[4:5], v[20:21]
	v_add_f64 v[14:15], v[16:17], v[14:15]
	v_add_f64 v[16:17], v[193:194], v[201:202]
	v_fma_f64 v[193:194], v[8:9], v[22:23], v[203:204]
	v_fma_f64 v[195:196], v[4:5], v[18:19], v[195:196]
	v_fma_f64 v[18:19], v[2:3], v[18:19], -v[20:21]
	ds_load_b128 v[2:5], v1 offset:1520
	v_fma_f64 v[22:23], v[6:7], v[22:23], -v[24:25]
	ds_load_b128 v[6:9], v1 offset:1536
	s_waitcnt vmcnt(5) lgkmcnt(1)
	v_mul_f64 v[20:21], v[2:3], v[28:29]
	v_mul_f64 v[28:29], v[4:5], v[28:29]
	s_waitcnt vmcnt(4) lgkmcnt(0)
	v_mul_f64 v[24:25], v[8:9], v[32:33]
	v_add_f64 v[16:17], v[16:17], v[195:196]
	v_add_f64 v[14:15], v[14:15], v[18:19]
	v_mul_f64 v[18:19], v[6:7], v[32:33]
	v_fma_f64 v[20:21], v[4:5], v[26:27], v[20:21]
	v_fma_f64 v[26:27], v[2:3], v[26:27], -v[28:29]
	ds_load_b128 v[2:5], v1 offset:1552
	v_fma_f64 v[24:25], v[6:7], v[30:31], -v[24:25]
	v_add_f64 v[16:17], v[16:17], v[193:194]
	v_add_f64 v[14:15], v[14:15], v[22:23]
	v_fma_f64 v[18:19], v[8:9], v[30:31], v[18:19]
	ds_load_b128 v[6:9], v1 offset:1568
	s_waitcnt vmcnt(3) lgkmcnt(1)
	v_mul_f64 v[22:23], v[2:3], v[40:41]
	v_mul_f64 v[28:29], v[4:5], v[40:41]
	v_add_f64 v[16:17], v[16:17], v[20:21]
	v_add_f64 v[14:15], v[14:15], v[26:27]
	s_waitcnt vmcnt(2) lgkmcnt(0)
	v_mul_f64 v[20:21], v[6:7], v[199:200]
	v_mul_f64 v[26:27], v[8:9], v[199:200]
	v_fma_f64 v[22:23], v[4:5], v[38:39], v[22:23]
	v_fma_f64 v[28:29], v[2:3], v[38:39], -v[28:29]
	ds_load_b128 v[2:5], v1 offset:1584
	v_add_f64 v[16:17], v[16:17], v[18:19]
	v_add_f64 v[14:15], v[14:15], v[24:25]
	s_waitcnt vmcnt(1) lgkmcnt(0)
	v_mul_f64 v[18:19], v[2:3], v[36:37]
	v_mul_f64 v[24:25], v[4:5], v[36:37]
	v_fma_f64 v[8:9], v[8:9], v[197:198], v[20:21]
	v_fma_f64 v[6:7], v[6:7], v[197:198], -v[26:27]
	v_add_f64 v[16:17], v[16:17], v[22:23]
	v_add_f64 v[14:15], v[14:15], v[28:29]
	v_fma_f64 v[4:5], v[4:5], v[34:35], v[18:19]
	v_fma_f64 v[2:3], v[2:3], v[34:35], -v[24:25]
	s_delay_alu instid0(VALU_DEP_4) | instskip(NEXT) | instid1(VALU_DEP_4)
	v_add_f64 v[8:9], v[16:17], v[8:9]
	v_add_f64 v[6:7], v[14:15], v[6:7]
	s_delay_alu instid0(VALU_DEP_2) | instskip(NEXT) | instid1(VALU_DEP_2)
	v_add_f64 v[4:5], v[8:9], v[4:5]
	v_add_f64 v[2:3], v[6:7], v[2:3]
	s_waitcnt vmcnt(0)
	s_delay_alu instid0(VALU_DEP_2) | instskip(NEXT) | instid1(VALU_DEP_2)
	v_add_f64 v[4:5], v[12:13], -v[4:5]
	v_add_f64 v[2:3], v[10:11], -v[2:3]
	scratch_store_b128 off, v[2:5], off offset:448
	v_cmpx_lt_u32_e32 27, v142
	s_cbranch_execz .LBB113_259
; %bb.258:
	scratch_load_b128 v[5:8], v166, off
	v_mov_b32_e32 v2, v1
	v_mov_b32_e32 v3, v1
	;; [unrolled: 1-line block ×3, first 2 shown]
	scratch_store_b128 off, v[1:4], off offset:432
	s_waitcnt vmcnt(0)
	ds_store_b128 v192, v[5:8]
.LBB113_259:
	s_or_b32 exec_lo, exec_lo, s2
	s_waitcnt lgkmcnt(0)
	s_waitcnt_vscnt null, 0x0
	s_barrier
	buffer_gl0_inv
	s_clause 0x7
	scratch_load_b128 v[2:5], off, off offset:448
	scratch_load_b128 v[6:9], off, off offset:464
	;; [unrolled: 1-line block ×8, first 2 shown]
	ds_load_b128 v[34:37], v1 offset:1248
	ds_load_b128 v[193:196], v1 offset:1264
	s_clause 0x1
	scratch_load_b128 v[38:41], off, off offset:576
	scratch_load_b128 v[197:200], off, off offset:592
	s_mov_b32 s2, exec_lo
	s_waitcnt vmcnt(9) lgkmcnt(1)
	v_mul_f64 v[201:202], v[36:37], v[4:5]
	v_mul_f64 v[4:5], v[34:35], v[4:5]
	s_waitcnt vmcnt(8) lgkmcnt(0)
	v_mul_f64 v[203:204], v[193:194], v[8:9]
	v_mul_f64 v[8:9], v[195:196], v[8:9]
	s_delay_alu instid0(VALU_DEP_4) | instskip(NEXT) | instid1(VALU_DEP_4)
	v_fma_f64 v[201:202], v[34:35], v[2:3], -v[201:202]
	v_fma_f64 v[205:206], v[36:37], v[2:3], v[4:5]
	ds_load_b128 v[2:5], v1 offset:1280
	scratch_load_b128 v[34:37], off, off offset:608
	v_fma_f64 v[203:204], v[195:196], v[6:7], v[203:204]
	v_fma_f64 v[209:210], v[193:194], v[6:7], -v[8:9]
	scratch_load_b128 v[193:196], off, off offset:624
	ds_load_b128 v[6:9], v1 offset:1296
	s_waitcnt vmcnt(9) lgkmcnt(1)
	v_mul_f64 v[207:208], v[2:3], v[12:13]
	v_mul_f64 v[12:13], v[4:5], v[12:13]
	s_waitcnt vmcnt(8) lgkmcnt(0)
	v_mul_f64 v[211:212], v[6:7], v[16:17]
	v_mul_f64 v[16:17], v[8:9], v[16:17]
	v_add_f64 v[201:202], v[201:202], 0
	v_add_f64 v[205:206], v[205:206], 0
	v_fma_f64 v[207:208], v[4:5], v[10:11], v[207:208]
	v_fma_f64 v[213:214], v[2:3], v[10:11], -v[12:13]
	ds_load_b128 v[2:5], v1 offset:1312
	scratch_load_b128 v[10:13], off, off offset:640
	v_add_f64 v[201:202], v[201:202], v[209:210]
	v_add_f64 v[203:204], v[205:206], v[203:204]
	v_fma_f64 v[209:210], v[8:9], v[14:15], v[211:212]
	v_fma_f64 v[211:212], v[6:7], v[14:15], -v[16:17]
	scratch_load_b128 v[14:17], off, off offset:656
	ds_load_b128 v[6:9], v1 offset:1328
	s_waitcnt vmcnt(9) lgkmcnt(1)
	v_mul_f64 v[205:206], v[2:3], v[20:21]
	v_mul_f64 v[20:21], v[4:5], v[20:21]
	v_add_f64 v[201:202], v[201:202], v[213:214]
	v_add_f64 v[203:204], v[203:204], v[207:208]
	s_waitcnt vmcnt(8) lgkmcnt(0)
	v_mul_f64 v[207:208], v[6:7], v[24:25]
	v_mul_f64 v[24:25], v[8:9], v[24:25]
	v_fma_f64 v[205:206], v[4:5], v[18:19], v[205:206]
	v_fma_f64 v[213:214], v[2:3], v[18:19], -v[20:21]
	ds_load_b128 v[2:5], v1 offset:1344
	scratch_load_b128 v[18:21], off, off offset:672
	v_add_f64 v[201:202], v[201:202], v[211:212]
	v_add_f64 v[203:204], v[203:204], v[209:210]
	v_fma_f64 v[207:208], v[8:9], v[22:23], v[207:208]
	v_fma_f64 v[211:212], v[6:7], v[22:23], -v[24:25]
	ds_load_b128 v[6:9], v1 offset:1360
	s_waitcnt vmcnt(8) lgkmcnt(1)
	v_mul_f64 v[209:210], v[2:3], v[28:29]
	v_mul_f64 v[28:29], v[4:5], v[28:29]
	scratch_load_b128 v[22:25], off, off offset:688
	v_add_f64 v[201:202], v[201:202], v[213:214]
	v_add_f64 v[203:204], v[203:204], v[205:206]
	s_waitcnt vmcnt(8) lgkmcnt(0)
	v_mul_f64 v[205:206], v[6:7], v[32:33]
	v_mul_f64 v[32:33], v[8:9], v[32:33]
	v_fma_f64 v[209:210], v[4:5], v[26:27], v[209:210]
	v_fma_f64 v[213:214], v[2:3], v[26:27], -v[28:29]
	ds_load_b128 v[2:5], v1 offset:1376
	scratch_load_b128 v[26:29], off, off offset:704
	v_add_f64 v[201:202], v[201:202], v[211:212]
	v_add_f64 v[203:204], v[203:204], v[207:208]
	v_fma_f64 v[205:206], v[8:9], v[30:31], v[205:206]
	v_fma_f64 v[211:212], v[6:7], v[30:31], -v[32:33]
	ds_load_b128 v[6:9], v1 offset:1392
	s_waitcnt vmcnt(8) lgkmcnt(1)
	v_mul_f64 v[207:208], v[2:3], v[40:41]
	v_mul_f64 v[40:41], v[4:5], v[40:41]
	scratch_load_b128 v[30:33], off, off offset:720
	v_add_f64 v[201:202], v[201:202], v[213:214]
	v_add_f64 v[203:204], v[203:204], v[209:210]
	s_waitcnt vmcnt(8) lgkmcnt(0)
	v_mul_f64 v[209:210], v[6:7], v[199:200]
	v_mul_f64 v[199:200], v[8:9], v[199:200]
	v_fma_f64 v[207:208], v[4:5], v[38:39], v[207:208]
	v_fma_f64 v[213:214], v[2:3], v[38:39], -v[40:41]
	scratch_load_b128 v[38:41], off, off offset:736
	ds_load_b128 v[2:5], v1 offset:1408
	v_add_f64 v[201:202], v[201:202], v[211:212]
	v_add_f64 v[203:204], v[203:204], v[205:206]
	v_fma_f64 v[209:210], v[8:9], v[197:198], v[209:210]
	v_fma_f64 v[211:212], v[6:7], v[197:198], -v[199:200]
	ds_load_b128 v[6:9], v1 offset:1424
	scratch_load_b128 v[197:200], off, off offset:752
	s_waitcnt vmcnt(9) lgkmcnt(1)
	v_mul_f64 v[205:206], v[2:3], v[36:37]
	v_mul_f64 v[36:37], v[4:5], v[36:37]
	v_add_f64 v[201:202], v[201:202], v[213:214]
	v_add_f64 v[203:204], v[203:204], v[207:208]
	s_waitcnt vmcnt(8) lgkmcnt(0)
	v_mul_f64 v[207:208], v[6:7], v[195:196]
	v_mul_f64 v[195:196], v[8:9], v[195:196]
	v_fma_f64 v[205:206], v[4:5], v[34:35], v[205:206]
	v_fma_f64 v[213:214], v[2:3], v[34:35], -v[36:37]
	scratch_load_b128 v[34:37], off, off offset:768
	ds_load_b128 v[2:5], v1 offset:1440
	v_add_f64 v[201:202], v[201:202], v[211:212]
	v_add_f64 v[203:204], v[203:204], v[209:210]
	v_fma_f64 v[207:208], v[8:9], v[193:194], v[207:208]
	v_fma_f64 v[211:212], v[6:7], v[193:194], -v[195:196]
	ds_load_b128 v[6:9], v1 offset:1456
	s_waitcnt vmcnt(8) lgkmcnt(1)
	v_mul_f64 v[209:210], v[2:3], v[12:13]
	v_mul_f64 v[12:13], v[4:5], v[12:13]
	scratch_load_b128 v[193:196], off, off offset:784
	v_add_f64 v[201:202], v[201:202], v[213:214]
	v_add_f64 v[203:204], v[203:204], v[205:206]
	s_waitcnt vmcnt(8) lgkmcnt(0)
	v_mul_f64 v[205:206], v[6:7], v[16:17]
	v_mul_f64 v[16:17], v[8:9], v[16:17]
	v_fma_f64 v[209:210], v[4:5], v[10:11], v[209:210]
	v_fma_f64 v[10:11], v[2:3], v[10:11], -v[12:13]
	ds_load_b128 v[2:5], v1 offset:1472
	v_add_f64 v[12:13], v[201:202], v[211:212]
	v_add_f64 v[201:202], v[203:204], v[207:208]
	v_fma_f64 v[205:206], v[8:9], v[14:15], v[205:206]
	v_fma_f64 v[14:15], v[6:7], v[14:15], -v[16:17]
	ds_load_b128 v[6:9], v1 offset:1488
	s_waitcnt vmcnt(7) lgkmcnt(1)
	v_mul_f64 v[203:204], v[2:3], v[20:21]
	v_mul_f64 v[20:21], v[4:5], v[20:21]
	v_add_f64 v[10:11], v[12:13], v[10:11]
	v_add_f64 v[12:13], v[201:202], v[209:210]
	s_delay_alu instid0(VALU_DEP_4) | instskip(NEXT) | instid1(VALU_DEP_4)
	v_fma_f64 v[201:202], v[4:5], v[18:19], v[203:204]
	v_fma_f64 v[18:19], v[2:3], v[18:19], -v[20:21]
	ds_load_b128 v[2:5], v1 offset:1504
	v_add_f64 v[14:15], v[10:11], v[14:15]
	v_add_f64 v[20:21], v[12:13], v[205:206]
	scratch_load_b128 v[10:13], off, off offset:432
	s_waitcnt vmcnt(7) lgkmcnt(1)
	v_mul_f64 v[16:17], v[6:7], v[24:25]
	v_mul_f64 v[24:25], v[8:9], v[24:25]
	v_add_f64 v[14:15], v[14:15], v[18:19]
	v_add_f64 v[18:19], v[20:21], v[201:202]
	s_delay_alu instid0(VALU_DEP_4) | instskip(NEXT) | instid1(VALU_DEP_4)
	v_fma_f64 v[16:17], v[8:9], v[22:23], v[16:17]
	v_fma_f64 v[22:23], v[6:7], v[22:23], -v[24:25]
	ds_load_b128 v[6:9], v1 offset:1520
	s_waitcnt vmcnt(6) lgkmcnt(1)
	v_mul_f64 v[203:204], v[2:3], v[28:29]
	v_mul_f64 v[28:29], v[4:5], v[28:29]
	s_waitcnt vmcnt(5) lgkmcnt(0)
	v_mul_f64 v[20:21], v[6:7], v[32:33]
	v_mul_f64 v[24:25], v[8:9], v[32:33]
	v_add_f64 v[16:17], v[18:19], v[16:17]
	v_add_f64 v[14:15], v[14:15], v[22:23]
	v_fma_f64 v[32:33], v[4:5], v[26:27], v[203:204]
	v_fma_f64 v[26:27], v[2:3], v[26:27], -v[28:29]
	ds_load_b128 v[2:5], v1 offset:1536
	v_fma_f64 v[20:21], v[8:9], v[30:31], v[20:21]
	v_fma_f64 v[24:25], v[6:7], v[30:31], -v[24:25]
	ds_load_b128 v[6:9], v1 offset:1552
	s_waitcnt vmcnt(4) lgkmcnt(1)
	v_mul_f64 v[18:19], v[2:3], v[40:41]
	v_mul_f64 v[22:23], v[4:5], v[40:41]
	v_add_f64 v[16:17], v[16:17], v[32:33]
	v_add_f64 v[14:15], v[14:15], v[26:27]
	s_waitcnt vmcnt(3) lgkmcnt(0)
	v_mul_f64 v[26:27], v[6:7], v[199:200]
	v_mul_f64 v[28:29], v[8:9], v[199:200]
	v_fma_f64 v[18:19], v[4:5], v[38:39], v[18:19]
	v_fma_f64 v[22:23], v[2:3], v[38:39], -v[22:23]
	ds_load_b128 v[2:5], v1 offset:1568
	v_add_f64 v[16:17], v[16:17], v[20:21]
	v_add_f64 v[14:15], v[14:15], v[24:25]
	v_fma_f64 v[26:27], v[8:9], v[197:198], v[26:27]
	v_fma_f64 v[28:29], v[6:7], v[197:198], -v[28:29]
	ds_load_b128 v[6:9], v1 offset:1584
	s_waitcnt vmcnt(2) lgkmcnt(1)
	v_mul_f64 v[20:21], v[2:3], v[36:37]
	v_mul_f64 v[24:25], v[4:5], v[36:37]
	v_add_f64 v[16:17], v[16:17], v[18:19]
	v_add_f64 v[14:15], v[14:15], v[22:23]
	s_waitcnt vmcnt(1) lgkmcnt(0)
	v_mul_f64 v[18:19], v[6:7], v[195:196]
	v_mul_f64 v[22:23], v[8:9], v[195:196]
	v_fma_f64 v[4:5], v[4:5], v[34:35], v[20:21]
	v_fma_f64 v[1:2], v[2:3], v[34:35], -v[24:25]
	v_add_f64 v[16:17], v[16:17], v[26:27]
	v_add_f64 v[14:15], v[14:15], v[28:29]
	v_fma_f64 v[8:9], v[8:9], v[193:194], v[18:19]
	v_fma_f64 v[6:7], v[6:7], v[193:194], -v[22:23]
	s_delay_alu instid0(VALU_DEP_4) | instskip(NEXT) | instid1(VALU_DEP_4)
	v_add_f64 v[3:4], v[16:17], v[4:5]
	v_add_f64 v[1:2], v[14:15], v[1:2]
	s_delay_alu instid0(VALU_DEP_2) | instskip(NEXT) | instid1(VALU_DEP_2)
	v_add_f64 v[3:4], v[3:4], v[8:9]
	v_add_f64 v[1:2], v[1:2], v[6:7]
	s_waitcnt vmcnt(0)
	s_delay_alu instid0(VALU_DEP_2) | instskip(NEXT) | instid1(VALU_DEP_2)
	v_add_f64 v[3:4], v[12:13], -v[3:4]
	v_add_f64 v[1:2], v[10:11], -v[1:2]
	scratch_store_b128 off, v[1:4], off offset:432
	v_cmpx_lt_u32_e32 26, v142
	s_cbranch_execz .LBB113_261
; %bb.260:
	scratch_load_b128 v[1:4], v165, off
	v_mov_b32_e32 v5, 0
	s_delay_alu instid0(VALU_DEP_1)
	v_mov_b32_e32 v6, v5
	v_mov_b32_e32 v7, v5
	v_mov_b32_e32 v8, v5
	scratch_store_b128 off, v[5:8], off offset:416
	s_waitcnt vmcnt(0)
	ds_store_b128 v192, v[1:4]
.LBB113_261:
	s_or_b32 exec_lo, exec_lo, s2
	s_waitcnt lgkmcnt(0)
	s_waitcnt_vscnt null, 0x0
	s_barrier
	buffer_gl0_inv
	s_clause 0x7
	scratch_load_b128 v[2:5], off, off offset:432
	scratch_load_b128 v[6:9], off, off offset:448
	;; [unrolled: 1-line block ×8, first 2 shown]
	v_mov_b32_e32 v1, 0
	s_clause 0x1
	scratch_load_b128 v[38:41], off, off offset:560
	scratch_load_b128 v[197:200], off, off offset:576
	s_mov_b32 s2, exec_lo
	ds_load_b128 v[34:37], v1 offset:1232
	ds_load_b128 v[193:196], v1 offset:1248
	s_waitcnt vmcnt(9) lgkmcnt(1)
	v_mul_f64 v[201:202], v[36:37], v[4:5]
	v_mul_f64 v[4:5], v[34:35], v[4:5]
	s_waitcnt vmcnt(8) lgkmcnt(0)
	v_mul_f64 v[203:204], v[193:194], v[8:9]
	v_mul_f64 v[8:9], v[195:196], v[8:9]
	s_delay_alu instid0(VALU_DEP_4) | instskip(NEXT) | instid1(VALU_DEP_4)
	v_fma_f64 v[201:202], v[34:35], v[2:3], -v[201:202]
	v_fma_f64 v[205:206], v[36:37], v[2:3], v[4:5]
	ds_load_b128 v[2:5], v1 offset:1264
	scratch_load_b128 v[34:37], off, off offset:592
	v_fma_f64 v[203:204], v[195:196], v[6:7], v[203:204]
	v_fma_f64 v[209:210], v[193:194], v[6:7], -v[8:9]
	scratch_load_b128 v[193:196], off, off offset:608
	ds_load_b128 v[6:9], v1 offset:1280
	s_waitcnt vmcnt(9) lgkmcnt(1)
	v_mul_f64 v[207:208], v[2:3], v[12:13]
	v_mul_f64 v[12:13], v[4:5], v[12:13]
	s_waitcnt vmcnt(8) lgkmcnt(0)
	v_mul_f64 v[211:212], v[6:7], v[16:17]
	v_mul_f64 v[16:17], v[8:9], v[16:17]
	v_add_f64 v[201:202], v[201:202], 0
	v_add_f64 v[205:206], v[205:206], 0
	v_fma_f64 v[207:208], v[4:5], v[10:11], v[207:208]
	v_fma_f64 v[213:214], v[2:3], v[10:11], -v[12:13]
	ds_load_b128 v[2:5], v1 offset:1296
	scratch_load_b128 v[10:13], off, off offset:624
	v_add_f64 v[201:202], v[201:202], v[209:210]
	v_add_f64 v[203:204], v[205:206], v[203:204]
	v_fma_f64 v[209:210], v[8:9], v[14:15], v[211:212]
	v_fma_f64 v[211:212], v[6:7], v[14:15], -v[16:17]
	scratch_load_b128 v[14:17], off, off offset:640
	ds_load_b128 v[6:9], v1 offset:1312
	s_waitcnt vmcnt(9) lgkmcnt(1)
	v_mul_f64 v[205:206], v[2:3], v[20:21]
	v_mul_f64 v[20:21], v[4:5], v[20:21]
	v_add_f64 v[201:202], v[201:202], v[213:214]
	v_add_f64 v[203:204], v[203:204], v[207:208]
	s_waitcnt vmcnt(8) lgkmcnt(0)
	v_mul_f64 v[207:208], v[6:7], v[24:25]
	v_mul_f64 v[24:25], v[8:9], v[24:25]
	v_fma_f64 v[205:206], v[4:5], v[18:19], v[205:206]
	v_fma_f64 v[213:214], v[2:3], v[18:19], -v[20:21]
	ds_load_b128 v[2:5], v1 offset:1328
	scratch_load_b128 v[18:21], off, off offset:656
	v_add_f64 v[201:202], v[201:202], v[211:212]
	v_add_f64 v[203:204], v[203:204], v[209:210]
	v_fma_f64 v[207:208], v[8:9], v[22:23], v[207:208]
	v_fma_f64 v[211:212], v[6:7], v[22:23], -v[24:25]
	scratch_load_b128 v[22:25], off, off offset:672
	ds_load_b128 v[6:9], v1 offset:1344
	s_waitcnt vmcnt(9) lgkmcnt(1)
	v_mul_f64 v[209:210], v[2:3], v[28:29]
	v_mul_f64 v[28:29], v[4:5], v[28:29]
	v_add_f64 v[201:202], v[201:202], v[213:214]
	v_add_f64 v[203:204], v[203:204], v[205:206]
	s_waitcnt vmcnt(8) lgkmcnt(0)
	v_mul_f64 v[205:206], v[6:7], v[32:33]
	v_mul_f64 v[32:33], v[8:9], v[32:33]
	v_fma_f64 v[209:210], v[4:5], v[26:27], v[209:210]
	v_fma_f64 v[213:214], v[2:3], v[26:27], -v[28:29]
	ds_load_b128 v[2:5], v1 offset:1360
	scratch_load_b128 v[26:29], off, off offset:688
	v_add_f64 v[201:202], v[201:202], v[211:212]
	v_add_f64 v[203:204], v[203:204], v[207:208]
	v_fma_f64 v[205:206], v[8:9], v[30:31], v[205:206]
	v_fma_f64 v[211:212], v[6:7], v[30:31], -v[32:33]
	ds_load_b128 v[6:9], v1 offset:1376
	s_waitcnt vmcnt(8) lgkmcnt(1)
	v_mul_f64 v[207:208], v[2:3], v[40:41]
	v_mul_f64 v[40:41], v[4:5], v[40:41]
	scratch_load_b128 v[30:33], off, off offset:704
	v_add_f64 v[201:202], v[201:202], v[213:214]
	v_add_f64 v[203:204], v[203:204], v[209:210]
	s_waitcnt vmcnt(8) lgkmcnt(0)
	v_mul_f64 v[209:210], v[6:7], v[199:200]
	v_mul_f64 v[199:200], v[8:9], v[199:200]
	v_fma_f64 v[207:208], v[4:5], v[38:39], v[207:208]
	v_fma_f64 v[213:214], v[2:3], v[38:39], -v[40:41]
	scratch_load_b128 v[38:41], off, off offset:720
	ds_load_b128 v[2:5], v1 offset:1392
	v_add_f64 v[201:202], v[201:202], v[211:212]
	v_add_f64 v[203:204], v[203:204], v[205:206]
	v_fma_f64 v[209:210], v[8:9], v[197:198], v[209:210]
	v_fma_f64 v[211:212], v[6:7], v[197:198], -v[199:200]
	ds_load_b128 v[6:9], v1 offset:1408
	scratch_load_b128 v[197:200], off, off offset:736
	s_waitcnt vmcnt(9) lgkmcnt(1)
	v_mul_f64 v[205:206], v[2:3], v[36:37]
	v_mul_f64 v[36:37], v[4:5], v[36:37]
	v_add_f64 v[201:202], v[201:202], v[213:214]
	v_add_f64 v[203:204], v[203:204], v[207:208]
	s_waitcnt vmcnt(8) lgkmcnt(0)
	v_mul_f64 v[207:208], v[6:7], v[195:196]
	v_mul_f64 v[195:196], v[8:9], v[195:196]
	v_fma_f64 v[205:206], v[4:5], v[34:35], v[205:206]
	v_fma_f64 v[213:214], v[2:3], v[34:35], -v[36:37]
	scratch_load_b128 v[34:37], off, off offset:752
	ds_load_b128 v[2:5], v1 offset:1424
	v_add_f64 v[201:202], v[201:202], v[211:212]
	v_add_f64 v[203:204], v[203:204], v[209:210]
	v_fma_f64 v[207:208], v[8:9], v[193:194], v[207:208]
	v_fma_f64 v[211:212], v[6:7], v[193:194], -v[195:196]
	ds_load_b128 v[6:9], v1 offset:1440
	s_waitcnt vmcnt(8) lgkmcnt(1)
	v_mul_f64 v[209:210], v[2:3], v[12:13]
	v_mul_f64 v[12:13], v[4:5], v[12:13]
	scratch_load_b128 v[193:196], off, off offset:768
	v_add_f64 v[201:202], v[201:202], v[213:214]
	v_add_f64 v[203:204], v[203:204], v[205:206]
	s_waitcnt vmcnt(8) lgkmcnt(0)
	v_mul_f64 v[205:206], v[6:7], v[16:17]
	v_mul_f64 v[16:17], v[8:9], v[16:17]
	v_fma_f64 v[209:210], v[4:5], v[10:11], v[209:210]
	v_fma_f64 v[213:214], v[2:3], v[10:11], -v[12:13]
	scratch_load_b128 v[10:13], off, off offset:784
	ds_load_b128 v[2:5], v1 offset:1456
	v_add_f64 v[201:202], v[201:202], v[211:212]
	v_add_f64 v[203:204], v[203:204], v[207:208]
	v_fma_f64 v[205:206], v[8:9], v[14:15], v[205:206]
	v_fma_f64 v[14:15], v[6:7], v[14:15], -v[16:17]
	ds_load_b128 v[6:9], v1 offset:1472
	s_waitcnt vmcnt(8) lgkmcnt(1)
	v_mul_f64 v[207:208], v[2:3], v[20:21]
	v_mul_f64 v[20:21], v[4:5], v[20:21]
	v_add_f64 v[16:17], v[201:202], v[213:214]
	v_add_f64 v[201:202], v[203:204], v[209:210]
	s_waitcnt vmcnt(7) lgkmcnt(0)
	v_mul_f64 v[203:204], v[6:7], v[24:25]
	v_mul_f64 v[24:25], v[8:9], v[24:25]
	v_fma_f64 v[207:208], v[4:5], v[18:19], v[207:208]
	v_fma_f64 v[18:19], v[2:3], v[18:19], -v[20:21]
	ds_load_b128 v[2:5], v1 offset:1488
	v_add_f64 v[14:15], v[16:17], v[14:15]
	v_add_f64 v[16:17], v[201:202], v[205:206]
	v_fma_f64 v[201:202], v[8:9], v[22:23], v[203:204]
	v_fma_f64 v[22:23], v[6:7], v[22:23], -v[24:25]
	ds_load_b128 v[6:9], v1 offset:1504
	s_waitcnt vmcnt(5) lgkmcnt(0)
	v_mul_f64 v[203:204], v[6:7], v[32:33]
	v_mul_f64 v[32:33], v[8:9], v[32:33]
	v_add_f64 v[18:19], v[14:15], v[18:19]
	v_add_f64 v[24:25], v[16:17], v[207:208]
	scratch_load_b128 v[14:17], off, off offset:416
	v_mul_f64 v[20:21], v[2:3], v[28:29]
	v_mul_f64 v[28:29], v[4:5], v[28:29]
	v_add_f64 v[18:19], v[18:19], v[22:23]
	v_add_f64 v[22:23], v[24:25], v[201:202]
	s_delay_alu instid0(VALU_DEP_4) | instskip(NEXT) | instid1(VALU_DEP_4)
	v_fma_f64 v[20:21], v[4:5], v[26:27], v[20:21]
	v_fma_f64 v[26:27], v[2:3], v[26:27], -v[28:29]
	ds_load_b128 v[2:5], v1 offset:1520
	s_waitcnt vmcnt(5) lgkmcnt(0)
	v_mul_f64 v[24:25], v[2:3], v[40:41]
	v_mul_f64 v[28:29], v[4:5], v[40:41]
	v_fma_f64 v[40:41], v[8:9], v[30:31], v[203:204]
	v_fma_f64 v[30:31], v[6:7], v[30:31], -v[32:33]
	ds_load_b128 v[6:9], v1 offset:1536
	v_add_f64 v[20:21], v[22:23], v[20:21]
	v_add_f64 v[18:19], v[18:19], v[26:27]
	v_fma_f64 v[24:25], v[4:5], v[38:39], v[24:25]
	v_fma_f64 v[28:29], v[2:3], v[38:39], -v[28:29]
	ds_load_b128 v[2:5], v1 offset:1552
	s_waitcnt vmcnt(4) lgkmcnt(1)
	v_mul_f64 v[22:23], v[6:7], v[199:200]
	v_mul_f64 v[26:27], v[8:9], v[199:200]
	v_add_f64 v[20:21], v[20:21], v[40:41]
	v_add_f64 v[18:19], v[18:19], v[30:31]
	s_waitcnt vmcnt(3) lgkmcnt(0)
	v_mul_f64 v[30:31], v[2:3], v[36:37]
	v_mul_f64 v[32:33], v[4:5], v[36:37]
	v_fma_f64 v[22:23], v[8:9], v[197:198], v[22:23]
	v_fma_f64 v[26:27], v[6:7], v[197:198], -v[26:27]
	ds_load_b128 v[6:9], v1 offset:1568
	v_add_f64 v[20:21], v[20:21], v[24:25]
	v_add_f64 v[18:19], v[18:19], v[28:29]
	v_fma_f64 v[30:31], v[4:5], v[34:35], v[30:31]
	v_fma_f64 v[32:33], v[2:3], v[34:35], -v[32:33]
	ds_load_b128 v[2:5], v1 offset:1584
	s_waitcnt vmcnt(2) lgkmcnt(1)
	v_mul_f64 v[24:25], v[6:7], v[195:196]
	v_mul_f64 v[28:29], v[8:9], v[195:196]
	v_add_f64 v[20:21], v[20:21], v[22:23]
	v_add_f64 v[18:19], v[18:19], v[26:27]
	s_waitcnt vmcnt(1) lgkmcnt(0)
	v_mul_f64 v[22:23], v[2:3], v[12:13]
	v_mul_f64 v[12:13], v[4:5], v[12:13]
	v_fma_f64 v[8:9], v[8:9], v[193:194], v[24:25]
	v_fma_f64 v[6:7], v[6:7], v[193:194], -v[28:29]
	v_add_f64 v[20:21], v[20:21], v[30:31]
	v_add_f64 v[18:19], v[18:19], v[32:33]
	v_fma_f64 v[4:5], v[4:5], v[10:11], v[22:23]
	v_fma_f64 v[2:3], v[2:3], v[10:11], -v[12:13]
	s_delay_alu instid0(VALU_DEP_4) | instskip(NEXT) | instid1(VALU_DEP_4)
	v_add_f64 v[8:9], v[20:21], v[8:9]
	v_add_f64 v[6:7], v[18:19], v[6:7]
	s_delay_alu instid0(VALU_DEP_2) | instskip(NEXT) | instid1(VALU_DEP_2)
	v_add_f64 v[4:5], v[8:9], v[4:5]
	v_add_f64 v[2:3], v[6:7], v[2:3]
	s_waitcnt vmcnt(0)
	s_delay_alu instid0(VALU_DEP_2) | instskip(NEXT) | instid1(VALU_DEP_2)
	v_add_f64 v[4:5], v[16:17], -v[4:5]
	v_add_f64 v[2:3], v[14:15], -v[2:3]
	scratch_store_b128 off, v[2:5], off offset:416
	v_cmpx_lt_u32_e32 25, v142
	s_cbranch_execz .LBB113_263
; %bb.262:
	scratch_load_b128 v[5:8], v167, off
	v_mov_b32_e32 v2, v1
	v_mov_b32_e32 v3, v1
	v_mov_b32_e32 v4, v1
	scratch_store_b128 off, v[1:4], off offset:400
	s_waitcnt vmcnt(0)
	ds_store_b128 v192, v[5:8]
.LBB113_263:
	s_or_b32 exec_lo, exec_lo, s2
	s_waitcnt lgkmcnt(0)
	s_waitcnt_vscnt null, 0x0
	s_barrier
	buffer_gl0_inv
	s_clause 0x7
	scratch_load_b128 v[2:5], off, off offset:416
	scratch_load_b128 v[6:9], off, off offset:432
	;; [unrolled: 1-line block ×8, first 2 shown]
	ds_load_b128 v[34:37], v1 offset:1216
	ds_load_b128 v[193:196], v1 offset:1232
	s_clause 0x1
	scratch_load_b128 v[38:41], off, off offset:544
	scratch_load_b128 v[197:200], off, off offset:560
	s_mov_b32 s2, exec_lo
	s_waitcnt vmcnt(9) lgkmcnt(1)
	v_mul_f64 v[201:202], v[36:37], v[4:5]
	v_mul_f64 v[4:5], v[34:35], v[4:5]
	s_waitcnt vmcnt(8) lgkmcnt(0)
	v_mul_f64 v[203:204], v[193:194], v[8:9]
	v_mul_f64 v[8:9], v[195:196], v[8:9]
	s_delay_alu instid0(VALU_DEP_4) | instskip(NEXT) | instid1(VALU_DEP_4)
	v_fma_f64 v[201:202], v[34:35], v[2:3], -v[201:202]
	v_fma_f64 v[205:206], v[36:37], v[2:3], v[4:5]
	ds_load_b128 v[2:5], v1 offset:1248
	scratch_load_b128 v[34:37], off, off offset:576
	v_fma_f64 v[203:204], v[195:196], v[6:7], v[203:204]
	v_fma_f64 v[209:210], v[193:194], v[6:7], -v[8:9]
	scratch_load_b128 v[193:196], off, off offset:592
	ds_load_b128 v[6:9], v1 offset:1264
	s_waitcnt vmcnt(9) lgkmcnt(1)
	v_mul_f64 v[207:208], v[2:3], v[12:13]
	v_mul_f64 v[12:13], v[4:5], v[12:13]
	s_waitcnt vmcnt(8) lgkmcnt(0)
	v_mul_f64 v[211:212], v[6:7], v[16:17]
	v_mul_f64 v[16:17], v[8:9], v[16:17]
	v_add_f64 v[201:202], v[201:202], 0
	v_add_f64 v[205:206], v[205:206], 0
	v_fma_f64 v[207:208], v[4:5], v[10:11], v[207:208]
	v_fma_f64 v[213:214], v[2:3], v[10:11], -v[12:13]
	ds_load_b128 v[2:5], v1 offset:1280
	scratch_load_b128 v[10:13], off, off offset:608
	v_add_f64 v[201:202], v[201:202], v[209:210]
	v_add_f64 v[203:204], v[205:206], v[203:204]
	v_fma_f64 v[209:210], v[8:9], v[14:15], v[211:212]
	v_fma_f64 v[211:212], v[6:7], v[14:15], -v[16:17]
	scratch_load_b128 v[14:17], off, off offset:624
	ds_load_b128 v[6:9], v1 offset:1296
	s_waitcnt vmcnt(9) lgkmcnt(1)
	v_mul_f64 v[205:206], v[2:3], v[20:21]
	v_mul_f64 v[20:21], v[4:5], v[20:21]
	v_add_f64 v[201:202], v[201:202], v[213:214]
	v_add_f64 v[203:204], v[203:204], v[207:208]
	s_waitcnt vmcnt(8) lgkmcnt(0)
	v_mul_f64 v[207:208], v[6:7], v[24:25]
	v_mul_f64 v[24:25], v[8:9], v[24:25]
	v_fma_f64 v[205:206], v[4:5], v[18:19], v[205:206]
	v_fma_f64 v[213:214], v[2:3], v[18:19], -v[20:21]
	ds_load_b128 v[2:5], v1 offset:1312
	scratch_load_b128 v[18:21], off, off offset:640
	v_add_f64 v[201:202], v[201:202], v[211:212]
	v_add_f64 v[203:204], v[203:204], v[209:210]
	v_fma_f64 v[207:208], v[8:9], v[22:23], v[207:208]
	v_fma_f64 v[211:212], v[6:7], v[22:23], -v[24:25]
	scratch_load_b128 v[22:25], off, off offset:656
	ds_load_b128 v[6:9], v1 offset:1328
	s_waitcnt vmcnt(9) lgkmcnt(1)
	v_mul_f64 v[209:210], v[2:3], v[28:29]
	v_mul_f64 v[28:29], v[4:5], v[28:29]
	v_add_f64 v[201:202], v[201:202], v[213:214]
	v_add_f64 v[203:204], v[203:204], v[205:206]
	s_waitcnt vmcnt(8) lgkmcnt(0)
	v_mul_f64 v[205:206], v[6:7], v[32:33]
	v_mul_f64 v[32:33], v[8:9], v[32:33]
	v_fma_f64 v[209:210], v[4:5], v[26:27], v[209:210]
	v_fma_f64 v[213:214], v[2:3], v[26:27], -v[28:29]
	ds_load_b128 v[2:5], v1 offset:1344
	scratch_load_b128 v[26:29], off, off offset:672
	v_add_f64 v[201:202], v[201:202], v[211:212]
	v_add_f64 v[203:204], v[203:204], v[207:208]
	v_fma_f64 v[205:206], v[8:9], v[30:31], v[205:206]
	v_fma_f64 v[211:212], v[6:7], v[30:31], -v[32:33]
	ds_load_b128 v[6:9], v1 offset:1360
	s_waitcnt vmcnt(8) lgkmcnt(1)
	v_mul_f64 v[207:208], v[2:3], v[40:41]
	v_mul_f64 v[40:41], v[4:5], v[40:41]
	scratch_load_b128 v[30:33], off, off offset:688
	v_add_f64 v[201:202], v[201:202], v[213:214]
	v_add_f64 v[203:204], v[203:204], v[209:210]
	s_waitcnt vmcnt(8) lgkmcnt(0)
	v_mul_f64 v[209:210], v[6:7], v[199:200]
	v_mul_f64 v[199:200], v[8:9], v[199:200]
	v_fma_f64 v[207:208], v[4:5], v[38:39], v[207:208]
	v_fma_f64 v[213:214], v[2:3], v[38:39], -v[40:41]
	ds_load_b128 v[2:5], v1 offset:1376
	scratch_load_b128 v[38:41], off, off offset:704
	v_add_f64 v[201:202], v[201:202], v[211:212]
	v_add_f64 v[203:204], v[203:204], v[205:206]
	v_fma_f64 v[209:210], v[8:9], v[197:198], v[209:210]
	v_fma_f64 v[211:212], v[6:7], v[197:198], -v[199:200]
	ds_load_b128 v[6:9], v1 offset:1392
	scratch_load_b128 v[197:200], off, off offset:720
	s_waitcnt vmcnt(9) lgkmcnt(1)
	v_mul_f64 v[205:206], v[2:3], v[36:37]
	v_mul_f64 v[36:37], v[4:5], v[36:37]
	v_add_f64 v[201:202], v[201:202], v[213:214]
	v_add_f64 v[203:204], v[203:204], v[207:208]
	s_waitcnt vmcnt(8) lgkmcnt(0)
	v_mul_f64 v[207:208], v[6:7], v[195:196]
	v_mul_f64 v[195:196], v[8:9], v[195:196]
	v_fma_f64 v[205:206], v[4:5], v[34:35], v[205:206]
	v_fma_f64 v[213:214], v[2:3], v[34:35], -v[36:37]
	scratch_load_b128 v[34:37], off, off offset:736
	ds_load_b128 v[2:5], v1 offset:1408
	v_add_f64 v[201:202], v[201:202], v[211:212]
	v_add_f64 v[203:204], v[203:204], v[209:210]
	v_fma_f64 v[207:208], v[8:9], v[193:194], v[207:208]
	v_fma_f64 v[211:212], v[6:7], v[193:194], -v[195:196]
	ds_load_b128 v[6:9], v1 offset:1424
	s_waitcnt vmcnt(8) lgkmcnt(1)
	v_mul_f64 v[209:210], v[2:3], v[12:13]
	v_mul_f64 v[12:13], v[4:5], v[12:13]
	scratch_load_b128 v[193:196], off, off offset:752
	v_add_f64 v[201:202], v[201:202], v[213:214]
	v_add_f64 v[203:204], v[203:204], v[205:206]
	s_waitcnt vmcnt(8) lgkmcnt(0)
	v_mul_f64 v[205:206], v[6:7], v[16:17]
	v_mul_f64 v[16:17], v[8:9], v[16:17]
	v_fma_f64 v[209:210], v[4:5], v[10:11], v[209:210]
	v_fma_f64 v[213:214], v[2:3], v[10:11], -v[12:13]
	scratch_load_b128 v[10:13], off, off offset:768
	ds_load_b128 v[2:5], v1 offset:1440
	v_add_f64 v[201:202], v[201:202], v[211:212]
	v_add_f64 v[203:204], v[203:204], v[207:208]
	v_fma_f64 v[205:206], v[8:9], v[14:15], v[205:206]
	v_fma_f64 v[211:212], v[6:7], v[14:15], -v[16:17]
	ds_load_b128 v[6:9], v1 offset:1456
	s_waitcnt vmcnt(8) lgkmcnt(1)
	v_mul_f64 v[207:208], v[2:3], v[20:21]
	v_mul_f64 v[20:21], v[4:5], v[20:21]
	scratch_load_b128 v[14:17], off, off offset:784
	v_add_f64 v[201:202], v[201:202], v[213:214]
	v_add_f64 v[203:204], v[203:204], v[209:210]
	s_waitcnt vmcnt(8) lgkmcnt(0)
	v_mul_f64 v[209:210], v[6:7], v[24:25]
	v_mul_f64 v[24:25], v[8:9], v[24:25]
	v_fma_f64 v[207:208], v[4:5], v[18:19], v[207:208]
	v_fma_f64 v[18:19], v[2:3], v[18:19], -v[20:21]
	ds_load_b128 v[2:5], v1 offset:1472
	v_add_f64 v[20:21], v[201:202], v[211:212]
	v_add_f64 v[201:202], v[203:204], v[205:206]
	v_fma_f64 v[205:206], v[8:9], v[22:23], v[209:210]
	v_fma_f64 v[22:23], v[6:7], v[22:23], -v[24:25]
	ds_load_b128 v[6:9], v1 offset:1488
	s_waitcnt vmcnt(7) lgkmcnt(1)
	v_mul_f64 v[203:204], v[2:3], v[28:29]
	v_mul_f64 v[28:29], v[4:5], v[28:29]
	v_add_f64 v[18:19], v[20:21], v[18:19]
	v_add_f64 v[20:21], v[201:202], v[207:208]
	s_delay_alu instid0(VALU_DEP_4) | instskip(NEXT) | instid1(VALU_DEP_4)
	v_fma_f64 v[201:202], v[4:5], v[26:27], v[203:204]
	v_fma_f64 v[26:27], v[2:3], v[26:27], -v[28:29]
	ds_load_b128 v[2:5], v1 offset:1504
	v_add_f64 v[22:23], v[18:19], v[22:23]
	v_add_f64 v[28:29], v[20:21], v[205:206]
	scratch_load_b128 v[18:21], off, off offset:400
	s_waitcnt vmcnt(7) lgkmcnt(1)
	v_mul_f64 v[24:25], v[6:7], v[32:33]
	v_mul_f64 v[32:33], v[8:9], v[32:33]
	v_add_f64 v[22:23], v[22:23], v[26:27]
	v_add_f64 v[26:27], v[28:29], v[201:202]
	s_delay_alu instid0(VALU_DEP_4) | instskip(NEXT) | instid1(VALU_DEP_4)
	v_fma_f64 v[24:25], v[8:9], v[30:31], v[24:25]
	v_fma_f64 v[30:31], v[6:7], v[30:31], -v[32:33]
	ds_load_b128 v[6:9], v1 offset:1520
	s_waitcnt vmcnt(6) lgkmcnt(1)
	v_mul_f64 v[203:204], v[2:3], v[40:41]
	v_mul_f64 v[40:41], v[4:5], v[40:41]
	s_waitcnt vmcnt(5) lgkmcnt(0)
	v_mul_f64 v[28:29], v[6:7], v[199:200]
	v_mul_f64 v[32:33], v[8:9], v[199:200]
	v_add_f64 v[24:25], v[26:27], v[24:25]
	v_add_f64 v[22:23], v[22:23], v[30:31]
	v_fma_f64 v[199:200], v[4:5], v[38:39], v[203:204]
	v_fma_f64 v[38:39], v[2:3], v[38:39], -v[40:41]
	ds_load_b128 v[2:5], v1 offset:1536
	v_fma_f64 v[28:29], v[8:9], v[197:198], v[28:29]
	v_fma_f64 v[32:33], v[6:7], v[197:198], -v[32:33]
	ds_load_b128 v[6:9], v1 offset:1552
	s_waitcnt vmcnt(4) lgkmcnt(1)
	v_mul_f64 v[26:27], v[2:3], v[36:37]
	v_mul_f64 v[30:31], v[4:5], v[36:37]
	v_add_f64 v[24:25], v[24:25], v[199:200]
	v_add_f64 v[22:23], v[22:23], v[38:39]
	s_waitcnt vmcnt(3) lgkmcnt(0)
	v_mul_f64 v[36:37], v[6:7], v[195:196]
	v_mul_f64 v[38:39], v[8:9], v[195:196]
	v_fma_f64 v[26:27], v[4:5], v[34:35], v[26:27]
	v_fma_f64 v[30:31], v[2:3], v[34:35], -v[30:31]
	ds_load_b128 v[2:5], v1 offset:1568
	v_add_f64 v[24:25], v[24:25], v[28:29]
	v_add_f64 v[22:23], v[22:23], v[32:33]
	v_fma_f64 v[32:33], v[8:9], v[193:194], v[36:37]
	v_fma_f64 v[34:35], v[6:7], v[193:194], -v[38:39]
	ds_load_b128 v[6:9], v1 offset:1584
	s_waitcnt vmcnt(2) lgkmcnt(1)
	v_mul_f64 v[28:29], v[2:3], v[12:13]
	v_mul_f64 v[12:13], v[4:5], v[12:13]
	v_add_f64 v[24:25], v[24:25], v[26:27]
	v_add_f64 v[22:23], v[22:23], v[30:31]
	s_waitcnt vmcnt(1) lgkmcnt(0)
	v_mul_f64 v[26:27], v[6:7], v[16:17]
	v_mul_f64 v[16:17], v[8:9], v[16:17]
	v_fma_f64 v[4:5], v[4:5], v[10:11], v[28:29]
	v_fma_f64 v[1:2], v[2:3], v[10:11], -v[12:13]
	v_add_f64 v[12:13], v[24:25], v[32:33]
	v_add_f64 v[10:11], v[22:23], v[34:35]
	v_fma_f64 v[8:9], v[8:9], v[14:15], v[26:27]
	v_fma_f64 v[6:7], v[6:7], v[14:15], -v[16:17]
	s_delay_alu instid0(VALU_DEP_4) | instskip(NEXT) | instid1(VALU_DEP_4)
	v_add_f64 v[3:4], v[12:13], v[4:5]
	v_add_f64 v[1:2], v[10:11], v[1:2]
	s_delay_alu instid0(VALU_DEP_2) | instskip(NEXT) | instid1(VALU_DEP_2)
	v_add_f64 v[3:4], v[3:4], v[8:9]
	v_add_f64 v[1:2], v[1:2], v[6:7]
	s_waitcnt vmcnt(0)
	s_delay_alu instid0(VALU_DEP_2) | instskip(NEXT) | instid1(VALU_DEP_2)
	v_add_f64 v[3:4], v[20:21], -v[3:4]
	v_add_f64 v[1:2], v[18:19], -v[1:2]
	scratch_store_b128 off, v[1:4], off offset:400
	v_cmpx_lt_u32_e32 24, v142
	s_cbranch_execz .LBB113_265
; %bb.264:
	scratch_load_b128 v[1:4], v168, off
	v_mov_b32_e32 v5, 0
	s_delay_alu instid0(VALU_DEP_1)
	v_mov_b32_e32 v6, v5
	v_mov_b32_e32 v7, v5
	v_mov_b32_e32 v8, v5
	scratch_store_b128 off, v[5:8], off offset:384
	s_waitcnt vmcnt(0)
	ds_store_b128 v192, v[1:4]
.LBB113_265:
	s_or_b32 exec_lo, exec_lo, s2
	s_waitcnt lgkmcnt(0)
	s_waitcnt_vscnt null, 0x0
	s_barrier
	buffer_gl0_inv
	s_clause 0x7
	scratch_load_b128 v[2:5], off, off offset:400
	scratch_load_b128 v[6:9], off, off offset:416
	;; [unrolled: 1-line block ×8, first 2 shown]
	v_mov_b32_e32 v1, 0
	s_clause 0x1
	scratch_load_b128 v[38:41], off, off offset:528
	scratch_load_b128 v[197:200], off, off offset:544
	s_mov_b32 s2, exec_lo
	ds_load_b128 v[34:37], v1 offset:1200
	ds_load_b128 v[193:196], v1 offset:1216
	s_waitcnt vmcnt(9) lgkmcnt(1)
	v_mul_f64 v[201:202], v[36:37], v[4:5]
	v_mul_f64 v[4:5], v[34:35], v[4:5]
	s_waitcnt vmcnt(8) lgkmcnt(0)
	v_mul_f64 v[203:204], v[193:194], v[8:9]
	v_mul_f64 v[8:9], v[195:196], v[8:9]
	s_delay_alu instid0(VALU_DEP_4) | instskip(NEXT) | instid1(VALU_DEP_4)
	v_fma_f64 v[201:202], v[34:35], v[2:3], -v[201:202]
	v_fma_f64 v[205:206], v[36:37], v[2:3], v[4:5]
	ds_load_b128 v[2:5], v1 offset:1232
	scratch_load_b128 v[34:37], off, off offset:560
	v_fma_f64 v[203:204], v[195:196], v[6:7], v[203:204]
	v_fma_f64 v[209:210], v[193:194], v[6:7], -v[8:9]
	scratch_load_b128 v[193:196], off, off offset:576
	ds_load_b128 v[6:9], v1 offset:1248
	s_waitcnt vmcnt(9) lgkmcnt(1)
	v_mul_f64 v[207:208], v[2:3], v[12:13]
	v_mul_f64 v[12:13], v[4:5], v[12:13]
	s_waitcnt vmcnt(8) lgkmcnt(0)
	v_mul_f64 v[211:212], v[6:7], v[16:17]
	v_mul_f64 v[16:17], v[8:9], v[16:17]
	v_add_f64 v[201:202], v[201:202], 0
	v_add_f64 v[205:206], v[205:206], 0
	v_fma_f64 v[207:208], v[4:5], v[10:11], v[207:208]
	v_fma_f64 v[213:214], v[2:3], v[10:11], -v[12:13]
	ds_load_b128 v[2:5], v1 offset:1264
	scratch_load_b128 v[10:13], off, off offset:592
	v_add_f64 v[201:202], v[201:202], v[209:210]
	v_add_f64 v[203:204], v[205:206], v[203:204]
	v_fma_f64 v[209:210], v[8:9], v[14:15], v[211:212]
	v_fma_f64 v[211:212], v[6:7], v[14:15], -v[16:17]
	scratch_load_b128 v[14:17], off, off offset:608
	ds_load_b128 v[6:9], v1 offset:1280
	s_waitcnt vmcnt(9) lgkmcnt(1)
	v_mul_f64 v[205:206], v[2:3], v[20:21]
	v_mul_f64 v[20:21], v[4:5], v[20:21]
	v_add_f64 v[201:202], v[201:202], v[213:214]
	v_add_f64 v[203:204], v[203:204], v[207:208]
	s_waitcnt vmcnt(8) lgkmcnt(0)
	v_mul_f64 v[207:208], v[6:7], v[24:25]
	v_mul_f64 v[24:25], v[8:9], v[24:25]
	v_fma_f64 v[205:206], v[4:5], v[18:19], v[205:206]
	v_fma_f64 v[213:214], v[2:3], v[18:19], -v[20:21]
	ds_load_b128 v[2:5], v1 offset:1296
	scratch_load_b128 v[18:21], off, off offset:624
	v_add_f64 v[201:202], v[201:202], v[211:212]
	v_add_f64 v[203:204], v[203:204], v[209:210]
	v_fma_f64 v[207:208], v[8:9], v[22:23], v[207:208]
	v_fma_f64 v[211:212], v[6:7], v[22:23], -v[24:25]
	scratch_load_b128 v[22:25], off, off offset:640
	ds_load_b128 v[6:9], v1 offset:1312
	s_waitcnt vmcnt(9) lgkmcnt(1)
	v_mul_f64 v[209:210], v[2:3], v[28:29]
	v_mul_f64 v[28:29], v[4:5], v[28:29]
	v_add_f64 v[201:202], v[201:202], v[213:214]
	v_add_f64 v[203:204], v[203:204], v[205:206]
	s_waitcnt vmcnt(8) lgkmcnt(0)
	v_mul_f64 v[205:206], v[6:7], v[32:33]
	v_mul_f64 v[32:33], v[8:9], v[32:33]
	;; [unrolled: 18-line block ×3, first 2 shown]
	v_fma_f64 v[207:208], v[4:5], v[38:39], v[207:208]
	v_fma_f64 v[213:214], v[2:3], v[38:39], -v[40:41]
	ds_load_b128 v[2:5], v1 offset:1360
	scratch_load_b128 v[38:41], off, off offset:688
	v_add_f64 v[201:202], v[201:202], v[211:212]
	v_add_f64 v[203:204], v[203:204], v[205:206]
	v_fma_f64 v[209:210], v[8:9], v[197:198], v[209:210]
	v_fma_f64 v[211:212], v[6:7], v[197:198], -v[199:200]
	ds_load_b128 v[6:9], v1 offset:1376
	scratch_load_b128 v[197:200], off, off offset:704
	s_waitcnt vmcnt(9) lgkmcnt(1)
	v_mul_f64 v[205:206], v[2:3], v[36:37]
	v_mul_f64 v[36:37], v[4:5], v[36:37]
	v_add_f64 v[201:202], v[201:202], v[213:214]
	v_add_f64 v[203:204], v[203:204], v[207:208]
	s_waitcnt vmcnt(8) lgkmcnt(0)
	v_mul_f64 v[207:208], v[6:7], v[195:196]
	v_mul_f64 v[195:196], v[8:9], v[195:196]
	v_fma_f64 v[205:206], v[4:5], v[34:35], v[205:206]
	v_fma_f64 v[213:214], v[2:3], v[34:35], -v[36:37]
	scratch_load_b128 v[34:37], off, off offset:720
	ds_load_b128 v[2:5], v1 offset:1392
	v_add_f64 v[201:202], v[201:202], v[211:212]
	v_add_f64 v[203:204], v[203:204], v[209:210]
	v_fma_f64 v[207:208], v[8:9], v[193:194], v[207:208]
	v_fma_f64 v[211:212], v[6:7], v[193:194], -v[195:196]
	ds_load_b128 v[6:9], v1 offset:1408
	s_waitcnt vmcnt(8) lgkmcnt(1)
	v_mul_f64 v[209:210], v[2:3], v[12:13]
	v_mul_f64 v[12:13], v[4:5], v[12:13]
	scratch_load_b128 v[193:196], off, off offset:736
	v_add_f64 v[201:202], v[201:202], v[213:214]
	v_add_f64 v[203:204], v[203:204], v[205:206]
	s_waitcnt vmcnt(8) lgkmcnt(0)
	v_mul_f64 v[205:206], v[6:7], v[16:17]
	v_mul_f64 v[16:17], v[8:9], v[16:17]
	v_fma_f64 v[209:210], v[4:5], v[10:11], v[209:210]
	v_fma_f64 v[213:214], v[2:3], v[10:11], -v[12:13]
	scratch_load_b128 v[10:13], off, off offset:752
	ds_load_b128 v[2:5], v1 offset:1424
	v_add_f64 v[201:202], v[201:202], v[211:212]
	v_add_f64 v[203:204], v[203:204], v[207:208]
	v_fma_f64 v[205:206], v[8:9], v[14:15], v[205:206]
	v_fma_f64 v[211:212], v[6:7], v[14:15], -v[16:17]
	ds_load_b128 v[6:9], v1 offset:1440
	s_waitcnt vmcnt(8) lgkmcnt(1)
	v_mul_f64 v[207:208], v[2:3], v[20:21]
	v_mul_f64 v[20:21], v[4:5], v[20:21]
	scratch_load_b128 v[14:17], off, off offset:768
	v_add_f64 v[201:202], v[201:202], v[213:214]
	v_add_f64 v[203:204], v[203:204], v[209:210]
	s_waitcnt vmcnt(8) lgkmcnt(0)
	v_mul_f64 v[209:210], v[6:7], v[24:25]
	v_mul_f64 v[24:25], v[8:9], v[24:25]
	v_fma_f64 v[207:208], v[4:5], v[18:19], v[207:208]
	v_fma_f64 v[213:214], v[2:3], v[18:19], -v[20:21]
	scratch_load_b128 v[18:21], off, off offset:784
	ds_load_b128 v[2:5], v1 offset:1456
	v_add_f64 v[201:202], v[201:202], v[211:212]
	v_add_f64 v[203:204], v[203:204], v[205:206]
	v_fma_f64 v[209:210], v[8:9], v[22:23], v[209:210]
	v_fma_f64 v[22:23], v[6:7], v[22:23], -v[24:25]
	ds_load_b128 v[6:9], v1 offset:1472
	s_waitcnt vmcnt(8) lgkmcnt(1)
	v_mul_f64 v[205:206], v[2:3], v[28:29]
	v_mul_f64 v[28:29], v[4:5], v[28:29]
	v_add_f64 v[24:25], v[201:202], v[213:214]
	v_add_f64 v[201:202], v[203:204], v[207:208]
	s_waitcnt vmcnt(7) lgkmcnt(0)
	v_mul_f64 v[203:204], v[6:7], v[32:33]
	v_mul_f64 v[32:33], v[8:9], v[32:33]
	v_fma_f64 v[205:206], v[4:5], v[26:27], v[205:206]
	v_fma_f64 v[26:27], v[2:3], v[26:27], -v[28:29]
	ds_load_b128 v[2:5], v1 offset:1488
	v_add_f64 v[22:23], v[24:25], v[22:23]
	v_add_f64 v[24:25], v[201:202], v[209:210]
	v_fma_f64 v[201:202], v[8:9], v[30:31], v[203:204]
	v_fma_f64 v[30:31], v[6:7], v[30:31], -v[32:33]
	ds_load_b128 v[6:9], v1 offset:1504
	s_waitcnt vmcnt(5) lgkmcnt(0)
	v_mul_f64 v[203:204], v[6:7], v[199:200]
	v_mul_f64 v[199:200], v[8:9], v[199:200]
	v_add_f64 v[26:27], v[22:23], v[26:27]
	v_add_f64 v[32:33], v[24:25], v[205:206]
	scratch_load_b128 v[22:25], off, off offset:384
	v_mul_f64 v[28:29], v[2:3], v[40:41]
	v_mul_f64 v[40:41], v[4:5], v[40:41]
	v_add_f64 v[26:27], v[26:27], v[30:31]
	v_add_f64 v[30:31], v[32:33], v[201:202]
	s_delay_alu instid0(VALU_DEP_4) | instskip(NEXT) | instid1(VALU_DEP_4)
	v_fma_f64 v[28:29], v[4:5], v[38:39], v[28:29]
	v_fma_f64 v[38:39], v[2:3], v[38:39], -v[40:41]
	ds_load_b128 v[2:5], v1 offset:1520
	v_fma_f64 v[40:41], v[8:9], v[197:198], v[203:204]
	v_fma_f64 v[197:198], v[6:7], v[197:198], -v[199:200]
	ds_load_b128 v[6:9], v1 offset:1536
	s_waitcnt vmcnt(5) lgkmcnt(1)
	v_mul_f64 v[32:33], v[2:3], v[36:37]
	v_mul_f64 v[36:37], v[4:5], v[36:37]
	v_add_f64 v[28:29], v[30:31], v[28:29]
	v_add_f64 v[26:27], v[26:27], v[38:39]
	s_waitcnt vmcnt(4) lgkmcnt(0)
	v_mul_f64 v[30:31], v[6:7], v[195:196]
	v_mul_f64 v[38:39], v[8:9], v[195:196]
	v_fma_f64 v[32:33], v[4:5], v[34:35], v[32:33]
	v_fma_f64 v[34:35], v[2:3], v[34:35], -v[36:37]
	ds_load_b128 v[2:5], v1 offset:1552
	v_add_f64 v[28:29], v[28:29], v[40:41]
	v_add_f64 v[26:27], v[26:27], v[197:198]
	v_fma_f64 v[30:31], v[8:9], v[193:194], v[30:31]
	v_fma_f64 v[38:39], v[6:7], v[193:194], -v[38:39]
	ds_load_b128 v[6:9], v1 offset:1568
	s_waitcnt vmcnt(3) lgkmcnt(1)
	v_mul_f64 v[36:37], v[2:3], v[12:13]
	v_mul_f64 v[12:13], v[4:5], v[12:13]
	v_add_f64 v[28:29], v[28:29], v[32:33]
	v_add_f64 v[26:27], v[26:27], v[34:35]
	s_waitcnt vmcnt(2) lgkmcnt(0)
	v_mul_f64 v[32:33], v[6:7], v[16:17]
	v_mul_f64 v[16:17], v[8:9], v[16:17]
	v_fma_f64 v[34:35], v[4:5], v[10:11], v[36:37]
	v_fma_f64 v[10:11], v[2:3], v[10:11], -v[12:13]
	ds_load_b128 v[2:5], v1 offset:1584
	v_add_f64 v[12:13], v[26:27], v[38:39]
	v_add_f64 v[26:27], v[28:29], v[30:31]
	s_waitcnt vmcnt(1) lgkmcnt(0)
	v_mul_f64 v[28:29], v[2:3], v[20:21]
	v_mul_f64 v[20:21], v[4:5], v[20:21]
	v_fma_f64 v[8:9], v[8:9], v[14:15], v[32:33]
	v_fma_f64 v[6:7], v[6:7], v[14:15], -v[16:17]
	v_add_f64 v[10:11], v[12:13], v[10:11]
	v_add_f64 v[12:13], v[26:27], v[34:35]
	v_fma_f64 v[4:5], v[4:5], v[18:19], v[28:29]
	v_fma_f64 v[2:3], v[2:3], v[18:19], -v[20:21]
	s_delay_alu instid0(VALU_DEP_4) | instskip(NEXT) | instid1(VALU_DEP_4)
	v_add_f64 v[6:7], v[10:11], v[6:7]
	v_add_f64 v[8:9], v[12:13], v[8:9]
	s_delay_alu instid0(VALU_DEP_2) | instskip(NEXT) | instid1(VALU_DEP_2)
	v_add_f64 v[2:3], v[6:7], v[2:3]
	v_add_f64 v[4:5], v[8:9], v[4:5]
	s_waitcnt vmcnt(0)
	s_delay_alu instid0(VALU_DEP_2) | instskip(NEXT) | instid1(VALU_DEP_2)
	v_add_f64 v[2:3], v[22:23], -v[2:3]
	v_add_f64 v[4:5], v[24:25], -v[4:5]
	scratch_store_b128 off, v[2:5], off offset:384
	v_cmpx_lt_u32_e32 23, v142
	s_cbranch_execz .LBB113_267
; %bb.266:
	scratch_load_b128 v[5:8], v170, off
	v_mov_b32_e32 v2, v1
	v_mov_b32_e32 v3, v1
	;; [unrolled: 1-line block ×3, first 2 shown]
	scratch_store_b128 off, v[1:4], off offset:368
	s_waitcnt vmcnt(0)
	ds_store_b128 v192, v[5:8]
.LBB113_267:
	s_or_b32 exec_lo, exec_lo, s2
	s_waitcnt lgkmcnt(0)
	s_waitcnt_vscnt null, 0x0
	s_barrier
	buffer_gl0_inv
	s_clause 0x7
	scratch_load_b128 v[2:5], off, off offset:384
	scratch_load_b128 v[6:9], off, off offset:400
	;; [unrolled: 1-line block ×8, first 2 shown]
	ds_load_b128 v[38:41], v1 offset:1184
	ds_load_b128 v[193:196], v1 offset:1200
	s_clause 0x1
	scratch_load_b128 v[34:37], off, off offset:512
	scratch_load_b128 v[197:200], off, off offset:528
	s_mov_b32 s2, exec_lo
	s_waitcnt vmcnt(9) lgkmcnt(1)
	v_mul_f64 v[201:202], v[40:41], v[4:5]
	v_mul_f64 v[4:5], v[38:39], v[4:5]
	s_waitcnt vmcnt(8) lgkmcnt(0)
	v_mul_f64 v[203:204], v[193:194], v[8:9]
	v_mul_f64 v[8:9], v[195:196], v[8:9]
	s_delay_alu instid0(VALU_DEP_4) | instskip(NEXT) | instid1(VALU_DEP_4)
	v_fma_f64 v[201:202], v[38:39], v[2:3], -v[201:202]
	v_fma_f64 v[205:206], v[40:41], v[2:3], v[4:5]
	ds_load_b128 v[2:5], v1 offset:1216
	scratch_load_b128 v[38:41], off, off offset:544
	v_fma_f64 v[203:204], v[195:196], v[6:7], v[203:204]
	v_fma_f64 v[209:210], v[193:194], v[6:7], -v[8:9]
	scratch_load_b128 v[193:196], off, off offset:560
	ds_load_b128 v[6:9], v1 offset:1232
	s_waitcnt vmcnt(9) lgkmcnt(1)
	v_mul_f64 v[207:208], v[2:3], v[12:13]
	v_mul_f64 v[12:13], v[4:5], v[12:13]
	s_waitcnt vmcnt(8) lgkmcnt(0)
	v_mul_f64 v[211:212], v[6:7], v[16:17]
	v_mul_f64 v[16:17], v[8:9], v[16:17]
	v_add_f64 v[201:202], v[201:202], 0
	v_add_f64 v[205:206], v[205:206], 0
	v_fma_f64 v[207:208], v[4:5], v[10:11], v[207:208]
	v_fma_f64 v[213:214], v[2:3], v[10:11], -v[12:13]
	ds_load_b128 v[2:5], v1 offset:1248
	scratch_load_b128 v[10:13], off, off offset:576
	v_add_f64 v[201:202], v[201:202], v[209:210]
	v_add_f64 v[203:204], v[205:206], v[203:204]
	v_fma_f64 v[209:210], v[8:9], v[14:15], v[211:212]
	v_fma_f64 v[211:212], v[6:7], v[14:15], -v[16:17]
	scratch_load_b128 v[14:17], off, off offset:592
	ds_load_b128 v[6:9], v1 offset:1264
	s_waitcnt vmcnt(9) lgkmcnt(1)
	v_mul_f64 v[205:206], v[2:3], v[20:21]
	v_mul_f64 v[20:21], v[4:5], v[20:21]
	v_add_f64 v[201:202], v[201:202], v[213:214]
	v_add_f64 v[203:204], v[203:204], v[207:208]
	s_waitcnt vmcnt(8) lgkmcnt(0)
	v_mul_f64 v[207:208], v[6:7], v[24:25]
	v_mul_f64 v[24:25], v[8:9], v[24:25]
	v_fma_f64 v[205:206], v[4:5], v[18:19], v[205:206]
	v_fma_f64 v[213:214], v[2:3], v[18:19], -v[20:21]
	ds_load_b128 v[2:5], v1 offset:1280
	scratch_load_b128 v[18:21], off, off offset:608
	v_add_f64 v[201:202], v[201:202], v[211:212]
	v_add_f64 v[203:204], v[203:204], v[209:210]
	v_fma_f64 v[207:208], v[8:9], v[22:23], v[207:208]
	v_fma_f64 v[211:212], v[6:7], v[22:23], -v[24:25]
	scratch_load_b128 v[22:25], off, off offset:624
	ds_load_b128 v[6:9], v1 offset:1296
	s_waitcnt vmcnt(9) lgkmcnt(1)
	v_mul_f64 v[209:210], v[2:3], v[28:29]
	v_mul_f64 v[28:29], v[4:5], v[28:29]
	v_add_f64 v[201:202], v[201:202], v[213:214]
	v_add_f64 v[203:204], v[203:204], v[205:206]
	s_waitcnt vmcnt(8) lgkmcnt(0)
	v_mul_f64 v[205:206], v[6:7], v[32:33]
	v_mul_f64 v[32:33], v[8:9], v[32:33]
	;; [unrolled: 18-line block ×3, first 2 shown]
	v_fma_f64 v[207:208], v[4:5], v[34:35], v[207:208]
	v_fma_f64 v[213:214], v[2:3], v[34:35], -v[36:37]
	ds_load_b128 v[2:5], v1 offset:1344
	scratch_load_b128 v[34:37], off, off offset:672
	v_add_f64 v[201:202], v[201:202], v[211:212]
	v_add_f64 v[203:204], v[203:204], v[205:206]
	v_fma_f64 v[209:210], v[8:9], v[197:198], v[209:210]
	v_fma_f64 v[211:212], v[6:7], v[197:198], -v[199:200]
	ds_load_b128 v[6:9], v1 offset:1360
	scratch_load_b128 v[197:200], off, off offset:688
	s_waitcnt vmcnt(9) lgkmcnt(1)
	v_mul_f64 v[205:206], v[2:3], v[40:41]
	v_mul_f64 v[40:41], v[4:5], v[40:41]
	v_add_f64 v[201:202], v[201:202], v[213:214]
	v_add_f64 v[203:204], v[203:204], v[207:208]
	s_waitcnt vmcnt(8) lgkmcnt(0)
	v_mul_f64 v[207:208], v[6:7], v[195:196]
	v_mul_f64 v[195:196], v[8:9], v[195:196]
	v_fma_f64 v[205:206], v[4:5], v[38:39], v[205:206]
	v_fma_f64 v[213:214], v[2:3], v[38:39], -v[40:41]
	ds_load_b128 v[2:5], v1 offset:1376
	scratch_load_b128 v[38:41], off, off offset:704
	v_add_f64 v[201:202], v[201:202], v[211:212]
	v_add_f64 v[203:204], v[203:204], v[209:210]
	v_fma_f64 v[207:208], v[8:9], v[193:194], v[207:208]
	v_fma_f64 v[211:212], v[6:7], v[193:194], -v[195:196]
	ds_load_b128 v[6:9], v1 offset:1392
	s_waitcnt vmcnt(8) lgkmcnt(1)
	v_mul_f64 v[209:210], v[2:3], v[12:13]
	v_mul_f64 v[12:13], v[4:5], v[12:13]
	scratch_load_b128 v[193:196], off, off offset:720
	v_add_f64 v[201:202], v[201:202], v[213:214]
	v_add_f64 v[203:204], v[203:204], v[205:206]
	s_waitcnt vmcnt(8) lgkmcnt(0)
	v_mul_f64 v[205:206], v[6:7], v[16:17]
	v_mul_f64 v[16:17], v[8:9], v[16:17]
	v_fma_f64 v[209:210], v[4:5], v[10:11], v[209:210]
	v_fma_f64 v[213:214], v[2:3], v[10:11], -v[12:13]
	scratch_load_b128 v[10:13], off, off offset:736
	ds_load_b128 v[2:5], v1 offset:1408
	v_add_f64 v[201:202], v[201:202], v[211:212]
	v_add_f64 v[203:204], v[203:204], v[207:208]
	v_fma_f64 v[205:206], v[8:9], v[14:15], v[205:206]
	v_fma_f64 v[211:212], v[6:7], v[14:15], -v[16:17]
	ds_load_b128 v[6:9], v1 offset:1424
	s_waitcnt vmcnt(8) lgkmcnt(1)
	v_mul_f64 v[207:208], v[2:3], v[20:21]
	v_mul_f64 v[20:21], v[4:5], v[20:21]
	scratch_load_b128 v[14:17], off, off offset:752
	v_add_f64 v[201:202], v[201:202], v[213:214]
	v_add_f64 v[203:204], v[203:204], v[209:210]
	s_waitcnt vmcnt(8) lgkmcnt(0)
	v_mul_f64 v[209:210], v[6:7], v[24:25]
	v_mul_f64 v[24:25], v[8:9], v[24:25]
	v_fma_f64 v[207:208], v[4:5], v[18:19], v[207:208]
	v_fma_f64 v[213:214], v[2:3], v[18:19], -v[20:21]
	scratch_load_b128 v[18:21], off, off offset:768
	ds_load_b128 v[2:5], v1 offset:1440
	v_add_f64 v[201:202], v[201:202], v[211:212]
	v_add_f64 v[203:204], v[203:204], v[205:206]
	v_fma_f64 v[209:210], v[8:9], v[22:23], v[209:210]
	v_fma_f64 v[211:212], v[6:7], v[22:23], -v[24:25]
	ds_load_b128 v[6:9], v1 offset:1456
	s_waitcnt vmcnt(8) lgkmcnt(1)
	v_mul_f64 v[205:206], v[2:3], v[28:29]
	v_mul_f64 v[28:29], v[4:5], v[28:29]
	scratch_load_b128 v[22:25], off, off offset:784
	v_add_f64 v[201:202], v[201:202], v[213:214]
	v_add_f64 v[203:204], v[203:204], v[207:208]
	s_waitcnt vmcnt(8) lgkmcnt(0)
	v_mul_f64 v[207:208], v[6:7], v[32:33]
	v_mul_f64 v[32:33], v[8:9], v[32:33]
	v_fma_f64 v[205:206], v[4:5], v[26:27], v[205:206]
	v_fma_f64 v[26:27], v[2:3], v[26:27], -v[28:29]
	ds_load_b128 v[2:5], v1 offset:1472
	v_add_f64 v[28:29], v[201:202], v[211:212]
	v_add_f64 v[201:202], v[203:204], v[209:210]
	v_fma_f64 v[207:208], v[8:9], v[30:31], v[207:208]
	v_fma_f64 v[30:31], v[6:7], v[30:31], -v[32:33]
	ds_load_b128 v[6:9], v1 offset:1488
	s_waitcnt vmcnt(7) lgkmcnt(1)
	v_mul_f64 v[203:204], v[2:3], v[36:37]
	v_mul_f64 v[36:37], v[4:5], v[36:37]
	v_add_f64 v[26:27], v[28:29], v[26:27]
	v_add_f64 v[28:29], v[201:202], v[205:206]
	s_delay_alu instid0(VALU_DEP_4) | instskip(NEXT) | instid1(VALU_DEP_4)
	v_fma_f64 v[201:202], v[4:5], v[34:35], v[203:204]
	v_fma_f64 v[34:35], v[2:3], v[34:35], -v[36:37]
	ds_load_b128 v[2:5], v1 offset:1504
	v_add_f64 v[30:31], v[26:27], v[30:31]
	v_add_f64 v[36:37], v[28:29], v[207:208]
	scratch_load_b128 v[26:29], off, off offset:368
	s_waitcnt vmcnt(7) lgkmcnt(1)
	v_mul_f64 v[32:33], v[6:7], v[199:200]
	v_mul_f64 v[199:200], v[8:9], v[199:200]
	v_add_f64 v[30:31], v[30:31], v[34:35]
	v_add_f64 v[34:35], v[36:37], v[201:202]
	s_delay_alu instid0(VALU_DEP_4) | instskip(NEXT) | instid1(VALU_DEP_4)
	v_fma_f64 v[32:33], v[8:9], v[197:198], v[32:33]
	v_fma_f64 v[197:198], v[6:7], v[197:198], -v[199:200]
	ds_load_b128 v[6:9], v1 offset:1520
	s_waitcnt vmcnt(6) lgkmcnt(1)
	v_mul_f64 v[203:204], v[2:3], v[40:41]
	v_mul_f64 v[40:41], v[4:5], v[40:41]
	s_waitcnt vmcnt(5) lgkmcnt(0)
	v_mul_f64 v[36:37], v[6:7], v[195:196]
	v_mul_f64 v[195:196], v[8:9], v[195:196]
	v_add_f64 v[32:33], v[34:35], v[32:33]
	v_add_f64 v[30:31], v[30:31], v[197:198]
	v_fma_f64 v[199:200], v[4:5], v[38:39], v[203:204]
	v_fma_f64 v[38:39], v[2:3], v[38:39], -v[40:41]
	ds_load_b128 v[2:5], v1 offset:1536
	v_fma_f64 v[36:37], v[8:9], v[193:194], v[36:37]
	v_fma_f64 v[40:41], v[6:7], v[193:194], -v[195:196]
	ds_load_b128 v[6:9], v1 offset:1552
	s_waitcnt vmcnt(4) lgkmcnt(1)
	v_mul_f64 v[34:35], v[2:3], v[12:13]
	v_mul_f64 v[12:13], v[4:5], v[12:13]
	v_add_f64 v[32:33], v[32:33], v[199:200]
	v_add_f64 v[30:31], v[30:31], v[38:39]
	s_waitcnt vmcnt(3) lgkmcnt(0)
	v_mul_f64 v[38:39], v[6:7], v[16:17]
	v_mul_f64 v[16:17], v[8:9], v[16:17]
	v_fma_f64 v[34:35], v[4:5], v[10:11], v[34:35]
	v_fma_f64 v[10:11], v[2:3], v[10:11], -v[12:13]
	ds_load_b128 v[2:5], v1 offset:1568
	v_add_f64 v[12:13], v[30:31], v[40:41]
	v_add_f64 v[30:31], v[32:33], v[36:37]
	v_fma_f64 v[36:37], v[8:9], v[14:15], v[38:39]
	v_fma_f64 v[14:15], v[6:7], v[14:15], -v[16:17]
	ds_load_b128 v[6:9], v1 offset:1584
	s_waitcnt vmcnt(2) lgkmcnt(1)
	v_mul_f64 v[32:33], v[2:3], v[20:21]
	v_mul_f64 v[20:21], v[4:5], v[20:21]
	s_waitcnt vmcnt(1) lgkmcnt(0)
	v_mul_f64 v[16:17], v[6:7], v[24:25]
	v_mul_f64 v[24:25], v[8:9], v[24:25]
	v_add_f64 v[10:11], v[12:13], v[10:11]
	v_add_f64 v[12:13], v[30:31], v[34:35]
	v_fma_f64 v[4:5], v[4:5], v[18:19], v[32:33]
	v_fma_f64 v[1:2], v[2:3], v[18:19], -v[20:21]
	v_fma_f64 v[8:9], v[8:9], v[22:23], v[16:17]
	v_fma_f64 v[6:7], v[6:7], v[22:23], -v[24:25]
	v_add_f64 v[10:11], v[10:11], v[14:15]
	v_add_f64 v[12:13], v[12:13], v[36:37]
	s_delay_alu instid0(VALU_DEP_2) | instskip(NEXT) | instid1(VALU_DEP_2)
	v_add_f64 v[1:2], v[10:11], v[1:2]
	v_add_f64 v[3:4], v[12:13], v[4:5]
	s_delay_alu instid0(VALU_DEP_2) | instskip(NEXT) | instid1(VALU_DEP_2)
	v_add_f64 v[1:2], v[1:2], v[6:7]
	v_add_f64 v[3:4], v[3:4], v[8:9]
	s_waitcnt vmcnt(0)
	s_delay_alu instid0(VALU_DEP_2) | instskip(NEXT) | instid1(VALU_DEP_2)
	v_add_f64 v[1:2], v[26:27], -v[1:2]
	v_add_f64 v[3:4], v[28:29], -v[3:4]
	scratch_store_b128 off, v[1:4], off offset:368
	v_cmpx_lt_u32_e32 22, v142
	s_cbranch_execz .LBB113_269
; %bb.268:
	scratch_load_b128 v[1:4], v169, off
	v_mov_b32_e32 v5, 0
	s_delay_alu instid0(VALU_DEP_1)
	v_mov_b32_e32 v6, v5
	v_mov_b32_e32 v7, v5
	;; [unrolled: 1-line block ×3, first 2 shown]
	scratch_store_b128 off, v[5:8], off offset:352
	s_waitcnt vmcnt(0)
	ds_store_b128 v192, v[1:4]
.LBB113_269:
	s_or_b32 exec_lo, exec_lo, s2
	s_waitcnt lgkmcnt(0)
	s_waitcnt_vscnt null, 0x0
	s_barrier
	buffer_gl0_inv
	s_clause 0x7
	scratch_load_b128 v[2:5], off, off offset:368
	scratch_load_b128 v[6:9], off, off offset:384
	;; [unrolled: 1-line block ×8, first 2 shown]
	v_mov_b32_e32 v1, 0
	s_clause 0x1
	scratch_load_b128 v[34:37], off, off offset:496
	scratch_load_b128 v[197:200], off, off offset:512
	s_mov_b32 s2, exec_lo
	ds_load_b128 v[38:41], v1 offset:1168
	ds_load_b128 v[193:196], v1 offset:1184
	s_waitcnt vmcnt(9) lgkmcnt(1)
	v_mul_f64 v[201:202], v[40:41], v[4:5]
	v_mul_f64 v[4:5], v[38:39], v[4:5]
	s_waitcnt vmcnt(8) lgkmcnt(0)
	v_mul_f64 v[203:204], v[193:194], v[8:9]
	v_mul_f64 v[8:9], v[195:196], v[8:9]
	s_delay_alu instid0(VALU_DEP_4) | instskip(NEXT) | instid1(VALU_DEP_4)
	v_fma_f64 v[201:202], v[38:39], v[2:3], -v[201:202]
	v_fma_f64 v[205:206], v[40:41], v[2:3], v[4:5]
	ds_load_b128 v[2:5], v1 offset:1200
	scratch_load_b128 v[38:41], off, off offset:528
	v_fma_f64 v[203:204], v[195:196], v[6:7], v[203:204]
	v_fma_f64 v[209:210], v[193:194], v[6:7], -v[8:9]
	scratch_load_b128 v[193:196], off, off offset:544
	ds_load_b128 v[6:9], v1 offset:1216
	s_waitcnt vmcnt(9) lgkmcnt(1)
	v_mul_f64 v[207:208], v[2:3], v[12:13]
	v_mul_f64 v[12:13], v[4:5], v[12:13]
	s_waitcnt vmcnt(8) lgkmcnt(0)
	v_mul_f64 v[211:212], v[6:7], v[16:17]
	v_mul_f64 v[16:17], v[8:9], v[16:17]
	v_add_f64 v[201:202], v[201:202], 0
	v_add_f64 v[205:206], v[205:206], 0
	v_fma_f64 v[207:208], v[4:5], v[10:11], v[207:208]
	v_fma_f64 v[213:214], v[2:3], v[10:11], -v[12:13]
	ds_load_b128 v[2:5], v1 offset:1232
	scratch_load_b128 v[10:13], off, off offset:560
	v_add_f64 v[201:202], v[201:202], v[209:210]
	v_add_f64 v[203:204], v[205:206], v[203:204]
	v_fma_f64 v[209:210], v[8:9], v[14:15], v[211:212]
	v_fma_f64 v[211:212], v[6:7], v[14:15], -v[16:17]
	scratch_load_b128 v[14:17], off, off offset:576
	ds_load_b128 v[6:9], v1 offset:1248
	s_waitcnt vmcnt(9) lgkmcnt(1)
	v_mul_f64 v[205:206], v[2:3], v[20:21]
	v_mul_f64 v[20:21], v[4:5], v[20:21]
	v_add_f64 v[201:202], v[201:202], v[213:214]
	v_add_f64 v[203:204], v[203:204], v[207:208]
	s_waitcnt vmcnt(8) lgkmcnt(0)
	v_mul_f64 v[207:208], v[6:7], v[24:25]
	v_mul_f64 v[24:25], v[8:9], v[24:25]
	v_fma_f64 v[205:206], v[4:5], v[18:19], v[205:206]
	v_fma_f64 v[213:214], v[2:3], v[18:19], -v[20:21]
	ds_load_b128 v[2:5], v1 offset:1264
	scratch_load_b128 v[18:21], off, off offset:592
	v_add_f64 v[201:202], v[201:202], v[211:212]
	v_add_f64 v[203:204], v[203:204], v[209:210]
	v_fma_f64 v[207:208], v[8:9], v[22:23], v[207:208]
	v_fma_f64 v[211:212], v[6:7], v[22:23], -v[24:25]
	scratch_load_b128 v[22:25], off, off offset:608
	ds_load_b128 v[6:9], v1 offset:1280
	s_waitcnt vmcnt(9) lgkmcnt(1)
	v_mul_f64 v[209:210], v[2:3], v[28:29]
	v_mul_f64 v[28:29], v[4:5], v[28:29]
	v_add_f64 v[201:202], v[201:202], v[213:214]
	v_add_f64 v[203:204], v[203:204], v[205:206]
	s_waitcnt vmcnt(8) lgkmcnt(0)
	v_mul_f64 v[205:206], v[6:7], v[32:33]
	v_mul_f64 v[32:33], v[8:9], v[32:33]
	;; [unrolled: 18-line block ×4, first 2 shown]
	v_fma_f64 v[205:206], v[4:5], v[38:39], v[205:206]
	v_fma_f64 v[213:214], v[2:3], v[38:39], -v[40:41]
	ds_load_b128 v[2:5], v1 offset:1360
	scratch_load_b128 v[38:41], off, off offset:688
	v_add_f64 v[201:202], v[201:202], v[211:212]
	v_add_f64 v[203:204], v[203:204], v[209:210]
	v_fma_f64 v[207:208], v[8:9], v[193:194], v[207:208]
	v_fma_f64 v[211:212], v[6:7], v[193:194], -v[195:196]
	ds_load_b128 v[6:9], v1 offset:1376
	s_waitcnt vmcnt(8) lgkmcnt(1)
	v_mul_f64 v[209:210], v[2:3], v[12:13]
	v_mul_f64 v[12:13], v[4:5], v[12:13]
	scratch_load_b128 v[193:196], off, off offset:704
	v_add_f64 v[201:202], v[201:202], v[213:214]
	v_add_f64 v[203:204], v[203:204], v[205:206]
	s_waitcnt vmcnt(8) lgkmcnt(0)
	v_mul_f64 v[205:206], v[6:7], v[16:17]
	v_mul_f64 v[16:17], v[8:9], v[16:17]
	v_fma_f64 v[209:210], v[4:5], v[10:11], v[209:210]
	v_fma_f64 v[213:214], v[2:3], v[10:11], -v[12:13]
	scratch_load_b128 v[10:13], off, off offset:720
	ds_load_b128 v[2:5], v1 offset:1392
	v_add_f64 v[201:202], v[201:202], v[211:212]
	v_add_f64 v[203:204], v[203:204], v[207:208]
	v_fma_f64 v[205:206], v[8:9], v[14:15], v[205:206]
	v_fma_f64 v[211:212], v[6:7], v[14:15], -v[16:17]
	ds_load_b128 v[6:9], v1 offset:1408
	s_waitcnt vmcnt(8) lgkmcnt(1)
	v_mul_f64 v[207:208], v[2:3], v[20:21]
	v_mul_f64 v[20:21], v[4:5], v[20:21]
	scratch_load_b128 v[14:17], off, off offset:736
	v_add_f64 v[201:202], v[201:202], v[213:214]
	v_add_f64 v[203:204], v[203:204], v[209:210]
	s_waitcnt vmcnt(8) lgkmcnt(0)
	v_mul_f64 v[209:210], v[6:7], v[24:25]
	v_mul_f64 v[24:25], v[8:9], v[24:25]
	v_fma_f64 v[207:208], v[4:5], v[18:19], v[207:208]
	v_fma_f64 v[213:214], v[2:3], v[18:19], -v[20:21]
	scratch_load_b128 v[18:21], off, off offset:752
	ds_load_b128 v[2:5], v1 offset:1424
	v_add_f64 v[201:202], v[201:202], v[211:212]
	v_add_f64 v[203:204], v[203:204], v[205:206]
	v_fma_f64 v[209:210], v[8:9], v[22:23], v[209:210]
	v_fma_f64 v[211:212], v[6:7], v[22:23], -v[24:25]
	ds_load_b128 v[6:9], v1 offset:1440
	s_waitcnt vmcnt(8) lgkmcnt(1)
	v_mul_f64 v[205:206], v[2:3], v[28:29]
	v_mul_f64 v[28:29], v[4:5], v[28:29]
	scratch_load_b128 v[22:25], off, off offset:768
	v_add_f64 v[201:202], v[201:202], v[213:214]
	v_add_f64 v[203:204], v[203:204], v[207:208]
	s_waitcnt vmcnt(8) lgkmcnt(0)
	v_mul_f64 v[207:208], v[6:7], v[32:33]
	v_mul_f64 v[32:33], v[8:9], v[32:33]
	v_fma_f64 v[205:206], v[4:5], v[26:27], v[205:206]
	v_fma_f64 v[213:214], v[2:3], v[26:27], -v[28:29]
	scratch_load_b128 v[26:29], off, off offset:784
	ds_load_b128 v[2:5], v1 offset:1456
	v_add_f64 v[201:202], v[201:202], v[211:212]
	v_add_f64 v[203:204], v[203:204], v[209:210]
	v_fma_f64 v[207:208], v[8:9], v[30:31], v[207:208]
	v_fma_f64 v[30:31], v[6:7], v[30:31], -v[32:33]
	ds_load_b128 v[6:9], v1 offset:1472
	s_waitcnt vmcnt(8) lgkmcnt(1)
	v_mul_f64 v[209:210], v[2:3], v[36:37]
	v_mul_f64 v[36:37], v[4:5], v[36:37]
	v_add_f64 v[32:33], v[201:202], v[213:214]
	v_add_f64 v[201:202], v[203:204], v[205:206]
	s_waitcnt vmcnt(7) lgkmcnt(0)
	v_mul_f64 v[203:204], v[6:7], v[199:200]
	v_mul_f64 v[199:200], v[8:9], v[199:200]
	v_fma_f64 v[205:206], v[4:5], v[34:35], v[209:210]
	v_fma_f64 v[34:35], v[2:3], v[34:35], -v[36:37]
	ds_load_b128 v[2:5], v1 offset:1488
	v_add_f64 v[30:31], v[32:33], v[30:31]
	v_add_f64 v[32:33], v[201:202], v[207:208]
	v_fma_f64 v[201:202], v[8:9], v[197:198], v[203:204]
	v_fma_f64 v[197:198], v[6:7], v[197:198], -v[199:200]
	ds_load_b128 v[6:9], v1 offset:1504
	s_waitcnt vmcnt(5) lgkmcnt(0)
	v_mul_f64 v[203:204], v[6:7], v[195:196]
	v_mul_f64 v[195:196], v[8:9], v[195:196]
	v_add_f64 v[34:35], v[30:31], v[34:35]
	v_add_f64 v[199:200], v[32:33], v[205:206]
	scratch_load_b128 v[30:33], off, off offset:352
	v_mul_f64 v[36:37], v[2:3], v[40:41]
	v_mul_f64 v[40:41], v[4:5], v[40:41]
	v_add_f64 v[34:35], v[34:35], v[197:198]
	s_delay_alu instid0(VALU_DEP_3) | instskip(NEXT) | instid1(VALU_DEP_3)
	v_fma_f64 v[36:37], v[4:5], v[38:39], v[36:37]
	v_fma_f64 v[38:39], v[2:3], v[38:39], -v[40:41]
	v_add_f64 v[40:41], v[199:200], v[201:202]
	ds_load_b128 v[2:5], v1 offset:1520
	v_fma_f64 v[199:200], v[8:9], v[193:194], v[203:204]
	v_fma_f64 v[193:194], v[6:7], v[193:194], -v[195:196]
	ds_load_b128 v[6:9], v1 offset:1536
	s_waitcnt vmcnt(5) lgkmcnt(1)
	v_mul_f64 v[197:198], v[2:3], v[12:13]
	v_mul_f64 v[12:13], v[4:5], v[12:13]
	v_add_f64 v[34:35], v[34:35], v[38:39]
	v_add_f64 v[36:37], v[40:41], v[36:37]
	s_waitcnt vmcnt(4) lgkmcnt(0)
	v_mul_f64 v[38:39], v[6:7], v[16:17]
	v_mul_f64 v[16:17], v[8:9], v[16:17]
	v_fma_f64 v[40:41], v[4:5], v[10:11], v[197:198]
	v_fma_f64 v[10:11], v[2:3], v[10:11], -v[12:13]
	ds_load_b128 v[2:5], v1 offset:1552
	v_add_f64 v[12:13], v[34:35], v[193:194]
	v_add_f64 v[34:35], v[36:37], v[199:200]
	v_fma_f64 v[38:39], v[8:9], v[14:15], v[38:39]
	v_fma_f64 v[14:15], v[6:7], v[14:15], -v[16:17]
	ds_load_b128 v[6:9], v1 offset:1568
	s_waitcnt vmcnt(3) lgkmcnt(1)
	v_mul_f64 v[36:37], v[2:3], v[20:21]
	v_mul_f64 v[20:21], v[4:5], v[20:21]
	s_waitcnt vmcnt(2) lgkmcnt(0)
	v_mul_f64 v[16:17], v[6:7], v[24:25]
	v_mul_f64 v[24:25], v[8:9], v[24:25]
	v_add_f64 v[10:11], v[12:13], v[10:11]
	v_add_f64 v[12:13], v[34:35], v[40:41]
	v_fma_f64 v[34:35], v[4:5], v[18:19], v[36:37]
	v_fma_f64 v[18:19], v[2:3], v[18:19], -v[20:21]
	ds_load_b128 v[2:5], v1 offset:1584
	v_fma_f64 v[8:9], v[8:9], v[22:23], v[16:17]
	v_fma_f64 v[6:7], v[6:7], v[22:23], -v[24:25]
	s_waitcnt vmcnt(1) lgkmcnt(0)
	v_mul_f64 v[20:21], v[4:5], v[28:29]
	v_add_f64 v[10:11], v[10:11], v[14:15]
	v_add_f64 v[12:13], v[12:13], v[38:39]
	v_mul_f64 v[14:15], v[2:3], v[28:29]
	s_delay_alu instid0(VALU_DEP_4) | instskip(NEXT) | instid1(VALU_DEP_4)
	v_fma_f64 v[2:3], v[2:3], v[26:27], -v[20:21]
	v_add_f64 v[10:11], v[10:11], v[18:19]
	s_delay_alu instid0(VALU_DEP_4) | instskip(NEXT) | instid1(VALU_DEP_4)
	v_add_f64 v[12:13], v[12:13], v[34:35]
	v_fma_f64 v[4:5], v[4:5], v[26:27], v[14:15]
	s_delay_alu instid0(VALU_DEP_3) | instskip(NEXT) | instid1(VALU_DEP_3)
	v_add_f64 v[6:7], v[10:11], v[6:7]
	v_add_f64 v[8:9], v[12:13], v[8:9]
	s_delay_alu instid0(VALU_DEP_2) | instskip(NEXT) | instid1(VALU_DEP_2)
	v_add_f64 v[2:3], v[6:7], v[2:3]
	v_add_f64 v[4:5], v[8:9], v[4:5]
	s_waitcnt vmcnt(0)
	s_delay_alu instid0(VALU_DEP_2) | instskip(NEXT) | instid1(VALU_DEP_2)
	v_add_f64 v[2:3], v[30:31], -v[2:3]
	v_add_f64 v[4:5], v[32:33], -v[4:5]
	scratch_store_b128 off, v[2:5], off offset:352
	v_cmpx_lt_u32_e32 21, v142
	s_cbranch_execz .LBB113_271
; %bb.270:
	scratch_load_b128 v[5:8], v171, off
	v_mov_b32_e32 v2, v1
	v_mov_b32_e32 v3, v1
	;; [unrolled: 1-line block ×3, first 2 shown]
	scratch_store_b128 off, v[1:4], off offset:336
	s_waitcnt vmcnt(0)
	ds_store_b128 v192, v[5:8]
.LBB113_271:
	s_or_b32 exec_lo, exec_lo, s2
	s_waitcnt lgkmcnt(0)
	s_waitcnt_vscnt null, 0x0
	s_barrier
	buffer_gl0_inv
	s_clause 0x7
	scratch_load_b128 v[2:5], off, off offset:352
	scratch_load_b128 v[6:9], off, off offset:368
	;; [unrolled: 1-line block ×8, first 2 shown]
	ds_load_b128 v[38:41], v1 offset:1152
	ds_load_b128 v[193:196], v1 offset:1168
	s_clause 0x1
	scratch_load_b128 v[34:37], off, off offset:480
	scratch_load_b128 v[197:200], off, off offset:496
	s_mov_b32 s2, exec_lo
	s_waitcnt vmcnt(9) lgkmcnt(1)
	v_mul_f64 v[201:202], v[40:41], v[4:5]
	v_mul_f64 v[4:5], v[38:39], v[4:5]
	s_waitcnt vmcnt(8) lgkmcnt(0)
	v_mul_f64 v[203:204], v[193:194], v[8:9]
	v_mul_f64 v[8:9], v[195:196], v[8:9]
	s_delay_alu instid0(VALU_DEP_4) | instskip(NEXT) | instid1(VALU_DEP_4)
	v_fma_f64 v[201:202], v[38:39], v[2:3], -v[201:202]
	v_fma_f64 v[205:206], v[40:41], v[2:3], v[4:5]
	ds_load_b128 v[2:5], v1 offset:1184
	scratch_load_b128 v[38:41], off, off offset:512
	v_fma_f64 v[203:204], v[195:196], v[6:7], v[203:204]
	v_fma_f64 v[209:210], v[193:194], v[6:7], -v[8:9]
	scratch_load_b128 v[193:196], off, off offset:528
	ds_load_b128 v[6:9], v1 offset:1200
	s_waitcnt vmcnt(9) lgkmcnt(1)
	v_mul_f64 v[207:208], v[2:3], v[12:13]
	v_mul_f64 v[12:13], v[4:5], v[12:13]
	s_waitcnt vmcnt(8) lgkmcnt(0)
	v_mul_f64 v[211:212], v[6:7], v[16:17]
	v_mul_f64 v[16:17], v[8:9], v[16:17]
	v_add_f64 v[201:202], v[201:202], 0
	v_add_f64 v[205:206], v[205:206], 0
	v_fma_f64 v[207:208], v[4:5], v[10:11], v[207:208]
	v_fma_f64 v[213:214], v[2:3], v[10:11], -v[12:13]
	ds_load_b128 v[2:5], v1 offset:1216
	scratch_load_b128 v[10:13], off, off offset:544
	v_add_f64 v[201:202], v[201:202], v[209:210]
	v_add_f64 v[203:204], v[205:206], v[203:204]
	v_fma_f64 v[209:210], v[8:9], v[14:15], v[211:212]
	v_fma_f64 v[211:212], v[6:7], v[14:15], -v[16:17]
	scratch_load_b128 v[14:17], off, off offset:560
	ds_load_b128 v[6:9], v1 offset:1232
	s_waitcnt vmcnt(9) lgkmcnt(1)
	v_mul_f64 v[205:206], v[2:3], v[20:21]
	v_mul_f64 v[20:21], v[4:5], v[20:21]
	v_add_f64 v[201:202], v[201:202], v[213:214]
	v_add_f64 v[203:204], v[203:204], v[207:208]
	s_waitcnt vmcnt(8) lgkmcnt(0)
	v_mul_f64 v[207:208], v[6:7], v[24:25]
	v_mul_f64 v[24:25], v[8:9], v[24:25]
	v_fma_f64 v[205:206], v[4:5], v[18:19], v[205:206]
	v_fma_f64 v[213:214], v[2:3], v[18:19], -v[20:21]
	ds_load_b128 v[2:5], v1 offset:1248
	scratch_load_b128 v[18:21], off, off offset:576
	v_add_f64 v[201:202], v[201:202], v[211:212]
	v_add_f64 v[203:204], v[203:204], v[209:210]
	v_fma_f64 v[207:208], v[8:9], v[22:23], v[207:208]
	v_fma_f64 v[211:212], v[6:7], v[22:23], -v[24:25]
	scratch_load_b128 v[22:25], off, off offset:592
	ds_load_b128 v[6:9], v1 offset:1264
	s_waitcnt vmcnt(9) lgkmcnt(1)
	v_mul_f64 v[209:210], v[2:3], v[28:29]
	v_mul_f64 v[28:29], v[4:5], v[28:29]
	v_add_f64 v[201:202], v[201:202], v[213:214]
	v_add_f64 v[203:204], v[203:204], v[205:206]
	s_waitcnt vmcnt(8) lgkmcnt(0)
	v_mul_f64 v[205:206], v[6:7], v[32:33]
	v_mul_f64 v[32:33], v[8:9], v[32:33]
	;; [unrolled: 18-line block ×4, first 2 shown]
	v_fma_f64 v[205:206], v[4:5], v[38:39], v[205:206]
	v_fma_f64 v[213:214], v[2:3], v[38:39], -v[40:41]
	ds_load_b128 v[2:5], v1 offset:1344
	scratch_load_b128 v[38:41], off, off offset:672
	v_add_f64 v[201:202], v[201:202], v[211:212]
	v_add_f64 v[203:204], v[203:204], v[209:210]
	v_fma_f64 v[207:208], v[8:9], v[193:194], v[207:208]
	v_fma_f64 v[211:212], v[6:7], v[193:194], -v[195:196]
	ds_load_b128 v[6:9], v1 offset:1360
	s_waitcnt vmcnt(8) lgkmcnt(1)
	v_mul_f64 v[209:210], v[2:3], v[12:13]
	v_mul_f64 v[12:13], v[4:5], v[12:13]
	scratch_load_b128 v[193:196], off, off offset:688
	v_add_f64 v[201:202], v[201:202], v[213:214]
	v_add_f64 v[203:204], v[203:204], v[205:206]
	s_waitcnt vmcnt(8) lgkmcnt(0)
	v_mul_f64 v[205:206], v[6:7], v[16:17]
	v_mul_f64 v[16:17], v[8:9], v[16:17]
	v_fma_f64 v[209:210], v[4:5], v[10:11], v[209:210]
	v_fma_f64 v[213:214], v[2:3], v[10:11], -v[12:13]
	ds_load_b128 v[2:5], v1 offset:1376
	scratch_load_b128 v[10:13], off, off offset:704
	v_add_f64 v[201:202], v[201:202], v[211:212]
	v_add_f64 v[203:204], v[203:204], v[207:208]
	v_fma_f64 v[205:206], v[8:9], v[14:15], v[205:206]
	v_fma_f64 v[211:212], v[6:7], v[14:15], -v[16:17]
	ds_load_b128 v[6:9], v1 offset:1392
	s_waitcnt vmcnt(8) lgkmcnt(1)
	v_mul_f64 v[207:208], v[2:3], v[20:21]
	v_mul_f64 v[20:21], v[4:5], v[20:21]
	scratch_load_b128 v[14:17], off, off offset:720
	v_add_f64 v[201:202], v[201:202], v[213:214]
	v_add_f64 v[203:204], v[203:204], v[209:210]
	s_waitcnt vmcnt(8) lgkmcnt(0)
	v_mul_f64 v[209:210], v[6:7], v[24:25]
	v_mul_f64 v[24:25], v[8:9], v[24:25]
	v_fma_f64 v[207:208], v[4:5], v[18:19], v[207:208]
	v_fma_f64 v[213:214], v[2:3], v[18:19], -v[20:21]
	scratch_load_b128 v[18:21], off, off offset:736
	ds_load_b128 v[2:5], v1 offset:1408
	v_add_f64 v[201:202], v[201:202], v[211:212]
	v_add_f64 v[203:204], v[203:204], v[205:206]
	v_fma_f64 v[209:210], v[8:9], v[22:23], v[209:210]
	v_fma_f64 v[211:212], v[6:7], v[22:23], -v[24:25]
	ds_load_b128 v[6:9], v1 offset:1424
	s_waitcnt vmcnt(8) lgkmcnt(1)
	v_mul_f64 v[205:206], v[2:3], v[28:29]
	v_mul_f64 v[28:29], v[4:5], v[28:29]
	scratch_load_b128 v[22:25], off, off offset:752
	v_add_f64 v[201:202], v[201:202], v[213:214]
	v_add_f64 v[203:204], v[203:204], v[207:208]
	s_waitcnt vmcnt(8) lgkmcnt(0)
	v_mul_f64 v[207:208], v[6:7], v[32:33]
	v_mul_f64 v[32:33], v[8:9], v[32:33]
	v_fma_f64 v[205:206], v[4:5], v[26:27], v[205:206]
	v_fma_f64 v[213:214], v[2:3], v[26:27], -v[28:29]
	scratch_load_b128 v[26:29], off, off offset:768
	ds_load_b128 v[2:5], v1 offset:1440
	v_add_f64 v[201:202], v[201:202], v[211:212]
	v_add_f64 v[203:204], v[203:204], v[209:210]
	v_fma_f64 v[207:208], v[8:9], v[30:31], v[207:208]
	v_fma_f64 v[211:212], v[6:7], v[30:31], -v[32:33]
	ds_load_b128 v[6:9], v1 offset:1456
	s_waitcnt vmcnt(8) lgkmcnt(1)
	v_mul_f64 v[209:210], v[2:3], v[36:37]
	v_mul_f64 v[36:37], v[4:5], v[36:37]
	scratch_load_b128 v[30:33], off, off offset:784
	v_add_f64 v[201:202], v[201:202], v[213:214]
	v_add_f64 v[203:204], v[203:204], v[205:206]
	s_waitcnt vmcnt(8) lgkmcnt(0)
	v_mul_f64 v[205:206], v[6:7], v[199:200]
	v_mul_f64 v[199:200], v[8:9], v[199:200]
	v_fma_f64 v[209:210], v[4:5], v[34:35], v[209:210]
	v_fma_f64 v[34:35], v[2:3], v[34:35], -v[36:37]
	ds_load_b128 v[2:5], v1 offset:1472
	v_add_f64 v[36:37], v[201:202], v[211:212]
	v_add_f64 v[201:202], v[203:204], v[207:208]
	v_fma_f64 v[205:206], v[8:9], v[197:198], v[205:206]
	v_fma_f64 v[197:198], v[6:7], v[197:198], -v[199:200]
	ds_load_b128 v[6:9], v1 offset:1488
	s_waitcnt vmcnt(7) lgkmcnt(1)
	v_mul_f64 v[203:204], v[2:3], v[40:41]
	v_mul_f64 v[40:41], v[4:5], v[40:41]
	v_add_f64 v[34:35], v[36:37], v[34:35]
	v_add_f64 v[36:37], v[201:202], v[209:210]
	s_delay_alu instid0(VALU_DEP_4) | instskip(NEXT) | instid1(VALU_DEP_4)
	v_fma_f64 v[201:202], v[4:5], v[38:39], v[203:204]
	v_fma_f64 v[38:39], v[2:3], v[38:39], -v[40:41]
	ds_load_b128 v[2:5], v1 offset:1504
	v_add_f64 v[40:41], v[34:35], v[197:198]
	v_add_f64 v[197:198], v[36:37], v[205:206]
	scratch_load_b128 v[34:37], off, off offset:336
	s_waitcnt vmcnt(7) lgkmcnt(1)
	v_mul_f64 v[199:200], v[6:7], v[195:196]
	v_mul_f64 v[195:196], v[8:9], v[195:196]
	v_add_f64 v[38:39], v[40:41], v[38:39]
	v_add_f64 v[40:41], v[197:198], v[201:202]
	s_delay_alu instid0(VALU_DEP_4) | instskip(NEXT) | instid1(VALU_DEP_4)
	v_fma_f64 v[199:200], v[8:9], v[193:194], v[199:200]
	v_fma_f64 v[193:194], v[6:7], v[193:194], -v[195:196]
	ds_load_b128 v[6:9], v1 offset:1520
	s_waitcnt vmcnt(6) lgkmcnt(1)
	v_mul_f64 v[203:204], v[2:3], v[12:13]
	v_mul_f64 v[12:13], v[4:5], v[12:13]
	s_waitcnt vmcnt(5) lgkmcnt(0)
	v_mul_f64 v[195:196], v[6:7], v[16:17]
	v_mul_f64 v[16:17], v[8:9], v[16:17]
	s_delay_alu instid0(VALU_DEP_4) | instskip(NEXT) | instid1(VALU_DEP_4)
	v_fma_f64 v[197:198], v[4:5], v[10:11], v[203:204]
	v_fma_f64 v[10:11], v[2:3], v[10:11], -v[12:13]
	v_add_f64 v[12:13], v[38:39], v[193:194]
	v_add_f64 v[38:39], v[40:41], v[199:200]
	ds_load_b128 v[2:5], v1 offset:1536
	v_fma_f64 v[193:194], v[8:9], v[14:15], v[195:196]
	v_fma_f64 v[14:15], v[6:7], v[14:15], -v[16:17]
	ds_load_b128 v[6:9], v1 offset:1552
	s_waitcnt vmcnt(4) lgkmcnt(1)
	v_mul_f64 v[40:41], v[2:3], v[20:21]
	v_mul_f64 v[20:21], v[4:5], v[20:21]
	v_add_f64 v[10:11], v[12:13], v[10:11]
	v_add_f64 v[12:13], v[38:39], v[197:198]
	s_waitcnt vmcnt(3) lgkmcnt(0)
	v_mul_f64 v[16:17], v[6:7], v[24:25]
	v_mul_f64 v[24:25], v[8:9], v[24:25]
	v_fma_f64 v[38:39], v[4:5], v[18:19], v[40:41]
	v_fma_f64 v[18:19], v[2:3], v[18:19], -v[20:21]
	ds_load_b128 v[2:5], v1 offset:1568
	v_add_f64 v[10:11], v[10:11], v[14:15]
	v_add_f64 v[12:13], v[12:13], v[193:194]
	v_fma_f64 v[16:17], v[8:9], v[22:23], v[16:17]
	v_fma_f64 v[22:23], v[6:7], v[22:23], -v[24:25]
	ds_load_b128 v[6:9], v1 offset:1584
	s_waitcnt vmcnt(2) lgkmcnt(1)
	v_mul_f64 v[14:15], v[2:3], v[28:29]
	v_mul_f64 v[20:21], v[4:5], v[28:29]
	s_waitcnt vmcnt(1) lgkmcnt(0)
	v_mul_f64 v[24:25], v[8:9], v[32:33]
	v_add_f64 v[10:11], v[10:11], v[18:19]
	v_add_f64 v[12:13], v[12:13], v[38:39]
	v_mul_f64 v[18:19], v[6:7], v[32:33]
	v_fma_f64 v[4:5], v[4:5], v[26:27], v[14:15]
	v_fma_f64 v[1:2], v[2:3], v[26:27], -v[20:21]
	v_fma_f64 v[6:7], v[6:7], v[30:31], -v[24:25]
	v_add_f64 v[10:11], v[10:11], v[22:23]
	v_add_f64 v[12:13], v[12:13], v[16:17]
	v_fma_f64 v[8:9], v[8:9], v[30:31], v[18:19]
	s_delay_alu instid0(VALU_DEP_3) | instskip(NEXT) | instid1(VALU_DEP_3)
	v_add_f64 v[1:2], v[10:11], v[1:2]
	v_add_f64 v[3:4], v[12:13], v[4:5]
	s_delay_alu instid0(VALU_DEP_2) | instskip(NEXT) | instid1(VALU_DEP_2)
	v_add_f64 v[1:2], v[1:2], v[6:7]
	v_add_f64 v[3:4], v[3:4], v[8:9]
	s_waitcnt vmcnt(0)
	s_delay_alu instid0(VALU_DEP_2) | instskip(NEXT) | instid1(VALU_DEP_2)
	v_add_f64 v[1:2], v[34:35], -v[1:2]
	v_add_f64 v[3:4], v[36:37], -v[3:4]
	scratch_store_b128 off, v[1:4], off offset:336
	v_cmpx_lt_u32_e32 20, v142
	s_cbranch_execz .LBB113_273
; %bb.272:
	scratch_load_b128 v[1:4], v172, off
	v_mov_b32_e32 v5, 0
	s_delay_alu instid0(VALU_DEP_1)
	v_mov_b32_e32 v6, v5
	v_mov_b32_e32 v7, v5
	;; [unrolled: 1-line block ×3, first 2 shown]
	scratch_store_b128 off, v[5:8], off offset:320
	s_waitcnt vmcnt(0)
	ds_store_b128 v192, v[1:4]
.LBB113_273:
	s_or_b32 exec_lo, exec_lo, s2
	s_waitcnt lgkmcnt(0)
	s_waitcnt_vscnt null, 0x0
	s_barrier
	buffer_gl0_inv
	s_clause 0x7
	scratch_load_b128 v[2:5], off, off offset:336
	scratch_load_b128 v[6:9], off, off offset:352
	;; [unrolled: 1-line block ×8, first 2 shown]
	v_mov_b32_e32 v1, 0
	s_clause 0x1
	scratch_load_b128 v[34:37], off, off offset:464
	scratch_load_b128 v[197:200], off, off offset:480
	s_mov_b32 s2, exec_lo
	ds_load_b128 v[38:41], v1 offset:1136
	ds_load_b128 v[193:196], v1 offset:1152
	s_waitcnt vmcnt(9) lgkmcnt(1)
	v_mul_f64 v[201:202], v[40:41], v[4:5]
	v_mul_f64 v[4:5], v[38:39], v[4:5]
	s_waitcnt vmcnt(8) lgkmcnt(0)
	v_mul_f64 v[203:204], v[193:194], v[8:9]
	v_mul_f64 v[8:9], v[195:196], v[8:9]
	s_delay_alu instid0(VALU_DEP_4) | instskip(NEXT) | instid1(VALU_DEP_4)
	v_fma_f64 v[201:202], v[38:39], v[2:3], -v[201:202]
	v_fma_f64 v[205:206], v[40:41], v[2:3], v[4:5]
	ds_load_b128 v[2:5], v1 offset:1168
	scratch_load_b128 v[38:41], off, off offset:496
	v_fma_f64 v[203:204], v[195:196], v[6:7], v[203:204]
	v_fma_f64 v[209:210], v[193:194], v[6:7], -v[8:9]
	scratch_load_b128 v[193:196], off, off offset:512
	ds_load_b128 v[6:9], v1 offset:1184
	s_waitcnt vmcnt(9) lgkmcnt(1)
	v_mul_f64 v[207:208], v[2:3], v[12:13]
	v_mul_f64 v[12:13], v[4:5], v[12:13]
	s_waitcnt vmcnt(8) lgkmcnt(0)
	v_mul_f64 v[211:212], v[6:7], v[16:17]
	v_mul_f64 v[16:17], v[8:9], v[16:17]
	v_add_f64 v[201:202], v[201:202], 0
	v_add_f64 v[205:206], v[205:206], 0
	v_fma_f64 v[207:208], v[4:5], v[10:11], v[207:208]
	v_fma_f64 v[213:214], v[2:3], v[10:11], -v[12:13]
	ds_load_b128 v[2:5], v1 offset:1200
	scratch_load_b128 v[10:13], off, off offset:528
	v_add_f64 v[201:202], v[201:202], v[209:210]
	v_add_f64 v[203:204], v[205:206], v[203:204]
	v_fma_f64 v[209:210], v[8:9], v[14:15], v[211:212]
	v_fma_f64 v[211:212], v[6:7], v[14:15], -v[16:17]
	scratch_load_b128 v[14:17], off, off offset:544
	ds_load_b128 v[6:9], v1 offset:1216
	s_waitcnt vmcnt(9) lgkmcnt(1)
	v_mul_f64 v[205:206], v[2:3], v[20:21]
	v_mul_f64 v[20:21], v[4:5], v[20:21]
	v_add_f64 v[201:202], v[201:202], v[213:214]
	v_add_f64 v[203:204], v[203:204], v[207:208]
	s_waitcnt vmcnt(8) lgkmcnt(0)
	v_mul_f64 v[207:208], v[6:7], v[24:25]
	v_mul_f64 v[24:25], v[8:9], v[24:25]
	v_fma_f64 v[205:206], v[4:5], v[18:19], v[205:206]
	v_fma_f64 v[213:214], v[2:3], v[18:19], -v[20:21]
	ds_load_b128 v[2:5], v1 offset:1232
	scratch_load_b128 v[18:21], off, off offset:560
	v_add_f64 v[201:202], v[201:202], v[211:212]
	v_add_f64 v[203:204], v[203:204], v[209:210]
	v_fma_f64 v[207:208], v[8:9], v[22:23], v[207:208]
	v_fma_f64 v[211:212], v[6:7], v[22:23], -v[24:25]
	scratch_load_b128 v[22:25], off, off offset:576
	ds_load_b128 v[6:9], v1 offset:1248
	s_waitcnt vmcnt(9) lgkmcnt(1)
	v_mul_f64 v[209:210], v[2:3], v[28:29]
	v_mul_f64 v[28:29], v[4:5], v[28:29]
	v_add_f64 v[201:202], v[201:202], v[213:214]
	v_add_f64 v[203:204], v[203:204], v[205:206]
	s_waitcnt vmcnt(8) lgkmcnt(0)
	v_mul_f64 v[205:206], v[6:7], v[32:33]
	v_mul_f64 v[32:33], v[8:9], v[32:33]
	;; [unrolled: 18-line block ×5, first 2 shown]
	v_fma_f64 v[209:210], v[4:5], v[10:11], v[209:210]
	v_fma_f64 v[213:214], v[2:3], v[10:11], -v[12:13]
	ds_load_b128 v[2:5], v1 offset:1360
	scratch_load_b128 v[10:13], off, off offset:688
	v_add_f64 v[201:202], v[201:202], v[211:212]
	v_add_f64 v[203:204], v[203:204], v[207:208]
	v_fma_f64 v[205:206], v[8:9], v[14:15], v[205:206]
	v_fma_f64 v[211:212], v[6:7], v[14:15], -v[16:17]
	ds_load_b128 v[6:9], v1 offset:1376
	s_waitcnt vmcnt(8) lgkmcnt(1)
	v_mul_f64 v[207:208], v[2:3], v[20:21]
	v_mul_f64 v[20:21], v[4:5], v[20:21]
	scratch_load_b128 v[14:17], off, off offset:704
	v_add_f64 v[201:202], v[201:202], v[213:214]
	v_add_f64 v[203:204], v[203:204], v[209:210]
	s_waitcnt vmcnt(8) lgkmcnt(0)
	v_mul_f64 v[209:210], v[6:7], v[24:25]
	v_mul_f64 v[24:25], v[8:9], v[24:25]
	v_fma_f64 v[207:208], v[4:5], v[18:19], v[207:208]
	v_fma_f64 v[213:214], v[2:3], v[18:19], -v[20:21]
	scratch_load_b128 v[18:21], off, off offset:720
	ds_load_b128 v[2:5], v1 offset:1392
	v_add_f64 v[201:202], v[201:202], v[211:212]
	v_add_f64 v[203:204], v[203:204], v[205:206]
	v_fma_f64 v[209:210], v[8:9], v[22:23], v[209:210]
	v_fma_f64 v[211:212], v[6:7], v[22:23], -v[24:25]
	ds_load_b128 v[6:9], v1 offset:1408
	s_waitcnt vmcnt(8) lgkmcnt(1)
	v_mul_f64 v[205:206], v[2:3], v[28:29]
	v_mul_f64 v[28:29], v[4:5], v[28:29]
	scratch_load_b128 v[22:25], off, off offset:736
	v_add_f64 v[201:202], v[201:202], v[213:214]
	v_add_f64 v[203:204], v[203:204], v[207:208]
	s_waitcnt vmcnt(8) lgkmcnt(0)
	v_mul_f64 v[207:208], v[6:7], v[32:33]
	v_mul_f64 v[32:33], v[8:9], v[32:33]
	v_fma_f64 v[205:206], v[4:5], v[26:27], v[205:206]
	v_fma_f64 v[213:214], v[2:3], v[26:27], -v[28:29]
	scratch_load_b128 v[26:29], off, off offset:752
	ds_load_b128 v[2:5], v1 offset:1424
	;; [unrolled: 18-line block ×3, first 2 shown]
	v_add_f64 v[201:202], v[201:202], v[211:212]
	v_add_f64 v[203:204], v[203:204], v[207:208]
	v_fma_f64 v[205:206], v[8:9], v[197:198], v[205:206]
	v_fma_f64 v[197:198], v[6:7], v[197:198], -v[199:200]
	ds_load_b128 v[6:9], v1 offset:1472
	s_waitcnt vmcnt(8) lgkmcnt(1)
	v_mul_f64 v[207:208], v[2:3], v[40:41]
	v_mul_f64 v[40:41], v[4:5], v[40:41]
	v_add_f64 v[199:200], v[201:202], v[213:214]
	v_add_f64 v[201:202], v[203:204], v[209:210]
	s_waitcnt vmcnt(7) lgkmcnt(0)
	v_mul_f64 v[203:204], v[6:7], v[195:196]
	v_mul_f64 v[195:196], v[8:9], v[195:196]
	v_fma_f64 v[207:208], v[4:5], v[38:39], v[207:208]
	v_fma_f64 v[38:39], v[2:3], v[38:39], -v[40:41]
	ds_load_b128 v[2:5], v1 offset:1488
	v_add_f64 v[40:41], v[199:200], v[197:198]
	v_add_f64 v[197:198], v[201:202], v[205:206]
	v_fma_f64 v[201:202], v[8:9], v[193:194], v[203:204]
	v_fma_f64 v[193:194], v[6:7], v[193:194], -v[195:196]
	ds_load_b128 v[6:9], v1 offset:1504
	s_waitcnt vmcnt(5) lgkmcnt(0)
	v_mul_f64 v[203:204], v[6:7], v[16:17]
	v_mul_f64 v[16:17], v[8:9], v[16:17]
	v_add_f64 v[195:196], v[40:41], v[38:39]
	v_add_f64 v[197:198], v[197:198], v[207:208]
	scratch_load_b128 v[38:41], off, off offset:320
	v_mul_f64 v[199:200], v[2:3], v[12:13]
	v_mul_f64 v[12:13], v[4:5], v[12:13]
	s_delay_alu instid0(VALU_DEP_2) | instskip(NEXT) | instid1(VALU_DEP_2)
	v_fma_f64 v[199:200], v[4:5], v[10:11], v[199:200]
	v_fma_f64 v[10:11], v[2:3], v[10:11], -v[12:13]
	v_add_f64 v[12:13], v[195:196], v[193:194]
	v_add_f64 v[193:194], v[197:198], v[201:202]
	ds_load_b128 v[2:5], v1 offset:1520
	v_fma_f64 v[197:198], v[8:9], v[14:15], v[203:204]
	v_fma_f64 v[14:15], v[6:7], v[14:15], -v[16:17]
	ds_load_b128 v[6:9], v1 offset:1536
	s_waitcnt vmcnt(5) lgkmcnt(1)
	v_mul_f64 v[195:196], v[2:3], v[20:21]
	v_mul_f64 v[20:21], v[4:5], v[20:21]
	s_waitcnt vmcnt(4) lgkmcnt(0)
	v_mul_f64 v[16:17], v[6:7], v[24:25]
	v_mul_f64 v[24:25], v[8:9], v[24:25]
	v_add_f64 v[10:11], v[12:13], v[10:11]
	v_add_f64 v[12:13], v[193:194], v[199:200]
	v_fma_f64 v[193:194], v[4:5], v[18:19], v[195:196]
	v_fma_f64 v[18:19], v[2:3], v[18:19], -v[20:21]
	ds_load_b128 v[2:5], v1 offset:1552
	v_fma_f64 v[16:17], v[8:9], v[22:23], v[16:17]
	v_fma_f64 v[22:23], v[6:7], v[22:23], -v[24:25]
	ds_load_b128 v[6:9], v1 offset:1568
	v_add_f64 v[10:11], v[10:11], v[14:15]
	v_add_f64 v[12:13], v[12:13], v[197:198]
	s_waitcnt vmcnt(3) lgkmcnt(1)
	v_mul_f64 v[14:15], v[2:3], v[28:29]
	v_mul_f64 v[20:21], v[4:5], v[28:29]
	s_waitcnt vmcnt(2) lgkmcnt(0)
	v_mul_f64 v[24:25], v[8:9], v[32:33]
	v_add_f64 v[10:11], v[10:11], v[18:19]
	v_add_f64 v[12:13], v[12:13], v[193:194]
	v_mul_f64 v[18:19], v[6:7], v[32:33]
	v_fma_f64 v[14:15], v[4:5], v[26:27], v[14:15]
	v_fma_f64 v[20:21], v[2:3], v[26:27], -v[20:21]
	ds_load_b128 v[2:5], v1 offset:1584
	v_fma_f64 v[6:7], v[6:7], v[30:31], -v[24:25]
	v_add_f64 v[10:11], v[10:11], v[22:23]
	v_add_f64 v[12:13], v[12:13], v[16:17]
	s_waitcnt vmcnt(1) lgkmcnt(0)
	v_mul_f64 v[16:17], v[2:3], v[36:37]
	v_mul_f64 v[22:23], v[4:5], v[36:37]
	v_fma_f64 v[8:9], v[8:9], v[30:31], v[18:19]
	v_add_f64 v[10:11], v[10:11], v[20:21]
	v_add_f64 v[12:13], v[12:13], v[14:15]
	v_fma_f64 v[4:5], v[4:5], v[34:35], v[16:17]
	v_fma_f64 v[2:3], v[2:3], v[34:35], -v[22:23]
	s_delay_alu instid0(VALU_DEP_4) | instskip(NEXT) | instid1(VALU_DEP_4)
	v_add_f64 v[6:7], v[10:11], v[6:7]
	v_add_f64 v[8:9], v[12:13], v[8:9]
	s_delay_alu instid0(VALU_DEP_2) | instskip(NEXT) | instid1(VALU_DEP_2)
	v_add_f64 v[2:3], v[6:7], v[2:3]
	v_add_f64 v[4:5], v[8:9], v[4:5]
	s_waitcnt vmcnt(0)
	s_delay_alu instid0(VALU_DEP_2) | instskip(NEXT) | instid1(VALU_DEP_2)
	v_add_f64 v[2:3], v[38:39], -v[2:3]
	v_add_f64 v[4:5], v[40:41], -v[4:5]
	scratch_store_b128 off, v[2:5], off offset:320
	v_cmpx_lt_u32_e32 19, v142
	s_cbranch_execz .LBB113_275
; %bb.274:
	scratch_load_b128 v[5:8], v174, off
	v_mov_b32_e32 v2, v1
	v_mov_b32_e32 v3, v1
	;; [unrolled: 1-line block ×3, first 2 shown]
	scratch_store_b128 off, v[1:4], off offset:304
	s_waitcnt vmcnt(0)
	ds_store_b128 v192, v[5:8]
.LBB113_275:
	s_or_b32 exec_lo, exec_lo, s2
	s_waitcnt lgkmcnt(0)
	s_waitcnt_vscnt null, 0x0
	s_barrier
	buffer_gl0_inv
	s_clause 0x7
	scratch_load_b128 v[2:5], off, off offset:320
	scratch_load_b128 v[6:9], off, off offset:336
	;; [unrolled: 1-line block ×8, first 2 shown]
	ds_load_b128 v[38:41], v1 offset:1120
	ds_load_b128 v[193:196], v1 offset:1136
	s_clause 0x1
	scratch_load_b128 v[34:37], off, off offset:448
	scratch_load_b128 v[197:200], off, off offset:464
	s_mov_b32 s2, exec_lo
	s_waitcnt vmcnt(9) lgkmcnt(1)
	v_mul_f64 v[201:202], v[40:41], v[4:5]
	v_mul_f64 v[4:5], v[38:39], v[4:5]
	s_waitcnt vmcnt(8) lgkmcnt(0)
	v_mul_f64 v[203:204], v[193:194], v[8:9]
	v_mul_f64 v[8:9], v[195:196], v[8:9]
	s_delay_alu instid0(VALU_DEP_4) | instskip(NEXT) | instid1(VALU_DEP_4)
	v_fma_f64 v[201:202], v[38:39], v[2:3], -v[201:202]
	v_fma_f64 v[205:206], v[40:41], v[2:3], v[4:5]
	ds_load_b128 v[2:5], v1 offset:1152
	scratch_load_b128 v[38:41], off, off offset:480
	v_fma_f64 v[203:204], v[195:196], v[6:7], v[203:204]
	v_fma_f64 v[209:210], v[193:194], v[6:7], -v[8:9]
	scratch_load_b128 v[193:196], off, off offset:496
	ds_load_b128 v[6:9], v1 offset:1168
	s_waitcnt vmcnt(9) lgkmcnt(1)
	v_mul_f64 v[207:208], v[2:3], v[12:13]
	v_mul_f64 v[12:13], v[4:5], v[12:13]
	s_waitcnt vmcnt(8) lgkmcnt(0)
	v_mul_f64 v[211:212], v[6:7], v[16:17]
	v_mul_f64 v[16:17], v[8:9], v[16:17]
	v_add_f64 v[201:202], v[201:202], 0
	v_add_f64 v[205:206], v[205:206], 0
	v_fma_f64 v[207:208], v[4:5], v[10:11], v[207:208]
	v_fma_f64 v[213:214], v[2:3], v[10:11], -v[12:13]
	scratch_load_b128 v[10:13], off, off offset:512
	ds_load_b128 v[2:5], v1 offset:1184
	v_add_f64 v[201:202], v[201:202], v[209:210]
	v_add_f64 v[203:204], v[205:206], v[203:204]
	v_fma_f64 v[209:210], v[8:9], v[14:15], v[211:212]
	v_fma_f64 v[211:212], v[6:7], v[14:15], -v[16:17]
	ds_load_b128 v[6:9], v1 offset:1200
	scratch_load_b128 v[14:17], off, off offset:528
	s_waitcnt vmcnt(9) lgkmcnt(1)
	v_mul_f64 v[205:206], v[2:3], v[20:21]
	v_mul_f64 v[20:21], v[4:5], v[20:21]
	v_add_f64 v[201:202], v[201:202], v[213:214]
	v_add_f64 v[203:204], v[203:204], v[207:208]
	s_waitcnt vmcnt(8) lgkmcnt(0)
	v_mul_f64 v[207:208], v[6:7], v[24:25]
	v_mul_f64 v[24:25], v[8:9], v[24:25]
	v_fma_f64 v[205:206], v[4:5], v[18:19], v[205:206]
	v_fma_f64 v[213:214], v[2:3], v[18:19], -v[20:21]
	ds_load_b128 v[2:5], v1 offset:1216
	scratch_load_b128 v[18:21], off, off offset:544
	v_add_f64 v[201:202], v[201:202], v[211:212]
	v_add_f64 v[203:204], v[203:204], v[209:210]
	v_fma_f64 v[207:208], v[8:9], v[22:23], v[207:208]
	v_fma_f64 v[211:212], v[6:7], v[22:23], -v[24:25]
	scratch_load_b128 v[22:25], off, off offset:560
	ds_load_b128 v[6:9], v1 offset:1232
	s_waitcnt vmcnt(9) lgkmcnt(1)
	v_mul_f64 v[209:210], v[2:3], v[28:29]
	v_mul_f64 v[28:29], v[4:5], v[28:29]
	v_add_f64 v[201:202], v[201:202], v[213:214]
	v_add_f64 v[203:204], v[203:204], v[205:206]
	s_waitcnt vmcnt(8) lgkmcnt(0)
	v_mul_f64 v[205:206], v[6:7], v[32:33]
	v_mul_f64 v[32:33], v[8:9], v[32:33]
	v_fma_f64 v[209:210], v[4:5], v[26:27], v[209:210]
	v_fma_f64 v[213:214], v[2:3], v[26:27], -v[28:29]
	ds_load_b128 v[2:5], v1 offset:1248
	scratch_load_b128 v[26:29], off, off offset:576
	v_add_f64 v[201:202], v[201:202], v[211:212]
	v_add_f64 v[203:204], v[203:204], v[207:208]
	v_fma_f64 v[205:206], v[8:9], v[30:31], v[205:206]
	v_fma_f64 v[211:212], v[6:7], v[30:31], -v[32:33]
	scratch_load_b128 v[30:33], off, off offset:592
	ds_load_b128 v[6:9], v1 offset:1264
	;; [unrolled: 18-line block ×3, first 2 shown]
	s_waitcnt vmcnt(9) lgkmcnt(1)
	v_mul_f64 v[205:206], v[2:3], v[40:41]
	v_mul_f64 v[40:41], v[4:5], v[40:41]
	v_add_f64 v[201:202], v[201:202], v[213:214]
	v_add_f64 v[203:204], v[203:204], v[207:208]
	s_waitcnt vmcnt(8) lgkmcnt(0)
	v_mul_f64 v[207:208], v[6:7], v[195:196]
	v_mul_f64 v[195:196], v[8:9], v[195:196]
	v_fma_f64 v[205:206], v[4:5], v[38:39], v[205:206]
	v_fma_f64 v[213:214], v[2:3], v[38:39], -v[40:41]
	ds_load_b128 v[2:5], v1 offset:1312
	scratch_load_b128 v[38:41], off, off offset:640
	v_add_f64 v[201:202], v[201:202], v[211:212]
	v_add_f64 v[203:204], v[203:204], v[209:210]
	v_fma_f64 v[207:208], v[8:9], v[193:194], v[207:208]
	v_fma_f64 v[211:212], v[6:7], v[193:194], -v[195:196]
	ds_load_b128 v[6:9], v1 offset:1328
	s_waitcnt vmcnt(8) lgkmcnt(1)
	v_mul_f64 v[209:210], v[2:3], v[12:13]
	v_mul_f64 v[12:13], v[4:5], v[12:13]
	scratch_load_b128 v[193:196], off, off offset:656
	v_add_f64 v[201:202], v[201:202], v[213:214]
	v_add_f64 v[203:204], v[203:204], v[205:206]
	s_waitcnt vmcnt(8) lgkmcnt(0)
	v_mul_f64 v[205:206], v[6:7], v[16:17]
	v_mul_f64 v[16:17], v[8:9], v[16:17]
	v_fma_f64 v[209:210], v[4:5], v[10:11], v[209:210]
	v_fma_f64 v[213:214], v[2:3], v[10:11], -v[12:13]
	scratch_load_b128 v[10:13], off, off offset:672
	ds_load_b128 v[2:5], v1 offset:1344
	v_add_f64 v[201:202], v[201:202], v[211:212]
	v_add_f64 v[203:204], v[203:204], v[207:208]
	v_fma_f64 v[205:206], v[8:9], v[14:15], v[205:206]
	v_fma_f64 v[211:212], v[6:7], v[14:15], -v[16:17]
	ds_load_b128 v[6:9], v1 offset:1360
	s_waitcnt vmcnt(8) lgkmcnt(1)
	v_mul_f64 v[207:208], v[2:3], v[20:21]
	v_mul_f64 v[20:21], v[4:5], v[20:21]
	scratch_load_b128 v[14:17], off, off offset:688
	v_add_f64 v[201:202], v[201:202], v[213:214]
	v_add_f64 v[203:204], v[203:204], v[209:210]
	s_waitcnt vmcnt(8) lgkmcnt(0)
	v_mul_f64 v[209:210], v[6:7], v[24:25]
	v_mul_f64 v[24:25], v[8:9], v[24:25]
	v_fma_f64 v[207:208], v[4:5], v[18:19], v[207:208]
	v_fma_f64 v[213:214], v[2:3], v[18:19], -v[20:21]
	scratch_load_b128 v[18:21], off, off offset:704
	ds_load_b128 v[2:5], v1 offset:1376
	;; [unrolled: 18-line block ×4, first 2 shown]
	v_add_f64 v[201:202], v[201:202], v[211:212]
	v_add_f64 v[203:204], v[203:204], v[207:208]
	v_fma_f64 v[205:206], v[8:9], v[197:198], v[205:206]
	v_fma_f64 v[211:212], v[6:7], v[197:198], -v[199:200]
	ds_load_b128 v[6:9], v1 offset:1456
	s_waitcnt vmcnt(8) lgkmcnt(1)
	v_mul_f64 v[207:208], v[2:3], v[40:41]
	v_mul_f64 v[40:41], v[4:5], v[40:41]
	scratch_load_b128 v[197:200], off, off offset:784
	v_add_f64 v[201:202], v[201:202], v[213:214]
	v_add_f64 v[203:204], v[203:204], v[209:210]
	v_fma_f64 v[207:208], v[4:5], v[38:39], v[207:208]
	v_fma_f64 v[38:39], v[2:3], v[38:39], -v[40:41]
	ds_load_b128 v[2:5], v1 offset:1472
	v_add_f64 v[40:41], v[201:202], v[211:212]
	v_add_f64 v[201:202], v[203:204], v[205:206]
	s_waitcnt vmcnt(7) lgkmcnt(0)
	v_mul_f64 v[203:204], v[2:3], v[12:13]
	v_mul_f64 v[12:13], v[4:5], v[12:13]
	s_delay_alu instid0(VALU_DEP_4) | instskip(NEXT) | instid1(VALU_DEP_4)
	v_add_f64 v[38:39], v[40:41], v[38:39]
	v_add_f64 v[40:41], v[201:202], v[207:208]
	s_delay_alu instid0(VALU_DEP_4) | instskip(NEXT) | instid1(VALU_DEP_4)
	v_fma_f64 v[201:202], v[4:5], v[10:11], v[203:204]
	v_fma_f64 v[203:204], v[2:3], v[10:11], -v[12:13]
	scratch_load_b128 v[10:13], off, off offset:304
	v_mul_f64 v[209:210], v[6:7], v[195:196]
	v_mul_f64 v[195:196], v[8:9], v[195:196]
	ds_load_b128 v[2:5], v1 offset:1504
	v_fma_f64 v[205:206], v[8:9], v[193:194], v[209:210]
	v_fma_f64 v[193:194], v[6:7], v[193:194], -v[195:196]
	ds_load_b128 v[6:9], v1 offset:1488
	s_waitcnt vmcnt(7) lgkmcnt(0)
	v_mul_f64 v[195:196], v[6:7], v[16:17]
	v_mul_f64 v[16:17], v[8:9], v[16:17]
	v_add_f64 v[40:41], v[40:41], v[205:206]
	v_add_f64 v[38:39], v[38:39], v[193:194]
	s_waitcnt vmcnt(6)
	v_mul_f64 v[193:194], v[2:3], v[20:21]
	v_mul_f64 v[20:21], v[4:5], v[20:21]
	v_fma_f64 v[195:196], v[8:9], v[14:15], v[195:196]
	v_fma_f64 v[14:15], v[6:7], v[14:15], -v[16:17]
	ds_load_b128 v[6:9], v1 offset:1520
	v_add_f64 v[16:17], v[38:39], v[203:204]
	v_add_f64 v[38:39], v[40:41], v[201:202]
	v_fma_f64 v[193:194], v[4:5], v[18:19], v[193:194]
	v_fma_f64 v[18:19], v[2:3], v[18:19], -v[20:21]
	ds_load_b128 v[2:5], v1 offset:1536
	s_waitcnt vmcnt(5) lgkmcnt(1)
	v_mul_f64 v[40:41], v[6:7], v[24:25]
	v_mul_f64 v[24:25], v[8:9], v[24:25]
	s_waitcnt vmcnt(4) lgkmcnt(0)
	v_mul_f64 v[20:21], v[2:3], v[28:29]
	v_mul_f64 v[28:29], v[4:5], v[28:29]
	v_add_f64 v[14:15], v[16:17], v[14:15]
	v_add_f64 v[16:17], v[38:39], v[195:196]
	v_fma_f64 v[38:39], v[8:9], v[22:23], v[40:41]
	v_fma_f64 v[22:23], v[6:7], v[22:23], -v[24:25]
	ds_load_b128 v[6:9], v1 offset:1552
	v_fma_f64 v[20:21], v[4:5], v[26:27], v[20:21]
	v_fma_f64 v[26:27], v[2:3], v[26:27], -v[28:29]
	ds_load_b128 v[2:5], v1 offset:1568
	s_waitcnt vmcnt(3) lgkmcnt(1)
	v_mul_f64 v[24:25], v[8:9], v[32:33]
	v_add_f64 v[14:15], v[14:15], v[18:19]
	v_add_f64 v[16:17], v[16:17], v[193:194]
	v_mul_f64 v[18:19], v[6:7], v[32:33]
	s_waitcnt vmcnt(2) lgkmcnt(0)
	v_mul_f64 v[28:29], v[4:5], v[36:37]
	v_fma_f64 v[24:25], v[6:7], v[30:31], -v[24:25]
	v_add_f64 v[14:15], v[14:15], v[22:23]
	v_add_f64 v[16:17], v[16:17], v[38:39]
	v_mul_f64 v[22:23], v[2:3], v[36:37]
	v_fma_f64 v[18:19], v[8:9], v[30:31], v[18:19]
	ds_load_b128 v[6:9], v1 offset:1584
	v_fma_f64 v[1:2], v[2:3], v[34:35], -v[28:29]
	v_add_f64 v[14:15], v[14:15], v[26:27]
	v_add_f64 v[16:17], v[16:17], v[20:21]
	s_waitcnt vmcnt(1) lgkmcnt(0)
	v_mul_f64 v[20:21], v[6:7], v[199:200]
	v_mul_f64 v[26:27], v[8:9], v[199:200]
	v_fma_f64 v[4:5], v[4:5], v[34:35], v[22:23]
	v_add_f64 v[14:15], v[14:15], v[24:25]
	v_add_f64 v[16:17], v[16:17], v[18:19]
	v_fma_f64 v[8:9], v[8:9], v[197:198], v[20:21]
	v_fma_f64 v[6:7], v[6:7], v[197:198], -v[26:27]
	s_delay_alu instid0(VALU_DEP_4) | instskip(NEXT) | instid1(VALU_DEP_4)
	v_add_f64 v[1:2], v[14:15], v[1:2]
	v_add_f64 v[3:4], v[16:17], v[4:5]
	s_delay_alu instid0(VALU_DEP_2) | instskip(NEXT) | instid1(VALU_DEP_2)
	v_add_f64 v[1:2], v[1:2], v[6:7]
	v_add_f64 v[3:4], v[3:4], v[8:9]
	s_waitcnt vmcnt(0)
	s_delay_alu instid0(VALU_DEP_2) | instskip(NEXT) | instid1(VALU_DEP_2)
	v_add_f64 v[1:2], v[10:11], -v[1:2]
	v_add_f64 v[3:4], v[12:13], -v[3:4]
	scratch_store_b128 off, v[1:4], off offset:304
	v_cmpx_lt_u32_e32 18, v142
	s_cbranch_execz .LBB113_277
; %bb.276:
	scratch_load_b128 v[1:4], v173, off
	v_mov_b32_e32 v5, 0
	s_delay_alu instid0(VALU_DEP_1)
	v_mov_b32_e32 v6, v5
	v_mov_b32_e32 v7, v5
	v_mov_b32_e32 v8, v5
	scratch_store_b128 off, v[5:8], off offset:288
	s_waitcnt vmcnt(0)
	ds_store_b128 v192, v[1:4]
.LBB113_277:
	s_or_b32 exec_lo, exec_lo, s2
	s_waitcnt lgkmcnt(0)
	s_waitcnt_vscnt null, 0x0
	s_barrier
	buffer_gl0_inv
	s_clause 0x7
	scratch_load_b128 v[2:5], off, off offset:304
	scratch_load_b128 v[6:9], off, off offset:320
	scratch_load_b128 v[10:13], off, off offset:336
	scratch_load_b128 v[14:17], off, off offset:352
	scratch_load_b128 v[18:21], off, off offset:368
	scratch_load_b128 v[22:25], off, off offset:384
	scratch_load_b128 v[26:29], off, off offset:400
	scratch_load_b128 v[30:33], off, off offset:416
	v_mov_b32_e32 v1, 0
	s_clause 0x1
	scratch_load_b128 v[34:37], off, off offset:432
	scratch_load_b128 v[197:200], off, off offset:448
	s_mov_b32 s2, exec_lo
	ds_load_b128 v[38:41], v1 offset:1104
	ds_load_b128 v[193:196], v1 offset:1120
	s_waitcnt vmcnt(9) lgkmcnt(1)
	v_mul_f64 v[201:202], v[40:41], v[4:5]
	v_mul_f64 v[4:5], v[38:39], v[4:5]
	s_waitcnt vmcnt(8) lgkmcnt(0)
	v_mul_f64 v[203:204], v[193:194], v[8:9]
	v_mul_f64 v[8:9], v[195:196], v[8:9]
	s_delay_alu instid0(VALU_DEP_4) | instskip(NEXT) | instid1(VALU_DEP_4)
	v_fma_f64 v[201:202], v[38:39], v[2:3], -v[201:202]
	v_fma_f64 v[205:206], v[40:41], v[2:3], v[4:5]
	ds_load_b128 v[2:5], v1 offset:1136
	scratch_load_b128 v[38:41], off, off offset:464
	v_fma_f64 v[203:204], v[195:196], v[6:7], v[203:204]
	v_fma_f64 v[209:210], v[193:194], v[6:7], -v[8:9]
	scratch_load_b128 v[193:196], off, off offset:480
	ds_load_b128 v[6:9], v1 offset:1152
	s_waitcnt vmcnt(9) lgkmcnt(1)
	v_mul_f64 v[207:208], v[2:3], v[12:13]
	v_mul_f64 v[12:13], v[4:5], v[12:13]
	s_waitcnt vmcnt(8) lgkmcnt(0)
	v_mul_f64 v[211:212], v[6:7], v[16:17]
	v_mul_f64 v[16:17], v[8:9], v[16:17]
	v_add_f64 v[201:202], v[201:202], 0
	v_add_f64 v[205:206], v[205:206], 0
	v_fma_f64 v[207:208], v[4:5], v[10:11], v[207:208]
	v_fma_f64 v[213:214], v[2:3], v[10:11], -v[12:13]
	ds_load_b128 v[2:5], v1 offset:1168
	scratch_load_b128 v[10:13], off, off offset:496
	v_add_f64 v[201:202], v[201:202], v[209:210]
	v_add_f64 v[203:204], v[205:206], v[203:204]
	v_fma_f64 v[209:210], v[8:9], v[14:15], v[211:212]
	v_fma_f64 v[211:212], v[6:7], v[14:15], -v[16:17]
	scratch_load_b128 v[14:17], off, off offset:512
	ds_load_b128 v[6:9], v1 offset:1184
	s_waitcnt vmcnt(9) lgkmcnt(1)
	v_mul_f64 v[205:206], v[2:3], v[20:21]
	v_mul_f64 v[20:21], v[4:5], v[20:21]
	v_add_f64 v[201:202], v[201:202], v[213:214]
	v_add_f64 v[203:204], v[203:204], v[207:208]
	s_waitcnt vmcnt(8) lgkmcnt(0)
	v_mul_f64 v[207:208], v[6:7], v[24:25]
	v_mul_f64 v[24:25], v[8:9], v[24:25]
	v_fma_f64 v[205:206], v[4:5], v[18:19], v[205:206]
	v_fma_f64 v[213:214], v[2:3], v[18:19], -v[20:21]
	ds_load_b128 v[2:5], v1 offset:1200
	scratch_load_b128 v[18:21], off, off offset:528
	v_add_f64 v[201:202], v[201:202], v[211:212]
	v_add_f64 v[203:204], v[203:204], v[209:210]
	v_fma_f64 v[207:208], v[8:9], v[22:23], v[207:208]
	v_fma_f64 v[211:212], v[6:7], v[22:23], -v[24:25]
	scratch_load_b128 v[22:25], off, off offset:544
	ds_load_b128 v[6:9], v1 offset:1216
	s_waitcnt vmcnt(9) lgkmcnt(1)
	v_mul_f64 v[209:210], v[2:3], v[28:29]
	v_mul_f64 v[28:29], v[4:5], v[28:29]
	v_add_f64 v[201:202], v[201:202], v[213:214]
	v_add_f64 v[203:204], v[203:204], v[205:206]
	s_waitcnt vmcnt(8) lgkmcnt(0)
	v_mul_f64 v[205:206], v[6:7], v[32:33]
	v_mul_f64 v[32:33], v[8:9], v[32:33]
	;; [unrolled: 18-line block ×6, first 2 shown]
	v_fma_f64 v[207:208], v[4:5], v[18:19], v[207:208]
	v_fma_f64 v[213:214], v[2:3], v[18:19], -v[20:21]
	ds_load_b128 v[2:5], v1 offset:1360
	scratch_load_b128 v[18:21], off, off offset:688
	v_add_f64 v[201:202], v[201:202], v[211:212]
	v_add_f64 v[203:204], v[203:204], v[205:206]
	v_fma_f64 v[209:210], v[8:9], v[22:23], v[209:210]
	v_fma_f64 v[211:212], v[6:7], v[22:23], -v[24:25]
	ds_load_b128 v[6:9], v1 offset:1376
	s_waitcnt vmcnt(8) lgkmcnt(1)
	v_mul_f64 v[205:206], v[2:3], v[28:29]
	v_mul_f64 v[28:29], v[4:5], v[28:29]
	scratch_load_b128 v[22:25], off, off offset:704
	v_add_f64 v[201:202], v[201:202], v[213:214]
	v_add_f64 v[203:204], v[203:204], v[207:208]
	s_waitcnt vmcnt(8) lgkmcnt(0)
	v_mul_f64 v[207:208], v[6:7], v[32:33]
	v_mul_f64 v[32:33], v[8:9], v[32:33]
	v_fma_f64 v[205:206], v[4:5], v[26:27], v[205:206]
	v_fma_f64 v[213:214], v[2:3], v[26:27], -v[28:29]
	scratch_load_b128 v[26:29], off, off offset:720
	ds_load_b128 v[2:5], v1 offset:1392
	v_add_f64 v[201:202], v[201:202], v[211:212]
	v_add_f64 v[203:204], v[203:204], v[209:210]
	v_fma_f64 v[207:208], v[8:9], v[30:31], v[207:208]
	v_fma_f64 v[211:212], v[6:7], v[30:31], -v[32:33]
	ds_load_b128 v[6:9], v1 offset:1408
	s_waitcnt vmcnt(8) lgkmcnt(1)
	v_mul_f64 v[209:210], v[2:3], v[36:37]
	v_mul_f64 v[36:37], v[4:5], v[36:37]
	scratch_load_b128 v[30:33], off, off offset:736
	v_add_f64 v[201:202], v[201:202], v[213:214]
	v_add_f64 v[203:204], v[203:204], v[205:206]
	s_waitcnt vmcnt(8) lgkmcnt(0)
	v_mul_f64 v[205:206], v[6:7], v[199:200]
	v_mul_f64 v[199:200], v[8:9], v[199:200]
	v_fma_f64 v[209:210], v[4:5], v[34:35], v[209:210]
	v_fma_f64 v[213:214], v[2:3], v[34:35], -v[36:37]
	scratch_load_b128 v[34:37], off, off offset:752
	ds_load_b128 v[2:5], v1 offset:1424
	;; [unrolled: 18-line block ×3, first 2 shown]
	v_add_f64 v[201:202], v[201:202], v[211:212]
	v_add_f64 v[203:204], v[203:204], v[205:206]
	v_fma_f64 v[209:210], v[8:9], v[193:194], v[209:210]
	v_fma_f64 v[193:194], v[6:7], v[193:194], -v[195:196]
	ds_load_b128 v[6:9], v1 offset:1472
	s_waitcnt vmcnt(8) lgkmcnt(1)
	v_mul_f64 v[205:206], v[2:3], v[12:13]
	v_mul_f64 v[12:13], v[4:5], v[12:13]
	v_add_f64 v[195:196], v[201:202], v[213:214]
	v_add_f64 v[201:202], v[203:204], v[207:208]
	s_waitcnt vmcnt(7) lgkmcnt(0)
	v_mul_f64 v[203:204], v[6:7], v[16:17]
	v_mul_f64 v[16:17], v[8:9], v[16:17]
	v_fma_f64 v[205:206], v[4:5], v[10:11], v[205:206]
	v_fma_f64 v[10:11], v[2:3], v[10:11], -v[12:13]
	ds_load_b128 v[2:5], v1 offset:1488
	v_add_f64 v[12:13], v[195:196], v[193:194]
	v_add_f64 v[193:194], v[201:202], v[209:210]
	v_fma_f64 v[201:202], v[8:9], v[14:15], v[203:204]
	v_fma_f64 v[14:15], v[6:7], v[14:15], -v[16:17]
	ds_load_b128 v[6:9], v1 offset:1504
	s_waitcnt vmcnt(5) lgkmcnt(0)
	v_mul_f64 v[203:204], v[6:7], v[24:25]
	v_mul_f64 v[24:25], v[8:9], v[24:25]
	v_add_f64 v[16:17], v[12:13], v[10:11]
	v_add_f64 v[193:194], v[193:194], v[205:206]
	scratch_load_b128 v[10:13], off, off offset:288
	v_mul_f64 v[195:196], v[2:3], v[20:21]
	v_mul_f64 v[20:21], v[4:5], v[20:21]
	v_add_f64 v[14:15], v[16:17], v[14:15]
	v_add_f64 v[16:17], v[193:194], v[201:202]
	v_fma_f64 v[193:194], v[8:9], v[22:23], v[203:204]
	v_fma_f64 v[195:196], v[4:5], v[18:19], v[195:196]
	v_fma_f64 v[18:19], v[2:3], v[18:19], -v[20:21]
	ds_load_b128 v[2:5], v1 offset:1520
	v_fma_f64 v[22:23], v[6:7], v[22:23], -v[24:25]
	ds_load_b128 v[6:9], v1 offset:1536
	s_waitcnt vmcnt(5) lgkmcnt(1)
	v_mul_f64 v[20:21], v[2:3], v[28:29]
	v_mul_f64 v[28:29], v[4:5], v[28:29]
	s_waitcnt vmcnt(4) lgkmcnt(0)
	v_mul_f64 v[24:25], v[8:9], v[32:33]
	v_add_f64 v[16:17], v[16:17], v[195:196]
	v_add_f64 v[14:15], v[14:15], v[18:19]
	v_mul_f64 v[18:19], v[6:7], v[32:33]
	v_fma_f64 v[20:21], v[4:5], v[26:27], v[20:21]
	v_fma_f64 v[26:27], v[2:3], v[26:27], -v[28:29]
	ds_load_b128 v[2:5], v1 offset:1552
	v_fma_f64 v[24:25], v[6:7], v[30:31], -v[24:25]
	v_add_f64 v[16:17], v[16:17], v[193:194]
	v_add_f64 v[14:15], v[14:15], v[22:23]
	v_fma_f64 v[18:19], v[8:9], v[30:31], v[18:19]
	ds_load_b128 v[6:9], v1 offset:1568
	s_waitcnt vmcnt(3) lgkmcnt(1)
	v_mul_f64 v[22:23], v[2:3], v[36:37]
	v_mul_f64 v[28:29], v[4:5], v[36:37]
	v_add_f64 v[16:17], v[16:17], v[20:21]
	v_add_f64 v[14:15], v[14:15], v[26:27]
	s_waitcnt vmcnt(2) lgkmcnt(0)
	v_mul_f64 v[20:21], v[6:7], v[199:200]
	v_mul_f64 v[26:27], v[8:9], v[199:200]
	v_fma_f64 v[22:23], v[4:5], v[34:35], v[22:23]
	v_fma_f64 v[28:29], v[2:3], v[34:35], -v[28:29]
	ds_load_b128 v[2:5], v1 offset:1584
	v_add_f64 v[16:17], v[16:17], v[18:19]
	v_add_f64 v[14:15], v[14:15], v[24:25]
	s_waitcnt vmcnt(1) lgkmcnt(0)
	v_mul_f64 v[18:19], v[2:3], v[40:41]
	v_mul_f64 v[24:25], v[4:5], v[40:41]
	v_fma_f64 v[8:9], v[8:9], v[197:198], v[20:21]
	v_fma_f64 v[6:7], v[6:7], v[197:198], -v[26:27]
	v_add_f64 v[16:17], v[16:17], v[22:23]
	v_add_f64 v[14:15], v[14:15], v[28:29]
	v_fma_f64 v[4:5], v[4:5], v[38:39], v[18:19]
	v_fma_f64 v[2:3], v[2:3], v[38:39], -v[24:25]
	s_delay_alu instid0(VALU_DEP_4) | instskip(NEXT) | instid1(VALU_DEP_4)
	v_add_f64 v[8:9], v[16:17], v[8:9]
	v_add_f64 v[6:7], v[14:15], v[6:7]
	s_delay_alu instid0(VALU_DEP_2) | instskip(NEXT) | instid1(VALU_DEP_2)
	v_add_f64 v[4:5], v[8:9], v[4:5]
	v_add_f64 v[2:3], v[6:7], v[2:3]
	s_waitcnt vmcnt(0)
	s_delay_alu instid0(VALU_DEP_2) | instskip(NEXT) | instid1(VALU_DEP_2)
	v_add_f64 v[4:5], v[12:13], -v[4:5]
	v_add_f64 v[2:3], v[10:11], -v[2:3]
	scratch_store_b128 off, v[2:5], off offset:288
	v_cmpx_lt_u32_e32 17, v142
	s_cbranch_execz .LBB113_279
; %bb.278:
	scratch_load_b128 v[5:8], v175, off
	v_mov_b32_e32 v2, v1
	v_mov_b32_e32 v3, v1
	;; [unrolled: 1-line block ×3, first 2 shown]
	scratch_store_b128 off, v[1:4], off offset:272
	s_waitcnt vmcnt(0)
	ds_store_b128 v192, v[5:8]
.LBB113_279:
	s_or_b32 exec_lo, exec_lo, s2
	s_waitcnt lgkmcnt(0)
	s_waitcnt_vscnt null, 0x0
	s_barrier
	buffer_gl0_inv
	s_clause 0x7
	scratch_load_b128 v[2:5], off, off offset:288
	scratch_load_b128 v[6:9], off, off offset:304
	;; [unrolled: 1-line block ×8, first 2 shown]
	ds_load_b128 v[38:41], v1 offset:1088
	ds_load_b128 v[193:196], v1 offset:1104
	s_clause 0x1
	scratch_load_b128 v[34:37], off, off offset:416
	scratch_load_b128 v[197:200], off, off offset:432
	s_mov_b32 s2, exec_lo
	s_waitcnt vmcnt(9) lgkmcnt(1)
	v_mul_f64 v[201:202], v[40:41], v[4:5]
	v_mul_f64 v[4:5], v[38:39], v[4:5]
	s_waitcnt vmcnt(8) lgkmcnt(0)
	v_mul_f64 v[203:204], v[193:194], v[8:9]
	v_mul_f64 v[8:9], v[195:196], v[8:9]
	s_delay_alu instid0(VALU_DEP_4) | instskip(NEXT) | instid1(VALU_DEP_4)
	v_fma_f64 v[201:202], v[38:39], v[2:3], -v[201:202]
	v_fma_f64 v[205:206], v[40:41], v[2:3], v[4:5]
	ds_load_b128 v[2:5], v1 offset:1120
	scratch_load_b128 v[38:41], off, off offset:448
	v_fma_f64 v[203:204], v[195:196], v[6:7], v[203:204]
	v_fma_f64 v[209:210], v[193:194], v[6:7], -v[8:9]
	scratch_load_b128 v[193:196], off, off offset:464
	ds_load_b128 v[6:9], v1 offset:1136
	s_waitcnt vmcnt(9) lgkmcnt(1)
	v_mul_f64 v[207:208], v[2:3], v[12:13]
	v_mul_f64 v[12:13], v[4:5], v[12:13]
	s_waitcnt vmcnt(8) lgkmcnt(0)
	v_mul_f64 v[211:212], v[6:7], v[16:17]
	v_mul_f64 v[16:17], v[8:9], v[16:17]
	v_add_f64 v[201:202], v[201:202], 0
	v_add_f64 v[205:206], v[205:206], 0
	v_fma_f64 v[207:208], v[4:5], v[10:11], v[207:208]
	v_fma_f64 v[213:214], v[2:3], v[10:11], -v[12:13]
	ds_load_b128 v[2:5], v1 offset:1152
	scratch_load_b128 v[10:13], off, off offset:480
	v_add_f64 v[201:202], v[201:202], v[209:210]
	v_add_f64 v[203:204], v[205:206], v[203:204]
	v_fma_f64 v[209:210], v[8:9], v[14:15], v[211:212]
	v_fma_f64 v[211:212], v[6:7], v[14:15], -v[16:17]
	scratch_load_b128 v[14:17], off, off offset:496
	ds_load_b128 v[6:9], v1 offset:1168
	s_waitcnt vmcnt(9) lgkmcnt(1)
	v_mul_f64 v[205:206], v[2:3], v[20:21]
	v_mul_f64 v[20:21], v[4:5], v[20:21]
	v_add_f64 v[201:202], v[201:202], v[213:214]
	v_add_f64 v[203:204], v[203:204], v[207:208]
	s_waitcnt vmcnt(8) lgkmcnt(0)
	v_mul_f64 v[207:208], v[6:7], v[24:25]
	v_mul_f64 v[24:25], v[8:9], v[24:25]
	v_fma_f64 v[205:206], v[4:5], v[18:19], v[205:206]
	v_fma_f64 v[213:214], v[2:3], v[18:19], -v[20:21]
	ds_load_b128 v[2:5], v1 offset:1184
	scratch_load_b128 v[18:21], off, off offset:512
	v_add_f64 v[201:202], v[201:202], v[211:212]
	v_add_f64 v[203:204], v[203:204], v[209:210]
	v_fma_f64 v[207:208], v[8:9], v[22:23], v[207:208]
	v_fma_f64 v[211:212], v[6:7], v[22:23], -v[24:25]
	scratch_load_b128 v[22:25], off, off offset:528
	ds_load_b128 v[6:9], v1 offset:1200
	s_waitcnt vmcnt(9) lgkmcnt(1)
	v_mul_f64 v[209:210], v[2:3], v[28:29]
	v_mul_f64 v[28:29], v[4:5], v[28:29]
	v_add_f64 v[201:202], v[201:202], v[213:214]
	v_add_f64 v[203:204], v[203:204], v[205:206]
	s_waitcnt vmcnt(8) lgkmcnt(0)
	v_mul_f64 v[205:206], v[6:7], v[32:33]
	v_mul_f64 v[32:33], v[8:9], v[32:33]
	;; [unrolled: 18-line block ×6, first 2 shown]
	v_fma_f64 v[207:208], v[4:5], v[18:19], v[207:208]
	v_fma_f64 v[213:214], v[2:3], v[18:19], -v[20:21]
	ds_load_b128 v[2:5], v1 offset:1344
	scratch_load_b128 v[18:21], off, off offset:672
	v_add_f64 v[201:202], v[201:202], v[211:212]
	v_add_f64 v[203:204], v[203:204], v[205:206]
	v_fma_f64 v[209:210], v[8:9], v[22:23], v[209:210]
	v_fma_f64 v[211:212], v[6:7], v[22:23], -v[24:25]
	ds_load_b128 v[6:9], v1 offset:1360
	s_waitcnt vmcnt(8) lgkmcnt(1)
	v_mul_f64 v[205:206], v[2:3], v[28:29]
	v_mul_f64 v[28:29], v[4:5], v[28:29]
	scratch_load_b128 v[22:25], off, off offset:688
	v_add_f64 v[201:202], v[201:202], v[213:214]
	v_add_f64 v[203:204], v[203:204], v[207:208]
	s_waitcnt vmcnt(8) lgkmcnt(0)
	v_mul_f64 v[207:208], v[6:7], v[32:33]
	v_mul_f64 v[32:33], v[8:9], v[32:33]
	v_fma_f64 v[205:206], v[4:5], v[26:27], v[205:206]
	v_fma_f64 v[213:214], v[2:3], v[26:27], -v[28:29]
	ds_load_b128 v[2:5], v1 offset:1376
	scratch_load_b128 v[26:29], off, off offset:704
	v_add_f64 v[201:202], v[201:202], v[211:212]
	v_add_f64 v[203:204], v[203:204], v[209:210]
	v_fma_f64 v[207:208], v[8:9], v[30:31], v[207:208]
	v_fma_f64 v[211:212], v[6:7], v[30:31], -v[32:33]
	ds_load_b128 v[6:9], v1 offset:1392
	s_waitcnt vmcnt(8) lgkmcnt(1)
	v_mul_f64 v[209:210], v[2:3], v[36:37]
	v_mul_f64 v[36:37], v[4:5], v[36:37]
	scratch_load_b128 v[30:33], off, off offset:720
	v_add_f64 v[201:202], v[201:202], v[213:214]
	v_add_f64 v[203:204], v[203:204], v[205:206]
	s_waitcnt vmcnt(8) lgkmcnt(0)
	v_mul_f64 v[205:206], v[6:7], v[199:200]
	v_mul_f64 v[199:200], v[8:9], v[199:200]
	v_fma_f64 v[209:210], v[4:5], v[34:35], v[209:210]
	v_fma_f64 v[213:214], v[2:3], v[34:35], -v[36:37]
	scratch_load_b128 v[34:37], off, off offset:736
	ds_load_b128 v[2:5], v1 offset:1408
	v_add_f64 v[201:202], v[201:202], v[211:212]
	v_add_f64 v[203:204], v[203:204], v[207:208]
	v_fma_f64 v[205:206], v[8:9], v[197:198], v[205:206]
	v_fma_f64 v[211:212], v[6:7], v[197:198], -v[199:200]
	ds_load_b128 v[6:9], v1 offset:1424
	s_waitcnt vmcnt(8) lgkmcnt(1)
	v_mul_f64 v[207:208], v[2:3], v[40:41]
	v_mul_f64 v[40:41], v[4:5], v[40:41]
	scratch_load_b128 v[197:200], off, off offset:752
	v_add_f64 v[201:202], v[201:202], v[213:214]
	v_add_f64 v[203:204], v[203:204], v[209:210]
	s_waitcnt vmcnt(8) lgkmcnt(0)
	v_mul_f64 v[209:210], v[6:7], v[195:196]
	v_mul_f64 v[195:196], v[8:9], v[195:196]
	v_fma_f64 v[207:208], v[4:5], v[38:39], v[207:208]
	v_fma_f64 v[213:214], v[2:3], v[38:39], -v[40:41]
	scratch_load_b128 v[38:41], off, off offset:768
	ds_load_b128 v[2:5], v1 offset:1440
	v_add_f64 v[201:202], v[201:202], v[211:212]
	v_add_f64 v[203:204], v[203:204], v[205:206]
	v_fma_f64 v[209:210], v[8:9], v[193:194], v[209:210]
	v_fma_f64 v[211:212], v[6:7], v[193:194], -v[195:196]
	ds_load_b128 v[6:9], v1 offset:1456
	s_waitcnt vmcnt(8) lgkmcnt(1)
	v_mul_f64 v[205:206], v[2:3], v[12:13]
	v_mul_f64 v[12:13], v[4:5], v[12:13]
	scratch_load_b128 v[193:196], off, off offset:784
	v_add_f64 v[201:202], v[201:202], v[213:214]
	v_add_f64 v[203:204], v[203:204], v[207:208]
	s_waitcnt vmcnt(8) lgkmcnt(0)
	v_mul_f64 v[207:208], v[6:7], v[16:17]
	v_mul_f64 v[16:17], v[8:9], v[16:17]
	v_fma_f64 v[205:206], v[4:5], v[10:11], v[205:206]
	v_fma_f64 v[10:11], v[2:3], v[10:11], -v[12:13]
	ds_load_b128 v[2:5], v1 offset:1472
	v_add_f64 v[12:13], v[201:202], v[211:212]
	v_add_f64 v[201:202], v[203:204], v[209:210]
	v_fma_f64 v[207:208], v[8:9], v[14:15], v[207:208]
	v_fma_f64 v[14:15], v[6:7], v[14:15], -v[16:17]
	ds_load_b128 v[6:9], v1 offset:1488
	s_waitcnt vmcnt(7) lgkmcnt(1)
	v_mul_f64 v[203:204], v[2:3], v[20:21]
	v_mul_f64 v[20:21], v[4:5], v[20:21]
	v_add_f64 v[10:11], v[12:13], v[10:11]
	v_add_f64 v[12:13], v[201:202], v[205:206]
	s_delay_alu instid0(VALU_DEP_4) | instskip(NEXT) | instid1(VALU_DEP_4)
	v_fma_f64 v[201:202], v[4:5], v[18:19], v[203:204]
	v_fma_f64 v[18:19], v[2:3], v[18:19], -v[20:21]
	ds_load_b128 v[2:5], v1 offset:1504
	v_add_f64 v[14:15], v[10:11], v[14:15]
	v_add_f64 v[20:21], v[12:13], v[207:208]
	scratch_load_b128 v[10:13], off, off offset:272
	s_waitcnt vmcnt(7) lgkmcnt(1)
	v_mul_f64 v[16:17], v[6:7], v[24:25]
	v_mul_f64 v[24:25], v[8:9], v[24:25]
	v_add_f64 v[14:15], v[14:15], v[18:19]
	v_add_f64 v[18:19], v[20:21], v[201:202]
	s_delay_alu instid0(VALU_DEP_4) | instskip(NEXT) | instid1(VALU_DEP_4)
	v_fma_f64 v[16:17], v[8:9], v[22:23], v[16:17]
	v_fma_f64 v[22:23], v[6:7], v[22:23], -v[24:25]
	ds_load_b128 v[6:9], v1 offset:1520
	s_waitcnt vmcnt(6) lgkmcnt(1)
	v_mul_f64 v[203:204], v[2:3], v[28:29]
	v_mul_f64 v[28:29], v[4:5], v[28:29]
	s_waitcnt vmcnt(5) lgkmcnt(0)
	v_mul_f64 v[20:21], v[6:7], v[32:33]
	v_mul_f64 v[24:25], v[8:9], v[32:33]
	v_add_f64 v[16:17], v[18:19], v[16:17]
	v_add_f64 v[14:15], v[14:15], v[22:23]
	v_fma_f64 v[32:33], v[4:5], v[26:27], v[203:204]
	v_fma_f64 v[26:27], v[2:3], v[26:27], -v[28:29]
	ds_load_b128 v[2:5], v1 offset:1536
	v_fma_f64 v[20:21], v[8:9], v[30:31], v[20:21]
	v_fma_f64 v[24:25], v[6:7], v[30:31], -v[24:25]
	ds_load_b128 v[6:9], v1 offset:1552
	s_waitcnt vmcnt(4) lgkmcnt(1)
	v_mul_f64 v[18:19], v[2:3], v[36:37]
	v_mul_f64 v[22:23], v[4:5], v[36:37]
	v_add_f64 v[16:17], v[16:17], v[32:33]
	v_add_f64 v[14:15], v[14:15], v[26:27]
	s_waitcnt vmcnt(3) lgkmcnt(0)
	v_mul_f64 v[26:27], v[6:7], v[199:200]
	v_mul_f64 v[28:29], v[8:9], v[199:200]
	v_fma_f64 v[18:19], v[4:5], v[34:35], v[18:19]
	v_fma_f64 v[22:23], v[2:3], v[34:35], -v[22:23]
	ds_load_b128 v[2:5], v1 offset:1568
	v_add_f64 v[16:17], v[16:17], v[20:21]
	v_add_f64 v[14:15], v[14:15], v[24:25]
	v_fma_f64 v[26:27], v[8:9], v[197:198], v[26:27]
	v_fma_f64 v[28:29], v[6:7], v[197:198], -v[28:29]
	ds_load_b128 v[6:9], v1 offset:1584
	s_waitcnt vmcnt(2) lgkmcnt(1)
	v_mul_f64 v[20:21], v[2:3], v[40:41]
	v_mul_f64 v[24:25], v[4:5], v[40:41]
	v_add_f64 v[16:17], v[16:17], v[18:19]
	v_add_f64 v[14:15], v[14:15], v[22:23]
	s_waitcnt vmcnt(1) lgkmcnt(0)
	v_mul_f64 v[18:19], v[6:7], v[195:196]
	v_mul_f64 v[22:23], v[8:9], v[195:196]
	v_fma_f64 v[4:5], v[4:5], v[38:39], v[20:21]
	v_fma_f64 v[1:2], v[2:3], v[38:39], -v[24:25]
	v_add_f64 v[16:17], v[16:17], v[26:27]
	v_add_f64 v[14:15], v[14:15], v[28:29]
	v_fma_f64 v[8:9], v[8:9], v[193:194], v[18:19]
	v_fma_f64 v[6:7], v[6:7], v[193:194], -v[22:23]
	s_delay_alu instid0(VALU_DEP_4) | instskip(NEXT) | instid1(VALU_DEP_4)
	v_add_f64 v[3:4], v[16:17], v[4:5]
	v_add_f64 v[1:2], v[14:15], v[1:2]
	s_delay_alu instid0(VALU_DEP_2) | instskip(NEXT) | instid1(VALU_DEP_2)
	v_add_f64 v[3:4], v[3:4], v[8:9]
	v_add_f64 v[1:2], v[1:2], v[6:7]
	s_waitcnt vmcnt(0)
	s_delay_alu instid0(VALU_DEP_2) | instskip(NEXT) | instid1(VALU_DEP_2)
	v_add_f64 v[3:4], v[12:13], -v[3:4]
	v_add_f64 v[1:2], v[10:11], -v[1:2]
	scratch_store_b128 off, v[1:4], off offset:272
	v_cmpx_lt_u32_e32 16, v142
	s_cbranch_execz .LBB113_281
; %bb.280:
	scratch_load_b128 v[1:4], v176, off
	v_mov_b32_e32 v5, 0
	s_delay_alu instid0(VALU_DEP_1)
	v_mov_b32_e32 v6, v5
	v_mov_b32_e32 v7, v5
	;; [unrolled: 1-line block ×3, first 2 shown]
	scratch_store_b128 off, v[5:8], off offset:256
	s_waitcnt vmcnt(0)
	ds_store_b128 v192, v[1:4]
.LBB113_281:
	s_or_b32 exec_lo, exec_lo, s2
	s_waitcnt lgkmcnt(0)
	s_waitcnt_vscnt null, 0x0
	s_barrier
	buffer_gl0_inv
	s_clause 0x7
	scratch_load_b128 v[2:5], off, off offset:272
	scratch_load_b128 v[6:9], off, off offset:288
	;; [unrolled: 1-line block ×8, first 2 shown]
	v_mov_b32_e32 v1, 0
	s_clause 0x1
	scratch_load_b128 v[34:37], off, off offset:400
	scratch_load_b128 v[197:200], off, off offset:416
	s_mov_b32 s2, exec_lo
	ds_load_b128 v[38:41], v1 offset:1072
	ds_load_b128 v[193:196], v1 offset:1088
	s_waitcnt vmcnt(9) lgkmcnt(1)
	v_mul_f64 v[201:202], v[40:41], v[4:5]
	v_mul_f64 v[4:5], v[38:39], v[4:5]
	s_waitcnt vmcnt(8) lgkmcnt(0)
	v_mul_f64 v[203:204], v[193:194], v[8:9]
	v_mul_f64 v[8:9], v[195:196], v[8:9]
	s_delay_alu instid0(VALU_DEP_4) | instskip(NEXT) | instid1(VALU_DEP_4)
	v_fma_f64 v[201:202], v[38:39], v[2:3], -v[201:202]
	v_fma_f64 v[205:206], v[40:41], v[2:3], v[4:5]
	ds_load_b128 v[2:5], v1 offset:1104
	scratch_load_b128 v[38:41], off, off offset:432
	v_fma_f64 v[203:204], v[195:196], v[6:7], v[203:204]
	v_fma_f64 v[209:210], v[193:194], v[6:7], -v[8:9]
	scratch_load_b128 v[193:196], off, off offset:448
	ds_load_b128 v[6:9], v1 offset:1120
	s_waitcnt vmcnt(9) lgkmcnt(1)
	v_mul_f64 v[207:208], v[2:3], v[12:13]
	v_mul_f64 v[12:13], v[4:5], v[12:13]
	s_waitcnt vmcnt(8) lgkmcnt(0)
	v_mul_f64 v[211:212], v[6:7], v[16:17]
	v_mul_f64 v[16:17], v[8:9], v[16:17]
	v_add_f64 v[201:202], v[201:202], 0
	v_add_f64 v[205:206], v[205:206], 0
	v_fma_f64 v[207:208], v[4:5], v[10:11], v[207:208]
	v_fma_f64 v[213:214], v[2:3], v[10:11], -v[12:13]
	ds_load_b128 v[2:5], v1 offset:1136
	scratch_load_b128 v[10:13], off, off offset:464
	v_add_f64 v[201:202], v[201:202], v[209:210]
	v_add_f64 v[203:204], v[205:206], v[203:204]
	v_fma_f64 v[209:210], v[8:9], v[14:15], v[211:212]
	v_fma_f64 v[211:212], v[6:7], v[14:15], -v[16:17]
	scratch_load_b128 v[14:17], off, off offset:480
	ds_load_b128 v[6:9], v1 offset:1152
	s_waitcnt vmcnt(9) lgkmcnt(1)
	v_mul_f64 v[205:206], v[2:3], v[20:21]
	v_mul_f64 v[20:21], v[4:5], v[20:21]
	v_add_f64 v[201:202], v[201:202], v[213:214]
	v_add_f64 v[203:204], v[203:204], v[207:208]
	s_waitcnt vmcnt(8) lgkmcnt(0)
	v_mul_f64 v[207:208], v[6:7], v[24:25]
	v_mul_f64 v[24:25], v[8:9], v[24:25]
	v_fma_f64 v[205:206], v[4:5], v[18:19], v[205:206]
	v_fma_f64 v[213:214], v[2:3], v[18:19], -v[20:21]
	ds_load_b128 v[2:5], v1 offset:1168
	scratch_load_b128 v[18:21], off, off offset:496
	v_add_f64 v[201:202], v[201:202], v[211:212]
	v_add_f64 v[203:204], v[203:204], v[209:210]
	v_fma_f64 v[207:208], v[8:9], v[22:23], v[207:208]
	v_fma_f64 v[211:212], v[6:7], v[22:23], -v[24:25]
	scratch_load_b128 v[22:25], off, off offset:512
	ds_load_b128 v[6:9], v1 offset:1184
	s_waitcnt vmcnt(9) lgkmcnt(1)
	v_mul_f64 v[209:210], v[2:3], v[28:29]
	v_mul_f64 v[28:29], v[4:5], v[28:29]
	v_add_f64 v[201:202], v[201:202], v[213:214]
	v_add_f64 v[203:204], v[203:204], v[205:206]
	s_waitcnt vmcnt(8) lgkmcnt(0)
	v_mul_f64 v[205:206], v[6:7], v[32:33]
	v_mul_f64 v[32:33], v[8:9], v[32:33]
	;; [unrolled: 18-line block ×7, first 2 shown]
	v_fma_f64 v[205:206], v[4:5], v[26:27], v[205:206]
	v_fma_f64 v[213:214], v[2:3], v[26:27], -v[28:29]
	ds_load_b128 v[2:5], v1 offset:1360
	scratch_load_b128 v[26:29], off, off offset:688
	v_add_f64 v[201:202], v[201:202], v[211:212]
	v_add_f64 v[203:204], v[203:204], v[209:210]
	v_fma_f64 v[207:208], v[8:9], v[30:31], v[207:208]
	v_fma_f64 v[211:212], v[6:7], v[30:31], -v[32:33]
	ds_load_b128 v[6:9], v1 offset:1376
	s_waitcnt vmcnt(8) lgkmcnt(1)
	v_mul_f64 v[209:210], v[2:3], v[36:37]
	v_mul_f64 v[36:37], v[4:5], v[36:37]
	scratch_load_b128 v[30:33], off, off offset:704
	v_add_f64 v[201:202], v[201:202], v[213:214]
	v_add_f64 v[203:204], v[203:204], v[205:206]
	s_waitcnt vmcnt(8) lgkmcnt(0)
	v_mul_f64 v[205:206], v[6:7], v[199:200]
	v_mul_f64 v[199:200], v[8:9], v[199:200]
	v_fma_f64 v[209:210], v[4:5], v[34:35], v[209:210]
	v_fma_f64 v[213:214], v[2:3], v[34:35], -v[36:37]
	scratch_load_b128 v[34:37], off, off offset:720
	ds_load_b128 v[2:5], v1 offset:1392
	v_add_f64 v[201:202], v[201:202], v[211:212]
	v_add_f64 v[203:204], v[203:204], v[207:208]
	v_fma_f64 v[205:206], v[8:9], v[197:198], v[205:206]
	v_fma_f64 v[211:212], v[6:7], v[197:198], -v[199:200]
	ds_load_b128 v[6:9], v1 offset:1408
	s_waitcnt vmcnt(8) lgkmcnt(1)
	v_mul_f64 v[207:208], v[2:3], v[40:41]
	v_mul_f64 v[40:41], v[4:5], v[40:41]
	scratch_load_b128 v[197:200], off, off offset:736
	v_add_f64 v[201:202], v[201:202], v[213:214]
	v_add_f64 v[203:204], v[203:204], v[209:210]
	s_waitcnt vmcnt(8) lgkmcnt(0)
	v_mul_f64 v[209:210], v[6:7], v[195:196]
	v_mul_f64 v[195:196], v[8:9], v[195:196]
	v_fma_f64 v[207:208], v[4:5], v[38:39], v[207:208]
	v_fma_f64 v[213:214], v[2:3], v[38:39], -v[40:41]
	scratch_load_b128 v[38:41], off, off offset:752
	ds_load_b128 v[2:5], v1 offset:1424
	;; [unrolled: 18-line block ×3, first 2 shown]
	v_add_f64 v[201:202], v[201:202], v[211:212]
	v_add_f64 v[203:204], v[203:204], v[209:210]
	v_fma_f64 v[207:208], v[8:9], v[14:15], v[207:208]
	v_fma_f64 v[14:15], v[6:7], v[14:15], -v[16:17]
	ds_load_b128 v[6:9], v1 offset:1472
	s_waitcnt vmcnt(8) lgkmcnt(1)
	v_mul_f64 v[209:210], v[2:3], v[20:21]
	v_mul_f64 v[20:21], v[4:5], v[20:21]
	v_add_f64 v[16:17], v[201:202], v[213:214]
	v_add_f64 v[201:202], v[203:204], v[205:206]
	s_waitcnt vmcnt(7) lgkmcnt(0)
	v_mul_f64 v[203:204], v[6:7], v[24:25]
	v_mul_f64 v[24:25], v[8:9], v[24:25]
	v_fma_f64 v[205:206], v[4:5], v[18:19], v[209:210]
	v_fma_f64 v[18:19], v[2:3], v[18:19], -v[20:21]
	ds_load_b128 v[2:5], v1 offset:1488
	v_add_f64 v[14:15], v[16:17], v[14:15]
	v_add_f64 v[16:17], v[201:202], v[207:208]
	v_fma_f64 v[201:202], v[8:9], v[22:23], v[203:204]
	v_fma_f64 v[22:23], v[6:7], v[22:23], -v[24:25]
	ds_load_b128 v[6:9], v1 offset:1504
	s_waitcnt vmcnt(5) lgkmcnt(0)
	v_mul_f64 v[203:204], v[6:7], v[32:33]
	v_mul_f64 v[32:33], v[8:9], v[32:33]
	v_add_f64 v[18:19], v[14:15], v[18:19]
	v_add_f64 v[24:25], v[16:17], v[205:206]
	scratch_load_b128 v[14:17], off, off offset:256
	v_mul_f64 v[20:21], v[2:3], v[28:29]
	v_mul_f64 v[28:29], v[4:5], v[28:29]
	v_add_f64 v[18:19], v[18:19], v[22:23]
	v_add_f64 v[22:23], v[24:25], v[201:202]
	s_delay_alu instid0(VALU_DEP_4) | instskip(NEXT) | instid1(VALU_DEP_4)
	v_fma_f64 v[20:21], v[4:5], v[26:27], v[20:21]
	v_fma_f64 v[26:27], v[2:3], v[26:27], -v[28:29]
	ds_load_b128 v[2:5], v1 offset:1520
	s_waitcnt vmcnt(5) lgkmcnt(0)
	v_mul_f64 v[24:25], v[2:3], v[36:37]
	v_mul_f64 v[28:29], v[4:5], v[36:37]
	v_fma_f64 v[36:37], v[8:9], v[30:31], v[203:204]
	v_fma_f64 v[30:31], v[6:7], v[30:31], -v[32:33]
	ds_load_b128 v[6:9], v1 offset:1536
	v_add_f64 v[20:21], v[22:23], v[20:21]
	v_add_f64 v[18:19], v[18:19], v[26:27]
	v_fma_f64 v[24:25], v[4:5], v[34:35], v[24:25]
	v_fma_f64 v[28:29], v[2:3], v[34:35], -v[28:29]
	ds_load_b128 v[2:5], v1 offset:1552
	s_waitcnt vmcnt(4) lgkmcnt(1)
	v_mul_f64 v[22:23], v[6:7], v[199:200]
	v_mul_f64 v[26:27], v[8:9], v[199:200]
	v_add_f64 v[20:21], v[20:21], v[36:37]
	v_add_f64 v[18:19], v[18:19], v[30:31]
	s_waitcnt vmcnt(3) lgkmcnt(0)
	v_mul_f64 v[30:31], v[2:3], v[40:41]
	v_mul_f64 v[32:33], v[4:5], v[40:41]
	v_fma_f64 v[22:23], v[8:9], v[197:198], v[22:23]
	v_fma_f64 v[26:27], v[6:7], v[197:198], -v[26:27]
	ds_load_b128 v[6:9], v1 offset:1568
	v_add_f64 v[20:21], v[20:21], v[24:25]
	v_add_f64 v[18:19], v[18:19], v[28:29]
	v_fma_f64 v[30:31], v[4:5], v[38:39], v[30:31]
	v_fma_f64 v[32:33], v[2:3], v[38:39], -v[32:33]
	ds_load_b128 v[2:5], v1 offset:1584
	s_waitcnt vmcnt(2) lgkmcnt(1)
	v_mul_f64 v[24:25], v[6:7], v[195:196]
	v_mul_f64 v[28:29], v[8:9], v[195:196]
	v_add_f64 v[20:21], v[20:21], v[22:23]
	v_add_f64 v[18:19], v[18:19], v[26:27]
	s_waitcnt vmcnt(1) lgkmcnt(0)
	v_mul_f64 v[22:23], v[2:3], v[12:13]
	v_mul_f64 v[12:13], v[4:5], v[12:13]
	v_fma_f64 v[8:9], v[8:9], v[193:194], v[24:25]
	v_fma_f64 v[6:7], v[6:7], v[193:194], -v[28:29]
	v_add_f64 v[20:21], v[20:21], v[30:31]
	v_add_f64 v[18:19], v[18:19], v[32:33]
	v_fma_f64 v[4:5], v[4:5], v[10:11], v[22:23]
	v_fma_f64 v[2:3], v[2:3], v[10:11], -v[12:13]
	s_delay_alu instid0(VALU_DEP_4) | instskip(NEXT) | instid1(VALU_DEP_4)
	v_add_f64 v[8:9], v[20:21], v[8:9]
	v_add_f64 v[6:7], v[18:19], v[6:7]
	s_delay_alu instid0(VALU_DEP_2) | instskip(NEXT) | instid1(VALU_DEP_2)
	v_add_f64 v[4:5], v[8:9], v[4:5]
	v_add_f64 v[2:3], v[6:7], v[2:3]
	s_waitcnt vmcnt(0)
	s_delay_alu instid0(VALU_DEP_2) | instskip(NEXT) | instid1(VALU_DEP_2)
	v_add_f64 v[4:5], v[16:17], -v[4:5]
	v_add_f64 v[2:3], v[14:15], -v[2:3]
	scratch_store_b128 off, v[2:5], off offset:256
	v_cmpx_lt_u32_e32 15, v142
	s_cbranch_execz .LBB113_283
; %bb.282:
	scratch_load_b128 v[5:8], v177, off
	v_mov_b32_e32 v2, v1
	v_mov_b32_e32 v3, v1
	;; [unrolled: 1-line block ×3, first 2 shown]
	scratch_store_b128 off, v[1:4], off offset:240
	s_waitcnt vmcnt(0)
	ds_store_b128 v192, v[5:8]
.LBB113_283:
	s_or_b32 exec_lo, exec_lo, s2
	s_waitcnt lgkmcnt(0)
	s_waitcnt_vscnt null, 0x0
	s_barrier
	buffer_gl0_inv
	s_clause 0x7
	scratch_load_b128 v[2:5], off, off offset:256
	scratch_load_b128 v[6:9], off, off offset:272
	;; [unrolled: 1-line block ×8, first 2 shown]
	ds_load_b128 v[38:41], v1 offset:1056
	ds_load_b128 v[193:196], v1 offset:1072
	s_clause 0x1
	scratch_load_b128 v[34:37], off, off offset:384
	scratch_load_b128 v[197:200], off, off offset:400
	s_mov_b32 s2, exec_lo
	s_waitcnt vmcnt(9) lgkmcnt(1)
	v_mul_f64 v[201:202], v[40:41], v[4:5]
	v_mul_f64 v[4:5], v[38:39], v[4:5]
	s_waitcnt vmcnt(8) lgkmcnt(0)
	v_mul_f64 v[203:204], v[193:194], v[8:9]
	v_mul_f64 v[8:9], v[195:196], v[8:9]
	s_delay_alu instid0(VALU_DEP_4) | instskip(NEXT) | instid1(VALU_DEP_4)
	v_fma_f64 v[201:202], v[38:39], v[2:3], -v[201:202]
	v_fma_f64 v[205:206], v[40:41], v[2:3], v[4:5]
	ds_load_b128 v[2:5], v1 offset:1088
	scratch_load_b128 v[38:41], off, off offset:416
	v_fma_f64 v[203:204], v[195:196], v[6:7], v[203:204]
	v_fma_f64 v[209:210], v[193:194], v[6:7], -v[8:9]
	scratch_load_b128 v[193:196], off, off offset:432
	ds_load_b128 v[6:9], v1 offset:1104
	s_waitcnt vmcnt(9) lgkmcnt(1)
	v_mul_f64 v[207:208], v[2:3], v[12:13]
	v_mul_f64 v[12:13], v[4:5], v[12:13]
	s_waitcnt vmcnt(8) lgkmcnt(0)
	v_mul_f64 v[211:212], v[6:7], v[16:17]
	v_mul_f64 v[16:17], v[8:9], v[16:17]
	v_add_f64 v[201:202], v[201:202], 0
	v_add_f64 v[205:206], v[205:206], 0
	v_fma_f64 v[207:208], v[4:5], v[10:11], v[207:208]
	v_fma_f64 v[213:214], v[2:3], v[10:11], -v[12:13]
	ds_load_b128 v[2:5], v1 offset:1120
	scratch_load_b128 v[10:13], off, off offset:448
	v_add_f64 v[201:202], v[201:202], v[209:210]
	v_add_f64 v[203:204], v[205:206], v[203:204]
	v_fma_f64 v[209:210], v[8:9], v[14:15], v[211:212]
	v_fma_f64 v[211:212], v[6:7], v[14:15], -v[16:17]
	scratch_load_b128 v[14:17], off, off offset:464
	ds_load_b128 v[6:9], v1 offset:1136
	s_waitcnt vmcnt(9) lgkmcnt(1)
	v_mul_f64 v[205:206], v[2:3], v[20:21]
	v_mul_f64 v[20:21], v[4:5], v[20:21]
	v_add_f64 v[201:202], v[201:202], v[213:214]
	v_add_f64 v[203:204], v[203:204], v[207:208]
	s_waitcnt vmcnt(8) lgkmcnt(0)
	v_mul_f64 v[207:208], v[6:7], v[24:25]
	v_mul_f64 v[24:25], v[8:9], v[24:25]
	v_fma_f64 v[205:206], v[4:5], v[18:19], v[205:206]
	v_fma_f64 v[213:214], v[2:3], v[18:19], -v[20:21]
	ds_load_b128 v[2:5], v1 offset:1152
	scratch_load_b128 v[18:21], off, off offset:480
	v_add_f64 v[201:202], v[201:202], v[211:212]
	v_add_f64 v[203:204], v[203:204], v[209:210]
	v_fma_f64 v[207:208], v[8:9], v[22:23], v[207:208]
	v_fma_f64 v[211:212], v[6:7], v[22:23], -v[24:25]
	scratch_load_b128 v[22:25], off, off offset:496
	ds_load_b128 v[6:9], v1 offset:1168
	s_waitcnt vmcnt(9) lgkmcnt(1)
	v_mul_f64 v[209:210], v[2:3], v[28:29]
	v_mul_f64 v[28:29], v[4:5], v[28:29]
	v_add_f64 v[201:202], v[201:202], v[213:214]
	v_add_f64 v[203:204], v[203:204], v[205:206]
	s_waitcnt vmcnt(8) lgkmcnt(0)
	v_mul_f64 v[205:206], v[6:7], v[32:33]
	v_mul_f64 v[32:33], v[8:9], v[32:33]
	;; [unrolled: 18-line block ×7, first 2 shown]
	v_fma_f64 v[205:206], v[4:5], v[26:27], v[205:206]
	v_fma_f64 v[213:214], v[2:3], v[26:27], -v[28:29]
	ds_load_b128 v[2:5], v1 offset:1344
	scratch_load_b128 v[26:29], off, off offset:672
	v_add_f64 v[201:202], v[201:202], v[211:212]
	v_add_f64 v[203:204], v[203:204], v[209:210]
	v_fma_f64 v[207:208], v[8:9], v[30:31], v[207:208]
	v_fma_f64 v[211:212], v[6:7], v[30:31], -v[32:33]
	ds_load_b128 v[6:9], v1 offset:1360
	s_waitcnt vmcnt(8) lgkmcnt(1)
	v_mul_f64 v[209:210], v[2:3], v[36:37]
	v_mul_f64 v[36:37], v[4:5], v[36:37]
	scratch_load_b128 v[30:33], off, off offset:688
	v_add_f64 v[201:202], v[201:202], v[213:214]
	v_add_f64 v[203:204], v[203:204], v[205:206]
	s_waitcnt vmcnt(8) lgkmcnt(0)
	v_mul_f64 v[205:206], v[6:7], v[199:200]
	v_mul_f64 v[199:200], v[8:9], v[199:200]
	v_fma_f64 v[209:210], v[4:5], v[34:35], v[209:210]
	v_fma_f64 v[213:214], v[2:3], v[34:35], -v[36:37]
	ds_load_b128 v[2:5], v1 offset:1376
	scratch_load_b128 v[34:37], off, off offset:704
	v_add_f64 v[201:202], v[201:202], v[211:212]
	v_add_f64 v[203:204], v[203:204], v[207:208]
	v_fma_f64 v[205:206], v[8:9], v[197:198], v[205:206]
	v_fma_f64 v[211:212], v[6:7], v[197:198], -v[199:200]
	ds_load_b128 v[6:9], v1 offset:1392
	s_waitcnt vmcnt(8) lgkmcnt(1)
	v_mul_f64 v[207:208], v[2:3], v[40:41]
	v_mul_f64 v[40:41], v[4:5], v[40:41]
	scratch_load_b128 v[197:200], off, off offset:720
	v_add_f64 v[201:202], v[201:202], v[213:214]
	v_add_f64 v[203:204], v[203:204], v[209:210]
	s_waitcnt vmcnt(8) lgkmcnt(0)
	v_mul_f64 v[209:210], v[6:7], v[195:196]
	v_mul_f64 v[195:196], v[8:9], v[195:196]
	v_fma_f64 v[207:208], v[4:5], v[38:39], v[207:208]
	v_fma_f64 v[213:214], v[2:3], v[38:39], -v[40:41]
	scratch_load_b128 v[38:41], off, off offset:736
	ds_load_b128 v[2:5], v1 offset:1408
	v_add_f64 v[201:202], v[201:202], v[211:212]
	v_add_f64 v[203:204], v[203:204], v[205:206]
	v_fma_f64 v[209:210], v[8:9], v[193:194], v[209:210]
	v_fma_f64 v[211:212], v[6:7], v[193:194], -v[195:196]
	ds_load_b128 v[6:9], v1 offset:1424
	s_waitcnt vmcnt(8) lgkmcnt(1)
	v_mul_f64 v[205:206], v[2:3], v[12:13]
	v_mul_f64 v[12:13], v[4:5], v[12:13]
	scratch_load_b128 v[193:196], off, off offset:752
	v_add_f64 v[201:202], v[201:202], v[213:214]
	v_add_f64 v[203:204], v[203:204], v[207:208]
	s_waitcnt vmcnt(8) lgkmcnt(0)
	v_mul_f64 v[207:208], v[6:7], v[16:17]
	v_mul_f64 v[16:17], v[8:9], v[16:17]
	v_fma_f64 v[205:206], v[4:5], v[10:11], v[205:206]
	v_fma_f64 v[213:214], v[2:3], v[10:11], -v[12:13]
	scratch_load_b128 v[10:13], off, off offset:768
	ds_load_b128 v[2:5], v1 offset:1440
	v_add_f64 v[201:202], v[201:202], v[211:212]
	v_add_f64 v[203:204], v[203:204], v[209:210]
	v_fma_f64 v[207:208], v[8:9], v[14:15], v[207:208]
	v_fma_f64 v[211:212], v[6:7], v[14:15], -v[16:17]
	ds_load_b128 v[6:9], v1 offset:1456
	s_waitcnt vmcnt(8) lgkmcnt(1)
	v_mul_f64 v[209:210], v[2:3], v[20:21]
	v_mul_f64 v[20:21], v[4:5], v[20:21]
	scratch_load_b128 v[14:17], off, off offset:784
	v_add_f64 v[201:202], v[201:202], v[213:214]
	v_add_f64 v[203:204], v[203:204], v[205:206]
	s_waitcnt vmcnt(8) lgkmcnt(0)
	v_mul_f64 v[205:206], v[6:7], v[24:25]
	v_mul_f64 v[24:25], v[8:9], v[24:25]
	v_fma_f64 v[209:210], v[4:5], v[18:19], v[209:210]
	v_fma_f64 v[18:19], v[2:3], v[18:19], -v[20:21]
	ds_load_b128 v[2:5], v1 offset:1472
	v_add_f64 v[20:21], v[201:202], v[211:212]
	v_add_f64 v[201:202], v[203:204], v[207:208]
	v_fma_f64 v[205:206], v[8:9], v[22:23], v[205:206]
	v_fma_f64 v[22:23], v[6:7], v[22:23], -v[24:25]
	ds_load_b128 v[6:9], v1 offset:1488
	s_waitcnt vmcnt(7) lgkmcnt(1)
	v_mul_f64 v[203:204], v[2:3], v[28:29]
	v_mul_f64 v[28:29], v[4:5], v[28:29]
	v_add_f64 v[18:19], v[20:21], v[18:19]
	v_add_f64 v[20:21], v[201:202], v[209:210]
	s_delay_alu instid0(VALU_DEP_4) | instskip(NEXT) | instid1(VALU_DEP_4)
	v_fma_f64 v[201:202], v[4:5], v[26:27], v[203:204]
	v_fma_f64 v[26:27], v[2:3], v[26:27], -v[28:29]
	ds_load_b128 v[2:5], v1 offset:1504
	v_add_f64 v[22:23], v[18:19], v[22:23]
	v_add_f64 v[28:29], v[20:21], v[205:206]
	scratch_load_b128 v[18:21], off, off offset:240
	s_waitcnt vmcnt(7) lgkmcnt(1)
	v_mul_f64 v[24:25], v[6:7], v[32:33]
	v_mul_f64 v[32:33], v[8:9], v[32:33]
	v_add_f64 v[22:23], v[22:23], v[26:27]
	v_add_f64 v[26:27], v[28:29], v[201:202]
	s_delay_alu instid0(VALU_DEP_4) | instskip(NEXT) | instid1(VALU_DEP_4)
	v_fma_f64 v[24:25], v[8:9], v[30:31], v[24:25]
	v_fma_f64 v[30:31], v[6:7], v[30:31], -v[32:33]
	ds_load_b128 v[6:9], v1 offset:1520
	s_waitcnt vmcnt(6) lgkmcnt(1)
	v_mul_f64 v[203:204], v[2:3], v[36:37]
	v_mul_f64 v[36:37], v[4:5], v[36:37]
	s_waitcnt vmcnt(5) lgkmcnt(0)
	v_mul_f64 v[28:29], v[6:7], v[199:200]
	v_mul_f64 v[32:33], v[8:9], v[199:200]
	v_add_f64 v[24:25], v[26:27], v[24:25]
	v_add_f64 v[22:23], v[22:23], v[30:31]
	v_fma_f64 v[199:200], v[4:5], v[34:35], v[203:204]
	v_fma_f64 v[34:35], v[2:3], v[34:35], -v[36:37]
	ds_load_b128 v[2:5], v1 offset:1536
	v_fma_f64 v[28:29], v[8:9], v[197:198], v[28:29]
	v_fma_f64 v[32:33], v[6:7], v[197:198], -v[32:33]
	ds_load_b128 v[6:9], v1 offset:1552
	s_waitcnt vmcnt(4) lgkmcnt(1)
	v_mul_f64 v[26:27], v[2:3], v[40:41]
	v_mul_f64 v[30:31], v[4:5], v[40:41]
	v_add_f64 v[24:25], v[24:25], v[199:200]
	v_add_f64 v[22:23], v[22:23], v[34:35]
	s_waitcnt vmcnt(3) lgkmcnt(0)
	v_mul_f64 v[34:35], v[6:7], v[195:196]
	v_mul_f64 v[36:37], v[8:9], v[195:196]
	v_fma_f64 v[26:27], v[4:5], v[38:39], v[26:27]
	v_fma_f64 v[30:31], v[2:3], v[38:39], -v[30:31]
	ds_load_b128 v[2:5], v1 offset:1568
	v_add_f64 v[24:25], v[24:25], v[28:29]
	v_add_f64 v[22:23], v[22:23], v[32:33]
	v_fma_f64 v[32:33], v[8:9], v[193:194], v[34:35]
	v_fma_f64 v[34:35], v[6:7], v[193:194], -v[36:37]
	ds_load_b128 v[6:9], v1 offset:1584
	s_waitcnt vmcnt(2) lgkmcnt(1)
	v_mul_f64 v[28:29], v[2:3], v[12:13]
	v_mul_f64 v[12:13], v[4:5], v[12:13]
	v_add_f64 v[24:25], v[24:25], v[26:27]
	v_add_f64 v[22:23], v[22:23], v[30:31]
	s_waitcnt vmcnt(1) lgkmcnt(0)
	v_mul_f64 v[26:27], v[6:7], v[16:17]
	v_mul_f64 v[16:17], v[8:9], v[16:17]
	v_fma_f64 v[4:5], v[4:5], v[10:11], v[28:29]
	v_fma_f64 v[1:2], v[2:3], v[10:11], -v[12:13]
	v_add_f64 v[12:13], v[24:25], v[32:33]
	v_add_f64 v[10:11], v[22:23], v[34:35]
	v_fma_f64 v[8:9], v[8:9], v[14:15], v[26:27]
	v_fma_f64 v[6:7], v[6:7], v[14:15], -v[16:17]
	s_delay_alu instid0(VALU_DEP_4) | instskip(NEXT) | instid1(VALU_DEP_4)
	v_add_f64 v[3:4], v[12:13], v[4:5]
	v_add_f64 v[1:2], v[10:11], v[1:2]
	s_delay_alu instid0(VALU_DEP_2) | instskip(NEXT) | instid1(VALU_DEP_2)
	v_add_f64 v[3:4], v[3:4], v[8:9]
	v_add_f64 v[1:2], v[1:2], v[6:7]
	s_waitcnt vmcnt(0)
	s_delay_alu instid0(VALU_DEP_2) | instskip(NEXT) | instid1(VALU_DEP_2)
	v_add_f64 v[3:4], v[20:21], -v[3:4]
	v_add_f64 v[1:2], v[18:19], -v[1:2]
	scratch_store_b128 off, v[1:4], off offset:240
	v_cmpx_lt_u32_e32 14, v142
	s_cbranch_execz .LBB113_285
; %bb.284:
	scratch_load_b128 v[1:4], v178, off
	v_mov_b32_e32 v5, 0
	s_delay_alu instid0(VALU_DEP_1)
	v_mov_b32_e32 v6, v5
	v_mov_b32_e32 v7, v5
	;; [unrolled: 1-line block ×3, first 2 shown]
	scratch_store_b128 off, v[5:8], off offset:224
	s_waitcnt vmcnt(0)
	ds_store_b128 v192, v[1:4]
.LBB113_285:
	s_or_b32 exec_lo, exec_lo, s2
	s_waitcnt lgkmcnt(0)
	s_waitcnt_vscnt null, 0x0
	s_barrier
	buffer_gl0_inv
	s_clause 0x7
	scratch_load_b128 v[2:5], off, off offset:240
	scratch_load_b128 v[6:9], off, off offset:256
	;; [unrolled: 1-line block ×8, first 2 shown]
	v_mov_b32_e32 v1, 0
	s_clause 0x1
	scratch_load_b128 v[34:37], off, off offset:368
	scratch_load_b128 v[197:200], off, off offset:384
	s_mov_b32 s2, exec_lo
	ds_load_b128 v[38:41], v1 offset:1040
	ds_load_b128 v[193:196], v1 offset:1056
	s_waitcnt vmcnt(9) lgkmcnt(1)
	v_mul_f64 v[201:202], v[40:41], v[4:5]
	v_mul_f64 v[4:5], v[38:39], v[4:5]
	s_waitcnt vmcnt(8) lgkmcnt(0)
	v_mul_f64 v[203:204], v[193:194], v[8:9]
	v_mul_f64 v[8:9], v[195:196], v[8:9]
	s_delay_alu instid0(VALU_DEP_4) | instskip(NEXT) | instid1(VALU_DEP_4)
	v_fma_f64 v[201:202], v[38:39], v[2:3], -v[201:202]
	v_fma_f64 v[205:206], v[40:41], v[2:3], v[4:5]
	ds_load_b128 v[2:5], v1 offset:1072
	scratch_load_b128 v[38:41], off, off offset:400
	v_fma_f64 v[203:204], v[195:196], v[6:7], v[203:204]
	v_fma_f64 v[209:210], v[193:194], v[6:7], -v[8:9]
	scratch_load_b128 v[193:196], off, off offset:416
	ds_load_b128 v[6:9], v1 offset:1088
	s_waitcnt vmcnt(9) lgkmcnt(1)
	v_mul_f64 v[207:208], v[2:3], v[12:13]
	v_mul_f64 v[12:13], v[4:5], v[12:13]
	s_waitcnt vmcnt(8) lgkmcnt(0)
	v_mul_f64 v[211:212], v[6:7], v[16:17]
	v_mul_f64 v[16:17], v[8:9], v[16:17]
	v_add_f64 v[201:202], v[201:202], 0
	v_add_f64 v[205:206], v[205:206], 0
	v_fma_f64 v[207:208], v[4:5], v[10:11], v[207:208]
	v_fma_f64 v[213:214], v[2:3], v[10:11], -v[12:13]
	ds_load_b128 v[2:5], v1 offset:1104
	scratch_load_b128 v[10:13], off, off offset:432
	v_add_f64 v[201:202], v[201:202], v[209:210]
	v_add_f64 v[203:204], v[205:206], v[203:204]
	v_fma_f64 v[209:210], v[8:9], v[14:15], v[211:212]
	v_fma_f64 v[211:212], v[6:7], v[14:15], -v[16:17]
	scratch_load_b128 v[14:17], off, off offset:448
	ds_load_b128 v[6:9], v1 offset:1120
	s_waitcnt vmcnt(9) lgkmcnt(1)
	v_mul_f64 v[205:206], v[2:3], v[20:21]
	v_mul_f64 v[20:21], v[4:5], v[20:21]
	v_add_f64 v[201:202], v[201:202], v[213:214]
	v_add_f64 v[203:204], v[203:204], v[207:208]
	s_waitcnt vmcnt(8) lgkmcnt(0)
	v_mul_f64 v[207:208], v[6:7], v[24:25]
	v_mul_f64 v[24:25], v[8:9], v[24:25]
	v_fma_f64 v[205:206], v[4:5], v[18:19], v[205:206]
	v_fma_f64 v[213:214], v[2:3], v[18:19], -v[20:21]
	ds_load_b128 v[2:5], v1 offset:1136
	scratch_load_b128 v[18:21], off, off offset:464
	v_add_f64 v[201:202], v[201:202], v[211:212]
	v_add_f64 v[203:204], v[203:204], v[209:210]
	v_fma_f64 v[207:208], v[8:9], v[22:23], v[207:208]
	v_fma_f64 v[211:212], v[6:7], v[22:23], -v[24:25]
	scratch_load_b128 v[22:25], off, off offset:480
	ds_load_b128 v[6:9], v1 offset:1152
	s_waitcnt vmcnt(9) lgkmcnt(1)
	v_mul_f64 v[209:210], v[2:3], v[28:29]
	v_mul_f64 v[28:29], v[4:5], v[28:29]
	v_add_f64 v[201:202], v[201:202], v[213:214]
	v_add_f64 v[203:204], v[203:204], v[205:206]
	s_waitcnt vmcnt(8) lgkmcnt(0)
	v_mul_f64 v[205:206], v[6:7], v[32:33]
	v_mul_f64 v[32:33], v[8:9], v[32:33]
	v_fma_f64 v[209:210], v[4:5], v[26:27], v[209:210]
	v_fma_f64 v[213:214], v[2:3], v[26:27], -v[28:29]
	ds_load_b128 v[2:5], v1 offset:1168
	scratch_load_b128 v[26:29], off, off offset:496
	v_add_f64 v[201:202], v[201:202], v[211:212]
	v_add_f64 v[203:204], v[203:204], v[207:208]
	v_fma_f64 v[205:206], v[8:9], v[30:31], v[205:206]
	v_fma_f64 v[211:212], v[6:7], v[30:31], -v[32:33]
	scratch_load_b128 v[30:33], off, off offset:512
	ds_load_b128 v[6:9], v1 offset:1184
	s_waitcnt vmcnt(9) lgkmcnt(1)
	v_mul_f64 v[207:208], v[2:3], v[36:37]
	v_mul_f64 v[36:37], v[4:5], v[36:37]
	v_add_f64 v[201:202], v[201:202], v[213:214]
	v_add_f64 v[203:204], v[203:204], v[209:210]
	s_waitcnt vmcnt(8) lgkmcnt(0)
	v_mul_f64 v[209:210], v[6:7], v[199:200]
	v_mul_f64 v[199:200], v[8:9], v[199:200]
	v_fma_f64 v[207:208], v[4:5], v[34:35], v[207:208]
	v_fma_f64 v[213:214], v[2:3], v[34:35], -v[36:37]
	ds_load_b128 v[2:5], v1 offset:1200
	scratch_load_b128 v[34:37], off, off offset:528
	v_add_f64 v[201:202], v[201:202], v[211:212]
	v_add_f64 v[203:204], v[203:204], v[205:206]
	v_fma_f64 v[209:210], v[8:9], v[197:198], v[209:210]
	v_fma_f64 v[211:212], v[6:7], v[197:198], -v[199:200]
	scratch_load_b128 v[197:200], off, off offset:544
	ds_load_b128 v[6:9], v1 offset:1216
	s_waitcnt vmcnt(9) lgkmcnt(1)
	v_mul_f64 v[205:206], v[2:3], v[40:41]
	v_mul_f64 v[40:41], v[4:5], v[40:41]
	v_add_f64 v[201:202], v[201:202], v[213:214]
	v_add_f64 v[203:204], v[203:204], v[207:208]
	s_waitcnt vmcnt(8) lgkmcnt(0)
	v_mul_f64 v[207:208], v[6:7], v[195:196]
	v_mul_f64 v[195:196], v[8:9], v[195:196]
	v_fma_f64 v[205:206], v[4:5], v[38:39], v[205:206]
	v_fma_f64 v[213:214], v[2:3], v[38:39], -v[40:41]
	ds_load_b128 v[2:5], v1 offset:1232
	scratch_load_b128 v[38:41], off, off offset:560
	v_add_f64 v[201:202], v[201:202], v[211:212]
	v_add_f64 v[203:204], v[203:204], v[209:210]
	v_fma_f64 v[207:208], v[8:9], v[193:194], v[207:208]
	v_fma_f64 v[211:212], v[6:7], v[193:194], -v[195:196]
	scratch_load_b128 v[193:196], off, off offset:576
	ds_load_b128 v[6:9], v1 offset:1248
	s_waitcnt vmcnt(9) lgkmcnt(1)
	v_mul_f64 v[209:210], v[2:3], v[12:13]
	v_mul_f64 v[12:13], v[4:5], v[12:13]
	v_add_f64 v[201:202], v[201:202], v[213:214]
	v_add_f64 v[203:204], v[203:204], v[205:206]
	s_waitcnt vmcnt(8) lgkmcnt(0)
	v_mul_f64 v[205:206], v[6:7], v[16:17]
	v_mul_f64 v[16:17], v[8:9], v[16:17]
	v_fma_f64 v[209:210], v[4:5], v[10:11], v[209:210]
	v_fma_f64 v[213:214], v[2:3], v[10:11], -v[12:13]
	ds_load_b128 v[2:5], v1 offset:1264
	scratch_load_b128 v[10:13], off, off offset:592
	v_add_f64 v[201:202], v[201:202], v[211:212]
	v_add_f64 v[203:204], v[203:204], v[207:208]
	v_fma_f64 v[205:206], v[8:9], v[14:15], v[205:206]
	v_fma_f64 v[211:212], v[6:7], v[14:15], -v[16:17]
	scratch_load_b128 v[14:17], off, off offset:608
	ds_load_b128 v[6:9], v1 offset:1280
	s_waitcnt vmcnt(9) lgkmcnt(1)
	v_mul_f64 v[207:208], v[2:3], v[20:21]
	v_mul_f64 v[20:21], v[4:5], v[20:21]
	v_add_f64 v[201:202], v[201:202], v[213:214]
	v_add_f64 v[203:204], v[203:204], v[209:210]
	s_waitcnt vmcnt(8) lgkmcnt(0)
	v_mul_f64 v[209:210], v[6:7], v[24:25]
	v_mul_f64 v[24:25], v[8:9], v[24:25]
	v_fma_f64 v[207:208], v[4:5], v[18:19], v[207:208]
	v_fma_f64 v[213:214], v[2:3], v[18:19], -v[20:21]
	ds_load_b128 v[2:5], v1 offset:1296
	scratch_load_b128 v[18:21], off, off offset:624
	v_add_f64 v[201:202], v[201:202], v[211:212]
	v_add_f64 v[203:204], v[203:204], v[205:206]
	v_fma_f64 v[209:210], v[8:9], v[22:23], v[209:210]
	v_fma_f64 v[211:212], v[6:7], v[22:23], -v[24:25]
	scratch_load_b128 v[22:25], off, off offset:640
	ds_load_b128 v[6:9], v1 offset:1312
	s_waitcnt vmcnt(9) lgkmcnt(1)
	v_mul_f64 v[205:206], v[2:3], v[28:29]
	v_mul_f64 v[28:29], v[4:5], v[28:29]
	v_add_f64 v[201:202], v[201:202], v[213:214]
	v_add_f64 v[203:204], v[203:204], v[207:208]
	s_waitcnt vmcnt(8) lgkmcnt(0)
	v_mul_f64 v[207:208], v[6:7], v[32:33]
	v_mul_f64 v[32:33], v[8:9], v[32:33]
	v_fma_f64 v[205:206], v[4:5], v[26:27], v[205:206]
	v_fma_f64 v[213:214], v[2:3], v[26:27], -v[28:29]
	ds_load_b128 v[2:5], v1 offset:1328
	scratch_load_b128 v[26:29], off, off offset:656
	v_add_f64 v[201:202], v[201:202], v[211:212]
	v_add_f64 v[203:204], v[203:204], v[209:210]
	v_fma_f64 v[207:208], v[8:9], v[30:31], v[207:208]
	v_fma_f64 v[211:212], v[6:7], v[30:31], -v[32:33]
	scratch_load_b128 v[30:33], off, off offset:672
	ds_load_b128 v[6:9], v1 offset:1344
	s_waitcnt vmcnt(9) lgkmcnt(1)
	v_mul_f64 v[209:210], v[2:3], v[36:37]
	v_mul_f64 v[36:37], v[4:5], v[36:37]
	v_add_f64 v[201:202], v[201:202], v[213:214]
	v_add_f64 v[203:204], v[203:204], v[205:206]
	s_waitcnt vmcnt(8) lgkmcnt(0)
	v_mul_f64 v[205:206], v[6:7], v[199:200]
	v_mul_f64 v[199:200], v[8:9], v[199:200]
	v_fma_f64 v[209:210], v[4:5], v[34:35], v[209:210]
	v_fma_f64 v[213:214], v[2:3], v[34:35], -v[36:37]
	ds_load_b128 v[2:5], v1 offset:1360
	scratch_load_b128 v[34:37], off, off offset:688
	v_add_f64 v[201:202], v[201:202], v[211:212]
	v_add_f64 v[203:204], v[203:204], v[207:208]
	v_fma_f64 v[205:206], v[8:9], v[197:198], v[205:206]
	v_fma_f64 v[211:212], v[6:7], v[197:198], -v[199:200]
	ds_load_b128 v[6:9], v1 offset:1376
	s_waitcnt vmcnt(8) lgkmcnt(1)
	v_mul_f64 v[207:208], v[2:3], v[40:41]
	v_mul_f64 v[40:41], v[4:5], v[40:41]
	scratch_load_b128 v[197:200], off, off offset:704
	v_add_f64 v[201:202], v[201:202], v[213:214]
	v_add_f64 v[203:204], v[203:204], v[209:210]
	s_waitcnt vmcnt(8) lgkmcnt(0)
	v_mul_f64 v[209:210], v[6:7], v[195:196]
	v_mul_f64 v[195:196], v[8:9], v[195:196]
	v_fma_f64 v[207:208], v[4:5], v[38:39], v[207:208]
	v_fma_f64 v[213:214], v[2:3], v[38:39], -v[40:41]
	scratch_load_b128 v[38:41], off, off offset:720
	ds_load_b128 v[2:5], v1 offset:1392
	v_add_f64 v[201:202], v[201:202], v[211:212]
	v_add_f64 v[203:204], v[203:204], v[205:206]
	v_fma_f64 v[209:210], v[8:9], v[193:194], v[209:210]
	v_fma_f64 v[211:212], v[6:7], v[193:194], -v[195:196]
	ds_load_b128 v[6:9], v1 offset:1408
	s_waitcnt vmcnt(8) lgkmcnt(1)
	v_mul_f64 v[205:206], v[2:3], v[12:13]
	v_mul_f64 v[12:13], v[4:5], v[12:13]
	scratch_load_b128 v[193:196], off, off offset:736
	v_add_f64 v[201:202], v[201:202], v[213:214]
	v_add_f64 v[203:204], v[203:204], v[207:208]
	s_waitcnt vmcnt(8) lgkmcnt(0)
	v_mul_f64 v[207:208], v[6:7], v[16:17]
	v_mul_f64 v[16:17], v[8:9], v[16:17]
	v_fma_f64 v[205:206], v[4:5], v[10:11], v[205:206]
	v_fma_f64 v[213:214], v[2:3], v[10:11], -v[12:13]
	scratch_load_b128 v[10:13], off, off offset:752
	ds_load_b128 v[2:5], v1 offset:1424
	;; [unrolled: 18-line block ×3, first 2 shown]
	v_add_f64 v[201:202], v[201:202], v[211:212]
	v_add_f64 v[203:204], v[203:204], v[207:208]
	v_fma_f64 v[205:206], v[8:9], v[22:23], v[205:206]
	v_fma_f64 v[22:23], v[6:7], v[22:23], -v[24:25]
	ds_load_b128 v[6:9], v1 offset:1472
	s_waitcnt vmcnt(8) lgkmcnt(1)
	v_mul_f64 v[207:208], v[2:3], v[28:29]
	v_mul_f64 v[28:29], v[4:5], v[28:29]
	v_add_f64 v[24:25], v[201:202], v[213:214]
	v_add_f64 v[201:202], v[203:204], v[209:210]
	s_waitcnt vmcnt(7) lgkmcnt(0)
	v_mul_f64 v[203:204], v[6:7], v[32:33]
	v_mul_f64 v[32:33], v[8:9], v[32:33]
	v_fma_f64 v[207:208], v[4:5], v[26:27], v[207:208]
	v_fma_f64 v[26:27], v[2:3], v[26:27], -v[28:29]
	ds_load_b128 v[2:5], v1 offset:1488
	v_add_f64 v[22:23], v[24:25], v[22:23]
	v_add_f64 v[24:25], v[201:202], v[205:206]
	v_fma_f64 v[201:202], v[8:9], v[30:31], v[203:204]
	v_fma_f64 v[30:31], v[6:7], v[30:31], -v[32:33]
	ds_load_b128 v[6:9], v1 offset:1504
	s_waitcnt vmcnt(5) lgkmcnt(0)
	v_mul_f64 v[203:204], v[6:7], v[199:200]
	v_mul_f64 v[199:200], v[8:9], v[199:200]
	v_add_f64 v[26:27], v[22:23], v[26:27]
	v_add_f64 v[32:33], v[24:25], v[207:208]
	scratch_load_b128 v[22:25], off, off offset:224
	v_mul_f64 v[28:29], v[2:3], v[36:37]
	v_mul_f64 v[36:37], v[4:5], v[36:37]
	v_add_f64 v[26:27], v[26:27], v[30:31]
	v_add_f64 v[30:31], v[32:33], v[201:202]
	s_delay_alu instid0(VALU_DEP_4) | instskip(NEXT) | instid1(VALU_DEP_4)
	v_fma_f64 v[28:29], v[4:5], v[34:35], v[28:29]
	v_fma_f64 v[34:35], v[2:3], v[34:35], -v[36:37]
	ds_load_b128 v[2:5], v1 offset:1520
	s_waitcnt vmcnt(5) lgkmcnt(0)
	v_mul_f64 v[32:33], v[2:3], v[40:41]
	v_mul_f64 v[36:37], v[4:5], v[40:41]
	v_fma_f64 v[40:41], v[8:9], v[197:198], v[203:204]
	v_fma_f64 v[197:198], v[6:7], v[197:198], -v[199:200]
	ds_load_b128 v[6:9], v1 offset:1536
	v_add_f64 v[28:29], v[30:31], v[28:29]
	v_add_f64 v[26:27], v[26:27], v[34:35]
	v_fma_f64 v[32:33], v[4:5], v[38:39], v[32:33]
	v_fma_f64 v[36:37], v[2:3], v[38:39], -v[36:37]
	ds_load_b128 v[2:5], v1 offset:1552
	s_waitcnt vmcnt(4) lgkmcnt(1)
	v_mul_f64 v[30:31], v[6:7], v[195:196]
	v_mul_f64 v[34:35], v[8:9], v[195:196]
	v_add_f64 v[28:29], v[28:29], v[40:41]
	v_add_f64 v[26:27], v[26:27], v[197:198]
	s_waitcnt vmcnt(3) lgkmcnt(0)
	v_mul_f64 v[38:39], v[2:3], v[12:13]
	v_mul_f64 v[12:13], v[4:5], v[12:13]
	v_fma_f64 v[30:31], v[8:9], v[193:194], v[30:31]
	v_fma_f64 v[34:35], v[6:7], v[193:194], -v[34:35]
	ds_load_b128 v[6:9], v1 offset:1568
	v_add_f64 v[28:29], v[28:29], v[32:33]
	v_add_f64 v[26:27], v[26:27], v[36:37]
	v_fma_f64 v[36:37], v[4:5], v[10:11], v[38:39]
	v_fma_f64 v[10:11], v[2:3], v[10:11], -v[12:13]
	ds_load_b128 v[2:5], v1 offset:1584
	s_waitcnt vmcnt(2) lgkmcnt(1)
	v_mul_f64 v[32:33], v[6:7], v[16:17]
	v_mul_f64 v[16:17], v[8:9], v[16:17]
	v_add_f64 v[12:13], v[26:27], v[34:35]
	v_add_f64 v[26:27], v[28:29], v[30:31]
	s_waitcnt vmcnt(1) lgkmcnt(0)
	v_mul_f64 v[28:29], v[2:3], v[20:21]
	v_mul_f64 v[20:21], v[4:5], v[20:21]
	v_fma_f64 v[8:9], v[8:9], v[14:15], v[32:33]
	v_fma_f64 v[6:7], v[6:7], v[14:15], -v[16:17]
	v_add_f64 v[10:11], v[12:13], v[10:11]
	v_add_f64 v[12:13], v[26:27], v[36:37]
	v_fma_f64 v[4:5], v[4:5], v[18:19], v[28:29]
	v_fma_f64 v[2:3], v[2:3], v[18:19], -v[20:21]
	s_delay_alu instid0(VALU_DEP_4) | instskip(NEXT) | instid1(VALU_DEP_4)
	v_add_f64 v[6:7], v[10:11], v[6:7]
	v_add_f64 v[8:9], v[12:13], v[8:9]
	s_delay_alu instid0(VALU_DEP_2) | instskip(NEXT) | instid1(VALU_DEP_2)
	v_add_f64 v[2:3], v[6:7], v[2:3]
	v_add_f64 v[4:5], v[8:9], v[4:5]
	s_waitcnt vmcnt(0)
	s_delay_alu instid0(VALU_DEP_2) | instskip(NEXT) | instid1(VALU_DEP_2)
	v_add_f64 v[2:3], v[22:23], -v[2:3]
	v_add_f64 v[4:5], v[24:25], -v[4:5]
	scratch_store_b128 off, v[2:5], off offset:224
	v_cmpx_lt_u32_e32 13, v142
	s_cbranch_execz .LBB113_287
; %bb.286:
	scratch_load_b128 v[5:8], v179, off
	v_mov_b32_e32 v2, v1
	v_mov_b32_e32 v3, v1
	;; [unrolled: 1-line block ×3, first 2 shown]
	scratch_store_b128 off, v[1:4], off offset:208
	s_waitcnt vmcnt(0)
	ds_store_b128 v192, v[5:8]
.LBB113_287:
	s_or_b32 exec_lo, exec_lo, s2
	s_waitcnt lgkmcnt(0)
	s_waitcnt_vscnt null, 0x0
	s_barrier
	buffer_gl0_inv
	s_clause 0x7
	scratch_load_b128 v[2:5], off, off offset:224
	scratch_load_b128 v[6:9], off, off offset:240
	;; [unrolled: 1-line block ×8, first 2 shown]
	ds_load_b128 v[38:41], v1 offset:1024
	ds_load_b128 v[193:196], v1 offset:1040
	s_clause 0x1
	scratch_load_b128 v[34:37], off, off offset:352
	scratch_load_b128 v[197:200], off, off offset:368
	s_mov_b32 s2, exec_lo
	s_waitcnt vmcnt(9) lgkmcnt(1)
	v_mul_f64 v[201:202], v[40:41], v[4:5]
	v_mul_f64 v[4:5], v[38:39], v[4:5]
	s_waitcnt vmcnt(8) lgkmcnt(0)
	v_mul_f64 v[203:204], v[193:194], v[8:9]
	v_mul_f64 v[8:9], v[195:196], v[8:9]
	s_delay_alu instid0(VALU_DEP_4) | instskip(NEXT) | instid1(VALU_DEP_4)
	v_fma_f64 v[201:202], v[38:39], v[2:3], -v[201:202]
	v_fma_f64 v[205:206], v[40:41], v[2:3], v[4:5]
	ds_load_b128 v[2:5], v1 offset:1056
	scratch_load_b128 v[38:41], off, off offset:384
	v_fma_f64 v[203:204], v[195:196], v[6:7], v[203:204]
	v_fma_f64 v[209:210], v[193:194], v[6:7], -v[8:9]
	scratch_load_b128 v[193:196], off, off offset:400
	ds_load_b128 v[6:9], v1 offset:1072
	s_waitcnt vmcnt(9) lgkmcnt(1)
	v_mul_f64 v[207:208], v[2:3], v[12:13]
	v_mul_f64 v[12:13], v[4:5], v[12:13]
	s_waitcnt vmcnt(8) lgkmcnt(0)
	v_mul_f64 v[211:212], v[6:7], v[16:17]
	v_mul_f64 v[16:17], v[8:9], v[16:17]
	v_add_f64 v[201:202], v[201:202], 0
	v_add_f64 v[205:206], v[205:206], 0
	v_fma_f64 v[207:208], v[4:5], v[10:11], v[207:208]
	v_fma_f64 v[213:214], v[2:3], v[10:11], -v[12:13]
	ds_load_b128 v[2:5], v1 offset:1088
	scratch_load_b128 v[10:13], off, off offset:416
	v_add_f64 v[201:202], v[201:202], v[209:210]
	v_add_f64 v[203:204], v[205:206], v[203:204]
	v_fma_f64 v[209:210], v[8:9], v[14:15], v[211:212]
	v_fma_f64 v[211:212], v[6:7], v[14:15], -v[16:17]
	scratch_load_b128 v[14:17], off, off offset:432
	ds_load_b128 v[6:9], v1 offset:1104
	s_waitcnt vmcnt(9) lgkmcnt(1)
	v_mul_f64 v[205:206], v[2:3], v[20:21]
	v_mul_f64 v[20:21], v[4:5], v[20:21]
	v_add_f64 v[201:202], v[201:202], v[213:214]
	v_add_f64 v[203:204], v[203:204], v[207:208]
	s_waitcnt vmcnt(8) lgkmcnt(0)
	v_mul_f64 v[207:208], v[6:7], v[24:25]
	v_mul_f64 v[24:25], v[8:9], v[24:25]
	v_fma_f64 v[205:206], v[4:5], v[18:19], v[205:206]
	v_fma_f64 v[213:214], v[2:3], v[18:19], -v[20:21]
	ds_load_b128 v[2:5], v1 offset:1120
	scratch_load_b128 v[18:21], off, off offset:448
	v_add_f64 v[201:202], v[201:202], v[211:212]
	v_add_f64 v[203:204], v[203:204], v[209:210]
	v_fma_f64 v[207:208], v[8:9], v[22:23], v[207:208]
	v_fma_f64 v[211:212], v[6:7], v[22:23], -v[24:25]
	scratch_load_b128 v[22:25], off, off offset:464
	ds_load_b128 v[6:9], v1 offset:1136
	s_waitcnt vmcnt(9) lgkmcnt(1)
	v_mul_f64 v[209:210], v[2:3], v[28:29]
	v_mul_f64 v[28:29], v[4:5], v[28:29]
	v_add_f64 v[201:202], v[201:202], v[213:214]
	v_add_f64 v[203:204], v[203:204], v[205:206]
	s_waitcnt vmcnt(8) lgkmcnt(0)
	v_mul_f64 v[205:206], v[6:7], v[32:33]
	v_mul_f64 v[32:33], v[8:9], v[32:33]
	;; [unrolled: 18-line block ×8, first 2 shown]
	v_fma_f64 v[209:210], v[4:5], v[34:35], v[209:210]
	v_fma_f64 v[213:214], v[2:3], v[34:35], -v[36:37]
	ds_load_b128 v[2:5], v1 offset:1344
	scratch_load_b128 v[34:37], off, off offset:672
	v_add_f64 v[201:202], v[201:202], v[211:212]
	v_add_f64 v[203:204], v[203:204], v[207:208]
	v_fma_f64 v[205:206], v[8:9], v[197:198], v[205:206]
	v_fma_f64 v[211:212], v[6:7], v[197:198], -v[199:200]
	ds_load_b128 v[6:9], v1 offset:1360
	s_waitcnt vmcnt(8) lgkmcnt(1)
	v_mul_f64 v[207:208], v[2:3], v[40:41]
	v_mul_f64 v[40:41], v[4:5], v[40:41]
	scratch_load_b128 v[197:200], off, off offset:688
	v_add_f64 v[201:202], v[201:202], v[213:214]
	v_add_f64 v[203:204], v[203:204], v[209:210]
	s_waitcnt vmcnt(8) lgkmcnt(0)
	v_mul_f64 v[209:210], v[6:7], v[195:196]
	v_mul_f64 v[195:196], v[8:9], v[195:196]
	v_fma_f64 v[207:208], v[4:5], v[38:39], v[207:208]
	v_fma_f64 v[213:214], v[2:3], v[38:39], -v[40:41]
	ds_load_b128 v[2:5], v1 offset:1376
	scratch_load_b128 v[38:41], off, off offset:704
	v_add_f64 v[201:202], v[201:202], v[211:212]
	v_add_f64 v[203:204], v[203:204], v[205:206]
	v_fma_f64 v[209:210], v[8:9], v[193:194], v[209:210]
	v_fma_f64 v[211:212], v[6:7], v[193:194], -v[195:196]
	ds_load_b128 v[6:9], v1 offset:1392
	s_waitcnt vmcnt(8) lgkmcnt(1)
	v_mul_f64 v[205:206], v[2:3], v[12:13]
	v_mul_f64 v[12:13], v[4:5], v[12:13]
	scratch_load_b128 v[193:196], off, off offset:720
	v_add_f64 v[201:202], v[201:202], v[213:214]
	v_add_f64 v[203:204], v[203:204], v[207:208]
	s_waitcnt vmcnt(8) lgkmcnt(0)
	v_mul_f64 v[207:208], v[6:7], v[16:17]
	v_mul_f64 v[16:17], v[8:9], v[16:17]
	v_fma_f64 v[205:206], v[4:5], v[10:11], v[205:206]
	v_fma_f64 v[213:214], v[2:3], v[10:11], -v[12:13]
	scratch_load_b128 v[10:13], off, off offset:736
	ds_load_b128 v[2:5], v1 offset:1408
	v_add_f64 v[201:202], v[201:202], v[211:212]
	v_add_f64 v[203:204], v[203:204], v[209:210]
	v_fma_f64 v[207:208], v[8:9], v[14:15], v[207:208]
	v_fma_f64 v[211:212], v[6:7], v[14:15], -v[16:17]
	ds_load_b128 v[6:9], v1 offset:1424
	s_waitcnt vmcnt(8) lgkmcnt(1)
	v_mul_f64 v[209:210], v[2:3], v[20:21]
	v_mul_f64 v[20:21], v[4:5], v[20:21]
	scratch_load_b128 v[14:17], off, off offset:752
	v_add_f64 v[201:202], v[201:202], v[213:214]
	v_add_f64 v[203:204], v[203:204], v[205:206]
	s_waitcnt vmcnt(8) lgkmcnt(0)
	v_mul_f64 v[205:206], v[6:7], v[24:25]
	v_mul_f64 v[24:25], v[8:9], v[24:25]
	v_fma_f64 v[209:210], v[4:5], v[18:19], v[209:210]
	v_fma_f64 v[213:214], v[2:3], v[18:19], -v[20:21]
	scratch_load_b128 v[18:21], off, off offset:768
	ds_load_b128 v[2:5], v1 offset:1440
	v_add_f64 v[201:202], v[201:202], v[211:212]
	v_add_f64 v[203:204], v[203:204], v[207:208]
	v_fma_f64 v[205:206], v[8:9], v[22:23], v[205:206]
	v_fma_f64 v[211:212], v[6:7], v[22:23], -v[24:25]
	ds_load_b128 v[6:9], v1 offset:1456
	s_waitcnt vmcnt(8) lgkmcnt(1)
	v_mul_f64 v[207:208], v[2:3], v[28:29]
	v_mul_f64 v[28:29], v[4:5], v[28:29]
	scratch_load_b128 v[22:25], off, off offset:784
	v_add_f64 v[201:202], v[201:202], v[213:214]
	v_add_f64 v[203:204], v[203:204], v[209:210]
	s_waitcnt vmcnt(8) lgkmcnt(0)
	v_mul_f64 v[209:210], v[6:7], v[32:33]
	v_mul_f64 v[32:33], v[8:9], v[32:33]
	v_fma_f64 v[207:208], v[4:5], v[26:27], v[207:208]
	v_fma_f64 v[26:27], v[2:3], v[26:27], -v[28:29]
	ds_load_b128 v[2:5], v1 offset:1472
	v_add_f64 v[28:29], v[201:202], v[211:212]
	v_add_f64 v[201:202], v[203:204], v[205:206]
	v_fma_f64 v[205:206], v[8:9], v[30:31], v[209:210]
	v_fma_f64 v[30:31], v[6:7], v[30:31], -v[32:33]
	ds_load_b128 v[6:9], v1 offset:1488
	s_waitcnt vmcnt(7) lgkmcnt(1)
	v_mul_f64 v[203:204], v[2:3], v[36:37]
	v_mul_f64 v[36:37], v[4:5], v[36:37]
	v_add_f64 v[26:27], v[28:29], v[26:27]
	v_add_f64 v[28:29], v[201:202], v[207:208]
	s_delay_alu instid0(VALU_DEP_4) | instskip(NEXT) | instid1(VALU_DEP_4)
	v_fma_f64 v[201:202], v[4:5], v[34:35], v[203:204]
	v_fma_f64 v[34:35], v[2:3], v[34:35], -v[36:37]
	ds_load_b128 v[2:5], v1 offset:1504
	v_add_f64 v[30:31], v[26:27], v[30:31]
	v_add_f64 v[36:37], v[28:29], v[205:206]
	scratch_load_b128 v[26:29], off, off offset:208
	s_waitcnt vmcnt(7) lgkmcnt(1)
	v_mul_f64 v[32:33], v[6:7], v[199:200]
	v_mul_f64 v[199:200], v[8:9], v[199:200]
	v_add_f64 v[30:31], v[30:31], v[34:35]
	v_add_f64 v[34:35], v[36:37], v[201:202]
	s_delay_alu instid0(VALU_DEP_4) | instskip(NEXT) | instid1(VALU_DEP_4)
	v_fma_f64 v[32:33], v[8:9], v[197:198], v[32:33]
	v_fma_f64 v[197:198], v[6:7], v[197:198], -v[199:200]
	ds_load_b128 v[6:9], v1 offset:1520
	s_waitcnt vmcnt(6) lgkmcnt(1)
	v_mul_f64 v[203:204], v[2:3], v[40:41]
	v_mul_f64 v[40:41], v[4:5], v[40:41]
	s_waitcnt vmcnt(5) lgkmcnt(0)
	v_mul_f64 v[36:37], v[6:7], v[195:196]
	v_mul_f64 v[195:196], v[8:9], v[195:196]
	v_add_f64 v[32:33], v[34:35], v[32:33]
	v_add_f64 v[30:31], v[30:31], v[197:198]
	v_fma_f64 v[199:200], v[4:5], v[38:39], v[203:204]
	v_fma_f64 v[38:39], v[2:3], v[38:39], -v[40:41]
	ds_load_b128 v[2:5], v1 offset:1536
	v_fma_f64 v[36:37], v[8:9], v[193:194], v[36:37]
	v_fma_f64 v[40:41], v[6:7], v[193:194], -v[195:196]
	ds_load_b128 v[6:9], v1 offset:1552
	s_waitcnt vmcnt(4) lgkmcnt(1)
	v_mul_f64 v[34:35], v[2:3], v[12:13]
	v_mul_f64 v[12:13], v[4:5], v[12:13]
	v_add_f64 v[32:33], v[32:33], v[199:200]
	v_add_f64 v[30:31], v[30:31], v[38:39]
	s_waitcnt vmcnt(3) lgkmcnt(0)
	v_mul_f64 v[38:39], v[6:7], v[16:17]
	v_mul_f64 v[16:17], v[8:9], v[16:17]
	v_fma_f64 v[34:35], v[4:5], v[10:11], v[34:35]
	v_fma_f64 v[10:11], v[2:3], v[10:11], -v[12:13]
	ds_load_b128 v[2:5], v1 offset:1568
	v_add_f64 v[12:13], v[30:31], v[40:41]
	v_add_f64 v[30:31], v[32:33], v[36:37]
	v_fma_f64 v[36:37], v[8:9], v[14:15], v[38:39]
	v_fma_f64 v[14:15], v[6:7], v[14:15], -v[16:17]
	ds_load_b128 v[6:9], v1 offset:1584
	s_waitcnt vmcnt(2) lgkmcnt(1)
	v_mul_f64 v[32:33], v[2:3], v[20:21]
	v_mul_f64 v[20:21], v[4:5], v[20:21]
	s_waitcnt vmcnt(1) lgkmcnt(0)
	v_mul_f64 v[16:17], v[6:7], v[24:25]
	v_mul_f64 v[24:25], v[8:9], v[24:25]
	v_add_f64 v[10:11], v[12:13], v[10:11]
	v_add_f64 v[12:13], v[30:31], v[34:35]
	v_fma_f64 v[4:5], v[4:5], v[18:19], v[32:33]
	v_fma_f64 v[1:2], v[2:3], v[18:19], -v[20:21]
	v_fma_f64 v[8:9], v[8:9], v[22:23], v[16:17]
	v_fma_f64 v[6:7], v[6:7], v[22:23], -v[24:25]
	v_add_f64 v[10:11], v[10:11], v[14:15]
	v_add_f64 v[12:13], v[12:13], v[36:37]
	s_delay_alu instid0(VALU_DEP_2) | instskip(NEXT) | instid1(VALU_DEP_2)
	v_add_f64 v[1:2], v[10:11], v[1:2]
	v_add_f64 v[3:4], v[12:13], v[4:5]
	s_delay_alu instid0(VALU_DEP_2) | instskip(NEXT) | instid1(VALU_DEP_2)
	v_add_f64 v[1:2], v[1:2], v[6:7]
	v_add_f64 v[3:4], v[3:4], v[8:9]
	s_waitcnt vmcnt(0)
	s_delay_alu instid0(VALU_DEP_2) | instskip(NEXT) | instid1(VALU_DEP_2)
	v_add_f64 v[1:2], v[26:27], -v[1:2]
	v_add_f64 v[3:4], v[28:29], -v[3:4]
	scratch_store_b128 off, v[1:4], off offset:208
	v_cmpx_lt_u32_e32 12, v142
	s_cbranch_execz .LBB113_289
; %bb.288:
	scratch_load_b128 v[1:4], v180, off
	v_mov_b32_e32 v5, 0
	s_delay_alu instid0(VALU_DEP_1)
	v_mov_b32_e32 v6, v5
	v_mov_b32_e32 v7, v5
	;; [unrolled: 1-line block ×3, first 2 shown]
	scratch_store_b128 off, v[5:8], off offset:192
	s_waitcnt vmcnt(0)
	ds_store_b128 v192, v[1:4]
.LBB113_289:
	s_or_b32 exec_lo, exec_lo, s2
	s_waitcnt lgkmcnt(0)
	s_waitcnt_vscnt null, 0x0
	s_barrier
	buffer_gl0_inv
	s_clause 0x7
	scratch_load_b128 v[2:5], off, off offset:208
	scratch_load_b128 v[6:9], off, off offset:224
	;; [unrolled: 1-line block ×8, first 2 shown]
	v_mov_b32_e32 v1, 0
	s_clause 0x1
	scratch_load_b128 v[34:37], off, off offset:336
	scratch_load_b128 v[197:200], off, off offset:352
	s_mov_b32 s2, exec_lo
	ds_load_b128 v[38:41], v1 offset:1008
	ds_load_b128 v[193:196], v1 offset:1024
	s_waitcnt vmcnt(9) lgkmcnt(1)
	v_mul_f64 v[201:202], v[40:41], v[4:5]
	v_mul_f64 v[4:5], v[38:39], v[4:5]
	s_waitcnt vmcnt(8) lgkmcnt(0)
	v_mul_f64 v[203:204], v[193:194], v[8:9]
	v_mul_f64 v[8:9], v[195:196], v[8:9]
	s_delay_alu instid0(VALU_DEP_4) | instskip(NEXT) | instid1(VALU_DEP_4)
	v_fma_f64 v[201:202], v[38:39], v[2:3], -v[201:202]
	v_fma_f64 v[205:206], v[40:41], v[2:3], v[4:5]
	ds_load_b128 v[2:5], v1 offset:1040
	scratch_load_b128 v[38:41], off, off offset:368
	v_fma_f64 v[203:204], v[195:196], v[6:7], v[203:204]
	v_fma_f64 v[209:210], v[193:194], v[6:7], -v[8:9]
	scratch_load_b128 v[193:196], off, off offset:384
	ds_load_b128 v[6:9], v1 offset:1056
	s_waitcnt vmcnt(9) lgkmcnt(1)
	v_mul_f64 v[207:208], v[2:3], v[12:13]
	v_mul_f64 v[12:13], v[4:5], v[12:13]
	s_waitcnt vmcnt(8) lgkmcnt(0)
	v_mul_f64 v[211:212], v[6:7], v[16:17]
	v_mul_f64 v[16:17], v[8:9], v[16:17]
	v_add_f64 v[201:202], v[201:202], 0
	v_add_f64 v[205:206], v[205:206], 0
	v_fma_f64 v[207:208], v[4:5], v[10:11], v[207:208]
	v_fma_f64 v[213:214], v[2:3], v[10:11], -v[12:13]
	ds_load_b128 v[2:5], v1 offset:1072
	scratch_load_b128 v[10:13], off, off offset:400
	v_add_f64 v[201:202], v[201:202], v[209:210]
	v_add_f64 v[203:204], v[205:206], v[203:204]
	v_fma_f64 v[209:210], v[8:9], v[14:15], v[211:212]
	v_fma_f64 v[211:212], v[6:7], v[14:15], -v[16:17]
	scratch_load_b128 v[14:17], off, off offset:416
	ds_load_b128 v[6:9], v1 offset:1088
	s_waitcnt vmcnt(9) lgkmcnt(1)
	v_mul_f64 v[205:206], v[2:3], v[20:21]
	v_mul_f64 v[20:21], v[4:5], v[20:21]
	v_add_f64 v[201:202], v[201:202], v[213:214]
	v_add_f64 v[203:204], v[203:204], v[207:208]
	s_waitcnt vmcnt(8) lgkmcnt(0)
	v_mul_f64 v[207:208], v[6:7], v[24:25]
	v_mul_f64 v[24:25], v[8:9], v[24:25]
	v_fma_f64 v[205:206], v[4:5], v[18:19], v[205:206]
	v_fma_f64 v[213:214], v[2:3], v[18:19], -v[20:21]
	ds_load_b128 v[2:5], v1 offset:1104
	scratch_load_b128 v[18:21], off, off offset:432
	v_add_f64 v[201:202], v[201:202], v[211:212]
	v_add_f64 v[203:204], v[203:204], v[209:210]
	v_fma_f64 v[207:208], v[8:9], v[22:23], v[207:208]
	v_fma_f64 v[211:212], v[6:7], v[22:23], -v[24:25]
	scratch_load_b128 v[22:25], off, off offset:448
	ds_load_b128 v[6:9], v1 offset:1120
	s_waitcnt vmcnt(9) lgkmcnt(1)
	v_mul_f64 v[209:210], v[2:3], v[28:29]
	v_mul_f64 v[28:29], v[4:5], v[28:29]
	v_add_f64 v[201:202], v[201:202], v[213:214]
	v_add_f64 v[203:204], v[203:204], v[205:206]
	s_waitcnt vmcnt(8) lgkmcnt(0)
	v_mul_f64 v[205:206], v[6:7], v[32:33]
	v_mul_f64 v[32:33], v[8:9], v[32:33]
	;; [unrolled: 18-line block ×9, first 2 shown]
	v_fma_f64 v[207:208], v[4:5], v[38:39], v[207:208]
	v_fma_f64 v[213:214], v[2:3], v[38:39], -v[40:41]
	ds_load_b128 v[2:5], v1 offset:1360
	scratch_load_b128 v[38:41], off, off offset:688
	v_add_f64 v[201:202], v[201:202], v[211:212]
	v_add_f64 v[203:204], v[203:204], v[205:206]
	v_fma_f64 v[209:210], v[8:9], v[193:194], v[209:210]
	v_fma_f64 v[211:212], v[6:7], v[193:194], -v[195:196]
	ds_load_b128 v[6:9], v1 offset:1376
	s_waitcnt vmcnt(8) lgkmcnt(1)
	v_mul_f64 v[205:206], v[2:3], v[12:13]
	v_mul_f64 v[12:13], v[4:5], v[12:13]
	scratch_load_b128 v[193:196], off, off offset:704
	v_add_f64 v[201:202], v[201:202], v[213:214]
	v_add_f64 v[203:204], v[203:204], v[207:208]
	s_waitcnt vmcnt(8) lgkmcnt(0)
	v_mul_f64 v[207:208], v[6:7], v[16:17]
	v_mul_f64 v[16:17], v[8:9], v[16:17]
	v_fma_f64 v[205:206], v[4:5], v[10:11], v[205:206]
	v_fma_f64 v[213:214], v[2:3], v[10:11], -v[12:13]
	scratch_load_b128 v[10:13], off, off offset:720
	ds_load_b128 v[2:5], v1 offset:1392
	v_add_f64 v[201:202], v[201:202], v[211:212]
	v_add_f64 v[203:204], v[203:204], v[209:210]
	v_fma_f64 v[207:208], v[8:9], v[14:15], v[207:208]
	v_fma_f64 v[211:212], v[6:7], v[14:15], -v[16:17]
	ds_load_b128 v[6:9], v1 offset:1408
	s_waitcnt vmcnt(8) lgkmcnt(1)
	v_mul_f64 v[209:210], v[2:3], v[20:21]
	v_mul_f64 v[20:21], v[4:5], v[20:21]
	scratch_load_b128 v[14:17], off, off offset:736
	v_add_f64 v[201:202], v[201:202], v[213:214]
	v_add_f64 v[203:204], v[203:204], v[205:206]
	s_waitcnt vmcnt(8) lgkmcnt(0)
	v_mul_f64 v[205:206], v[6:7], v[24:25]
	v_mul_f64 v[24:25], v[8:9], v[24:25]
	v_fma_f64 v[209:210], v[4:5], v[18:19], v[209:210]
	v_fma_f64 v[213:214], v[2:3], v[18:19], -v[20:21]
	scratch_load_b128 v[18:21], off, off offset:752
	ds_load_b128 v[2:5], v1 offset:1424
	;; [unrolled: 18-line block ×3, first 2 shown]
	v_add_f64 v[201:202], v[201:202], v[211:212]
	v_add_f64 v[203:204], v[203:204], v[205:206]
	v_fma_f64 v[209:210], v[8:9], v[30:31], v[209:210]
	v_fma_f64 v[30:31], v[6:7], v[30:31], -v[32:33]
	ds_load_b128 v[6:9], v1 offset:1472
	s_waitcnt vmcnt(8) lgkmcnt(1)
	v_mul_f64 v[205:206], v[2:3], v[36:37]
	v_mul_f64 v[36:37], v[4:5], v[36:37]
	v_add_f64 v[32:33], v[201:202], v[213:214]
	v_add_f64 v[201:202], v[203:204], v[207:208]
	s_waitcnt vmcnt(7) lgkmcnt(0)
	v_mul_f64 v[203:204], v[6:7], v[199:200]
	v_mul_f64 v[199:200], v[8:9], v[199:200]
	v_fma_f64 v[205:206], v[4:5], v[34:35], v[205:206]
	v_fma_f64 v[34:35], v[2:3], v[34:35], -v[36:37]
	ds_load_b128 v[2:5], v1 offset:1488
	v_add_f64 v[30:31], v[32:33], v[30:31]
	v_add_f64 v[32:33], v[201:202], v[209:210]
	v_fma_f64 v[201:202], v[8:9], v[197:198], v[203:204]
	v_fma_f64 v[197:198], v[6:7], v[197:198], -v[199:200]
	ds_load_b128 v[6:9], v1 offset:1504
	s_waitcnt vmcnt(5) lgkmcnt(0)
	v_mul_f64 v[203:204], v[6:7], v[195:196]
	v_mul_f64 v[195:196], v[8:9], v[195:196]
	v_add_f64 v[34:35], v[30:31], v[34:35]
	v_add_f64 v[199:200], v[32:33], v[205:206]
	scratch_load_b128 v[30:33], off, off offset:192
	v_mul_f64 v[36:37], v[2:3], v[40:41]
	v_mul_f64 v[40:41], v[4:5], v[40:41]
	v_add_f64 v[34:35], v[34:35], v[197:198]
	s_delay_alu instid0(VALU_DEP_3) | instskip(NEXT) | instid1(VALU_DEP_3)
	v_fma_f64 v[36:37], v[4:5], v[38:39], v[36:37]
	v_fma_f64 v[38:39], v[2:3], v[38:39], -v[40:41]
	v_add_f64 v[40:41], v[199:200], v[201:202]
	ds_load_b128 v[2:5], v1 offset:1520
	v_fma_f64 v[199:200], v[8:9], v[193:194], v[203:204]
	v_fma_f64 v[193:194], v[6:7], v[193:194], -v[195:196]
	ds_load_b128 v[6:9], v1 offset:1536
	s_waitcnt vmcnt(5) lgkmcnt(1)
	v_mul_f64 v[197:198], v[2:3], v[12:13]
	v_mul_f64 v[12:13], v[4:5], v[12:13]
	v_add_f64 v[34:35], v[34:35], v[38:39]
	v_add_f64 v[36:37], v[40:41], v[36:37]
	s_waitcnt vmcnt(4) lgkmcnt(0)
	v_mul_f64 v[38:39], v[6:7], v[16:17]
	v_mul_f64 v[16:17], v[8:9], v[16:17]
	v_fma_f64 v[40:41], v[4:5], v[10:11], v[197:198]
	v_fma_f64 v[10:11], v[2:3], v[10:11], -v[12:13]
	ds_load_b128 v[2:5], v1 offset:1552
	v_add_f64 v[12:13], v[34:35], v[193:194]
	v_add_f64 v[34:35], v[36:37], v[199:200]
	v_fma_f64 v[38:39], v[8:9], v[14:15], v[38:39]
	v_fma_f64 v[14:15], v[6:7], v[14:15], -v[16:17]
	ds_load_b128 v[6:9], v1 offset:1568
	s_waitcnt vmcnt(3) lgkmcnt(1)
	v_mul_f64 v[36:37], v[2:3], v[20:21]
	v_mul_f64 v[20:21], v[4:5], v[20:21]
	s_waitcnt vmcnt(2) lgkmcnt(0)
	v_mul_f64 v[16:17], v[6:7], v[24:25]
	v_mul_f64 v[24:25], v[8:9], v[24:25]
	v_add_f64 v[10:11], v[12:13], v[10:11]
	v_add_f64 v[12:13], v[34:35], v[40:41]
	v_fma_f64 v[34:35], v[4:5], v[18:19], v[36:37]
	v_fma_f64 v[18:19], v[2:3], v[18:19], -v[20:21]
	ds_load_b128 v[2:5], v1 offset:1584
	v_fma_f64 v[8:9], v[8:9], v[22:23], v[16:17]
	v_fma_f64 v[6:7], v[6:7], v[22:23], -v[24:25]
	s_waitcnt vmcnt(1) lgkmcnt(0)
	v_mul_f64 v[20:21], v[4:5], v[28:29]
	v_add_f64 v[10:11], v[10:11], v[14:15]
	v_add_f64 v[12:13], v[12:13], v[38:39]
	v_mul_f64 v[14:15], v[2:3], v[28:29]
	s_delay_alu instid0(VALU_DEP_4) | instskip(NEXT) | instid1(VALU_DEP_4)
	v_fma_f64 v[2:3], v[2:3], v[26:27], -v[20:21]
	v_add_f64 v[10:11], v[10:11], v[18:19]
	s_delay_alu instid0(VALU_DEP_4) | instskip(NEXT) | instid1(VALU_DEP_4)
	v_add_f64 v[12:13], v[12:13], v[34:35]
	v_fma_f64 v[4:5], v[4:5], v[26:27], v[14:15]
	s_delay_alu instid0(VALU_DEP_3) | instskip(NEXT) | instid1(VALU_DEP_3)
	v_add_f64 v[6:7], v[10:11], v[6:7]
	v_add_f64 v[8:9], v[12:13], v[8:9]
	s_delay_alu instid0(VALU_DEP_2) | instskip(NEXT) | instid1(VALU_DEP_2)
	v_add_f64 v[2:3], v[6:7], v[2:3]
	v_add_f64 v[4:5], v[8:9], v[4:5]
	s_waitcnt vmcnt(0)
	s_delay_alu instid0(VALU_DEP_2) | instskip(NEXT) | instid1(VALU_DEP_2)
	v_add_f64 v[2:3], v[30:31], -v[2:3]
	v_add_f64 v[4:5], v[32:33], -v[4:5]
	scratch_store_b128 off, v[2:5], off offset:192
	v_cmpx_lt_u32_e32 11, v142
	s_cbranch_execz .LBB113_291
; %bb.290:
	scratch_load_b128 v[5:8], v181, off
	v_mov_b32_e32 v2, v1
	v_mov_b32_e32 v3, v1
	;; [unrolled: 1-line block ×3, first 2 shown]
	scratch_store_b128 off, v[1:4], off offset:176
	s_waitcnt vmcnt(0)
	ds_store_b128 v192, v[5:8]
.LBB113_291:
	s_or_b32 exec_lo, exec_lo, s2
	s_waitcnt lgkmcnt(0)
	s_waitcnt_vscnt null, 0x0
	s_barrier
	buffer_gl0_inv
	s_clause 0x7
	scratch_load_b128 v[2:5], off, off offset:192
	scratch_load_b128 v[6:9], off, off offset:208
	;; [unrolled: 1-line block ×8, first 2 shown]
	ds_load_b128 v[38:41], v1 offset:992
	ds_load_b128 v[193:196], v1 offset:1008
	s_clause 0x1
	scratch_load_b128 v[34:37], off, off offset:320
	scratch_load_b128 v[197:200], off, off offset:336
	s_mov_b32 s2, exec_lo
	s_waitcnt vmcnt(9) lgkmcnt(1)
	v_mul_f64 v[201:202], v[40:41], v[4:5]
	v_mul_f64 v[4:5], v[38:39], v[4:5]
	s_waitcnt vmcnt(8) lgkmcnt(0)
	v_mul_f64 v[203:204], v[193:194], v[8:9]
	v_mul_f64 v[8:9], v[195:196], v[8:9]
	s_delay_alu instid0(VALU_DEP_4) | instskip(NEXT) | instid1(VALU_DEP_4)
	v_fma_f64 v[201:202], v[38:39], v[2:3], -v[201:202]
	v_fma_f64 v[205:206], v[40:41], v[2:3], v[4:5]
	ds_load_b128 v[2:5], v1 offset:1024
	scratch_load_b128 v[38:41], off, off offset:352
	v_fma_f64 v[203:204], v[195:196], v[6:7], v[203:204]
	v_fma_f64 v[209:210], v[193:194], v[6:7], -v[8:9]
	scratch_load_b128 v[193:196], off, off offset:368
	ds_load_b128 v[6:9], v1 offset:1040
	s_waitcnt vmcnt(9) lgkmcnt(1)
	v_mul_f64 v[207:208], v[2:3], v[12:13]
	v_mul_f64 v[12:13], v[4:5], v[12:13]
	s_waitcnt vmcnt(8) lgkmcnt(0)
	v_mul_f64 v[211:212], v[6:7], v[16:17]
	v_mul_f64 v[16:17], v[8:9], v[16:17]
	v_add_f64 v[201:202], v[201:202], 0
	v_add_f64 v[205:206], v[205:206], 0
	v_fma_f64 v[207:208], v[4:5], v[10:11], v[207:208]
	v_fma_f64 v[213:214], v[2:3], v[10:11], -v[12:13]
	ds_load_b128 v[2:5], v1 offset:1056
	scratch_load_b128 v[10:13], off, off offset:384
	v_add_f64 v[201:202], v[201:202], v[209:210]
	v_add_f64 v[203:204], v[205:206], v[203:204]
	v_fma_f64 v[209:210], v[8:9], v[14:15], v[211:212]
	v_fma_f64 v[211:212], v[6:7], v[14:15], -v[16:17]
	scratch_load_b128 v[14:17], off, off offset:400
	ds_load_b128 v[6:9], v1 offset:1072
	s_waitcnt vmcnt(9) lgkmcnt(1)
	v_mul_f64 v[205:206], v[2:3], v[20:21]
	v_mul_f64 v[20:21], v[4:5], v[20:21]
	v_add_f64 v[201:202], v[201:202], v[213:214]
	v_add_f64 v[203:204], v[203:204], v[207:208]
	s_waitcnt vmcnt(8) lgkmcnt(0)
	v_mul_f64 v[207:208], v[6:7], v[24:25]
	v_mul_f64 v[24:25], v[8:9], v[24:25]
	v_fma_f64 v[205:206], v[4:5], v[18:19], v[205:206]
	v_fma_f64 v[213:214], v[2:3], v[18:19], -v[20:21]
	ds_load_b128 v[2:5], v1 offset:1088
	scratch_load_b128 v[18:21], off, off offset:416
	v_add_f64 v[201:202], v[201:202], v[211:212]
	v_add_f64 v[203:204], v[203:204], v[209:210]
	v_fma_f64 v[207:208], v[8:9], v[22:23], v[207:208]
	v_fma_f64 v[211:212], v[6:7], v[22:23], -v[24:25]
	scratch_load_b128 v[22:25], off, off offset:432
	ds_load_b128 v[6:9], v1 offset:1104
	s_waitcnt vmcnt(9) lgkmcnt(1)
	v_mul_f64 v[209:210], v[2:3], v[28:29]
	v_mul_f64 v[28:29], v[4:5], v[28:29]
	v_add_f64 v[201:202], v[201:202], v[213:214]
	v_add_f64 v[203:204], v[203:204], v[205:206]
	s_waitcnt vmcnt(8) lgkmcnt(0)
	v_mul_f64 v[205:206], v[6:7], v[32:33]
	v_mul_f64 v[32:33], v[8:9], v[32:33]
	;; [unrolled: 18-line block ×9, first 2 shown]
	v_fma_f64 v[207:208], v[4:5], v[38:39], v[207:208]
	v_fma_f64 v[213:214], v[2:3], v[38:39], -v[40:41]
	ds_load_b128 v[2:5], v1 offset:1344
	scratch_load_b128 v[38:41], off, off offset:672
	v_add_f64 v[201:202], v[201:202], v[211:212]
	v_add_f64 v[203:204], v[203:204], v[205:206]
	v_fma_f64 v[209:210], v[8:9], v[193:194], v[209:210]
	v_fma_f64 v[211:212], v[6:7], v[193:194], -v[195:196]
	ds_load_b128 v[6:9], v1 offset:1360
	s_waitcnt vmcnt(8) lgkmcnt(1)
	v_mul_f64 v[205:206], v[2:3], v[12:13]
	v_mul_f64 v[12:13], v[4:5], v[12:13]
	scratch_load_b128 v[193:196], off, off offset:688
	v_add_f64 v[201:202], v[201:202], v[213:214]
	v_add_f64 v[203:204], v[203:204], v[207:208]
	s_waitcnt vmcnt(8) lgkmcnt(0)
	v_mul_f64 v[207:208], v[6:7], v[16:17]
	v_mul_f64 v[16:17], v[8:9], v[16:17]
	v_fma_f64 v[205:206], v[4:5], v[10:11], v[205:206]
	v_fma_f64 v[213:214], v[2:3], v[10:11], -v[12:13]
	ds_load_b128 v[2:5], v1 offset:1376
	scratch_load_b128 v[10:13], off, off offset:704
	v_add_f64 v[201:202], v[201:202], v[211:212]
	v_add_f64 v[203:204], v[203:204], v[209:210]
	v_fma_f64 v[207:208], v[8:9], v[14:15], v[207:208]
	v_fma_f64 v[211:212], v[6:7], v[14:15], -v[16:17]
	ds_load_b128 v[6:9], v1 offset:1392
	s_waitcnt vmcnt(8) lgkmcnt(1)
	v_mul_f64 v[209:210], v[2:3], v[20:21]
	v_mul_f64 v[20:21], v[4:5], v[20:21]
	scratch_load_b128 v[14:17], off, off offset:720
	v_add_f64 v[201:202], v[201:202], v[213:214]
	v_add_f64 v[203:204], v[203:204], v[205:206]
	s_waitcnt vmcnt(8) lgkmcnt(0)
	v_mul_f64 v[205:206], v[6:7], v[24:25]
	v_mul_f64 v[24:25], v[8:9], v[24:25]
	v_fma_f64 v[209:210], v[4:5], v[18:19], v[209:210]
	v_fma_f64 v[213:214], v[2:3], v[18:19], -v[20:21]
	scratch_load_b128 v[18:21], off, off offset:736
	ds_load_b128 v[2:5], v1 offset:1408
	v_add_f64 v[201:202], v[201:202], v[211:212]
	v_add_f64 v[203:204], v[203:204], v[207:208]
	v_fma_f64 v[205:206], v[8:9], v[22:23], v[205:206]
	v_fma_f64 v[211:212], v[6:7], v[22:23], -v[24:25]
	ds_load_b128 v[6:9], v1 offset:1424
	s_waitcnt vmcnt(8) lgkmcnt(1)
	v_mul_f64 v[207:208], v[2:3], v[28:29]
	v_mul_f64 v[28:29], v[4:5], v[28:29]
	scratch_load_b128 v[22:25], off, off offset:752
	v_add_f64 v[201:202], v[201:202], v[213:214]
	v_add_f64 v[203:204], v[203:204], v[209:210]
	s_waitcnt vmcnt(8) lgkmcnt(0)
	v_mul_f64 v[209:210], v[6:7], v[32:33]
	v_mul_f64 v[32:33], v[8:9], v[32:33]
	v_fma_f64 v[207:208], v[4:5], v[26:27], v[207:208]
	v_fma_f64 v[213:214], v[2:3], v[26:27], -v[28:29]
	scratch_load_b128 v[26:29], off, off offset:768
	ds_load_b128 v[2:5], v1 offset:1440
	v_add_f64 v[201:202], v[201:202], v[211:212]
	v_add_f64 v[203:204], v[203:204], v[205:206]
	v_fma_f64 v[209:210], v[8:9], v[30:31], v[209:210]
	v_fma_f64 v[211:212], v[6:7], v[30:31], -v[32:33]
	ds_load_b128 v[6:9], v1 offset:1456
	s_waitcnt vmcnt(8) lgkmcnt(1)
	v_mul_f64 v[205:206], v[2:3], v[36:37]
	v_mul_f64 v[36:37], v[4:5], v[36:37]
	scratch_load_b128 v[30:33], off, off offset:784
	v_add_f64 v[201:202], v[201:202], v[213:214]
	v_add_f64 v[203:204], v[203:204], v[207:208]
	s_waitcnt vmcnt(8) lgkmcnt(0)
	v_mul_f64 v[207:208], v[6:7], v[199:200]
	v_mul_f64 v[199:200], v[8:9], v[199:200]
	v_fma_f64 v[205:206], v[4:5], v[34:35], v[205:206]
	v_fma_f64 v[34:35], v[2:3], v[34:35], -v[36:37]
	ds_load_b128 v[2:5], v1 offset:1472
	v_add_f64 v[36:37], v[201:202], v[211:212]
	v_add_f64 v[201:202], v[203:204], v[209:210]
	v_fma_f64 v[207:208], v[8:9], v[197:198], v[207:208]
	v_fma_f64 v[197:198], v[6:7], v[197:198], -v[199:200]
	ds_load_b128 v[6:9], v1 offset:1488
	s_waitcnt vmcnt(7) lgkmcnt(1)
	v_mul_f64 v[203:204], v[2:3], v[40:41]
	v_mul_f64 v[40:41], v[4:5], v[40:41]
	v_add_f64 v[34:35], v[36:37], v[34:35]
	v_add_f64 v[36:37], v[201:202], v[205:206]
	s_delay_alu instid0(VALU_DEP_4) | instskip(NEXT) | instid1(VALU_DEP_4)
	v_fma_f64 v[201:202], v[4:5], v[38:39], v[203:204]
	v_fma_f64 v[38:39], v[2:3], v[38:39], -v[40:41]
	ds_load_b128 v[2:5], v1 offset:1504
	v_add_f64 v[40:41], v[34:35], v[197:198]
	v_add_f64 v[197:198], v[36:37], v[207:208]
	scratch_load_b128 v[34:37], off, off offset:176
	s_waitcnt vmcnt(7) lgkmcnt(1)
	v_mul_f64 v[199:200], v[6:7], v[195:196]
	v_mul_f64 v[195:196], v[8:9], v[195:196]
	v_add_f64 v[38:39], v[40:41], v[38:39]
	v_add_f64 v[40:41], v[197:198], v[201:202]
	s_delay_alu instid0(VALU_DEP_4) | instskip(NEXT) | instid1(VALU_DEP_4)
	v_fma_f64 v[199:200], v[8:9], v[193:194], v[199:200]
	v_fma_f64 v[193:194], v[6:7], v[193:194], -v[195:196]
	ds_load_b128 v[6:9], v1 offset:1520
	s_waitcnt vmcnt(6) lgkmcnt(1)
	v_mul_f64 v[203:204], v[2:3], v[12:13]
	v_mul_f64 v[12:13], v[4:5], v[12:13]
	s_waitcnt vmcnt(5) lgkmcnt(0)
	v_mul_f64 v[195:196], v[6:7], v[16:17]
	v_mul_f64 v[16:17], v[8:9], v[16:17]
	s_delay_alu instid0(VALU_DEP_4) | instskip(NEXT) | instid1(VALU_DEP_4)
	v_fma_f64 v[197:198], v[4:5], v[10:11], v[203:204]
	v_fma_f64 v[10:11], v[2:3], v[10:11], -v[12:13]
	v_add_f64 v[12:13], v[38:39], v[193:194]
	v_add_f64 v[38:39], v[40:41], v[199:200]
	ds_load_b128 v[2:5], v1 offset:1536
	v_fma_f64 v[193:194], v[8:9], v[14:15], v[195:196]
	v_fma_f64 v[14:15], v[6:7], v[14:15], -v[16:17]
	ds_load_b128 v[6:9], v1 offset:1552
	s_waitcnt vmcnt(4) lgkmcnt(1)
	v_mul_f64 v[40:41], v[2:3], v[20:21]
	v_mul_f64 v[20:21], v[4:5], v[20:21]
	v_add_f64 v[10:11], v[12:13], v[10:11]
	v_add_f64 v[12:13], v[38:39], v[197:198]
	s_waitcnt vmcnt(3) lgkmcnt(0)
	v_mul_f64 v[16:17], v[6:7], v[24:25]
	v_mul_f64 v[24:25], v[8:9], v[24:25]
	v_fma_f64 v[38:39], v[4:5], v[18:19], v[40:41]
	v_fma_f64 v[18:19], v[2:3], v[18:19], -v[20:21]
	ds_load_b128 v[2:5], v1 offset:1568
	v_add_f64 v[10:11], v[10:11], v[14:15]
	v_add_f64 v[12:13], v[12:13], v[193:194]
	v_fma_f64 v[16:17], v[8:9], v[22:23], v[16:17]
	v_fma_f64 v[22:23], v[6:7], v[22:23], -v[24:25]
	ds_load_b128 v[6:9], v1 offset:1584
	s_waitcnt vmcnt(2) lgkmcnt(1)
	v_mul_f64 v[14:15], v[2:3], v[28:29]
	v_mul_f64 v[20:21], v[4:5], v[28:29]
	s_waitcnt vmcnt(1) lgkmcnt(0)
	v_mul_f64 v[24:25], v[8:9], v[32:33]
	v_add_f64 v[10:11], v[10:11], v[18:19]
	v_add_f64 v[12:13], v[12:13], v[38:39]
	v_mul_f64 v[18:19], v[6:7], v[32:33]
	v_fma_f64 v[4:5], v[4:5], v[26:27], v[14:15]
	v_fma_f64 v[1:2], v[2:3], v[26:27], -v[20:21]
	v_fma_f64 v[6:7], v[6:7], v[30:31], -v[24:25]
	v_add_f64 v[10:11], v[10:11], v[22:23]
	v_add_f64 v[12:13], v[12:13], v[16:17]
	v_fma_f64 v[8:9], v[8:9], v[30:31], v[18:19]
	s_delay_alu instid0(VALU_DEP_3) | instskip(NEXT) | instid1(VALU_DEP_3)
	v_add_f64 v[1:2], v[10:11], v[1:2]
	v_add_f64 v[3:4], v[12:13], v[4:5]
	s_delay_alu instid0(VALU_DEP_2) | instskip(NEXT) | instid1(VALU_DEP_2)
	v_add_f64 v[1:2], v[1:2], v[6:7]
	v_add_f64 v[3:4], v[3:4], v[8:9]
	s_waitcnt vmcnt(0)
	s_delay_alu instid0(VALU_DEP_2) | instskip(NEXT) | instid1(VALU_DEP_2)
	v_add_f64 v[1:2], v[34:35], -v[1:2]
	v_add_f64 v[3:4], v[36:37], -v[3:4]
	scratch_store_b128 off, v[1:4], off offset:176
	v_cmpx_lt_u32_e32 10, v142
	s_cbranch_execz .LBB113_293
; %bb.292:
	scratch_load_b128 v[1:4], v182, off
	v_mov_b32_e32 v5, 0
	s_delay_alu instid0(VALU_DEP_1)
	v_mov_b32_e32 v6, v5
	v_mov_b32_e32 v7, v5
	;; [unrolled: 1-line block ×3, first 2 shown]
	scratch_store_b128 off, v[5:8], off offset:160
	s_waitcnt vmcnt(0)
	ds_store_b128 v192, v[1:4]
.LBB113_293:
	s_or_b32 exec_lo, exec_lo, s2
	s_waitcnt lgkmcnt(0)
	s_waitcnt_vscnt null, 0x0
	s_barrier
	buffer_gl0_inv
	s_clause 0x7
	scratch_load_b128 v[2:5], off, off offset:176
	scratch_load_b128 v[6:9], off, off offset:192
	;; [unrolled: 1-line block ×8, first 2 shown]
	v_mov_b32_e32 v1, 0
	s_clause 0x1
	scratch_load_b128 v[34:37], off, off offset:304
	scratch_load_b128 v[197:200], off, off offset:320
	s_mov_b32 s2, exec_lo
	ds_load_b128 v[38:41], v1 offset:976
	ds_load_b128 v[193:196], v1 offset:992
	s_waitcnt vmcnt(9) lgkmcnt(1)
	v_mul_f64 v[201:202], v[40:41], v[4:5]
	v_mul_f64 v[4:5], v[38:39], v[4:5]
	s_waitcnt vmcnt(8) lgkmcnt(0)
	v_mul_f64 v[203:204], v[193:194], v[8:9]
	v_mul_f64 v[8:9], v[195:196], v[8:9]
	s_delay_alu instid0(VALU_DEP_4) | instskip(NEXT) | instid1(VALU_DEP_4)
	v_fma_f64 v[201:202], v[38:39], v[2:3], -v[201:202]
	v_fma_f64 v[205:206], v[40:41], v[2:3], v[4:5]
	ds_load_b128 v[2:5], v1 offset:1008
	scratch_load_b128 v[38:41], off, off offset:336
	v_fma_f64 v[203:204], v[195:196], v[6:7], v[203:204]
	v_fma_f64 v[209:210], v[193:194], v[6:7], -v[8:9]
	scratch_load_b128 v[193:196], off, off offset:352
	ds_load_b128 v[6:9], v1 offset:1024
	s_waitcnt vmcnt(9) lgkmcnt(1)
	v_mul_f64 v[207:208], v[2:3], v[12:13]
	v_mul_f64 v[12:13], v[4:5], v[12:13]
	s_waitcnt vmcnt(8) lgkmcnt(0)
	v_mul_f64 v[211:212], v[6:7], v[16:17]
	v_mul_f64 v[16:17], v[8:9], v[16:17]
	v_add_f64 v[201:202], v[201:202], 0
	v_add_f64 v[205:206], v[205:206], 0
	v_fma_f64 v[207:208], v[4:5], v[10:11], v[207:208]
	v_fma_f64 v[213:214], v[2:3], v[10:11], -v[12:13]
	ds_load_b128 v[2:5], v1 offset:1040
	scratch_load_b128 v[10:13], off, off offset:368
	v_add_f64 v[201:202], v[201:202], v[209:210]
	v_add_f64 v[203:204], v[205:206], v[203:204]
	v_fma_f64 v[209:210], v[8:9], v[14:15], v[211:212]
	v_fma_f64 v[211:212], v[6:7], v[14:15], -v[16:17]
	scratch_load_b128 v[14:17], off, off offset:384
	ds_load_b128 v[6:9], v1 offset:1056
	s_waitcnt vmcnt(9) lgkmcnt(1)
	v_mul_f64 v[205:206], v[2:3], v[20:21]
	v_mul_f64 v[20:21], v[4:5], v[20:21]
	v_add_f64 v[201:202], v[201:202], v[213:214]
	v_add_f64 v[203:204], v[203:204], v[207:208]
	s_waitcnt vmcnt(8) lgkmcnt(0)
	v_mul_f64 v[207:208], v[6:7], v[24:25]
	v_mul_f64 v[24:25], v[8:9], v[24:25]
	v_fma_f64 v[205:206], v[4:5], v[18:19], v[205:206]
	v_fma_f64 v[213:214], v[2:3], v[18:19], -v[20:21]
	ds_load_b128 v[2:5], v1 offset:1072
	scratch_load_b128 v[18:21], off, off offset:400
	v_add_f64 v[201:202], v[201:202], v[211:212]
	v_add_f64 v[203:204], v[203:204], v[209:210]
	v_fma_f64 v[207:208], v[8:9], v[22:23], v[207:208]
	v_fma_f64 v[211:212], v[6:7], v[22:23], -v[24:25]
	scratch_load_b128 v[22:25], off, off offset:416
	ds_load_b128 v[6:9], v1 offset:1088
	s_waitcnt vmcnt(9) lgkmcnt(1)
	v_mul_f64 v[209:210], v[2:3], v[28:29]
	v_mul_f64 v[28:29], v[4:5], v[28:29]
	v_add_f64 v[201:202], v[201:202], v[213:214]
	v_add_f64 v[203:204], v[203:204], v[205:206]
	s_waitcnt vmcnt(8) lgkmcnt(0)
	v_mul_f64 v[205:206], v[6:7], v[32:33]
	v_mul_f64 v[32:33], v[8:9], v[32:33]
	;; [unrolled: 18-line block ×10, first 2 shown]
	v_fma_f64 v[205:206], v[4:5], v[10:11], v[205:206]
	v_fma_f64 v[213:214], v[2:3], v[10:11], -v[12:13]
	ds_load_b128 v[2:5], v1 offset:1360
	scratch_load_b128 v[10:13], off, off offset:688
	v_add_f64 v[201:202], v[201:202], v[211:212]
	v_add_f64 v[203:204], v[203:204], v[209:210]
	v_fma_f64 v[207:208], v[8:9], v[14:15], v[207:208]
	v_fma_f64 v[211:212], v[6:7], v[14:15], -v[16:17]
	ds_load_b128 v[6:9], v1 offset:1376
	s_waitcnt vmcnt(8) lgkmcnt(1)
	v_mul_f64 v[209:210], v[2:3], v[20:21]
	v_mul_f64 v[20:21], v[4:5], v[20:21]
	scratch_load_b128 v[14:17], off, off offset:704
	v_add_f64 v[201:202], v[201:202], v[213:214]
	v_add_f64 v[203:204], v[203:204], v[205:206]
	s_waitcnt vmcnt(8) lgkmcnt(0)
	v_mul_f64 v[205:206], v[6:7], v[24:25]
	v_mul_f64 v[24:25], v[8:9], v[24:25]
	v_fma_f64 v[209:210], v[4:5], v[18:19], v[209:210]
	v_fma_f64 v[213:214], v[2:3], v[18:19], -v[20:21]
	scratch_load_b128 v[18:21], off, off offset:720
	ds_load_b128 v[2:5], v1 offset:1392
	v_add_f64 v[201:202], v[201:202], v[211:212]
	v_add_f64 v[203:204], v[203:204], v[207:208]
	v_fma_f64 v[205:206], v[8:9], v[22:23], v[205:206]
	v_fma_f64 v[211:212], v[6:7], v[22:23], -v[24:25]
	ds_load_b128 v[6:9], v1 offset:1408
	s_waitcnt vmcnt(8) lgkmcnt(1)
	v_mul_f64 v[207:208], v[2:3], v[28:29]
	v_mul_f64 v[28:29], v[4:5], v[28:29]
	scratch_load_b128 v[22:25], off, off offset:736
	v_add_f64 v[201:202], v[201:202], v[213:214]
	v_add_f64 v[203:204], v[203:204], v[209:210]
	s_waitcnt vmcnt(8) lgkmcnt(0)
	v_mul_f64 v[209:210], v[6:7], v[32:33]
	v_mul_f64 v[32:33], v[8:9], v[32:33]
	v_fma_f64 v[207:208], v[4:5], v[26:27], v[207:208]
	v_fma_f64 v[213:214], v[2:3], v[26:27], -v[28:29]
	scratch_load_b128 v[26:29], off, off offset:752
	ds_load_b128 v[2:5], v1 offset:1424
	v_add_f64 v[201:202], v[201:202], v[211:212]
	v_add_f64 v[203:204], v[203:204], v[205:206]
	v_fma_f64 v[209:210], v[8:9], v[30:31], v[209:210]
	v_fma_f64 v[211:212], v[6:7], v[30:31], -v[32:33]
	ds_load_b128 v[6:9], v1 offset:1440
	s_waitcnt vmcnt(8) lgkmcnt(1)
	v_mul_f64 v[205:206], v[2:3], v[36:37]
	v_mul_f64 v[36:37], v[4:5], v[36:37]
	scratch_load_b128 v[30:33], off, off offset:768
	v_add_f64 v[201:202], v[201:202], v[213:214]
	v_add_f64 v[203:204], v[203:204], v[207:208]
	s_waitcnt vmcnt(8) lgkmcnt(0)
	v_mul_f64 v[207:208], v[6:7], v[199:200]
	v_mul_f64 v[199:200], v[8:9], v[199:200]
	v_fma_f64 v[205:206], v[4:5], v[34:35], v[205:206]
	v_fma_f64 v[213:214], v[2:3], v[34:35], -v[36:37]
	scratch_load_b128 v[34:37], off, off offset:784
	ds_load_b128 v[2:5], v1 offset:1456
	v_add_f64 v[201:202], v[201:202], v[211:212]
	v_add_f64 v[203:204], v[203:204], v[209:210]
	v_fma_f64 v[207:208], v[8:9], v[197:198], v[207:208]
	v_fma_f64 v[197:198], v[6:7], v[197:198], -v[199:200]
	ds_load_b128 v[6:9], v1 offset:1472
	s_waitcnt vmcnt(8) lgkmcnt(1)
	v_mul_f64 v[209:210], v[2:3], v[40:41]
	v_mul_f64 v[40:41], v[4:5], v[40:41]
	v_add_f64 v[199:200], v[201:202], v[213:214]
	v_add_f64 v[201:202], v[203:204], v[205:206]
	s_waitcnt vmcnt(7) lgkmcnt(0)
	v_mul_f64 v[203:204], v[6:7], v[195:196]
	v_mul_f64 v[195:196], v[8:9], v[195:196]
	v_fma_f64 v[205:206], v[4:5], v[38:39], v[209:210]
	v_fma_f64 v[38:39], v[2:3], v[38:39], -v[40:41]
	ds_load_b128 v[2:5], v1 offset:1488
	v_add_f64 v[40:41], v[199:200], v[197:198]
	v_add_f64 v[197:198], v[201:202], v[207:208]
	v_fma_f64 v[201:202], v[8:9], v[193:194], v[203:204]
	v_fma_f64 v[193:194], v[6:7], v[193:194], -v[195:196]
	ds_load_b128 v[6:9], v1 offset:1504
	s_waitcnt vmcnt(5) lgkmcnt(0)
	v_mul_f64 v[203:204], v[6:7], v[16:17]
	v_mul_f64 v[16:17], v[8:9], v[16:17]
	v_add_f64 v[195:196], v[40:41], v[38:39]
	v_add_f64 v[197:198], v[197:198], v[205:206]
	scratch_load_b128 v[38:41], off, off offset:160
	v_mul_f64 v[199:200], v[2:3], v[12:13]
	v_mul_f64 v[12:13], v[4:5], v[12:13]
	s_delay_alu instid0(VALU_DEP_2) | instskip(NEXT) | instid1(VALU_DEP_2)
	v_fma_f64 v[199:200], v[4:5], v[10:11], v[199:200]
	v_fma_f64 v[10:11], v[2:3], v[10:11], -v[12:13]
	v_add_f64 v[12:13], v[195:196], v[193:194]
	v_add_f64 v[193:194], v[197:198], v[201:202]
	ds_load_b128 v[2:5], v1 offset:1520
	v_fma_f64 v[197:198], v[8:9], v[14:15], v[203:204]
	v_fma_f64 v[14:15], v[6:7], v[14:15], -v[16:17]
	ds_load_b128 v[6:9], v1 offset:1536
	s_waitcnt vmcnt(5) lgkmcnt(1)
	v_mul_f64 v[195:196], v[2:3], v[20:21]
	v_mul_f64 v[20:21], v[4:5], v[20:21]
	s_waitcnt vmcnt(4) lgkmcnt(0)
	v_mul_f64 v[16:17], v[6:7], v[24:25]
	v_mul_f64 v[24:25], v[8:9], v[24:25]
	v_add_f64 v[10:11], v[12:13], v[10:11]
	v_add_f64 v[12:13], v[193:194], v[199:200]
	v_fma_f64 v[193:194], v[4:5], v[18:19], v[195:196]
	v_fma_f64 v[18:19], v[2:3], v[18:19], -v[20:21]
	ds_load_b128 v[2:5], v1 offset:1552
	v_fma_f64 v[16:17], v[8:9], v[22:23], v[16:17]
	v_fma_f64 v[22:23], v[6:7], v[22:23], -v[24:25]
	ds_load_b128 v[6:9], v1 offset:1568
	v_add_f64 v[10:11], v[10:11], v[14:15]
	v_add_f64 v[12:13], v[12:13], v[197:198]
	s_waitcnt vmcnt(3) lgkmcnt(1)
	v_mul_f64 v[14:15], v[2:3], v[28:29]
	v_mul_f64 v[20:21], v[4:5], v[28:29]
	s_waitcnt vmcnt(2) lgkmcnt(0)
	v_mul_f64 v[24:25], v[8:9], v[32:33]
	v_add_f64 v[10:11], v[10:11], v[18:19]
	v_add_f64 v[12:13], v[12:13], v[193:194]
	v_mul_f64 v[18:19], v[6:7], v[32:33]
	v_fma_f64 v[14:15], v[4:5], v[26:27], v[14:15]
	v_fma_f64 v[20:21], v[2:3], v[26:27], -v[20:21]
	ds_load_b128 v[2:5], v1 offset:1584
	v_fma_f64 v[6:7], v[6:7], v[30:31], -v[24:25]
	v_add_f64 v[10:11], v[10:11], v[22:23]
	v_add_f64 v[12:13], v[12:13], v[16:17]
	s_waitcnt vmcnt(1) lgkmcnt(0)
	v_mul_f64 v[16:17], v[2:3], v[36:37]
	v_mul_f64 v[22:23], v[4:5], v[36:37]
	v_fma_f64 v[8:9], v[8:9], v[30:31], v[18:19]
	v_add_f64 v[10:11], v[10:11], v[20:21]
	v_add_f64 v[12:13], v[12:13], v[14:15]
	v_fma_f64 v[4:5], v[4:5], v[34:35], v[16:17]
	v_fma_f64 v[2:3], v[2:3], v[34:35], -v[22:23]
	s_delay_alu instid0(VALU_DEP_4) | instskip(NEXT) | instid1(VALU_DEP_4)
	v_add_f64 v[6:7], v[10:11], v[6:7]
	v_add_f64 v[8:9], v[12:13], v[8:9]
	s_delay_alu instid0(VALU_DEP_2) | instskip(NEXT) | instid1(VALU_DEP_2)
	v_add_f64 v[2:3], v[6:7], v[2:3]
	v_add_f64 v[4:5], v[8:9], v[4:5]
	s_waitcnt vmcnt(0)
	s_delay_alu instid0(VALU_DEP_2) | instskip(NEXT) | instid1(VALU_DEP_2)
	v_add_f64 v[2:3], v[38:39], -v[2:3]
	v_add_f64 v[4:5], v[40:41], -v[4:5]
	scratch_store_b128 off, v[2:5], off offset:160
	v_cmpx_lt_u32_e32 9, v142
	s_cbranch_execz .LBB113_295
; %bb.294:
	scratch_load_b128 v[5:8], v183, off
	v_mov_b32_e32 v2, v1
	v_mov_b32_e32 v3, v1
	;; [unrolled: 1-line block ×3, first 2 shown]
	scratch_store_b128 off, v[1:4], off offset:144
	s_waitcnt vmcnt(0)
	ds_store_b128 v192, v[5:8]
.LBB113_295:
	s_or_b32 exec_lo, exec_lo, s2
	s_waitcnt lgkmcnt(0)
	s_waitcnt_vscnt null, 0x0
	s_barrier
	buffer_gl0_inv
	s_clause 0x7
	scratch_load_b128 v[2:5], off, off offset:160
	scratch_load_b128 v[6:9], off, off offset:176
	;; [unrolled: 1-line block ×8, first 2 shown]
	ds_load_b128 v[38:41], v1 offset:960
	ds_load_b128 v[193:196], v1 offset:976
	s_clause 0x1
	scratch_load_b128 v[34:37], off, off offset:288
	scratch_load_b128 v[197:200], off, off offset:304
	s_mov_b32 s2, exec_lo
	s_waitcnt vmcnt(9) lgkmcnt(1)
	v_mul_f64 v[201:202], v[40:41], v[4:5]
	v_mul_f64 v[4:5], v[38:39], v[4:5]
	s_waitcnt vmcnt(8) lgkmcnt(0)
	v_mul_f64 v[203:204], v[193:194], v[8:9]
	v_mul_f64 v[8:9], v[195:196], v[8:9]
	s_delay_alu instid0(VALU_DEP_4) | instskip(NEXT) | instid1(VALU_DEP_4)
	v_fma_f64 v[201:202], v[38:39], v[2:3], -v[201:202]
	v_fma_f64 v[205:206], v[40:41], v[2:3], v[4:5]
	ds_load_b128 v[2:5], v1 offset:992
	scratch_load_b128 v[38:41], off, off offset:320
	v_fma_f64 v[203:204], v[195:196], v[6:7], v[203:204]
	v_fma_f64 v[209:210], v[193:194], v[6:7], -v[8:9]
	scratch_load_b128 v[193:196], off, off offset:336
	ds_load_b128 v[6:9], v1 offset:1008
	s_waitcnt vmcnt(9) lgkmcnt(1)
	v_mul_f64 v[207:208], v[2:3], v[12:13]
	v_mul_f64 v[12:13], v[4:5], v[12:13]
	s_waitcnt vmcnt(8) lgkmcnt(0)
	v_mul_f64 v[211:212], v[6:7], v[16:17]
	v_mul_f64 v[16:17], v[8:9], v[16:17]
	v_add_f64 v[201:202], v[201:202], 0
	v_add_f64 v[205:206], v[205:206], 0
	v_fma_f64 v[207:208], v[4:5], v[10:11], v[207:208]
	v_fma_f64 v[213:214], v[2:3], v[10:11], -v[12:13]
	ds_load_b128 v[2:5], v1 offset:1024
	scratch_load_b128 v[10:13], off, off offset:352
	v_add_f64 v[201:202], v[201:202], v[209:210]
	v_add_f64 v[203:204], v[205:206], v[203:204]
	v_fma_f64 v[209:210], v[8:9], v[14:15], v[211:212]
	v_fma_f64 v[211:212], v[6:7], v[14:15], -v[16:17]
	scratch_load_b128 v[14:17], off, off offset:368
	ds_load_b128 v[6:9], v1 offset:1040
	s_waitcnt vmcnt(9) lgkmcnt(1)
	v_mul_f64 v[205:206], v[2:3], v[20:21]
	v_mul_f64 v[20:21], v[4:5], v[20:21]
	v_add_f64 v[201:202], v[201:202], v[213:214]
	v_add_f64 v[203:204], v[203:204], v[207:208]
	s_waitcnt vmcnt(8) lgkmcnt(0)
	v_mul_f64 v[207:208], v[6:7], v[24:25]
	v_mul_f64 v[24:25], v[8:9], v[24:25]
	v_fma_f64 v[205:206], v[4:5], v[18:19], v[205:206]
	v_fma_f64 v[213:214], v[2:3], v[18:19], -v[20:21]
	ds_load_b128 v[2:5], v1 offset:1056
	scratch_load_b128 v[18:21], off, off offset:384
	v_add_f64 v[201:202], v[201:202], v[211:212]
	v_add_f64 v[203:204], v[203:204], v[209:210]
	v_fma_f64 v[207:208], v[8:9], v[22:23], v[207:208]
	v_fma_f64 v[211:212], v[6:7], v[22:23], -v[24:25]
	scratch_load_b128 v[22:25], off, off offset:400
	ds_load_b128 v[6:9], v1 offset:1072
	s_waitcnt vmcnt(9) lgkmcnt(1)
	v_mul_f64 v[209:210], v[2:3], v[28:29]
	v_mul_f64 v[28:29], v[4:5], v[28:29]
	v_add_f64 v[201:202], v[201:202], v[213:214]
	v_add_f64 v[203:204], v[203:204], v[205:206]
	s_waitcnt vmcnt(8) lgkmcnt(0)
	v_mul_f64 v[205:206], v[6:7], v[32:33]
	v_mul_f64 v[32:33], v[8:9], v[32:33]
	;; [unrolled: 18-line block ×5, first 2 shown]
	v_fma_f64 v[209:210], v[4:5], v[10:11], v[209:210]
	v_fma_f64 v[213:214], v[2:3], v[10:11], -v[12:13]
	scratch_load_b128 v[10:13], off, off offset:512
	ds_load_b128 v[2:5], v1 offset:1184
	v_add_f64 v[201:202], v[201:202], v[211:212]
	v_add_f64 v[203:204], v[203:204], v[207:208]
	v_fma_f64 v[205:206], v[8:9], v[14:15], v[205:206]
	v_fma_f64 v[211:212], v[6:7], v[14:15], -v[16:17]
	ds_load_b128 v[6:9], v1 offset:1200
	s_waitcnt vmcnt(8) lgkmcnt(1)
	v_mul_f64 v[207:208], v[2:3], v[20:21]
	v_mul_f64 v[20:21], v[4:5], v[20:21]
	scratch_load_b128 v[14:17], off, off offset:528
	v_add_f64 v[201:202], v[201:202], v[213:214]
	v_add_f64 v[203:204], v[203:204], v[209:210]
	s_waitcnt vmcnt(8) lgkmcnt(0)
	v_mul_f64 v[209:210], v[6:7], v[24:25]
	v_mul_f64 v[24:25], v[8:9], v[24:25]
	v_fma_f64 v[207:208], v[4:5], v[18:19], v[207:208]
	v_fma_f64 v[213:214], v[2:3], v[18:19], -v[20:21]
	ds_load_b128 v[2:5], v1 offset:1216
	scratch_load_b128 v[18:21], off, off offset:544
	v_add_f64 v[201:202], v[201:202], v[211:212]
	v_add_f64 v[203:204], v[203:204], v[205:206]
	v_fma_f64 v[209:210], v[8:9], v[22:23], v[209:210]
	v_fma_f64 v[211:212], v[6:7], v[22:23], -v[24:25]
	scratch_load_b128 v[22:25], off, off offset:560
	ds_load_b128 v[6:9], v1 offset:1232
	s_waitcnt vmcnt(9) lgkmcnt(1)
	v_mul_f64 v[205:206], v[2:3], v[28:29]
	v_mul_f64 v[28:29], v[4:5], v[28:29]
	v_add_f64 v[201:202], v[201:202], v[213:214]
	v_add_f64 v[203:204], v[203:204], v[207:208]
	s_waitcnt vmcnt(8) lgkmcnt(0)
	v_mul_f64 v[207:208], v[6:7], v[32:33]
	v_mul_f64 v[32:33], v[8:9], v[32:33]
	v_fma_f64 v[205:206], v[4:5], v[26:27], v[205:206]
	v_fma_f64 v[213:214], v[2:3], v[26:27], -v[28:29]
	ds_load_b128 v[2:5], v1 offset:1248
	scratch_load_b128 v[26:29], off, off offset:576
	v_add_f64 v[201:202], v[201:202], v[211:212]
	v_add_f64 v[203:204], v[203:204], v[209:210]
	v_fma_f64 v[207:208], v[8:9], v[30:31], v[207:208]
	v_fma_f64 v[211:212], v[6:7], v[30:31], -v[32:33]
	scratch_load_b128 v[30:33], off, off offset:592
	ds_load_b128 v[6:9], v1 offset:1264
	s_waitcnt vmcnt(9) lgkmcnt(1)
	v_mul_f64 v[209:210], v[2:3], v[36:37]
	v_mul_f64 v[36:37], v[4:5], v[36:37]
	;; [unrolled: 18-line block ×3, first 2 shown]
	v_add_f64 v[201:202], v[201:202], v[213:214]
	v_add_f64 v[203:204], v[203:204], v[209:210]
	s_waitcnt vmcnt(8) lgkmcnt(0)
	v_mul_f64 v[209:210], v[6:7], v[195:196]
	v_mul_f64 v[195:196], v[8:9], v[195:196]
	v_fma_f64 v[207:208], v[4:5], v[38:39], v[207:208]
	v_fma_f64 v[213:214], v[2:3], v[38:39], -v[40:41]
	ds_load_b128 v[2:5], v1 offset:1312
	scratch_load_b128 v[38:41], off, off offset:640
	v_add_f64 v[201:202], v[201:202], v[211:212]
	v_add_f64 v[203:204], v[203:204], v[205:206]
	v_fma_f64 v[209:210], v[8:9], v[193:194], v[209:210]
	v_fma_f64 v[211:212], v[6:7], v[193:194], -v[195:196]
	ds_load_b128 v[6:9], v1 offset:1328
	s_waitcnt vmcnt(8) lgkmcnt(1)
	v_mul_f64 v[205:206], v[2:3], v[12:13]
	v_mul_f64 v[12:13], v[4:5], v[12:13]
	scratch_load_b128 v[193:196], off, off offset:656
	v_add_f64 v[201:202], v[201:202], v[213:214]
	v_add_f64 v[203:204], v[203:204], v[207:208]
	s_waitcnt vmcnt(8) lgkmcnt(0)
	v_mul_f64 v[207:208], v[6:7], v[16:17]
	v_mul_f64 v[16:17], v[8:9], v[16:17]
	v_fma_f64 v[205:206], v[4:5], v[10:11], v[205:206]
	v_fma_f64 v[213:214], v[2:3], v[10:11], -v[12:13]
	scratch_load_b128 v[10:13], off, off offset:672
	ds_load_b128 v[2:5], v1 offset:1344
	v_add_f64 v[201:202], v[201:202], v[211:212]
	v_add_f64 v[203:204], v[203:204], v[209:210]
	v_fma_f64 v[207:208], v[8:9], v[14:15], v[207:208]
	v_fma_f64 v[211:212], v[6:7], v[14:15], -v[16:17]
	ds_load_b128 v[6:9], v1 offset:1360
	s_waitcnt vmcnt(8) lgkmcnt(1)
	v_mul_f64 v[209:210], v[2:3], v[20:21]
	v_mul_f64 v[20:21], v[4:5], v[20:21]
	scratch_load_b128 v[14:17], off, off offset:688
	v_add_f64 v[201:202], v[201:202], v[213:214]
	v_add_f64 v[203:204], v[203:204], v[205:206]
	s_waitcnt vmcnt(8) lgkmcnt(0)
	v_mul_f64 v[205:206], v[6:7], v[24:25]
	v_mul_f64 v[24:25], v[8:9], v[24:25]
	v_fma_f64 v[209:210], v[4:5], v[18:19], v[209:210]
	v_fma_f64 v[213:214], v[2:3], v[18:19], -v[20:21]
	scratch_load_b128 v[18:21], off, off offset:704
	ds_load_b128 v[2:5], v1 offset:1376
	;; [unrolled: 18-line block ×4, first 2 shown]
	v_add_f64 v[201:202], v[201:202], v[211:212]
	v_add_f64 v[203:204], v[203:204], v[209:210]
	v_fma_f64 v[207:208], v[8:9], v[197:198], v[207:208]
	v_fma_f64 v[211:212], v[6:7], v[197:198], -v[199:200]
	ds_load_b128 v[6:9], v1 offset:1456
	s_waitcnt vmcnt(8) lgkmcnt(1)
	v_mul_f64 v[209:210], v[2:3], v[40:41]
	v_mul_f64 v[40:41], v[4:5], v[40:41]
	scratch_load_b128 v[197:200], off, off offset:784
	v_add_f64 v[201:202], v[201:202], v[213:214]
	v_add_f64 v[203:204], v[203:204], v[205:206]
	v_fma_f64 v[209:210], v[4:5], v[38:39], v[209:210]
	v_fma_f64 v[38:39], v[2:3], v[38:39], -v[40:41]
	ds_load_b128 v[2:5], v1 offset:1472
	v_add_f64 v[40:41], v[201:202], v[211:212]
	v_add_f64 v[201:202], v[203:204], v[207:208]
	s_waitcnt vmcnt(7) lgkmcnt(0)
	v_mul_f64 v[203:204], v[2:3], v[12:13]
	v_mul_f64 v[12:13], v[4:5], v[12:13]
	s_delay_alu instid0(VALU_DEP_4) | instskip(NEXT) | instid1(VALU_DEP_4)
	v_add_f64 v[38:39], v[40:41], v[38:39]
	v_add_f64 v[40:41], v[201:202], v[209:210]
	s_delay_alu instid0(VALU_DEP_4) | instskip(NEXT) | instid1(VALU_DEP_4)
	v_fma_f64 v[201:202], v[4:5], v[10:11], v[203:204]
	v_fma_f64 v[203:204], v[2:3], v[10:11], -v[12:13]
	scratch_load_b128 v[10:13], off, off offset:144
	v_mul_f64 v[205:206], v[6:7], v[195:196]
	v_mul_f64 v[195:196], v[8:9], v[195:196]
	ds_load_b128 v[2:5], v1 offset:1504
	v_fma_f64 v[205:206], v[8:9], v[193:194], v[205:206]
	v_fma_f64 v[193:194], v[6:7], v[193:194], -v[195:196]
	ds_load_b128 v[6:9], v1 offset:1488
	s_waitcnt vmcnt(7) lgkmcnt(0)
	v_mul_f64 v[195:196], v[6:7], v[16:17]
	v_mul_f64 v[16:17], v[8:9], v[16:17]
	v_add_f64 v[40:41], v[40:41], v[205:206]
	v_add_f64 v[38:39], v[38:39], v[193:194]
	s_waitcnt vmcnt(6)
	v_mul_f64 v[193:194], v[2:3], v[20:21]
	v_mul_f64 v[20:21], v[4:5], v[20:21]
	v_fma_f64 v[195:196], v[8:9], v[14:15], v[195:196]
	v_fma_f64 v[14:15], v[6:7], v[14:15], -v[16:17]
	ds_load_b128 v[6:9], v1 offset:1520
	v_add_f64 v[16:17], v[38:39], v[203:204]
	v_add_f64 v[38:39], v[40:41], v[201:202]
	v_fma_f64 v[193:194], v[4:5], v[18:19], v[193:194]
	v_fma_f64 v[18:19], v[2:3], v[18:19], -v[20:21]
	ds_load_b128 v[2:5], v1 offset:1536
	s_waitcnt vmcnt(5) lgkmcnt(1)
	v_mul_f64 v[40:41], v[6:7], v[24:25]
	v_mul_f64 v[24:25], v[8:9], v[24:25]
	s_waitcnt vmcnt(4) lgkmcnt(0)
	v_mul_f64 v[20:21], v[2:3], v[28:29]
	v_mul_f64 v[28:29], v[4:5], v[28:29]
	v_add_f64 v[14:15], v[16:17], v[14:15]
	v_add_f64 v[16:17], v[38:39], v[195:196]
	v_fma_f64 v[38:39], v[8:9], v[22:23], v[40:41]
	v_fma_f64 v[22:23], v[6:7], v[22:23], -v[24:25]
	ds_load_b128 v[6:9], v1 offset:1552
	v_fma_f64 v[20:21], v[4:5], v[26:27], v[20:21]
	v_fma_f64 v[26:27], v[2:3], v[26:27], -v[28:29]
	ds_load_b128 v[2:5], v1 offset:1568
	s_waitcnt vmcnt(3) lgkmcnt(1)
	v_mul_f64 v[24:25], v[8:9], v[32:33]
	v_add_f64 v[14:15], v[14:15], v[18:19]
	v_add_f64 v[16:17], v[16:17], v[193:194]
	v_mul_f64 v[18:19], v[6:7], v[32:33]
	s_waitcnt vmcnt(2) lgkmcnt(0)
	v_mul_f64 v[28:29], v[4:5], v[36:37]
	v_fma_f64 v[24:25], v[6:7], v[30:31], -v[24:25]
	v_add_f64 v[14:15], v[14:15], v[22:23]
	v_add_f64 v[16:17], v[16:17], v[38:39]
	v_mul_f64 v[22:23], v[2:3], v[36:37]
	v_fma_f64 v[18:19], v[8:9], v[30:31], v[18:19]
	ds_load_b128 v[6:9], v1 offset:1584
	v_fma_f64 v[1:2], v[2:3], v[34:35], -v[28:29]
	v_add_f64 v[14:15], v[14:15], v[26:27]
	v_add_f64 v[16:17], v[16:17], v[20:21]
	s_waitcnt vmcnt(1) lgkmcnt(0)
	v_mul_f64 v[20:21], v[6:7], v[199:200]
	v_mul_f64 v[26:27], v[8:9], v[199:200]
	v_fma_f64 v[4:5], v[4:5], v[34:35], v[22:23]
	v_add_f64 v[14:15], v[14:15], v[24:25]
	v_add_f64 v[16:17], v[16:17], v[18:19]
	v_fma_f64 v[8:9], v[8:9], v[197:198], v[20:21]
	v_fma_f64 v[6:7], v[6:7], v[197:198], -v[26:27]
	s_delay_alu instid0(VALU_DEP_4) | instskip(NEXT) | instid1(VALU_DEP_4)
	v_add_f64 v[1:2], v[14:15], v[1:2]
	v_add_f64 v[3:4], v[16:17], v[4:5]
	s_delay_alu instid0(VALU_DEP_2) | instskip(NEXT) | instid1(VALU_DEP_2)
	v_add_f64 v[1:2], v[1:2], v[6:7]
	v_add_f64 v[3:4], v[3:4], v[8:9]
	s_waitcnt vmcnt(0)
	s_delay_alu instid0(VALU_DEP_2) | instskip(NEXT) | instid1(VALU_DEP_2)
	v_add_f64 v[1:2], v[10:11], -v[1:2]
	v_add_f64 v[3:4], v[12:13], -v[3:4]
	scratch_store_b128 off, v[1:4], off offset:144
	v_cmpx_lt_u32_e32 8, v142
	s_cbranch_execz .LBB113_297
; %bb.296:
	scratch_load_b128 v[1:4], v184, off
	v_mov_b32_e32 v5, 0
	s_delay_alu instid0(VALU_DEP_1)
	v_mov_b32_e32 v6, v5
	v_mov_b32_e32 v7, v5
	v_mov_b32_e32 v8, v5
	scratch_store_b128 off, v[5:8], off offset:128
	s_waitcnt vmcnt(0)
	ds_store_b128 v192, v[1:4]
.LBB113_297:
	s_or_b32 exec_lo, exec_lo, s2
	s_waitcnt lgkmcnt(0)
	s_waitcnt_vscnt null, 0x0
	s_barrier
	buffer_gl0_inv
	s_clause 0x7
	scratch_load_b128 v[2:5], off, off offset:144
	scratch_load_b128 v[6:9], off, off offset:160
	;; [unrolled: 1-line block ×8, first 2 shown]
	v_mov_b32_e32 v1, 0
	s_clause 0x1
	scratch_load_b128 v[34:37], off, off offset:272
	scratch_load_b128 v[197:200], off, off offset:288
	s_mov_b32 s2, exec_lo
	ds_load_b128 v[38:41], v1 offset:944
	ds_load_b128 v[193:196], v1 offset:960
	s_waitcnt vmcnt(9) lgkmcnt(1)
	v_mul_f64 v[201:202], v[40:41], v[4:5]
	v_mul_f64 v[4:5], v[38:39], v[4:5]
	s_waitcnt vmcnt(8) lgkmcnt(0)
	v_mul_f64 v[203:204], v[193:194], v[8:9]
	v_mul_f64 v[8:9], v[195:196], v[8:9]
	s_delay_alu instid0(VALU_DEP_4) | instskip(NEXT) | instid1(VALU_DEP_4)
	v_fma_f64 v[201:202], v[38:39], v[2:3], -v[201:202]
	v_fma_f64 v[205:206], v[40:41], v[2:3], v[4:5]
	ds_load_b128 v[2:5], v1 offset:976
	scratch_load_b128 v[38:41], off, off offset:304
	v_fma_f64 v[203:204], v[195:196], v[6:7], v[203:204]
	v_fma_f64 v[209:210], v[193:194], v[6:7], -v[8:9]
	scratch_load_b128 v[193:196], off, off offset:320
	ds_load_b128 v[6:9], v1 offset:992
	s_waitcnt vmcnt(9) lgkmcnt(1)
	v_mul_f64 v[207:208], v[2:3], v[12:13]
	v_mul_f64 v[12:13], v[4:5], v[12:13]
	s_waitcnt vmcnt(8) lgkmcnt(0)
	v_mul_f64 v[211:212], v[6:7], v[16:17]
	v_mul_f64 v[16:17], v[8:9], v[16:17]
	v_add_f64 v[201:202], v[201:202], 0
	v_add_f64 v[205:206], v[205:206], 0
	v_fma_f64 v[207:208], v[4:5], v[10:11], v[207:208]
	v_fma_f64 v[213:214], v[2:3], v[10:11], -v[12:13]
	ds_load_b128 v[2:5], v1 offset:1008
	scratch_load_b128 v[10:13], off, off offset:336
	v_add_f64 v[201:202], v[201:202], v[209:210]
	v_add_f64 v[203:204], v[205:206], v[203:204]
	v_fma_f64 v[209:210], v[8:9], v[14:15], v[211:212]
	v_fma_f64 v[211:212], v[6:7], v[14:15], -v[16:17]
	scratch_load_b128 v[14:17], off, off offset:352
	ds_load_b128 v[6:9], v1 offset:1024
	s_waitcnt vmcnt(9) lgkmcnt(1)
	v_mul_f64 v[205:206], v[2:3], v[20:21]
	v_mul_f64 v[20:21], v[4:5], v[20:21]
	v_add_f64 v[201:202], v[201:202], v[213:214]
	v_add_f64 v[203:204], v[203:204], v[207:208]
	s_waitcnt vmcnt(8) lgkmcnt(0)
	v_mul_f64 v[207:208], v[6:7], v[24:25]
	v_mul_f64 v[24:25], v[8:9], v[24:25]
	v_fma_f64 v[205:206], v[4:5], v[18:19], v[205:206]
	v_fma_f64 v[213:214], v[2:3], v[18:19], -v[20:21]
	ds_load_b128 v[2:5], v1 offset:1040
	scratch_load_b128 v[18:21], off, off offset:368
	v_add_f64 v[201:202], v[201:202], v[211:212]
	v_add_f64 v[203:204], v[203:204], v[209:210]
	v_fma_f64 v[207:208], v[8:9], v[22:23], v[207:208]
	v_fma_f64 v[211:212], v[6:7], v[22:23], -v[24:25]
	scratch_load_b128 v[22:25], off, off offset:384
	ds_load_b128 v[6:9], v1 offset:1056
	s_waitcnt vmcnt(9) lgkmcnt(1)
	v_mul_f64 v[209:210], v[2:3], v[28:29]
	v_mul_f64 v[28:29], v[4:5], v[28:29]
	v_add_f64 v[201:202], v[201:202], v[213:214]
	v_add_f64 v[203:204], v[203:204], v[205:206]
	s_waitcnt vmcnt(8) lgkmcnt(0)
	v_mul_f64 v[205:206], v[6:7], v[32:33]
	v_mul_f64 v[32:33], v[8:9], v[32:33]
	;; [unrolled: 18-line block ×11, first 2 shown]
	v_fma_f64 v[209:210], v[4:5], v[18:19], v[209:210]
	v_fma_f64 v[213:214], v[2:3], v[18:19], -v[20:21]
	ds_load_b128 v[2:5], v1 offset:1360
	scratch_load_b128 v[18:21], off, off offset:688
	v_add_f64 v[201:202], v[201:202], v[211:212]
	v_add_f64 v[203:204], v[203:204], v[207:208]
	v_fma_f64 v[205:206], v[8:9], v[22:23], v[205:206]
	v_fma_f64 v[211:212], v[6:7], v[22:23], -v[24:25]
	ds_load_b128 v[6:9], v1 offset:1376
	s_waitcnt vmcnt(8) lgkmcnt(1)
	v_mul_f64 v[207:208], v[2:3], v[28:29]
	v_mul_f64 v[28:29], v[4:5], v[28:29]
	scratch_load_b128 v[22:25], off, off offset:704
	v_add_f64 v[201:202], v[201:202], v[213:214]
	v_add_f64 v[203:204], v[203:204], v[209:210]
	s_waitcnt vmcnt(8) lgkmcnt(0)
	v_mul_f64 v[209:210], v[6:7], v[32:33]
	v_mul_f64 v[32:33], v[8:9], v[32:33]
	v_fma_f64 v[207:208], v[4:5], v[26:27], v[207:208]
	v_fma_f64 v[213:214], v[2:3], v[26:27], -v[28:29]
	scratch_load_b128 v[26:29], off, off offset:720
	ds_load_b128 v[2:5], v1 offset:1392
	v_add_f64 v[201:202], v[201:202], v[211:212]
	v_add_f64 v[203:204], v[203:204], v[205:206]
	v_fma_f64 v[209:210], v[8:9], v[30:31], v[209:210]
	v_fma_f64 v[211:212], v[6:7], v[30:31], -v[32:33]
	ds_load_b128 v[6:9], v1 offset:1408
	s_waitcnt vmcnt(8) lgkmcnt(1)
	v_mul_f64 v[205:206], v[2:3], v[36:37]
	v_mul_f64 v[36:37], v[4:5], v[36:37]
	scratch_load_b128 v[30:33], off, off offset:736
	v_add_f64 v[201:202], v[201:202], v[213:214]
	v_add_f64 v[203:204], v[203:204], v[207:208]
	s_waitcnt vmcnt(8) lgkmcnt(0)
	v_mul_f64 v[207:208], v[6:7], v[199:200]
	v_mul_f64 v[199:200], v[8:9], v[199:200]
	v_fma_f64 v[205:206], v[4:5], v[34:35], v[205:206]
	v_fma_f64 v[213:214], v[2:3], v[34:35], -v[36:37]
	scratch_load_b128 v[34:37], off, off offset:752
	ds_load_b128 v[2:5], v1 offset:1424
	;; [unrolled: 18-line block ×3, first 2 shown]
	v_add_f64 v[201:202], v[201:202], v[211:212]
	v_add_f64 v[203:204], v[203:204], v[207:208]
	v_fma_f64 v[205:206], v[8:9], v[193:194], v[205:206]
	v_fma_f64 v[193:194], v[6:7], v[193:194], -v[195:196]
	ds_load_b128 v[6:9], v1 offset:1472
	s_waitcnt vmcnt(8) lgkmcnt(1)
	v_mul_f64 v[207:208], v[2:3], v[12:13]
	v_mul_f64 v[12:13], v[4:5], v[12:13]
	v_add_f64 v[195:196], v[201:202], v[213:214]
	v_add_f64 v[201:202], v[203:204], v[209:210]
	s_waitcnt vmcnt(7) lgkmcnt(0)
	v_mul_f64 v[203:204], v[6:7], v[16:17]
	v_mul_f64 v[16:17], v[8:9], v[16:17]
	v_fma_f64 v[207:208], v[4:5], v[10:11], v[207:208]
	v_fma_f64 v[10:11], v[2:3], v[10:11], -v[12:13]
	ds_load_b128 v[2:5], v1 offset:1488
	v_add_f64 v[12:13], v[195:196], v[193:194]
	v_add_f64 v[193:194], v[201:202], v[205:206]
	v_fma_f64 v[201:202], v[8:9], v[14:15], v[203:204]
	v_fma_f64 v[14:15], v[6:7], v[14:15], -v[16:17]
	ds_load_b128 v[6:9], v1 offset:1504
	s_waitcnt vmcnt(5) lgkmcnt(0)
	v_mul_f64 v[203:204], v[6:7], v[24:25]
	v_mul_f64 v[24:25], v[8:9], v[24:25]
	v_add_f64 v[16:17], v[12:13], v[10:11]
	v_add_f64 v[193:194], v[193:194], v[207:208]
	scratch_load_b128 v[10:13], off, off offset:128
	v_mul_f64 v[195:196], v[2:3], v[20:21]
	v_mul_f64 v[20:21], v[4:5], v[20:21]
	v_add_f64 v[14:15], v[16:17], v[14:15]
	v_add_f64 v[16:17], v[193:194], v[201:202]
	v_fma_f64 v[193:194], v[8:9], v[22:23], v[203:204]
	v_fma_f64 v[195:196], v[4:5], v[18:19], v[195:196]
	v_fma_f64 v[18:19], v[2:3], v[18:19], -v[20:21]
	ds_load_b128 v[2:5], v1 offset:1520
	v_fma_f64 v[22:23], v[6:7], v[22:23], -v[24:25]
	ds_load_b128 v[6:9], v1 offset:1536
	s_waitcnt vmcnt(5) lgkmcnt(1)
	v_mul_f64 v[20:21], v[2:3], v[28:29]
	v_mul_f64 v[28:29], v[4:5], v[28:29]
	s_waitcnt vmcnt(4) lgkmcnt(0)
	v_mul_f64 v[24:25], v[8:9], v[32:33]
	v_add_f64 v[16:17], v[16:17], v[195:196]
	v_add_f64 v[14:15], v[14:15], v[18:19]
	v_mul_f64 v[18:19], v[6:7], v[32:33]
	v_fma_f64 v[20:21], v[4:5], v[26:27], v[20:21]
	v_fma_f64 v[26:27], v[2:3], v[26:27], -v[28:29]
	ds_load_b128 v[2:5], v1 offset:1552
	v_fma_f64 v[24:25], v[6:7], v[30:31], -v[24:25]
	v_add_f64 v[16:17], v[16:17], v[193:194]
	v_add_f64 v[14:15], v[14:15], v[22:23]
	v_fma_f64 v[18:19], v[8:9], v[30:31], v[18:19]
	ds_load_b128 v[6:9], v1 offset:1568
	s_waitcnt vmcnt(3) lgkmcnt(1)
	v_mul_f64 v[22:23], v[2:3], v[36:37]
	v_mul_f64 v[28:29], v[4:5], v[36:37]
	v_add_f64 v[16:17], v[16:17], v[20:21]
	v_add_f64 v[14:15], v[14:15], v[26:27]
	s_waitcnt vmcnt(2) lgkmcnt(0)
	v_mul_f64 v[20:21], v[6:7], v[199:200]
	v_mul_f64 v[26:27], v[8:9], v[199:200]
	v_fma_f64 v[22:23], v[4:5], v[34:35], v[22:23]
	v_fma_f64 v[28:29], v[2:3], v[34:35], -v[28:29]
	ds_load_b128 v[2:5], v1 offset:1584
	v_add_f64 v[16:17], v[16:17], v[18:19]
	v_add_f64 v[14:15], v[14:15], v[24:25]
	s_waitcnt vmcnt(1) lgkmcnt(0)
	v_mul_f64 v[18:19], v[2:3], v[40:41]
	v_mul_f64 v[24:25], v[4:5], v[40:41]
	v_fma_f64 v[8:9], v[8:9], v[197:198], v[20:21]
	v_fma_f64 v[6:7], v[6:7], v[197:198], -v[26:27]
	v_add_f64 v[16:17], v[16:17], v[22:23]
	v_add_f64 v[14:15], v[14:15], v[28:29]
	v_fma_f64 v[4:5], v[4:5], v[38:39], v[18:19]
	v_fma_f64 v[2:3], v[2:3], v[38:39], -v[24:25]
	s_delay_alu instid0(VALU_DEP_4) | instskip(NEXT) | instid1(VALU_DEP_4)
	v_add_f64 v[8:9], v[16:17], v[8:9]
	v_add_f64 v[6:7], v[14:15], v[6:7]
	s_delay_alu instid0(VALU_DEP_2) | instskip(NEXT) | instid1(VALU_DEP_2)
	v_add_f64 v[4:5], v[8:9], v[4:5]
	v_add_f64 v[2:3], v[6:7], v[2:3]
	s_waitcnt vmcnt(0)
	s_delay_alu instid0(VALU_DEP_2) | instskip(NEXT) | instid1(VALU_DEP_2)
	v_add_f64 v[4:5], v[12:13], -v[4:5]
	v_add_f64 v[2:3], v[10:11], -v[2:3]
	scratch_store_b128 off, v[2:5], off offset:128
	v_cmpx_lt_u32_e32 7, v142
	s_cbranch_execz .LBB113_299
; %bb.298:
	scratch_load_b128 v[5:8], v185, off
	v_mov_b32_e32 v2, v1
	v_mov_b32_e32 v3, v1
	;; [unrolled: 1-line block ×3, first 2 shown]
	scratch_store_b128 off, v[1:4], off offset:112
	s_waitcnt vmcnt(0)
	ds_store_b128 v192, v[5:8]
.LBB113_299:
	s_or_b32 exec_lo, exec_lo, s2
	s_waitcnt lgkmcnt(0)
	s_waitcnt_vscnt null, 0x0
	s_barrier
	buffer_gl0_inv
	s_clause 0x7
	scratch_load_b128 v[2:5], off, off offset:128
	scratch_load_b128 v[6:9], off, off offset:144
	;; [unrolled: 1-line block ×8, first 2 shown]
	ds_load_b128 v[38:41], v1 offset:928
	ds_load_b128 v[193:196], v1 offset:944
	s_clause 0x1
	scratch_load_b128 v[34:37], off, off offset:256
	scratch_load_b128 v[197:200], off, off offset:272
	s_mov_b32 s2, exec_lo
	s_waitcnt vmcnt(9) lgkmcnt(1)
	v_mul_f64 v[201:202], v[40:41], v[4:5]
	v_mul_f64 v[4:5], v[38:39], v[4:5]
	s_waitcnt vmcnt(8) lgkmcnt(0)
	v_mul_f64 v[203:204], v[193:194], v[8:9]
	v_mul_f64 v[8:9], v[195:196], v[8:9]
	s_delay_alu instid0(VALU_DEP_4) | instskip(NEXT) | instid1(VALU_DEP_4)
	v_fma_f64 v[201:202], v[38:39], v[2:3], -v[201:202]
	v_fma_f64 v[205:206], v[40:41], v[2:3], v[4:5]
	ds_load_b128 v[2:5], v1 offset:960
	scratch_load_b128 v[38:41], off, off offset:288
	v_fma_f64 v[203:204], v[195:196], v[6:7], v[203:204]
	v_fma_f64 v[209:210], v[193:194], v[6:7], -v[8:9]
	scratch_load_b128 v[193:196], off, off offset:304
	ds_load_b128 v[6:9], v1 offset:976
	s_waitcnt vmcnt(9) lgkmcnt(1)
	v_mul_f64 v[207:208], v[2:3], v[12:13]
	v_mul_f64 v[12:13], v[4:5], v[12:13]
	s_waitcnt vmcnt(8) lgkmcnt(0)
	v_mul_f64 v[211:212], v[6:7], v[16:17]
	v_mul_f64 v[16:17], v[8:9], v[16:17]
	v_add_f64 v[201:202], v[201:202], 0
	v_add_f64 v[205:206], v[205:206], 0
	v_fma_f64 v[207:208], v[4:5], v[10:11], v[207:208]
	v_fma_f64 v[213:214], v[2:3], v[10:11], -v[12:13]
	ds_load_b128 v[2:5], v1 offset:992
	scratch_load_b128 v[10:13], off, off offset:320
	v_add_f64 v[201:202], v[201:202], v[209:210]
	v_add_f64 v[203:204], v[205:206], v[203:204]
	v_fma_f64 v[209:210], v[8:9], v[14:15], v[211:212]
	v_fma_f64 v[211:212], v[6:7], v[14:15], -v[16:17]
	scratch_load_b128 v[14:17], off, off offset:336
	ds_load_b128 v[6:9], v1 offset:1008
	s_waitcnt vmcnt(9) lgkmcnt(1)
	v_mul_f64 v[205:206], v[2:3], v[20:21]
	v_mul_f64 v[20:21], v[4:5], v[20:21]
	v_add_f64 v[201:202], v[201:202], v[213:214]
	v_add_f64 v[203:204], v[203:204], v[207:208]
	s_waitcnt vmcnt(8) lgkmcnt(0)
	v_mul_f64 v[207:208], v[6:7], v[24:25]
	v_mul_f64 v[24:25], v[8:9], v[24:25]
	v_fma_f64 v[205:206], v[4:5], v[18:19], v[205:206]
	v_fma_f64 v[213:214], v[2:3], v[18:19], -v[20:21]
	ds_load_b128 v[2:5], v1 offset:1024
	scratch_load_b128 v[18:21], off, off offset:352
	v_add_f64 v[201:202], v[201:202], v[211:212]
	v_add_f64 v[203:204], v[203:204], v[209:210]
	v_fma_f64 v[207:208], v[8:9], v[22:23], v[207:208]
	v_fma_f64 v[211:212], v[6:7], v[22:23], -v[24:25]
	scratch_load_b128 v[22:25], off, off offset:368
	ds_load_b128 v[6:9], v1 offset:1040
	s_waitcnt vmcnt(9) lgkmcnt(1)
	v_mul_f64 v[209:210], v[2:3], v[28:29]
	v_mul_f64 v[28:29], v[4:5], v[28:29]
	v_add_f64 v[201:202], v[201:202], v[213:214]
	v_add_f64 v[203:204], v[203:204], v[205:206]
	s_waitcnt vmcnt(8) lgkmcnt(0)
	v_mul_f64 v[205:206], v[6:7], v[32:33]
	v_mul_f64 v[32:33], v[8:9], v[32:33]
	;; [unrolled: 18-line block ×11, first 2 shown]
	v_fma_f64 v[209:210], v[4:5], v[18:19], v[209:210]
	v_fma_f64 v[213:214], v[2:3], v[18:19], -v[20:21]
	ds_load_b128 v[2:5], v1 offset:1344
	scratch_load_b128 v[18:21], off, off offset:672
	v_add_f64 v[201:202], v[201:202], v[211:212]
	v_add_f64 v[203:204], v[203:204], v[207:208]
	v_fma_f64 v[205:206], v[8:9], v[22:23], v[205:206]
	v_fma_f64 v[211:212], v[6:7], v[22:23], -v[24:25]
	ds_load_b128 v[6:9], v1 offset:1360
	s_waitcnt vmcnt(8) lgkmcnt(1)
	v_mul_f64 v[207:208], v[2:3], v[28:29]
	v_mul_f64 v[28:29], v[4:5], v[28:29]
	scratch_load_b128 v[22:25], off, off offset:688
	v_add_f64 v[201:202], v[201:202], v[213:214]
	v_add_f64 v[203:204], v[203:204], v[209:210]
	s_waitcnt vmcnt(8) lgkmcnt(0)
	v_mul_f64 v[209:210], v[6:7], v[32:33]
	v_mul_f64 v[32:33], v[8:9], v[32:33]
	v_fma_f64 v[207:208], v[4:5], v[26:27], v[207:208]
	v_fma_f64 v[213:214], v[2:3], v[26:27], -v[28:29]
	ds_load_b128 v[2:5], v1 offset:1376
	scratch_load_b128 v[26:29], off, off offset:704
	v_add_f64 v[201:202], v[201:202], v[211:212]
	v_add_f64 v[203:204], v[203:204], v[205:206]
	v_fma_f64 v[209:210], v[8:9], v[30:31], v[209:210]
	v_fma_f64 v[211:212], v[6:7], v[30:31], -v[32:33]
	ds_load_b128 v[6:9], v1 offset:1392
	s_waitcnt vmcnt(8) lgkmcnt(1)
	v_mul_f64 v[205:206], v[2:3], v[36:37]
	v_mul_f64 v[36:37], v[4:5], v[36:37]
	scratch_load_b128 v[30:33], off, off offset:720
	v_add_f64 v[201:202], v[201:202], v[213:214]
	v_add_f64 v[203:204], v[203:204], v[207:208]
	s_waitcnt vmcnt(8) lgkmcnt(0)
	v_mul_f64 v[207:208], v[6:7], v[199:200]
	v_mul_f64 v[199:200], v[8:9], v[199:200]
	v_fma_f64 v[205:206], v[4:5], v[34:35], v[205:206]
	v_fma_f64 v[213:214], v[2:3], v[34:35], -v[36:37]
	scratch_load_b128 v[34:37], off, off offset:736
	ds_load_b128 v[2:5], v1 offset:1408
	v_add_f64 v[201:202], v[201:202], v[211:212]
	v_add_f64 v[203:204], v[203:204], v[209:210]
	v_fma_f64 v[207:208], v[8:9], v[197:198], v[207:208]
	v_fma_f64 v[211:212], v[6:7], v[197:198], -v[199:200]
	ds_load_b128 v[6:9], v1 offset:1424
	s_waitcnt vmcnt(8) lgkmcnt(1)
	v_mul_f64 v[209:210], v[2:3], v[40:41]
	v_mul_f64 v[40:41], v[4:5], v[40:41]
	scratch_load_b128 v[197:200], off, off offset:752
	v_add_f64 v[201:202], v[201:202], v[213:214]
	v_add_f64 v[203:204], v[203:204], v[205:206]
	s_waitcnt vmcnt(8) lgkmcnt(0)
	v_mul_f64 v[205:206], v[6:7], v[195:196]
	v_mul_f64 v[195:196], v[8:9], v[195:196]
	v_fma_f64 v[209:210], v[4:5], v[38:39], v[209:210]
	v_fma_f64 v[213:214], v[2:3], v[38:39], -v[40:41]
	scratch_load_b128 v[38:41], off, off offset:768
	ds_load_b128 v[2:5], v1 offset:1440
	v_add_f64 v[201:202], v[201:202], v[211:212]
	v_add_f64 v[203:204], v[203:204], v[207:208]
	v_fma_f64 v[205:206], v[8:9], v[193:194], v[205:206]
	v_fma_f64 v[211:212], v[6:7], v[193:194], -v[195:196]
	ds_load_b128 v[6:9], v1 offset:1456
	s_waitcnt vmcnt(8) lgkmcnt(1)
	v_mul_f64 v[207:208], v[2:3], v[12:13]
	v_mul_f64 v[12:13], v[4:5], v[12:13]
	scratch_load_b128 v[193:196], off, off offset:784
	v_add_f64 v[201:202], v[201:202], v[213:214]
	v_add_f64 v[203:204], v[203:204], v[209:210]
	s_waitcnt vmcnt(8) lgkmcnt(0)
	v_mul_f64 v[209:210], v[6:7], v[16:17]
	v_mul_f64 v[16:17], v[8:9], v[16:17]
	v_fma_f64 v[207:208], v[4:5], v[10:11], v[207:208]
	v_fma_f64 v[10:11], v[2:3], v[10:11], -v[12:13]
	ds_load_b128 v[2:5], v1 offset:1472
	v_add_f64 v[12:13], v[201:202], v[211:212]
	v_add_f64 v[201:202], v[203:204], v[205:206]
	v_fma_f64 v[205:206], v[8:9], v[14:15], v[209:210]
	v_fma_f64 v[14:15], v[6:7], v[14:15], -v[16:17]
	ds_load_b128 v[6:9], v1 offset:1488
	s_waitcnt vmcnt(7) lgkmcnt(1)
	v_mul_f64 v[203:204], v[2:3], v[20:21]
	v_mul_f64 v[20:21], v[4:5], v[20:21]
	v_add_f64 v[10:11], v[12:13], v[10:11]
	v_add_f64 v[12:13], v[201:202], v[207:208]
	s_delay_alu instid0(VALU_DEP_4) | instskip(NEXT) | instid1(VALU_DEP_4)
	v_fma_f64 v[201:202], v[4:5], v[18:19], v[203:204]
	v_fma_f64 v[18:19], v[2:3], v[18:19], -v[20:21]
	ds_load_b128 v[2:5], v1 offset:1504
	v_add_f64 v[14:15], v[10:11], v[14:15]
	v_add_f64 v[20:21], v[12:13], v[205:206]
	scratch_load_b128 v[10:13], off, off offset:112
	s_waitcnt vmcnt(7) lgkmcnt(1)
	v_mul_f64 v[16:17], v[6:7], v[24:25]
	v_mul_f64 v[24:25], v[8:9], v[24:25]
	v_add_f64 v[14:15], v[14:15], v[18:19]
	v_add_f64 v[18:19], v[20:21], v[201:202]
	s_delay_alu instid0(VALU_DEP_4) | instskip(NEXT) | instid1(VALU_DEP_4)
	v_fma_f64 v[16:17], v[8:9], v[22:23], v[16:17]
	v_fma_f64 v[22:23], v[6:7], v[22:23], -v[24:25]
	ds_load_b128 v[6:9], v1 offset:1520
	s_waitcnt vmcnt(6) lgkmcnt(1)
	v_mul_f64 v[203:204], v[2:3], v[28:29]
	v_mul_f64 v[28:29], v[4:5], v[28:29]
	s_waitcnt vmcnt(5) lgkmcnt(0)
	v_mul_f64 v[20:21], v[6:7], v[32:33]
	v_mul_f64 v[24:25], v[8:9], v[32:33]
	v_add_f64 v[16:17], v[18:19], v[16:17]
	v_add_f64 v[14:15], v[14:15], v[22:23]
	v_fma_f64 v[32:33], v[4:5], v[26:27], v[203:204]
	v_fma_f64 v[26:27], v[2:3], v[26:27], -v[28:29]
	ds_load_b128 v[2:5], v1 offset:1536
	v_fma_f64 v[20:21], v[8:9], v[30:31], v[20:21]
	v_fma_f64 v[24:25], v[6:7], v[30:31], -v[24:25]
	ds_load_b128 v[6:9], v1 offset:1552
	s_waitcnt vmcnt(4) lgkmcnt(1)
	v_mul_f64 v[18:19], v[2:3], v[36:37]
	v_mul_f64 v[22:23], v[4:5], v[36:37]
	v_add_f64 v[16:17], v[16:17], v[32:33]
	v_add_f64 v[14:15], v[14:15], v[26:27]
	s_waitcnt vmcnt(3) lgkmcnt(0)
	v_mul_f64 v[26:27], v[6:7], v[199:200]
	v_mul_f64 v[28:29], v[8:9], v[199:200]
	v_fma_f64 v[18:19], v[4:5], v[34:35], v[18:19]
	v_fma_f64 v[22:23], v[2:3], v[34:35], -v[22:23]
	ds_load_b128 v[2:5], v1 offset:1568
	v_add_f64 v[16:17], v[16:17], v[20:21]
	v_add_f64 v[14:15], v[14:15], v[24:25]
	v_fma_f64 v[26:27], v[8:9], v[197:198], v[26:27]
	v_fma_f64 v[28:29], v[6:7], v[197:198], -v[28:29]
	ds_load_b128 v[6:9], v1 offset:1584
	s_waitcnt vmcnt(2) lgkmcnt(1)
	v_mul_f64 v[20:21], v[2:3], v[40:41]
	v_mul_f64 v[24:25], v[4:5], v[40:41]
	v_add_f64 v[16:17], v[16:17], v[18:19]
	v_add_f64 v[14:15], v[14:15], v[22:23]
	s_waitcnt vmcnt(1) lgkmcnt(0)
	v_mul_f64 v[18:19], v[6:7], v[195:196]
	v_mul_f64 v[22:23], v[8:9], v[195:196]
	v_fma_f64 v[4:5], v[4:5], v[38:39], v[20:21]
	v_fma_f64 v[1:2], v[2:3], v[38:39], -v[24:25]
	v_add_f64 v[16:17], v[16:17], v[26:27]
	v_add_f64 v[14:15], v[14:15], v[28:29]
	v_fma_f64 v[8:9], v[8:9], v[193:194], v[18:19]
	v_fma_f64 v[6:7], v[6:7], v[193:194], -v[22:23]
	s_delay_alu instid0(VALU_DEP_4) | instskip(NEXT) | instid1(VALU_DEP_4)
	v_add_f64 v[3:4], v[16:17], v[4:5]
	v_add_f64 v[1:2], v[14:15], v[1:2]
	s_delay_alu instid0(VALU_DEP_2) | instskip(NEXT) | instid1(VALU_DEP_2)
	v_add_f64 v[3:4], v[3:4], v[8:9]
	v_add_f64 v[1:2], v[1:2], v[6:7]
	s_waitcnt vmcnt(0)
	s_delay_alu instid0(VALU_DEP_2) | instskip(NEXT) | instid1(VALU_DEP_2)
	v_add_f64 v[3:4], v[12:13], -v[3:4]
	v_add_f64 v[1:2], v[10:11], -v[1:2]
	scratch_store_b128 off, v[1:4], off offset:112
	v_cmpx_lt_u32_e32 6, v142
	s_cbranch_execz .LBB113_301
; %bb.300:
	scratch_load_b128 v[1:4], v186, off
	v_mov_b32_e32 v5, 0
	s_delay_alu instid0(VALU_DEP_1)
	v_mov_b32_e32 v6, v5
	v_mov_b32_e32 v7, v5
	;; [unrolled: 1-line block ×3, first 2 shown]
	scratch_store_b128 off, v[5:8], off offset:96
	s_waitcnt vmcnt(0)
	ds_store_b128 v192, v[1:4]
.LBB113_301:
	s_or_b32 exec_lo, exec_lo, s2
	s_waitcnt lgkmcnt(0)
	s_waitcnt_vscnt null, 0x0
	s_barrier
	buffer_gl0_inv
	s_clause 0x7
	scratch_load_b128 v[2:5], off, off offset:112
	scratch_load_b128 v[6:9], off, off offset:128
	;; [unrolled: 1-line block ×8, first 2 shown]
	v_mov_b32_e32 v1, 0
	s_clause 0x1
	scratch_load_b128 v[34:37], off, off offset:240
	scratch_load_b128 v[197:200], off, off offset:256
	s_mov_b32 s2, exec_lo
	ds_load_b128 v[38:41], v1 offset:912
	ds_load_b128 v[193:196], v1 offset:928
	s_waitcnt vmcnt(9) lgkmcnt(1)
	v_mul_f64 v[201:202], v[40:41], v[4:5]
	v_mul_f64 v[4:5], v[38:39], v[4:5]
	s_waitcnt vmcnt(8) lgkmcnt(0)
	v_mul_f64 v[203:204], v[193:194], v[8:9]
	v_mul_f64 v[8:9], v[195:196], v[8:9]
	s_delay_alu instid0(VALU_DEP_4) | instskip(NEXT) | instid1(VALU_DEP_4)
	v_fma_f64 v[201:202], v[38:39], v[2:3], -v[201:202]
	v_fma_f64 v[205:206], v[40:41], v[2:3], v[4:5]
	ds_load_b128 v[2:5], v1 offset:944
	scratch_load_b128 v[38:41], off, off offset:272
	v_fma_f64 v[203:204], v[195:196], v[6:7], v[203:204]
	v_fma_f64 v[209:210], v[193:194], v[6:7], -v[8:9]
	scratch_load_b128 v[193:196], off, off offset:288
	ds_load_b128 v[6:9], v1 offset:960
	s_waitcnt vmcnt(9) lgkmcnt(1)
	v_mul_f64 v[207:208], v[2:3], v[12:13]
	v_mul_f64 v[12:13], v[4:5], v[12:13]
	s_waitcnt vmcnt(8) lgkmcnt(0)
	v_mul_f64 v[211:212], v[6:7], v[16:17]
	v_mul_f64 v[16:17], v[8:9], v[16:17]
	v_add_f64 v[201:202], v[201:202], 0
	v_add_f64 v[205:206], v[205:206], 0
	v_fma_f64 v[207:208], v[4:5], v[10:11], v[207:208]
	v_fma_f64 v[213:214], v[2:3], v[10:11], -v[12:13]
	ds_load_b128 v[2:5], v1 offset:976
	scratch_load_b128 v[10:13], off, off offset:304
	v_add_f64 v[201:202], v[201:202], v[209:210]
	v_add_f64 v[203:204], v[205:206], v[203:204]
	v_fma_f64 v[209:210], v[8:9], v[14:15], v[211:212]
	v_fma_f64 v[211:212], v[6:7], v[14:15], -v[16:17]
	scratch_load_b128 v[14:17], off, off offset:320
	ds_load_b128 v[6:9], v1 offset:992
	s_waitcnt vmcnt(9) lgkmcnt(1)
	v_mul_f64 v[205:206], v[2:3], v[20:21]
	v_mul_f64 v[20:21], v[4:5], v[20:21]
	v_add_f64 v[201:202], v[201:202], v[213:214]
	v_add_f64 v[203:204], v[203:204], v[207:208]
	s_waitcnt vmcnt(8) lgkmcnt(0)
	v_mul_f64 v[207:208], v[6:7], v[24:25]
	v_mul_f64 v[24:25], v[8:9], v[24:25]
	v_fma_f64 v[205:206], v[4:5], v[18:19], v[205:206]
	v_fma_f64 v[213:214], v[2:3], v[18:19], -v[20:21]
	ds_load_b128 v[2:5], v1 offset:1008
	scratch_load_b128 v[18:21], off, off offset:336
	v_add_f64 v[201:202], v[201:202], v[211:212]
	v_add_f64 v[203:204], v[203:204], v[209:210]
	v_fma_f64 v[207:208], v[8:9], v[22:23], v[207:208]
	v_fma_f64 v[211:212], v[6:7], v[22:23], -v[24:25]
	scratch_load_b128 v[22:25], off, off offset:352
	ds_load_b128 v[6:9], v1 offset:1024
	s_waitcnt vmcnt(9) lgkmcnt(1)
	v_mul_f64 v[209:210], v[2:3], v[28:29]
	v_mul_f64 v[28:29], v[4:5], v[28:29]
	v_add_f64 v[201:202], v[201:202], v[213:214]
	v_add_f64 v[203:204], v[203:204], v[205:206]
	s_waitcnt vmcnt(8) lgkmcnt(0)
	v_mul_f64 v[205:206], v[6:7], v[32:33]
	v_mul_f64 v[32:33], v[8:9], v[32:33]
	v_fma_f64 v[209:210], v[4:5], v[26:27], v[209:210]
	v_fma_f64 v[213:214], v[2:3], v[26:27], -v[28:29]
	ds_load_b128 v[2:5], v1 offset:1040
	scratch_load_b128 v[26:29], off, off offset:368
	v_add_f64 v[201:202], v[201:202], v[211:212]
	v_add_f64 v[203:204], v[203:204], v[207:208]
	v_fma_f64 v[205:206], v[8:9], v[30:31], v[205:206]
	v_fma_f64 v[211:212], v[6:7], v[30:31], -v[32:33]
	scratch_load_b128 v[30:33], off, off offset:384
	ds_load_b128 v[6:9], v1 offset:1056
	s_waitcnt vmcnt(9) lgkmcnt(1)
	v_mul_f64 v[207:208], v[2:3], v[36:37]
	v_mul_f64 v[36:37], v[4:5], v[36:37]
	v_add_f64 v[201:202], v[201:202], v[213:214]
	v_add_f64 v[203:204], v[203:204], v[209:210]
	s_waitcnt vmcnt(8) lgkmcnt(0)
	v_mul_f64 v[209:210], v[6:7], v[199:200]
	v_mul_f64 v[199:200], v[8:9], v[199:200]
	v_fma_f64 v[207:208], v[4:5], v[34:35], v[207:208]
	v_fma_f64 v[213:214], v[2:3], v[34:35], -v[36:37]
	ds_load_b128 v[2:5], v1 offset:1072
	scratch_load_b128 v[34:37], off, off offset:400
	v_add_f64 v[201:202], v[201:202], v[211:212]
	v_add_f64 v[203:204], v[203:204], v[205:206]
	v_fma_f64 v[209:210], v[8:9], v[197:198], v[209:210]
	v_fma_f64 v[211:212], v[6:7], v[197:198], -v[199:200]
	scratch_load_b128 v[197:200], off, off offset:416
	ds_load_b128 v[6:9], v1 offset:1088
	s_waitcnt vmcnt(9) lgkmcnt(1)
	v_mul_f64 v[205:206], v[2:3], v[40:41]
	v_mul_f64 v[40:41], v[4:5], v[40:41]
	v_add_f64 v[201:202], v[201:202], v[213:214]
	v_add_f64 v[203:204], v[203:204], v[207:208]
	s_waitcnt vmcnt(8) lgkmcnt(0)
	v_mul_f64 v[207:208], v[6:7], v[195:196]
	v_mul_f64 v[195:196], v[8:9], v[195:196]
	v_fma_f64 v[205:206], v[4:5], v[38:39], v[205:206]
	v_fma_f64 v[213:214], v[2:3], v[38:39], -v[40:41]
	ds_load_b128 v[2:5], v1 offset:1104
	scratch_load_b128 v[38:41], off, off offset:432
	v_add_f64 v[201:202], v[201:202], v[211:212]
	v_add_f64 v[203:204], v[203:204], v[209:210]
	v_fma_f64 v[207:208], v[8:9], v[193:194], v[207:208]
	v_fma_f64 v[211:212], v[6:7], v[193:194], -v[195:196]
	scratch_load_b128 v[193:196], off, off offset:448
	ds_load_b128 v[6:9], v1 offset:1120
	s_waitcnt vmcnt(9) lgkmcnt(1)
	v_mul_f64 v[209:210], v[2:3], v[12:13]
	v_mul_f64 v[12:13], v[4:5], v[12:13]
	v_add_f64 v[201:202], v[201:202], v[213:214]
	v_add_f64 v[203:204], v[203:204], v[205:206]
	s_waitcnt vmcnt(8) lgkmcnt(0)
	v_mul_f64 v[205:206], v[6:7], v[16:17]
	v_mul_f64 v[16:17], v[8:9], v[16:17]
	v_fma_f64 v[209:210], v[4:5], v[10:11], v[209:210]
	v_fma_f64 v[213:214], v[2:3], v[10:11], -v[12:13]
	ds_load_b128 v[2:5], v1 offset:1136
	scratch_load_b128 v[10:13], off, off offset:464
	v_add_f64 v[201:202], v[201:202], v[211:212]
	v_add_f64 v[203:204], v[203:204], v[207:208]
	v_fma_f64 v[205:206], v[8:9], v[14:15], v[205:206]
	v_fma_f64 v[211:212], v[6:7], v[14:15], -v[16:17]
	scratch_load_b128 v[14:17], off, off offset:480
	ds_load_b128 v[6:9], v1 offset:1152
	s_waitcnt vmcnt(9) lgkmcnt(1)
	v_mul_f64 v[207:208], v[2:3], v[20:21]
	v_mul_f64 v[20:21], v[4:5], v[20:21]
	v_add_f64 v[201:202], v[201:202], v[213:214]
	v_add_f64 v[203:204], v[203:204], v[209:210]
	s_waitcnt vmcnt(8) lgkmcnt(0)
	v_mul_f64 v[209:210], v[6:7], v[24:25]
	v_mul_f64 v[24:25], v[8:9], v[24:25]
	v_fma_f64 v[207:208], v[4:5], v[18:19], v[207:208]
	v_fma_f64 v[213:214], v[2:3], v[18:19], -v[20:21]
	ds_load_b128 v[2:5], v1 offset:1168
	scratch_load_b128 v[18:21], off, off offset:496
	v_add_f64 v[201:202], v[201:202], v[211:212]
	v_add_f64 v[203:204], v[203:204], v[205:206]
	v_fma_f64 v[209:210], v[8:9], v[22:23], v[209:210]
	v_fma_f64 v[211:212], v[6:7], v[22:23], -v[24:25]
	scratch_load_b128 v[22:25], off, off offset:512
	ds_load_b128 v[6:9], v1 offset:1184
	s_waitcnt vmcnt(9) lgkmcnt(1)
	v_mul_f64 v[205:206], v[2:3], v[28:29]
	v_mul_f64 v[28:29], v[4:5], v[28:29]
	v_add_f64 v[201:202], v[201:202], v[213:214]
	v_add_f64 v[203:204], v[203:204], v[207:208]
	s_waitcnt vmcnt(8) lgkmcnt(0)
	v_mul_f64 v[207:208], v[6:7], v[32:33]
	v_mul_f64 v[32:33], v[8:9], v[32:33]
	v_fma_f64 v[205:206], v[4:5], v[26:27], v[205:206]
	v_fma_f64 v[213:214], v[2:3], v[26:27], -v[28:29]
	ds_load_b128 v[2:5], v1 offset:1200
	scratch_load_b128 v[26:29], off, off offset:528
	v_add_f64 v[201:202], v[201:202], v[211:212]
	v_add_f64 v[203:204], v[203:204], v[209:210]
	v_fma_f64 v[207:208], v[8:9], v[30:31], v[207:208]
	v_fma_f64 v[211:212], v[6:7], v[30:31], -v[32:33]
	scratch_load_b128 v[30:33], off, off offset:544
	ds_load_b128 v[6:9], v1 offset:1216
	s_waitcnt vmcnt(9) lgkmcnt(1)
	v_mul_f64 v[209:210], v[2:3], v[36:37]
	v_mul_f64 v[36:37], v[4:5], v[36:37]
	v_add_f64 v[201:202], v[201:202], v[213:214]
	v_add_f64 v[203:204], v[203:204], v[205:206]
	s_waitcnt vmcnt(8) lgkmcnt(0)
	v_mul_f64 v[205:206], v[6:7], v[199:200]
	v_mul_f64 v[199:200], v[8:9], v[199:200]
	v_fma_f64 v[209:210], v[4:5], v[34:35], v[209:210]
	v_fma_f64 v[213:214], v[2:3], v[34:35], -v[36:37]
	ds_load_b128 v[2:5], v1 offset:1232
	scratch_load_b128 v[34:37], off, off offset:560
	v_add_f64 v[201:202], v[201:202], v[211:212]
	v_add_f64 v[203:204], v[203:204], v[207:208]
	v_fma_f64 v[205:206], v[8:9], v[197:198], v[205:206]
	v_fma_f64 v[211:212], v[6:7], v[197:198], -v[199:200]
	scratch_load_b128 v[197:200], off, off offset:576
	ds_load_b128 v[6:9], v1 offset:1248
	s_waitcnt vmcnt(9) lgkmcnt(1)
	v_mul_f64 v[207:208], v[2:3], v[40:41]
	v_mul_f64 v[40:41], v[4:5], v[40:41]
	v_add_f64 v[201:202], v[201:202], v[213:214]
	v_add_f64 v[203:204], v[203:204], v[209:210]
	s_waitcnt vmcnt(8) lgkmcnt(0)
	v_mul_f64 v[209:210], v[6:7], v[195:196]
	v_mul_f64 v[195:196], v[8:9], v[195:196]
	v_fma_f64 v[207:208], v[4:5], v[38:39], v[207:208]
	v_fma_f64 v[213:214], v[2:3], v[38:39], -v[40:41]
	ds_load_b128 v[2:5], v1 offset:1264
	scratch_load_b128 v[38:41], off, off offset:592
	v_add_f64 v[201:202], v[201:202], v[211:212]
	v_add_f64 v[203:204], v[203:204], v[205:206]
	v_fma_f64 v[209:210], v[8:9], v[193:194], v[209:210]
	v_fma_f64 v[211:212], v[6:7], v[193:194], -v[195:196]
	scratch_load_b128 v[193:196], off, off offset:608
	ds_load_b128 v[6:9], v1 offset:1280
	s_waitcnt vmcnt(9) lgkmcnt(1)
	v_mul_f64 v[205:206], v[2:3], v[12:13]
	v_mul_f64 v[12:13], v[4:5], v[12:13]
	v_add_f64 v[201:202], v[201:202], v[213:214]
	v_add_f64 v[203:204], v[203:204], v[207:208]
	s_waitcnt vmcnt(8) lgkmcnt(0)
	v_mul_f64 v[207:208], v[6:7], v[16:17]
	v_mul_f64 v[16:17], v[8:9], v[16:17]
	v_fma_f64 v[205:206], v[4:5], v[10:11], v[205:206]
	v_fma_f64 v[213:214], v[2:3], v[10:11], -v[12:13]
	ds_load_b128 v[2:5], v1 offset:1296
	scratch_load_b128 v[10:13], off, off offset:624
	v_add_f64 v[201:202], v[201:202], v[211:212]
	v_add_f64 v[203:204], v[203:204], v[209:210]
	v_fma_f64 v[207:208], v[8:9], v[14:15], v[207:208]
	v_fma_f64 v[211:212], v[6:7], v[14:15], -v[16:17]
	scratch_load_b128 v[14:17], off, off offset:640
	ds_load_b128 v[6:9], v1 offset:1312
	s_waitcnt vmcnt(9) lgkmcnt(1)
	v_mul_f64 v[209:210], v[2:3], v[20:21]
	v_mul_f64 v[20:21], v[4:5], v[20:21]
	v_add_f64 v[201:202], v[201:202], v[213:214]
	v_add_f64 v[203:204], v[203:204], v[205:206]
	s_waitcnt vmcnt(8) lgkmcnt(0)
	v_mul_f64 v[205:206], v[6:7], v[24:25]
	v_mul_f64 v[24:25], v[8:9], v[24:25]
	v_fma_f64 v[209:210], v[4:5], v[18:19], v[209:210]
	v_fma_f64 v[213:214], v[2:3], v[18:19], -v[20:21]
	ds_load_b128 v[2:5], v1 offset:1328
	scratch_load_b128 v[18:21], off, off offset:656
	v_add_f64 v[201:202], v[201:202], v[211:212]
	v_add_f64 v[203:204], v[203:204], v[207:208]
	v_fma_f64 v[205:206], v[8:9], v[22:23], v[205:206]
	v_fma_f64 v[211:212], v[6:7], v[22:23], -v[24:25]
	scratch_load_b128 v[22:25], off, off offset:672
	ds_load_b128 v[6:9], v1 offset:1344
	s_waitcnt vmcnt(9) lgkmcnt(1)
	v_mul_f64 v[207:208], v[2:3], v[28:29]
	v_mul_f64 v[28:29], v[4:5], v[28:29]
	v_add_f64 v[201:202], v[201:202], v[213:214]
	v_add_f64 v[203:204], v[203:204], v[209:210]
	s_waitcnt vmcnt(8) lgkmcnt(0)
	v_mul_f64 v[209:210], v[6:7], v[32:33]
	v_mul_f64 v[32:33], v[8:9], v[32:33]
	v_fma_f64 v[207:208], v[4:5], v[26:27], v[207:208]
	v_fma_f64 v[213:214], v[2:3], v[26:27], -v[28:29]
	ds_load_b128 v[2:5], v1 offset:1360
	scratch_load_b128 v[26:29], off, off offset:688
	v_add_f64 v[201:202], v[201:202], v[211:212]
	v_add_f64 v[203:204], v[203:204], v[205:206]
	v_fma_f64 v[209:210], v[8:9], v[30:31], v[209:210]
	v_fma_f64 v[211:212], v[6:7], v[30:31], -v[32:33]
	ds_load_b128 v[6:9], v1 offset:1376
	s_waitcnt vmcnt(8) lgkmcnt(1)
	v_mul_f64 v[205:206], v[2:3], v[36:37]
	v_mul_f64 v[36:37], v[4:5], v[36:37]
	scratch_load_b128 v[30:33], off, off offset:704
	v_add_f64 v[201:202], v[201:202], v[213:214]
	v_add_f64 v[203:204], v[203:204], v[207:208]
	s_waitcnt vmcnt(8) lgkmcnt(0)
	v_mul_f64 v[207:208], v[6:7], v[199:200]
	v_mul_f64 v[199:200], v[8:9], v[199:200]
	v_fma_f64 v[205:206], v[4:5], v[34:35], v[205:206]
	v_fma_f64 v[213:214], v[2:3], v[34:35], -v[36:37]
	scratch_load_b128 v[34:37], off, off offset:720
	ds_load_b128 v[2:5], v1 offset:1392
	v_add_f64 v[201:202], v[201:202], v[211:212]
	v_add_f64 v[203:204], v[203:204], v[209:210]
	v_fma_f64 v[207:208], v[8:9], v[197:198], v[207:208]
	v_fma_f64 v[211:212], v[6:7], v[197:198], -v[199:200]
	ds_load_b128 v[6:9], v1 offset:1408
	s_waitcnt vmcnt(8) lgkmcnt(1)
	v_mul_f64 v[209:210], v[2:3], v[40:41]
	v_mul_f64 v[40:41], v[4:5], v[40:41]
	scratch_load_b128 v[197:200], off, off offset:736
	v_add_f64 v[201:202], v[201:202], v[213:214]
	v_add_f64 v[203:204], v[203:204], v[205:206]
	s_waitcnt vmcnt(8) lgkmcnt(0)
	v_mul_f64 v[205:206], v[6:7], v[195:196]
	v_mul_f64 v[195:196], v[8:9], v[195:196]
	v_fma_f64 v[209:210], v[4:5], v[38:39], v[209:210]
	v_fma_f64 v[213:214], v[2:3], v[38:39], -v[40:41]
	scratch_load_b128 v[38:41], off, off offset:752
	ds_load_b128 v[2:5], v1 offset:1424
	;; [unrolled: 18-line block ×3, first 2 shown]
	v_add_f64 v[201:202], v[201:202], v[211:212]
	v_add_f64 v[203:204], v[203:204], v[205:206]
	v_fma_f64 v[209:210], v[8:9], v[14:15], v[209:210]
	v_fma_f64 v[14:15], v[6:7], v[14:15], -v[16:17]
	ds_load_b128 v[6:9], v1 offset:1472
	s_waitcnt vmcnt(8) lgkmcnt(1)
	v_mul_f64 v[205:206], v[2:3], v[20:21]
	v_mul_f64 v[20:21], v[4:5], v[20:21]
	v_add_f64 v[16:17], v[201:202], v[213:214]
	v_add_f64 v[201:202], v[203:204], v[207:208]
	s_waitcnt vmcnt(7) lgkmcnt(0)
	v_mul_f64 v[203:204], v[6:7], v[24:25]
	v_mul_f64 v[24:25], v[8:9], v[24:25]
	v_fma_f64 v[205:206], v[4:5], v[18:19], v[205:206]
	v_fma_f64 v[18:19], v[2:3], v[18:19], -v[20:21]
	ds_load_b128 v[2:5], v1 offset:1488
	v_add_f64 v[14:15], v[16:17], v[14:15]
	v_add_f64 v[16:17], v[201:202], v[209:210]
	v_fma_f64 v[201:202], v[8:9], v[22:23], v[203:204]
	v_fma_f64 v[22:23], v[6:7], v[22:23], -v[24:25]
	ds_load_b128 v[6:9], v1 offset:1504
	s_waitcnt vmcnt(5) lgkmcnt(0)
	v_mul_f64 v[203:204], v[6:7], v[32:33]
	v_mul_f64 v[32:33], v[8:9], v[32:33]
	v_add_f64 v[18:19], v[14:15], v[18:19]
	v_add_f64 v[24:25], v[16:17], v[205:206]
	scratch_load_b128 v[14:17], off, off offset:96
	v_mul_f64 v[20:21], v[2:3], v[28:29]
	v_mul_f64 v[28:29], v[4:5], v[28:29]
	v_add_f64 v[18:19], v[18:19], v[22:23]
	v_add_f64 v[22:23], v[24:25], v[201:202]
	s_delay_alu instid0(VALU_DEP_4) | instskip(NEXT) | instid1(VALU_DEP_4)
	v_fma_f64 v[20:21], v[4:5], v[26:27], v[20:21]
	v_fma_f64 v[26:27], v[2:3], v[26:27], -v[28:29]
	ds_load_b128 v[2:5], v1 offset:1520
	s_waitcnt vmcnt(5) lgkmcnt(0)
	v_mul_f64 v[24:25], v[2:3], v[36:37]
	v_mul_f64 v[28:29], v[4:5], v[36:37]
	v_fma_f64 v[36:37], v[8:9], v[30:31], v[203:204]
	v_fma_f64 v[30:31], v[6:7], v[30:31], -v[32:33]
	ds_load_b128 v[6:9], v1 offset:1536
	v_add_f64 v[20:21], v[22:23], v[20:21]
	v_add_f64 v[18:19], v[18:19], v[26:27]
	v_fma_f64 v[24:25], v[4:5], v[34:35], v[24:25]
	v_fma_f64 v[28:29], v[2:3], v[34:35], -v[28:29]
	ds_load_b128 v[2:5], v1 offset:1552
	s_waitcnt vmcnt(4) lgkmcnt(1)
	v_mul_f64 v[22:23], v[6:7], v[199:200]
	v_mul_f64 v[26:27], v[8:9], v[199:200]
	v_add_f64 v[20:21], v[20:21], v[36:37]
	v_add_f64 v[18:19], v[18:19], v[30:31]
	s_waitcnt vmcnt(3) lgkmcnt(0)
	v_mul_f64 v[30:31], v[2:3], v[40:41]
	v_mul_f64 v[32:33], v[4:5], v[40:41]
	v_fma_f64 v[22:23], v[8:9], v[197:198], v[22:23]
	v_fma_f64 v[26:27], v[6:7], v[197:198], -v[26:27]
	ds_load_b128 v[6:9], v1 offset:1568
	v_add_f64 v[20:21], v[20:21], v[24:25]
	v_add_f64 v[18:19], v[18:19], v[28:29]
	v_fma_f64 v[30:31], v[4:5], v[38:39], v[30:31]
	v_fma_f64 v[32:33], v[2:3], v[38:39], -v[32:33]
	ds_load_b128 v[2:5], v1 offset:1584
	s_waitcnt vmcnt(2) lgkmcnt(1)
	v_mul_f64 v[24:25], v[6:7], v[195:196]
	v_mul_f64 v[28:29], v[8:9], v[195:196]
	v_add_f64 v[20:21], v[20:21], v[22:23]
	v_add_f64 v[18:19], v[18:19], v[26:27]
	s_waitcnt vmcnt(1) lgkmcnt(0)
	v_mul_f64 v[22:23], v[2:3], v[12:13]
	v_mul_f64 v[12:13], v[4:5], v[12:13]
	v_fma_f64 v[8:9], v[8:9], v[193:194], v[24:25]
	v_fma_f64 v[6:7], v[6:7], v[193:194], -v[28:29]
	v_add_f64 v[20:21], v[20:21], v[30:31]
	v_add_f64 v[18:19], v[18:19], v[32:33]
	v_fma_f64 v[4:5], v[4:5], v[10:11], v[22:23]
	v_fma_f64 v[2:3], v[2:3], v[10:11], -v[12:13]
	s_delay_alu instid0(VALU_DEP_4) | instskip(NEXT) | instid1(VALU_DEP_4)
	v_add_f64 v[8:9], v[20:21], v[8:9]
	v_add_f64 v[6:7], v[18:19], v[6:7]
	s_delay_alu instid0(VALU_DEP_2) | instskip(NEXT) | instid1(VALU_DEP_2)
	v_add_f64 v[4:5], v[8:9], v[4:5]
	v_add_f64 v[2:3], v[6:7], v[2:3]
	s_waitcnt vmcnt(0)
	s_delay_alu instid0(VALU_DEP_2) | instskip(NEXT) | instid1(VALU_DEP_2)
	v_add_f64 v[4:5], v[16:17], -v[4:5]
	v_add_f64 v[2:3], v[14:15], -v[2:3]
	scratch_store_b128 off, v[2:5], off offset:96
	v_cmpx_lt_u32_e32 5, v142
	s_cbranch_execz .LBB113_303
; %bb.302:
	scratch_load_b128 v[5:8], v187, off
	v_mov_b32_e32 v2, v1
	v_mov_b32_e32 v3, v1
	v_mov_b32_e32 v4, v1
	scratch_store_b128 off, v[1:4], off offset:80
	s_waitcnt vmcnt(0)
	ds_store_b128 v192, v[5:8]
.LBB113_303:
	s_or_b32 exec_lo, exec_lo, s2
	s_waitcnt lgkmcnt(0)
	s_waitcnt_vscnt null, 0x0
	s_barrier
	buffer_gl0_inv
	s_clause 0x7
	scratch_load_b128 v[2:5], off, off offset:96
	scratch_load_b128 v[6:9], off, off offset:112
	;; [unrolled: 1-line block ×8, first 2 shown]
	ds_load_b128 v[38:41], v1 offset:896
	ds_load_b128 v[193:196], v1 offset:912
	s_clause 0x1
	scratch_load_b128 v[34:37], off, off offset:224
	scratch_load_b128 v[197:200], off, off offset:240
	s_mov_b32 s2, exec_lo
	s_waitcnt vmcnt(9) lgkmcnt(1)
	v_mul_f64 v[201:202], v[40:41], v[4:5]
	v_mul_f64 v[4:5], v[38:39], v[4:5]
	s_waitcnt vmcnt(8) lgkmcnt(0)
	v_mul_f64 v[203:204], v[193:194], v[8:9]
	v_mul_f64 v[8:9], v[195:196], v[8:9]
	s_delay_alu instid0(VALU_DEP_4) | instskip(NEXT) | instid1(VALU_DEP_4)
	v_fma_f64 v[201:202], v[38:39], v[2:3], -v[201:202]
	v_fma_f64 v[205:206], v[40:41], v[2:3], v[4:5]
	ds_load_b128 v[2:5], v1 offset:928
	scratch_load_b128 v[38:41], off, off offset:256
	v_fma_f64 v[203:204], v[195:196], v[6:7], v[203:204]
	v_fma_f64 v[209:210], v[193:194], v[6:7], -v[8:9]
	scratch_load_b128 v[193:196], off, off offset:272
	ds_load_b128 v[6:9], v1 offset:944
	s_waitcnt vmcnt(9) lgkmcnt(1)
	v_mul_f64 v[207:208], v[2:3], v[12:13]
	v_mul_f64 v[12:13], v[4:5], v[12:13]
	s_waitcnt vmcnt(8) lgkmcnt(0)
	v_mul_f64 v[211:212], v[6:7], v[16:17]
	v_mul_f64 v[16:17], v[8:9], v[16:17]
	v_add_f64 v[201:202], v[201:202], 0
	v_add_f64 v[205:206], v[205:206], 0
	v_fma_f64 v[207:208], v[4:5], v[10:11], v[207:208]
	v_fma_f64 v[213:214], v[2:3], v[10:11], -v[12:13]
	ds_load_b128 v[2:5], v1 offset:960
	scratch_load_b128 v[10:13], off, off offset:288
	v_add_f64 v[201:202], v[201:202], v[209:210]
	v_add_f64 v[203:204], v[205:206], v[203:204]
	v_fma_f64 v[209:210], v[8:9], v[14:15], v[211:212]
	v_fma_f64 v[211:212], v[6:7], v[14:15], -v[16:17]
	scratch_load_b128 v[14:17], off, off offset:304
	ds_load_b128 v[6:9], v1 offset:976
	s_waitcnt vmcnt(9) lgkmcnt(1)
	v_mul_f64 v[205:206], v[2:3], v[20:21]
	v_mul_f64 v[20:21], v[4:5], v[20:21]
	v_add_f64 v[201:202], v[201:202], v[213:214]
	v_add_f64 v[203:204], v[203:204], v[207:208]
	s_waitcnt vmcnt(8) lgkmcnt(0)
	v_mul_f64 v[207:208], v[6:7], v[24:25]
	v_mul_f64 v[24:25], v[8:9], v[24:25]
	v_fma_f64 v[205:206], v[4:5], v[18:19], v[205:206]
	v_fma_f64 v[213:214], v[2:3], v[18:19], -v[20:21]
	ds_load_b128 v[2:5], v1 offset:992
	scratch_load_b128 v[18:21], off, off offset:320
	v_add_f64 v[201:202], v[201:202], v[211:212]
	v_add_f64 v[203:204], v[203:204], v[209:210]
	v_fma_f64 v[207:208], v[8:9], v[22:23], v[207:208]
	v_fma_f64 v[211:212], v[6:7], v[22:23], -v[24:25]
	scratch_load_b128 v[22:25], off, off offset:336
	ds_load_b128 v[6:9], v1 offset:1008
	s_waitcnt vmcnt(9) lgkmcnt(1)
	v_mul_f64 v[209:210], v[2:3], v[28:29]
	v_mul_f64 v[28:29], v[4:5], v[28:29]
	v_add_f64 v[201:202], v[201:202], v[213:214]
	v_add_f64 v[203:204], v[203:204], v[205:206]
	s_waitcnt vmcnt(8) lgkmcnt(0)
	v_mul_f64 v[205:206], v[6:7], v[32:33]
	v_mul_f64 v[32:33], v[8:9], v[32:33]
	v_fma_f64 v[209:210], v[4:5], v[26:27], v[209:210]
	v_fma_f64 v[213:214], v[2:3], v[26:27], -v[28:29]
	ds_load_b128 v[2:5], v1 offset:1024
	scratch_load_b128 v[26:29], off, off offset:352
	v_add_f64 v[201:202], v[201:202], v[211:212]
	v_add_f64 v[203:204], v[203:204], v[207:208]
	v_fma_f64 v[205:206], v[8:9], v[30:31], v[205:206]
	v_fma_f64 v[211:212], v[6:7], v[30:31], -v[32:33]
	scratch_load_b128 v[30:33], off, off offset:368
	ds_load_b128 v[6:9], v1 offset:1040
	s_waitcnt vmcnt(9) lgkmcnt(1)
	v_mul_f64 v[207:208], v[2:3], v[36:37]
	v_mul_f64 v[36:37], v[4:5], v[36:37]
	v_add_f64 v[201:202], v[201:202], v[213:214]
	v_add_f64 v[203:204], v[203:204], v[209:210]
	s_waitcnt vmcnt(8) lgkmcnt(0)
	v_mul_f64 v[209:210], v[6:7], v[199:200]
	v_mul_f64 v[199:200], v[8:9], v[199:200]
	v_fma_f64 v[207:208], v[4:5], v[34:35], v[207:208]
	v_fma_f64 v[213:214], v[2:3], v[34:35], -v[36:37]
	ds_load_b128 v[2:5], v1 offset:1056
	scratch_load_b128 v[34:37], off, off offset:384
	v_add_f64 v[201:202], v[201:202], v[211:212]
	v_add_f64 v[203:204], v[203:204], v[205:206]
	v_fma_f64 v[209:210], v[8:9], v[197:198], v[209:210]
	v_fma_f64 v[211:212], v[6:7], v[197:198], -v[199:200]
	scratch_load_b128 v[197:200], off, off offset:400
	ds_load_b128 v[6:9], v1 offset:1072
	s_waitcnt vmcnt(9) lgkmcnt(1)
	v_mul_f64 v[205:206], v[2:3], v[40:41]
	v_mul_f64 v[40:41], v[4:5], v[40:41]
	v_add_f64 v[201:202], v[201:202], v[213:214]
	v_add_f64 v[203:204], v[203:204], v[207:208]
	s_waitcnt vmcnt(8) lgkmcnt(0)
	v_mul_f64 v[207:208], v[6:7], v[195:196]
	v_mul_f64 v[195:196], v[8:9], v[195:196]
	v_fma_f64 v[205:206], v[4:5], v[38:39], v[205:206]
	v_fma_f64 v[213:214], v[2:3], v[38:39], -v[40:41]
	ds_load_b128 v[2:5], v1 offset:1088
	scratch_load_b128 v[38:41], off, off offset:416
	v_add_f64 v[201:202], v[201:202], v[211:212]
	v_add_f64 v[203:204], v[203:204], v[209:210]
	v_fma_f64 v[207:208], v[8:9], v[193:194], v[207:208]
	v_fma_f64 v[211:212], v[6:7], v[193:194], -v[195:196]
	scratch_load_b128 v[193:196], off, off offset:432
	ds_load_b128 v[6:9], v1 offset:1104
	s_waitcnt vmcnt(9) lgkmcnt(1)
	v_mul_f64 v[209:210], v[2:3], v[12:13]
	v_mul_f64 v[12:13], v[4:5], v[12:13]
	v_add_f64 v[201:202], v[201:202], v[213:214]
	v_add_f64 v[203:204], v[203:204], v[205:206]
	s_waitcnt vmcnt(8) lgkmcnt(0)
	v_mul_f64 v[205:206], v[6:7], v[16:17]
	v_mul_f64 v[16:17], v[8:9], v[16:17]
	v_fma_f64 v[209:210], v[4:5], v[10:11], v[209:210]
	v_fma_f64 v[213:214], v[2:3], v[10:11], -v[12:13]
	ds_load_b128 v[2:5], v1 offset:1120
	scratch_load_b128 v[10:13], off, off offset:448
	v_add_f64 v[201:202], v[201:202], v[211:212]
	v_add_f64 v[203:204], v[203:204], v[207:208]
	v_fma_f64 v[205:206], v[8:9], v[14:15], v[205:206]
	v_fma_f64 v[211:212], v[6:7], v[14:15], -v[16:17]
	scratch_load_b128 v[14:17], off, off offset:464
	ds_load_b128 v[6:9], v1 offset:1136
	s_waitcnt vmcnt(9) lgkmcnt(1)
	v_mul_f64 v[207:208], v[2:3], v[20:21]
	v_mul_f64 v[20:21], v[4:5], v[20:21]
	v_add_f64 v[201:202], v[201:202], v[213:214]
	v_add_f64 v[203:204], v[203:204], v[209:210]
	s_waitcnt vmcnt(8) lgkmcnt(0)
	v_mul_f64 v[209:210], v[6:7], v[24:25]
	v_mul_f64 v[24:25], v[8:9], v[24:25]
	v_fma_f64 v[207:208], v[4:5], v[18:19], v[207:208]
	v_fma_f64 v[213:214], v[2:3], v[18:19], -v[20:21]
	ds_load_b128 v[2:5], v1 offset:1152
	scratch_load_b128 v[18:21], off, off offset:480
	v_add_f64 v[201:202], v[201:202], v[211:212]
	v_add_f64 v[203:204], v[203:204], v[205:206]
	v_fma_f64 v[209:210], v[8:9], v[22:23], v[209:210]
	v_fma_f64 v[211:212], v[6:7], v[22:23], -v[24:25]
	scratch_load_b128 v[22:25], off, off offset:496
	ds_load_b128 v[6:9], v1 offset:1168
	s_waitcnt vmcnt(9) lgkmcnt(1)
	v_mul_f64 v[205:206], v[2:3], v[28:29]
	v_mul_f64 v[28:29], v[4:5], v[28:29]
	v_add_f64 v[201:202], v[201:202], v[213:214]
	v_add_f64 v[203:204], v[203:204], v[207:208]
	s_waitcnt vmcnt(8) lgkmcnt(0)
	v_mul_f64 v[207:208], v[6:7], v[32:33]
	v_mul_f64 v[32:33], v[8:9], v[32:33]
	v_fma_f64 v[205:206], v[4:5], v[26:27], v[205:206]
	v_fma_f64 v[213:214], v[2:3], v[26:27], -v[28:29]
	ds_load_b128 v[2:5], v1 offset:1184
	scratch_load_b128 v[26:29], off, off offset:512
	v_add_f64 v[201:202], v[201:202], v[211:212]
	v_add_f64 v[203:204], v[203:204], v[209:210]
	v_fma_f64 v[207:208], v[8:9], v[30:31], v[207:208]
	v_fma_f64 v[211:212], v[6:7], v[30:31], -v[32:33]
	scratch_load_b128 v[30:33], off, off offset:528
	ds_load_b128 v[6:9], v1 offset:1200
	s_waitcnt vmcnt(9) lgkmcnt(1)
	v_mul_f64 v[209:210], v[2:3], v[36:37]
	v_mul_f64 v[36:37], v[4:5], v[36:37]
	v_add_f64 v[201:202], v[201:202], v[213:214]
	v_add_f64 v[203:204], v[203:204], v[205:206]
	s_waitcnt vmcnt(8) lgkmcnt(0)
	v_mul_f64 v[205:206], v[6:7], v[199:200]
	v_mul_f64 v[199:200], v[8:9], v[199:200]
	v_fma_f64 v[209:210], v[4:5], v[34:35], v[209:210]
	v_fma_f64 v[213:214], v[2:3], v[34:35], -v[36:37]
	ds_load_b128 v[2:5], v1 offset:1216
	scratch_load_b128 v[34:37], off, off offset:544
	v_add_f64 v[201:202], v[201:202], v[211:212]
	v_add_f64 v[203:204], v[203:204], v[207:208]
	v_fma_f64 v[205:206], v[8:9], v[197:198], v[205:206]
	v_fma_f64 v[211:212], v[6:7], v[197:198], -v[199:200]
	scratch_load_b128 v[197:200], off, off offset:560
	ds_load_b128 v[6:9], v1 offset:1232
	s_waitcnt vmcnt(9) lgkmcnt(1)
	v_mul_f64 v[207:208], v[2:3], v[40:41]
	v_mul_f64 v[40:41], v[4:5], v[40:41]
	v_add_f64 v[201:202], v[201:202], v[213:214]
	v_add_f64 v[203:204], v[203:204], v[209:210]
	s_waitcnt vmcnt(8) lgkmcnt(0)
	v_mul_f64 v[209:210], v[6:7], v[195:196]
	v_mul_f64 v[195:196], v[8:9], v[195:196]
	v_fma_f64 v[207:208], v[4:5], v[38:39], v[207:208]
	v_fma_f64 v[213:214], v[2:3], v[38:39], -v[40:41]
	ds_load_b128 v[2:5], v1 offset:1248
	scratch_load_b128 v[38:41], off, off offset:576
	v_add_f64 v[201:202], v[201:202], v[211:212]
	v_add_f64 v[203:204], v[203:204], v[205:206]
	v_fma_f64 v[209:210], v[8:9], v[193:194], v[209:210]
	v_fma_f64 v[211:212], v[6:7], v[193:194], -v[195:196]
	scratch_load_b128 v[193:196], off, off offset:592
	ds_load_b128 v[6:9], v1 offset:1264
	s_waitcnt vmcnt(9) lgkmcnt(1)
	v_mul_f64 v[205:206], v[2:3], v[12:13]
	v_mul_f64 v[12:13], v[4:5], v[12:13]
	v_add_f64 v[201:202], v[201:202], v[213:214]
	v_add_f64 v[203:204], v[203:204], v[207:208]
	s_waitcnt vmcnt(8) lgkmcnt(0)
	v_mul_f64 v[207:208], v[6:7], v[16:17]
	v_mul_f64 v[16:17], v[8:9], v[16:17]
	v_fma_f64 v[205:206], v[4:5], v[10:11], v[205:206]
	v_fma_f64 v[213:214], v[2:3], v[10:11], -v[12:13]
	ds_load_b128 v[2:5], v1 offset:1280
	scratch_load_b128 v[10:13], off, off offset:608
	v_add_f64 v[201:202], v[201:202], v[211:212]
	v_add_f64 v[203:204], v[203:204], v[209:210]
	v_fma_f64 v[207:208], v[8:9], v[14:15], v[207:208]
	v_fma_f64 v[211:212], v[6:7], v[14:15], -v[16:17]
	scratch_load_b128 v[14:17], off, off offset:624
	ds_load_b128 v[6:9], v1 offset:1296
	s_waitcnt vmcnt(9) lgkmcnt(1)
	v_mul_f64 v[209:210], v[2:3], v[20:21]
	v_mul_f64 v[20:21], v[4:5], v[20:21]
	v_add_f64 v[201:202], v[201:202], v[213:214]
	v_add_f64 v[203:204], v[203:204], v[205:206]
	s_waitcnt vmcnt(8) lgkmcnt(0)
	v_mul_f64 v[205:206], v[6:7], v[24:25]
	v_mul_f64 v[24:25], v[8:9], v[24:25]
	v_fma_f64 v[209:210], v[4:5], v[18:19], v[209:210]
	v_fma_f64 v[213:214], v[2:3], v[18:19], -v[20:21]
	ds_load_b128 v[2:5], v1 offset:1312
	scratch_load_b128 v[18:21], off, off offset:640
	v_add_f64 v[201:202], v[201:202], v[211:212]
	v_add_f64 v[203:204], v[203:204], v[207:208]
	v_fma_f64 v[205:206], v[8:9], v[22:23], v[205:206]
	v_fma_f64 v[211:212], v[6:7], v[22:23], -v[24:25]
	scratch_load_b128 v[22:25], off, off offset:656
	ds_load_b128 v[6:9], v1 offset:1328
	s_waitcnt vmcnt(9) lgkmcnt(1)
	v_mul_f64 v[207:208], v[2:3], v[28:29]
	v_mul_f64 v[28:29], v[4:5], v[28:29]
	v_add_f64 v[201:202], v[201:202], v[213:214]
	v_add_f64 v[203:204], v[203:204], v[209:210]
	s_waitcnt vmcnt(8) lgkmcnt(0)
	v_mul_f64 v[209:210], v[6:7], v[32:33]
	v_mul_f64 v[32:33], v[8:9], v[32:33]
	v_fma_f64 v[207:208], v[4:5], v[26:27], v[207:208]
	v_fma_f64 v[213:214], v[2:3], v[26:27], -v[28:29]
	ds_load_b128 v[2:5], v1 offset:1344
	scratch_load_b128 v[26:29], off, off offset:672
	v_add_f64 v[201:202], v[201:202], v[211:212]
	v_add_f64 v[203:204], v[203:204], v[205:206]
	v_fma_f64 v[209:210], v[8:9], v[30:31], v[209:210]
	v_fma_f64 v[211:212], v[6:7], v[30:31], -v[32:33]
	ds_load_b128 v[6:9], v1 offset:1360
	s_waitcnt vmcnt(8) lgkmcnt(1)
	v_mul_f64 v[205:206], v[2:3], v[36:37]
	v_mul_f64 v[36:37], v[4:5], v[36:37]
	scratch_load_b128 v[30:33], off, off offset:688
	v_add_f64 v[201:202], v[201:202], v[213:214]
	v_add_f64 v[203:204], v[203:204], v[207:208]
	s_waitcnt vmcnt(8) lgkmcnt(0)
	v_mul_f64 v[207:208], v[6:7], v[199:200]
	v_mul_f64 v[199:200], v[8:9], v[199:200]
	v_fma_f64 v[205:206], v[4:5], v[34:35], v[205:206]
	v_fma_f64 v[213:214], v[2:3], v[34:35], -v[36:37]
	ds_load_b128 v[2:5], v1 offset:1376
	scratch_load_b128 v[34:37], off, off offset:704
	v_add_f64 v[201:202], v[201:202], v[211:212]
	v_add_f64 v[203:204], v[203:204], v[209:210]
	v_fma_f64 v[207:208], v[8:9], v[197:198], v[207:208]
	v_fma_f64 v[211:212], v[6:7], v[197:198], -v[199:200]
	ds_load_b128 v[6:9], v1 offset:1392
	s_waitcnt vmcnt(8) lgkmcnt(1)
	v_mul_f64 v[209:210], v[2:3], v[40:41]
	v_mul_f64 v[40:41], v[4:5], v[40:41]
	scratch_load_b128 v[197:200], off, off offset:720
	v_add_f64 v[201:202], v[201:202], v[213:214]
	v_add_f64 v[203:204], v[203:204], v[205:206]
	s_waitcnt vmcnt(8) lgkmcnt(0)
	v_mul_f64 v[205:206], v[6:7], v[195:196]
	v_mul_f64 v[195:196], v[8:9], v[195:196]
	v_fma_f64 v[209:210], v[4:5], v[38:39], v[209:210]
	v_fma_f64 v[213:214], v[2:3], v[38:39], -v[40:41]
	scratch_load_b128 v[38:41], off, off offset:736
	ds_load_b128 v[2:5], v1 offset:1408
	v_add_f64 v[201:202], v[201:202], v[211:212]
	v_add_f64 v[203:204], v[203:204], v[207:208]
	v_fma_f64 v[205:206], v[8:9], v[193:194], v[205:206]
	v_fma_f64 v[211:212], v[6:7], v[193:194], -v[195:196]
	ds_load_b128 v[6:9], v1 offset:1424
	s_waitcnt vmcnt(8) lgkmcnt(1)
	v_mul_f64 v[207:208], v[2:3], v[12:13]
	v_mul_f64 v[12:13], v[4:5], v[12:13]
	scratch_load_b128 v[193:196], off, off offset:752
	v_add_f64 v[201:202], v[201:202], v[213:214]
	v_add_f64 v[203:204], v[203:204], v[209:210]
	s_waitcnt vmcnt(8) lgkmcnt(0)
	v_mul_f64 v[209:210], v[6:7], v[16:17]
	v_mul_f64 v[16:17], v[8:9], v[16:17]
	v_fma_f64 v[207:208], v[4:5], v[10:11], v[207:208]
	v_fma_f64 v[213:214], v[2:3], v[10:11], -v[12:13]
	scratch_load_b128 v[10:13], off, off offset:768
	ds_load_b128 v[2:5], v1 offset:1440
	v_add_f64 v[201:202], v[201:202], v[211:212]
	v_add_f64 v[203:204], v[203:204], v[205:206]
	v_fma_f64 v[209:210], v[8:9], v[14:15], v[209:210]
	v_fma_f64 v[211:212], v[6:7], v[14:15], -v[16:17]
	ds_load_b128 v[6:9], v1 offset:1456
	s_waitcnt vmcnt(8) lgkmcnt(1)
	v_mul_f64 v[205:206], v[2:3], v[20:21]
	v_mul_f64 v[20:21], v[4:5], v[20:21]
	scratch_load_b128 v[14:17], off, off offset:784
	v_add_f64 v[201:202], v[201:202], v[213:214]
	v_add_f64 v[203:204], v[203:204], v[207:208]
	s_waitcnt vmcnt(8) lgkmcnt(0)
	v_mul_f64 v[207:208], v[6:7], v[24:25]
	v_mul_f64 v[24:25], v[8:9], v[24:25]
	v_fma_f64 v[205:206], v[4:5], v[18:19], v[205:206]
	v_fma_f64 v[18:19], v[2:3], v[18:19], -v[20:21]
	ds_load_b128 v[2:5], v1 offset:1472
	v_add_f64 v[20:21], v[201:202], v[211:212]
	v_add_f64 v[201:202], v[203:204], v[209:210]
	v_fma_f64 v[207:208], v[8:9], v[22:23], v[207:208]
	v_fma_f64 v[22:23], v[6:7], v[22:23], -v[24:25]
	ds_load_b128 v[6:9], v1 offset:1488
	s_waitcnt vmcnt(7) lgkmcnt(1)
	v_mul_f64 v[203:204], v[2:3], v[28:29]
	v_mul_f64 v[28:29], v[4:5], v[28:29]
	v_add_f64 v[18:19], v[20:21], v[18:19]
	v_add_f64 v[20:21], v[201:202], v[205:206]
	s_delay_alu instid0(VALU_DEP_4) | instskip(NEXT) | instid1(VALU_DEP_4)
	v_fma_f64 v[201:202], v[4:5], v[26:27], v[203:204]
	v_fma_f64 v[26:27], v[2:3], v[26:27], -v[28:29]
	ds_load_b128 v[2:5], v1 offset:1504
	v_add_f64 v[22:23], v[18:19], v[22:23]
	v_add_f64 v[28:29], v[20:21], v[207:208]
	scratch_load_b128 v[18:21], off, off offset:80
	s_waitcnt vmcnt(7) lgkmcnt(1)
	v_mul_f64 v[24:25], v[6:7], v[32:33]
	v_mul_f64 v[32:33], v[8:9], v[32:33]
	v_add_f64 v[22:23], v[22:23], v[26:27]
	v_add_f64 v[26:27], v[28:29], v[201:202]
	s_delay_alu instid0(VALU_DEP_4) | instskip(NEXT) | instid1(VALU_DEP_4)
	v_fma_f64 v[24:25], v[8:9], v[30:31], v[24:25]
	v_fma_f64 v[30:31], v[6:7], v[30:31], -v[32:33]
	ds_load_b128 v[6:9], v1 offset:1520
	s_waitcnt vmcnt(6) lgkmcnt(1)
	v_mul_f64 v[203:204], v[2:3], v[36:37]
	v_mul_f64 v[36:37], v[4:5], v[36:37]
	s_waitcnt vmcnt(5) lgkmcnt(0)
	v_mul_f64 v[28:29], v[6:7], v[199:200]
	v_mul_f64 v[32:33], v[8:9], v[199:200]
	v_add_f64 v[24:25], v[26:27], v[24:25]
	v_add_f64 v[22:23], v[22:23], v[30:31]
	v_fma_f64 v[199:200], v[4:5], v[34:35], v[203:204]
	v_fma_f64 v[34:35], v[2:3], v[34:35], -v[36:37]
	ds_load_b128 v[2:5], v1 offset:1536
	v_fma_f64 v[28:29], v[8:9], v[197:198], v[28:29]
	v_fma_f64 v[32:33], v[6:7], v[197:198], -v[32:33]
	ds_load_b128 v[6:9], v1 offset:1552
	s_waitcnt vmcnt(4) lgkmcnt(1)
	v_mul_f64 v[26:27], v[2:3], v[40:41]
	v_mul_f64 v[30:31], v[4:5], v[40:41]
	v_add_f64 v[24:25], v[24:25], v[199:200]
	v_add_f64 v[22:23], v[22:23], v[34:35]
	s_waitcnt vmcnt(3) lgkmcnt(0)
	v_mul_f64 v[34:35], v[6:7], v[195:196]
	v_mul_f64 v[36:37], v[8:9], v[195:196]
	v_fma_f64 v[26:27], v[4:5], v[38:39], v[26:27]
	v_fma_f64 v[30:31], v[2:3], v[38:39], -v[30:31]
	ds_load_b128 v[2:5], v1 offset:1568
	v_add_f64 v[24:25], v[24:25], v[28:29]
	v_add_f64 v[22:23], v[22:23], v[32:33]
	v_fma_f64 v[32:33], v[8:9], v[193:194], v[34:35]
	v_fma_f64 v[34:35], v[6:7], v[193:194], -v[36:37]
	ds_load_b128 v[6:9], v1 offset:1584
	s_waitcnt vmcnt(2) lgkmcnt(1)
	v_mul_f64 v[28:29], v[2:3], v[12:13]
	v_mul_f64 v[12:13], v[4:5], v[12:13]
	v_add_f64 v[24:25], v[24:25], v[26:27]
	v_add_f64 v[22:23], v[22:23], v[30:31]
	s_waitcnt vmcnt(1) lgkmcnt(0)
	v_mul_f64 v[26:27], v[6:7], v[16:17]
	v_mul_f64 v[16:17], v[8:9], v[16:17]
	v_fma_f64 v[4:5], v[4:5], v[10:11], v[28:29]
	v_fma_f64 v[1:2], v[2:3], v[10:11], -v[12:13]
	v_add_f64 v[12:13], v[24:25], v[32:33]
	v_add_f64 v[10:11], v[22:23], v[34:35]
	v_fma_f64 v[8:9], v[8:9], v[14:15], v[26:27]
	v_fma_f64 v[6:7], v[6:7], v[14:15], -v[16:17]
	s_delay_alu instid0(VALU_DEP_4) | instskip(NEXT) | instid1(VALU_DEP_4)
	v_add_f64 v[3:4], v[12:13], v[4:5]
	v_add_f64 v[1:2], v[10:11], v[1:2]
	s_delay_alu instid0(VALU_DEP_2) | instskip(NEXT) | instid1(VALU_DEP_2)
	v_add_f64 v[3:4], v[3:4], v[8:9]
	v_add_f64 v[1:2], v[1:2], v[6:7]
	s_waitcnt vmcnt(0)
	s_delay_alu instid0(VALU_DEP_2) | instskip(NEXT) | instid1(VALU_DEP_2)
	v_add_f64 v[3:4], v[20:21], -v[3:4]
	v_add_f64 v[1:2], v[18:19], -v[1:2]
	scratch_store_b128 off, v[1:4], off offset:80
	v_cmpx_lt_u32_e32 4, v142
	s_cbranch_execz .LBB113_305
; %bb.304:
	scratch_load_b128 v[1:4], v188, off
	v_mov_b32_e32 v5, 0
	s_delay_alu instid0(VALU_DEP_1)
	v_mov_b32_e32 v6, v5
	v_mov_b32_e32 v7, v5
	;; [unrolled: 1-line block ×3, first 2 shown]
	scratch_store_b128 off, v[5:8], off offset:64
	s_waitcnt vmcnt(0)
	ds_store_b128 v192, v[1:4]
.LBB113_305:
	s_or_b32 exec_lo, exec_lo, s2
	s_waitcnt lgkmcnt(0)
	s_waitcnt_vscnt null, 0x0
	s_barrier
	buffer_gl0_inv
	s_clause 0x7
	scratch_load_b128 v[2:5], off, off offset:80
	scratch_load_b128 v[6:9], off, off offset:96
	;; [unrolled: 1-line block ×8, first 2 shown]
	v_mov_b32_e32 v1, 0
	s_clause 0x1
	scratch_load_b128 v[34:37], off, off offset:208
	scratch_load_b128 v[197:200], off, off offset:224
	s_mov_b32 s2, exec_lo
	ds_load_b128 v[38:41], v1 offset:880
	ds_load_b128 v[193:196], v1 offset:896
	s_waitcnt vmcnt(9) lgkmcnt(1)
	v_mul_f64 v[201:202], v[40:41], v[4:5]
	v_mul_f64 v[4:5], v[38:39], v[4:5]
	s_waitcnt vmcnt(8) lgkmcnt(0)
	v_mul_f64 v[203:204], v[193:194], v[8:9]
	v_mul_f64 v[8:9], v[195:196], v[8:9]
	s_delay_alu instid0(VALU_DEP_4) | instskip(NEXT) | instid1(VALU_DEP_4)
	v_fma_f64 v[201:202], v[38:39], v[2:3], -v[201:202]
	v_fma_f64 v[205:206], v[40:41], v[2:3], v[4:5]
	ds_load_b128 v[2:5], v1 offset:912
	scratch_load_b128 v[38:41], off, off offset:240
	v_fma_f64 v[203:204], v[195:196], v[6:7], v[203:204]
	v_fma_f64 v[209:210], v[193:194], v[6:7], -v[8:9]
	scratch_load_b128 v[193:196], off, off offset:256
	ds_load_b128 v[6:9], v1 offset:928
	s_waitcnt vmcnt(9) lgkmcnt(1)
	v_mul_f64 v[207:208], v[2:3], v[12:13]
	v_mul_f64 v[12:13], v[4:5], v[12:13]
	s_waitcnt vmcnt(8) lgkmcnt(0)
	v_mul_f64 v[211:212], v[6:7], v[16:17]
	v_mul_f64 v[16:17], v[8:9], v[16:17]
	v_add_f64 v[201:202], v[201:202], 0
	v_add_f64 v[205:206], v[205:206], 0
	v_fma_f64 v[207:208], v[4:5], v[10:11], v[207:208]
	v_fma_f64 v[213:214], v[2:3], v[10:11], -v[12:13]
	ds_load_b128 v[2:5], v1 offset:944
	scratch_load_b128 v[10:13], off, off offset:272
	v_add_f64 v[201:202], v[201:202], v[209:210]
	v_add_f64 v[203:204], v[205:206], v[203:204]
	v_fma_f64 v[209:210], v[8:9], v[14:15], v[211:212]
	v_fma_f64 v[211:212], v[6:7], v[14:15], -v[16:17]
	scratch_load_b128 v[14:17], off, off offset:288
	ds_load_b128 v[6:9], v1 offset:960
	s_waitcnt vmcnt(9) lgkmcnt(1)
	v_mul_f64 v[205:206], v[2:3], v[20:21]
	v_mul_f64 v[20:21], v[4:5], v[20:21]
	v_add_f64 v[201:202], v[201:202], v[213:214]
	v_add_f64 v[203:204], v[203:204], v[207:208]
	s_waitcnt vmcnt(8) lgkmcnt(0)
	v_mul_f64 v[207:208], v[6:7], v[24:25]
	v_mul_f64 v[24:25], v[8:9], v[24:25]
	v_fma_f64 v[205:206], v[4:5], v[18:19], v[205:206]
	v_fma_f64 v[213:214], v[2:3], v[18:19], -v[20:21]
	ds_load_b128 v[2:5], v1 offset:976
	scratch_load_b128 v[18:21], off, off offset:304
	v_add_f64 v[201:202], v[201:202], v[211:212]
	v_add_f64 v[203:204], v[203:204], v[209:210]
	v_fma_f64 v[207:208], v[8:9], v[22:23], v[207:208]
	v_fma_f64 v[211:212], v[6:7], v[22:23], -v[24:25]
	scratch_load_b128 v[22:25], off, off offset:320
	ds_load_b128 v[6:9], v1 offset:992
	s_waitcnt vmcnt(9) lgkmcnt(1)
	v_mul_f64 v[209:210], v[2:3], v[28:29]
	v_mul_f64 v[28:29], v[4:5], v[28:29]
	v_add_f64 v[201:202], v[201:202], v[213:214]
	v_add_f64 v[203:204], v[203:204], v[205:206]
	s_waitcnt vmcnt(8) lgkmcnt(0)
	v_mul_f64 v[205:206], v[6:7], v[32:33]
	v_mul_f64 v[32:33], v[8:9], v[32:33]
	;; [unrolled: 18-line block ×13, first 2 shown]
	v_fma_f64 v[205:206], v[4:5], v[34:35], v[205:206]
	v_fma_f64 v[213:214], v[2:3], v[34:35], -v[36:37]
	ds_load_b128 v[2:5], v1 offset:1360
	scratch_load_b128 v[34:37], off, off offset:688
	v_add_f64 v[201:202], v[201:202], v[211:212]
	v_add_f64 v[203:204], v[203:204], v[209:210]
	v_fma_f64 v[207:208], v[8:9], v[197:198], v[207:208]
	v_fma_f64 v[211:212], v[6:7], v[197:198], -v[199:200]
	ds_load_b128 v[6:9], v1 offset:1376
	s_waitcnt vmcnt(8) lgkmcnt(1)
	v_mul_f64 v[209:210], v[2:3], v[40:41]
	v_mul_f64 v[40:41], v[4:5], v[40:41]
	scratch_load_b128 v[197:200], off, off offset:704
	v_add_f64 v[201:202], v[201:202], v[213:214]
	v_add_f64 v[203:204], v[203:204], v[205:206]
	s_waitcnt vmcnt(8) lgkmcnt(0)
	v_mul_f64 v[205:206], v[6:7], v[195:196]
	v_mul_f64 v[195:196], v[8:9], v[195:196]
	v_fma_f64 v[209:210], v[4:5], v[38:39], v[209:210]
	v_fma_f64 v[213:214], v[2:3], v[38:39], -v[40:41]
	scratch_load_b128 v[38:41], off, off offset:720
	ds_load_b128 v[2:5], v1 offset:1392
	v_add_f64 v[201:202], v[201:202], v[211:212]
	v_add_f64 v[203:204], v[203:204], v[207:208]
	v_fma_f64 v[205:206], v[8:9], v[193:194], v[205:206]
	v_fma_f64 v[211:212], v[6:7], v[193:194], -v[195:196]
	ds_load_b128 v[6:9], v1 offset:1408
	s_waitcnt vmcnt(8) lgkmcnt(1)
	v_mul_f64 v[207:208], v[2:3], v[12:13]
	v_mul_f64 v[12:13], v[4:5], v[12:13]
	scratch_load_b128 v[193:196], off, off offset:736
	v_add_f64 v[201:202], v[201:202], v[213:214]
	v_add_f64 v[203:204], v[203:204], v[209:210]
	s_waitcnt vmcnt(8) lgkmcnt(0)
	v_mul_f64 v[209:210], v[6:7], v[16:17]
	v_mul_f64 v[16:17], v[8:9], v[16:17]
	v_fma_f64 v[207:208], v[4:5], v[10:11], v[207:208]
	v_fma_f64 v[213:214], v[2:3], v[10:11], -v[12:13]
	scratch_load_b128 v[10:13], off, off offset:752
	ds_load_b128 v[2:5], v1 offset:1424
	;; [unrolled: 18-line block ×3, first 2 shown]
	v_add_f64 v[201:202], v[201:202], v[211:212]
	v_add_f64 v[203:204], v[203:204], v[209:210]
	v_fma_f64 v[207:208], v[8:9], v[22:23], v[207:208]
	v_fma_f64 v[22:23], v[6:7], v[22:23], -v[24:25]
	ds_load_b128 v[6:9], v1 offset:1472
	s_waitcnt vmcnt(8) lgkmcnt(1)
	v_mul_f64 v[209:210], v[2:3], v[28:29]
	v_mul_f64 v[28:29], v[4:5], v[28:29]
	v_add_f64 v[24:25], v[201:202], v[213:214]
	v_add_f64 v[201:202], v[203:204], v[205:206]
	s_waitcnt vmcnt(7) lgkmcnt(0)
	v_mul_f64 v[203:204], v[6:7], v[32:33]
	v_mul_f64 v[32:33], v[8:9], v[32:33]
	v_fma_f64 v[205:206], v[4:5], v[26:27], v[209:210]
	v_fma_f64 v[26:27], v[2:3], v[26:27], -v[28:29]
	ds_load_b128 v[2:5], v1 offset:1488
	v_add_f64 v[22:23], v[24:25], v[22:23]
	v_add_f64 v[24:25], v[201:202], v[207:208]
	v_fma_f64 v[201:202], v[8:9], v[30:31], v[203:204]
	v_fma_f64 v[30:31], v[6:7], v[30:31], -v[32:33]
	ds_load_b128 v[6:9], v1 offset:1504
	s_waitcnt vmcnt(5) lgkmcnt(0)
	v_mul_f64 v[203:204], v[6:7], v[199:200]
	v_mul_f64 v[199:200], v[8:9], v[199:200]
	v_add_f64 v[26:27], v[22:23], v[26:27]
	v_add_f64 v[32:33], v[24:25], v[205:206]
	scratch_load_b128 v[22:25], off, off offset:64
	v_mul_f64 v[28:29], v[2:3], v[36:37]
	v_mul_f64 v[36:37], v[4:5], v[36:37]
	v_add_f64 v[26:27], v[26:27], v[30:31]
	v_add_f64 v[30:31], v[32:33], v[201:202]
	s_delay_alu instid0(VALU_DEP_4) | instskip(NEXT) | instid1(VALU_DEP_4)
	v_fma_f64 v[28:29], v[4:5], v[34:35], v[28:29]
	v_fma_f64 v[34:35], v[2:3], v[34:35], -v[36:37]
	ds_load_b128 v[2:5], v1 offset:1520
	s_waitcnt vmcnt(5) lgkmcnt(0)
	v_mul_f64 v[32:33], v[2:3], v[40:41]
	v_mul_f64 v[36:37], v[4:5], v[40:41]
	v_fma_f64 v[40:41], v[8:9], v[197:198], v[203:204]
	v_fma_f64 v[197:198], v[6:7], v[197:198], -v[199:200]
	ds_load_b128 v[6:9], v1 offset:1536
	v_add_f64 v[28:29], v[30:31], v[28:29]
	v_add_f64 v[26:27], v[26:27], v[34:35]
	v_fma_f64 v[32:33], v[4:5], v[38:39], v[32:33]
	v_fma_f64 v[36:37], v[2:3], v[38:39], -v[36:37]
	ds_load_b128 v[2:5], v1 offset:1552
	s_waitcnt vmcnt(4) lgkmcnt(1)
	v_mul_f64 v[30:31], v[6:7], v[195:196]
	v_mul_f64 v[34:35], v[8:9], v[195:196]
	v_add_f64 v[28:29], v[28:29], v[40:41]
	v_add_f64 v[26:27], v[26:27], v[197:198]
	s_waitcnt vmcnt(3) lgkmcnt(0)
	v_mul_f64 v[38:39], v[2:3], v[12:13]
	v_mul_f64 v[12:13], v[4:5], v[12:13]
	v_fma_f64 v[30:31], v[8:9], v[193:194], v[30:31]
	v_fma_f64 v[34:35], v[6:7], v[193:194], -v[34:35]
	ds_load_b128 v[6:9], v1 offset:1568
	v_add_f64 v[28:29], v[28:29], v[32:33]
	v_add_f64 v[26:27], v[26:27], v[36:37]
	v_fma_f64 v[36:37], v[4:5], v[10:11], v[38:39]
	v_fma_f64 v[10:11], v[2:3], v[10:11], -v[12:13]
	ds_load_b128 v[2:5], v1 offset:1584
	s_waitcnt vmcnt(2) lgkmcnt(1)
	v_mul_f64 v[32:33], v[6:7], v[16:17]
	v_mul_f64 v[16:17], v[8:9], v[16:17]
	v_add_f64 v[12:13], v[26:27], v[34:35]
	v_add_f64 v[26:27], v[28:29], v[30:31]
	s_waitcnt vmcnt(1) lgkmcnt(0)
	v_mul_f64 v[28:29], v[2:3], v[20:21]
	v_mul_f64 v[20:21], v[4:5], v[20:21]
	v_fma_f64 v[8:9], v[8:9], v[14:15], v[32:33]
	v_fma_f64 v[6:7], v[6:7], v[14:15], -v[16:17]
	v_add_f64 v[10:11], v[12:13], v[10:11]
	v_add_f64 v[12:13], v[26:27], v[36:37]
	v_fma_f64 v[4:5], v[4:5], v[18:19], v[28:29]
	v_fma_f64 v[2:3], v[2:3], v[18:19], -v[20:21]
	s_delay_alu instid0(VALU_DEP_4) | instskip(NEXT) | instid1(VALU_DEP_4)
	v_add_f64 v[6:7], v[10:11], v[6:7]
	v_add_f64 v[8:9], v[12:13], v[8:9]
	s_delay_alu instid0(VALU_DEP_2) | instskip(NEXT) | instid1(VALU_DEP_2)
	v_add_f64 v[2:3], v[6:7], v[2:3]
	v_add_f64 v[4:5], v[8:9], v[4:5]
	s_waitcnt vmcnt(0)
	s_delay_alu instid0(VALU_DEP_2) | instskip(NEXT) | instid1(VALU_DEP_2)
	v_add_f64 v[2:3], v[22:23], -v[2:3]
	v_add_f64 v[4:5], v[24:25], -v[4:5]
	scratch_store_b128 off, v[2:5], off offset:64
	v_cmpx_lt_u32_e32 3, v142
	s_cbranch_execz .LBB113_307
; %bb.306:
	scratch_load_b128 v[5:8], v189, off
	v_mov_b32_e32 v2, v1
	v_mov_b32_e32 v3, v1
	;; [unrolled: 1-line block ×3, first 2 shown]
	scratch_store_b128 off, v[1:4], off offset:48
	s_waitcnt vmcnt(0)
	ds_store_b128 v192, v[5:8]
.LBB113_307:
	s_or_b32 exec_lo, exec_lo, s2
	s_waitcnt lgkmcnt(0)
	s_waitcnt_vscnt null, 0x0
	s_barrier
	buffer_gl0_inv
	s_clause 0x7
	scratch_load_b128 v[2:5], off, off offset:64
	scratch_load_b128 v[6:9], off, off offset:80
	;; [unrolled: 1-line block ×8, first 2 shown]
	ds_load_b128 v[38:41], v1 offset:864
	ds_load_b128 v[193:196], v1 offset:880
	s_clause 0x1
	scratch_load_b128 v[34:37], off, off offset:192
	scratch_load_b128 v[197:200], off, off offset:208
	s_mov_b32 s2, exec_lo
	s_waitcnt vmcnt(9) lgkmcnt(1)
	v_mul_f64 v[201:202], v[40:41], v[4:5]
	v_mul_f64 v[4:5], v[38:39], v[4:5]
	s_waitcnt vmcnt(8) lgkmcnt(0)
	v_mul_f64 v[203:204], v[193:194], v[8:9]
	v_mul_f64 v[8:9], v[195:196], v[8:9]
	s_delay_alu instid0(VALU_DEP_4) | instskip(NEXT) | instid1(VALU_DEP_4)
	v_fma_f64 v[201:202], v[38:39], v[2:3], -v[201:202]
	v_fma_f64 v[205:206], v[40:41], v[2:3], v[4:5]
	ds_load_b128 v[2:5], v1 offset:896
	scratch_load_b128 v[38:41], off, off offset:224
	v_fma_f64 v[203:204], v[195:196], v[6:7], v[203:204]
	v_fma_f64 v[209:210], v[193:194], v[6:7], -v[8:9]
	scratch_load_b128 v[193:196], off, off offset:240
	ds_load_b128 v[6:9], v1 offset:912
	s_waitcnt vmcnt(9) lgkmcnt(1)
	v_mul_f64 v[207:208], v[2:3], v[12:13]
	v_mul_f64 v[12:13], v[4:5], v[12:13]
	s_waitcnt vmcnt(8) lgkmcnt(0)
	v_mul_f64 v[211:212], v[6:7], v[16:17]
	v_mul_f64 v[16:17], v[8:9], v[16:17]
	v_add_f64 v[201:202], v[201:202], 0
	v_add_f64 v[205:206], v[205:206], 0
	v_fma_f64 v[207:208], v[4:5], v[10:11], v[207:208]
	v_fma_f64 v[213:214], v[2:3], v[10:11], -v[12:13]
	ds_load_b128 v[2:5], v1 offset:928
	scratch_load_b128 v[10:13], off, off offset:256
	v_add_f64 v[201:202], v[201:202], v[209:210]
	v_add_f64 v[203:204], v[205:206], v[203:204]
	v_fma_f64 v[209:210], v[8:9], v[14:15], v[211:212]
	v_fma_f64 v[211:212], v[6:7], v[14:15], -v[16:17]
	scratch_load_b128 v[14:17], off, off offset:272
	ds_load_b128 v[6:9], v1 offset:944
	s_waitcnt vmcnt(9) lgkmcnt(1)
	v_mul_f64 v[205:206], v[2:3], v[20:21]
	v_mul_f64 v[20:21], v[4:5], v[20:21]
	v_add_f64 v[201:202], v[201:202], v[213:214]
	v_add_f64 v[203:204], v[203:204], v[207:208]
	s_waitcnt vmcnt(8) lgkmcnt(0)
	v_mul_f64 v[207:208], v[6:7], v[24:25]
	v_mul_f64 v[24:25], v[8:9], v[24:25]
	v_fma_f64 v[205:206], v[4:5], v[18:19], v[205:206]
	v_fma_f64 v[213:214], v[2:3], v[18:19], -v[20:21]
	ds_load_b128 v[2:5], v1 offset:960
	scratch_load_b128 v[18:21], off, off offset:288
	v_add_f64 v[201:202], v[201:202], v[211:212]
	v_add_f64 v[203:204], v[203:204], v[209:210]
	v_fma_f64 v[207:208], v[8:9], v[22:23], v[207:208]
	v_fma_f64 v[211:212], v[6:7], v[22:23], -v[24:25]
	scratch_load_b128 v[22:25], off, off offset:304
	ds_load_b128 v[6:9], v1 offset:976
	s_waitcnt vmcnt(9) lgkmcnt(1)
	v_mul_f64 v[209:210], v[2:3], v[28:29]
	v_mul_f64 v[28:29], v[4:5], v[28:29]
	v_add_f64 v[201:202], v[201:202], v[213:214]
	v_add_f64 v[203:204], v[203:204], v[205:206]
	s_waitcnt vmcnt(8) lgkmcnt(0)
	v_mul_f64 v[205:206], v[6:7], v[32:33]
	v_mul_f64 v[32:33], v[8:9], v[32:33]
	;; [unrolled: 18-line block ×13, first 2 shown]
	v_fma_f64 v[205:206], v[4:5], v[34:35], v[205:206]
	v_fma_f64 v[213:214], v[2:3], v[34:35], -v[36:37]
	ds_load_b128 v[2:5], v1 offset:1344
	scratch_load_b128 v[34:37], off, off offset:672
	v_add_f64 v[201:202], v[201:202], v[211:212]
	v_add_f64 v[203:204], v[203:204], v[209:210]
	v_fma_f64 v[207:208], v[8:9], v[197:198], v[207:208]
	v_fma_f64 v[211:212], v[6:7], v[197:198], -v[199:200]
	ds_load_b128 v[6:9], v1 offset:1360
	s_waitcnt vmcnt(8) lgkmcnt(1)
	v_mul_f64 v[209:210], v[2:3], v[40:41]
	v_mul_f64 v[40:41], v[4:5], v[40:41]
	scratch_load_b128 v[197:200], off, off offset:688
	v_add_f64 v[201:202], v[201:202], v[213:214]
	v_add_f64 v[203:204], v[203:204], v[205:206]
	s_waitcnt vmcnt(8) lgkmcnt(0)
	v_mul_f64 v[205:206], v[6:7], v[195:196]
	v_mul_f64 v[195:196], v[8:9], v[195:196]
	v_fma_f64 v[209:210], v[4:5], v[38:39], v[209:210]
	v_fma_f64 v[213:214], v[2:3], v[38:39], -v[40:41]
	ds_load_b128 v[2:5], v1 offset:1376
	scratch_load_b128 v[38:41], off, off offset:704
	v_add_f64 v[201:202], v[201:202], v[211:212]
	v_add_f64 v[203:204], v[203:204], v[207:208]
	v_fma_f64 v[205:206], v[8:9], v[193:194], v[205:206]
	v_fma_f64 v[211:212], v[6:7], v[193:194], -v[195:196]
	ds_load_b128 v[6:9], v1 offset:1392
	s_waitcnt vmcnt(8) lgkmcnt(1)
	v_mul_f64 v[207:208], v[2:3], v[12:13]
	v_mul_f64 v[12:13], v[4:5], v[12:13]
	scratch_load_b128 v[193:196], off, off offset:720
	v_add_f64 v[201:202], v[201:202], v[213:214]
	v_add_f64 v[203:204], v[203:204], v[209:210]
	s_waitcnt vmcnt(8) lgkmcnt(0)
	v_mul_f64 v[209:210], v[6:7], v[16:17]
	v_mul_f64 v[16:17], v[8:9], v[16:17]
	v_fma_f64 v[207:208], v[4:5], v[10:11], v[207:208]
	v_fma_f64 v[213:214], v[2:3], v[10:11], -v[12:13]
	scratch_load_b128 v[10:13], off, off offset:736
	ds_load_b128 v[2:5], v1 offset:1408
	v_add_f64 v[201:202], v[201:202], v[211:212]
	v_add_f64 v[203:204], v[203:204], v[205:206]
	v_fma_f64 v[209:210], v[8:9], v[14:15], v[209:210]
	v_fma_f64 v[211:212], v[6:7], v[14:15], -v[16:17]
	ds_load_b128 v[6:9], v1 offset:1424
	s_waitcnt vmcnt(8) lgkmcnt(1)
	v_mul_f64 v[205:206], v[2:3], v[20:21]
	v_mul_f64 v[20:21], v[4:5], v[20:21]
	scratch_load_b128 v[14:17], off, off offset:752
	v_add_f64 v[201:202], v[201:202], v[213:214]
	v_add_f64 v[203:204], v[203:204], v[207:208]
	s_waitcnt vmcnt(8) lgkmcnt(0)
	v_mul_f64 v[207:208], v[6:7], v[24:25]
	v_mul_f64 v[24:25], v[8:9], v[24:25]
	v_fma_f64 v[205:206], v[4:5], v[18:19], v[205:206]
	v_fma_f64 v[213:214], v[2:3], v[18:19], -v[20:21]
	scratch_load_b128 v[18:21], off, off offset:768
	ds_load_b128 v[2:5], v1 offset:1440
	v_add_f64 v[201:202], v[201:202], v[211:212]
	v_add_f64 v[203:204], v[203:204], v[209:210]
	v_fma_f64 v[207:208], v[8:9], v[22:23], v[207:208]
	v_fma_f64 v[211:212], v[6:7], v[22:23], -v[24:25]
	ds_load_b128 v[6:9], v1 offset:1456
	s_waitcnt vmcnt(8) lgkmcnt(1)
	v_mul_f64 v[209:210], v[2:3], v[28:29]
	v_mul_f64 v[28:29], v[4:5], v[28:29]
	scratch_load_b128 v[22:25], off, off offset:784
	v_add_f64 v[201:202], v[201:202], v[213:214]
	v_add_f64 v[203:204], v[203:204], v[205:206]
	s_waitcnt vmcnt(8) lgkmcnt(0)
	v_mul_f64 v[205:206], v[6:7], v[32:33]
	v_mul_f64 v[32:33], v[8:9], v[32:33]
	v_fma_f64 v[209:210], v[4:5], v[26:27], v[209:210]
	v_fma_f64 v[26:27], v[2:3], v[26:27], -v[28:29]
	ds_load_b128 v[2:5], v1 offset:1472
	v_add_f64 v[28:29], v[201:202], v[211:212]
	v_add_f64 v[201:202], v[203:204], v[207:208]
	v_fma_f64 v[205:206], v[8:9], v[30:31], v[205:206]
	v_fma_f64 v[30:31], v[6:7], v[30:31], -v[32:33]
	ds_load_b128 v[6:9], v1 offset:1488
	s_waitcnt vmcnt(7) lgkmcnt(1)
	v_mul_f64 v[203:204], v[2:3], v[36:37]
	v_mul_f64 v[36:37], v[4:5], v[36:37]
	v_add_f64 v[26:27], v[28:29], v[26:27]
	v_add_f64 v[28:29], v[201:202], v[209:210]
	s_delay_alu instid0(VALU_DEP_4) | instskip(NEXT) | instid1(VALU_DEP_4)
	v_fma_f64 v[201:202], v[4:5], v[34:35], v[203:204]
	v_fma_f64 v[34:35], v[2:3], v[34:35], -v[36:37]
	ds_load_b128 v[2:5], v1 offset:1504
	v_add_f64 v[30:31], v[26:27], v[30:31]
	v_add_f64 v[36:37], v[28:29], v[205:206]
	scratch_load_b128 v[26:29], off, off offset:48
	s_waitcnt vmcnt(7) lgkmcnt(1)
	v_mul_f64 v[32:33], v[6:7], v[199:200]
	v_mul_f64 v[199:200], v[8:9], v[199:200]
	v_add_f64 v[30:31], v[30:31], v[34:35]
	v_add_f64 v[34:35], v[36:37], v[201:202]
	s_delay_alu instid0(VALU_DEP_4) | instskip(NEXT) | instid1(VALU_DEP_4)
	v_fma_f64 v[32:33], v[8:9], v[197:198], v[32:33]
	v_fma_f64 v[197:198], v[6:7], v[197:198], -v[199:200]
	ds_load_b128 v[6:9], v1 offset:1520
	s_waitcnt vmcnt(6) lgkmcnt(1)
	v_mul_f64 v[203:204], v[2:3], v[40:41]
	v_mul_f64 v[40:41], v[4:5], v[40:41]
	s_waitcnt vmcnt(5) lgkmcnt(0)
	v_mul_f64 v[36:37], v[6:7], v[195:196]
	v_mul_f64 v[195:196], v[8:9], v[195:196]
	v_add_f64 v[32:33], v[34:35], v[32:33]
	v_add_f64 v[30:31], v[30:31], v[197:198]
	v_fma_f64 v[199:200], v[4:5], v[38:39], v[203:204]
	v_fma_f64 v[38:39], v[2:3], v[38:39], -v[40:41]
	ds_load_b128 v[2:5], v1 offset:1536
	v_fma_f64 v[36:37], v[8:9], v[193:194], v[36:37]
	v_fma_f64 v[40:41], v[6:7], v[193:194], -v[195:196]
	ds_load_b128 v[6:9], v1 offset:1552
	s_waitcnt vmcnt(4) lgkmcnt(1)
	v_mul_f64 v[34:35], v[2:3], v[12:13]
	v_mul_f64 v[12:13], v[4:5], v[12:13]
	v_add_f64 v[32:33], v[32:33], v[199:200]
	v_add_f64 v[30:31], v[30:31], v[38:39]
	s_waitcnt vmcnt(3) lgkmcnt(0)
	v_mul_f64 v[38:39], v[6:7], v[16:17]
	v_mul_f64 v[16:17], v[8:9], v[16:17]
	v_fma_f64 v[34:35], v[4:5], v[10:11], v[34:35]
	v_fma_f64 v[10:11], v[2:3], v[10:11], -v[12:13]
	ds_load_b128 v[2:5], v1 offset:1568
	v_add_f64 v[12:13], v[30:31], v[40:41]
	v_add_f64 v[30:31], v[32:33], v[36:37]
	v_fma_f64 v[36:37], v[8:9], v[14:15], v[38:39]
	v_fma_f64 v[14:15], v[6:7], v[14:15], -v[16:17]
	ds_load_b128 v[6:9], v1 offset:1584
	s_waitcnt vmcnt(2) lgkmcnt(1)
	v_mul_f64 v[32:33], v[2:3], v[20:21]
	v_mul_f64 v[20:21], v[4:5], v[20:21]
	s_waitcnt vmcnt(1) lgkmcnt(0)
	v_mul_f64 v[16:17], v[6:7], v[24:25]
	v_mul_f64 v[24:25], v[8:9], v[24:25]
	v_add_f64 v[10:11], v[12:13], v[10:11]
	v_add_f64 v[12:13], v[30:31], v[34:35]
	v_fma_f64 v[4:5], v[4:5], v[18:19], v[32:33]
	v_fma_f64 v[1:2], v[2:3], v[18:19], -v[20:21]
	v_fma_f64 v[8:9], v[8:9], v[22:23], v[16:17]
	v_fma_f64 v[6:7], v[6:7], v[22:23], -v[24:25]
	v_add_f64 v[10:11], v[10:11], v[14:15]
	v_add_f64 v[12:13], v[12:13], v[36:37]
	s_delay_alu instid0(VALU_DEP_2) | instskip(NEXT) | instid1(VALU_DEP_2)
	v_add_f64 v[1:2], v[10:11], v[1:2]
	v_add_f64 v[3:4], v[12:13], v[4:5]
	s_delay_alu instid0(VALU_DEP_2) | instskip(NEXT) | instid1(VALU_DEP_2)
	v_add_f64 v[1:2], v[1:2], v[6:7]
	v_add_f64 v[3:4], v[3:4], v[8:9]
	s_waitcnt vmcnt(0)
	s_delay_alu instid0(VALU_DEP_2) | instskip(NEXT) | instid1(VALU_DEP_2)
	v_add_f64 v[1:2], v[26:27], -v[1:2]
	v_add_f64 v[3:4], v[28:29], -v[3:4]
	scratch_store_b128 off, v[1:4], off offset:48
	v_cmpx_lt_u32_e32 2, v142
	s_cbranch_execz .LBB113_309
; %bb.308:
	scratch_load_b128 v[1:4], v190, off
	v_mov_b32_e32 v5, 0
	s_delay_alu instid0(VALU_DEP_1)
	v_mov_b32_e32 v6, v5
	v_mov_b32_e32 v7, v5
	;; [unrolled: 1-line block ×3, first 2 shown]
	scratch_store_b128 off, v[5:8], off offset:32
	s_waitcnt vmcnt(0)
	ds_store_b128 v192, v[1:4]
.LBB113_309:
	s_or_b32 exec_lo, exec_lo, s2
	s_waitcnt lgkmcnt(0)
	s_waitcnt_vscnt null, 0x0
	s_barrier
	buffer_gl0_inv
	s_clause 0x7
	scratch_load_b128 v[2:5], off, off offset:48
	scratch_load_b128 v[6:9], off, off offset:64
	;; [unrolled: 1-line block ×8, first 2 shown]
	v_mov_b32_e32 v1, 0
	s_clause 0x1
	scratch_load_b128 v[34:37], off, off offset:176
	scratch_load_b128 v[197:200], off, off offset:192
	s_mov_b32 s2, exec_lo
	ds_load_b128 v[38:41], v1 offset:848
	ds_load_b128 v[193:196], v1 offset:864
	s_waitcnt vmcnt(9) lgkmcnt(1)
	v_mul_f64 v[201:202], v[40:41], v[4:5]
	v_mul_f64 v[4:5], v[38:39], v[4:5]
	s_waitcnt vmcnt(8) lgkmcnt(0)
	v_mul_f64 v[203:204], v[193:194], v[8:9]
	v_mul_f64 v[8:9], v[195:196], v[8:9]
	s_delay_alu instid0(VALU_DEP_4) | instskip(NEXT) | instid1(VALU_DEP_4)
	v_fma_f64 v[201:202], v[38:39], v[2:3], -v[201:202]
	v_fma_f64 v[205:206], v[40:41], v[2:3], v[4:5]
	ds_load_b128 v[2:5], v1 offset:880
	scratch_load_b128 v[38:41], off, off offset:208
	v_fma_f64 v[203:204], v[195:196], v[6:7], v[203:204]
	v_fma_f64 v[209:210], v[193:194], v[6:7], -v[8:9]
	scratch_load_b128 v[193:196], off, off offset:224
	ds_load_b128 v[6:9], v1 offset:896
	s_waitcnt vmcnt(9) lgkmcnt(1)
	v_mul_f64 v[207:208], v[2:3], v[12:13]
	v_mul_f64 v[12:13], v[4:5], v[12:13]
	s_waitcnt vmcnt(8) lgkmcnt(0)
	v_mul_f64 v[211:212], v[6:7], v[16:17]
	v_mul_f64 v[16:17], v[8:9], v[16:17]
	v_add_f64 v[201:202], v[201:202], 0
	v_add_f64 v[205:206], v[205:206], 0
	v_fma_f64 v[207:208], v[4:5], v[10:11], v[207:208]
	v_fma_f64 v[213:214], v[2:3], v[10:11], -v[12:13]
	ds_load_b128 v[2:5], v1 offset:912
	scratch_load_b128 v[10:13], off, off offset:240
	v_add_f64 v[201:202], v[201:202], v[209:210]
	v_add_f64 v[203:204], v[205:206], v[203:204]
	v_fma_f64 v[209:210], v[8:9], v[14:15], v[211:212]
	v_fma_f64 v[211:212], v[6:7], v[14:15], -v[16:17]
	scratch_load_b128 v[14:17], off, off offset:256
	ds_load_b128 v[6:9], v1 offset:928
	s_waitcnt vmcnt(9) lgkmcnt(1)
	v_mul_f64 v[205:206], v[2:3], v[20:21]
	v_mul_f64 v[20:21], v[4:5], v[20:21]
	v_add_f64 v[201:202], v[201:202], v[213:214]
	v_add_f64 v[203:204], v[203:204], v[207:208]
	s_waitcnt vmcnt(8) lgkmcnt(0)
	v_mul_f64 v[207:208], v[6:7], v[24:25]
	v_mul_f64 v[24:25], v[8:9], v[24:25]
	v_fma_f64 v[205:206], v[4:5], v[18:19], v[205:206]
	v_fma_f64 v[213:214], v[2:3], v[18:19], -v[20:21]
	ds_load_b128 v[2:5], v1 offset:944
	scratch_load_b128 v[18:21], off, off offset:272
	v_add_f64 v[201:202], v[201:202], v[211:212]
	v_add_f64 v[203:204], v[203:204], v[209:210]
	v_fma_f64 v[207:208], v[8:9], v[22:23], v[207:208]
	v_fma_f64 v[211:212], v[6:7], v[22:23], -v[24:25]
	scratch_load_b128 v[22:25], off, off offset:288
	ds_load_b128 v[6:9], v1 offset:960
	s_waitcnt vmcnt(9) lgkmcnt(1)
	v_mul_f64 v[209:210], v[2:3], v[28:29]
	v_mul_f64 v[28:29], v[4:5], v[28:29]
	v_add_f64 v[201:202], v[201:202], v[213:214]
	v_add_f64 v[203:204], v[203:204], v[205:206]
	s_waitcnt vmcnt(8) lgkmcnt(0)
	v_mul_f64 v[205:206], v[6:7], v[32:33]
	v_mul_f64 v[32:33], v[8:9], v[32:33]
	;; [unrolled: 18-line block ×14, first 2 shown]
	v_fma_f64 v[209:210], v[4:5], v[38:39], v[209:210]
	v_fma_f64 v[213:214], v[2:3], v[38:39], -v[40:41]
	ds_load_b128 v[2:5], v1 offset:1360
	scratch_load_b128 v[38:41], off, off offset:688
	v_add_f64 v[201:202], v[201:202], v[211:212]
	v_add_f64 v[203:204], v[203:204], v[207:208]
	v_fma_f64 v[205:206], v[8:9], v[193:194], v[205:206]
	v_fma_f64 v[211:212], v[6:7], v[193:194], -v[195:196]
	ds_load_b128 v[6:9], v1 offset:1376
	s_waitcnt vmcnt(8) lgkmcnt(1)
	v_mul_f64 v[207:208], v[2:3], v[12:13]
	v_mul_f64 v[12:13], v[4:5], v[12:13]
	scratch_load_b128 v[193:196], off, off offset:704
	v_add_f64 v[201:202], v[201:202], v[213:214]
	v_add_f64 v[203:204], v[203:204], v[209:210]
	s_waitcnt vmcnt(8) lgkmcnt(0)
	v_mul_f64 v[209:210], v[6:7], v[16:17]
	v_mul_f64 v[16:17], v[8:9], v[16:17]
	v_fma_f64 v[207:208], v[4:5], v[10:11], v[207:208]
	v_fma_f64 v[213:214], v[2:3], v[10:11], -v[12:13]
	scratch_load_b128 v[10:13], off, off offset:720
	ds_load_b128 v[2:5], v1 offset:1392
	v_add_f64 v[201:202], v[201:202], v[211:212]
	v_add_f64 v[203:204], v[203:204], v[205:206]
	v_fma_f64 v[209:210], v[8:9], v[14:15], v[209:210]
	v_fma_f64 v[211:212], v[6:7], v[14:15], -v[16:17]
	ds_load_b128 v[6:9], v1 offset:1408
	s_waitcnt vmcnt(8) lgkmcnt(1)
	v_mul_f64 v[205:206], v[2:3], v[20:21]
	v_mul_f64 v[20:21], v[4:5], v[20:21]
	scratch_load_b128 v[14:17], off, off offset:736
	v_add_f64 v[201:202], v[201:202], v[213:214]
	v_add_f64 v[203:204], v[203:204], v[207:208]
	s_waitcnt vmcnt(8) lgkmcnt(0)
	v_mul_f64 v[207:208], v[6:7], v[24:25]
	v_mul_f64 v[24:25], v[8:9], v[24:25]
	v_fma_f64 v[205:206], v[4:5], v[18:19], v[205:206]
	v_fma_f64 v[213:214], v[2:3], v[18:19], -v[20:21]
	scratch_load_b128 v[18:21], off, off offset:752
	ds_load_b128 v[2:5], v1 offset:1424
	;; [unrolled: 18-line block ×3, first 2 shown]
	v_add_f64 v[201:202], v[201:202], v[211:212]
	v_add_f64 v[203:204], v[203:204], v[207:208]
	v_fma_f64 v[205:206], v[8:9], v[30:31], v[205:206]
	v_fma_f64 v[30:31], v[6:7], v[30:31], -v[32:33]
	ds_load_b128 v[6:9], v1 offset:1472
	s_waitcnt vmcnt(8) lgkmcnt(1)
	v_mul_f64 v[207:208], v[2:3], v[36:37]
	v_mul_f64 v[36:37], v[4:5], v[36:37]
	v_add_f64 v[32:33], v[201:202], v[213:214]
	v_add_f64 v[201:202], v[203:204], v[209:210]
	s_waitcnt vmcnt(7) lgkmcnt(0)
	v_mul_f64 v[203:204], v[6:7], v[199:200]
	v_mul_f64 v[199:200], v[8:9], v[199:200]
	v_fma_f64 v[207:208], v[4:5], v[34:35], v[207:208]
	v_fma_f64 v[34:35], v[2:3], v[34:35], -v[36:37]
	ds_load_b128 v[2:5], v1 offset:1488
	v_add_f64 v[30:31], v[32:33], v[30:31]
	v_add_f64 v[32:33], v[201:202], v[205:206]
	v_fma_f64 v[201:202], v[8:9], v[197:198], v[203:204]
	v_fma_f64 v[197:198], v[6:7], v[197:198], -v[199:200]
	ds_load_b128 v[6:9], v1 offset:1504
	s_waitcnt vmcnt(5) lgkmcnt(0)
	v_mul_f64 v[203:204], v[6:7], v[195:196]
	v_mul_f64 v[195:196], v[8:9], v[195:196]
	v_add_f64 v[34:35], v[30:31], v[34:35]
	v_add_f64 v[199:200], v[32:33], v[207:208]
	scratch_load_b128 v[30:33], off, off offset:32
	v_mul_f64 v[36:37], v[2:3], v[40:41]
	v_mul_f64 v[40:41], v[4:5], v[40:41]
	v_add_f64 v[34:35], v[34:35], v[197:198]
	s_delay_alu instid0(VALU_DEP_3) | instskip(NEXT) | instid1(VALU_DEP_3)
	v_fma_f64 v[36:37], v[4:5], v[38:39], v[36:37]
	v_fma_f64 v[38:39], v[2:3], v[38:39], -v[40:41]
	v_add_f64 v[40:41], v[199:200], v[201:202]
	ds_load_b128 v[2:5], v1 offset:1520
	v_fma_f64 v[199:200], v[8:9], v[193:194], v[203:204]
	v_fma_f64 v[193:194], v[6:7], v[193:194], -v[195:196]
	ds_load_b128 v[6:9], v1 offset:1536
	s_waitcnt vmcnt(5) lgkmcnt(1)
	v_mul_f64 v[197:198], v[2:3], v[12:13]
	v_mul_f64 v[12:13], v[4:5], v[12:13]
	v_add_f64 v[34:35], v[34:35], v[38:39]
	v_add_f64 v[36:37], v[40:41], v[36:37]
	s_waitcnt vmcnt(4) lgkmcnt(0)
	v_mul_f64 v[38:39], v[6:7], v[16:17]
	v_mul_f64 v[16:17], v[8:9], v[16:17]
	v_fma_f64 v[40:41], v[4:5], v[10:11], v[197:198]
	v_fma_f64 v[10:11], v[2:3], v[10:11], -v[12:13]
	ds_load_b128 v[2:5], v1 offset:1552
	v_add_f64 v[12:13], v[34:35], v[193:194]
	v_add_f64 v[34:35], v[36:37], v[199:200]
	v_fma_f64 v[38:39], v[8:9], v[14:15], v[38:39]
	v_fma_f64 v[14:15], v[6:7], v[14:15], -v[16:17]
	ds_load_b128 v[6:9], v1 offset:1568
	s_waitcnt vmcnt(3) lgkmcnt(1)
	v_mul_f64 v[36:37], v[2:3], v[20:21]
	v_mul_f64 v[20:21], v[4:5], v[20:21]
	s_waitcnt vmcnt(2) lgkmcnt(0)
	v_mul_f64 v[16:17], v[6:7], v[24:25]
	v_mul_f64 v[24:25], v[8:9], v[24:25]
	v_add_f64 v[10:11], v[12:13], v[10:11]
	v_add_f64 v[12:13], v[34:35], v[40:41]
	v_fma_f64 v[34:35], v[4:5], v[18:19], v[36:37]
	v_fma_f64 v[18:19], v[2:3], v[18:19], -v[20:21]
	ds_load_b128 v[2:5], v1 offset:1584
	v_fma_f64 v[8:9], v[8:9], v[22:23], v[16:17]
	v_fma_f64 v[6:7], v[6:7], v[22:23], -v[24:25]
	s_waitcnt vmcnt(1) lgkmcnt(0)
	v_mul_f64 v[20:21], v[4:5], v[28:29]
	v_add_f64 v[10:11], v[10:11], v[14:15]
	v_add_f64 v[12:13], v[12:13], v[38:39]
	v_mul_f64 v[14:15], v[2:3], v[28:29]
	s_delay_alu instid0(VALU_DEP_4) | instskip(NEXT) | instid1(VALU_DEP_4)
	v_fma_f64 v[2:3], v[2:3], v[26:27], -v[20:21]
	v_add_f64 v[10:11], v[10:11], v[18:19]
	s_delay_alu instid0(VALU_DEP_4) | instskip(NEXT) | instid1(VALU_DEP_4)
	v_add_f64 v[12:13], v[12:13], v[34:35]
	v_fma_f64 v[4:5], v[4:5], v[26:27], v[14:15]
	s_delay_alu instid0(VALU_DEP_3) | instskip(NEXT) | instid1(VALU_DEP_3)
	v_add_f64 v[6:7], v[10:11], v[6:7]
	v_add_f64 v[8:9], v[12:13], v[8:9]
	s_delay_alu instid0(VALU_DEP_2) | instskip(NEXT) | instid1(VALU_DEP_2)
	v_add_f64 v[2:3], v[6:7], v[2:3]
	v_add_f64 v[4:5], v[8:9], v[4:5]
	s_waitcnt vmcnt(0)
	s_delay_alu instid0(VALU_DEP_2) | instskip(NEXT) | instid1(VALU_DEP_2)
	v_add_f64 v[2:3], v[30:31], -v[2:3]
	v_add_f64 v[4:5], v[32:33], -v[4:5]
	scratch_store_b128 off, v[2:5], off offset:32
	v_cmpx_lt_u32_e32 1, v142
	s_cbranch_execz .LBB113_311
; %bb.310:
	scratch_load_b128 v[5:8], v191, off
	v_mov_b32_e32 v2, v1
	v_mov_b32_e32 v3, v1
	;; [unrolled: 1-line block ×3, first 2 shown]
	scratch_store_b128 off, v[1:4], off offset:16
	s_waitcnt vmcnt(0)
	ds_store_b128 v192, v[5:8]
.LBB113_311:
	s_or_b32 exec_lo, exec_lo, s2
	s_waitcnt lgkmcnt(0)
	s_waitcnt_vscnt null, 0x0
	s_barrier
	buffer_gl0_inv
	s_clause 0x7
	scratch_load_b128 v[2:5], off, off offset:32
	scratch_load_b128 v[6:9], off, off offset:48
	;; [unrolled: 1-line block ×8, first 2 shown]
	ds_load_b128 v[38:41], v1 offset:832
	ds_load_b128 v[193:196], v1 offset:848
	s_clause 0x1
	scratch_load_b128 v[34:37], off, off offset:160
	scratch_load_b128 v[197:200], off, off offset:176
	s_mov_b32 s2, exec_lo
	s_waitcnt vmcnt(9) lgkmcnt(1)
	v_mul_f64 v[201:202], v[40:41], v[4:5]
	v_mul_f64 v[4:5], v[38:39], v[4:5]
	s_waitcnt vmcnt(8) lgkmcnt(0)
	v_mul_f64 v[203:204], v[193:194], v[8:9]
	v_mul_f64 v[8:9], v[195:196], v[8:9]
	s_delay_alu instid0(VALU_DEP_4) | instskip(NEXT) | instid1(VALU_DEP_4)
	v_fma_f64 v[201:202], v[38:39], v[2:3], -v[201:202]
	v_fma_f64 v[205:206], v[40:41], v[2:3], v[4:5]
	ds_load_b128 v[2:5], v1 offset:864
	scratch_load_b128 v[38:41], off, off offset:192
	v_fma_f64 v[203:204], v[195:196], v[6:7], v[203:204]
	v_fma_f64 v[209:210], v[193:194], v[6:7], -v[8:9]
	scratch_load_b128 v[193:196], off, off offset:208
	ds_load_b128 v[6:9], v1 offset:880
	s_waitcnt vmcnt(9) lgkmcnt(1)
	v_mul_f64 v[207:208], v[2:3], v[12:13]
	v_mul_f64 v[12:13], v[4:5], v[12:13]
	s_waitcnt vmcnt(8) lgkmcnt(0)
	v_mul_f64 v[211:212], v[6:7], v[16:17]
	v_mul_f64 v[16:17], v[8:9], v[16:17]
	v_add_f64 v[201:202], v[201:202], 0
	v_add_f64 v[205:206], v[205:206], 0
	v_fma_f64 v[207:208], v[4:5], v[10:11], v[207:208]
	v_fma_f64 v[213:214], v[2:3], v[10:11], -v[12:13]
	ds_load_b128 v[2:5], v1 offset:896
	scratch_load_b128 v[10:13], off, off offset:224
	v_add_f64 v[201:202], v[201:202], v[209:210]
	v_add_f64 v[203:204], v[205:206], v[203:204]
	v_fma_f64 v[209:210], v[8:9], v[14:15], v[211:212]
	v_fma_f64 v[211:212], v[6:7], v[14:15], -v[16:17]
	scratch_load_b128 v[14:17], off, off offset:240
	ds_load_b128 v[6:9], v1 offset:912
	s_waitcnt vmcnt(9) lgkmcnt(1)
	v_mul_f64 v[205:206], v[2:3], v[20:21]
	v_mul_f64 v[20:21], v[4:5], v[20:21]
	v_add_f64 v[201:202], v[201:202], v[213:214]
	v_add_f64 v[203:204], v[203:204], v[207:208]
	s_waitcnt vmcnt(8) lgkmcnt(0)
	v_mul_f64 v[207:208], v[6:7], v[24:25]
	v_mul_f64 v[24:25], v[8:9], v[24:25]
	v_fma_f64 v[205:206], v[4:5], v[18:19], v[205:206]
	v_fma_f64 v[213:214], v[2:3], v[18:19], -v[20:21]
	ds_load_b128 v[2:5], v1 offset:928
	scratch_load_b128 v[18:21], off, off offset:256
	v_add_f64 v[201:202], v[201:202], v[211:212]
	v_add_f64 v[203:204], v[203:204], v[209:210]
	v_fma_f64 v[207:208], v[8:9], v[22:23], v[207:208]
	v_fma_f64 v[211:212], v[6:7], v[22:23], -v[24:25]
	scratch_load_b128 v[22:25], off, off offset:272
	ds_load_b128 v[6:9], v1 offset:944
	s_waitcnt vmcnt(9) lgkmcnt(1)
	v_mul_f64 v[209:210], v[2:3], v[28:29]
	v_mul_f64 v[28:29], v[4:5], v[28:29]
	v_add_f64 v[201:202], v[201:202], v[213:214]
	v_add_f64 v[203:204], v[203:204], v[205:206]
	s_waitcnt vmcnt(8) lgkmcnt(0)
	v_mul_f64 v[205:206], v[6:7], v[32:33]
	v_mul_f64 v[32:33], v[8:9], v[32:33]
	;; [unrolled: 18-line block ×14, first 2 shown]
	v_fma_f64 v[209:210], v[4:5], v[38:39], v[209:210]
	v_fma_f64 v[213:214], v[2:3], v[38:39], -v[40:41]
	ds_load_b128 v[2:5], v1 offset:1344
	scratch_load_b128 v[38:41], off, off offset:672
	v_add_f64 v[201:202], v[201:202], v[211:212]
	v_add_f64 v[203:204], v[203:204], v[207:208]
	v_fma_f64 v[205:206], v[8:9], v[193:194], v[205:206]
	v_fma_f64 v[211:212], v[6:7], v[193:194], -v[195:196]
	ds_load_b128 v[6:9], v1 offset:1360
	s_waitcnt vmcnt(8) lgkmcnt(1)
	v_mul_f64 v[207:208], v[2:3], v[12:13]
	v_mul_f64 v[12:13], v[4:5], v[12:13]
	scratch_load_b128 v[193:196], off, off offset:688
	v_add_f64 v[201:202], v[201:202], v[213:214]
	v_add_f64 v[203:204], v[203:204], v[209:210]
	s_waitcnt vmcnt(8) lgkmcnt(0)
	v_mul_f64 v[209:210], v[6:7], v[16:17]
	v_mul_f64 v[16:17], v[8:9], v[16:17]
	v_fma_f64 v[207:208], v[4:5], v[10:11], v[207:208]
	v_fma_f64 v[213:214], v[2:3], v[10:11], -v[12:13]
	ds_load_b128 v[2:5], v1 offset:1376
	scratch_load_b128 v[10:13], off, off offset:704
	v_add_f64 v[201:202], v[201:202], v[211:212]
	v_add_f64 v[203:204], v[203:204], v[205:206]
	v_fma_f64 v[209:210], v[8:9], v[14:15], v[209:210]
	v_fma_f64 v[211:212], v[6:7], v[14:15], -v[16:17]
	ds_load_b128 v[6:9], v1 offset:1392
	s_waitcnt vmcnt(8) lgkmcnt(1)
	v_mul_f64 v[205:206], v[2:3], v[20:21]
	v_mul_f64 v[20:21], v[4:5], v[20:21]
	scratch_load_b128 v[14:17], off, off offset:720
	v_add_f64 v[201:202], v[201:202], v[213:214]
	v_add_f64 v[203:204], v[203:204], v[207:208]
	s_waitcnt vmcnt(8) lgkmcnt(0)
	v_mul_f64 v[207:208], v[6:7], v[24:25]
	v_mul_f64 v[24:25], v[8:9], v[24:25]
	v_fma_f64 v[205:206], v[4:5], v[18:19], v[205:206]
	v_fma_f64 v[213:214], v[2:3], v[18:19], -v[20:21]
	scratch_load_b128 v[18:21], off, off offset:736
	ds_load_b128 v[2:5], v1 offset:1408
	v_add_f64 v[201:202], v[201:202], v[211:212]
	v_add_f64 v[203:204], v[203:204], v[209:210]
	v_fma_f64 v[207:208], v[8:9], v[22:23], v[207:208]
	v_fma_f64 v[211:212], v[6:7], v[22:23], -v[24:25]
	ds_load_b128 v[6:9], v1 offset:1424
	s_waitcnt vmcnt(8) lgkmcnt(1)
	v_mul_f64 v[209:210], v[2:3], v[28:29]
	v_mul_f64 v[28:29], v[4:5], v[28:29]
	scratch_load_b128 v[22:25], off, off offset:752
	v_add_f64 v[201:202], v[201:202], v[213:214]
	v_add_f64 v[203:204], v[203:204], v[205:206]
	s_waitcnt vmcnt(8) lgkmcnt(0)
	v_mul_f64 v[205:206], v[6:7], v[32:33]
	v_mul_f64 v[32:33], v[8:9], v[32:33]
	v_fma_f64 v[209:210], v[4:5], v[26:27], v[209:210]
	v_fma_f64 v[213:214], v[2:3], v[26:27], -v[28:29]
	scratch_load_b128 v[26:29], off, off offset:768
	ds_load_b128 v[2:5], v1 offset:1440
	v_add_f64 v[201:202], v[201:202], v[211:212]
	v_add_f64 v[203:204], v[203:204], v[207:208]
	v_fma_f64 v[205:206], v[8:9], v[30:31], v[205:206]
	v_fma_f64 v[211:212], v[6:7], v[30:31], -v[32:33]
	ds_load_b128 v[6:9], v1 offset:1456
	s_waitcnt vmcnt(8) lgkmcnt(1)
	v_mul_f64 v[207:208], v[2:3], v[36:37]
	v_mul_f64 v[36:37], v[4:5], v[36:37]
	scratch_load_b128 v[30:33], off, off offset:784
	v_add_f64 v[201:202], v[201:202], v[213:214]
	v_add_f64 v[203:204], v[203:204], v[209:210]
	s_waitcnt vmcnt(8) lgkmcnt(0)
	v_mul_f64 v[209:210], v[6:7], v[199:200]
	v_mul_f64 v[199:200], v[8:9], v[199:200]
	v_fma_f64 v[207:208], v[4:5], v[34:35], v[207:208]
	v_fma_f64 v[34:35], v[2:3], v[34:35], -v[36:37]
	ds_load_b128 v[2:5], v1 offset:1472
	v_add_f64 v[36:37], v[201:202], v[211:212]
	v_add_f64 v[201:202], v[203:204], v[205:206]
	v_fma_f64 v[205:206], v[8:9], v[197:198], v[209:210]
	v_fma_f64 v[197:198], v[6:7], v[197:198], -v[199:200]
	ds_load_b128 v[6:9], v1 offset:1488
	s_waitcnt vmcnt(7) lgkmcnt(1)
	v_mul_f64 v[203:204], v[2:3], v[40:41]
	v_mul_f64 v[40:41], v[4:5], v[40:41]
	v_add_f64 v[34:35], v[36:37], v[34:35]
	v_add_f64 v[36:37], v[201:202], v[207:208]
	s_delay_alu instid0(VALU_DEP_4) | instskip(NEXT) | instid1(VALU_DEP_4)
	v_fma_f64 v[201:202], v[4:5], v[38:39], v[203:204]
	v_fma_f64 v[38:39], v[2:3], v[38:39], -v[40:41]
	ds_load_b128 v[2:5], v1 offset:1504
	v_add_f64 v[40:41], v[34:35], v[197:198]
	v_add_f64 v[197:198], v[36:37], v[205:206]
	scratch_load_b128 v[34:37], off, off offset:16
	s_waitcnt vmcnt(7) lgkmcnt(1)
	v_mul_f64 v[199:200], v[6:7], v[195:196]
	v_mul_f64 v[195:196], v[8:9], v[195:196]
	v_add_f64 v[38:39], v[40:41], v[38:39]
	v_add_f64 v[40:41], v[197:198], v[201:202]
	s_delay_alu instid0(VALU_DEP_4) | instskip(NEXT) | instid1(VALU_DEP_4)
	v_fma_f64 v[199:200], v[8:9], v[193:194], v[199:200]
	v_fma_f64 v[193:194], v[6:7], v[193:194], -v[195:196]
	ds_load_b128 v[6:9], v1 offset:1520
	s_waitcnt vmcnt(6) lgkmcnt(1)
	v_mul_f64 v[203:204], v[2:3], v[12:13]
	v_mul_f64 v[12:13], v[4:5], v[12:13]
	s_waitcnt vmcnt(5) lgkmcnt(0)
	v_mul_f64 v[195:196], v[6:7], v[16:17]
	v_mul_f64 v[16:17], v[8:9], v[16:17]
	s_delay_alu instid0(VALU_DEP_4) | instskip(NEXT) | instid1(VALU_DEP_4)
	v_fma_f64 v[197:198], v[4:5], v[10:11], v[203:204]
	v_fma_f64 v[10:11], v[2:3], v[10:11], -v[12:13]
	v_add_f64 v[12:13], v[38:39], v[193:194]
	v_add_f64 v[38:39], v[40:41], v[199:200]
	ds_load_b128 v[2:5], v1 offset:1536
	v_fma_f64 v[193:194], v[8:9], v[14:15], v[195:196]
	v_fma_f64 v[14:15], v[6:7], v[14:15], -v[16:17]
	ds_load_b128 v[6:9], v1 offset:1552
	s_waitcnt vmcnt(4) lgkmcnt(1)
	v_mul_f64 v[40:41], v[2:3], v[20:21]
	v_mul_f64 v[20:21], v[4:5], v[20:21]
	v_add_f64 v[10:11], v[12:13], v[10:11]
	v_add_f64 v[12:13], v[38:39], v[197:198]
	s_waitcnt vmcnt(3) lgkmcnt(0)
	v_mul_f64 v[16:17], v[6:7], v[24:25]
	v_mul_f64 v[24:25], v[8:9], v[24:25]
	v_fma_f64 v[38:39], v[4:5], v[18:19], v[40:41]
	v_fma_f64 v[18:19], v[2:3], v[18:19], -v[20:21]
	ds_load_b128 v[2:5], v1 offset:1568
	v_add_f64 v[10:11], v[10:11], v[14:15]
	v_add_f64 v[12:13], v[12:13], v[193:194]
	v_fma_f64 v[16:17], v[8:9], v[22:23], v[16:17]
	v_fma_f64 v[22:23], v[6:7], v[22:23], -v[24:25]
	ds_load_b128 v[6:9], v1 offset:1584
	s_waitcnt vmcnt(2) lgkmcnt(1)
	v_mul_f64 v[14:15], v[2:3], v[28:29]
	v_mul_f64 v[20:21], v[4:5], v[28:29]
	s_waitcnt vmcnt(1) lgkmcnt(0)
	v_mul_f64 v[24:25], v[8:9], v[32:33]
	v_add_f64 v[10:11], v[10:11], v[18:19]
	v_add_f64 v[12:13], v[12:13], v[38:39]
	v_mul_f64 v[18:19], v[6:7], v[32:33]
	v_fma_f64 v[4:5], v[4:5], v[26:27], v[14:15]
	v_fma_f64 v[1:2], v[2:3], v[26:27], -v[20:21]
	v_fma_f64 v[6:7], v[6:7], v[30:31], -v[24:25]
	v_add_f64 v[10:11], v[10:11], v[22:23]
	v_add_f64 v[12:13], v[12:13], v[16:17]
	v_fma_f64 v[8:9], v[8:9], v[30:31], v[18:19]
	s_delay_alu instid0(VALU_DEP_3) | instskip(NEXT) | instid1(VALU_DEP_3)
	v_add_f64 v[1:2], v[10:11], v[1:2]
	v_add_f64 v[3:4], v[12:13], v[4:5]
	s_delay_alu instid0(VALU_DEP_2) | instskip(NEXT) | instid1(VALU_DEP_2)
	v_add_f64 v[1:2], v[1:2], v[6:7]
	v_add_f64 v[3:4], v[3:4], v[8:9]
	s_waitcnt vmcnt(0)
	s_delay_alu instid0(VALU_DEP_2) | instskip(NEXT) | instid1(VALU_DEP_2)
	v_add_f64 v[1:2], v[34:35], -v[1:2]
	v_add_f64 v[3:4], v[36:37], -v[3:4]
	scratch_store_b128 off, v[1:4], off offset:16
	v_cmpx_ne_u32_e32 0, v142
	s_cbranch_execz .LBB113_313
; %bb.312:
	scratch_load_b128 v[1:4], off, off
	v_mov_b32_e32 v5, 0
	s_delay_alu instid0(VALU_DEP_1)
	v_mov_b32_e32 v6, v5
	v_mov_b32_e32 v7, v5
	;; [unrolled: 1-line block ×3, first 2 shown]
	scratch_store_b128 off, v[5:8], off
	s_waitcnt vmcnt(0)
	ds_store_b128 v192, v[1:4]
.LBB113_313:
	s_or_b32 exec_lo, exec_lo, s2
	s_waitcnt lgkmcnt(0)
	s_waitcnt_vscnt null, 0x0
	s_barrier
	buffer_gl0_inv
	s_clause 0x7
	scratch_load_b128 v[1:4], off, off offset:16
	scratch_load_b128 v[5:8], off, off offset:32
	;; [unrolled: 1-line block ×8, first 2 shown]
	v_mov_b32_e32 v41, 0
	s_clause 0x1
	scratch_load_b128 v[33:36], off, off offset:144
	scratch_load_b128 v[196:199], off, off offset:160
	s_and_b32 vcc_lo, exec_lo, s14
	ds_load_b128 v[37:40], v41 offset:816
	ds_load_b128 v[192:195], v41 offset:832
	s_waitcnt vmcnt(9) lgkmcnt(1)
	v_mul_f64 v[200:201], v[39:40], v[3:4]
	v_mul_f64 v[3:4], v[37:38], v[3:4]
	s_waitcnt vmcnt(8) lgkmcnt(0)
	v_mul_f64 v[202:203], v[192:193], v[7:8]
	v_mul_f64 v[7:8], v[194:195], v[7:8]
	s_delay_alu instid0(VALU_DEP_4) | instskip(NEXT) | instid1(VALU_DEP_4)
	v_fma_f64 v[200:201], v[37:38], v[1:2], -v[200:201]
	v_fma_f64 v[204:205], v[39:40], v[1:2], v[3:4]
	ds_load_b128 v[1:4], v41 offset:848
	scratch_load_b128 v[37:40], off, off offset:176
	v_fma_f64 v[202:203], v[194:195], v[5:6], v[202:203]
	v_fma_f64 v[208:209], v[192:193], v[5:6], -v[7:8]
	scratch_load_b128 v[192:195], off, off offset:192
	ds_load_b128 v[5:8], v41 offset:864
	s_waitcnt vmcnt(9) lgkmcnt(1)
	v_mul_f64 v[206:207], v[1:2], v[11:12]
	v_mul_f64 v[11:12], v[3:4], v[11:12]
	s_waitcnt vmcnt(8) lgkmcnt(0)
	v_mul_f64 v[210:211], v[5:6], v[15:16]
	v_mul_f64 v[15:16], v[7:8], v[15:16]
	v_add_f64 v[200:201], v[200:201], 0
	v_add_f64 v[204:205], v[204:205], 0
	v_fma_f64 v[206:207], v[3:4], v[9:10], v[206:207]
	v_fma_f64 v[212:213], v[1:2], v[9:10], -v[11:12]
	ds_load_b128 v[1:4], v41 offset:880
	scratch_load_b128 v[9:12], off, off offset:208
	v_add_f64 v[200:201], v[200:201], v[208:209]
	v_add_f64 v[202:203], v[204:205], v[202:203]
	v_fma_f64 v[208:209], v[7:8], v[13:14], v[210:211]
	v_fma_f64 v[210:211], v[5:6], v[13:14], -v[15:16]
	scratch_load_b128 v[13:16], off, off offset:224
	ds_load_b128 v[5:8], v41 offset:896
	s_waitcnt vmcnt(9) lgkmcnt(1)
	v_mul_f64 v[204:205], v[1:2], v[19:20]
	v_mul_f64 v[19:20], v[3:4], v[19:20]
	v_add_f64 v[200:201], v[200:201], v[212:213]
	v_add_f64 v[202:203], v[202:203], v[206:207]
	s_waitcnt vmcnt(8) lgkmcnt(0)
	v_mul_f64 v[206:207], v[5:6], v[23:24]
	v_mul_f64 v[23:24], v[7:8], v[23:24]
	v_fma_f64 v[204:205], v[3:4], v[17:18], v[204:205]
	v_fma_f64 v[212:213], v[1:2], v[17:18], -v[19:20]
	ds_load_b128 v[1:4], v41 offset:912
	scratch_load_b128 v[17:20], off, off offset:240
	v_add_f64 v[200:201], v[200:201], v[210:211]
	v_add_f64 v[202:203], v[202:203], v[208:209]
	v_fma_f64 v[206:207], v[7:8], v[21:22], v[206:207]
	v_fma_f64 v[210:211], v[5:6], v[21:22], -v[23:24]
	scratch_load_b128 v[21:24], off, off offset:256
	ds_load_b128 v[5:8], v41 offset:928
	s_waitcnt vmcnt(9) lgkmcnt(1)
	v_mul_f64 v[208:209], v[1:2], v[27:28]
	v_mul_f64 v[27:28], v[3:4], v[27:28]
	v_add_f64 v[200:201], v[200:201], v[212:213]
	v_add_f64 v[202:203], v[202:203], v[204:205]
	s_waitcnt vmcnt(8) lgkmcnt(0)
	v_mul_f64 v[204:205], v[5:6], v[31:32]
	v_mul_f64 v[31:32], v[7:8], v[31:32]
	;; [unrolled: 18-line block ×15, first 2 shown]
	v_fma_f64 v[206:207], v[3:4], v[9:10], v[206:207]
	v_fma_f64 v[212:213], v[1:2], v[9:10], -v[11:12]
	ds_load_b128 v[1:4], v41 offset:1360
	scratch_load_b128 v[9:12], off, off offset:688
	v_add_f64 v[200:201], v[200:201], v[210:211]
	v_add_f64 v[202:203], v[202:203], v[204:205]
	v_fma_f64 v[208:209], v[7:8], v[13:14], v[208:209]
	v_fma_f64 v[210:211], v[5:6], v[13:14], -v[15:16]
	ds_load_b128 v[5:8], v41 offset:1376
	s_waitcnt vmcnt(8) lgkmcnt(1)
	v_mul_f64 v[204:205], v[1:2], v[19:20]
	v_mul_f64 v[19:20], v[3:4], v[19:20]
	scratch_load_b128 v[13:16], off, off offset:704
	v_add_f64 v[200:201], v[200:201], v[212:213]
	v_add_f64 v[202:203], v[202:203], v[206:207]
	s_waitcnt vmcnt(8) lgkmcnt(0)
	v_mul_f64 v[206:207], v[5:6], v[23:24]
	v_mul_f64 v[23:24], v[7:8], v[23:24]
	v_fma_f64 v[204:205], v[3:4], v[17:18], v[204:205]
	v_fma_f64 v[212:213], v[1:2], v[17:18], -v[19:20]
	scratch_load_b128 v[17:20], off, off offset:720
	ds_load_b128 v[1:4], v41 offset:1392
	v_add_f64 v[200:201], v[200:201], v[210:211]
	v_add_f64 v[202:203], v[202:203], v[208:209]
	v_fma_f64 v[206:207], v[7:8], v[21:22], v[206:207]
	v_fma_f64 v[210:211], v[5:6], v[21:22], -v[23:24]
	ds_load_b128 v[5:8], v41 offset:1408
	s_waitcnt vmcnt(8) lgkmcnt(1)
	v_mul_f64 v[208:209], v[1:2], v[27:28]
	v_mul_f64 v[27:28], v[3:4], v[27:28]
	scratch_load_b128 v[21:24], off, off offset:736
	v_add_f64 v[200:201], v[200:201], v[212:213]
	v_add_f64 v[202:203], v[202:203], v[204:205]
	s_waitcnt vmcnt(8) lgkmcnt(0)
	v_mul_f64 v[204:205], v[5:6], v[31:32]
	v_mul_f64 v[31:32], v[7:8], v[31:32]
	v_fma_f64 v[208:209], v[3:4], v[25:26], v[208:209]
	v_fma_f64 v[212:213], v[1:2], v[25:26], -v[27:28]
	scratch_load_b128 v[25:28], off, off offset:752
	ds_load_b128 v[1:4], v41 offset:1424
	;; [unrolled: 18-line block ×3, first 2 shown]
	v_add_f64 v[200:201], v[200:201], v[210:211]
	v_add_f64 v[202:203], v[202:203], v[204:205]
	v_fma_f64 v[208:209], v[7:8], v[196:197], v[208:209]
	v_fma_f64 v[196:197], v[5:6], v[196:197], -v[198:199]
	ds_load_b128 v[5:8], v41 offset:1472
	s_waitcnt vmcnt(8) lgkmcnt(1)
	v_mul_f64 v[204:205], v[1:2], v[39:40]
	v_mul_f64 v[39:40], v[3:4], v[39:40]
	v_add_f64 v[198:199], v[200:201], v[212:213]
	v_add_f64 v[200:201], v[202:203], v[206:207]
	s_waitcnt vmcnt(7) lgkmcnt(0)
	v_mul_f64 v[202:203], v[5:6], v[194:195]
	v_mul_f64 v[194:195], v[7:8], v[194:195]
	v_fma_f64 v[204:205], v[3:4], v[37:38], v[204:205]
	v_fma_f64 v[37:38], v[1:2], v[37:38], -v[39:40]
	ds_load_b128 v[1:4], v41 offset:1488
	v_add_f64 v[39:40], v[198:199], v[196:197]
	v_add_f64 v[196:197], v[200:201], v[208:209]
	v_fma_f64 v[200:201], v[7:8], v[192:193], v[202:203]
	v_fma_f64 v[192:193], v[5:6], v[192:193], -v[194:195]
	ds_load_b128 v[5:8], v41 offset:1504
	s_waitcnt vmcnt(5) lgkmcnt(0)
	v_mul_f64 v[202:203], v[5:6], v[15:16]
	v_mul_f64 v[15:16], v[7:8], v[15:16]
	v_add_f64 v[194:195], v[39:40], v[37:38]
	v_add_f64 v[196:197], v[196:197], v[204:205]
	scratch_load_b128 v[37:40], off, off
	v_mul_f64 v[198:199], v[1:2], v[11:12]
	v_mul_f64 v[11:12], v[3:4], v[11:12]
	s_delay_alu instid0(VALU_DEP_2) | instskip(NEXT) | instid1(VALU_DEP_2)
	v_fma_f64 v[198:199], v[3:4], v[9:10], v[198:199]
	v_fma_f64 v[9:10], v[1:2], v[9:10], -v[11:12]
	v_add_f64 v[11:12], v[194:195], v[192:193]
	v_add_f64 v[192:193], v[196:197], v[200:201]
	ds_load_b128 v[1:4], v41 offset:1520
	v_fma_f64 v[196:197], v[7:8], v[13:14], v[202:203]
	v_fma_f64 v[13:14], v[5:6], v[13:14], -v[15:16]
	ds_load_b128 v[5:8], v41 offset:1536
	s_waitcnt vmcnt(5) lgkmcnt(1)
	v_mul_f64 v[194:195], v[1:2], v[19:20]
	v_mul_f64 v[19:20], v[3:4], v[19:20]
	s_waitcnt vmcnt(4) lgkmcnt(0)
	v_mul_f64 v[15:16], v[5:6], v[23:24]
	v_mul_f64 v[23:24], v[7:8], v[23:24]
	v_add_f64 v[9:10], v[11:12], v[9:10]
	v_add_f64 v[11:12], v[192:193], v[198:199]
	v_fma_f64 v[192:193], v[3:4], v[17:18], v[194:195]
	v_fma_f64 v[17:18], v[1:2], v[17:18], -v[19:20]
	ds_load_b128 v[1:4], v41 offset:1552
	v_fma_f64 v[15:16], v[7:8], v[21:22], v[15:16]
	v_fma_f64 v[21:22], v[5:6], v[21:22], -v[23:24]
	ds_load_b128 v[5:8], v41 offset:1568
	v_add_f64 v[9:10], v[9:10], v[13:14]
	v_add_f64 v[11:12], v[11:12], v[196:197]
	s_waitcnt vmcnt(3) lgkmcnt(1)
	v_mul_f64 v[13:14], v[1:2], v[27:28]
	v_mul_f64 v[19:20], v[3:4], v[27:28]
	s_waitcnt vmcnt(2) lgkmcnt(0)
	v_mul_f64 v[23:24], v[7:8], v[31:32]
	v_add_f64 v[9:10], v[9:10], v[17:18]
	v_add_f64 v[11:12], v[11:12], v[192:193]
	v_mul_f64 v[17:18], v[5:6], v[31:32]
	v_fma_f64 v[13:14], v[3:4], v[25:26], v[13:14]
	v_fma_f64 v[19:20], v[1:2], v[25:26], -v[19:20]
	ds_load_b128 v[1:4], v41 offset:1584
	v_fma_f64 v[5:6], v[5:6], v[29:30], -v[23:24]
	v_add_f64 v[9:10], v[9:10], v[21:22]
	v_add_f64 v[11:12], v[11:12], v[15:16]
	s_waitcnt vmcnt(1) lgkmcnt(0)
	v_mul_f64 v[15:16], v[1:2], v[35:36]
	v_mul_f64 v[21:22], v[3:4], v[35:36]
	v_fma_f64 v[7:8], v[7:8], v[29:30], v[17:18]
	v_add_f64 v[9:10], v[9:10], v[19:20]
	v_add_f64 v[11:12], v[11:12], v[13:14]
	v_fma_f64 v[3:4], v[3:4], v[33:34], v[15:16]
	v_fma_f64 v[1:2], v[1:2], v[33:34], -v[21:22]
	s_delay_alu instid0(VALU_DEP_4) | instskip(NEXT) | instid1(VALU_DEP_4)
	v_add_f64 v[5:6], v[9:10], v[5:6]
	v_add_f64 v[7:8], v[11:12], v[7:8]
	s_delay_alu instid0(VALU_DEP_2) | instskip(NEXT) | instid1(VALU_DEP_2)
	v_add_f64 v[1:2], v[5:6], v[1:2]
	v_add_f64 v[3:4], v[7:8], v[3:4]
	s_waitcnt vmcnt(0)
	s_delay_alu instid0(VALU_DEP_2) | instskip(NEXT) | instid1(VALU_DEP_2)
	v_add_f64 v[1:2], v[37:38], -v[1:2]
	v_add_f64 v[3:4], v[39:40], -v[3:4]
	scratch_store_b128 off, v[1:4], off
	s_cbranch_vccz .LBB113_413
; %bb.314:
	v_dual_mov_b32 v1, s8 :: v_dual_mov_b32 v2, s9
	s_load_b64 s[0:1], s[0:1], 0x4
	flat_load_b32 v1, v[1:2] offset:192
	v_bfe_u32 v2, v0, 10, 10
	v_bfe_u32 v0, v0, 20, 10
	s_waitcnt lgkmcnt(0)
	s_lshr_b32 s0, s0, 16
	s_delay_alu instid0(VALU_DEP_2) | instskip(SKIP_1) | instid1(SALU_CYCLE_1)
	v_mul_u32_u24_e32 v2, s1, v2
	s_mul_i32 s0, s0, s1
	v_mul_u32_u24_e32 v3, s0, v142
	s_mov_b32 s0, exec_lo
	s_delay_alu instid0(VALU_DEP_1) | instskip(NEXT) | instid1(VALU_DEP_1)
	v_add3_u32 v0, v3, v2, v0
	v_lshl_add_u32 v0, v0, 4, 0x648
	s_waitcnt vmcnt(0)
	v_cmpx_ne_u32_e32 49, v1
	s_cbranch_execz .LBB113_316
; %bb.315:
	v_lshl_add_u32 v9, v1, 4, 0
	s_clause 0x1
	scratch_load_b128 v[1:4], v149, off
	scratch_load_b128 v[5:8], v9, off offset:-16
	s_waitcnt vmcnt(1)
	ds_store_2addr_b64 v0, v[1:2], v[3:4] offset1:1
	s_waitcnt vmcnt(0)
	s_clause 0x1
	scratch_store_b128 v149, v[5:8], off
	scratch_store_b128 v9, v[1:4], off offset:-16
.LBB113_316:
	s_or_b32 exec_lo, exec_lo, s0
	v_dual_mov_b32 v1, s8 :: v_dual_mov_b32 v2, s9
	s_mov_b32 s0, exec_lo
	flat_load_b32 v1, v[1:2] offset:188
	s_waitcnt vmcnt(0) lgkmcnt(0)
	v_cmpx_ne_u32_e32 48, v1
	s_cbranch_execz .LBB113_318
; %bb.317:
	v_lshl_add_u32 v9, v1, 4, 0
	s_clause 0x1
	scratch_load_b128 v[1:4], v150, off
	scratch_load_b128 v[5:8], v9, off offset:-16
	s_waitcnt vmcnt(1)
	ds_store_2addr_b64 v0, v[1:2], v[3:4] offset1:1
	s_waitcnt vmcnt(0)
	s_clause 0x1
	scratch_store_b128 v150, v[5:8], off
	scratch_store_b128 v9, v[1:4], off offset:-16
.LBB113_318:
	s_or_b32 exec_lo, exec_lo, s0
	v_dual_mov_b32 v1, s8 :: v_dual_mov_b32 v2, s9
	s_mov_b32 s0, exec_lo
	flat_load_b32 v1, v[1:2] offset:184
	s_waitcnt vmcnt(0) lgkmcnt(0)
	;; [unrolled: 19-line block ×47, first 2 shown]
	v_cmpx_ne_u32_e32 2, v1
	s_cbranch_execz .LBB113_410
; %bb.409:
	v_lshl_add_u32 v9, v1, 4, 0
	s_clause 0x1
	scratch_load_b128 v[1:4], v191, off
	scratch_load_b128 v[5:8], v9, off offset:-16
	s_waitcnt vmcnt(1)
	ds_store_2addr_b64 v0, v[1:2], v[3:4] offset1:1
	s_waitcnt vmcnt(0)
	s_clause 0x1
	scratch_store_b128 v191, v[5:8], off
	scratch_store_b128 v9, v[1:4], off offset:-16
.LBB113_410:
	s_or_b32 exec_lo, exec_lo, s0
	v_dual_mov_b32 v1, s8 :: v_dual_mov_b32 v2, s9
	s_mov_b32 s0, exec_lo
	flat_load_b32 v1, v[1:2]
	s_waitcnt vmcnt(0) lgkmcnt(0)
	v_cmpx_ne_u32_e32 1, v1
	s_cbranch_execz .LBB113_412
; %bb.411:
	v_lshl_add_u32 v9, v1, 4, 0
	scratch_load_b128 v[1:4], off, off
	scratch_load_b128 v[5:8], v9, off offset:-16
	s_waitcnt vmcnt(1)
	ds_store_2addr_b64 v0, v[1:2], v[3:4] offset1:1
	s_waitcnt vmcnt(0)
	scratch_store_b128 off, v[5:8], off
	scratch_store_b128 v9, v[1:4], off offset:-16
.LBB113_412:
	s_or_b32 exec_lo, exec_lo, s0
.LBB113_413:
	scratch_load_b128 v[0:3], off, off
	s_clause 0x12
	scratch_load_b128 v[4:7], v191, off
	scratch_load_b128 v[8:11], v190, off
	;; [unrolled: 1-line block ×19, first 2 shown]
	s_waitcnt vmcnt(19)
	global_store_b128 v[42:43], v[0:3], off
	s_clause 0x1
	scratch_load_b128 v[0:3], v172, off
	scratch_load_b128 v[40:43], v171, off
	s_waitcnt vmcnt(20)
	global_store_b128 v[46:47], v[4:7], off
	s_clause 0x1
	scratch_load_b128 v[4:7], v169, off
	scratch_load_b128 v[169:172], v170, off
	;; [unrolled: 5-line block ×15, first 2 shown]
	s_waitcnt vmcnt(34)
	global_store_b128 v[72:73], v[198:201], off
	s_waitcnt vmcnt(33)
	global_store_b128 v[74:75], v[202:205], off
	;; [unrolled: 2-line block ×35, first 2 shown]
	s_endpgm
	.section	.rodata,"a",@progbits
	.p2align	6, 0x0
	.amdhsa_kernel _ZN9rocsolver6v33100L18getri_kernel_smallILi50E19rocblas_complex_numIdEPKPS3_EEvT1_iilPiilS8_bb
		.amdhsa_group_segment_fixed_size 2632
		.amdhsa_private_segment_fixed_size 816
		.amdhsa_kernarg_size 60
		.amdhsa_user_sgpr_count 15
		.amdhsa_user_sgpr_dispatch_ptr 1
		.amdhsa_user_sgpr_queue_ptr 0
		.amdhsa_user_sgpr_kernarg_segment_ptr 1
		.amdhsa_user_sgpr_dispatch_id 0
		.amdhsa_user_sgpr_private_segment_size 0
		.amdhsa_wavefront_size32 1
		.amdhsa_uses_dynamic_stack 0
		.amdhsa_enable_private_segment 1
		.amdhsa_system_sgpr_workgroup_id_x 1
		.amdhsa_system_sgpr_workgroup_id_y 0
		.amdhsa_system_sgpr_workgroup_id_z 0
		.amdhsa_system_sgpr_workgroup_info 0
		.amdhsa_system_vgpr_workitem_id 2
		.amdhsa_next_free_vgpr 248
		.amdhsa_next_free_sgpr 56
		.amdhsa_reserve_vcc 1
		.amdhsa_float_round_mode_32 0
		.amdhsa_float_round_mode_16_64 0
		.amdhsa_float_denorm_mode_32 3
		.amdhsa_float_denorm_mode_16_64 3
		.amdhsa_dx10_clamp 1
		.amdhsa_ieee_mode 1
		.amdhsa_fp16_overflow 0
		.amdhsa_workgroup_processor_mode 1
		.amdhsa_memory_ordered 1
		.amdhsa_forward_progress 0
		.amdhsa_shared_vgpr_count 0
		.amdhsa_exception_fp_ieee_invalid_op 0
		.amdhsa_exception_fp_denorm_src 0
		.amdhsa_exception_fp_ieee_div_zero 0
		.amdhsa_exception_fp_ieee_overflow 0
		.amdhsa_exception_fp_ieee_underflow 0
		.amdhsa_exception_fp_ieee_inexact 0
		.amdhsa_exception_int_div_zero 0
	.end_amdhsa_kernel
	.section	.text._ZN9rocsolver6v33100L18getri_kernel_smallILi50E19rocblas_complex_numIdEPKPS3_EEvT1_iilPiilS8_bb,"axG",@progbits,_ZN9rocsolver6v33100L18getri_kernel_smallILi50E19rocblas_complex_numIdEPKPS3_EEvT1_iilPiilS8_bb,comdat
.Lfunc_end113:
	.size	_ZN9rocsolver6v33100L18getri_kernel_smallILi50E19rocblas_complex_numIdEPKPS3_EEvT1_iilPiilS8_bb, .Lfunc_end113-_ZN9rocsolver6v33100L18getri_kernel_smallILi50E19rocblas_complex_numIdEPKPS3_EEvT1_iilPiilS8_bb
                                        ; -- End function
	.section	.AMDGPU.csdata,"",@progbits
; Kernel info:
; codeLenInByte = 114456
; NumSgprs: 58
; NumVgprs: 248
; ScratchSize: 816
; MemoryBound: 0
; FloatMode: 240
; IeeeMode: 1
; LDSByteSize: 2632 bytes/workgroup (compile time only)
; SGPRBlocks: 7
; VGPRBlocks: 30
; NumSGPRsForWavesPerEU: 58
; NumVGPRsForWavesPerEU: 248
; Occupancy: 5
; WaveLimiterHint : 1
; COMPUTE_PGM_RSRC2:SCRATCH_EN: 1
; COMPUTE_PGM_RSRC2:USER_SGPR: 15
; COMPUTE_PGM_RSRC2:TRAP_HANDLER: 0
; COMPUTE_PGM_RSRC2:TGID_X_EN: 1
; COMPUTE_PGM_RSRC2:TGID_Y_EN: 0
; COMPUTE_PGM_RSRC2:TGID_Z_EN: 0
; COMPUTE_PGM_RSRC2:TIDIG_COMP_CNT: 2
	.section	.text._ZN9rocsolver6v33100L18getri_kernel_smallILi51E19rocblas_complex_numIdEPKPS3_EEvT1_iilPiilS8_bb,"axG",@progbits,_ZN9rocsolver6v33100L18getri_kernel_smallILi51E19rocblas_complex_numIdEPKPS3_EEvT1_iilPiilS8_bb,comdat
	.globl	_ZN9rocsolver6v33100L18getri_kernel_smallILi51E19rocblas_complex_numIdEPKPS3_EEvT1_iilPiilS8_bb ; -- Begin function _ZN9rocsolver6v33100L18getri_kernel_smallILi51E19rocblas_complex_numIdEPKPS3_EEvT1_iilPiilS8_bb
	.p2align	8
	.type	_ZN9rocsolver6v33100L18getri_kernel_smallILi51E19rocblas_complex_numIdEPKPS3_EEvT1_iilPiilS8_bb,@function
_ZN9rocsolver6v33100L18getri_kernel_smallILi51E19rocblas_complex_numIdEPKPS3_EEvT1_iilPiilS8_bb: ; @_ZN9rocsolver6v33100L18getri_kernel_smallILi51E19rocblas_complex_numIdEPKPS3_EEvT1_iilPiilS8_bb
; %bb.0:
	v_and_b32_e32 v148, 0x3ff, v0
	s_mov_b32 s4, exec_lo
	s_delay_alu instid0(VALU_DEP_1)
	v_cmpx_gt_u32_e32 51, v148
	s_cbranch_execz .LBB114_218
; %bb.1:
	s_mov_b32 s10, s15
	s_clause 0x2
	s_load_b32 s15, s[2:3], 0x38
	s_load_b64 s[8:9], s[2:3], 0x0
	s_load_b128 s[4:7], s[2:3], 0x28
	s_waitcnt lgkmcnt(0)
	s_bitcmp1_b32 s15, 8
	s_cselect_b32 s14, -1, 0
	s_ashr_i32 s11, s10, 31
	s_delay_alu instid0(SALU_CYCLE_1) | instskip(NEXT) | instid1(SALU_CYCLE_1)
	s_lshl_b64 s[12:13], s[10:11], 3
	s_add_u32 s8, s8, s12
	s_addc_u32 s9, s9, s13
	s_load_b64 s[12:13], s[8:9], 0x0
	s_bfe_u32 s8, s15, 0x10008
	s_delay_alu instid0(SALU_CYCLE_1)
	s_cmp_eq_u32 s8, 0
                                        ; implicit-def: $sgpr8_sgpr9
	s_cbranch_scc1 .LBB114_3
; %bb.2:
	s_clause 0x1
	s_load_b32 s8, s[2:3], 0x20
	s_load_b64 s[16:17], s[2:3], 0x18
	s_mul_i32 s5, s10, s5
	s_mul_hi_u32 s9, s10, s4
	s_mul_i32 s18, s11, s4
	s_add_i32 s5, s9, s5
	s_mul_i32 s4, s10, s4
	s_add_i32 s5, s5, s18
	s_delay_alu instid0(SALU_CYCLE_1)
	s_lshl_b64 s[4:5], s[4:5], 2
	s_waitcnt lgkmcnt(0)
	s_ashr_i32 s9, s8, 31
	s_add_u32 s16, s16, s4
	s_addc_u32 s17, s17, s5
	s_lshl_b64 s[4:5], s[8:9], 2
	s_delay_alu instid0(SALU_CYCLE_1)
	s_add_u32 s8, s16, s4
	s_addc_u32 s9, s17, s5
.LBB114_3:
	s_load_b64 s[2:3], s[2:3], 0x8
	v_lshlrev_b32_e32 v13, 4, v148
	s_movk_i32 s18, 0xd0
	s_movk_i32 s19, 0xe0
	;; [unrolled: 1-line block ×18, first 2 shown]
	s_waitcnt lgkmcnt(0)
	v_add3_u32 v5, s3, s3, v148
	s_ashr_i32 s5, s2, 31
	s_mov_b32 s4, s2
	s_mov_b32 s16, s3
	s_lshl_b64 s[4:5], s[4:5], 4
	v_add_nc_u32_e32 v7, s3, v5
	v_ashrrev_i32_e32 v6, 31, v5
	s_add_u32 s4, s12, s4
	s_addc_u32 s5, s13, s5
	v_add_co_u32 v46, s2, s4, v13
	v_add_nc_u32_e32 v9, s3, v7
	v_ashrrev_i32_e32 v8, 31, v7
	s_ashr_i32 s17, s3, 31
	v_add_co_ci_u32_e64 v47, null, s5, 0, s2
	v_lshlrev_b64 v[5:6], 4, v[5:6]
	s_lshl_b64 s[12:13], s[16:17], 4
	v_add_nc_u32_e32 v14, s3, v9
	v_add_co_u32 v48, vcc_lo, v46, s12
	v_lshlrev_b64 v[11:12], 4, v[7:8]
	v_ashrrev_i32_e32 v10, 31, v9
	v_add_co_ci_u32_e32 v49, vcc_lo, s13, v47, vcc_lo
	v_add_co_u32 v50, vcc_lo, s4, v5
	v_ashrrev_i32_e32 v15, 31, v14
	v_add_nc_u32_e32 v16, s3, v14
	v_add_co_ci_u32_e32 v51, vcc_lo, s5, v6, vcc_lo
	v_lshlrev_b64 v[9:10], 4, v[9:10]
	v_add_co_u32 v52, vcc_lo, s4, v11
	v_add_co_ci_u32_e32 v53, vcc_lo, s5, v12, vcc_lo
	v_lshlrev_b64 v[11:12], 4, v[14:15]
	v_ashrrev_i32_e32 v17, 31, v16
	v_add_nc_u32_e32 v14, s3, v16
	v_add_co_u32 v54, vcc_lo, s4, v9
	v_add_co_ci_u32_e32 v55, vcc_lo, s5, v10, vcc_lo
	s_delay_alu instid0(VALU_DEP_4) | instskip(NEXT) | instid1(VALU_DEP_4)
	v_lshlrev_b64 v[9:10], 4, v[16:17]
	v_ashrrev_i32_e32 v15, 31, v14
	v_add_nc_u32_e32 v16, s3, v14
	v_add_co_u32 v56, vcc_lo, s4, v11
	v_add_co_ci_u32_e32 v57, vcc_lo, s5, v12, vcc_lo
	s_delay_alu instid0(VALU_DEP_4) | instskip(NEXT) | instid1(VALU_DEP_4)
	;; [unrolled: 6-line block ×7, first 2 shown]
	v_lshlrev_b64 v[9:10], 4, v[16:17]
	v_add_nc_u32_e32 v16, s3, v14
	v_ashrrev_i32_e32 v15, 31, v14
	v_add_co_u32 v68, vcc_lo, s4, v11
	v_add_co_ci_u32_e32 v69, vcc_lo, s5, v12, vcc_lo
	s_delay_alu instid0(VALU_DEP_4) | instskip(SKIP_3) | instid1(VALU_DEP_4)
	v_add_nc_u32_e32 v36, s3, v16
	v_ashrrev_i32_e32 v17, 31, v16
	v_lshlrev_b64 v[34:35], 4, v[14:15]
	v_add_co_u32 v70, vcc_lo, s4, v9
	v_add_nc_u32_e32 v76, s3, v36
	v_ashrrev_i32_e32 v37, 31, v36
	v_lshlrev_b64 v[74:75], 4, v[16:17]
	v_add_co_ci_u32_e32 v71, vcc_lo, s5, v10, vcc_lo
	s_delay_alu instid0(VALU_DEP_4) | instskip(SKIP_3) | instid1(VALU_DEP_4)
	v_add_nc_u32_e32 v82, s3, v76
	v_ashrrev_i32_e32 v77, 31, v76
	v_add_co_u32 v72, vcc_lo, s4, v34
	v_lshlrev_b64 v[78:79], 4, v[36:37]
	v_ashrrev_i32_e32 v83, 31, v82
	v_add_co_ci_u32_e32 v73, vcc_lo, s5, v35, vcc_lo
	s_clause 0x1
	global_load_b128 v[1:4], v13, s[4:5]
	global_load_b128 v[5:8], v[48:49], off
	v_add_co_u32 v74, vcc_lo, s4, v74
	v_lshlrev_b64 v[80:81], 4, v[76:77]
	s_clause 0x1
	global_load_b128 v[9:12], v[50:51], off
	global_load_b128 v[14:17], v[52:53], off
	v_add_co_ci_u32_e32 v75, vcc_lo, s5, v75, vcc_lo
	s_clause 0x3
	global_load_b128 v[18:21], v[54:55], off
	global_load_b128 v[22:25], v[56:57], off
	;; [unrolled: 1-line block ×4, first 2 shown]
	v_add_co_u32 v76, vcc_lo, s4, v78
	v_lshlrev_b64 v[83:84], 4, v[82:83]
	s_clause 0x3
	global_load_b128 v[34:37], v[62:63], off
	global_load_b128 v[38:41], v[64:65], off
	;; [unrolled: 1-line block ×4, first 2 shown]
	v_add_co_ci_u32_e32 v77, vcc_lo, s5, v79, vcc_lo
	s_clause 0x1
	global_load_b128 v[153:156], v[70:71], off
	global_load_b128 v[157:160], v[72:73], off
	v_add_co_u32 v78, vcc_lo, s4, v80
	v_add_co_ci_u32_e32 v79, vcc_lo, s5, v81, vcc_lo
	v_add_co_u32 v80, vcc_lo, s4, v83
	v_add_co_ci_u32_e32 v81, vcc_lo, s5, v84, vcc_lo
	s_clause 0x3
	global_load_b128 v[161:164], v[74:75], off
	global_load_b128 v[165:168], v[76:77], off
	;; [unrolled: 1-line block ×4, first 2 shown]
	v_add_nc_u32_e32 v82, s3, v82
	s_movk_i32 s2, 0x50
	s_movk_i32 s12, 0x90
	;; [unrolled: 1-line block ×4, first 2 shown]
	v_add_nc_u32_e32 v84, s3, v82
	v_ashrrev_i32_e32 v83, 31, v82
	s_movk_i32 s17, 0xc0
	s_movk_i32 s37, 0x1f0
	;; [unrolled: 1-line block ×3, first 2 shown]
	v_add_nc_u32_e32 v86, s3, v84
	v_ashrrev_i32_e32 v85, 31, v84
	v_lshlrev_b64 v[82:83], 4, v[82:83]
	s_movk_i32 s39, 0x210
	s_movk_i32 s40, 0x220
	v_add_nc_u32_e32 v88, s3, v86
	v_ashrrev_i32_e32 v87, 31, v86
	v_lshlrev_b64 v[84:85], 4, v[84:85]
	v_add_co_u32 v82, vcc_lo, s4, v82
	s_delay_alu instid0(VALU_DEP_4) | instskip(SKIP_3) | instid1(VALU_DEP_4)
	v_add_nc_u32_e32 v90, s3, v88
	v_ashrrev_i32_e32 v89, 31, v88
	v_lshlrev_b64 v[86:87], 4, v[86:87]
	v_add_co_ci_u32_e32 v83, vcc_lo, s5, v83, vcc_lo
	v_add_nc_u32_e32 v92, s3, v90
	v_ashrrev_i32_e32 v91, 31, v90
	v_add_co_u32 v84, vcc_lo, s4, v84
	v_lshlrev_b64 v[88:89], 4, v[88:89]
	s_delay_alu instid0(VALU_DEP_4) | instskip(SKIP_3) | instid1(VALU_DEP_4)
	v_add_nc_u32_e32 v94, s3, v92
	v_ashrrev_i32_e32 v93, 31, v92
	v_add_co_ci_u32_e32 v85, vcc_lo, s5, v85, vcc_lo
	v_add_co_u32 v86, vcc_lo, s4, v86
	v_add_nc_u32_e32 v96, s3, v94
	v_lshlrev_b64 v[90:91], 4, v[90:91]
	v_ashrrev_i32_e32 v95, 31, v94
	v_add_co_ci_u32_e32 v87, vcc_lo, s5, v87, vcc_lo
	s_delay_alu instid0(VALU_DEP_4) | instskip(SKIP_3) | instid1(VALU_DEP_4)
	v_add_nc_u32_e32 v98, s3, v96
	v_add_co_u32 v88, vcc_lo, s4, v88
	v_lshlrev_b64 v[92:93], 4, v[92:93]
	v_ashrrev_i32_e32 v97, 31, v96
	v_add_nc_u32_e32 v100, s3, v98
	v_add_co_ci_u32_e32 v89, vcc_lo, s5, v89, vcc_lo
	v_add_co_u32 v90, vcc_lo, s4, v90
	s_delay_alu instid0(VALU_DEP_3) | instskip(SKIP_3) | instid1(VALU_DEP_4)
	v_add_nc_u32_e32 v102, s3, v100
	v_lshlrev_b64 v[94:95], 4, v[94:95]
	v_ashrrev_i32_e32 v99, 31, v98
	v_add_co_ci_u32_e32 v91, vcc_lo, s5, v91, vcc_lo
	v_add_nc_u32_e32 v104, s3, v102
	v_add_co_u32 v92, vcc_lo, s4, v92
	v_lshlrev_b64 v[96:97], 4, v[96:97]
	v_ashrrev_i32_e32 v101, 31, v100
	s_delay_alu instid0(VALU_DEP_4) | instskip(SKIP_2) | instid1(VALU_DEP_3)
	v_add_nc_u32_e32 v106, s3, v104
	v_add_co_ci_u32_e32 v93, vcc_lo, s5, v93, vcc_lo
	v_add_co_u32 v94, vcc_lo, s4, v94
	v_add_nc_u32_e32 v108, s3, v106
	v_lshlrev_b64 v[98:99], 4, v[98:99]
	v_ashrrev_i32_e32 v103, 31, v102
	v_add_co_ci_u32_e32 v95, vcc_lo, s5, v95, vcc_lo
	s_delay_alu instid0(VALU_DEP_4) | instskip(SKIP_3) | instid1(VALU_DEP_4)
	v_add_nc_u32_e32 v110, s3, v108
	v_add_co_u32 v96, vcc_lo, s4, v96
	v_lshlrev_b64 v[100:101], 4, v[100:101]
	v_ashrrev_i32_e32 v105, 31, v104
	v_add_nc_u32_e32 v112, s3, v110
	v_add_co_ci_u32_e32 v97, vcc_lo, s5, v97, vcc_lo
	v_add_co_u32 v98, vcc_lo, s4, v98
	s_delay_alu instid0(VALU_DEP_3) | instskip(SKIP_3) | instid1(VALU_DEP_4)
	v_add_nc_u32_e32 v114, s3, v112
	v_lshlrev_b64 v[102:103], 4, v[102:103]
	v_ashrrev_i32_e32 v107, 31, v106
	v_add_co_ci_u32_e32 v99, vcc_lo, s5, v99, vcc_lo
	v_add_nc_u32_e32 v116, s3, v114
	v_add_co_u32 v100, vcc_lo, s4, v100
	v_lshlrev_b64 v[104:105], 4, v[104:105]
	v_ashrrev_i32_e32 v109, 31, v108
	s_delay_alu instid0(VALU_DEP_4) | instskip(SKIP_2) | instid1(VALU_DEP_3)
	v_add_nc_u32_e32 v118, s3, v116
	;; [unrolled: 25-line block ×3, first 2 shown]
	v_add_co_ci_u32_e32 v109, vcc_lo, s5, v109, vcc_lo
	v_add_co_u32 v110, vcc_lo, s4, v110
	v_add_nc_u32_e32 v132, s3, v130
	v_lshlrev_b64 v[114:115], 4, v[114:115]
	v_ashrrev_i32_e32 v119, 31, v118
	v_add_co_ci_u32_e32 v111, vcc_lo, s5, v111, vcc_lo
	v_add_co_u32 v112, vcc_lo, s4, v112
	v_lshlrev_b64 v[116:117], 4, v[116:117]
	v_add_nc_u32_e32 v134, s3, v132
	v_ashrrev_i32_e32 v121, 31, v120
	v_add_co_ci_u32_e32 v113, vcc_lo, s5, v113, vcc_lo
	v_add_co_u32 v114, vcc_lo, s4, v114
	v_lshlrev_b64 v[118:119], 4, v[118:119]
	v_ashrrev_i32_e32 v123, 31, v122
	v_add_co_ci_u32_e32 v115, vcc_lo, s5, v115, vcc_lo
	v_add_nc_u32_e32 v136, s3, v134
	v_add_co_u32 v116, vcc_lo, s4, v116
	v_lshlrev_b64 v[120:121], 4, v[120:121]
	v_ashrrev_i32_e32 v125, 31, v124
	v_add_co_ci_u32_e32 v117, vcc_lo, s5, v117, vcc_lo
	v_add_co_u32 v118, vcc_lo, s4, v118
	v_lshlrev_b64 v[122:123], 4, v[122:123]
	v_ashrrev_i32_e32 v127, 31, v126
	v_add_nc_u32_e32 v138, s3, v136
	v_add_co_ci_u32_e32 v119, vcc_lo, s5, v119, vcc_lo
	v_add_co_u32 v120, vcc_lo, s4, v120
	v_lshlrev_b64 v[124:125], 4, v[124:125]
	v_ashrrev_i32_e32 v129, 31, v128
	v_add_co_ci_u32_e32 v121, vcc_lo, s5, v121, vcc_lo
	v_add_co_u32 v122, vcc_lo, s4, v122
	v_lshlrev_b64 v[126:127], 4, v[126:127]
	v_add_nc_u32_e32 v140, s3, v138
	v_ashrrev_i32_e32 v131, 31, v130
	v_add_co_ci_u32_e32 v123, vcc_lo, s5, v123, vcc_lo
	v_add_co_u32 v124, vcc_lo, s4, v124
	v_lshlrev_b64 v[128:129], 4, v[128:129]
	v_ashrrev_i32_e32 v133, 31, v132
	v_add_co_ci_u32_e32 v125, vcc_lo, s5, v125, vcc_lo
	v_add_nc_u32_e32 v142, s3, v140
	v_add_co_u32 v126, vcc_lo, s4, v126
	v_lshlrev_b64 v[130:131], 4, v[130:131]
	v_ashrrev_i32_e32 v135, 31, v134
	v_add_co_ci_u32_e32 v127, vcc_lo, s5, v127, vcc_lo
	v_add_co_u32 v128, vcc_lo, s4, v128
	v_lshlrev_b64 v[132:133], 4, v[132:133]
	v_ashrrev_i32_e32 v137, 31, v136
	v_add_nc_u32_e32 v146, s3, v142
	v_add_co_ci_u32_e32 v129, vcc_lo, s5, v129, vcc_lo
	v_add_co_u32 v130, vcc_lo, s4, v130
	v_lshlrev_b64 v[134:135], 4, v[134:135]
	v_ashrrev_i32_e32 v139, 31, v138
	v_add_co_ci_u32_e32 v131, vcc_lo, s5, v131, vcc_lo
	v_add_co_u32 v132, vcc_lo, s4, v132
	v_lshlrev_b64 v[136:137], 4, v[136:137]
	v_ashrrev_i32_e32 v147, 31, v146
	v_ashrrev_i32_e32 v141, 31, v140
	v_add_co_ci_u32_e32 v133, vcc_lo, s5, v133, vcc_lo
	v_add_co_u32 v134, vcc_lo, s4, v134
	v_lshlrev_b64 v[138:139], 4, v[138:139]
	v_ashrrev_i32_e32 v143, 31, v142
	v_add_co_ci_u32_e32 v135, vcc_lo, s5, v135, vcc_lo
	v_lshlrev_b64 v[144:145], 4, v[146:147]
	v_add_nc_u32_e32 v146, s3, v146
	v_add_co_u32 v136, vcc_lo, s4, v136
	v_lshlrev_b64 v[140:141], 4, v[140:141]
	v_add_co_ci_u32_e32 v137, vcc_lo, s5, v137, vcc_lo
	v_add_co_u32 v138, vcc_lo, s4, v138
	v_lshlrev_b64 v[142:143], 4, v[142:143]
	v_ashrrev_i32_e32 v147, 31, v146
	v_add_co_ci_u32_e32 v139, vcc_lo, s5, v139, vcc_lo
	v_add_co_u32 v140, vcc_lo, s4, v140
	v_add_co_ci_u32_e32 v141, vcc_lo, s5, v141, vcc_lo
	v_add_co_u32 v142, vcc_lo, s4, v142
	v_lshlrev_b64 v[146:147], 4, v[146:147]
	s_clause 0xe
	global_load_b128 v[177:180], v[82:83], off
	global_load_b128 v[181:184], v[84:85], off
	;; [unrolled: 1-line block ×15, first 2 shown]
	s_waitcnt vmcnt(32)
	scratch_store_b128 off, v[1:4], off
	s_waitcnt vmcnt(31)
	scratch_store_b128 off, v[5:8], off offset:16
	v_add_co_ci_u32_e32 v143, vcc_lo, s5, v143, vcc_lo
	s_clause 0x1
	global_load_b128 v[1:4], v[112:113], off
	global_load_b128 v[5:8], v[114:115], off
	s_waitcnt vmcnt(32)
	scratch_store_b128 off, v[9:12], off offset:32
	s_waitcnt vmcnt(31)
	scratch_store_b128 off, v[14:17], off offset:48
	v_add_co_u32 v144, vcc_lo, s4, v144
	s_clause 0x1
	global_load_b128 v[9:12], v[116:117], off
	global_load_b128 v[14:17], v[118:119], off
	s_waitcnt vmcnt(32)
	scratch_store_b128 off, v[18:21], off offset:64
	s_waitcnt vmcnt(31)
	scratch_store_b128 off, v[22:25], off offset:80
	s_clause 0x1
	global_load_b128 v[18:21], v[120:121], off
	global_load_b128 v[22:25], v[122:123], off
	s_waitcnt vmcnt(32)
	scratch_store_b128 off, v[26:29], off offset:96
	s_waitcnt vmcnt(31)
	scratch_store_b128 off, v[30:33], off offset:112
	v_add_co_ci_u32_e32 v145, vcc_lo, s5, v145, vcc_lo
	s_clause 0x1
	global_load_b128 v[26:29], v[124:125], off
	global_load_b128 v[30:33], v[126:127], off
	s_waitcnt vmcnt(32)
	scratch_store_b128 off, v[34:37], off offset:128
	s_waitcnt vmcnt(31)
	scratch_store_b128 off, v[38:41], off offset:144
	s_clause 0x1
	global_load_b128 v[34:37], v[128:129], off
	global_load_b128 v[38:41], v[130:131], off
	s_waitcnt vmcnt(32)
	scratch_store_b128 off, v[42:45], off offset:160
	s_waitcnt vmcnt(31)
	scratch_store_b128 off, v[149:152], off offset:176
	v_add_co_u32 v146, vcc_lo, s4, v146
	s_clause 0x1
	global_load_b128 v[42:45], v[132:133], off
	global_load_b128 v[247:250], v[134:135], off
	s_waitcnt vmcnt(32)
	scratch_store_b128 off, v[153:156], off offset:192
	s_waitcnt vmcnt(31)
	scratch_store_b128 off, v[157:160], off offset:208
	v_add_co_ci_u32_e32 v147, vcc_lo, s5, v147, vcc_lo
	s_clause 0x1
	global_load_b128 v[251:254], v[136:137], off
	global_load_b128 v[149:152], v[138:139], off
	s_waitcnt vmcnt(32)
	scratch_store_b128 off, v[161:164], off offset:224
	s_waitcnt vmcnt(31)
	scratch_store_b128 off, v[165:168], off offset:240
	s_clause 0x3
	global_load_b128 v[153:156], v[140:141], off
	global_load_b128 v[157:160], v[142:143], off
	;; [unrolled: 1-line block ×4, first 2 shown]
	s_movk_i32 s3, 0x60
	s_movk_i32 s4, 0x70
	;; [unrolled: 1-line block ×19, first 2 shown]
	s_waitcnt vmcnt(34)
	scratch_store_b128 off, v[169:172], off offset:256
	s_waitcnt vmcnt(33)
	scratch_store_b128 off, v[173:176], off offset:272
	v_add_nc_u32_e64 v198, 0, 16
	v_add_nc_u32_e64 v197, 0, 32
	;; [unrolled: 1-line block ×18, first 2 shown]
	s_bitcmp0_b32 s15, 0
	s_mov_b32 s3, -1
	s_waitcnt vmcnt(32)
	scratch_store_b128 off, v[177:180], off offset:288
	s_waitcnt vmcnt(31)
	scratch_store_b128 off, v[181:184], off offset:304
	;; [unrolled: 2-line block ×4, first 2 shown]
	v_add_nc_u32_e64 v188, s16, 0
	v_add_nc_u32_e64 v187, s17, 0
	;; [unrolled: 1-line block ×6, first 2 shown]
	s_waitcnt vmcnt(28)
	scratch_store_b128 off, v[203:206], off offset:352
	s_waitcnt vmcnt(27)
	scratch_store_b128 off, v[207:210], off offset:368
	v_add_nc_u32_e64 v182, s22, 0
	v_add_nc_u32_e64 v181, s23, 0
	v_add_nc_u32_e64 v180, s24, 0
	v_add_nc_u32_e64 v179, s25, 0
	v_add_nc_u32_e64 v178, s26, 0
	v_add_nc_u32_e64 v177, s27, 0
	s_waitcnt vmcnt(26)
	scratch_store_b128 off, v[211:214], off offset:384
	s_waitcnt vmcnt(25)
	scratch_store_b128 off, v[215:218], off offset:400
	v_add_nc_u32_e64 v211, s34, 0
	v_add_nc_u32_e64 v210, s35, 0
	;; [unrolled: 1-line block ×5, first 2 shown]
	s_waitcnt vmcnt(24)
	scratch_store_b128 off, v[219:222], off offset:416
	s_waitcnt vmcnt(23)
	scratch_store_b128 off, v[223:226], off offset:432
	v_add_nc_u32_e64 v206, s39, 0
	v_add_nc_u32_e64 v205, s40, 0
	;; [unrolled: 1-line block ×7, first 2 shown]
	s_waitcnt vmcnt(22)
	scratch_store_b128 off, v[227:230], off offset:448
	s_waitcnt vmcnt(21)
	scratch_store_b128 off, v[231:234], off offset:464
	;; [unrolled: 2-line block ×20, first 2 shown]
	v_add_nc_u32_e64 v155, s49, 0
	v_add_nc_u32_e64 v153, s50, 0
	;; [unrolled: 1-line block ×8, first 2 shown]
	s_waitcnt vmcnt(2)
	scratch_store_b128 off, v[157:160], off offset:768
	s_waitcnt vmcnt(1)
	scratch_store_b128 off, v[161:164], off offset:784
	;; [unrolled: 2-line block ×3, first 2 shown]
	s_cbranch_scc1 .LBB114_216
; %bb.4:
	v_cmp_eq_u32_e64 s2, 0, v148
	s_delay_alu instid0(VALU_DEP_1)
	s_and_saveexec_b32 s3, s2
	s_cbranch_execz .LBB114_6
; %bb.5:
	v_mov_b32_e32 v1, 0
	ds_store_b32 v1, v1 offset:1632
.LBB114_6:
	s_or_b32 exec_lo, exec_lo, s3
	s_waitcnt lgkmcnt(0)
	s_waitcnt_vscnt null, 0x0
	s_barrier
	buffer_gl0_inv
	scratch_load_b128 v[1:4], v13, off
	s_waitcnt vmcnt(0)
	v_cmp_eq_f64_e32 vcc_lo, 0, v[1:2]
	v_cmp_eq_f64_e64 s3, 0, v[3:4]
	s_delay_alu instid0(VALU_DEP_1) | instskip(NEXT) | instid1(SALU_CYCLE_1)
	s_and_b32 s3, vcc_lo, s3
	s_and_saveexec_b32 s4, s3
	s_cbranch_execz .LBB114_10
; %bb.7:
	v_mov_b32_e32 v1, 0
	s_mov_b32 s5, 0
	ds_load_b32 v2, v1 offset:1632
	s_waitcnt lgkmcnt(0)
	v_readfirstlane_b32 s3, v2
	v_add_nc_u32_e32 v2, 1, v148
	s_delay_alu instid0(VALU_DEP_2) | instskip(NEXT) | instid1(VALU_DEP_1)
	s_cmp_eq_u32 s3, 0
	v_cmp_gt_i32_e32 vcc_lo, s3, v2
	s_cselect_b32 s12, -1, 0
	s_delay_alu instid0(SALU_CYCLE_1) | instskip(NEXT) | instid1(SALU_CYCLE_1)
	s_or_b32 s12, s12, vcc_lo
	s_and_b32 exec_lo, exec_lo, s12
	s_cbranch_execz .LBB114_10
; %bb.8:
	v_mov_b32_e32 v3, s3
.LBB114_9:                              ; =>This Inner Loop Header: Depth=1
	ds_cmpstore_rtn_b32 v3, v1, v2, v3 offset:1632
	s_waitcnt lgkmcnt(0)
	v_cmp_ne_u32_e32 vcc_lo, 0, v3
	v_cmp_le_i32_e64 s3, v3, v2
	s_delay_alu instid0(VALU_DEP_1) | instskip(NEXT) | instid1(SALU_CYCLE_1)
	s_and_b32 s3, vcc_lo, s3
	s_and_b32 s3, exec_lo, s3
	s_delay_alu instid0(SALU_CYCLE_1) | instskip(NEXT) | instid1(SALU_CYCLE_1)
	s_or_b32 s5, s3, s5
	s_and_not1_b32 exec_lo, exec_lo, s5
	s_cbranch_execnz .LBB114_9
.LBB114_10:
	s_or_b32 exec_lo, exec_lo, s4
	v_mov_b32_e32 v1, 0
	s_barrier
	buffer_gl0_inv
	ds_load_b32 v2, v1 offset:1632
	s_and_saveexec_b32 s3, s2
	s_cbranch_execz .LBB114_12
; %bb.11:
	s_lshl_b64 s[4:5], s[10:11], 2
	s_delay_alu instid0(SALU_CYCLE_1)
	s_add_u32 s4, s6, s4
	s_addc_u32 s5, s7, s5
	s_waitcnt lgkmcnt(0)
	global_store_b32 v1, v2, s[4:5]
.LBB114_12:
	s_or_b32 exec_lo, exec_lo, s3
	s_waitcnt lgkmcnt(0)
	v_cmp_ne_u32_e32 vcc_lo, 0, v2
	s_mov_b32 s3, 0
	s_cbranch_vccnz .LBB114_216
; %bb.13:
	v_add_nc_u32_e32 v14, 0, v13
                                        ; implicit-def: $vgpr9_vgpr10
	scratch_load_b128 v[1:4], v14, off
	s_waitcnt vmcnt(0)
	v_mov_b32_e32 v5, v1
	v_cmp_gt_f64_e32 vcc_lo, 0, v[1:2]
	v_xor_b32_e32 v6, 0x80000000, v2
	v_xor_b32_e32 v7, 0x80000000, v4
	s_delay_alu instid0(VALU_DEP_2) | instskip(SKIP_1) | instid1(VALU_DEP_3)
	v_cndmask_b32_e32 v6, v2, v6, vcc_lo
	v_cmp_gt_f64_e32 vcc_lo, 0, v[3:4]
	v_dual_cndmask_b32 v8, v4, v7 :: v_dual_mov_b32 v7, v3
	s_delay_alu instid0(VALU_DEP_1) | instskip(SKIP_1) | instid1(SALU_CYCLE_1)
	v_cmp_ngt_f64_e32 vcc_lo, v[5:6], v[7:8]
                                        ; implicit-def: $vgpr5_vgpr6
	s_and_saveexec_b32 s3, vcc_lo
	s_xor_b32 s3, exec_lo, s3
	s_cbranch_execz .LBB114_15
; %bb.14:
	v_div_scale_f64 v[5:6], null, v[3:4], v[3:4], v[1:2]
	v_div_scale_f64 v[11:12], vcc_lo, v[1:2], v[3:4], v[1:2]
	s_delay_alu instid0(VALU_DEP_2) | instskip(SKIP_2) | instid1(VALU_DEP_1)
	v_rcp_f64_e32 v[7:8], v[5:6]
	s_waitcnt_depctr 0xfff
	v_fma_f64 v[9:10], -v[5:6], v[7:8], 1.0
	v_fma_f64 v[7:8], v[7:8], v[9:10], v[7:8]
	s_delay_alu instid0(VALU_DEP_1) | instskip(NEXT) | instid1(VALU_DEP_1)
	v_fma_f64 v[9:10], -v[5:6], v[7:8], 1.0
	v_fma_f64 v[7:8], v[7:8], v[9:10], v[7:8]
	s_delay_alu instid0(VALU_DEP_1) | instskip(NEXT) | instid1(VALU_DEP_1)
	v_mul_f64 v[9:10], v[11:12], v[7:8]
	v_fma_f64 v[5:6], -v[5:6], v[9:10], v[11:12]
	s_delay_alu instid0(VALU_DEP_1) | instskip(NEXT) | instid1(VALU_DEP_1)
	v_div_fmas_f64 v[5:6], v[5:6], v[7:8], v[9:10]
	v_div_fixup_f64 v[5:6], v[5:6], v[3:4], v[1:2]
	s_delay_alu instid0(VALU_DEP_1) | instskip(NEXT) | instid1(VALU_DEP_1)
	v_fma_f64 v[1:2], v[1:2], v[5:6], v[3:4]
	v_div_scale_f64 v[3:4], null, v[1:2], v[1:2], 1.0
	v_div_scale_f64 v[11:12], vcc_lo, 1.0, v[1:2], 1.0
	s_delay_alu instid0(VALU_DEP_2) | instskip(SKIP_2) | instid1(VALU_DEP_1)
	v_rcp_f64_e32 v[7:8], v[3:4]
	s_waitcnt_depctr 0xfff
	v_fma_f64 v[9:10], -v[3:4], v[7:8], 1.0
	v_fma_f64 v[7:8], v[7:8], v[9:10], v[7:8]
	s_delay_alu instid0(VALU_DEP_1) | instskip(NEXT) | instid1(VALU_DEP_1)
	v_fma_f64 v[9:10], -v[3:4], v[7:8], 1.0
	v_fma_f64 v[7:8], v[7:8], v[9:10], v[7:8]
	s_delay_alu instid0(VALU_DEP_1) | instskip(NEXT) | instid1(VALU_DEP_1)
	v_mul_f64 v[9:10], v[11:12], v[7:8]
	v_fma_f64 v[3:4], -v[3:4], v[9:10], v[11:12]
	s_delay_alu instid0(VALU_DEP_1) | instskip(NEXT) | instid1(VALU_DEP_1)
	v_div_fmas_f64 v[3:4], v[3:4], v[7:8], v[9:10]
	v_div_fixup_f64 v[7:8], v[3:4], v[1:2], 1.0
                                        ; implicit-def: $vgpr1_vgpr2
	s_delay_alu instid0(VALU_DEP_1) | instskip(SKIP_1) | instid1(VALU_DEP_2)
	v_mul_f64 v[5:6], v[5:6], v[7:8]
	v_xor_b32_e32 v8, 0x80000000, v8
	v_xor_b32_e32 v10, 0x80000000, v6
	s_delay_alu instid0(VALU_DEP_3)
	v_mov_b32_e32 v9, v5
.LBB114_15:
	s_and_not1_saveexec_b32 s3, s3
	s_cbranch_execz .LBB114_17
; %bb.16:
	v_div_scale_f64 v[5:6], null, v[1:2], v[1:2], v[3:4]
	v_div_scale_f64 v[11:12], vcc_lo, v[3:4], v[1:2], v[3:4]
	s_delay_alu instid0(VALU_DEP_2) | instskip(SKIP_2) | instid1(VALU_DEP_1)
	v_rcp_f64_e32 v[7:8], v[5:6]
	s_waitcnt_depctr 0xfff
	v_fma_f64 v[9:10], -v[5:6], v[7:8], 1.0
	v_fma_f64 v[7:8], v[7:8], v[9:10], v[7:8]
	s_delay_alu instid0(VALU_DEP_1) | instskip(NEXT) | instid1(VALU_DEP_1)
	v_fma_f64 v[9:10], -v[5:6], v[7:8], 1.0
	v_fma_f64 v[7:8], v[7:8], v[9:10], v[7:8]
	s_delay_alu instid0(VALU_DEP_1) | instskip(NEXT) | instid1(VALU_DEP_1)
	v_mul_f64 v[9:10], v[11:12], v[7:8]
	v_fma_f64 v[5:6], -v[5:6], v[9:10], v[11:12]
	s_delay_alu instid0(VALU_DEP_1) | instskip(NEXT) | instid1(VALU_DEP_1)
	v_div_fmas_f64 v[5:6], v[5:6], v[7:8], v[9:10]
	v_div_fixup_f64 v[7:8], v[5:6], v[1:2], v[3:4]
	s_delay_alu instid0(VALU_DEP_1) | instskip(NEXT) | instid1(VALU_DEP_1)
	v_fma_f64 v[1:2], v[3:4], v[7:8], v[1:2]
	v_div_scale_f64 v[3:4], null, v[1:2], v[1:2], 1.0
	s_delay_alu instid0(VALU_DEP_1) | instskip(SKIP_2) | instid1(VALU_DEP_1)
	v_rcp_f64_e32 v[5:6], v[3:4]
	s_waitcnt_depctr 0xfff
	v_fma_f64 v[9:10], -v[3:4], v[5:6], 1.0
	v_fma_f64 v[5:6], v[5:6], v[9:10], v[5:6]
	s_delay_alu instid0(VALU_DEP_1) | instskip(NEXT) | instid1(VALU_DEP_1)
	v_fma_f64 v[9:10], -v[3:4], v[5:6], 1.0
	v_fma_f64 v[5:6], v[5:6], v[9:10], v[5:6]
	v_div_scale_f64 v[9:10], vcc_lo, 1.0, v[1:2], 1.0
	s_delay_alu instid0(VALU_DEP_1) | instskip(NEXT) | instid1(VALU_DEP_1)
	v_mul_f64 v[11:12], v[9:10], v[5:6]
	v_fma_f64 v[3:4], -v[3:4], v[11:12], v[9:10]
	s_delay_alu instid0(VALU_DEP_1) | instskip(NEXT) | instid1(VALU_DEP_1)
	v_div_fmas_f64 v[3:4], v[3:4], v[5:6], v[11:12]
	v_div_fixup_f64 v[5:6], v[3:4], v[1:2], 1.0
	s_delay_alu instid0(VALU_DEP_1)
	v_mul_f64 v[7:8], v[7:8], -v[5:6]
	v_xor_b32_e32 v10, 0x80000000, v6
	v_mov_b32_e32 v9, v5
.LBB114_17:
	s_or_b32 exec_lo, exec_lo, s3
	scratch_store_b128 v14, v[5:8], off
	scratch_load_b128 v[1:4], v198, off
	v_xor_b32_e32 v12, 0x80000000, v8
	v_mov_b32_e32 v11, v7
	v_add_nc_u32_e32 v5, 0x330, v13
	ds_store_b128 v13, v[9:12]
	s_waitcnt vmcnt(0)
	ds_store_b128 v13, v[1:4] offset:816
	s_waitcnt lgkmcnt(0)
	s_waitcnt_vscnt null, 0x0
	s_barrier
	buffer_gl0_inv
	s_and_saveexec_b32 s3, s2
	s_cbranch_execz .LBB114_19
; %bb.18:
	scratch_load_b128 v[1:4], v14, off
	ds_load_b128 v[6:9], v5
	v_mov_b32_e32 v10, 0
	ds_load_b128 v[15:18], v10 offset:16
	s_waitcnt vmcnt(0) lgkmcnt(1)
	v_mul_f64 v[10:11], v[6:7], v[3:4]
	v_mul_f64 v[3:4], v[8:9], v[3:4]
	s_delay_alu instid0(VALU_DEP_2) | instskip(NEXT) | instid1(VALU_DEP_2)
	v_fma_f64 v[8:9], v[8:9], v[1:2], v[10:11]
	v_fma_f64 v[1:2], v[6:7], v[1:2], -v[3:4]
	s_delay_alu instid0(VALU_DEP_2) | instskip(NEXT) | instid1(VALU_DEP_2)
	v_add_f64 v[3:4], v[8:9], 0
	v_add_f64 v[1:2], v[1:2], 0
	s_waitcnt lgkmcnt(0)
	s_delay_alu instid0(VALU_DEP_2) | instskip(NEXT) | instid1(VALU_DEP_2)
	v_mul_f64 v[6:7], v[3:4], v[17:18]
	v_mul_f64 v[8:9], v[1:2], v[17:18]
	s_delay_alu instid0(VALU_DEP_2) | instskip(NEXT) | instid1(VALU_DEP_2)
	v_fma_f64 v[1:2], v[1:2], v[15:16], -v[6:7]
	v_fma_f64 v[3:4], v[3:4], v[15:16], v[8:9]
	scratch_store_b128 off, v[1:4], off offset:16
.LBB114_19:
	s_or_b32 exec_lo, exec_lo, s3
	s_waitcnt_vscnt null, 0x0
	s_barrier
	buffer_gl0_inv
	scratch_load_b128 v[1:4], v197, off
	s_mov_b32 s3, exec_lo
	s_waitcnt vmcnt(0)
	ds_store_b128 v5, v[1:4]
	s_waitcnt lgkmcnt(0)
	s_barrier
	buffer_gl0_inv
	v_cmpx_gt_u32_e32 2, v148
	s_cbranch_execz .LBB114_23
; %bb.20:
	scratch_load_b128 v[1:4], v14, off
	ds_load_b128 v[6:9], v5
	s_waitcnt vmcnt(0) lgkmcnt(0)
	v_mul_f64 v[10:11], v[8:9], v[3:4]
	v_mul_f64 v[3:4], v[6:7], v[3:4]
	s_delay_alu instid0(VALU_DEP_2) | instskip(NEXT) | instid1(VALU_DEP_2)
	v_fma_f64 v[6:7], v[6:7], v[1:2], -v[10:11]
	v_fma_f64 v[3:4], v[8:9], v[1:2], v[3:4]
	s_delay_alu instid0(VALU_DEP_2) | instskip(NEXT) | instid1(VALU_DEP_2)
	v_add_f64 v[1:2], v[6:7], 0
	v_add_f64 v[3:4], v[3:4], 0
	s_and_saveexec_b32 s4, s2
	s_cbranch_execz .LBB114_22
; %bb.21:
	scratch_load_b128 v[6:9], off, off offset:16
	v_mov_b32_e32 v10, 0
	ds_load_b128 v[15:18], v10 offset:832
	s_waitcnt vmcnt(0) lgkmcnt(0)
	v_mul_f64 v[10:11], v[15:16], v[8:9]
	v_mul_f64 v[8:9], v[17:18], v[8:9]
	s_delay_alu instid0(VALU_DEP_2) | instskip(NEXT) | instid1(VALU_DEP_2)
	v_fma_f64 v[10:11], v[17:18], v[6:7], v[10:11]
	v_fma_f64 v[6:7], v[15:16], v[6:7], -v[8:9]
	s_delay_alu instid0(VALU_DEP_2) | instskip(NEXT) | instid1(VALU_DEP_2)
	v_add_f64 v[3:4], v[3:4], v[10:11]
	v_add_f64 v[1:2], v[1:2], v[6:7]
.LBB114_22:
	s_or_b32 exec_lo, exec_lo, s4
	v_mov_b32_e32 v6, 0
	ds_load_b128 v[6:9], v6 offset:32
	s_waitcnt lgkmcnt(0)
	v_mul_f64 v[10:11], v[3:4], v[8:9]
	v_mul_f64 v[8:9], v[1:2], v[8:9]
	s_delay_alu instid0(VALU_DEP_2) | instskip(NEXT) | instid1(VALU_DEP_2)
	v_fma_f64 v[1:2], v[1:2], v[6:7], -v[10:11]
	v_fma_f64 v[3:4], v[3:4], v[6:7], v[8:9]
	scratch_store_b128 off, v[1:4], off offset:32
.LBB114_23:
	s_or_b32 exec_lo, exec_lo, s3
	s_waitcnt_vscnt null, 0x0
	s_barrier
	buffer_gl0_inv
	scratch_load_b128 v[1:4], v196, off
	v_add_nc_u32_e32 v6, -1, v148
	s_mov_b32 s2, exec_lo
	s_waitcnt vmcnt(0)
	ds_store_b128 v5, v[1:4]
	s_waitcnt lgkmcnt(0)
	s_barrier
	buffer_gl0_inv
	v_cmpx_gt_u32_e32 3, v148
	s_cbranch_execz .LBB114_27
; %bb.24:
	v_dual_mov_b32 v1, 0 :: v_dual_add_nc_u32 v8, 0x330, v13
	v_dual_mov_b32 v2, 0 :: v_dual_add_nc_u32 v7, -1, v148
	v_or_b32_e32 v9, 8, v14
	s_mov_b32 s3, 0
	s_delay_alu instid0(VALU_DEP_2)
	v_dual_mov_b32 v4, v2 :: v_dual_mov_b32 v3, v1
	.p2align	6
.LBB114_25:                             ; =>This Inner Loop Header: Depth=1
	scratch_load_b128 v[15:18], v9, off offset:-8
	ds_load_b128 v[19:22], v8
	v_add_nc_u32_e32 v7, 1, v7
	v_add_nc_u32_e32 v8, 16, v8
	;; [unrolled: 1-line block ×3, first 2 shown]
	s_delay_alu instid0(VALU_DEP_3) | instskip(SKIP_4) | instid1(VALU_DEP_2)
	v_cmp_lt_u32_e32 vcc_lo, 1, v7
	s_or_b32 s3, vcc_lo, s3
	s_waitcnt vmcnt(0) lgkmcnt(0)
	v_mul_f64 v[10:11], v[21:22], v[17:18]
	v_mul_f64 v[17:18], v[19:20], v[17:18]
	v_fma_f64 v[10:11], v[19:20], v[15:16], -v[10:11]
	s_delay_alu instid0(VALU_DEP_2) | instskip(NEXT) | instid1(VALU_DEP_2)
	v_fma_f64 v[15:16], v[21:22], v[15:16], v[17:18]
	v_add_f64 v[3:4], v[3:4], v[10:11]
	s_delay_alu instid0(VALU_DEP_2)
	v_add_f64 v[1:2], v[1:2], v[15:16]
	s_and_not1_b32 exec_lo, exec_lo, s3
	s_cbranch_execnz .LBB114_25
; %bb.26:
	s_or_b32 exec_lo, exec_lo, s3
	v_mov_b32_e32 v7, 0
	ds_load_b128 v[7:10], v7 offset:48
	s_waitcnt lgkmcnt(0)
	v_mul_f64 v[11:12], v[1:2], v[9:10]
	v_mul_f64 v[15:16], v[3:4], v[9:10]
	s_delay_alu instid0(VALU_DEP_2) | instskip(NEXT) | instid1(VALU_DEP_2)
	v_fma_f64 v[9:10], v[3:4], v[7:8], -v[11:12]
	v_fma_f64 v[11:12], v[1:2], v[7:8], v[15:16]
	scratch_store_b128 off, v[9:12], off offset:48
.LBB114_27:
	s_or_b32 exec_lo, exec_lo, s2
	s_waitcnt_vscnt null, 0x0
	s_barrier
	buffer_gl0_inv
	scratch_load_b128 v[1:4], v195, off
	s_mov_b32 s2, exec_lo
	s_waitcnt vmcnt(0)
	ds_store_b128 v5, v[1:4]
	s_waitcnt lgkmcnt(0)
	s_barrier
	buffer_gl0_inv
	v_cmpx_gt_u32_e32 4, v148
	s_cbranch_execz .LBB114_31
; %bb.28:
	v_dual_mov_b32 v1, 0 :: v_dual_add_nc_u32 v8, 0x330, v13
	v_dual_mov_b32 v2, 0 :: v_dual_add_nc_u32 v7, -1, v148
	v_or_b32_e32 v9, 8, v14
	s_mov_b32 s3, 0
	s_delay_alu instid0(VALU_DEP_2)
	v_dual_mov_b32 v4, v2 :: v_dual_mov_b32 v3, v1
	.p2align	6
.LBB114_29:                             ; =>This Inner Loop Header: Depth=1
	scratch_load_b128 v[15:18], v9, off offset:-8
	ds_load_b128 v[19:22], v8
	v_add_nc_u32_e32 v7, 1, v7
	v_add_nc_u32_e32 v8, 16, v8
	;; [unrolled: 1-line block ×3, first 2 shown]
	s_delay_alu instid0(VALU_DEP_3) | instskip(SKIP_4) | instid1(VALU_DEP_2)
	v_cmp_lt_u32_e32 vcc_lo, 2, v7
	s_or_b32 s3, vcc_lo, s3
	s_waitcnt vmcnt(0) lgkmcnt(0)
	v_mul_f64 v[10:11], v[21:22], v[17:18]
	v_mul_f64 v[17:18], v[19:20], v[17:18]
	v_fma_f64 v[10:11], v[19:20], v[15:16], -v[10:11]
	s_delay_alu instid0(VALU_DEP_2) | instskip(NEXT) | instid1(VALU_DEP_2)
	v_fma_f64 v[15:16], v[21:22], v[15:16], v[17:18]
	v_add_f64 v[3:4], v[3:4], v[10:11]
	s_delay_alu instid0(VALU_DEP_2)
	v_add_f64 v[1:2], v[1:2], v[15:16]
	s_and_not1_b32 exec_lo, exec_lo, s3
	s_cbranch_execnz .LBB114_29
; %bb.30:
	s_or_b32 exec_lo, exec_lo, s3
	v_mov_b32_e32 v7, 0
	ds_load_b128 v[7:10], v7 offset:64
	s_waitcnt lgkmcnt(0)
	v_mul_f64 v[11:12], v[1:2], v[9:10]
	v_mul_f64 v[15:16], v[3:4], v[9:10]
	s_delay_alu instid0(VALU_DEP_2) | instskip(NEXT) | instid1(VALU_DEP_2)
	v_fma_f64 v[9:10], v[3:4], v[7:8], -v[11:12]
	v_fma_f64 v[11:12], v[1:2], v[7:8], v[15:16]
	scratch_store_b128 off, v[9:12], off offset:64
.LBB114_31:
	s_or_b32 exec_lo, exec_lo, s2
	s_waitcnt_vscnt null, 0x0
	s_barrier
	buffer_gl0_inv
	scratch_load_b128 v[1:4], v194, off
	s_mov_b32 s2, exec_lo
	s_waitcnt vmcnt(0)
	ds_store_b128 v5, v[1:4]
	s_waitcnt lgkmcnt(0)
	s_barrier
	buffer_gl0_inv
	v_cmpx_gt_u32_e32 5, v148
	s_cbranch_execz .LBB114_35
; %bb.32:
	v_dual_mov_b32 v1, 0 :: v_dual_add_nc_u32 v8, 0x330, v13
	v_dual_mov_b32 v2, 0 :: v_dual_add_nc_u32 v7, -1, v148
	v_or_b32_e32 v9, 8, v14
	s_mov_b32 s3, 0
	s_delay_alu instid0(VALU_DEP_2)
	v_dual_mov_b32 v4, v2 :: v_dual_mov_b32 v3, v1
	.p2align	6
.LBB114_33:                             ; =>This Inner Loop Header: Depth=1
	scratch_load_b128 v[15:18], v9, off offset:-8
	ds_load_b128 v[19:22], v8
	v_add_nc_u32_e32 v7, 1, v7
	v_add_nc_u32_e32 v8, 16, v8
	;; [unrolled: 1-line block ×3, first 2 shown]
	s_delay_alu instid0(VALU_DEP_3) | instskip(SKIP_4) | instid1(VALU_DEP_2)
	v_cmp_lt_u32_e32 vcc_lo, 3, v7
	s_or_b32 s3, vcc_lo, s3
	s_waitcnt vmcnt(0) lgkmcnt(0)
	v_mul_f64 v[10:11], v[21:22], v[17:18]
	v_mul_f64 v[17:18], v[19:20], v[17:18]
	v_fma_f64 v[10:11], v[19:20], v[15:16], -v[10:11]
	s_delay_alu instid0(VALU_DEP_2) | instskip(NEXT) | instid1(VALU_DEP_2)
	v_fma_f64 v[15:16], v[21:22], v[15:16], v[17:18]
	v_add_f64 v[3:4], v[3:4], v[10:11]
	s_delay_alu instid0(VALU_DEP_2)
	v_add_f64 v[1:2], v[1:2], v[15:16]
	s_and_not1_b32 exec_lo, exec_lo, s3
	s_cbranch_execnz .LBB114_33
; %bb.34:
	s_or_b32 exec_lo, exec_lo, s3
	v_mov_b32_e32 v7, 0
	ds_load_b128 v[7:10], v7 offset:80
	s_waitcnt lgkmcnt(0)
	v_mul_f64 v[11:12], v[1:2], v[9:10]
	v_mul_f64 v[15:16], v[3:4], v[9:10]
	s_delay_alu instid0(VALU_DEP_2) | instskip(NEXT) | instid1(VALU_DEP_2)
	v_fma_f64 v[9:10], v[3:4], v[7:8], -v[11:12]
	v_fma_f64 v[11:12], v[1:2], v[7:8], v[15:16]
	scratch_store_b128 off, v[9:12], off offset:80
.LBB114_35:
	s_or_b32 exec_lo, exec_lo, s2
	s_waitcnt_vscnt null, 0x0
	s_barrier
	buffer_gl0_inv
	scratch_load_b128 v[1:4], v193, off
	s_mov_b32 s2, exec_lo
	s_waitcnt vmcnt(0)
	ds_store_b128 v5, v[1:4]
	s_waitcnt lgkmcnt(0)
	s_barrier
	buffer_gl0_inv
	v_cmpx_gt_u32_e32 6, v148
	s_cbranch_execz .LBB114_39
; %bb.36:
	v_dual_mov_b32 v1, 0 :: v_dual_add_nc_u32 v8, 0x330, v13
	v_dual_mov_b32 v2, 0 :: v_dual_add_nc_u32 v7, -1, v148
	v_or_b32_e32 v9, 8, v14
	s_mov_b32 s3, 0
	s_delay_alu instid0(VALU_DEP_2)
	v_dual_mov_b32 v4, v2 :: v_dual_mov_b32 v3, v1
	.p2align	6
.LBB114_37:                             ; =>This Inner Loop Header: Depth=1
	scratch_load_b128 v[15:18], v9, off offset:-8
	ds_load_b128 v[19:22], v8
	v_add_nc_u32_e32 v7, 1, v7
	v_add_nc_u32_e32 v8, 16, v8
	;; [unrolled: 1-line block ×3, first 2 shown]
	s_delay_alu instid0(VALU_DEP_3) | instskip(SKIP_4) | instid1(VALU_DEP_2)
	v_cmp_lt_u32_e32 vcc_lo, 4, v7
	s_or_b32 s3, vcc_lo, s3
	s_waitcnt vmcnt(0) lgkmcnt(0)
	v_mul_f64 v[10:11], v[21:22], v[17:18]
	v_mul_f64 v[17:18], v[19:20], v[17:18]
	v_fma_f64 v[10:11], v[19:20], v[15:16], -v[10:11]
	s_delay_alu instid0(VALU_DEP_2) | instskip(NEXT) | instid1(VALU_DEP_2)
	v_fma_f64 v[15:16], v[21:22], v[15:16], v[17:18]
	v_add_f64 v[3:4], v[3:4], v[10:11]
	s_delay_alu instid0(VALU_DEP_2)
	v_add_f64 v[1:2], v[1:2], v[15:16]
	s_and_not1_b32 exec_lo, exec_lo, s3
	s_cbranch_execnz .LBB114_37
; %bb.38:
	s_or_b32 exec_lo, exec_lo, s3
	v_mov_b32_e32 v7, 0
	ds_load_b128 v[7:10], v7 offset:96
	s_waitcnt lgkmcnt(0)
	v_mul_f64 v[11:12], v[1:2], v[9:10]
	v_mul_f64 v[15:16], v[3:4], v[9:10]
	s_delay_alu instid0(VALU_DEP_2) | instskip(NEXT) | instid1(VALU_DEP_2)
	v_fma_f64 v[9:10], v[3:4], v[7:8], -v[11:12]
	v_fma_f64 v[11:12], v[1:2], v[7:8], v[15:16]
	scratch_store_b128 off, v[9:12], off offset:96
.LBB114_39:
	s_or_b32 exec_lo, exec_lo, s2
	s_waitcnt_vscnt null, 0x0
	s_barrier
	buffer_gl0_inv
	scratch_load_b128 v[1:4], v192, off
	s_mov_b32 s2, exec_lo
	s_waitcnt vmcnt(0)
	ds_store_b128 v5, v[1:4]
	s_waitcnt lgkmcnt(0)
	s_barrier
	buffer_gl0_inv
	v_cmpx_gt_u32_e32 7, v148
	s_cbranch_execz .LBB114_43
; %bb.40:
	v_dual_mov_b32 v1, 0 :: v_dual_add_nc_u32 v8, 0x330, v13
	v_dual_mov_b32 v2, 0 :: v_dual_add_nc_u32 v7, -1, v148
	v_or_b32_e32 v9, 8, v14
	s_mov_b32 s3, 0
	s_delay_alu instid0(VALU_DEP_2)
	v_dual_mov_b32 v4, v2 :: v_dual_mov_b32 v3, v1
	.p2align	6
.LBB114_41:                             ; =>This Inner Loop Header: Depth=1
	scratch_load_b128 v[15:18], v9, off offset:-8
	ds_load_b128 v[19:22], v8
	v_add_nc_u32_e32 v7, 1, v7
	v_add_nc_u32_e32 v8, 16, v8
	;; [unrolled: 1-line block ×3, first 2 shown]
	s_delay_alu instid0(VALU_DEP_3) | instskip(SKIP_4) | instid1(VALU_DEP_2)
	v_cmp_lt_u32_e32 vcc_lo, 5, v7
	s_or_b32 s3, vcc_lo, s3
	s_waitcnt vmcnt(0) lgkmcnt(0)
	v_mul_f64 v[10:11], v[21:22], v[17:18]
	v_mul_f64 v[17:18], v[19:20], v[17:18]
	v_fma_f64 v[10:11], v[19:20], v[15:16], -v[10:11]
	s_delay_alu instid0(VALU_DEP_2) | instskip(NEXT) | instid1(VALU_DEP_2)
	v_fma_f64 v[15:16], v[21:22], v[15:16], v[17:18]
	v_add_f64 v[3:4], v[3:4], v[10:11]
	s_delay_alu instid0(VALU_DEP_2)
	v_add_f64 v[1:2], v[1:2], v[15:16]
	s_and_not1_b32 exec_lo, exec_lo, s3
	s_cbranch_execnz .LBB114_41
; %bb.42:
	s_or_b32 exec_lo, exec_lo, s3
	v_mov_b32_e32 v7, 0
	ds_load_b128 v[7:10], v7 offset:112
	s_waitcnt lgkmcnt(0)
	v_mul_f64 v[11:12], v[1:2], v[9:10]
	v_mul_f64 v[15:16], v[3:4], v[9:10]
	s_delay_alu instid0(VALU_DEP_2) | instskip(NEXT) | instid1(VALU_DEP_2)
	v_fma_f64 v[9:10], v[3:4], v[7:8], -v[11:12]
	v_fma_f64 v[11:12], v[1:2], v[7:8], v[15:16]
	scratch_store_b128 off, v[9:12], off offset:112
.LBB114_43:
	s_or_b32 exec_lo, exec_lo, s2
	s_waitcnt_vscnt null, 0x0
	s_barrier
	buffer_gl0_inv
	scratch_load_b128 v[1:4], v191, off
	s_mov_b32 s2, exec_lo
	s_waitcnt vmcnt(0)
	ds_store_b128 v5, v[1:4]
	s_waitcnt lgkmcnt(0)
	s_barrier
	buffer_gl0_inv
	v_cmpx_gt_u32_e32 8, v148
	s_cbranch_execz .LBB114_47
; %bb.44:
	v_dual_mov_b32 v1, 0 :: v_dual_add_nc_u32 v8, 0x330, v13
	v_dual_mov_b32 v2, 0 :: v_dual_add_nc_u32 v7, -1, v148
	v_or_b32_e32 v9, 8, v14
	s_mov_b32 s3, 0
	s_delay_alu instid0(VALU_DEP_2)
	v_dual_mov_b32 v4, v2 :: v_dual_mov_b32 v3, v1
	.p2align	6
.LBB114_45:                             ; =>This Inner Loop Header: Depth=1
	scratch_load_b128 v[15:18], v9, off offset:-8
	ds_load_b128 v[19:22], v8
	v_add_nc_u32_e32 v7, 1, v7
	v_add_nc_u32_e32 v8, 16, v8
	;; [unrolled: 1-line block ×3, first 2 shown]
	s_delay_alu instid0(VALU_DEP_3) | instskip(SKIP_4) | instid1(VALU_DEP_2)
	v_cmp_lt_u32_e32 vcc_lo, 6, v7
	s_or_b32 s3, vcc_lo, s3
	s_waitcnt vmcnt(0) lgkmcnt(0)
	v_mul_f64 v[10:11], v[21:22], v[17:18]
	v_mul_f64 v[17:18], v[19:20], v[17:18]
	v_fma_f64 v[10:11], v[19:20], v[15:16], -v[10:11]
	s_delay_alu instid0(VALU_DEP_2) | instskip(NEXT) | instid1(VALU_DEP_2)
	v_fma_f64 v[15:16], v[21:22], v[15:16], v[17:18]
	v_add_f64 v[3:4], v[3:4], v[10:11]
	s_delay_alu instid0(VALU_DEP_2)
	v_add_f64 v[1:2], v[1:2], v[15:16]
	s_and_not1_b32 exec_lo, exec_lo, s3
	s_cbranch_execnz .LBB114_45
; %bb.46:
	s_or_b32 exec_lo, exec_lo, s3
	v_mov_b32_e32 v7, 0
	ds_load_b128 v[7:10], v7 offset:128
	s_waitcnt lgkmcnt(0)
	v_mul_f64 v[11:12], v[1:2], v[9:10]
	v_mul_f64 v[15:16], v[3:4], v[9:10]
	s_delay_alu instid0(VALU_DEP_2) | instskip(NEXT) | instid1(VALU_DEP_2)
	v_fma_f64 v[9:10], v[3:4], v[7:8], -v[11:12]
	v_fma_f64 v[11:12], v[1:2], v[7:8], v[15:16]
	scratch_store_b128 off, v[9:12], off offset:128
.LBB114_47:
	s_or_b32 exec_lo, exec_lo, s2
	s_waitcnt_vscnt null, 0x0
	s_barrier
	buffer_gl0_inv
	scratch_load_b128 v[1:4], v190, off
	s_mov_b32 s2, exec_lo
	s_waitcnt vmcnt(0)
	ds_store_b128 v5, v[1:4]
	s_waitcnt lgkmcnt(0)
	s_barrier
	buffer_gl0_inv
	v_cmpx_gt_u32_e32 9, v148
	s_cbranch_execz .LBB114_51
; %bb.48:
	v_dual_mov_b32 v1, 0 :: v_dual_add_nc_u32 v8, 0x330, v13
	v_dual_mov_b32 v2, 0 :: v_dual_add_nc_u32 v7, -1, v148
	v_or_b32_e32 v9, 8, v14
	s_mov_b32 s3, 0
	s_delay_alu instid0(VALU_DEP_2)
	v_dual_mov_b32 v4, v2 :: v_dual_mov_b32 v3, v1
	.p2align	6
.LBB114_49:                             ; =>This Inner Loop Header: Depth=1
	scratch_load_b128 v[15:18], v9, off offset:-8
	ds_load_b128 v[19:22], v8
	v_add_nc_u32_e32 v7, 1, v7
	v_add_nc_u32_e32 v8, 16, v8
	;; [unrolled: 1-line block ×3, first 2 shown]
	s_delay_alu instid0(VALU_DEP_3) | instskip(SKIP_4) | instid1(VALU_DEP_2)
	v_cmp_lt_u32_e32 vcc_lo, 7, v7
	s_or_b32 s3, vcc_lo, s3
	s_waitcnt vmcnt(0) lgkmcnt(0)
	v_mul_f64 v[10:11], v[21:22], v[17:18]
	v_mul_f64 v[17:18], v[19:20], v[17:18]
	v_fma_f64 v[10:11], v[19:20], v[15:16], -v[10:11]
	s_delay_alu instid0(VALU_DEP_2) | instskip(NEXT) | instid1(VALU_DEP_2)
	v_fma_f64 v[15:16], v[21:22], v[15:16], v[17:18]
	v_add_f64 v[3:4], v[3:4], v[10:11]
	s_delay_alu instid0(VALU_DEP_2)
	v_add_f64 v[1:2], v[1:2], v[15:16]
	s_and_not1_b32 exec_lo, exec_lo, s3
	s_cbranch_execnz .LBB114_49
; %bb.50:
	s_or_b32 exec_lo, exec_lo, s3
	v_mov_b32_e32 v7, 0
	ds_load_b128 v[7:10], v7 offset:144
	s_waitcnt lgkmcnt(0)
	v_mul_f64 v[11:12], v[1:2], v[9:10]
	v_mul_f64 v[15:16], v[3:4], v[9:10]
	s_delay_alu instid0(VALU_DEP_2) | instskip(NEXT) | instid1(VALU_DEP_2)
	v_fma_f64 v[9:10], v[3:4], v[7:8], -v[11:12]
	v_fma_f64 v[11:12], v[1:2], v[7:8], v[15:16]
	scratch_store_b128 off, v[9:12], off offset:144
.LBB114_51:
	s_or_b32 exec_lo, exec_lo, s2
	s_waitcnt_vscnt null, 0x0
	s_barrier
	buffer_gl0_inv
	scratch_load_b128 v[1:4], v189, off
	s_mov_b32 s2, exec_lo
	s_waitcnt vmcnt(0)
	ds_store_b128 v5, v[1:4]
	s_waitcnt lgkmcnt(0)
	s_barrier
	buffer_gl0_inv
	v_cmpx_gt_u32_e32 10, v148
	s_cbranch_execz .LBB114_55
; %bb.52:
	v_dual_mov_b32 v1, 0 :: v_dual_add_nc_u32 v8, 0x330, v13
	v_dual_mov_b32 v2, 0 :: v_dual_add_nc_u32 v7, -1, v148
	v_or_b32_e32 v9, 8, v14
	s_mov_b32 s3, 0
	s_delay_alu instid0(VALU_DEP_2)
	v_dual_mov_b32 v4, v2 :: v_dual_mov_b32 v3, v1
	.p2align	6
.LBB114_53:                             ; =>This Inner Loop Header: Depth=1
	scratch_load_b128 v[15:18], v9, off offset:-8
	ds_load_b128 v[19:22], v8
	v_add_nc_u32_e32 v7, 1, v7
	v_add_nc_u32_e32 v8, 16, v8
	;; [unrolled: 1-line block ×3, first 2 shown]
	s_delay_alu instid0(VALU_DEP_3) | instskip(SKIP_4) | instid1(VALU_DEP_2)
	v_cmp_lt_u32_e32 vcc_lo, 8, v7
	s_or_b32 s3, vcc_lo, s3
	s_waitcnt vmcnt(0) lgkmcnt(0)
	v_mul_f64 v[10:11], v[21:22], v[17:18]
	v_mul_f64 v[17:18], v[19:20], v[17:18]
	v_fma_f64 v[10:11], v[19:20], v[15:16], -v[10:11]
	s_delay_alu instid0(VALU_DEP_2) | instskip(NEXT) | instid1(VALU_DEP_2)
	v_fma_f64 v[15:16], v[21:22], v[15:16], v[17:18]
	v_add_f64 v[3:4], v[3:4], v[10:11]
	s_delay_alu instid0(VALU_DEP_2)
	v_add_f64 v[1:2], v[1:2], v[15:16]
	s_and_not1_b32 exec_lo, exec_lo, s3
	s_cbranch_execnz .LBB114_53
; %bb.54:
	s_or_b32 exec_lo, exec_lo, s3
	v_mov_b32_e32 v7, 0
	ds_load_b128 v[7:10], v7 offset:160
	s_waitcnt lgkmcnt(0)
	v_mul_f64 v[11:12], v[1:2], v[9:10]
	v_mul_f64 v[15:16], v[3:4], v[9:10]
	s_delay_alu instid0(VALU_DEP_2) | instskip(NEXT) | instid1(VALU_DEP_2)
	v_fma_f64 v[9:10], v[3:4], v[7:8], -v[11:12]
	v_fma_f64 v[11:12], v[1:2], v[7:8], v[15:16]
	scratch_store_b128 off, v[9:12], off offset:160
.LBB114_55:
	s_or_b32 exec_lo, exec_lo, s2
	s_waitcnt_vscnt null, 0x0
	s_barrier
	buffer_gl0_inv
	scratch_load_b128 v[1:4], v188, off
	s_mov_b32 s2, exec_lo
	s_waitcnt vmcnt(0)
	ds_store_b128 v5, v[1:4]
	s_waitcnt lgkmcnt(0)
	s_barrier
	buffer_gl0_inv
	v_cmpx_gt_u32_e32 11, v148
	s_cbranch_execz .LBB114_59
; %bb.56:
	v_dual_mov_b32 v1, 0 :: v_dual_add_nc_u32 v8, 0x330, v13
	v_dual_mov_b32 v2, 0 :: v_dual_add_nc_u32 v7, -1, v148
	v_or_b32_e32 v9, 8, v14
	s_mov_b32 s3, 0
	s_delay_alu instid0(VALU_DEP_2)
	v_dual_mov_b32 v4, v2 :: v_dual_mov_b32 v3, v1
	.p2align	6
.LBB114_57:                             ; =>This Inner Loop Header: Depth=1
	scratch_load_b128 v[15:18], v9, off offset:-8
	ds_load_b128 v[19:22], v8
	v_add_nc_u32_e32 v7, 1, v7
	v_add_nc_u32_e32 v8, 16, v8
	;; [unrolled: 1-line block ×3, first 2 shown]
	s_delay_alu instid0(VALU_DEP_3) | instskip(SKIP_4) | instid1(VALU_DEP_2)
	v_cmp_lt_u32_e32 vcc_lo, 9, v7
	s_or_b32 s3, vcc_lo, s3
	s_waitcnt vmcnt(0) lgkmcnt(0)
	v_mul_f64 v[10:11], v[21:22], v[17:18]
	v_mul_f64 v[17:18], v[19:20], v[17:18]
	v_fma_f64 v[10:11], v[19:20], v[15:16], -v[10:11]
	s_delay_alu instid0(VALU_DEP_2) | instskip(NEXT) | instid1(VALU_DEP_2)
	v_fma_f64 v[15:16], v[21:22], v[15:16], v[17:18]
	v_add_f64 v[3:4], v[3:4], v[10:11]
	s_delay_alu instid0(VALU_DEP_2)
	v_add_f64 v[1:2], v[1:2], v[15:16]
	s_and_not1_b32 exec_lo, exec_lo, s3
	s_cbranch_execnz .LBB114_57
; %bb.58:
	s_or_b32 exec_lo, exec_lo, s3
	v_mov_b32_e32 v7, 0
	ds_load_b128 v[7:10], v7 offset:176
	s_waitcnt lgkmcnt(0)
	v_mul_f64 v[11:12], v[1:2], v[9:10]
	v_mul_f64 v[15:16], v[3:4], v[9:10]
	s_delay_alu instid0(VALU_DEP_2) | instskip(NEXT) | instid1(VALU_DEP_2)
	v_fma_f64 v[9:10], v[3:4], v[7:8], -v[11:12]
	v_fma_f64 v[11:12], v[1:2], v[7:8], v[15:16]
	scratch_store_b128 off, v[9:12], off offset:176
.LBB114_59:
	s_or_b32 exec_lo, exec_lo, s2
	s_waitcnt_vscnt null, 0x0
	s_barrier
	buffer_gl0_inv
	scratch_load_b128 v[1:4], v187, off
	s_mov_b32 s2, exec_lo
	s_waitcnt vmcnt(0)
	ds_store_b128 v5, v[1:4]
	s_waitcnt lgkmcnt(0)
	s_barrier
	buffer_gl0_inv
	v_cmpx_gt_u32_e32 12, v148
	s_cbranch_execz .LBB114_63
; %bb.60:
	v_dual_mov_b32 v1, 0 :: v_dual_add_nc_u32 v8, 0x330, v13
	v_dual_mov_b32 v2, 0 :: v_dual_add_nc_u32 v7, -1, v148
	v_or_b32_e32 v9, 8, v14
	s_mov_b32 s3, 0
	s_delay_alu instid0(VALU_DEP_2)
	v_dual_mov_b32 v4, v2 :: v_dual_mov_b32 v3, v1
	.p2align	6
.LBB114_61:                             ; =>This Inner Loop Header: Depth=1
	scratch_load_b128 v[15:18], v9, off offset:-8
	ds_load_b128 v[19:22], v8
	v_add_nc_u32_e32 v7, 1, v7
	v_add_nc_u32_e32 v8, 16, v8
	v_add_nc_u32_e32 v9, 16, v9
	s_delay_alu instid0(VALU_DEP_3) | instskip(SKIP_4) | instid1(VALU_DEP_2)
	v_cmp_lt_u32_e32 vcc_lo, 10, v7
	s_or_b32 s3, vcc_lo, s3
	s_waitcnt vmcnt(0) lgkmcnt(0)
	v_mul_f64 v[10:11], v[21:22], v[17:18]
	v_mul_f64 v[17:18], v[19:20], v[17:18]
	v_fma_f64 v[10:11], v[19:20], v[15:16], -v[10:11]
	s_delay_alu instid0(VALU_DEP_2) | instskip(NEXT) | instid1(VALU_DEP_2)
	v_fma_f64 v[15:16], v[21:22], v[15:16], v[17:18]
	v_add_f64 v[3:4], v[3:4], v[10:11]
	s_delay_alu instid0(VALU_DEP_2)
	v_add_f64 v[1:2], v[1:2], v[15:16]
	s_and_not1_b32 exec_lo, exec_lo, s3
	s_cbranch_execnz .LBB114_61
; %bb.62:
	s_or_b32 exec_lo, exec_lo, s3
	v_mov_b32_e32 v7, 0
	ds_load_b128 v[7:10], v7 offset:192
	s_waitcnt lgkmcnt(0)
	v_mul_f64 v[11:12], v[1:2], v[9:10]
	v_mul_f64 v[15:16], v[3:4], v[9:10]
	s_delay_alu instid0(VALU_DEP_2) | instskip(NEXT) | instid1(VALU_DEP_2)
	v_fma_f64 v[9:10], v[3:4], v[7:8], -v[11:12]
	v_fma_f64 v[11:12], v[1:2], v[7:8], v[15:16]
	scratch_store_b128 off, v[9:12], off offset:192
.LBB114_63:
	s_or_b32 exec_lo, exec_lo, s2
	s_waitcnt_vscnt null, 0x0
	s_barrier
	buffer_gl0_inv
	scratch_load_b128 v[1:4], v186, off
	s_mov_b32 s2, exec_lo
	s_waitcnt vmcnt(0)
	ds_store_b128 v5, v[1:4]
	s_waitcnt lgkmcnt(0)
	s_barrier
	buffer_gl0_inv
	v_cmpx_gt_u32_e32 13, v148
	s_cbranch_execz .LBB114_67
; %bb.64:
	v_dual_mov_b32 v1, 0 :: v_dual_add_nc_u32 v8, 0x330, v13
	v_dual_mov_b32 v2, 0 :: v_dual_add_nc_u32 v7, -1, v148
	v_or_b32_e32 v9, 8, v14
	s_mov_b32 s3, 0
	s_delay_alu instid0(VALU_DEP_2)
	v_dual_mov_b32 v4, v2 :: v_dual_mov_b32 v3, v1
	.p2align	6
.LBB114_65:                             ; =>This Inner Loop Header: Depth=1
	scratch_load_b128 v[15:18], v9, off offset:-8
	ds_load_b128 v[19:22], v8
	v_add_nc_u32_e32 v7, 1, v7
	v_add_nc_u32_e32 v8, 16, v8
	;; [unrolled: 1-line block ×3, first 2 shown]
	s_delay_alu instid0(VALU_DEP_3) | instskip(SKIP_4) | instid1(VALU_DEP_2)
	v_cmp_lt_u32_e32 vcc_lo, 11, v7
	s_or_b32 s3, vcc_lo, s3
	s_waitcnt vmcnt(0) lgkmcnt(0)
	v_mul_f64 v[10:11], v[21:22], v[17:18]
	v_mul_f64 v[17:18], v[19:20], v[17:18]
	v_fma_f64 v[10:11], v[19:20], v[15:16], -v[10:11]
	s_delay_alu instid0(VALU_DEP_2) | instskip(NEXT) | instid1(VALU_DEP_2)
	v_fma_f64 v[15:16], v[21:22], v[15:16], v[17:18]
	v_add_f64 v[3:4], v[3:4], v[10:11]
	s_delay_alu instid0(VALU_DEP_2)
	v_add_f64 v[1:2], v[1:2], v[15:16]
	s_and_not1_b32 exec_lo, exec_lo, s3
	s_cbranch_execnz .LBB114_65
; %bb.66:
	s_or_b32 exec_lo, exec_lo, s3
	v_mov_b32_e32 v7, 0
	ds_load_b128 v[7:10], v7 offset:208
	s_waitcnt lgkmcnt(0)
	v_mul_f64 v[11:12], v[1:2], v[9:10]
	v_mul_f64 v[15:16], v[3:4], v[9:10]
	s_delay_alu instid0(VALU_DEP_2) | instskip(NEXT) | instid1(VALU_DEP_2)
	v_fma_f64 v[9:10], v[3:4], v[7:8], -v[11:12]
	v_fma_f64 v[11:12], v[1:2], v[7:8], v[15:16]
	scratch_store_b128 off, v[9:12], off offset:208
.LBB114_67:
	s_or_b32 exec_lo, exec_lo, s2
	s_waitcnt_vscnt null, 0x0
	s_barrier
	buffer_gl0_inv
	scratch_load_b128 v[1:4], v185, off
	s_mov_b32 s2, exec_lo
	s_waitcnt vmcnt(0)
	ds_store_b128 v5, v[1:4]
	s_waitcnt lgkmcnt(0)
	s_barrier
	buffer_gl0_inv
	v_cmpx_gt_u32_e32 14, v148
	s_cbranch_execz .LBB114_71
; %bb.68:
	v_dual_mov_b32 v1, 0 :: v_dual_add_nc_u32 v8, 0x330, v13
	v_dual_mov_b32 v2, 0 :: v_dual_add_nc_u32 v7, -1, v148
	v_or_b32_e32 v9, 8, v14
	s_mov_b32 s3, 0
	s_delay_alu instid0(VALU_DEP_2)
	v_dual_mov_b32 v4, v2 :: v_dual_mov_b32 v3, v1
	.p2align	6
.LBB114_69:                             ; =>This Inner Loop Header: Depth=1
	scratch_load_b128 v[15:18], v9, off offset:-8
	ds_load_b128 v[19:22], v8
	v_add_nc_u32_e32 v7, 1, v7
	v_add_nc_u32_e32 v8, 16, v8
	;; [unrolled: 1-line block ×3, first 2 shown]
	s_delay_alu instid0(VALU_DEP_3) | instskip(SKIP_4) | instid1(VALU_DEP_2)
	v_cmp_lt_u32_e32 vcc_lo, 12, v7
	s_or_b32 s3, vcc_lo, s3
	s_waitcnt vmcnt(0) lgkmcnt(0)
	v_mul_f64 v[10:11], v[21:22], v[17:18]
	v_mul_f64 v[17:18], v[19:20], v[17:18]
	v_fma_f64 v[10:11], v[19:20], v[15:16], -v[10:11]
	s_delay_alu instid0(VALU_DEP_2) | instskip(NEXT) | instid1(VALU_DEP_2)
	v_fma_f64 v[15:16], v[21:22], v[15:16], v[17:18]
	v_add_f64 v[3:4], v[3:4], v[10:11]
	s_delay_alu instid0(VALU_DEP_2)
	v_add_f64 v[1:2], v[1:2], v[15:16]
	s_and_not1_b32 exec_lo, exec_lo, s3
	s_cbranch_execnz .LBB114_69
; %bb.70:
	s_or_b32 exec_lo, exec_lo, s3
	v_mov_b32_e32 v7, 0
	ds_load_b128 v[7:10], v7 offset:224
	s_waitcnt lgkmcnt(0)
	v_mul_f64 v[11:12], v[1:2], v[9:10]
	v_mul_f64 v[15:16], v[3:4], v[9:10]
	s_delay_alu instid0(VALU_DEP_2) | instskip(NEXT) | instid1(VALU_DEP_2)
	v_fma_f64 v[9:10], v[3:4], v[7:8], -v[11:12]
	v_fma_f64 v[11:12], v[1:2], v[7:8], v[15:16]
	scratch_store_b128 off, v[9:12], off offset:224
.LBB114_71:
	s_or_b32 exec_lo, exec_lo, s2
	s_waitcnt_vscnt null, 0x0
	s_barrier
	buffer_gl0_inv
	scratch_load_b128 v[1:4], v184, off
	s_mov_b32 s2, exec_lo
	s_waitcnt vmcnt(0)
	ds_store_b128 v5, v[1:4]
	s_waitcnt lgkmcnt(0)
	s_barrier
	buffer_gl0_inv
	v_cmpx_gt_u32_e32 15, v148
	s_cbranch_execz .LBB114_75
; %bb.72:
	v_dual_mov_b32 v1, 0 :: v_dual_add_nc_u32 v8, 0x330, v13
	v_dual_mov_b32 v2, 0 :: v_dual_add_nc_u32 v7, -1, v148
	v_or_b32_e32 v9, 8, v14
	s_mov_b32 s3, 0
	s_delay_alu instid0(VALU_DEP_2)
	v_dual_mov_b32 v4, v2 :: v_dual_mov_b32 v3, v1
	.p2align	6
.LBB114_73:                             ; =>This Inner Loop Header: Depth=1
	scratch_load_b128 v[15:18], v9, off offset:-8
	ds_load_b128 v[19:22], v8
	v_add_nc_u32_e32 v7, 1, v7
	v_add_nc_u32_e32 v8, 16, v8
	;; [unrolled: 1-line block ×3, first 2 shown]
	s_delay_alu instid0(VALU_DEP_3) | instskip(SKIP_4) | instid1(VALU_DEP_2)
	v_cmp_lt_u32_e32 vcc_lo, 13, v7
	s_or_b32 s3, vcc_lo, s3
	s_waitcnt vmcnt(0) lgkmcnt(0)
	v_mul_f64 v[10:11], v[21:22], v[17:18]
	v_mul_f64 v[17:18], v[19:20], v[17:18]
	v_fma_f64 v[10:11], v[19:20], v[15:16], -v[10:11]
	s_delay_alu instid0(VALU_DEP_2) | instskip(NEXT) | instid1(VALU_DEP_2)
	v_fma_f64 v[15:16], v[21:22], v[15:16], v[17:18]
	v_add_f64 v[3:4], v[3:4], v[10:11]
	s_delay_alu instid0(VALU_DEP_2)
	v_add_f64 v[1:2], v[1:2], v[15:16]
	s_and_not1_b32 exec_lo, exec_lo, s3
	s_cbranch_execnz .LBB114_73
; %bb.74:
	s_or_b32 exec_lo, exec_lo, s3
	v_mov_b32_e32 v7, 0
	ds_load_b128 v[7:10], v7 offset:240
	s_waitcnt lgkmcnt(0)
	v_mul_f64 v[11:12], v[1:2], v[9:10]
	v_mul_f64 v[15:16], v[3:4], v[9:10]
	s_delay_alu instid0(VALU_DEP_2) | instskip(NEXT) | instid1(VALU_DEP_2)
	v_fma_f64 v[9:10], v[3:4], v[7:8], -v[11:12]
	v_fma_f64 v[11:12], v[1:2], v[7:8], v[15:16]
	scratch_store_b128 off, v[9:12], off offset:240
.LBB114_75:
	s_or_b32 exec_lo, exec_lo, s2
	s_waitcnt_vscnt null, 0x0
	s_barrier
	buffer_gl0_inv
	scratch_load_b128 v[1:4], v183, off
	s_mov_b32 s2, exec_lo
	s_waitcnt vmcnt(0)
	ds_store_b128 v5, v[1:4]
	s_waitcnt lgkmcnt(0)
	s_barrier
	buffer_gl0_inv
	v_cmpx_gt_u32_e32 16, v148
	s_cbranch_execz .LBB114_79
; %bb.76:
	v_dual_mov_b32 v1, 0 :: v_dual_add_nc_u32 v8, 0x330, v13
	v_dual_mov_b32 v2, 0 :: v_dual_add_nc_u32 v7, -1, v148
	v_or_b32_e32 v9, 8, v14
	s_mov_b32 s3, 0
	s_delay_alu instid0(VALU_DEP_2)
	v_dual_mov_b32 v4, v2 :: v_dual_mov_b32 v3, v1
	.p2align	6
.LBB114_77:                             ; =>This Inner Loop Header: Depth=1
	scratch_load_b128 v[15:18], v9, off offset:-8
	ds_load_b128 v[19:22], v8
	v_add_nc_u32_e32 v7, 1, v7
	v_add_nc_u32_e32 v8, 16, v8
	;; [unrolled: 1-line block ×3, first 2 shown]
	s_delay_alu instid0(VALU_DEP_3) | instskip(SKIP_4) | instid1(VALU_DEP_2)
	v_cmp_lt_u32_e32 vcc_lo, 14, v7
	s_or_b32 s3, vcc_lo, s3
	s_waitcnt vmcnt(0) lgkmcnt(0)
	v_mul_f64 v[10:11], v[21:22], v[17:18]
	v_mul_f64 v[17:18], v[19:20], v[17:18]
	v_fma_f64 v[10:11], v[19:20], v[15:16], -v[10:11]
	s_delay_alu instid0(VALU_DEP_2) | instskip(NEXT) | instid1(VALU_DEP_2)
	v_fma_f64 v[15:16], v[21:22], v[15:16], v[17:18]
	v_add_f64 v[3:4], v[3:4], v[10:11]
	s_delay_alu instid0(VALU_DEP_2)
	v_add_f64 v[1:2], v[1:2], v[15:16]
	s_and_not1_b32 exec_lo, exec_lo, s3
	s_cbranch_execnz .LBB114_77
; %bb.78:
	s_or_b32 exec_lo, exec_lo, s3
	v_mov_b32_e32 v7, 0
	ds_load_b128 v[7:10], v7 offset:256
	s_waitcnt lgkmcnt(0)
	v_mul_f64 v[11:12], v[1:2], v[9:10]
	v_mul_f64 v[15:16], v[3:4], v[9:10]
	s_delay_alu instid0(VALU_DEP_2) | instskip(NEXT) | instid1(VALU_DEP_2)
	v_fma_f64 v[9:10], v[3:4], v[7:8], -v[11:12]
	v_fma_f64 v[11:12], v[1:2], v[7:8], v[15:16]
	scratch_store_b128 off, v[9:12], off offset:256
.LBB114_79:
	s_or_b32 exec_lo, exec_lo, s2
	s_waitcnt_vscnt null, 0x0
	s_barrier
	buffer_gl0_inv
	scratch_load_b128 v[1:4], v182, off
	s_mov_b32 s2, exec_lo
	s_waitcnt vmcnt(0)
	ds_store_b128 v5, v[1:4]
	s_waitcnt lgkmcnt(0)
	s_barrier
	buffer_gl0_inv
	v_cmpx_gt_u32_e32 17, v148
	s_cbranch_execz .LBB114_83
; %bb.80:
	v_dual_mov_b32 v1, 0 :: v_dual_add_nc_u32 v8, 0x330, v13
	v_dual_mov_b32 v2, 0 :: v_dual_add_nc_u32 v7, -1, v148
	v_or_b32_e32 v9, 8, v14
	s_mov_b32 s3, 0
	s_delay_alu instid0(VALU_DEP_2)
	v_dual_mov_b32 v4, v2 :: v_dual_mov_b32 v3, v1
	.p2align	6
.LBB114_81:                             ; =>This Inner Loop Header: Depth=1
	scratch_load_b128 v[15:18], v9, off offset:-8
	ds_load_b128 v[19:22], v8
	v_add_nc_u32_e32 v7, 1, v7
	v_add_nc_u32_e32 v8, 16, v8
	;; [unrolled: 1-line block ×3, first 2 shown]
	s_delay_alu instid0(VALU_DEP_3) | instskip(SKIP_4) | instid1(VALU_DEP_2)
	v_cmp_lt_u32_e32 vcc_lo, 15, v7
	s_or_b32 s3, vcc_lo, s3
	s_waitcnt vmcnt(0) lgkmcnt(0)
	v_mul_f64 v[10:11], v[21:22], v[17:18]
	v_mul_f64 v[17:18], v[19:20], v[17:18]
	v_fma_f64 v[10:11], v[19:20], v[15:16], -v[10:11]
	s_delay_alu instid0(VALU_DEP_2) | instskip(NEXT) | instid1(VALU_DEP_2)
	v_fma_f64 v[15:16], v[21:22], v[15:16], v[17:18]
	v_add_f64 v[3:4], v[3:4], v[10:11]
	s_delay_alu instid0(VALU_DEP_2)
	v_add_f64 v[1:2], v[1:2], v[15:16]
	s_and_not1_b32 exec_lo, exec_lo, s3
	s_cbranch_execnz .LBB114_81
; %bb.82:
	s_or_b32 exec_lo, exec_lo, s3
	v_mov_b32_e32 v7, 0
	ds_load_b128 v[7:10], v7 offset:272
	s_waitcnt lgkmcnt(0)
	v_mul_f64 v[11:12], v[1:2], v[9:10]
	v_mul_f64 v[15:16], v[3:4], v[9:10]
	s_delay_alu instid0(VALU_DEP_2) | instskip(NEXT) | instid1(VALU_DEP_2)
	v_fma_f64 v[9:10], v[3:4], v[7:8], -v[11:12]
	v_fma_f64 v[11:12], v[1:2], v[7:8], v[15:16]
	scratch_store_b128 off, v[9:12], off offset:272
.LBB114_83:
	s_or_b32 exec_lo, exec_lo, s2
	s_waitcnt_vscnt null, 0x0
	s_barrier
	buffer_gl0_inv
	scratch_load_b128 v[1:4], v181, off
	s_mov_b32 s2, exec_lo
	s_waitcnt vmcnt(0)
	ds_store_b128 v5, v[1:4]
	s_waitcnt lgkmcnt(0)
	s_barrier
	buffer_gl0_inv
	v_cmpx_gt_u32_e32 18, v148
	s_cbranch_execz .LBB114_87
; %bb.84:
	v_dual_mov_b32 v1, 0 :: v_dual_add_nc_u32 v8, 0x330, v13
	v_dual_mov_b32 v2, 0 :: v_dual_add_nc_u32 v7, -1, v148
	v_or_b32_e32 v9, 8, v14
	s_mov_b32 s3, 0
	s_delay_alu instid0(VALU_DEP_2)
	v_dual_mov_b32 v4, v2 :: v_dual_mov_b32 v3, v1
	.p2align	6
.LBB114_85:                             ; =>This Inner Loop Header: Depth=1
	scratch_load_b128 v[15:18], v9, off offset:-8
	ds_load_b128 v[19:22], v8
	v_add_nc_u32_e32 v7, 1, v7
	v_add_nc_u32_e32 v8, 16, v8
	;; [unrolled: 1-line block ×3, first 2 shown]
	s_delay_alu instid0(VALU_DEP_3) | instskip(SKIP_4) | instid1(VALU_DEP_2)
	v_cmp_lt_u32_e32 vcc_lo, 16, v7
	s_or_b32 s3, vcc_lo, s3
	s_waitcnt vmcnt(0) lgkmcnt(0)
	v_mul_f64 v[10:11], v[21:22], v[17:18]
	v_mul_f64 v[17:18], v[19:20], v[17:18]
	v_fma_f64 v[10:11], v[19:20], v[15:16], -v[10:11]
	s_delay_alu instid0(VALU_DEP_2) | instskip(NEXT) | instid1(VALU_DEP_2)
	v_fma_f64 v[15:16], v[21:22], v[15:16], v[17:18]
	v_add_f64 v[3:4], v[3:4], v[10:11]
	s_delay_alu instid0(VALU_DEP_2)
	v_add_f64 v[1:2], v[1:2], v[15:16]
	s_and_not1_b32 exec_lo, exec_lo, s3
	s_cbranch_execnz .LBB114_85
; %bb.86:
	s_or_b32 exec_lo, exec_lo, s3
	v_mov_b32_e32 v7, 0
	ds_load_b128 v[7:10], v7 offset:288
	s_waitcnt lgkmcnt(0)
	v_mul_f64 v[11:12], v[1:2], v[9:10]
	v_mul_f64 v[15:16], v[3:4], v[9:10]
	s_delay_alu instid0(VALU_DEP_2) | instskip(NEXT) | instid1(VALU_DEP_2)
	v_fma_f64 v[9:10], v[3:4], v[7:8], -v[11:12]
	v_fma_f64 v[11:12], v[1:2], v[7:8], v[15:16]
	scratch_store_b128 off, v[9:12], off offset:288
.LBB114_87:
	s_or_b32 exec_lo, exec_lo, s2
	s_waitcnt_vscnt null, 0x0
	s_barrier
	buffer_gl0_inv
	scratch_load_b128 v[1:4], v180, off
	s_mov_b32 s2, exec_lo
	s_waitcnt vmcnt(0)
	ds_store_b128 v5, v[1:4]
	s_waitcnt lgkmcnt(0)
	s_barrier
	buffer_gl0_inv
	v_cmpx_gt_u32_e32 19, v148
	s_cbranch_execz .LBB114_91
; %bb.88:
	v_dual_mov_b32 v1, 0 :: v_dual_add_nc_u32 v8, 0x330, v13
	v_dual_mov_b32 v2, 0 :: v_dual_add_nc_u32 v7, -1, v148
	v_or_b32_e32 v9, 8, v14
	s_mov_b32 s3, 0
	s_delay_alu instid0(VALU_DEP_2)
	v_dual_mov_b32 v4, v2 :: v_dual_mov_b32 v3, v1
	.p2align	6
.LBB114_89:                             ; =>This Inner Loop Header: Depth=1
	scratch_load_b128 v[15:18], v9, off offset:-8
	ds_load_b128 v[19:22], v8
	v_add_nc_u32_e32 v7, 1, v7
	v_add_nc_u32_e32 v8, 16, v8
	;; [unrolled: 1-line block ×3, first 2 shown]
	s_delay_alu instid0(VALU_DEP_3) | instskip(SKIP_4) | instid1(VALU_DEP_2)
	v_cmp_lt_u32_e32 vcc_lo, 17, v7
	s_or_b32 s3, vcc_lo, s3
	s_waitcnt vmcnt(0) lgkmcnt(0)
	v_mul_f64 v[10:11], v[21:22], v[17:18]
	v_mul_f64 v[17:18], v[19:20], v[17:18]
	v_fma_f64 v[10:11], v[19:20], v[15:16], -v[10:11]
	s_delay_alu instid0(VALU_DEP_2) | instskip(NEXT) | instid1(VALU_DEP_2)
	v_fma_f64 v[15:16], v[21:22], v[15:16], v[17:18]
	v_add_f64 v[3:4], v[3:4], v[10:11]
	s_delay_alu instid0(VALU_DEP_2)
	v_add_f64 v[1:2], v[1:2], v[15:16]
	s_and_not1_b32 exec_lo, exec_lo, s3
	s_cbranch_execnz .LBB114_89
; %bb.90:
	s_or_b32 exec_lo, exec_lo, s3
	v_mov_b32_e32 v7, 0
	ds_load_b128 v[7:10], v7 offset:304
	s_waitcnt lgkmcnt(0)
	v_mul_f64 v[11:12], v[1:2], v[9:10]
	v_mul_f64 v[15:16], v[3:4], v[9:10]
	s_delay_alu instid0(VALU_DEP_2) | instskip(NEXT) | instid1(VALU_DEP_2)
	v_fma_f64 v[9:10], v[3:4], v[7:8], -v[11:12]
	v_fma_f64 v[11:12], v[1:2], v[7:8], v[15:16]
	scratch_store_b128 off, v[9:12], off offset:304
.LBB114_91:
	s_or_b32 exec_lo, exec_lo, s2
	s_waitcnt_vscnt null, 0x0
	s_barrier
	buffer_gl0_inv
	scratch_load_b128 v[1:4], v179, off
	s_mov_b32 s2, exec_lo
	s_waitcnt vmcnt(0)
	ds_store_b128 v5, v[1:4]
	s_waitcnt lgkmcnt(0)
	s_barrier
	buffer_gl0_inv
	v_cmpx_gt_u32_e32 20, v148
	s_cbranch_execz .LBB114_95
; %bb.92:
	v_dual_mov_b32 v1, 0 :: v_dual_add_nc_u32 v8, 0x330, v13
	v_dual_mov_b32 v2, 0 :: v_dual_add_nc_u32 v7, -1, v148
	v_or_b32_e32 v9, 8, v14
	s_mov_b32 s3, 0
	s_delay_alu instid0(VALU_DEP_2)
	v_dual_mov_b32 v4, v2 :: v_dual_mov_b32 v3, v1
	.p2align	6
.LBB114_93:                             ; =>This Inner Loop Header: Depth=1
	scratch_load_b128 v[15:18], v9, off offset:-8
	ds_load_b128 v[19:22], v8
	v_add_nc_u32_e32 v7, 1, v7
	v_add_nc_u32_e32 v8, 16, v8
	;; [unrolled: 1-line block ×3, first 2 shown]
	s_delay_alu instid0(VALU_DEP_3) | instskip(SKIP_4) | instid1(VALU_DEP_2)
	v_cmp_lt_u32_e32 vcc_lo, 18, v7
	s_or_b32 s3, vcc_lo, s3
	s_waitcnt vmcnt(0) lgkmcnt(0)
	v_mul_f64 v[10:11], v[21:22], v[17:18]
	v_mul_f64 v[17:18], v[19:20], v[17:18]
	v_fma_f64 v[10:11], v[19:20], v[15:16], -v[10:11]
	s_delay_alu instid0(VALU_DEP_2) | instskip(NEXT) | instid1(VALU_DEP_2)
	v_fma_f64 v[15:16], v[21:22], v[15:16], v[17:18]
	v_add_f64 v[3:4], v[3:4], v[10:11]
	s_delay_alu instid0(VALU_DEP_2)
	v_add_f64 v[1:2], v[1:2], v[15:16]
	s_and_not1_b32 exec_lo, exec_lo, s3
	s_cbranch_execnz .LBB114_93
; %bb.94:
	s_or_b32 exec_lo, exec_lo, s3
	v_mov_b32_e32 v7, 0
	ds_load_b128 v[7:10], v7 offset:320
	s_waitcnt lgkmcnt(0)
	v_mul_f64 v[11:12], v[1:2], v[9:10]
	v_mul_f64 v[15:16], v[3:4], v[9:10]
	s_delay_alu instid0(VALU_DEP_2) | instskip(NEXT) | instid1(VALU_DEP_2)
	v_fma_f64 v[9:10], v[3:4], v[7:8], -v[11:12]
	v_fma_f64 v[11:12], v[1:2], v[7:8], v[15:16]
	scratch_store_b128 off, v[9:12], off offset:320
.LBB114_95:
	s_or_b32 exec_lo, exec_lo, s2
	s_waitcnt_vscnt null, 0x0
	s_barrier
	buffer_gl0_inv
	scratch_load_b128 v[1:4], v178, off
	s_mov_b32 s2, exec_lo
	s_waitcnt vmcnt(0)
	ds_store_b128 v5, v[1:4]
	s_waitcnt lgkmcnt(0)
	s_barrier
	buffer_gl0_inv
	v_cmpx_gt_u32_e32 21, v148
	s_cbranch_execz .LBB114_99
; %bb.96:
	v_dual_mov_b32 v1, 0 :: v_dual_add_nc_u32 v8, 0x330, v13
	v_dual_mov_b32 v2, 0 :: v_dual_add_nc_u32 v7, -1, v148
	v_or_b32_e32 v9, 8, v14
	s_mov_b32 s3, 0
	s_delay_alu instid0(VALU_DEP_2)
	v_dual_mov_b32 v4, v2 :: v_dual_mov_b32 v3, v1
	.p2align	6
.LBB114_97:                             ; =>This Inner Loop Header: Depth=1
	scratch_load_b128 v[15:18], v9, off offset:-8
	ds_load_b128 v[19:22], v8
	v_add_nc_u32_e32 v7, 1, v7
	v_add_nc_u32_e32 v8, 16, v8
	;; [unrolled: 1-line block ×3, first 2 shown]
	s_delay_alu instid0(VALU_DEP_3) | instskip(SKIP_4) | instid1(VALU_DEP_2)
	v_cmp_lt_u32_e32 vcc_lo, 19, v7
	s_or_b32 s3, vcc_lo, s3
	s_waitcnt vmcnt(0) lgkmcnt(0)
	v_mul_f64 v[10:11], v[21:22], v[17:18]
	v_mul_f64 v[17:18], v[19:20], v[17:18]
	v_fma_f64 v[10:11], v[19:20], v[15:16], -v[10:11]
	s_delay_alu instid0(VALU_DEP_2) | instskip(NEXT) | instid1(VALU_DEP_2)
	v_fma_f64 v[15:16], v[21:22], v[15:16], v[17:18]
	v_add_f64 v[3:4], v[3:4], v[10:11]
	s_delay_alu instid0(VALU_DEP_2)
	v_add_f64 v[1:2], v[1:2], v[15:16]
	s_and_not1_b32 exec_lo, exec_lo, s3
	s_cbranch_execnz .LBB114_97
; %bb.98:
	s_or_b32 exec_lo, exec_lo, s3
	v_mov_b32_e32 v7, 0
	ds_load_b128 v[7:10], v7 offset:336
	s_waitcnt lgkmcnt(0)
	v_mul_f64 v[11:12], v[1:2], v[9:10]
	v_mul_f64 v[15:16], v[3:4], v[9:10]
	s_delay_alu instid0(VALU_DEP_2) | instskip(NEXT) | instid1(VALU_DEP_2)
	v_fma_f64 v[9:10], v[3:4], v[7:8], -v[11:12]
	v_fma_f64 v[11:12], v[1:2], v[7:8], v[15:16]
	scratch_store_b128 off, v[9:12], off offset:336
.LBB114_99:
	s_or_b32 exec_lo, exec_lo, s2
	s_waitcnt_vscnt null, 0x0
	s_barrier
	buffer_gl0_inv
	scratch_load_b128 v[1:4], v177, off
	s_mov_b32 s2, exec_lo
	s_waitcnt vmcnt(0)
	ds_store_b128 v5, v[1:4]
	s_waitcnt lgkmcnt(0)
	s_barrier
	buffer_gl0_inv
	v_cmpx_gt_u32_e32 22, v148
	s_cbranch_execz .LBB114_103
; %bb.100:
	v_dual_mov_b32 v1, 0 :: v_dual_add_nc_u32 v8, 0x330, v13
	v_dual_mov_b32 v2, 0 :: v_dual_add_nc_u32 v7, -1, v148
	v_or_b32_e32 v9, 8, v14
	s_mov_b32 s3, 0
	s_delay_alu instid0(VALU_DEP_2)
	v_dual_mov_b32 v4, v2 :: v_dual_mov_b32 v3, v1
	.p2align	6
.LBB114_101:                            ; =>This Inner Loop Header: Depth=1
	scratch_load_b128 v[15:18], v9, off offset:-8
	ds_load_b128 v[19:22], v8
	v_add_nc_u32_e32 v7, 1, v7
	v_add_nc_u32_e32 v8, 16, v8
	;; [unrolled: 1-line block ×3, first 2 shown]
	s_delay_alu instid0(VALU_DEP_3) | instskip(SKIP_4) | instid1(VALU_DEP_2)
	v_cmp_lt_u32_e32 vcc_lo, 20, v7
	s_or_b32 s3, vcc_lo, s3
	s_waitcnt vmcnt(0) lgkmcnt(0)
	v_mul_f64 v[10:11], v[21:22], v[17:18]
	v_mul_f64 v[17:18], v[19:20], v[17:18]
	v_fma_f64 v[10:11], v[19:20], v[15:16], -v[10:11]
	s_delay_alu instid0(VALU_DEP_2) | instskip(NEXT) | instid1(VALU_DEP_2)
	v_fma_f64 v[15:16], v[21:22], v[15:16], v[17:18]
	v_add_f64 v[3:4], v[3:4], v[10:11]
	s_delay_alu instid0(VALU_DEP_2)
	v_add_f64 v[1:2], v[1:2], v[15:16]
	s_and_not1_b32 exec_lo, exec_lo, s3
	s_cbranch_execnz .LBB114_101
; %bb.102:
	s_or_b32 exec_lo, exec_lo, s3
	v_mov_b32_e32 v7, 0
	ds_load_b128 v[7:10], v7 offset:352
	s_waitcnt lgkmcnt(0)
	v_mul_f64 v[11:12], v[1:2], v[9:10]
	v_mul_f64 v[15:16], v[3:4], v[9:10]
	s_delay_alu instid0(VALU_DEP_2) | instskip(NEXT) | instid1(VALU_DEP_2)
	v_fma_f64 v[9:10], v[3:4], v[7:8], -v[11:12]
	v_fma_f64 v[11:12], v[1:2], v[7:8], v[15:16]
	scratch_store_b128 off, v[9:12], off offset:352
.LBB114_103:
	s_or_b32 exec_lo, exec_lo, s2
	s_waitcnt_vscnt null, 0x0
	s_barrier
	buffer_gl0_inv
	scratch_load_b128 v[1:4], v176, off
	s_mov_b32 s2, exec_lo
	s_waitcnt vmcnt(0)
	ds_store_b128 v5, v[1:4]
	s_waitcnt lgkmcnt(0)
	s_barrier
	buffer_gl0_inv
	v_cmpx_gt_u32_e32 23, v148
	s_cbranch_execz .LBB114_107
; %bb.104:
	v_dual_mov_b32 v1, 0 :: v_dual_add_nc_u32 v8, 0x330, v13
	v_dual_mov_b32 v2, 0 :: v_dual_add_nc_u32 v7, -1, v148
	v_or_b32_e32 v9, 8, v14
	s_mov_b32 s3, 0
	s_delay_alu instid0(VALU_DEP_2)
	v_dual_mov_b32 v4, v2 :: v_dual_mov_b32 v3, v1
	.p2align	6
.LBB114_105:                            ; =>This Inner Loop Header: Depth=1
	scratch_load_b128 v[15:18], v9, off offset:-8
	ds_load_b128 v[19:22], v8
	v_add_nc_u32_e32 v7, 1, v7
	v_add_nc_u32_e32 v8, 16, v8
	;; [unrolled: 1-line block ×3, first 2 shown]
	s_delay_alu instid0(VALU_DEP_3) | instskip(SKIP_4) | instid1(VALU_DEP_2)
	v_cmp_lt_u32_e32 vcc_lo, 21, v7
	s_or_b32 s3, vcc_lo, s3
	s_waitcnt vmcnt(0) lgkmcnt(0)
	v_mul_f64 v[10:11], v[21:22], v[17:18]
	v_mul_f64 v[17:18], v[19:20], v[17:18]
	v_fma_f64 v[10:11], v[19:20], v[15:16], -v[10:11]
	s_delay_alu instid0(VALU_DEP_2) | instskip(NEXT) | instid1(VALU_DEP_2)
	v_fma_f64 v[15:16], v[21:22], v[15:16], v[17:18]
	v_add_f64 v[3:4], v[3:4], v[10:11]
	s_delay_alu instid0(VALU_DEP_2)
	v_add_f64 v[1:2], v[1:2], v[15:16]
	s_and_not1_b32 exec_lo, exec_lo, s3
	s_cbranch_execnz .LBB114_105
; %bb.106:
	s_or_b32 exec_lo, exec_lo, s3
	v_mov_b32_e32 v7, 0
	ds_load_b128 v[7:10], v7 offset:368
	s_waitcnt lgkmcnt(0)
	v_mul_f64 v[11:12], v[1:2], v[9:10]
	v_mul_f64 v[15:16], v[3:4], v[9:10]
	s_delay_alu instid0(VALU_DEP_2) | instskip(NEXT) | instid1(VALU_DEP_2)
	v_fma_f64 v[9:10], v[3:4], v[7:8], -v[11:12]
	v_fma_f64 v[11:12], v[1:2], v[7:8], v[15:16]
	scratch_store_b128 off, v[9:12], off offset:368
.LBB114_107:
	s_or_b32 exec_lo, exec_lo, s2
	s_waitcnt_vscnt null, 0x0
	s_barrier
	buffer_gl0_inv
	scratch_load_b128 v[1:4], v174, off
	s_mov_b32 s2, exec_lo
	s_waitcnt vmcnt(0)
	ds_store_b128 v5, v[1:4]
	s_waitcnt lgkmcnt(0)
	s_barrier
	buffer_gl0_inv
	v_cmpx_gt_u32_e32 24, v148
	s_cbranch_execz .LBB114_111
; %bb.108:
	v_dual_mov_b32 v1, 0 :: v_dual_add_nc_u32 v8, 0x330, v13
	v_dual_mov_b32 v2, 0 :: v_dual_add_nc_u32 v7, -1, v148
	v_or_b32_e32 v9, 8, v14
	s_mov_b32 s3, 0
	s_delay_alu instid0(VALU_DEP_2)
	v_dual_mov_b32 v4, v2 :: v_dual_mov_b32 v3, v1
	.p2align	6
.LBB114_109:                            ; =>This Inner Loop Header: Depth=1
	scratch_load_b128 v[15:18], v9, off offset:-8
	ds_load_b128 v[19:22], v8
	v_add_nc_u32_e32 v7, 1, v7
	v_add_nc_u32_e32 v8, 16, v8
	;; [unrolled: 1-line block ×3, first 2 shown]
	s_delay_alu instid0(VALU_DEP_3) | instskip(SKIP_4) | instid1(VALU_DEP_2)
	v_cmp_lt_u32_e32 vcc_lo, 22, v7
	s_or_b32 s3, vcc_lo, s3
	s_waitcnt vmcnt(0) lgkmcnt(0)
	v_mul_f64 v[10:11], v[21:22], v[17:18]
	v_mul_f64 v[17:18], v[19:20], v[17:18]
	v_fma_f64 v[10:11], v[19:20], v[15:16], -v[10:11]
	s_delay_alu instid0(VALU_DEP_2) | instskip(NEXT) | instid1(VALU_DEP_2)
	v_fma_f64 v[15:16], v[21:22], v[15:16], v[17:18]
	v_add_f64 v[3:4], v[3:4], v[10:11]
	s_delay_alu instid0(VALU_DEP_2)
	v_add_f64 v[1:2], v[1:2], v[15:16]
	s_and_not1_b32 exec_lo, exec_lo, s3
	s_cbranch_execnz .LBB114_109
; %bb.110:
	s_or_b32 exec_lo, exec_lo, s3
	v_mov_b32_e32 v7, 0
	ds_load_b128 v[7:10], v7 offset:384
	s_waitcnt lgkmcnt(0)
	v_mul_f64 v[11:12], v[1:2], v[9:10]
	v_mul_f64 v[15:16], v[3:4], v[9:10]
	s_delay_alu instid0(VALU_DEP_2) | instskip(NEXT) | instid1(VALU_DEP_2)
	v_fma_f64 v[9:10], v[3:4], v[7:8], -v[11:12]
	v_fma_f64 v[11:12], v[1:2], v[7:8], v[15:16]
	scratch_store_b128 off, v[9:12], off offset:384
.LBB114_111:
	s_or_b32 exec_lo, exec_lo, s2
	s_waitcnt_vscnt null, 0x0
	s_barrier
	buffer_gl0_inv
	scratch_load_b128 v[1:4], v173, off
	s_mov_b32 s2, exec_lo
	s_waitcnt vmcnt(0)
	ds_store_b128 v5, v[1:4]
	s_waitcnt lgkmcnt(0)
	s_barrier
	buffer_gl0_inv
	v_cmpx_gt_u32_e32 25, v148
	s_cbranch_execz .LBB114_115
; %bb.112:
	v_dual_mov_b32 v1, 0 :: v_dual_add_nc_u32 v8, 0x330, v13
	v_dual_mov_b32 v2, 0 :: v_dual_add_nc_u32 v7, -1, v148
	v_or_b32_e32 v9, 8, v14
	s_mov_b32 s3, 0
	s_delay_alu instid0(VALU_DEP_2)
	v_dual_mov_b32 v4, v2 :: v_dual_mov_b32 v3, v1
	.p2align	6
.LBB114_113:                            ; =>This Inner Loop Header: Depth=1
	scratch_load_b128 v[15:18], v9, off offset:-8
	ds_load_b128 v[19:22], v8
	v_add_nc_u32_e32 v7, 1, v7
	v_add_nc_u32_e32 v8, 16, v8
	;; [unrolled: 1-line block ×3, first 2 shown]
	s_delay_alu instid0(VALU_DEP_3) | instskip(SKIP_4) | instid1(VALU_DEP_2)
	v_cmp_lt_u32_e32 vcc_lo, 23, v7
	s_or_b32 s3, vcc_lo, s3
	s_waitcnt vmcnt(0) lgkmcnt(0)
	v_mul_f64 v[10:11], v[21:22], v[17:18]
	v_mul_f64 v[17:18], v[19:20], v[17:18]
	v_fma_f64 v[10:11], v[19:20], v[15:16], -v[10:11]
	s_delay_alu instid0(VALU_DEP_2) | instskip(NEXT) | instid1(VALU_DEP_2)
	v_fma_f64 v[15:16], v[21:22], v[15:16], v[17:18]
	v_add_f64 v[3:4], v[3:4], v[10:11]
	s_delay_alu instid0(VALU_DEP_2)
	v_add_f64 v[1:2], v[1:2], v[15:16]
	s_and_not1_b32 exec_lo, exec_lo, s3
	s_cbranch_execnz .LBB114_113
; %bb.114:
	s_or_b32 exec_lo, exec_lo, s3
	v_mov_b32_e32 v7, 0
	ds_load_b128 v[7:10], v7 offset:400
	s_waitcnt lgkmcnt(0)
	v_mul_f64 v[11:12], v[1:2], v[9:10]
	v_mul_f64 v[15:16], v[3:4], v[9:10]
	s_delay_alu instid0(VALU_DEP_2) | instskip(NEXT) | instid1(VALU_DEP_2)
	v_fma_f64 v[9:10], v[3:4], v[7:8], -v[11:12]
	v_fma_f64 v[11:12], v[1:2], v[7:8], v[15:16]
	scratch_store_b128 off, v[9:12], off offset:400
.LBB114_115:
	s_or_b32 exec_lo, exec_lo, s2
	s_waitcnt_vscnt null, 0x0
	s_barrier
	buffer_gl0_inv
	scratch_load_b128 v[1:4], v172, off
	s_mov_b32 s2, exec_lo
	s_waitcnt vmcnt(0)
	ds_store_b128 v5, v[1:4]
	s_waitcnt lgkmcnt(0)
	s_barrier
	buffer_gl0_inv
	v_cmpx_gt_u32_e32 26, v148
	s_cbranch_execz .LBB114_119
; %bb.116:
	v_dual_mov_b32 v1, 0 :: v_dual_add_nc_u32 v8, 0x330, v13
	v_dual_mov_b32 v2, 0 :: v_dual_add_nc_u32 v7, -1, v148
	v_or_b32_e32 v9, 8, v14
	s_mov_b32 s3, 0
	s_delay_alu instid0(VALU_DEP_2)
	v_dual_mov_b32 v4, v2 :: v_dual_mov_b32 v3, v1
	.p2align	6
.LBB114_117:                            ; =>This Inner Loop Header: Depth=1
	scratch_load_b128 v[15:18], v9, off offset:-8
	ds_load_b128 v[19:22], v8
	v_add_nc_u32_e32 v7, 1, v7
	v_add_nc_u32_e32 v8, 16, v8
	;; [unrolled: 1-line block ×3, first 2 shown]
	s_delay_alu instid0(VALU_DEP_3) | instskip(SKIP_4) | instid1(VALU_DEP_2)
	v_cmp_lt_u32_e32 vcc_lo, 24, v7
	s_or_b32 s3, vcc_lo, s3
	s_waitcnt vmcnt(0) lgkmcnt(0)
	v_mul_f64 v[10:11], v[21:22], v[17:18]
	v_mul_f64 v[17:18], v[19:20], v[17:18]
	v_fma_f64 v[10:11], v[19:20], v[15:16], -v[10:11]
	s_delay_alu instid0(VALU_DEP_2) | instskip(NEXT) | instid1(VALU_DEP_2)
	v_fma_f64 v[15:16], v[21:22], v[15:16], v[17:18]
	v_add_f64 v[3:4], v[3:4], v[10:11]
	s_delay_alu instid0(VALU_DEP_2)
	v_add_f64 v[1:2], v[1:2], v[15:16]
	s_and_not1_b32 exec_lo, exec_lo, s3
	s_cbranch_execnz .LBB114_117
; %bb.118:
	s_or_b32 exec_lo, exec_lo, s3
	v_mov_b32_e32 v7, 0
	ds_load_b128 v[7:10], v7 offset:416
	s_waitcnt lgkmcnt(0)
	v_mul_f64 v[11:12], v[1:2], v[9:10]
	v_mul_f64 v[15:16], v[3:4], v[9:10]
	s_delay_alu instid0(VALU_DEP_2) | instskip(NEXT) | instid1(VALU_DEP_2)
	v_fma_f64 v[9:10], v[3:4], v[7:8], -v[11:12]
	v_fma_f64 v[11:12], v[1:2], v[7:8], v[15:16]
	scratch_store_b128 off, v[9:12], off offset:416
.LBB114_119:
	s_or_b32 exec_lo, exec_lo, s2
	s_waitcnt_vscnt null, 0x0
	s_barrier
	buffer_gl0_inv
	scratch_load_b128 v[1:4], v169, off
	s_mov_b32 s2, exec_lo
	s_waitcnt vmcnt(0)
	ds_store_b128 v5, v[1:4]
	s_waitcnt lgkmcnt(0)
	s_barrier
	buffer_gl0_inv
	v_cmpx_gt_u32_e32 27, v148
	s_cbranch_execz .LBB114_123
; %bb.120:
	v_dual_mov_b32 v1, 0 :: v_dual_add_nc_u32 v8, 0x330, v13
	v_dual_mov_b32 v2, 0 :: v_dual_add_nc_u32 v7, -1, v148
	v_or_b32_e32 v9, 8, v14
	s_mov_b32 s3, 0
	s_delay_alu instid0(VALU_DEP_2)
	v_dual_mov_b32 v4, v2 :: v_dual_mov_b32 v3, v1
	.p2align	6
.LBB114_121:                            ; =>This Inner Loop Header: Depth=1
	scratch_load_b128 v[15:18], v9, off offset:-8
	ds_load_b128 v[19:22], v8
	v_add_nc_u32_e32 v7, 1, v7
	v_add_nc_u32_e32 v8, 16, v8
	;; [unrolled: 1-line block ×3, first 2 shown]
	s_delay_alu instid0(VALU_DEP_3) | instskip(SKIP_4) | instid1(VALU_DEP_2)
	v_cmp_lt_u32_e32 vcc_lo, 25, v7
	s_or_b32 s3, vcc_lo, s3
	s_waitcnt vmcnt(0) lgkmcnt(0)
	v_mul_f64 v[10:11], v[21:22], v[17:18]
	v_mul_f64 v[17:18], v[19:20], v[17:18]
	v_fma_f64 v[10:11], v[19:20], v[15:16], -v[10:11]
	s_delay_alu instid0(VALU_DEP_2) | instskip(NEXT) | instid1(VALU_DEP_2)
	v_fma_f64 v[15:16], v[21:22], v[15:16], v[17:18]
	v_add_f64 v[3:4], v[3:4], v[10:11]
	s_delay_alu instid0(VALU_DEP_2)
	v_add_f64 v[1:2], v[1:2], v[15:16]
	s_and_not1_b32 exec_lo, exec_lo, s3
	s_cbranch_execnz .LBB114_121
; %bb.122:
	s_or_b32 exec_lo, exec_lo, s3
	v_mov_b32_e32 v7, 0
	ds_load_b128 v[7:10], v7 offset:432
	s_waitcnt lgkmcnt(0)
	v_mul_f64 v[11:12], v[1:2], v[9:10]
	v_mul_f64 v[15:16], v[3:4], v[9:10]
	s_delay_alu instid0(VALU_DEP_2) | instskip(NEXT) | instid1(VALU_DEP_2)
	v_fma_f64 v[9:10], v[3:4], v[7:8], -v[11:12]
	v_fma_f64 v[11:12], v[1:2], v[7:8], v[15:16]
	scratch_store_b128 off, v[9:12], off offset:432
.LBB114_123:
	s_or_b32 exec_lo, exec_lo, s2
	s_waitcnt_vscnt null, 0x0
	s_barrier
	buffer_gl0_inv
	scratch_load_b128 v[1:4], v211, off
	s_mov_b32 s2, exec_lo
	s_waitcnt vmcnt(0)
	ds_store_b128 v5, v[1:4]
	s_waitcnt lgkmcnt(0)
	s_barrier
	buffer_gl0_inv
	v_cmpx_gt_u32_e32 28, v148
	s_cbranch_execz .LBB114_127
; %bb.124:
	v_dual_mov_b32 v1, 0 :: v_dual_add_nc_u32 v8, 0x330, v13
	v_dual_mov_b32 v2, 0 :: v_dual_add_nc_u32 v7, -1, v148
	v_or_b32_e32 v9, 8, v14
	s_mov_b32 s3, 0
	s_delay_alu instid0(VALU_DEP_2)
	v_dual_mov_b32 v4, v2 :: v_dual_mov_b32 v3, v1
	.p2align	6
.LBB114_125:                            ; =>This Inner Loop Header: Depth=1
	scratch_load_b128 v[15:18], v9, off offset:-8
	ds_load_b128 v[19:22], v8
	v_add_nc_u32_e32 v7, 1, v7
	v_add_nc_u32_e32 v8, 16, v8
	;; [unrolled: 1-line block ×3, first 2 shown]
	s_delay_alu instid0(VALU_DEP_3) | instskip(SKIP_4) | instid1(VALU_DEP_2)
	v_cmp_lt_u32_e32 vcc_lo, 26, v7
	s_or_b32 s3, vcc_lo, s3
	s_waitcnt vmcnt(0) lgkmcnt(0)
	v_mul_f64 v[10:11], v[21:22], v[17:18]
	v_mul_f64 v[17:18], v[19:20], v[17:18]
	v_fma_f64 v[10:11], v[19:20], v[15:16], -v[10:11]
	s_delay_alu instid0(VALU_DEP_2) | instskip(NEXT) | instid1(VALU_DEP_2)
	v_fma_f64 v[15:16], v[21:22], v[15:16], v[17:18]
	v_add_f64 v[3:4], v[3:4], v[10:11]
	s_delay_alu instid0(VALU_DEP_2)
	v_add_f64 v[1:2], v[1:2], v[15:16]
	s_and_not1_b32 exec_lo, exec_lo, s3
	s_cbranch_execnz .LBB114_125
; %bb.126:
	s_or_b32 exec_lo, exec_lo, s3
	v_mov_b32_e32 v7, 0
	ds_load_b128 v[7:10], v7 offset:448
	s_waitcnt lgkmcnt(0)
	v_mul_f64 v[11:12], v[1:2], v[9:10]
	v_mul_f64 v[15:16], v[3:4], v[9:10]
	s_delay_alu instid0(VALU_DEP_2) | instskip(NEXT) | instid1(VALU_DEP_2)
	v_fma_f64 v[9:10], v[3:4], v[7:8], -v[11:12]
	v_fma_f64 v[11:12], v[1:2], v[7:8], v[15:16]
	scratch_store_b128 off, v[9:12], off offset:448
.LBB114_127:
	s_or_b32 exec_lo, exec_lo, s2
	s_waitcnt_vscnt null, 0x0
	s_barrier
	buffer_gl0_inv
	scratch_load_b128 v[1:4], v210, off
	s_mov_b32 s2, exec_lo
	s_waitcnt vmcnt(0)
	ds_store_b128 v5, v[1:4]
	s_waitcnt lgkmcnt(0)
	s_barrier
	buffer_gl0_inv
	v_cmpx_gt_u32_e32 29, v148
	s_cbranch_execz .LBB114_131
; %bb.128:
	v_dual_mov_b32 v1, 0 :: v_dual_add_nc_u32 v8, 0x330, v13
	v_dual_mov_b32 v2, 0 :: v_dual_add_nc_u32 v7, -1, v148
	v_or_b32_e32 v9, 8, v14
	s_mov_b32 s3, 0
	s_delay_alu instid0(VALU_DEP_2)
	v_dual_mov_b32 v4, v2 :: v_dual_mov_b32 v3, v1
	.p2align	6
.LBB114_129:                            ; =>This Inner Loop Header: Depth=1
	scratch_load_b128 v[15:18], v9, off offset:-8
	ds_load_b128 v[19:22], v8
	v_add_nc_u32_e32 v7, 1, v7
	v_add_nc_u32_e32 v8, 16, v8
	;; [unrolled: 1-line block ×3, first 2 shown]
	s_delay_alu instid0(VALU_DEP_3) | instskip(SKIP_4) | instid1(VALU_DEP_2)
	v_cmp_lt_u32_e32 vcc_lo, 27, v7
	s_or_b32 s3, vcc_lo, s3
	s_waitcnt vmcnt(0) lgkmcnt(0)
	v_mul_f64 v[10:11], v[21:22], v[17:18]
	v_mul_f64 v[17:18], v[19:20], v[17:18]
	v_fma_f64 v[10:11], v[19:20], v[15:16], -v[10:11]
	s_delay_alu instid0(VALU_DEP_2) | instskip(NEXT) | instid1(VALU_DEP_2)
	v_fma_f64 v[15:16], v[21:22], v[15:16], v[17:18]
	v_add_f64 v[3:4], v[3:4], v[10:11]
	s_delay_alu instid0(VALU_DEP_2)
	v_add_f64 v[1:2], v[1:2], v[15:16]
	s_and_not1_b32 exec_lo, exec_lo, s3
	s_cbranch_execnz .LBB114_129
; %bb.130:
	s_or_b32 exec_lo, exec_lo, s3
	v_mov_b32_e32 v7, 0
	ds_load_b128 v[7:10], v7 offset:464
	s_waitcnt lgkmcnt(0)
	v_mul_f64 v[11:12], v[1:2], v[9:10]
	v_mul_f64 v[15:16], v[3:4], v[9:10]
	s_delay_alu instid0(VALU_DEP_2) | instskip(NEXT) | instid1(VALU_DEP_2)
	v_fma_f64 v[9:10], v[3:4], v[7:8], -v[11:12]
	v_fma_f64 v[11:12], v[1:2], v[7:8], v[15:16]
	scratch_store_b128 off, v[9:12], off offset:464
.LBB114_131:
	s_or_b32 exec_lo, exec_lo, s2
	s_waitcnt_vscnt null, 0x0
	s_barrier
	buffer_gl0_inv
	scratch_load_b128 v[1:4], v209, off
	s_mov_b32 s2, exec_lo
	s_waitcnt vmcnt(0)
	ds_store_b128 v5, v[1:4]
	s_waitcnt lgkmcnt(0)
	s_barrier
	buffer_gl0_inv
	v_cmpx_gt_u32_e32 30, v148
	s_cbranch_execz .LBB114_135
; %bb.132:
	v_dual_mov_b32 v1, 0 :: v_dual_add_nc_u32 v8, 0x330, v13
	v_dual_mov_b32 v2, 0 :: v_dual_add_nc_u32 v7, -1, v148
	v_or_b32_e32 v9, 8, v14
	s_mov_b32 s3, 0
	s_delay_alu instid0(VALU_DEP_2)
	v_dual_mov_b32 v4, v2 :: v_dual_mov_b32 v3, v1
	.p2align	6
.LBB114_133:                            ; =>This Inner Loop Header: Depth=1
	scratch_load_b128 v[15:18], v9, off offset:-8
	ds_load_b128 v[19:22], v8
	v_add_nc_u32_e32 v7, 1, v7
	v_add_nc_u32_e32 v8, 16, v8
	;; [unrolled: 1-line block ×3, first 2 shown]
	s_delay_alu instid0(VALU_DEP_3) | instskip(SKIP_4) | instid1(VALU_DEP_2)
	v_cmp_lt_u32_e32 vcc_lo, 28, v7
	s_or_b32 s3, vcc_lo, s3
	s_waitcnt vmcnt(0) lgkmcnt(0)
	v_mul_f64 v[10:11], v[21:22], v[17:18]
	v_mul_f64 v[17:18], v[19:20], v[17:18]
	v_fma_f64 v[10:11], v[19:20], v[15:16], -v[10:11]
	s_delay_alu instid0(VALU_DEP_2) | instskip(NEXT) | instid1(VALU_DEP_2)
	v_fma_f64 v[15:16], v[21:22], v[15:16], v[17:18]
	v_add_f64 v[3:4], v[3:4], v[10:11]
	s_delay_alu instid0(VALU_DEP_2)
	v_add_f64 v[1:2], v[1:2], v[15:16]
	s_and_not1_b32 exec_lo, exec_lo, s3
	s_cbranch_execnz .LBB114_133
; %bb.134:
	s_or_b32 exec_lo, exec_lo, s3
	v_mov_b32_e32 v7, 0
	ds_load_b128 v[7:10], v7 offset:480
	s_waitcnt lgkmcnt(0)
	v_mul_f64 v[11:12], v[1:2], v[9:10]
	v_mul_f64 v[15:16], v[3:4], v[9:10]
	s_delay_alu instid0(VALU_DEP_2) | instskip(NEXT) | instid1(VALU_DEP_2)
	v_fma_f64 v[9:10], v[3:4], v[7:8], -v[11:12]
	v_fma_f64 v[11:12], v[1:2], v[7:8], v[15:16]
	scratch_store_b128 off, v[9:12], off offset:480
.LBB114_135:
	s_or_b32 exec_lo, exec_lo, s2
	s_waitcnt_vscnt null, 0x0
	s_barrier
	buffer_gl0_inv
	scratch_load_b128 v[1:4], v208, off
	s_mov_b32 s2, exec_lo
	s_waitcnt vmcnt(0)
	ds_store_b128 v5, v[1:4]
	s_waitcnt lgkmcnt(0)
	s_barrier
	buffer_gl0_inv
	v_cmpx_gt_u32_e32 31, v148
	s_cbranch_execz .LBB114_139
; %bb.136:
	v_dual_mov_b32 v1, 0 :: v_dual_add_nc_u32 v8, 0x330, v13
	v_dual_mov_b32 v2, 0 :: v_dual_add_nc_u32 v7, -1, v148
	v_or_b32_e32 v9, 8, v14
	s_mov_b32 s3, 0
	s_delay_alu instid0(VALU_DEP_2)
	v_dual_mov_b32 v4, v2 :: v_dual_mov_b32 v3, v1
	.p2align	6
.LBB114_137:                            ; =>This Inner Loop Header: Depth=1
	scratch_load_b128 v[15:18], v9, off offset:-8
	ds_load_b128 v[19:22], v8
	v_add_nc_u32_e32 v7, 1, v7
	v_add_nc_u32_e32 v8, 16, v8
	;; [unrolled: 1-line block ×3, first 2 shown]
	s_delay_alu instid0(VALU_DEP_3) | instskip(SKIP_4) | instid1(VALU_DEP_2)
	v_cmp_lt_u32_e32 vcc_lo, 29, v7
	s_or_b32 s3, vcc_lo, s3
	s_waitcnt vmcnt(0) lgkmcnt(0)
	v_mul_f64 v[10:11], v[21:22], v[17:18]
	v_mul_f64 v[17:18], v[19:20], v[17:18]
	v_fma_f64 v[10:11], v[19:20], v[15:16], -v[10:11]
	s_delay_alu instid0(VALU_DEP_2) | instskip(NEXT) | instid1(VALU_DEP_2)
	v_fma_f64 v[15:16], v[21:22], v[15:16], v[17:18]
	v_add_f64 v[3:4], v[3:4], v[10:11]
	s_delay_alu instid0(VALU_DEP_2)
	v_add_f64 v[1:2], v[1:2], v[15:16]
	s_and_not1_b32 exec_lo, exec_lo, s3
	s_cbranch_execnz .LBB114_137
; %bb.138:
	s_or_b32 exec_lo, exec_lo, s3
	v_mov_b32_e32 v7, 0
	ds_load_b128 v[7:10], v7 offset:496
	s_waitcnt lgkmcnt(0)
	v_mul_f64 v[11:12], v[1:2], v[9:10]
	v_mul_f64 v[15:16], v[3:4], v[9:10]
	s_delay_alu instid0(VALU_DEP_2) | instskip(NEXT) | instid1(VALU_DEP_2)
	v_fma_f64 v[9:10], v[3:4], v[7:8], -v[11:12]
	v_fma_f64 v[11:12], v[1:2], v[7:8], v[15:16]
	scratch_store_b128 off, v[9:12], off offset:496
.LBB114_139:
	s_or_b32 exec_lo, exec_lo, s2
	s_waitcnt_vscnt null, 0x0
	s_barrier
	buffer_gl0_inv
	scratch_load_b128 v[1:4], v207, off
	s_mov_b32 s2, exec_lo
	s_waitcnt vmcnt(0)
	ds_store_b128 v5, v[1:4]
	s_waitcnt lgkmcnt(0)
	s_barrier
	buffer_gl0_inv
	v_cmpx_gt_u32_e32 32, v148
	s_cbranch_execz .LBB114_143
; %bb.140:
	v_dual_mov_b32 v1, 0 :: v_dual_add_nc_u32 v8, 0x330, v13
	v_dual_mov_b32 v2, 0 :: v_dual_add_nc_u32 v7, -1, v148
	v_or_b32_e32 v9, 8, v14
	s_mov_b32 s3, 0
	s_delay_alu instid0(VALU_DEP_2)
	v_dual_mov_b32 v4, v2 :: v_dual_mov_b32 v3, v1
	.p2align	6
.LBB114_141:                            ; =>This Inner Loop Header: Depth=1
	scratch_load_b128 v[15:18], v9, off offset:-8
	ds_load_b128 v[19:22], v8
	v_add_nc_u32_e32 v7, 1, v7
	v_add_nc_u32_e32 v8, 16, v8
	;; [unrolled: 1-line block ×3, first 2 shown]
	s_delay_alu instid0(VALU_DEP_3) | instskip(SKIP_4) | instid1(VALU_DEP_2)
	v_cmp_lt_u32_e32 vcc_lo, 30, v7
	s_or_b32 s3, vcc_lo, s3
	s_waitcnt vmcnt(0) lgkmcnt(0)
	v_mul_f64 v[10:11], v[21:22], v[17:18]
	v_mul_f64 v[17:18], v[19:20], v[17:18]
	v_fma_f64 v[10:11], v[19:20], v[15:16], -v[10:11]
	s_delay_alu instid0(VALU_DEP_2) | instskip(NEXT) | instid1(VALU_DEP_2)
	v_fma_f64 v[15:16], v[21:22], v[15:16], v[17:18]
	v_add_f64 v[3:4], v[3:4], v[10:11]
	s_delay_alu instid0(VALU_DEP_2)
	v_add_f64 v[1:2], v[1:2], v[15:16]
	s_and_not1_b32 exec_lo, exec_lo, s3
	s_cbranch_execnz .LBB114_141
; %bb.142:
	s_or_b32 exec_lo, exec_lo, s3
	v_mov_b32_e32 v7, 0
	ds_load_b128 v[7:10], v7 offset:512
	s_waitcnt lgkmcnt(0)
	v_mul_f64 v[11:12], v[1:2], v[9:10]
	v_mul_f64 v[15:16], v[3:4], v[9:10]
	s_delay_alu instid0(VALU_DEP_2) | instskip(NEXT) | instid1(VALU_DEP_2)
	v_fma_f64 v[9:10], v[3:4], v[7:8], -v[11:12]
	v_fma_f64 v[11:12], v[1:2], v[7:8], v[15:16]
	scratch_store_b128 off, v[9:12], off offset:512
.LBB114_143:
	s_or_b32 exec_lo, exec_lo, s2
	s_waitcnt_vscnt null, 0x0
	s_barrier
	buffer_gl0_inv
	scratch_load_b128 v[1:4], v206, off
	s_mov_b32 s2, exec_lo
	s_waitcnt vmcnt(0)
	ds_store_b128 v5, v[1:4]
	s_waitcnt lgkmcnt(0)
	s_barrier
	buffer_gl0_inv
	v_cmpx_gt_u32_e32 33, v148
	s_cbranch_execz .LBB114_147
; %bb.144:
	v_dual_mov_b32 v1, 0 :: v_dual_add_nc_u32 v8, 0x330, v13
	v_dual_mov_b32 v2, 0 :: v_dual_add_nc_u32 v7, -1, v148
	v_or_b32_e32 v9, 8, v14
	s_mov_b32 s3, 0
	s_delay_alu instid0(VALU_DEP_2)
	v_dual_mov_b32 v4, v2 :: v_dual_mov_b32 v3, v1
	.p2align	6
.LBB114_145:                            ; =>This Inner Loop Header: Depth=1
	scratch_load_b128 v[15:18], v9, off offset:-8
	ds_load_b128 v[19:22], v8
	v_add_nc_u32_e32 v7, 1, v7
	v_add_nc_u32_e32 v8, 16, v8
	;; [unrolled: 1-line block ×3, first 2 shown]
	s_delay_alu instid0(VALU_DEP_3) | instskip(SKIP_4) | instid1(VALU_DEP_2)
	v_cmp_lt_u32_e32 vcc_lo, 31, v7
	s_or_b32 s3, vcc_lo, s3
	s_waitcnt vmcnt(0) lgkmcnt(0)
	v_mul_f64 v[10:11], v[21:22], v[17:18]
	v_mul_f64 v[17:18], v[19:20], v[17:18]
	v_fma_f64 v[10:11], v[19:20], v[15:16], -v[10:11]
	s_delay_alu instid0(VALU_DEP_2) | instskip(NEXT) | instid1(VALU_DEP_2)
	v_fma_f64 v[15:16], v[21:22], v[15:16], v[17:18]
	v_add_f64 v[3:4], v[3:4], v[10:11]
	s_delay_alu instid0(VALU_DEP_2)
	v_add_f64 v[1:2], v[1:2], v[15:16]
	s_and_not1_b32 exec_lo, exec_lo, s3
	s_cbranch_execnz .LBB114_145
; %bb.146:
	s_or_b32 exec_lo, exec_lo, s3
	v_mov_b32_e32 v7, 0
	ds_load_b128 v[7:10], v7 offset:528
	s_waitcnt lgkmcnt(0)
	v_mul_f64 v[11:12], v[1:2], v[9:10]
	v_mul_f64 v[15:16], v[3:4], v[9:10]
	s_delay_alu instid0(VALU_DEP_2) | instskip(NEXT) | instid1(VALU_DEP_2)
	v_fma_f64 v[9:10], v[3:4], v[7:8], -v[11:12]
	v_fma_f64 v[11:12], v[1:2], v[7:8], v[15:16]
	scratch_store_b128 off, v[9:12], off offset:528
.LBB114_147:
	s_or_b32 exec_lo, exec_lo, s2
	s_waitcnt_vscnt null, 0x0
	s_barrier
	buffer_gl0_inv
	scratch_load_b128 v[1:4], v205, off
	s_mov_b32 s2, exec_lo
	s_waitcnt vmcnt(0)
	ds_store_b128 v5, v[1:4]
	s_waitcnt lgkmcnt(0)
	s_barrier
	buffer_gl0_inv
	v_cmpx_gt_u32_e32 34, v148
	s_cbranch_execz .LBB114_151
; %bb.148:
	v_dual_mov_b32 v1, 0 :: v_dual_add_nc_u32 v8, 0x330, v13
	v_dual_mov_b32 v2, 0 :: v_dual_add_nc_u32 v7, -1, v148
	v_or_b32_e32 v9, 8, v14
	s_mov_b32 s3, 0
	s_delay_alu instid0(VALU_DEP_2)
	v_dual_mov_b32 v4, v2 :: v_dual_mov_b32 v3, v1
	.p2align	6
.LBB114_149:                            ; =>This Inner Loop Header: Depth=1
	scratch_load_b128 v[15:18], v9, off offset:-8
	ds_load_b128 v[19:22], v8
	v_add_nc_u32_e32 v7, 1, v7
	v_add_nc_u32_e32 v8, 16, v8
	;; [unrolled: 1-line block ×3, first 2 shown]
	s_delay_alu instid0(VALU_DEP_3) | instskip(SKIP_4) | instid1(VALU_DEP_2)
	v_cmp_lt_u32_e32 vcc_lo, 32, v7
	s_or_b32 s3, vcc_lo, s3
	s_waitcnt vmcnt(0) lgkmcnt(0)
	v_mul_f64 v[10:11], v[21:22], v[17:18]
	v_mul_f64 v[17:18], v[19:20], v[17:18]
	v_fma_f64 v[10:11], v[19:20], v[15:16], -v[10:11]
	s_delay_alu instid0(VALU_DEP_2) | instskip(NEXT) | instid1(VALU_DEP_2)
	v_fma_f64 v[15:16], v[21:22], v[15:16], v[17:18]
	v_add_f64 v[3:4], v[3:4], v[10:11]
	s_delay_alu instid0(VALU_DEP_2)
	v_add_f64 v[1:2], v[1:2], v[15:16]
	s_and_not1_b32 exec_lo, exec_lo, s3
	s_cbranch_execnz .LBB114_149
; %bb.150:
	s_or_b32 exec_lo, exec_lo, s3
	v_mov_b32_e32 v7, 0
	ds_load_b128 v[7:10], v7 offset:544
	s_waitcnt lgkmcnt(0)
	v_mul_f64 v[11:12], v[1:2], v[9:10]
	v_mul_f64 v[15:16], v[3:4], v[9:10]
	s_delay_alu instid0(VALU_DEP_2) | instskip(NEXT) | instid1(VALU_DEP_2)
	v_fma_f64 v[9:10], v[3:4], v[7:8], -v[11:12]
	v_fma_f64 v[11:12], v[1:2], v[7:8], v[15:16]
	scratch_store_b128 off, v[9:12], off offset:544
.LBB114_151:
	s_or_b32 exec_lo, exec_lo, s2
	s_waitcnt_vscnt null, 0x0
	s_barrier
	buffer_gl0_inv
	scratch_load_b128 v[1:4], v204, off
	s_mov_b32 s2, exec_lo
	s_waitcnt vmcnt(0)
	ds_store_b128 v5, v[1:4]
	s_waitcnt lgkmcnt(0)
	s_barrier
	buffer_gl0_inv
	v_cmpx_gt_u32_e32 35, v148
	s_cbranch_execz .LBB114_155
; %bb.152:
	v_dual_mov_b32 v1, 0 :: v_dual_add_nc_u32 v8, 0x330, v13
	v_dual_mov_b32 v2, 0 :: v_dual_add_nc_u32 v7, -1, v148
	v_or_b32_e32 v9, 8, v14
	s_mov_b32 s3, 0
	s_delay_alu instid0(VALU_DEP_2)
	v_dual_mov_b32 v4, v2 :: v_dual_mov_b32 v3, v1
	.p2align	6
.LBB114_153:                            ; =>This Inner Loop Header: Depth=1
	scratch_load_b128 v[15:18], v9, off offset:-8
	ds_load_b128 v[19:22], v8
	v_add_nc_u32_e32 v7, 1, v7
	v_add_nc_u32_e32 v8, 16, v8
	;; [unrolled: 1-line block ×3, first 2 shown]
	s_delay_alu instid0(VALU_DEP_3) | instskip(SKIP_4) | instid1(VALU_DEP_2)
	v_cmp_lt_u32_e32 vcc_lo, 33, v7
	s_or_b32 s3, vcc_lo, s3
	s_waitcnt vmcnt(0) lgkmcnt(0)
	v_mul_f64 v[10:11], v[21:22], v[17:18]
	v_mul_f64 v[17:18], v[19:20], v[17:18]
	v_fma_f64 v[10:11], v[19:20], v[15:16], -v[10:11]
	s_delay_alu instid0(VALU_DEP_2) | instskip(NEXT) | instid1(VALU_DEP_2)
	v_fma_f64 v[15:16], v[21:22], v[15:16], v[17:18]
	v_add_f64 v[3:4], v[3:4], v[10:11]
	s_delay_alu instid0(VALU_DEP_2)
	v_add_f64 v[1:2], v[1:2], v[15:16]
	s_and_not1_b32 exec_lo, exec_lo, s3
	s_cbranch_execnz .LBB114_153
; %bb.154:
	s_or_b32 exec_lo, exec_lo, s3
	v_mov_b32_e32 v7, 0
	ds_load_b128 v[7:10], v7 offset:560
	s_waitcnt lgkmcnt(0)
	v_mul_f64 v[11:12], v[1:2], v[9:10]
	v_mul_f64 v[15:16], v[3:4], v[9:10]
	s_delay_alu instid0(VALU_DEP_2) | instskip(NEXT) | instid1(VALU_DEP_2)
	v_fma_f64 v[9:10], v[3:4], v[7:8], -v[11:12]
	v_fma_f64 v[11:12], v[1:2], v[7:8], v[15:16]
	scratch_store_b128 off, v[9:12], off offset:560
.LBB114_155:
	s_or_b32 exec_lo, exec_lo, s2
	s_waitcnt_vscnt null, 0x0
	s_barrier
	buffer_gl0_inv
	scratch_load_b128 v[1:4], v203, off
	s_mov_b32 s2, exec_lo
	s_waitcnt vmcnt(0)
	ds_store_b128 v5, v[1:4]
	s_waitcnt lgkmcnt(0)
	s_barrier
	buffer_gl0_inv
	v_cmpx_gt_u32_e32 36, v148
	s_cbranch_execz .LBB114_159
; %bb.156:
	v_dual_mov_b32 v1, 0 :: v_dual_add_nc_u32 v8, 0x330, v13
	v_dual_mov_b32 v2, 0 :: v_dual_add_nc_u32 v7, -1, v148
	v_or_b32_e32 v9, 8, v14
	s_mov_b32 s3, 0
	s_delay_alu instid0(VALU_DEP_2)
	v_dual_mov_b32 v4, v2 :: v_dual_mov_b32 v3, v1
	.p2align	6
.LBB114_157:                            ; =>This Inner Loop Header: Depth=1
	scratch_load_b128 v[15:18], v9, off offset:-8
	ds_load_b128 v[19:22], v8
	v_add_nc_u32_e32 v7, 1, v7
	v_add_nc_u32_e32 v8, 16, v8
	;; [unrolled: 1-line block ×3, first 2 shown]
	s_delay_alu instid0(VALU_DEP_3) | instskip(SKIP_4) | instid1(VALU_DEP_2)
	v_cmp_lt_u32_e32 vcc_lo, 34, v7
	s_or_b32 s3, vcc_lo, s3
	s_waitcnt vmcnt(0) lgkmcnt(0)
	v_mul_f64 v[10:11], v[21:22], v[17:18]
	v_mul_f64 v[17:18], v[19:20], v[17:18]
	v_fma_f64 v[10:11], v[19:20], v[15:16], -v[10:11]
	s_delay_alu instid0(VALU_DEP_2) | instskip(NEXT) | instid1(VALU_DEP_2)
	v_fma_f64 v[15:16], v[21:22], v[15:16], v[17:18]
	v_add_f64 v[3:4], v[3:4], v[10:11]
	s_delay_alu instid0(VALU_DEP_2)
	v_add_f64 v[1:2], v[1:2], v[15:16]
	s_and_not1_b32 exec_lo, exec_lo, s3
	s_cbranch_execnz .LBB114_157
; %bb.158:
	s_or_b32 exec_lo, exec_lo, s3
	v_mov_b32_e32 v7, 0
	ds_load_b128 v[7:10], v7 offset:576
	s_waitcnt lgkmcnt(0)
	v_mul_f64 v[11:12], v[1:2], v[9:10]
	v_mul_f64 v[15:16], v[3:4], v[9:10]
	s_delay_alu instid0(VALU_DEP_2) | instskip(NEXT) | instid1(VALU_DEP_2)
	v_fma_f64 v[9:10], v[3:4], v[7:8], -v[11:12]
	v_fma_f64 v[11:12], v[1:2], v[7:8], v[15:16]
	scratch_store_b128 off, v[9:12], off offset:576
.LBB114_159:
	s_or_b32 exec_lo, exec_lo, s2
	s_waitcnt_vscnt null, 0x0
	s_barrier
	buffer_gl0_inv
	scratch_load_b128 v[1:4], v202, off
	s_mov_b32 s2, exec_lo
	s_waitcnt vmcnt(0)
	ds_store_b128 v5, v[1:4]
	s_waitcnt lgkmcnt(0)
	s_barrier
	buffer_gl0_inv
	v_cmpx_gt_u32_e32 37, v148
	s_cbranch_execz .LBB114_163
; %bb.160:
	v_dual_mov_b32 v1, 0 :: v_dual_add_nc_u32 v8, 0x330, v13
	v_dual_mov_b32 v2, 0 :: v_dual_add_nc_u32 v7, -1, v148
	v_or_b32_e32 v9, 8, v14
	s_mov_b32 s3, 0
	s_delay_alu instid0(VALU_DEP_2)
	v_dual_mov_b32 v4, v2 :: v_dual_mov_b32 v3, v1
	.p2align	6
.LBB114_161:                            ; =>This Inner Loop Header: Depth=1
	scratch_load_b128 v[15:18], v9, off offset:-8
	ds_load_b128 v[19:22], v8
	v_add_nc_u32_e32 v7, 1, v7
	v_add_nc_u32_e32 v8, 16, v8
	;; [unrolled: 1-line block ×3, first 2 shown]
	s_delay_alu instid0(VALU_DEP_3) | instskip(SKIP_4) | instid1(VALU_DEP_2)
	v_cmp_lt_u32_e32 vcc_lo, 35, v7
	s_or_b32 s3, vcc_lo, s3
	s_waitcnt vmcnt(0) lgkmcnt(0)
	v_mul_f64 v[10:11], v[21:22], v[17:18]
	v_mul_f64 v[17:18], v[19:20], v[17:18]
	v_fma_f64 v[10:11], v[19:20], v[15:16], -v[10:11]
	s_delay_alu instid0(VALU_DEP_2) | instskip(NEXT) | instid1(VALU_DEP_2)
	v_fma_f64 v[15:16], v[21:22], v[15:16], v[17:18]
	v_add_f64 v[3:4], v[3:4], v[10:11]
	s_delay_alu instid0(VALU_DEP_2)
	v_add_f64 v[1:2], v[1:2], v[15:16]
	s_and_not1_b32 exec_lo, exec_lo, s3
	s_cbranch_execnz .LBB114_161
; %bb.162:
	s_or_b32 exec_lo, exec_lo, s3
	v_mov_b32_e32 v7, 0
	ds_load_b128 v[7:10], v7 offset:592
	s_waitcnt lgkmcnt(0)
	v_mul_f64 v[11:12], v[1:2], v[9:10]
	v_mul_f64 v[15:16], v[3:4], v[9:10]
	s_delay_alu instid0(VALU_DEP_2) | instskip(NEXT) | instid1(VALU_DEP_2)
	v_fma_f64 v[9:10], v[3:4], v[7:8], -v[11:12]
	v_fma_f64 v[11:12], v[1:2], v[7:8], v[15:16]
	scratch_store_b128 off, v[9:12], off offset:592
.LBB114_163:
	s_or_b32 exec_lo, exec_lo, s2
	s_waitcnt_vscnt null, 0x0
	s_barrier
	buffer_gl0_inv
	scratch_load_b128 v[1:4], v201, off
	s_mov_b32 s2, exec_lo
	s_waitcnt vmcnt(0)
	ds_store_b128 v5, v[1:4]
	s_waitcnt lgkmcnt(0)
	s_barrier
	buffer_gl0_inv
	v_cmpx_gt_u32_e32 38, v148
	s_cbranch_execz .LBB114_167
; %bb.164:
	v_dual_mov_b32 v1, 0 :: v_dual_add_nc_u32 v8, 0x330, v13
	v_dual_mov_b32 v2, 0 :: v_dual_add_nc_u32 v7, -1, v148
	v_or_b32_e32 v9, 8, v14
	s_mov_b32 s3, 0
	s_delay_alu instid0(VALU_DEP_2)
	v_dual_mov_b32 v4, v2 :: v_dual_mov_b32 v3, v1
	.p2align	6
.LBB114_165:                            ; =>This Inner Loop Header: Depth=1
	scratch_load_b128 v[15:18], v9, off offset:-8
	ds_load_b128 v[19:22], v8
	v_add_nc_u32_e32 v7, 1, v7
	v_add_nc_u32_e32 v8, 16, v8
	;; [unrolled: 1-line block ×3, first 2 shown]
	s_delay_alu instid0(VALU_DEP_3) | instskip(SKIP_4) | instid1(VALU_DEP_2)
	v_cmp_lt_u32_e32 vcc_lo, 36, v7
	s_or_b32 s3, vcc_lo, s3
	s_waitcnt vmcnt(0) lgkmcnt(0)
	v_mul_f64 v[10:11], v[21:22], v[17:18]
	v_mul_f64 v[17:18], v[19:20], v[17:18]
	v_fma_f64 v[10:11], v[19:20], v[15:16], -v[10:11]
	s_delay_alu instid0(VALU_DEP_2) | instskip(NEXT) | instid1(VALU_DEP_2)
	v_fma_f64 v[15:16], v[21:22], v[15:16], v[17:18]
	v_add_f64 v[3:4], v[3:4], v[10:11]
	s_delay_alu instid0(VALU_DEP_2)
	v_add_f64 v[1:2], v[1:2], v[15:16]
	s_and_not1_b32 exec_lo, exec_lo, s3
	s_cbranch_execnz .LBB114_165
; %bb.166:
	s_or_b32 exec_lo, exec_lo, s3
	v_mov_b32_e32 v7, 0
	ds_load_b128 v[7:10], v7 offset:608
	s_waitcnt lgkmcnt(0)
	v_mul_f64 v[11:12], v[1:2], v[9:10]
	v_mul_f64 v[15:16], v[3:4], v[9:10]
	s_delay_alu instid0(VALU_DEP_2) | instskip(NEXT) | instid1(VALU_DEP_2)
	v_fma_f64 v[9:10], v[3:4], v[7:8], -v[11:12]
	v_fma_f64 v[11:12], v[1:2], v[7:8], v[15:16]
	scratch_store_b128 off, v[9:12], off offset:608
.LBB114_167:
	s_or_b32 exec_lo, exec_lo, s2
	s_waitcnt_vscnt null, 0x0
	s_barrier
	buffer_gl0_inv
	scratch_load_b128 v[1:4], v200, off
	s_mov_b32 s2, exec_lo
	s_waitcnt vmcnt(0)
	ds_store_b128 v5, v[1:4]
	s_waitcnt lgkmcnt(0)
	s_barrier
	buffer_gl0_inv
	v_cmpx_gt_u32_e32 39, v148
	s_cbranch_execz .LBB114_171
; %bb.168:
	v_dual_mov_b32 v1, 0 :: v_dual_add_nc_u32 v8, 0x330, v13
	v_dual_mov_b32 v2, 0 :: v_dual_add_nc_u32 v7, -1, v148
	v_or_b32_e32 v9, 8, v14
	s_mov_b32 s3, 0
	s_delay_alu instid0(VALU_DEP_2)
	v_dual_mov_b32 v4, v2 :: v_dual_mov_b32 v3, v1
	.p2align	6
.LBB114_169:                            ; =>This Inner Loop Header: Depth=1
	scratch_load_b128 v[15:18], v9, off offset:-8
	ds_load_b128 v[19:22], v8
	v_add_nc_u32_e32 v7, 1, v7
	v_add_nc_u32_e32 v8, 16, v8
	;; [unrolled: 1-line block ×3, first 2 shown]
	s_delay_alu instid0(VALU_DEP_3) | instskip(SKIP_4) | instid1(VALU_DEP_2)
	v_cmp_lt_u32_e32 vcc_lo, 37, v7
	s_or_b32 s3, vcc_lo, s3
	s_waitcnt vmcnt(0) lgkmcnt(0)
	v_mul_f64 v[10:11], v[21:22], v[17:18]
	v_mul_f64 v[17:18], v[19:20], v[17:18]
	v_fma_f64 v[10:11], v[19:20], v[15:16], -v[10:11]
	s_delay_alu instid0(VALU_DEP_2) | instskip(NEXT) | instid1(VALU_DEP_2)
	v_fma_f64 v[15:16], v[21:22], v[15:16], v[17:18]
	v_add_f64 v[3:4], v[3:4], v[10:11]
	s_delay_alu instid0(VALU_DEP_2)
	v_add_f64 v[1:2], v[1:2], v[15:16]
	s_and_not1_b32 exec_lo, exec_lo, s3
	s_cbranch_execnz .LBB114_169
; %bb.170:
	s_or_b32 exec_lo, exec_lo, s3
	v_mov_b32_e32 v7, 0
	ds_load_b128 v[7:10], v7 offset:624
	s_waitcnt lgkmcnt(0)
	v_mul_f64 v[11:12], v[1:2], v[9:10]
	v_mul_f64 v[15:16], v[3:4], v[9:10]
	s_delay_alu instid0(VALU_DEP_2) | instskip(NEXT) | instid1(VALU_DEP_2)
	v_fma_f64 v[9:10], v[3:4], v[7:8], -v[11:12]
	v_fma_f64 v[11:12], v[1:2], v[7:8], v[15:16]
	scratch_store_b128 off, v[9:12], off offset:624
.LBB114_171:
	s_or_b32 exec_lo, exec_lo, s2
	s_waitcnt_vscnt null, 0x0
	s_barrier
	buffer_gl0_inv
	scratch_load_b128 v[1:4], v175, off
	s_mov_b32 s2, exec_lo
	s_waitcnt vmcnt(0)
	ds_store_b128 v5, v[1:4]
	s_waitcnt lgkmcnt(0)
	s_barrier
	buffer_gl0_inv
	v_cmpx_gt_u32_e32 40, v148
	s_cbranch_execz .LBB114_175
; %bb.172:
	v_dual_mov_b32 v1, 0 :: v_dual_add_nc_u32 v8, 0x330, v13
	v_dual_mov_b32 v2, 0 :: v_dual_add_nc_u32 v7, -1, v148
	v_or_b32_e32 v9, 8, v14
	s_mov_b32 s3, 0
	s_delay_alu instid0(VALU_DEP_2)
	v_dual_mov_b32 v4, v2 :: v_dual_mov_b32 v3, v1
	.p2align	6
.LBB114_173:                            ; =>This Inner Loop Header: Depth=1
	scratch_load_b128 v[15:18], v9, off offset:-8
	ds_load_b128 v[19:22], v8
	v_add_nc_u32_e32 v7, 1, v7
	v_add_nc_u32_e32 v8, 16, v8
	;; [unrolled: 1-line block ×3, first 2 shown]
	s_delay_alu instid0(VALU_DEP_3) | instskip(SKIP_4) | instid1(VALU_DEP_2)
	v_cmp_lt_u32_e32 vcc_lo, 38, v7
	s_or_b32 s3, vcc_lo, s3
	s_waitcnt vmcnt(0) lgkmcnt(0)
	v_mul_f64 v[10:11], v[21:22], v[17:18]
	v_mul_f64 v[17:18], v[19:20], v[17:18]
	v_fma_f64 v[10:11], v[19:20], v[15:16], -v[10:11]
	s_delay_alu instid0(VALU_DEP_2) | instskip(NEXT) | instid1(VALU_DEP_2)
	v_fma_f64 v[15:16], v[21:22], v[15:16], v[17:18]
	v_add_f64 v[3:4], v[3:4], v[10:11]
	s_delay_alu instid0(VALU_DEP_2)
	v_add_f64 v[1:2], v[1:2], v[15:16]
	s_and_not1_b32 exec_lo, exec_lo, s3
	s_cbranch_execnz .LBB114_173
; %bb.174:
	s_or_b32 exec_lo, exec_lo, s3
	v_mov_b32_e32 v7, 0
	ds_load_b128 v[7:10], v7 offset:640
	s_waitcnt lgkmcnt(0)
	v_mul_f64 v[11:12], v[1:2], v[9:10]
	v_mul_f64 v[15:16], v[3:4], v[9:10]
	s_delay_alu instid0(VALU_DEP_2) | instskip(NEXT) | instid1(VALU_DEP_2)
	v_fma_f64 v[9:10], v[3:4], v[7:8], -v[11:12]
	v_fma_f64 v[11:12], v[1:2], v[7:8], v[15:16]
	scratch_store_b128 off, v[9:12], off offset:640
.LBB114_175:
	s_or_b32 exec_lo, exec_lo, s2
	s_waitcnt_vscnt null, 0x0
	s_barrier
	buffer_gl0_inv
	scratch_load_b128 v[1:4], v171, off
	s_mov_b32 s2, exec_lo
	s_waitcnt vmcnt(0)
	ds_store_b128 v5, v[1:4]
	s_waitcnt lgkmcnt(0)
	s_barrier
	buffer_gl0_inv
	v_cmpx_gt_u32_e32 41, v148
	s_cbranch_execz .LBB114_179
; %bb.176:
	v_dual_mov_b32 v1, 0 :: v_dual_add_nc_u32 v8, 0x330, v13
	v_dual_mov_b32 v2, 0 :: v_dual_add_nc_u32 v7, -1, v148
	v_or_b32_e32 v9, 8, v14
	s_mov_b32 s3, 0
	s_delay_alu instid0(VALU_DEP_2)
	v_dual_mov_b32 v4, v2 :: v_dual_mov_b32 v3, v1
	.p2align	6
.LBB114_177:                            ; =>This Inner Loop Header: Depth=1
	scratch_load_b128 v[15:18], v9, off offset:-8
	ds_load_b128 v[19:22], v8
	v_add_nc_u32_e32 v7, 1, v7
	v_add_nc_u32_e32 v8, 16, v8
	;; [unrolled: 1-line block ×3, first 2 shown]
	s_delay_alu instid0(VALU_DEP_3) | instskip(SKIP_4) | instid1(VALU_DEP_2)
	v_cmp_lt_u32_e32 vcc_lo, 39, v7
	s_or_b32 s3, vcc_lo, s3
	s_waitcnt vmcnt(0) lgkmcnt(0)
	v_mul_f64 v[10:11], v[21:22], v[17:18]
	v_mul_f64 v[17:18], v[19:20], v[17:18]
	v_fma_f64 v[10:11], v[19:20], v[15:16], -v[10:11]
	s_delay_alu instid0(VALU_DEP_2) | instskip(NEXT) | instid1(VALU_DEP_2)
	v_fma_f64 v[15:16], v[21:22], v[15:16], v[17:18]
	v_add_f64 v[3:4], v[3:4], v[10:11]
	s_delay_alu instid0(VALU_DEP_2)
	v_add_f64 v[1:2], v[1:2], v[15:16]
	s_and_not1_b32 exec_lo, exec_lo, s3
	s_cbranch_execnz .LBB114_177
; %bb.178:
	s_or_b32 exec_lo, exec_lo, s3
	v_mov_b32_e32 v7, 0
	ds_load_b128 v[7:10], v7 offset:656
	s_waitcnt lgkmcnt(0)
	v_mul_f64 v[11:12], v[1:2], v[9:10]
	v_mul_f64 v[15:16], v[3:4], v[9:10]
	s_delay_alu instid0(VALU_DEP_2) | instskip(NEXT) | instid1(VALU_DEP_2)
	v_fma_f64 v[9:10], v[3:4], v[7:8], -v[11:12]
	v_fma_f64 v[11:12], v[1:2], v[7:8], v[15:16]
	scratch_store_b128 off, v[9:12], off offset:656
.LBB114_179:
	s_or_b32 exec_lo, exec_lo, s2
	s_waitcnt_vscnt null, 0x0
	s_barrier
	buffer_gl0_inv
	scratch_load_b128 v[1:4], v170, off
	s_mov_b32 s2, exec_lo
	s_waitcnt vmcnt(0)
	ds_store_b128 v5, v[1:4]
	s_waitcnt lgkmcnt(0)
	s_barrier
	buffer_gl0_inv
	v_cmpx_gt_u32_e32 42, v148
	s_cbranch_execz .LBB114_183
; %bb.180:
	v_dual_mov_b32 v1, 0 :: v_dual_add_nc_u32 v8, 0x330, v13
	v_dual_mov_b32 v2, 0 :: v_dual_add_nc_u32 v7, -1, v148
	v_or_b32_e32 v9, 8, v14
	s_mov_b32 s3, 0
	s_delay_alu instid0(VALU_DEP_2)
	v_dual_mov_b32 v4, v2 :: v_dual_mov_b32 v3, v1
	.p2align	6
.LBB114_181:                            ; =>This Inner Loop Header: Depth=1
	scratch_load_b128 v[15:18], v9, off offset:-8
	ds_load_b128 v[19:22], v8
	v_add_nc_u32_e32 v7, 1, v7
	v_add_nc_u32_e32 v8, 16, v8
	v_add_nc_u32_e32 v9, 16, v9
	s_delay_alu instid0(VALU_DEP_3) | instskip(SKIP_4) | instid1(VALU_DEP_2)
	v_cmp_lt_u32_e32 vcc_lo, 40, v7
	s_or_b32 s3, vcc_lo, s3
	s_waitcnt vmcnt(0) lgkmcnt(0)
	v_mul_f64 v[10:11], v[21:22], v[17:18]
	v_mul_f64 v[17:18], v[19:20], v[17:18]
	v_fma_f64 v[10:11], v[19:20], v[15:16], -v[10:11]
	s_delay_alu instid0(VALU_DEP_2) | instskip(NEXT) | instid1(VALU_DEP_2)
	v_fma_f64 v[15:16], v[21:22], v[15:16], v[17:18]
	v_add_f64 v[3:4], v[3:4], v[10:11]
	s_delay_alu instid0(VALU_DEP_2)
	v_add_f64 v[1:2], v[1:2], v[15:16]
	s_and_not1_b32 exec_lo, exec_lo, s3
	s_cbranch_execnz .LBB114_181
; %bb.182:
	s_or_b32 exec_lo, exec_lo, s3
	v_mov_b32_e32 v7, 0
	ds_load_b128 v[7:10], v7 offset:672
	s_waitcnt lgkmcnt(0)
	v_mul_f64 v[11:12], v[1:2], v[9:10]
	v_mul_f64 v[15:16], v[3:4], v[9:10]
	s_delay_alu instid0(VALU_DEP_2) | instskip(NEXT) | instid1(VALU_DEP_2)
	v_fma_f64 v[9:10], v[3:4], v[7:8], -v[11:12]
	v_fma_f64 v[11:12], v[1:2], v[7:8], v[15:16]
	scratch_store_b128 off, v[9:12], off offset:672
.LBB114_183:
	s_or_b32 exec_lo, exec_lo, s2
	s_waitcnt_vscnt null, 0x0
	s_barrier
	buffer_gl0_inv
	scratch_load_b128 v[1:4], v155, off
	s_mov_b32 s2, exec_lo
	s_waitcnt vmcnt(0)
	ds_store_b128 v5, v[1:4]
	s_waitcnt lgkmcnt(0)
	s_barrier
	buffer_gl0_inv
	v_cmpx_gt_u32_e32 43, v148
	s_cbranch_execz .LBB114_187
; %bb.184:
	v_dual_mov_b32 v1, 0 :: v_dual_add_nc_u32 v8, 0x330, v13
	v_dual_mov_b32 v2, 0 :: v_dual_add_nc_u32 v7, -1, v148
	v_or_b32_e32 v9, 8, v14
	s_mov_b32 s3, 0
	s_delay_alu instid0(VALU_DEP_2)
	v_dual_mov_b32 v4, v2 :: v_dual_mov_b32 v3, v1
	.p2align	6
.LBB114_185:                            ; =>This Inner Loop Header: Depth=1
	scratch_load_b128 v[15:18], v9, off offset:-8
	ds_load_b128 v[19:22], v8
	v_add_nc_u32_e32 v7, 1, v7
	v_add_nc_u32_e32 v8, 16, v8
	;; [unrolled: 1-line block ×3, first 2 shown]
	s_delay_alu instid0(VALU_DEP_3) | instskip(SKIP_4) | instid1(VALU_DEP_2)
	v_cmp_lt_u32_e32 vcc_lo, 41, v7
	s_or_b32 s3, vcc_lo, s3
	s_waitcnt vmcnt(0) lgkmcnt(0)
	v_mul_f64 v[10:11], v[21:22], v[17:18]
	v_mul_f64 v[17:18], v[19:20], v[17:18]
	v_fma_f64 v[10:11], v[19:20], v[15:16], -v[10:11]
	s_delay_alu instid0(VALU_DEP_2) | instskip(NEXT) | instid1(VALU_DEP_2)
	v_fma_f64 v[15:16], v[21:22], v[15:16], v[17:18]
	v_add_f64 v[3:4], v[3:4], v[10:11]
	s_delay_alu instid0(VALU_DEP_2)
	v_add_f64 v[1:2], v[1:2], v[15:16]
	s_and_not1_b32 exec_lo, exec_lo, s3
	s_cbranch_execnz .LBB114_185
; %bb.186:
	s_or_b32 exec_lo, exec_lo, s3
	v_mov_b32_e32 v7, 0
	ds_load_b128 v[7:10], v7 offset:688
	s_waitcnt lgkmcnt(0)
	v_mul_f64 v[11:12], v[1:2], v[9:10]
	v_mul_f64 v[15:16], v[3:4], v[9:10]
	s_delay_alu instid0(VALU_DEP_2) | instskip(NEXT) | instid1(VALU_DEP_2)
	v_fma_f64 v[9:10], v[3:4], v[7:8], -v[11:12]
	v_fma_f64 v[11:12], v[1:2], v[7:8], v[15:16]
	scratch_store_b128 off, v[9:12], off offset:688
.LBB114_187:
	s_or_b32 exec_lo, exec_lo, s2
	s_waitcnt_vscnt null, 0x0
	s_barrier
	buffer_gl0_inv
	scratch_load_b128 v[1:4], v153, off
	s_mov_b32 s2, exec_lo
	s_waitcnt vmcnt(0)
	ds_store_b128 v5, v[1:4]
	s_waitcnt lgkmcnt(0)
	s_barrier
	buffer_gl0_inv
	v_cmpx_gt_u32_e32 44, v148
	s_cbranch_execz .LBB114_191
; %bb.188:
	v_dual_mov_b32 v1, 0 :: v_dual_add_nc_u32 v8, 0x330, v13
	v_dual_mov_b32 v2, 0 :: v_dual_add_nc_u32 v7, -1, v148
	v_or_b32_e32 v9, 8, v14
	s_mov_b32 s3, 0
	s_delay_alu instid0(VALU_DEP_2)
	v_dual_mov_b32 v4, v2 :: v_dual_mov_b32 v3, v1
	.p2align	6
.LBB114_189:                            ; =>This Inner Loop Header: Depth=1
	scratch_load_b128 v[15:18], v9, off offset:-8
	ds_load_b128 v[19:22], v8
	v_add_nc_u32_e32 v7, 1, v7
	v_add_nc_u32_e32 v8, 16, v8
	;; [unrolled: 1-line block ×3, first 2 shown]
	s_delay_alu instid0(VALU_DEP_3) | instskip(SKIP_4) | instid1(VALU_DEP_2)
	v_cmp_lt_u32_e32 vcc_lo, 42, v7
	s_or_b32 s3, vcc_lo, s3
	s_waitcnt vmcnt(0) lgkmcnt(0)
	v_mul_f64 v[10:11], v[21:22], v[17:18]
	v_mul_f64 v[17:18], v[19:20], v[17:18]
	v_fma_f64 v[10:11], v[19:20], v[15:16], -v[10:11]
	s_delay_alu instid0(VALU_DEP_2) | instskip(NEXT) | instid1(VALU_DEP_2)
	v_fma_f64 v[15:16], v[21:22], v[15:16], v[17:18]
	v_add_f64 v[3:4], v[3:4], v[10:11]
	s_delay_alu instid0(VALU_DEP_2)
	v_add_f64 v[1:2], v[1:2], v[15:16]
	s_and_not1_b32 exec_lo, exec_lo, s3
	s_cbranch_execnz .LBB114_189
; %bb.190:
	s_or_b32 exec_lo, exec_lo, s3
	v_mov_b32_e32 v7, 0
	ds_load_b128 v[7:10], v7 offset:704
	s_waitcnt lgkmcnt(0)
	v_mul_f64 v[11:12], v[1:2], v[9:10]
	v_mul_f64 v[15:16], v[3:4], v[9:10]
	s_delay_alu instid0(VALU_DEP_2) | instskip(NEXT) | instid1(VALU_DEP_2)
	v_fma_f64 v[9:10], v[3:4], v[7:8], -v[11:12]
	v_fma_f64 v[11:12], v[1:2], v[7:8], v[15:16]
	scratch_store_b128 off, v[9:12], off offset:704
.LBB114_191:
	s_or_b32 exec_lo, exec_lo, s2
	s_waitcnt_vscnt null, 0x0
	s_barrier
	buffer_gl0_inv
	scratch_load_b128 v[1:4], v151, off
	s_mov_b32 s2, exec_lo
	s_waitcnt vmcnt(0)
	ds_store_b128 v5, v[1:4]
	s_waitcnt lgkmcnt(0)
	s_barrier
	buffer_gl0_inv
	v_cmpx_gt_u32_e32 45, v148
	s_cbranch_execz .LBB114_195
; %bb.192:
	v_dual_mov_b32 v1, 0 :: v_dual_add_nc_u32 v8, 0x330, v13
	v_dual_mov_b32 v2, 0 :: v_dual_add_nc_u32 v7, -1, v148
	v_or_b32_e32 v9, 8, v14
	s_mov_b32 s3, 0
	s_delay_alu instid0(VALU_DEP_2)
	v_dual_mov_b32 v4, v2 :: v_dual_mov_b32 v3, v1
	.p2align	6
.LBB114_193:                            ; =>This Inner Loop Header: Depth=1
	scratch_load_b128 v[15:18], v9, off offset:-8
	ds_load_b128 v[19:22], v8
	v_add_nc_u32_e32 v7, 1, v7
	v_add_nc_u32_e32 v8, 16, v8
	;; [unrolled: 1-line block ×3, first 2 shown]
	s_delay_alu instid0(VALU_DEP_3) | instskip(SKIP_4) | instid1(VALU_DEP_2)
	v_cmp_lt_u32_e32 vcc_lo, 43, v7
	s_or_b32 s3, vcc_lo, s3
	s_waitcnt vmcnt(0) lgkmcnt(0)
	v_mul_f64 v[10:11], v[21:22], v[17:18]
	v_mul_f64 v[17:18], v[19:20], v[17:18]
	v_fma_f64 v[10:11], v[19:20], v[15:16], -v[10:11]
	s_delay_alu instid0(VALU_DEP_2) | instskip(NEXT) | instid1(VALU_DEP_2)
	v_fma_f64 v[15:16], v[21:22], v[15:16], v[17:18]
	v_add_f64 v[3:4], v[3:4], v[10:11]
	s_delay_alu instid0(VALU_DEP_2)
	v_add_f64 v[1:2], v[1:2], v[15:16]
	s_and_not1_b32 exec_lo, exec_lo, s3
	s_cbranch_execnz .LBB114_193
; %bb.194:
	s_or_b32 exec_lo, exec_lo, s3
	v_mov_b32_e32 v7, 0
	ds_load_b128 v[7:10], v7 offset:720
	s_waitcnt lgkmcnt(0)
	v_mul_f64 v[11:12], v[1:2], v[9:10]
	v_mul_f64 v[15:16], v[3:4], v[9:10]
	s_delay_alu instid0(VALU_DEP_2) | instskip(NEXT) | instid1(VALU_DEP_2)
	v_fma_f64 v[9:10], v[3:4], v[7:8], -v[11:12]
	v_fma_f64 v[11:12], v[1:2], v[7:8], v[15:16]
	scratch_store_b128 off, v[9:12], off offset:720
.LBB114_195:
	s_or_b32 exec_lo, exec_lo, s2
	s_waitcnt_vscnt null, 0x0
	s_barrier
	buffer_gl0_inv
	scratch_load_b128 v[1:4], v150, off
	s_mov_b32 s2, exec_lo
	s_waitcnt vmcnt(0)
	ds_store_b128 v5, v[1:4]
	s_waitcnt lgkmcnt(0)
	s_barrier
	buffer_gl0_inv
	v_cmpx_gt_u32_e32 46, v148
	s_cbranch_execz .LBB114_199
; %bb.196:
	v_dual_mov_b32 v1, 0 :: v_dual_add_nc_u32 v8, 0x330, v13
	v_dual_mov_b32 v2, 0 :: v_dual_add_nc_u32 v7, -1, v148
	v_or_b32_e32 v9, 8, v14
	s_mov_b32 s3, 0
	s_delay_alu instid0(VALU_DEP_2)
	v_dual_mov_b32 v4, v2 :: v_dual_mov_b32 v3, v1
	.p2align	6
.LBB114_197:                            ; =>This Inner Loop Header: Depth=1
	scratch_load_b128 v[15:18], v9, off offset:-8
	ds_load_b128 v[19:22], v8
	v_add_nc_u32_e32 v7, 1, v7
	v_add_nc_u32_e32 v8, 16, v8
	;; [unrolled: 1-line block ×3, first 2 shown]
	s_delay_alu instid0(VALU_DEP_3) | instskip(SKIP_4) | instid1(VALU_DEP_2)
	v_cmp_lt_u32_e32 vcc_lo, 44, v7
	s_or_b32 s3, vcc_lo, s3
	s_waitcnt vmcnt(0) lgkmcnt(0)
	v_mul_f64 v[10:11], v[21:22], v[17:18]
	v_mul_f64 v[17:18], v[19:20], v[17:18]
	v_fma_f64 v[10:11], v[19:20], v[15:16], -v[10:11]
	s_delay_alu instid0(VALU_DEP_2) | instskip(NEXT) | instid1(VALU_DEP_2)
	v_fma_f64 v[15:16], v[21:22], v[15:16], v[17:18]
	v_add_f64 v[3:4], v[3:4], v[10:11]
	s_delay_alu instid0(VALU_DEP_2)
	v_add_f64 v[1:2], v[1:2], v[15:16]
	s_and_not1_b32 exec_lo, exec_lo, s3
	s_cbranch_execnz .LBB114_197
; %bb.198:
	s_or_b32 exec_lo, exec_lo, s3
	v_mov_b32_e32 v7, 0
	ds_load_b128 v[7:10], v7 offset:736
	s_waitcnt lgkmcnt(0)
	v_mul_f64 v[11:12], v[1:2], v[9:10]
	v_mul_f64 v[15:16], v[3:4], v[9:10]
	s_delay_alu instid0(VALU_DEP_2) | instskip(NEXT) | instid1(VALU_DEP_2)
	v_fma_f64 v[9:10], v[3:4], v[7:8], -v[11:12]
	v_fma_f64 v[11:12], v[1:2], v[7:8], v[15:16]
	scratch_store_b128 off, v[9:12], off offset:736
.LBB114_199:
	s_or_b32 exec_lo, exec_lo, s2
	s_waitcnt_vscnt null, 0x0
	s_barrier
	buffer_gl0_inv
	scratch_load_b128 v[1:4], v149, off
	s_mov_b32 s2, exec_lo
	s_waitcnt vmcnt(0)
	ds_store_b128 v5, v[1:4]
	s_waitcnt lgkmcnt(0)
	s_barrier
	buffer_gl0_inv
	v_cmpx_gt_u32_e32 47, v148
	s_cbranch_execz .LBB114_203
; %bb.200:
	v_dual_mov_b32 v1, 0 :: v_dual_add_nc_u32 v8, 0x330, v13
	v_dual_mov_b32 v2, 0 :: v_dual_add_nc_u32 v7, -1, v148
	v_or_b32_e32 v9, 8, v14
	s_mov_b32 s3, 0
	s_delay_alu instid0(VALU_DEP_2)
	v_dual_mov_b32 v4, v2 :: v_dual_mov_b32 v3, v1
	.p2align	6
.LBB114_201:                            ; =>This Inner Loop Header: Depth=1
	scratch_load_b128 v[15:18], v9, off offset:-8
	ds_load_b128 v[19:22], v8
	v_add_nc_u32_e32 v7, 1, v7
	v_add_nc_u32_e32 v8, 16, v8
	;; [unrolled: 1-line block ×3, first 2 shown]
	s_delay_alu instid0(VALU_DEP_3) | instskip(SKIP_4) | instid1(VALU_DEP_2)
	v_cmp_lt_u32_e32 vcc_lo, 45, v7
	s_or_b32 s3, vcc_lo, s3
	s_waitcnt vmcnt(0) lgkmcnt(0)
	v_mul_f64 v[10:11], v[21:22], v[17:18]
	v_mul_f64 v[17:18], v[19:20], v[17:18]
	v_fma_f64 v[10:11], v[19:20], v[15:16], -v[10:11]
	s_delay_alu instid0(VALU_DEP_2) | instskip(NEXT) | instid1(VALU_DEP_2)
	v_fma_f64 v[15:16], v[21:22], v[15:16], v[17:18]
	v_add_f64 v[3:4], v[3:4], v[10:11]
	s_delay_alu instid0(VALU_DEP_2)
	v_add_f64 v[1:2], v[1:2], v[15:16]
	s_and_not1_b32 exec_lo, exec_lo, s3
	s_cbranch_execnz .LBB114_201
; %bb.202:
	s_or_b32 exec_lo, exec_lo, s3
	v_mov_b32_e32 v7, 0
	ds_load_b128 v[7:10], v7 offset:752
	s_waitcnt lgkmcnt(0)
	v_mul_f64 v[11:12], v[1:2], v[9:10]
	v_mul_f64 v[15:16], v[3:4], v[9:10]
	s_delay_alu instid0(VALU_DEP_2) | instskip(NEXT) | instid1(VALU_DEP_2)
	v_fma_f64 v[9:10], v[3:4], v[7:8], -v[11:12]
	v_fma_f64 v[11:12], v[1:2], v[7:8], v[15:16]
	scratch_store_b128 off, v[9:12], off offset:752
.LBB114_203:
	s_or_b32 exec_lo, exec_lo, s2
	s_waitcnt_vscnt null, 0x0
	s_barrier
	buffer_gl0_inv
	scratch_load_b128 v[1:4], v156, off
	s_mov_b32 s2, exec_lo
	s_waitcnt vmcnt(0)
	ds_store_b128 v5, v[1:4]
	s_waitcnt lgkmcnt(0)
	s_barrier
	buffer_gl0_inv
	v_cmpx_gt_u32_e32 48, v148
	s_cbranch_execz .LBB114_207
; %bb.204:
	v_dual_mov_b32 v1, 0 :: v_dual_add_nc_u32 v8, 0x330, v13
	v_dual_mov_b32 v2, 0 :: v_dual_add_nc_u32 v7, -1, v148
	v_or_b32_e32 v9, 8, v14
	s_mov_b32 s3, 0
	s_delay_alu instid0(VALU_DEP_2)
	v_dual_mov_b32 v4, v2 :: v_dual_mov_b32 v3, v1
	.p2align	6
.LBB114_205:                            ; =>This Inner Loop Header: Depth=1
	scratch_load_b128 v[15:18], v9, off offset:-8
	ds_load_b128 v[19:22], v8
	v_add_nc_u32_e32 v7, 1, v7
	v_add_nc_u32_e32 v8, 16, v8
	;; [unrolled: 1-line block ×3, first 2 shown]
	s_delay_alu instid0(VALU_DEP_3) | instskip(SKIP_4) | instid1(VALU_DEP_2)
	v_cmp_lt_u32_e32 vcc_lo, 46, v7
	s_or_b32 s3, vcc_lo, s3
	s_waitcnt vmcnt(0) lgkmcnt(0)
	v_mul_f64 v[10:11], v[21:22], v[17:18]
	v_mul_f64 v[17:18], v[19:20], v[17:18]
	v_fma_f64 v[10:11], v[19:20], v[15:16], -v[10:11]
	s_delay_alu instid0(VALU_DEP_2) | instskip(NEXT) | instid1(VALU_DEP_2)
	v_fma_f64 v[15:16], v[21:22], v[15:16], v[17:18]
	v_add_f64 v[3:4], v[3:4], v[10:11]
	s_delay_alu instid0(VALU_DEP_2)
	v_add_f64 v[1:2], v[1:2], v[15:16]
	s_and_not1_b32 exec_lo, exec_lo, s3
	s_cbranch_execnz .LBB114_205
; %bb.206:
	s_or_b32 exec_lo, exec_lo, s3
	v_mov_b32_e32 v7, 0
	ds_load_b128 v[7:10], v7 offset:768
	s_waitcnt lgkmcnt(0)
	v_mul_f64 v[11:12], v[1:2], v[9:10]
	v_mul_f64 v[15:16], v[3:4], v[9:10]
	s_delay_alu instid0(VALU_DEP_2) | instskip(NEXT) | instid1(VALU_DEP_2)
	v_fma_f64 v[9:10], v[3:4], v[7:8], -v[11:12]
	v_fma_f64 v[11:12], v[1:2], v[7:8], v[15:16]
	scratch_store_b128 off, v[9:12], off offset:768
.LBB114_207:
	s_or_b32 exec_lo, exec_lo, s2
	s_waitcnt_vscnt null, 0x0
	s_barrier
	buffer_gl0_inv
	scratch_load_b128 v[1:4], v154, off
	s_mov_b32 s2, exec_lo
	s_waitcnt vmcnt(0)
	ds_store_b128 v5, v[1:4]
	s_waitcnt lgkmcnt(0)
	s_barrier
	buffer_gl0_inv
	v_cmpx_gt_u32_e32 49, v148
	s_cbranch_execz .LBB114_211
; %bb.208:
	v_dual_mov_b32 v1, 0 :: v_dual_add_nc_u32 v8, 0x330, v13
	v_dual_mov_b32 v2, 0 :: v_dual_add_nc_u32 v7, -1, v148
	v_or_b32_e32 v9, 8, v14
	s_mov_b32 s3, 0
	s_delay_alu instid0(VALU_DEP_2)
	v_dual_mov_b32 v4, v2 :: v_dual_mov_b32 v3, v1
	.p2align	6
.LBB114_209:                            ; =>This Inner Loop Header: Depth=1
	scratch_load_b128 v[10:13], v9, off offset:-8
	ds_load_b128 v[15:18], v8
	v_add_nc_u32_e32 v7, 1, v7
	v_add_nc_u32_e32 v8, 16, v8
	v_add_nc_u32_e32 v9, 16, v9
	s_delay_alu instid0(VALU_DEP_3) | instskip(SKIP_4) | instid1(VALU_DEP_2)
	v_cmp_lt_u32_e32 vcc_lo, 47, v7
	s_or_b32 s3, vcc_lo, s3
	s_waitcnt vmcnt(0) lgkmcnt(0)
	v_mul_f64 v[19:20], v[17:18], v[12:13]
	v_mul_f64 v[12:13], v[15:16], v[12:13]
	v_fma_f64 v[15:16], v[15:16], v[10:11], -v[19:20]
	s_delay_alu instid0(VALU_DEP_2) | instskip(NEXT) | instid1(VALU_DEP_2)
	v_fma_f64 v[10:11], v[17:18], v[10:11], v[12:13]
	v_add_f64 v[3:4], v[3:4], v[15:16]
	s_delay_alu instid0(VALU_DEP_2)
	v_add_f64 v[1:2], v[1:2], v[10:11]
	s_and_not1_b32 exec_lo, exec_lo, s3
	s_cbranch_execnz .LBB114_209
; %bb.210:
	s_or_b32 exec_lo, exec_lo, s3
	v_mov_b32_e32 v7, 0
	ds_load_b128 v[7:10], v7 offset:784
	s_waitcnt lgkmcnt(0)
	v_mul_f64 v[11:12], v[1:2], v[9:10]
	v_mul_f64 v[15:16], v[3:4], v[9:10]
	s_delay_alu instid0(VALU_DEP_2) | instskip(NEXT) | instid1(VALU_DEP_2)
	v_fma_f64 v[9:10], v[3:4], v[7:8], -v[11:12]
	v_fma_f64 v[11:12], v[1:2], v[7:8], v[15:16]
	scratch_store_b128 off, v[9:12], off offset:784
.LBB114_211:
	s_or_b32 exec_lo, exec_lo, s2
	s_waitcnt_vscnt null, 0x0
	s_barrier
	buffer_gl0_inv
	scratch_load_b128 v[1:4], v152, off
	s_mov_b32 s2, exec_lo
	s_waitcnt vmcnt(0)
	ds_store_b128 v5, v[1:4]
	s_waitcnt lgkmcnt(0)
	s_barrier
	buffer_gl0_inv
	v_cmpx_ne_u32_e32 50, v148
	s_cbranch_execz .LBB114_215
; %bb.212:
	v_mov_b32_e32 v1, 0
	v_mov_b32_e32 v2, 0
	v_or_b32_e32 v7, 8, v14
	s_mov_b32 s3, 0
	s_delay_alu instid0(VALU_DEP_2)
	v_dual_mov_b32 v4, v2 :: v_dual_mov_b32 v3, v1
	.p2align	6
.LBB114_213:                            ; =>This Inner Loop Header: Depth=1
	scratch_load_b128 v[8:11], v7, off offset:-8
	ds_load_b128 v[12:15], v5
	v_add_nc_u32_e32 v6, 1, v6
	v_add_nc_u32_e32 v5, 16, v5
	;; [unrolled: 1-line block ×3, first 2 shown]
	s_delay_alu instid0(VALU_DEP_3) | instskip(SKIP_4) | instid1(VALU_DEP_2)
	v_cmp_lt_u32_e32 vcc_lo, 48, v6
	s_or_b32 s3, vcc_lo, s3
	s_waitcnt vmcnt(0) lgkmcnt(0)
	v_mul_f64 v[16:17], v[14:15], v[10:11]
	v_mul_f64 v[10:11], v[12:13], v[10:11]
	v_fma_f64 v[12:13], v[12:13], v[8:9], -v[16:17]
	s_delay_alu instid0(VALU_DEP_2) | instskip(NEXT) | instid1(VALU_DEP_2)
	v_fma_f64 v[8:9], v[14:15], v[8:9], v[10:11]
	v_add_f64 v[3:4], v[3:4], v[12:13]
	s_delay_alu instid0(VALU_DEP_2)
	v_add_f64 v[1:2], v[1:2], v[8:9]
	s_and_not1_b32 exec_lo, exec_lo, s3
	s_cbranch_execnz .LBB114_213
; %bb.214:
	s_or_b32 exec_lo, exec_lo, s3
	v_mov_b32_e32 v5, 0
	ds_load_b128 v[5:8], v5 offset:800
	s_waitcnt lgkmcnt(0)
	v_mul_f64 v[9:10], v[1:2], v[7:8]
	v_mul_f64 v[7:8], v[3:4], v[7:8]
	s_delay_alu instid0(VALU_DEP_2) | instskip(NEXT) | instid1(VALU_DEP_2)
	v_fma_f64 v[3:4], v[3:4], v[5:6], -v[9:10]
	v_fma_f64 v[5:6], v[1:2], v[5:6], v[7:8]
	scratch_store_b128 off, v[3:6], off offset:800
.LBB114_215:
	s_or_b32 exec_lo, exec_lo, s2
	s_mov_b32 s3, -1
	s_waitcnt_vscnt null, 0x0
	s_barrier
	buffer_gl0_inv
.LBB114_216:
	s_and_b32 vcc_lo, exec_lo, s3
	s_cbranch_vccz .LBB114_218
; %bb.217:
	s_lshl_b64 s[2:3], s[10:11], 2
	v_mov_b32_e32 v1, 0
	s_add_u32 s2, s6, s2
	s_addc_u32 s3, s7, s3
	global_load_b32 v1, v1, s[2:3]
	s_waitcnt vmcnt(0)
	v_cmp_ne_u32_e32 vcc_lo, 0, v1
	s_cbranch_vccz .LBB114_219
.LBB114_218:
	s_endpgm
.LBB114_219:
	v_lshl_add_u32 v199, v148, 4, 0x330
	s_mov_b32 s2, exec_lo
	v_cmpx_eq_u32_e32 50, v148
	s_cbranch_execz .LBB114_221
; %bb.220:
	scratch_load_b128 v[1:4], v154, off
	v_mov_b32_e32 v5, 0
	s_delay_alu instid0(VALU_DEP_1)
	v_mov_b32_e32 v6, v5
	v_mov_b32_e32 v7, v5
	;; [unrolled: 1-line block ×3, first 2 shown]
	scratch_store_b128 off, v[5:8], off offset:784
	s_waitcnt vmcnt(0)
	ds_store_b128 v199, v[1:4]
.LBB114_221:
	s_or_b32 exec_lo, exec_lo, s2
	s_waitcnt lgkmcnt(0)
	s_waitcnt_vscnt null, 0x0
	s_barrier
	buffer_gl0_inv
	s_clause 0x1
	scratch_load_b128 v[2:5], off, off offset:800
	scratch_load_b128 v[6:9], off, off offset:784
	v_mov_b32_e32 v1, 0
	s_mov_b32 s2, exec_lo
	ds_load_b128 v[10:13], v1 offset:1616
	s_waitcnt vmcnt(1) lgkmcnt(0)
	v_mul_f64 v[14:15], v[12:13], v[4:5]
	v_mul_f64 v[4:5], v[10:11], v[4:5]
	s_delay_alu instid0(VALU_DEP_2) | instskip(NEXT) | instid1(VALU_DEP_2)
	v_fma_f64 v[10:11], v[10:11], v[2:3], -v[14:15]
	v_fma_f64 v[2:3], v[12:13], v[2:3], v[4:5]
	s_delay_alu instid0(VALU_DEP_2) | instskip(NEXT) | instid1(VALU_DEP_2)
	v_add_f64 v[4:5], v[10:11], 0
	v_add_f64 v[10:11], v[2:3], 0
	s_waitcnt vmcnt(0)
	s_delay_alu instid0(VALU_DEP_2) | instskip(NEXT) | instid1(VALU_DEP_2)
	v_add_f64 v[2:3], v[6:7], -v[4:5]
	v_add_f64 v[4:5], v[8:9], -v[10:11]
	scratch_store_b128 off, v[2:5], off offset:784
	v_cmpx_lt_u32_e32 48, v148
	s_cbranch_execz .LBB114_223
; %bb.222:
	scratch_load_b128 v[5:8], v156, off
	v_mov_b32_e32 v2, v1
	v_mov_b32_e32 v3, v1
	;; [unrolled: 1-line block ×3, first 2 shown]
	scratch_store_b128 off, v[1:4], off offset:768
	s_waitcnt vmcnt(0)
	ds_store_b128 v199, v[5:8]
.LBB114_223:
	s_or_b32 exec_lo, exec_lo, s2
	s_waitcnt lgkmcnt(0)
	s_waitcnt_vscnt null, 0x0
	s_barrier
	buffer_gl0_inv
	s_clause 0x2
	scratch_load_b128 v[2:5], off, off offset:784
	scratch_load_b128 v[6:9], off, off offset:800
	;; [unrolled: 1-line block ×3, first 2 shown]
	ds_load_b128 v[14:17], v1 offset:1600
	ds_load_b128 v[18:21], v1 offset:1616
	s_mov_b32 s2, exec_lo
	s_waitcnt vmcnt(2) lgkmcnt(1)
	v_mul_f64 v[22:23], v[16:17], v[4:5]
	v_mul_f64 v[4:5], v[14:15], v[4:5]
	s_waitcnt vmcnt(1) lgkmcnt(0)
	v_mul_f64 v[24:25], v[18:19], v[8:9]
	v_mul_f64 v[8:9], v[20:21], v[8:9]
	s_delay_alu instid0(VALU_DEP_4) | instskip(NEXT) | instid1(VALU_DEP_4)
	v_fma_f64 v[14:15], v[14:15], v[2:3], -v[22:23]
	v_fma_f64 v[1:2], v[16:17], v[2:3], v[4:5]
	s_delay_alu instid0(VALU_DEP_4) | instskip(NEXT) | instid1(VALU_DEP_4)
	v_fma_f64 v[3:4], v[20:21], v[6:7], v[24:25]
	v_fma_f64 v[5:6], v[18:19], v[6:7], -v[8:9]
	s_delay_alu instid0(VALU_DEP_4) | instskip(NEXT) | instid1(VALU_DEP_4)
	v_add_f64 v[7:8], v[14:15], 0
	v_add_f64 v[1:2], v[1:2], 0
	s_delay_alu instid0(VALU_DEP_2) | instskip(NEXT) | instid1(VALU_DEP_2)
	v_add_f64 v[5:6], v[7:8], v[5:6]
	v_add_f64 v[3:4], v[1:2], v[3:4]
	s_waitcnt vmcnt(0)
	s_delay_alu instid0(VALU_DEP_2) | instskip(NEXT) | instid1(VALU_DEP_2)
	v_add_f64 v[1:2], v[10:11], -v[5:6]
	v_add_f64 v[3:4], v[12:13], -v[3:4]
	scratch_store_b128 off, v[1:4], off offset:768
	v_cmpx_lt_u32_e32 47, v148
	s_cbranch_execz .LBB114_225
; %bb.224:
	scratch_load_b128 v[1:4], v149, off
	v_mov_b32_e32 v5, 0
	s_delay_alu instid0(VALU_DEP_1)
	v_mov_b32_e32 v6, v5
	v_mov_b32_e32 v7, v5
	;; [unrolled: 1-line block ×3, first 2 shown]
	scratch_store_b128 off, v[5:8], off offset:752
	s_waitcnt vmcnt(0)
	ds_store_b128 v199, v[1:4]
.LBB114_225:
	s_or_b32 exec_lo, exec_lo, s2
	s_waitcnt lgkmcnt(0)
	s_waitcnt_vscnt null, 0x0
	s_barrier
	buffer_gl0_inv
	s_clause 0x3
	scratch_load_b128 v[2:5], off, off offset:768
	scratch_load_b128 v[6:9], off, off offset:784
	scratch_load_b128 v[10:13], off, off offset:800
	scratch_load_b128 v[14:17], off, off offset:752
	v_mov_b32_e32 v1, 0
	ds_load_b128 v[18:21], v1 offset:1584
	ds_load_b128 v[22:25], v1 offset:1600
	s_mov_b32 s2, exec_lo
	s_waitcnt vmcnt(3) lgkmcnt(1)
	v_mul_f64 v[26:27], v[20:21], v[4:5]
	v_mul_f64 v[4:5], v[18:19], v[4:5]
	s_waitcnt vmcnt(2) lgkmcnt(0)
	v_mul_f64 v[28:29], v[22:23], v[8:9]
	v_mul_f64 v[8:9], v[24:25], v[8:9]
	s_delay_alu instid0(VALU_DEP_4) | instskip(NEXT) | instid1(VALU_DEP_4)
	v_fma_f64 v[18:19], v[18:19], v[2:3], -v[26:27]
	v_fma_f64 v[20:21], v[20:21], v[2:3], v[4:5]
	ds_load_b128 v[2:5], v1 offset:1616
	v_fma_f64 v[24:25], v[24:25], v[6:7], v[28:29]
	v_fma_f64 v[6:7], v[22:23], v[6:7], -v[8:9]
	s_waitcnt vmcnt(1) lgkmcnt(0)
	v_mul_f64 v[26:27], v[2:3], v[12:13]
	v_mul_f64 v[12:13], v[4:5], v[12:13]
	v_add_f64 v[8:9], v[18:19], 0
	v_add_f64 v[18:19], v[20:21], 0
	s_delay_alu instid0(VALU_DEP_4) | instskip(NEXT) | instid1(VALU_DEP_4)
	v_fma_f64 v[4:5], v[4:5], v[10:11], v[26:27]
	v_fma_f64 v[2:3], v[2:3], v[10:11], -v[12:13]
	s_delay_alu instid0(VALU_DEP_4) | instskip(NEXT) | instid1(VALU_DEP_4)
	v_add_f64 v[6:7], v[8:9], v[6:7]
	v_add_f64 v[8:9], v[18:19], v[24:25]
	s_delay_alu instid0(VALU_DEP_2) | instskip(NEXT) | instid1(VALU_DEP_2)
	v_add_f64 v[2:3], v[6:7], v[2:3]
	v_add_f64 v[4:5], v[8:9], v[4:5]
	s_waitcnt vmcnt(0)
	s_delay_alu instid0(VALU_DEP_2) | instskip(NEXT) | instid1(VALU_DEP_2)
	v_add_f64 v[2:3], v[14:15], -v[2:3]
	v_add_f64 v[4:5], v[16:17], -v[4:5]
	scratch_store_b128 off, v[2:5], off offset:752
	v_cmpx_lt_u32_e32 46, v148
	s_cbranch_execz .LBB114_227
; %bb.226:
	scratch_load_b128 v[5:8], v150, off
	v_mov_b32_e32 v2, v1
	v_mov_b32_e32 v3, v1
	;; [unrolled: 1-line block ×3, first 2 shown]
	scratch_store_b128 off, v[1:4], off offset:736
	s_waitcnt vmcnt(0)
	ds_store_b128 v199, v[5:8]
.LBB114_227:
	s_or_b32 exec_lo, exec_lo, s2
	s_waitcnt lgkmcnt(0)
	s_waitcnt_vscnt null, 0x0
	s_barrier
	buffer_gl0_inv
	s_clause 0x4
	scratch_load_b128 v[2:5], off, off offset:752
	scratch_load_b128 v[6:9], off, off offset:768
	;; [unrolled: 1-line block ×5, first 2 shown]
	ds_load_b128 v[22:25], v1 offset:1568
	ds_load_b128 v[26:29], v1 offset:1584
	s_mov_b32 s2, exec_lo
	s_waitcnt vmcnt(4) lgkmcnt(1)
	v_mul_f64 v[30:31], v[24:25], v[4:5]
	v_mul_f64 v[4:5], v[22:23], v[4:5]
	s_waitcnt vmcnt(3) lgkmcnt(0)
	v_mul_f64 v[32:33], v[26:27], v[8:9]
	v_mul_f64 v[8:9], v[28:29], v[8:9]
	s_delay_alu instid0(VALU_DEP_4) | instskip(NEXT) | instid1(VALU_DEP_4)
	v_fma_f64 v[30:31], v[22:23], v[2:3], -v[30:31]
	v_fma_f64 v[34:35], v[24:25], v[2:3], v[4:5]
	ds_load_b128 v[2:5], v1 offset:1600
	ds_load_b128 v[22:25], v1 offset:1616
	v_fma_f64 v[28:29], v[28:29], v[6:7], v[32:33]
	v_fma_f64 v[6:7], v[26:27], v[6:7], -v[8:9]
	s_waitcnt vmcnt(2) lgkmcnt(1)
	v_mul_f64 v[36:37], v[2:3], v[12:13]
	v_mul_f64 v[12:13], v[4:5], v[12:13]
	v_add_f64 v[8:9], v[30:31], 0
	v_add_f64 v[26:27], v[34:35], 0
	s_waitcnt vmcnt(1) lgkmcnt(0)
	v_mul_f64 v[30:31], v[22:23], v[16:17]
	v_mul_f64 v[16:17], v[24:25], v[16:17]
	v_fma_f64 v[4:5], v[4:5], v[10:11], v[36:37]
	v_fma_f64 v[1:2], v[2:3], v[10:11], -v[12:13]
	v_add_f64 v[6:7], v[8:9], v[6:7]
	v_add_f64 v[8:9], v[26:27], v[28:29]
	v_fma_f64 v[10:11], v[24:25], v[14:15], v[30:31]
	v_fma_f64 v[12:13], v[22:23], v[14:15], -v[16:17]
	s_delay_alu instid0(VALU_DEP_4) | instskip(NEXT) | instid1(VALU_DEP_4)
	v_add_f64 v[1:2], v[6:7], v[1:2]
	v_add_f64 v[3:4], v[8:9], v[4:5]
	s_delay_alu instid0(VALU_DEP_2) | instskip(NEXT) | instid1(VALU_DEP_2)
	v_add_f64 v[1:2], v[1:2], v[12:13]
	v_add_f64 v[3:4], v[3:4], v[10:11]
	s_waitcnt vmcnt(0)
	s_delay_alu instid0(VALU_DEP_2) | instskip(NEXT) | instid1(VALU_DEP_2)
	v_add_f64 v[1:2], v[18:19], -v[1:2]
	v_add_f64 v[3:4], v[20:21], -v[3:4]
	scratch_store_b128 off, v[1:4], off offset:736
	v_cmpx_lt_u32_e32 45, v148
	s_cbranch_execz .LBB114_229
; %bb.228:
	scratch_load_b128 v[1:4], v151, off
	v_mov_b32_e32 v5, 0
	s_delay_alu instid0(VALU_DEP_1)
	v_mov_b32_e32 v6, v5
	v_mov_b32_e32 v7, v5
	;; [unrolled: 1-line block ×3, first 2 shown]
	scratch_store_b128 off, v[5:8], off offset:720
	s_waitcnt vmcnt(0)
	ds_store_b128 v199, v[1:4]
.LBB114_229:
	s_or_b32 exec_lo, exec_lo, s2
	s_waitcnt lgkmcnt(0)
	s_waitcnt_vscnt null, 0x0
	s_barrier
	buffer_gl0_inv
	s_clause 0x5
	scratch_load_b128 v[2:5], off, off offset:736
	scratch_load_b128 v[6:9], off, off offset:752
	;; [unrolled: 1-line block ×6, first 2 shown]
	v_mov_b32_e32 v1, 0
	ds_load_b128 v[26:29], v1 offset:1552
	ds_load_b128 v[30:33], v1 offset:1568
	s_mov_b32 s2, exec_lo
	s_waitcnt vmcnt(5) lgkmcnt(1)
	v_mul_f64 v[34:35], v[28:29], v[4:5]
	v_mul_f64 v[4:5], v[26:27], v[4:5]
	s_waitcnt vmcnt(4) lgkmcnt(0)
	v_mul_f64 v[36:37], v[30:31], v[8:9]
	v_mul_f64 v[8:9], v[32:33], v[8:9]
	s_delay_alu instid0(VALU_DEP_4) | instskip(NEXT) | instid1(VALU_DEP_4)
	v_fma_f64 v[34:35], v[26:27], v[2:3], -v[34:35]
	v_fma_f64 v[38:39], v[28:29], v[2:3], v[4:5]
	ds_load_b128 v[2:5], v1 offset:1584
	ds_load_b128 v[26:29], v1 offset:1600
	v_fma_f64 v[32:33], v[32:33], v[6:7], v[36:37]
	v_fma_f64 v[6:7], v[30:31], v[6:7], -v[8:9]
	s_waitcnt vmcnt(3) lgkmcnt(1)
	v_mul_f64 v[40:41], v[2:3], v[12:13]
	v_mul_f64 v[12:13], v[4:5], v[12:13]
	v_add_f64 v[8:9], v[34:35], 0
	v_add_f64 v[30:31], v[38:39], 0
	s_waitcnt vmcnt(2) lgkmcnt(0)
	v_mul_f64 v[34:35], v[26:27], v[16:17]
	v_mul_f64 v[16:17], v[28:29], v[16:17]
	v_fma_f64 v[36:37], v[4:5], v[10:11], v[40:41]
	v_fma_f64 v[10:11], v[2:3], v[10:11], -v[12:13]
	ds_load_b128 v[2:5], v1 offset:1616
	v_add_f64 v[6:7], v[8:9], v[6:7]
	v_add_f64 v[8:9], v[30:31], v[32:33]
	v_fma_f64 v[28:29], v[28:29], v[14:15], v[34:35]
	v_fma_f64 v[14:15], v[26:27], v[14:15], -v[16:17]
	s_waitcnt vmcnt(1) lgkmcnt(0)
	v_mul_f64 v[12:13], v[2:3], v[20:21]
	v_mul_f64 v[20:21], v[4:5], v[20:21]
	v_add_f64 v[6:7], v[6:7], v[10:11]
	v_add_f64 v[8:9], v[8:9], v[36:37]
	s_delay_alu instid0(VALU_DEP_4) | instskip(NEXT) | instid1(VALU_DEP_4)
	v_fma_f64 v[4:5], v[4:5], v[18:19], v[12:13]
	v_fma_f64 v[2:3], v[2:3], v[18:19], -v[20:21]
	s_delay_alu instid0(VALU_DEP_4) | instskip(NEXT) | instid1(VALU_DEP_4)
	v_add_f64 v[6:7], v[6:7], v[14:15]
	v_add_f64 v[8:9], v[8:9], v[28:29]
	s_delay_alu instid0(VALU_DEP_2) | instskip(NEXT) | instid1(VALU_DEP_2)
	v_add_f64 v[2:3], v[6:7], v[2:3]
	v_add_f64 v[4:5], v[8:9], v[4:5]
	s_waitcnt vmcnt(0)
	s_delay_alu instid0(VALU_DEP_2) | instskip(NEXT) | instid1(VALU_DEP_2)
	v_add_f64 v[2:3], v[22:23], -v[2:3]
	v_add_f64 v[4:5], v[24:25], -v[4:5]
	scratch_store_b128 off, v[2:5], off offset:720
	v_cmpx_lt_u32_e32 44, v148
	s_cbranch_execz .LBB114_231
; %bb.230:
	scratch_load_b128 v[5:8], v153, off
	v_mov_b32_e32 v2, v1
	v_mov_b32_e32 v3, v1
	;; [unrolled: 1-line block ×3, first 2 shown]
	scratch_store_b128 off, v[1:4], off offset:704
	s_waitcnt vmcnt(0)
	ds_store_b128 v199, v[5:8]
.LBB114_231:
	s_or_b32 exec_lo, exec_lo, s2
	s_waitcnt lgkmcnt(0)
	s_waitcnt_vscnt null, 0x0
	s_barrier
	buffer_gl0_inv
	s_clause 0x5
	scratch_load_b128 v[2:5], off, off offset:720
	scratch_load_b128 v[6:9], off, off offset:736
	;; [unrolled: 1-line block ×6, first 2 shown]
	ds_load_b128 v[26:29], v1 offset:1536
	ds_load_b128 v[34:37], v1 offset:1552
	scratch_load_b128 v[30:33], off, off offset:704
	s_mov_b32 s2, exec_lo
	s_waitcnt vmcnt(6) lgkmcnt(1)
	v_mul_f64 v[38:39], v[28:29], v[4:5]
	v_mul_f64 v[4:5], v[26:27], v[4:5]
	s_waitcnt vmcnt(5) lgkmcnt(0)
	v_mul_f64 v[40:41], v[34:35], v[8:9]
	v_mul_f64 v[8:9], v[36:37], v[8:9]
	s_delay_alu instid0(VALU_DEP_4) | instskip(NEXT) | instid1(VALU_DEP_4)
	v_fma_f64 v[38:39], v[26:27], v[2:3], -v[38:39]
	v_fma_f64 v[42:43], v[28:29], v[2:3], v[4:5]
	ds_load_b128 v[2:5], v1 offset:1568
	ds_load_b128 v[26:29], v1 offset:1584
	v_fma_f64 v[36:37], v[36:37], v[6:7], v[40:41]
	v_fma_f64 v[6:7], v[34:35], v[6:7], -v[8:9]
	s_waitcnt vmcnt(4) lgkmcnt(1)
	v_mul_f64 v[44:45], v[2:3], v[12:13]
	v_mul_f64 v[12:13], v[4:5], v[12:13]
	v_add_f64 v[8:9], v[38:39], 0
	v_add_f64 v[34:35], v[42:43], 0
	s_waitcnt vmcnt(3) lgkmcnt(0)
	v_mul_f64 v[38:39], v[26:27], v[16:17]
	v_mul_f64 v[16:17], v[28:29], v[16:17]
	v_fma_f64 v[40:41], v[4:5], v[10:11], v[44:45]
	v_fma_f64 v[10:11], v[2:3], v[10:11], -v[12:13]
	v_add_f64 v[12:13], v[8:9], v[6:7]
	v_add_f64 v[34:35], v[34:35], v[36:37]
	ds_load_b128 v[2:5], v1 offset:1600
	ds_load_b128 v[6:9], v1 offset:1616
	v_fma_f64 v[28:29], v[28:29], v[14:15], v[38:39]
	v_fma_f64 v[14:15], v[26:27], v[14:15], -v[16:17]
	s_waitcnt vmcnt(2) lgkmcnt(1)
	v_mul_f64 v[36:37], v[2:3], v[20:21]
	v_mul_f64 v[20:21], v[4:5], v[20:21]
	s_waitcnt vmcnt(1) lgkmcnt(0)
	v_mul_f64 v[16:17], v[6:7], v[24:25]
	v_mul_f64 v[24:25], v[8:9], v[24:25]
	v_add_f64 v[10:11], v[12:13], v[10:11]
	v_add_f64 v[12:13], v[34:35], v[40:41]
	v_fma_f64 v[4:5], v[4:5], v[18:19], v[36:37]
	v_fma_f64 v[1:2], v[2:3], v[18:19], -v[20:21]
	v_fma_f64 v[8:9], v[8:9], v[22:23], v[16:17]
	v_fma_f64 v[6:7], v[6:7], v[22:23], -v[24:25]
	v_add_f64 v[10:11], v[10:11], v[14:15]
	v_add_f64 v[12:13], v[12:13], v[28:29]
	s_delay_alu instid0(VALU_DEP_2) | instskip(NEXT) | instid1(VALU_DEP_2)
	v_add_f64 v[1:2], v[10:11], v[1:2]
	v_add_f64 v[3:4], v[12:13], v[4:5]
	s_delay_alu instid0(VALU_DEP_2) | instskip(NEXT) | instid1(VALU_DEP_2)
	v_add_f64 v[1:2], v[1:2], v[6:7]
	v_add_f64 v[3:4], v[3:4], v[8:9]
	s_waitcnt vmcnt(0)
	s_delay_alu instid0(VALU_DEP_2) | instskip(NEXT) | instid1(VALU_DEP_2)
	v_add_f64 v[1:2], v[30:31], -v[1:2]
	v_add_f64 v[3:4], v[32:33], -v[3:4]
	scratch_store_b128 off, v[1:4], off offset:704
	v_cmpx_lt_u32_e32 43, v148
	s_cbranch_execz .LBB114_233
; %bb.232:
	scratch_load_b128 v[1:4], v155, off
	v_mov_b32_e32 v5, 0
	s_delay_alu instid0(VALU_DEP_1)
	v_mov_b32_e32 v6, v5
	v_mov_b32_e32 v7, v5
	;; [unrolled: 1-line block ×3, first 2 shown]
	scratch_store_b128 off, v[5:8], off offset:688
	s_waitcnt vmcnt(0)
	ds_store_b128 v199, v[1:4]
.LBB114_233:
	s_or_b32 exec_lo, exec_lo, s2
	s_waitcnt lgkmcnt(0)
	s_waitcnt_vscnt null, 0x0
	s_barrier
	buffer_gl0_inv
	s_clause 0x6
	scratch_load_b128 v[2:5], off, off offset:704
	scratch_load_b128 v[6:9], off, off offset:720
	;; [unrolled: 1-line block ×7, first 2 shown]
	v_mov_b32_e32 v1, 0
	scratch_load_b128 v[34:37], off, off offset:688
	s_mov_b32 s2, exec_lo
	ds_load_b128 v[30:33], v1 offset:1520
	ds_load_b128 v[38:41], v1 offset:1536
	s_waitcnt vmcnt(7) lgkmcnt(1)
	v_mul_f64 v[42:43], v[32:33], v[4:5]
	v_mul_f64 v[4:5], v[30:31], v[4:5]
	s_waitcnt vmcnt(6) lgkmcnt(0)
	v_mul_f64 v[44:45], v[38:39], v[8:9]
	v_mul_f64 v[8:9], v[40:41], v[8:9]
	s_delay_alu instid0(VALU_DEP_4) | instskip(NEXT) | instid1(VALU_DEP_4)
	v_fma_f64 v[42:43], v[30:31], v[2:3], -v[42:43]
	v_fma_f64 v[157:158], v[32:33], v[2:3], v[4:5]
	ds_load_b128 v[2:5], v1 offset:1552
	ds_load_b128 v[30:33], v1 offset:1568
	v_fma_f64 v[40:41], v[40:41], v[6:7], v[44:45]
	v_fma_f64 v[6:7], v[38:39], v[6:7], -v[8:9]
	s_waitcnt vmcnt(5) lgkmcnt(1)
	v_mul_f64 v[159:160], v[2:3], v[12:13]
	v_mul_f64 v[12:13], v[4:5], v[12:13]
	v_add_f64 v[8:9], v[42:43], 0
	v_add_f64 v[38:39], v[157:158], 0
	s_waitcnt vmcnt(4) lgkmcnt(0)
	v_mul_f64 v[42:43], v[30:31], v[16:17]
	v_mul_f64 v[16:17], v[32:33], v[16:17]
	v_fma_f64 v[44:45], v[4:5], v[10:11], v[159:160]
	v_fma_f64 v[10:11], v[2:3], v[10:11], -v[12:13]
	v_add_f64 v[12:13], v[8:9], v[6:7]
	v_add_f64 v[38:39], v[38:39], v[40:41]
	ds_load_b128 v[2:5], v1 offset:1584
	ds_load_b128 v[6:9], v1 offset:1600
	v_fma_f64 v[32:33], v[32:33], v[14:15], v[42:43]
	v_fma_f64 v[14:15], v[30:31], v[14:15], -v[16:17]
	s_waitcnt vmcnt(3) lgkmcnt(1)
	v_mul_f64 v[40:41], v[2:3], v[20:21]
	v_mul_f64 v[20:21], v[4:5], v[20:21]
	s_waitcnt vmcnt(2) lgkmcnt(0)
	v_mul_f64 v[16:17], v[6:7], v[24:25]
	v_mul_f64 v[24:25], v[8:9], v[24:25]
	v_add_f64 v[10:11], v[12:13], v[10:11]
	v_add_f64 v[12:13], v[38:39], v[44:45]
	v_fma_f64 v[30:31], v[4:5], v[18:19], v[40:41]
	v_fma_f64 v[18:19], v[2:3], v[18:19], -v[20:21]
	ds_load_b128 v[2:5], v1 offset:1616
	v_fma_f64 v[8:9], v[8:9], v[22:23], v[16:17]
	v_fma_f64 v[6:7], v[6:7], v[22:23], -v[24:25]
	v_add_f64 v[10:11], v[10:11], v[14:15]
	v_add_f64 v[12:13], v[12:13], v[32:33]
	s_waitcnt vmcnt(1) lgkmcnt(0)
	v_mul_f64 v[14:15], v[2:3], v[28:29]
	v_mul_f64 v[20:21], v[4:5], v[28:29]
	s_delay_alu instid0(VALU_DEP_4) | instskip(NEXT) | instid1(VALU_DEP_4)
	v_add_f64 v[10:11], v[10:11], v[18:19]
	v_add_f64 v[12:13], v[12:13], v[30:31]
	s_delay_alu instid0(VALU_DEP_4) | instskip(NEXT) | instid1(VALU_DEP_4)
	v_fma_f64 v[4:5], v[4:5], v[26:27], v[14:15]
	v_fma_f64 v[2:3], v[2:3], v[26:27], -v[20:21]
	s_delay_alu instid0(VALU_DEP_4) | instskip(NEXT) | instid1(VALU_DEP_4)
	v_add_f64 v[6:7], v[10:11], v[6:7]
	v_add_f64 v[8:9], v[12:13], v[8:9]
	s_delay_alu instid0(VALU_DEP_2) | instskip(NEXT) | instid1(VALU_DEP_2)
	v_add_f64 v[2:3], v[6:7], v[2:3]
	v_add_f64 v[4:5], v[8:9], v[4:5]
	s_waitcnt vmcnt(0)
	s_delay_alu instid0(VALU_DEP_2) | instskip(NEXT) | instid1(VALU_DEP_2)
	v_add_f64 v[2:3], v[34:35], -v[2:3]
	v_add_f64 v[4:5], v[36:37], -v[4:5]
	scratch_store_b128 off, v[2:5], off offset:688
	v_cmpx_lt_u32_e32 42, v148
	s_cbranch_execz .LBB114_235
; %bb.234:
	scratch_load_b128 v[5:8], v170, off
	v_mov_b32_e32 v2, v1
	v_mov_b32_e32 v3, v1
	;; [unrolled: 1-line block ×3, first 2 shown]
	scratch_store_b128 off, v[1:4], off offset:672
	s_waitcnt vmcnt(0)
	ds_store_b128 v199, v[5:8]
.LBB114_235:
	s_or_b32 exec_lo, exec_lo, s2
	s_waitcnt lgkmcnt(0)
	s_waitcnt_vscnt null, 0x0
	s_barrier
	buffer_gl0_inv
	s_clause 0x7
	scratch_load_b128 v[2:5], off, off offset:688
	scratch_load_b128 v[6:9], off, off offset:704
	;; [unrolled: 1-line block ×8, first 2 shown]
	ds_load_b128 v[34:37], v1 offset:1504
	ds_load_b128 v[38:41], v1 offset:1520
	scratch_load_b128 v[42:45], off, off offset:672
	s_mov_b32 s2, exec_lo
	s_waitcnt vmcnt(8) lgkmcnt(1)
	v_mul_f64 v[157:158], v[36:37], v[4:5]
	v_mul_f64 v[4:5], v[34:35], v[4:5]
	s_waitcnt vmcnt(7) lgkmcnt(0)
	v_mul_f64 v[159:160], v[38:39], v[8:9]
	v_mul_f64 v[8:9], v[40:41], v[8:9]
	s_delay_alu instid0(VALU_DEP_4) | instskip(NEXT) | instid1(VALU_DEP_4)
	v_fma_f64 v[157:158], v[34:35], v[2:3], -v[157:158]
	v_fma_f64 v[161:162], v[36:37], v[2:3], v[4:5]
	ds_load_b128 v[2:5], v1 offset:1536
	ds_load_b128 v[34:37], v1 offset:1552
	v_fma_f64 v[40:41], v[40:41], v[6:7], v[159:160]
	v_fma_f64 v[6:7], v[38:39], v[6:7], -v[8:9]
	s_waitcnt vmcnt(6) lgkmcnt(1)
	v_mul_f64 v[163:164], v[2:3], v[12:13]
	v_mul_f64 v[12:13], v[4:5], v[12:13]
	v_add_f64 v[8:9], v[157:158], 0
	v_add_f64 v[38:39], v[161:162], 0
	s_waitcnt vmcnt(5) lgkmcnt(0)
	v_mul_f64 v[157:158], v[34:35], v[16:17]
	v_mul_f64 v[16:17], v[36:37], v[16:17]
	v_fma_f64 v[159:160], v[4:5], v[10:11], v[163:164]
	v_fma_f64 v[10:11], v[2:3], v[10:11], -v[12:13]
	v_add_f64 v[12:13], v[8:9], v[6:7]
	v_add_f64 v[38:39], v[38:39], v[40:41]
	ds_load_b128 v[2:5], v1 offset:1568
	ds_load_b128 v[6:9], v1 offset:1584
	v_fma_f64 v[36:37], v[36:37], v[14:15], v[157:158]
	v_fma_f64 v[14:15], v[34:35], v[14:15], -v[16:17]
	s_waitcnt vmcnt(4) lgkmcnt(1)
	v_mul_f64 v[40:41], v[2:3], v[20:21]
	v_mul_f64 v[20:21], v[4:5], v[20:21]
	s_waitcnt vmcnt(3) lgkmcnt(0)
	v_mul_f64 v[16:17], v[6:7], v[24:25]
	v_mul_f64 v[24:25], v[8:9], v[24:25]
	v_add_f64 v[10:11], v[12:13], v[10:11]
	v_add_f64 v[12:13], v[38:39], v[159:160]
	v_fma_f64 v[34:35], v[4:5], v[18:19], v[40:41]
	v_fma_f64 v[18:19], v[2:3], v[18:19], -v[20:21]
	v_fma_f64 v[8:9], v[8:9], v[22:23], v[16:17]
	v_fma_f64 v[6:7], v[6:7], v[22:23], -v[24:25]
	v_add_f64 v[14:15], v[10:11], v[14:15]
	v_add_f64 v[20:21], v[12:13], v[36:37]
	ds_load_b128 v[2:5], v1 offset:1600
	ds_load_b128 v[10:13], v1 offset:1616
	s_waitcnt vmcnt(2) lgkmcnt(1)
	v_mul_f64 v[36:37], v[2:3], v[28:29]
	v_mul_f64 v[28:29], v[4:5], v[28:29]
	v_add_f64 v[14:15], v[14:15], v[18:19]
	v_add_f64 v[16:17], v[20:21], v[34:35]
	s_waitcnt vmcnt(1) lgkmcnt(0)
	v_mul_f64 v[18:19], v[10:11], v[32:33]
	v_mul_f64 v[20:21], v[12:13], v[32:33]
	v_fma_f64 v[4:5], v[4:5], v[26:27], v[36:37]
	v_fma_f64 v[1:2], v[2:3], v[26:27], -v[28:29]
	v_add_f64 v[6:7], v[14:15], v[6:7]
	v_add_f64 v[8:9], v[16:17], v[8:9]
	v_fma_f64 v[12:13], v[12:13], v[30:31], v[18:19]
	v_fma_f64 v[10:11], v[10:11], v[30:31], -v[20:21]
	s_delay_alu instid0(VALU_DEP_4) | instskip(NEXT) | instid1(VALU_DEP_4)
	v_add_f64 v[1:2], v[6:7], v[1:2]
	v_add_f64 v[3:4], v[8:9], v[4:5]
	s_delay_alu instid0(VALU_DEP_2) | instskip(NEXT) | instid1(VALU_DEP_2)
	v_add_f64 v[1:2], v[1:2], v[10:11]
	v_add_f64 v[3:4], v[3:4], v[12:13]
	s_waitcnt vmcnt(0)
	s_delay_alu instid0(VALU_DEP_2) | instskip(NEXT) | instid1(VALU_DEP_2)
	v_add_f64 v[1:2], v[42:43], -v[1:2]
	v_add_f64 v[3:4], v[44:45], -v[3:4]
	scratch_store_b128 off, v[1:4], off offset:672
	v_cmpx_lt_u32_e32 41, v148
	s_cbranch_execz .LBB114_237
; %bb.236:
	scratch_load_b128 v[1:4], v171, off
	v_mov_b32_e32 v5, 0
	s_delay_alu instid0(VALU_DEP_1)
	v_mov_b32_e32 v6, v5
	v_mov_b32_e32 v7, v5
	;; [unrolled: 1-line block ×3, first 2 shown]
	scratch_store_b128 off, v[5:8], off offset:656
	s_waitcnt vmcnt(0)
	ds_store_b128 v199, v[1:4]
.LBB114_237:
	s_or_b32 exec_lo, exec_lo, s2
	s_waitcnt lgkmcnt(0)
	s_waitcnt_vscnt null, 0x0
	s_barrier
	buffer_gl0_inv
	s_clause 0x7
	scratch_load_b128 v[2:5], off, off offset:672
	scratch_load_b128 v[6:9], off, off offset:688
	;; [unrolled: 1-line block ×8, first 2 shown]
	v_mov_b32_e32 v1, 0
	s_mov_b32 s2, exec_lo
	ds_load_b128 v[34:37], v1 offset:1488
	s_clause 0x1
	scratch_load_b128 v[38:41], off, off offset:800
	scratch_load_b128 v[42:45], off, off offset:656
	ds_load_b128 v[157:160], v1 offset:1504
	s_waitcnt vmcnt(9) lgkmcnt(1)
	v_mul_f64 v[161:162], v[36:37], v[4:5]
	v_mul_f64 v[4:5], v[34:35], v[4:5]
	s_waitcnt vmcnt(8) lgkmcnt(0)
	v_mul_f64 v[163:164], v[157:158], v[8:9]
	v_mul_f64 v[8:9], v[159:160], v[8:9]
	s_delay_alu instid0(VALU_DEP_4) | instskip(NEXT) | instid1(VALU_DEP_4)
	v_fma_f64 v[161:162], v[34:35], v[2:3], -v[161:162]
	v_fma_f64 v[165:166], v[36:37], v[2:3], v[4:5]
	ds_load_b128 v[2:5], v1 offset:1520
	ds_load_b128 v[34:37], v1 offset:1536
	v_fma_f64 v[159:160], v[159:160], v[6:7], v[163:164]
	v_fma_f64 v[6:7], v[157:158], v[6:7], -v[8:9]
	s_waitcnt vmcnt(7) lgkmcnt(1)
	v_mul_f64 v[167:168], v[2:3], v[12:13]
	v_mul_f64 v[12:13], v[4:5], v[12:13]
	v_add_f64 v[8:9], v[161:162], 0
	v_add_f64 v[157:158], v[165:166], 0
	s_waitcnt vmcnt(6) lgkmcnt(0)
	v_mul_f64 v[161:162], v[34:35], v[16:17]
	v_mul_f64 v[16:17], v[36:37], v[16:17]
	v_fma_f64 v[163:164], v[4:5], v[10:11], v[167:168]
	v_fma_f64 v[10:11], v[2:3], v[10:11], -v[12:13]
	v_add_f64 v[12:13], v[8:9], v[6:7]
	v_add_f64 v[157:158], v[157:158], v[159:160]
	ds_load_b128 v[2:5], v1 offset:1552
	ds_load_b128 v[6:9], v1 offset:1568
	v_fma_f64 v[36:37], v[36:37], v[14:15], v[161:162]
	v_fma_f64 v[14:15], v[34:35], v[14:15], -v[16:17]
	s_waitcnt vmcnt(5) lgkmcnt(1)
	v_mul_f64 v[159:160], v[2:3], v[20:21]
	v_mul_f64 v[20:21], v[4:5], v[20:21]
	s_waitcnt vmcnt(4) lgkmcnt(0)
	v_mul_f64 v[16:17], v[6:7], v[24:25]
	v_mul_f64 v[24:25], v[8:9], v[24:25]
	v_add_f64 v[10:11], v[12:13], v[10:11]
	v_add_f64 v[12:13], v[157:158], v[163:164]
	v_fma_f64 v[34:35], v[4:5], v[18:19], v[159:160]
	v_fma_f64 v[18:19], v[2:3], v[18:19], -v[20:21]
	v_fma_f64 v[8:9], v[8:9], v[22:23], v[16:17]
	v_fma_f64 v[6:7], v[6:7], v[22:23], -v[24:25]
	v_add_f64 v[14:15], v[10:11], v[14:15]
	v_add_f64 v[20:21], v[12:13], v[36:37]
	ds_load_b128 v[2:5], v1 offset:1584
	ds_load_b128 v[10:13], v1 offset:1600
	s_waitcnt vmcnt(3) lgkmcnt(1)
	v_mul_f64 v[36:37], v[2:3], v[28:29]
	v_mul_f64 v[28:29], v[4:5], v[28:29]
	v_add_f64 v[14:15], v[14:15], v[18:19]
	v_add_f64 v[16:17], v[20:21], v[34:35]
	s_waitcnt vmcnt(2) lgkmcnt(0)
	v_mul_f64 v[18:19], v[10:11], v[32:33]
	v_mul_f64 v[20:21], v[12:13], v[32:33]
	v_fma_f64 v[22:23], v[4:5], v[26:27], v[36:37]
	v_fma_f64 v[24:25], v[2:3], v[26:27], -v[28:29]
	ds_load_b128 v[2:5], v1 offset:1616
	v_add_f64 v[6:7], v[14:15], v[6:7]
	v_add_f64 v[8:9], v[16:17], v[8:9]
	v_fma_f64 v[12:13], v[12:13], v[30:31], v[18:19]
	v_fma_f64 v[10:11], v[10:11], v[30:31], -v[20:21]
	s_waitcnt vmcnt(1) lgkmcnt(0)
	v_mul_f64 v[14:15], v[2:3], v[40:41]
	v_mul_f64 v[16:17], v[4:5], v[40:41]
	v_add_f64 v[6:7], v[6:7], v[24:25]
	v_add_f64 v[8:9], v[8:9], v[22:23]
	s_delay_alu instid0(VALU_DEP_4) | instskip(NEXT) | instid1(VALU_DEP_4)
	v_fma_f64 v[4:5], v[4:5], v[38:39], v[14:15]
	v_fma_f64 v[2:3], v[2:3], v[38:39], -v[16:17]
	s_delay_alu instid0(VALU_DEP_4) | instskip(NEXT) | instid1(VALU_DEP_4)
	v_add_f64 v[6:7], v[6:7], v[10:11]
	v_add_f64 v[8:9], v[8:9], v[12:13]
	s_delay_alu instid0(VALU_DEP_2) | instskip(NEXT) | instid1(VALU_DEP_2)
	v_add_f64 v[2:3], v[6:7], v[2:3]
	v_add_f64 v[4:5], v[8:9], v[4:5]
	s_waitcnt vmcnt(0)
	s_delay_alu instid0(VALU_DEP_2) | instskip(NEXT) | instid1(VALU_DEP_2)
	v_add_f64 v[2:3], v[42:43], -v[2:3]
	v_add_f64 v[4:5], v[44:45], -v[4:5]
	scratch_store_b128 off, v[2:5], off offset:656
	v_cmpx_lt_u32_e32 40, v148
	s_cbranch_execz .LBB114_239
; %bb.238:
	scratch_load_b128 v[5:8], v175, off
	v_mov_b32_e32 v2, v1
	v_mov_b32_e32 v3, v1
	;; [unrolled: 1-line block ×3, first 2 shown]
	scratch_store_b128 off, v[1:4], off offset:640
	s_waitcnt vmcnt(0)
	ds_store_b128 v199, v[5:8]
.LBB114_239:
	s_or_b32 exec_lo, exec_lo, s2
	s_waitcnt lgkmcnt(0)
	s_waitcnt_vscnt null, 0x0
	s_barrier
	buffer_gl0_inv
	s_clause 0x7
	scratch_load_b128 v[2:5], off, off offset:656
	scratch_load_b128 v[6:9], off, off offset:672
	;; [unrolled: 1-line block ×8, first 2 shown]
	ds_load_b128 v[34:37], v1 offset:1472
	ds_load_b128 v[42:45], v1 offset:1488
	s_clause 0x1
	scratch_load_b128 v[38:41], off, off offset:784
	scratch_load_b128 v[157:160], off, off offset:800
	s_mov_b32 s2, exec_lo
	s_waitcnt vmcnt(9) lgkmcnt(1)
	v_mul_f64 v[161:162], v[36:37], v[4:5]
	v_mul_f64 v[4:5], v[34:35], v[4:5]
	s_waitcnt vmcnt(8) lgkmcnt(0)
	v_mul_f64 v[163:164], v[42:43], v[8:9]
	v_mul_f64 v[8:9], v[44:45], v[8:9]
	s_delay_alu instid0(VALU_DEP_4) | instskip(NEXT) | instid1(VALU_DEP_4)
	v_fma_f64 v[34:35], v[34:35], v[2:3], -v[161:162]
	v_fma_f64 v[36:37], v[36:37], v[2:3], v[4:5]
	ds_load_b128 v[2:5], v1 offset:1504
	v_fma_f64 v[44:45], v[44:45], v[6:7], v[163:164]
	v_fma_f64 v[42:43], v[42:43], v[6:7], -v[8:9]
	ds_load_b128 v[6:9], v1 offset:1520
	s_waitcnt vmcnt(7) lgkmcnt(1)
	v_mul_f64 v[161:162], v[2:3], v[12:13]
	v_mul_f64 v[12:13], v[4:5], v[12:13]
	s_waitcnt vmcnt(6) lgkmcnt(0)
	v_mul_f64 v[163:164], v[6:7], v[16:17]
	v_mul_f64 v[16:17], v[8:9], v[16:17]
	v_add_f64 v[34:35], v[34:35], 0
	v_add_f64 v[36:37], v[36:37], 0
	v_fma_f64 v[161:162], v[4:5], v[10:11], v[161:162]
	v_fma_f64 v[165:166], v[2:3], v[10:11], -v[12:13]
	ds_load_b128 v[2:5], v1 offset:1536
	scratch_load_b128 v[10:13], off, off offset:640
	v_add_f64 v[34:35], v[34:35], v[42:43]
	v_add_f64 v[36:37], v[36:37], v[44:45]
	v_fma_f64 v[44:45], v[8:9], v[14:15], v[163:164]
	v_fma_f64 v[14:15], v[6:7], v[14:15], -v[16:17]
	ds_load_b128 v[6:9], v1 offset:1552
	s_waitcnt vmcnt(6) lgkmcnt(1)
	v_mul_f64 v[42:43], v[2:3], v[20:21]
	v_mul_f64 v[20:21], v[4:5], v[20:21]
	v_add_f64 v[16:17], v[34:35], v[165:166]
	v_add_f64 v[34:35], v[36:37], v[161:162]
	s_waitcnt vmcnt(5) lgkmcnt(0)
	v_mul_f64 v[36:37], v[6:7], v[24:25]
	v_mul_f64 v[24:25], v[8:9], v[24:25]
	v_fma_f64 v[42:43], v[4:5], v[18:19], v[42:43]
	v_fma_f64 v[18:19], v[2:3], v[18:19], -v[20:21]
	ds_load_b128 v[2:5], v1 offset:1568
	v_add_f64 v[14:15], v[16:17], v[14:15]
	v_add_f64 v[16:17], v[34:35], v[44:45]
	v_fma_f64 v[34:35], v[8:9], v[22:23], v[36:37]
	v_fma_f64 v[22:23], v[6:7], v[22:23], -v[24:25]
	ds_load_b128 v[6:9], v1 offset:1584
	s_waitcnt vmcnt(4) lgkmcnt(1)
	v_mul_f64 v[20:21], v[2:3], v[28:29]
	v_mul_f64 v[28:29], v[4:5], v[28:29]
	s_waitcnt vmcnt(3) lgkmcnt(0)
	v_mul_f64 v[24:25], v[8:9], v[32:33]
	v_add_f64 v[14:15], v[14:15], v[18:19]
	v_add_f64 v[16:17], v[16:17], v[42:43]
	v_mul_f64 v[18:19], v[6:7], v[32:33]
	v_fma_f64 v[20:21], v[4:5], v[26:27], v[20:21]
	v_fma_f64 v[26:27], v[2:3], v[26:27], -v[28:29]
	ds_load_b128 v[2:5], v1 offset:1600
	v_fma_f64 v[24:25], v[6:7], v[30:31], -v[24:25]
	v_add_f64 v[14:15], v[14:15], v[22:23]
	v_add_f64 v[16:17], v[16:17], v[34:35]
	v_fma_f64 v[18:19], v[8:9], v[30:31], v[18:19]
	ds_load_b128 v[6:9], v1 offset:1616
	s_waitcnt vmcnt(2) lgkmcnt(1)
	v_mul_f64 v[22:23], v[2:3], v[40:41]
	v_mul_f64 v[28:29], v[4:5], v[40:41]
	v_add_f64 v[14:15], v[14:15], v[26:27]
	v_add_f64 v[16:17], v[16:17], v[20:21]
	s_waitcnt vmcnt(1) lgkmcnt(0)
	v_mul_f64 v[20:21], v[6:7], v[159:160]
	v_mul_f64 v[26:27], v[8:9], v[159:160]
	v_fma_f64 v[4:5], v[4:5], v[38:39], v[22:23]
	v_fma_f64 v[1:2], v[2:3], v[38:39], -v[28:29]
	v_add_f64 v[14:15], v[14:15], v[24:25]
	v_add_f64 v[16:17], v[16:17], v[18:19]
	v_fma_f64 v[8:9], v[8:9], v[157:158], v[20:21]
	v_fma_f64 v[6:7], v[6:7], v[157:158], -v[26:27]
	s_delay_alu instid0(VALU_DEP_4) | instskip(NEXT) | instid1(VALU_DEP_4)
	v_add_f64 v[1:2], v[14:15], v[1:2]
	v_add_f64 v[3:4], v[16:17], v[4:5]
	s_delay_alu instid0(VALU_DEP_2) | instskip(NEXT) | instid1(VALU_DEP_2)
	v_add_f64 v[1:2], v[1:2], v[6:7]
	v_add_f64 v[3:4], v[3:4], v[8:9]
	s_waitcnt vmcnt(0)
	s_delay_alu instid0(VALU_DEP_2) | instskip(NEXT) | instid1(VALU_DEP_2)
	v_add_f64 v[1:2], v[10:11], -v[1:2]
	v_add_f64 v[3:4], v[12:13], -v[3:4]
	scratch_store_b128 off, v[1:4], off offset:640
	v_cmpx_lt_u32_e32 39, v148
	s_cbranch_execz .LBB114_241
; %bb.240:
	scratch_load_b128 v[1:4], v200, off
	v_mov_b32_e32 v5, 0
	s_delay_alu instid0(VALU_DEP_1)
	v_mov_b32_e32 v6, v5
	v_mov_b32_e32 v7, v5
	;; [unrolled: 1-line block ×3, first 2 shown]
	scratch_store_b128 off, v[5:8], off offset:624
	s_waitcnt vmcnt(0)
	ds_store_b128 v199, v[1:4]
.LBB114_241:
	s_or_b32 exec_lo, exec_lo, s2
	s_waitcnt lgkmcnt(0)
	s_waitcnt_vscnt null, 0x0
	s_barrier
	buffer_gl0_inv
	s_clause 0x7
	scratch_load_b128 v[2:5], off, off offset:640
	scratch_load_b128 v[6:9], off, off offset:656
	;; [unrolled: 1-line block ×8, first 2 shown]
	v_mov_b32_e32 v1, 0
	s_clause 0x1
	scratch_load_b128 v[38:41], off, off offset:768
	scratch_load_b128 v[157:160], off, off offset:784
	s_mov_b32 s2, exec_lo
	ds_load_b128 v[34:37], v1 offset:1456
	ds_load_b128 v[42:45], v1 offset:1472
	s_waitcnt vmcnt(9) lgkmcnt(1)
	v_mul_f64 v[161:162], v[36:37], v[4:5]
	v_mul_f64 v[4:5], v[34:35], v[4:5]
	s_waitcnt vmcnt(8) lgkmcnt(0)
	v_mul_f64 v[163:164], v[42:43], v[8:9]
	v_mul_f64 v[8:9], v[44:45], v[8:9]
	s_delay_alu instid0(VALU_DEP_4) | instskip(NEXT) | instid1(VALU_DEP_4)
	v_fma_f64 v[161:162], v[34:35], v[2:3], -v[161:162]
	v_fma_f64 v[165:166], v[36:37], v[2:3], v[4:5]
	ds_load_b128 v[2:5], v1 offset:1488
	scratch_load_b128 v[34:37], off, off offset:800
	v_fma_f64 v[44:45], v[44:45], v[6:7], v[163:164]
	v_fma_f64 v[42:43], v[42:43], v[6:7], -v[8:9]
	ds_load_b128 v[6:9], v1 offset:1504
	s_waitcnt vmcnt(8) lgkmcnt(1)
	v_mul_f64 v[167:168], v[2:3], v[12:13]
	v_mul_f64 v[12:13], v[4:5], v[12:13]
	v_add_f64 v[161:162], v[161:162], 0
	v_add_f64 v[163:164], v[165:166], 0
	s_waitcnt vmcnt(7) lgkmcnt(0)
	v_mul_f64 v[165:166], v[6:7], v[16:17]
	v_mul_f64 v[16:17], v[8:9], v[16:17]
	v_fma_f64 v[167:168], v[4:5], v[10:11], v[167:168]
	v_fma_f64 v[10:11], v[2:3], v[10:11], -v[12:13]
	ds_load_b128 v[2:5], v1 offset:1520
	v_add_f64 v[12:13], v[161:162], v[42:43]
	v_add_f64 v[42:43], v[163:164], v[44:45]
	v_fma_f64 v[161:162], v[8:9], v[14:15], v[165:166]
	v_fma_f64 v[14:15], v[6:7], v[14:15], -v[16:17]
	ds_load_b128 v[6:9], v1 offset:1536
	s_waitcnt vmcnt(6) lgkmcnt(1)
	v_mul_f64 v[44:45], v[2:3], v[20:21]
	v_mul_f64 v[20:21], v[4:5], v[20:21]
	s_waitcnt vmcnt(5) lgkmcnt(0)
	v_mul_f64 v[163:164], v[6:7], v[24:25]
	v_mul_f64 v[24:25], v[8:9], v[24:25]
	v_add_f64 v[16:17], v[12:13], v[10:11]
	v_add_f64 v[42:43], v[42:43], v[167:168]
	scratch_load_b128 v[10:13], off, off offset:624
	v_fma_f64 v[44:45], v[4:5], v[18:19], v[44:45]
	v_fma_f64 v[18:19], v[2:3], v[18:19], -v[20:21]
	ds_load_b128 v[2:5], v1 offset:1552
	v_add_f64 v[14:15], v[16:17], v[14:15]
	v_add_f64 v[16:17], v[42:43], v[161:162]
	v_fma_f64 v[42:43], v[8:9], v[22:23], v[163:164]
	v_fma_f64 v[22:23], v[6:7], v[22:23], -v[24:25]
	ds_load_b128 v[6:9], v1 offset:1568
	s_waitcnt vmcnt(5) lgkmcnt(1)
	v_mul_f64 v[20:21], v[2:3], v[28:29]
	v_mul_f64 v[28:29], v[4:5], v[28:29]
	s_waitcnt vmcnt(4) lgkmcnt(0)
	v_mul_f64 v[24:25], v[8:9], v[32:33]
	v_add_f64 v[14:15], v[14:15], v[18:19]
	v_add_f64 v[16:17], v[16:17], v[44:45]
	v_mul_f64 v[18:19], v[6:7], v[32:33]
	v_fma_f64 v[20:21], v[4:5], v[26:27], v[20:21]
	v_fma_f64 v[26:27], v[2:3], v[26:27], -v[28:29]
	ds_load_b128 v[2:5], v1 offset:1584
	v_fma_f64 v[24:25], v[6:7], v[30:31], -v[24:25]
	v_add_f64 v[14:15], v[14:15], v[22:23]
	v_add_f64 v[16:17], v[16:17], v[42:43]
	v_fma_f64 v[18:19], v[8:9], v[30:31], v[18:19]
	ds_load_b128 v[6:9], v1 offset:1600
	s_waitcnt vmcnt(3) lgkmcnt(1)
	v_mul_f64 v[22:23], v[2:3], v[40:41]
	v_mul_f64 v[28:29], v[4:5], v[40:41]
	v_add_f64 v[14:15], v[14:15], v[26:27]
	v_add_f64 v[16:17], v[16:17], v[20:21]
	s_waitcnt vmcnt(2) lgkmcnt(0)
	v_mul_f64 v[20:21], v[6:7], v[159:160]
	v_mul_f64 v[26:27], v[8:9], v[159:160]
	v_fma_f64 v[22:23], v[4:5], v[38:39], v[22:23]
	v_fma_f64 v[28:29], v[2:3], v[38:39], -v[28:29]
	ds_load_b128 v[2:5], v1 offset:1616
	v_add_f64 v[14:15], v[14:15], v[24:25]
	v_add_f64 v[16:17], v[16:17], v[18:19]
	v_fma_f64 v[8:9], v[8:9], v[157:158], v[20:21]
	v_fma_f64 v[6:7], v[6:7], v[157:158], -v[26:27]
	s_waitcnt vmcnt(1) lgkmcnt(0)
	v_mul_f64 v[18:19], v[2:3], v[36:37]
	v_mul_f64 v[24:25], v[4:5], v[36:37]
	v_add_f64 v[14:15], v[14:15], v[28:29]
	v_add_f64 v[16:17], v[16:17], v[22:23]
	s_delay_alu instid0(VALU_DEP_4) | instskip(NEXT) | instid1(VALU_DEP_4)
	v_fma_f64 v[4:5], v[4:5], v[34:35], v[18:19]
	v_fma_f64 v[2:3], v[2:3], v[34:35], -v[24:25]
	s_delay_alu instid0(VALU_DEP_4) | instskip(NEXT) | instid1(VALU_DEP_4)
	v_add_f64 v[6:7], v[14:15], v[6:7]
	v_add_f64 v[8:9], v[16:17], v[8:9]
	s_delay_alu instid0(VALU_DEP_2) | instskip(NEXT) | instid1(VALU_DEP_2)
	v_add_f64 v[2:3], v[6:7], v[2:3]
	v_add_f64 v[4:5], v[8:9], v[4:5]
	s_waitcnt vmcnt(0)
	s_delay_alu instid0(VALU_DEP_2) | instskip(NEXT) | instid1(VALU_DEP_2)
	v_add_f64 v[2:3], v[10:11], -v[2:3]
	v_add_f64 v[4:5], v[12:13], -v[4:5]
	scratch_store_b128 off, v[2:5], off offset:624
	v_cmpx_lt_u32_e32 38, v148
	s_cbranch_execz .LBB114_243
; %bb.242:
	scratch_load_b128 v[5:8], v201, off
	v_mov_b32_e32 v2, v1
	v_mov_b32_e32 v3, v1
	;; [unrolled: 1-line block ×3, first 2 shown]
	scratch_store_b128 off, v[1:4], off offset:608
	s_waitcnt vmcnt(0)
	ds_store_b128 v199, v[5:8]
.LBB114_243:
	s_or_b32 exec_lo, exec_lo, s2
	s_waitcnt lgkmcnt(0)
	s_waitcnt_vscnt null, 0x0
	s_barrier
	buffer_gl0_inv
	s_clause 0x7
	scratch_load_b128 v[2:5], off, off offset:624
	scratch_load_b128 v[6:9], off, off offset:640
	;; [unrolled: 1-line block ×8, first 2 shown]
	ds_load_b128 v[34:37], v1 offset:1440
	ds_load_b128 v[42:45], v1 offset:1456
	s_clause 0x1
	scratch_load_b128 v[38:41], off, off offset:752
	scratch_load_b128 v[157:160], off, off offset:768
	s_mov_b32 s2, exec_lo
	s_waitcnt vmcnt(9) lgkmcnt(1)
	v_mul_f64 v[161:162], v[36:37], v[4:5]
	v_mul_f64 v[4:5], v[34:35], v[4:5]
	s_waitcnt vmcnt(8) lgkmcnt(0)
	v_mul_f64 v[163:164], v[42:43], v[8:9]
	v_mul_f64 v[8:9], v[44:45], v[8:9]
	s_delay_alu instid0(VALU_DEP_4) | instskip(NEXT) | instid1(VALU_DEP_4)
	v_fma_f64 v[161:162], v[34:35], v[2:3], -v[161:162]
	v_fma_f64 v[165:166], v[36:37], v[2:3], v[4:5]
	scratch_load_b128 v[34:37], off, off offset:784
	ds_load_b128 v[2:5], v1 offset:1472
	v_fma_f64 v[163:164], v[44:45], v[6:7], v[163:164]
	v_fma_f64 v[212:213], v[42:43], v[6:7], -v[8:9]
	ds_load_b128 v[6:9], v1 offset:1488
	scratch_load_b128 v[42:45], off, off offset:800
	s_waitcnt vmcnt(9) lgkmcnt(1)
	v_mul_f64 v[167:168], v[2:3], v[12:13]
	v_mul_f64 v[12:13], v[4:5], v[12:13]
	s_waitcnt vmcnt(8) lgkmcnt(0)
	v_mul_f64 v[214:215], v[6:7], v[16:17]
	v_mul_f64 v[16:17], v[8:9], v[16:17]
	v_add_f64 v[161:162], v[161:162], 0
	v_add_f64 v[165:166], v[165:166], 0
	v_fma_f64 v[167:168], v[4:5], v[10:11], v[167:168]
	v_fma_f64 v[10:11], v[2:3], v[10:11], -v[12:13]
	ds_load_b128 v[2:5], v1 offset:1504
	v_add_f64 v[12:13], v[161:162], v[212:213]
	v_add_f64 v[161:162], v[165:166], v[163:164]
	v_fma_f64 v[165:166], v[8:9], v[14:15], v[214:215]
	v_fma_f64 v[14:15], v[6:7], v[14:15], -v[16:17]
	ds_load_b128 v[6:9], v1 offset:1520
	s_waitcnt vmcnt(7) lgkmcnt(1)
	v_mul_f64 v[163:164], v[2:3], v[20:21]
	v_mul_f64 v[20:21], v[4:5], v[20:21]
	s_waitcnt vmcnt(6) lgkmcnt(0)
	v_mul_f64 v[16:17], v[6:7], v[24:25]
	v_mul_f64 v[24:25], v[8:9], v[24:25]
	v_add_f64 v[10:11], v[12:13], v[10:11]
	v_add_f64 v[12:13], v[161:162], v[167:168]
	v_fma_f64 v[161:162], v[4:5], v[18:19], v[163:164]
	v_fma_f64 v[18:19], v[2:3], v[18:19], -v[20:21]
	ds_load_b128 v[2:5], v1 offset:1536
	v_fma_f64 v[16:17], v[8:9], v[22:23], v[16:17]
	v_fma_f64 v[22:23], v[6:7], v[22:23], -v[24:25]
	ds_load_b128 v[6:9], v1 offset:1552
	s_waitcnt vmcnt(5) lgkmcnt(1)
	v_mul_f64 v[163:164], v[2:3], v[28:29]
	v_mul_f64 v[28:29], v[4:5], v[28:29]
	v_add_f64 v[14:15], v[10:11], v[14:15]
	v_add_f64 v[20:21], v[12:13], v[165:166]
	scratch_load_b128 v[10:13], off, off offset:608
	s_waitcnt vmcnt(5) lgkmcnt(0)
	v_mul_f64 v[24:25], v[8:9], v[32:33]
	v_add_f64 v[14:15], v[14:15], v[18:19]
	v_add_f64 v[18:19], v[20:21], v[161:162]
	v_mul_f64 v[20:21], v[6:7], v[32:33]
	v_fma_f64 v[32:33], v[4:5], v[26:27], v[163:164]
	v_fma_f64 v[26:27], v[2:3], v[26:27], -v[28:29]
	ds_load_b128 v[2:5], v1 offset:1568
	v_fma_f64 v[24:25], v[6:7], v[30:31], -v[24:25]
	v_add_f64 v[14:15], v[14:15], v[22:23]
	v_add_f64 v[16:17], v[18:19], v[16:17]
	v_fma_f64 v[20:21], v[8:9], v[30:31], v[20:21]
	ds_load_b128 v[6:9], v1 offset:1584
	s_waitcnt vmcnt(4) lgkmcnt(1)
	v_mul_f64 v[18:19], v[2:3], v[40:41]
	v_mul_f64 v[22:23], v[4:5], v[40:41]
	s_waitcnt vmcnt(3) lgkmcnt(0)
	v_mul_f64 v[28:29], v[8:9], v[159:160]
	v_add_f64 v[14:15], v[14:15], v[26:27]
	v_add_f64 v[16:17], v[16:17], v[32:33]
	v_mul_f64 v[26:27], v[6:7], v[159:160]
	v_fma_f64 v[18:19], v[4:5], v[38:39], v[18:19]
	v_fma_f64 v[22:23], v[2:3], v[38:39], -v[22:23]
	ds_load_b128 v[2:5], v1 offset:1600
	v_fma_f64 v[28:29], v[6:7], v[157:158], -v[28:29]
	v_add_f64 v[14:15], v[14:15], v[24:25]
	v_add_f64 v[16:17], v[16:17], v[20:21]
	v_fma_f64 v[26:27], v[8:9], v[157:158], v[26:27]
	ds_load_b128 v[6:9], v1 offset:1616
	s_waitcnt vmcnt(2) lgkmcnt(1)
	v_mul_f64 v[20:21], v[2:3], v[36:37]
	v_mul_f64 v[24:25], v[4:5], v[36:37]
	v_add_f64 v[14:15], v[14:15], v[22:23]
	v_add_f64 v[16:17], v[16:17], v[18:19]
	s_waitcnt vmcnt(1) lgkmcnt(0)
	v_mul_f64 v[18:19], v[6:7], v[44:45]
	v_mul_f64 v[22:23], v[8:9], v[44:45]
	v_fma_f64 v[4:5], v[4:5], v[34:35], v[20:21]
	v_fma_f64 v[1:2], v[2:3], v[34:35], -v[24:25]
	v_add_f64 v[14:15], v[14:15], v[28:29]
	v_add_f64 v[16:17], v[16:17], v[26:27]
	v_fma_f64 v[8:9], v[8:9], v[42:43], v[18:19]
	v_fma_f64 v[6:7], v[6:7], v[42:43], -v[22:23]
	s_delay_alu instid0(VALU_DEP_4) | instskip(NEXT) | instid1(VALU_DEP_4)
	v_add_f64 v[1:2], v[14:15], v[1:2]
	v_add_f64 v[3:4], v[16:17], v[4:5]
	s_delay_alu instid0(VALU_DEP_2) | instskip(NEXT) | instid1(VALU_DEP_2)
	v_add_f64 v[1:2], v[1:2], v[6:7]
	v_add_f64 v[3:4], v[3:4], v[8:9]
	s_waitcnt vmcnt(0)
	s_delay_alu instid0(VALU_DEP_2) | instskip(NEXT) | instid1(VALU_DEP_2)
	v_add_f64 v[1:2], v[10:11], -v[1:2]
	v_add_f64 v[3:4], v[12:13], -v[3:4]
	scratch_store_b128 off, v[1:4], off offset:608
	v_cmpx_lt_u32_e32 37, v148
	s_cbranch_execz .LBB114_245
; %bb.244:
	scratch_load_b128 v[1:4], v202, off
	v_mov_b32_e32 v5, 0
	s_delay_alu instid0(VALU_DEP_1)
	v_mov_b32_e32 v6, v5
	v_mov_b32_e32 v7, v5
	;; [unrolled: 1-line block ×3, first 2 shown]
	scratch_store_b128 off, v[5:8], off offset:592
	s_waitcnt vmcnt(0)
	ds_store_b128 v199, v[1:4]
.LBB114_245:
	s_or_b32 exec_lo, exec_lo, s2
	s_waitcnt lgkmcnt(0)
	s_waitcnt_vscnt null, 0x0
	s_barrier
	buffer_gl0_inv
	s_clause 0x7
	scratch_load_b128 v[2:5], off, off offset:608
	scratch_load_b128 v[6:9], off, off offset:624
	;; [unrolled: 1-line block ×8, first 2 shown]
	v_mov_b32_e32 v1, 0
	s_mov_b32 s2, exec_lo
	ds_load_b128 v[34:37], v1 offset:1424
	s_clause 0x1
	scratch_load_b128 v[38:41], off, off offset:736
	scratch_load_b128 v[42:45], off, off offset:592
	ds_load_b128 v[157:160], v1 offset:1440
	scratch_load_b128 v[161:164], off, off offset:752
	s_waitcnt vmcnt(10) lgkmcnt(1)
	v_mul_f64 v[165:166], v[36:37], v[4:5]
	v_mul_f64 v[4:5], v[34:35], v[4:5]
	s_delay_alu instid0(VALU_DEP_2) | instskip(NEXT) | instid1(VALU_DEP_2)
	v_fma_f64 v[214:215], v[34:35], v[2:3], -v[165:166]
	v_fma_f64 v[216:217], v[36:37], v[2:3], v[4:5]
	scratch_load_b128 v[34:37], off, off offset:768
	ds_load_b128 v[2:5], v1 offset:1456
	s_waitcnt vmcnt(10) lgkmcnt(1)
	v_mul_f64 v[212:213], v[157:158], v[8:9]
	v_mul_f64 v[8:9], v[159:160], v[8:9]
	ds_load_b128 v[165:168], v1 offset:1472
	s_waitcnt vmcnt(9) lgkmcnt(1)
	v_mul_f64 v[218:219], v[2:3], v[12:13]
	v_mul_f64 v[12:13], v[4:5], v[12:13]
	v_fma_f64 v[159:160], v[159:160], v[6:7], v[212:213]
	v_fma_f64 v[157:158], v[157:158], v[6:7], -v[8:9]
	v_add_f64 v[212:213], v[214:215], 0
	v_add_f64 v[214:215], v[216:217], 0
	scratch_load_b128 v[6:9], off, off offset:784
	v_fma_f64 v[218:219], v[4:5], v[10:11], v[218:219]
	v_fma_f64 v[220:221], v[2:3], v[10:11], -v[12:13]
	scratch_load_b128 v[10:13], off, off offset:800
	ds_load_b128 v[2:5], v1 offset:1488
	s_waitcnt vmcnt(10) lgkmcnt(1)
	v_mul_f64 v[216:217], v[165:166], v[16:17]
	v_mul_f64 v[16:17], v[167:168], v[16:17]
	v_add_f64 v[212:213], v[212:213], v[157:158]
	v_add_f64 v[214:215], v[214:215], v[159:160]
	s_waitcnt vmcnt(9) lgkmcnt(0)
	v_mul_f64 v[222:223], v[2:3], v[20:21]
	v_mul_f64 v[20:21], v[4:5], v[20:21]
	ds_load_b128 v[157:160], v1 offset:1504
	v_fma_f64 v[167:168], v[167:168], v[14:15], v[216:217]
	v_fma_f64 v[14:15], v[165:166], v[14:15], -v[16:17]
	v_add_f64 v[16:17], v[212:213], v[220:221]
	v_add_f64 v[165:166], v[214:215], v[218:219]
	s_waitcnt vmcnt(8) lgkmcnt(0)
	v_mul_f64 v[212:213], v[157:158], v[24:25]
	v_mul_f64 v[24:25], v[159:160], v[24:25]
	v_fma_f64 v[214:215], v[4:5], v[18:19], v[222:223]
	v_fma_f64 v[18:19], v[2:3], v[18:19], -v[20:21]
	v_add_f64 v[20:21], v[16:17], v[14:15]
	v_add_f64 v[165:166], v[165:166], v[167:168]
	ds_load_b128 v[2:5], v1 offset:1520
	ds_load_b128 v[14:17], v1 offset:1536
	v_fma_f64 v[159:160], v[159:160], v[22:23], v[212:213]
	v_fma_f64 v[22:23], v[157:158], v[22:23], -v[24:25]
	s_waitcnt vmcnt(7) lgkmcnt(1)
	v_mul_f64 v[167:168], v[2:3], v[28:29]
	v_mul_f64 v[28:29], v[4:5], v[28:29]
	s_waitcnt vmcnt(6) lgkmcnt(0)
	v_mul_f64 v[24:25], v[14:15], v[32:33]
	v_mul_f64 v[32:33], v[16:17], v[32:33]
	v_add_f64 v[18:19], v[20:21], v[18:19]
	v_add_f64 v[20:21], v[165:166], v[214:215]
	v_fma_f64 v[157:158], v[4:5], v[26:27], v[167:168]
	v_fma_f64 v[26:27], v[2:3], v[26:27], -v[28:29]
	v_fma_f64 v[16:17], v[16:17], v[30:31], v[24:25]
	v_fma_f64 v[14:15], v[14:15], v[30:31], -v[32:33]
	v_add_f64 v[22:23], v[18:19], v[22:23]
	v_add_f64 v[28:29], v[20:21], v[159:160]
	ds_load_b128 v[2:5], v1 offset:1552
	ds_load_b128 v[18:21], v1 offset:1568
	s_waitcnt vmcnt(5) lgkmcnt(1)
	v_mul_f64 v[159:160], v[2:3], v[40:41]
	v_mul_f64 v[40:41], v[4:5], v[40:41]
	v_add_f64 v[22:23], v[22:23], v[26:27]
	v_add_f64 v[24:25], v[28:29], v[157:158]
	s_waitcnt vmcnt(3) lgkmcnt(0)
	v_mul_f64 v[26:27], v[18:19], v[163:164]
	v_mul_f64 v[28:29], v[20:21], v[163:164]
	v_fma_f64 v[30:31], v[4:5], v[38:39], v[159:160]
	v_fma_f64 v[32:33], v[2:3], v[38:39], -v[40:41]
	v_add_f64 v[22:23], v[22:23], v[14:15]
	v_add_f64 v[24:25], v[24:25], v[16:17]
	ds_load_b128 v[2:5], v1 offset:1584
	ds_load_b128 v[14:17], v1 offset:1600
	v_fma_f64 v[20:21], v[20:21], v[161:162], v[26:27]
	v_fma_f64 v[18:19], v[18:19], v[161:162], -v[28:29]
	s_waitcnt vmcnt(2) lgkmcnt(1)
	v_mul_f64 v[38:39], v[2:3], v[36:37]
	v_mul_f64 v[36:37], v[4:5], v[36:37]
	v_add_f64 v[22:23], v[22:23], v[32:33]
	v_add_f64 v[24:25], v[24:25], v[30:31]
	s_waitcnt vmcnt(1) lgkmcnt(0)
	v_mul_f64 v[26:27], v[14:15], v[8:9]
	v_mul_f64 v[8:9], v[16:17], v[8:9]
	v_fma_f64 v[28:29], v[4:5], v[34:35], v[38:39]
	v_fma_f64 v[30:31], v[2:3], v[34:35], -v[36:37]
	ds_load_b128 v[2:5], v1 offset:1616
	v_add_f64 v[18:19], v[22:23], v[18:19]
	v_add_f64 v[20:21], v[24:25], v[20:21]
	s_waitcnt vmcnt(0) lgkmcnt(0)
	v_mul_f64 v[22:23], v[2:3], v[12:13]
	v_mul_f64 v[12:13], v[4:5], v[12:13]
	v_fma_f64 v[16:17], v[16:17], v[6:7], v[26:27]
	v_fma_f64 v[6:7], v[14:15], v[6:7], -v[8:9]
	v_add_f64 v[8:9], v[18:19], v[30:31]
	v_add_f64 v[14:15], v[20:21], v[28:29]
	v_fma_f64 v[4:5], v[4:5], v[10:11], v[22:23]
	v_fma_f64 v[2:3], v[2:3], v[10:11], -v[12:13]
	s_delay_alu instid0(VALU_DEP_4) | instskip(NEXT) | instid1(VALU_DEP_4)
	v_add_f64 v[6:7], v[8:9], v[6:7]
	v_add_f64 v[8:9], v[14:15], v[16:17]
	s_delay_alu instid0(VALU_DEP_2) | instskip(NEXT) | instid1(VALU_DEP_2)
	v_add_f64 v[2:3], v[6:7], v[2:3]
	v_add_f64 v[4:5], v[8:9], v[4:5]
	s_delay_alu instid0(VALU_DEP_2) | instskip(NEXT) | instid1(VALU_DEP_2)
	v_add_f64 v[2:3], v[42:43], -v[2:3]
	v_add_f64 v[4:5], v[44:45], -v[4:5]
	scratch_store_b128 off, v[2:5], off offset:592
	v_cmpx_lt_u32_e32 36, v148
	s_cbranch_execz .LBB114_247
; %bb.246:
	scratch_load_b128 v[5:8], v203, off
	v_mov_b32_e32 v2, v1
	v_mov_b32_e32 v3, v1
	;; [unrolled: 1-line block ×3, first 2 shown]
	scratch_store_b128 off, v[1:4], off offset:576
	s_waitcnt vmcnt(0)
	ds_store_b128 v199, v[5:8]
.LBB114_247:
	s_or_b32 exec_lo, exec_lo, s2
	s_waitcnt lgkmcnt(0)
	s_waitcnt_vscnt null, 0x0
	s_barrier
	buffer_gl0_inv
	s_clause 0x8
	scratch_load_b128 v[2:5], off, off offset:592
	scratch_load_b128 v[6:9], off, off offset:608
	;; [unrolled: 1-line block ×9, first 2 shown]
	ds_load_b128 v[38:41], v1 offset:1408
	ds_load_b128 v[42:45], v1 offset:1424
	s_clause 0x1
	scratch_load_b128 v[157:160], off, off offset:576
	scratch_load_b128 v[161:164], off, off offset:736
	s_mov_b32 s2, exec_lo
	s_waitcnt vmcnt(10) lgkmcnt(1)
	v_mul_f64 v[165:166], v[40:41], v[4:5]
	v_mul_f64 v[4:5], v[38:39], v[4:5]
	s_waitcnt vmcnt(9) lgkmcnt(0)
	v_mul_f64 v[212:213], v[42:43], v[8:9]
	v_mul_f64 v[8:9], v[44:45], v[8:9]
	s_delay_alu instid0(VALU_DEP_4) | instskip(NEXT) | instid1(VALU_DEP_4)
	v_fma_f64 v[214:215], v[38:39], v[2:3], -v[165:166]
	v_fma_f64 v[216:217], v[40:41], v[2:3], v[4:5]
	ds_load_b128 v[2:5], v1 offset:1440
	ds_load_b128 v[165:168], v1 offset:1456
	scratch_load_b128 v[38:41], off, off offset:752
	v_fma_f64 v[44:45], v[44:45], v[6:7], v[212:213]
	v_fma_f64 v[42:43], v[42:43], v[6:7], -v[8:9]
	scratch_load_b128 v[6:9], off, off offset:768
	s_waitcnt vmcnt(10) lgkmcnt(1)
	v_mul_f64 v[218:219], v[2:3], v[12:13]
	v_mul_f64 v[12:13], v[4:5], v[12:13]
	v_add_f64 v[212:213], v[214:215], 0
	v_add_f64 v[214:215], v[216:217], 0
	s_waitcnt vmcnt(9) lgkmcnt(0)
	v_mul_f64 v[216:217], v[165:166], v[16:17]
	v_mul_f64 v[16:17], v[167:168], v[16:17]
	v_fma_f64 v[218:219], v[4:5], v[10:11], v[218:219]
	v_fma_f64 v[220:221], v[2:3], v[10:11], -v[12:13]
	ds_load_b128 v[2:5], v1 offset:1472
	scratch_load_b128 v[10:13], off, off offset:784
	v_add_f64 v[212:213], v[212:213], v[42:43]
	v_add_f64 v[214:215], v[214:215], v[44:45]
	ds_load_b128 v[42:45], v1 offset:1488
	v_fma_f64 v[167:168], v[167:168], v[14:15], v[216:217]
	v_fma_f64 v[165:166], v[165:166], v[14:15], -v[16:17]
	scratch_load_b128 v[14:17], off, off offset:800
	s_waitcnt vmcnt(10) lgkmcnt(1)
	v_mul_f64 v[222:223], v[2:3], v[20:21]
	v_mul_f64 v[20:21], v[4:5], v[20:21]
	s_waitcnt vmcnt(9) lgkmcnt(0)
	v_mul_f64 v[216:217], v[42:43], v[24:25]
	v_mul_f64 v[24:25], v[44:45], v[24:25]
	v_add_f64 v[212:213], v[212:213], v[220:221]
	v_add_f64 v[214:215], v[214:215], v[218:219]
	v_fma_f64 v[218:219], v[4:5], v[18:19], v[222:223]
	v_fma_f64 v[220:221], v[2:3], v[18:19], -v[20:21]
	ds_load_b128 v[2:5], v1 offset:1504
	ds_load_b128 v[18:21], v1 offset:1520
	v_fma_f64 v[44:45], v[44:45], v[22:23], v[216:217]
	v_fma_f64 v[22:23], v[42:43], v[22:23], -v[24:25]
	v_add_f64 v[165:166], v[212:213], v[165:166]
	v_add_f64 v[167:168], v[214:215], v[167:168]
	s_waitcnt vmcnt(8) lgkmcnt(1)
	v_mul_f64 v[212:213], v[2:3], v[28:29]
	v_mul_f64 v[28:29], v[4:5], v[28:29]
	s_delay_alu instid0(VALU_DEP_4) | instskip(NEXT) | instid1(VALU_DEP_4)
	v_add_f64 v[24:25], v[165:166], v[220:221]
	v_add_f64 v[42:43], v[167:168], v[218:219]
	s_waitcnt vmcnt(7) lgkmcnt(0)
	v_mul_f64 v[165:166], v[18:19], v[32:33]
	v_mul_f64 v[32:33], v[20:21], v[32:33]
	v_fma_f64 v[167:168], v[4:5], v[26:27], v[212:213]
	v_fma_f64 v[26:27], v[2:3], v[26:27], -v[28:29]
	v_add_f64 v[28:29], v[24:25], v[22:23]
	v_add_f64 v[42:43], v[42:43], v[44:45]
	ds_load_b128 v[2:5], v1 offset:1536
	ds_load_b128 v[22:25], v1 offset:1552
	v_fma_f64 v[20:21], v[20:21], v[30:31], v[165:166]
	v_fma_f64 v[18:19], v[18:19], v[30:31], -v[32:33]
	s_waitcnt vmcnt(6) lgkmcnt(1)
	v_mul_f64 v[44:45], v[2:3], v[36:37]
	v_mul_f64 v[36:37], v[4:5], v[36:37]
	s_waitcnt vmcnt(4) lgkmcnt(0)
	v_mul_f64 v[30:31], v[22:23], v[163:164]
	v_mul_f64 v[32:33], v[24:25], v[163:164]
	v_add_f64 v[26:27], v[28:29], v[26:27]
	v_add_f64 v[28:29], v[42:43], v[167:168]
	v_fma_f64 v[42:43], v[4:5], v[34:35], v[44:45]
	v_fma_f64 v[34:35], v[2:3], v[34:35], -v[36:37]
	v_fma_f64 v[24:25], v[24:25], v[161:162], v[30:31]
	v_fma_f64 v[22:23], v[22:23], v[161:162], -v[32:33]
	v_add_f64 v[26:27], v[26:27], v[18:19]
	v_add_f64 v[28:29], v[28:29], v[20:21]
	ds_load_b128 v[2:5], v1 offset:1568
	ds_load_b128 v[18:21], v1 offset:1584
	s_waitcnt vmcnt(3) lgkmcnt(1)
	v_mul_f64 v[36:37], v[2:3], v[40:41]
	v_mul_f64 v[40:41], v[4:5], v[40:41]
	s_waitcnt vmcnt(2) lgkmcnt(0)
	v_mul_f64 v[30:31], v[18:19], v[8:9]
	v_mul_f64 v[8:9], v[20:21], v[8:9]
	v_add_f64 v[26:27], v[26:27], v[34:35]
	v_add_f64 v[28:29], v[28:29], v[42:43]
	v_fma_f64 v[32:33], v[4:5], v[38:39], v[36:37]
	v_fma_f64 v[34:35], v[2:3], v[38:39], -v[40:41]
	v_fma_f64 v[20:21], v[20:21], v[6:7], v[30:31]
	v_fma_f64 v[6:7], v[18:19], v[6:7], -v[8:9]
	v_add_f64 v[26:27], v[26:27], v[22:23]
	v_add_f64 v[28:29], v[28:29], v[24:25]
	ds_load_b128 v[2:5], v1 offset:1600
	ds_load_b128 v[22:25], v1 offset:1616
	s_waitcnt vmcnt(1) lgkmcnt(1)
	v_mul_f64 v[36:37], v[2:3], v[12:13]
	v_mul_f64 v[12:13], v[4:5], v[12:13]
	v_add_f64 v[8:9], v[26:27], v[34:35]
	v_add_f64 v[18:19], v[28:29], v[32:33]
	s_waitcnt vmcnt(0) lgkmcnt(0)
	v_mul_f64 v[26:27], v[22:23], v[16:17]
	v_mul_f64 v[16:17], v[24:25], v[16:17]
	v_fma_f64 v[4:5], v[4:5], v[10:11], v[36:37]
	v_fma_f64 v[1:2], v[2:3], v[10:11], -v[12:13]
	v_add_f64 v[6:7], v[8:9], v[6:7]
	v_add_f64 v[8:9], v[18:19], v[20:21]
	v_fma_f64 v[10:11], v[24:25], v[14:15], v[26:27]
	v_fma_f64 v[12:13], v[22:23], v[14:15], -v[16:17]
	s_delay_alu instid0(VALU_DEP_4) | instskip(NEXT) | instid1(VALU_DEP_4)
	v_add_f64 v[1:2], v[6:7], v[1:2]
	v_add_f64 v[3:4], v[8:9], v[4:5]
	s_delay_alu instid0(VALU_DEP_2) | instskip(NEXT) | instid1(VALU_DEP_2)
	v_add_f64 v[1:2], v[1:2], v[12:13]
	v_add_f64 v[3:4], v[3:4], v[10:11]
	s_delay_alu instid0(VALU_DEP_2) | instskip(NEXT) | instid1(VALU_DEP_2)
	v_add_f64 v[1:2], v[157:158], -v[1:2]
	v_add_f64 v[3:4], v[159:160], -v[3:4]
	scratch_store_b128 off, v[1:4], off offset:576
	v_cmpx_lt_u32_e32 35, v148
	s_cbranch_execz .LBB114_249
; %bb.248:
	scratch_load_b128 v[1:4], v204, off
	v_mov_b32_e32 v5, 0
	s_delay_alu instid0(VALU_DEP_1)
	v_mov_b32_e32 v6, v5
	v_mov_b32_e32 v7, v5
	;; [unrolled: 1-line block ×3, first 2 shown]
	scratch_store_b128 off, v[5:8], off offset:560
	s_waitcnt vmcnt(0)
	ds_store_b128 v199, v[1:4]
.LBB114_249:
	s_or_b32 exec_lo, exec_lo, s2
	s_waitcnt lgkmcnt(0)
	s_waitcnt_vscnt null, 0x0
	s_barrier
	buffer_gl0_inv
	s_clause 0x7
	scratch_load_b128 v[2:5], off, off offset:576
	scratch_load_b128 v[6:9], off, off offset:592
	;; [unrolled: 1-line block ×8, first 2 shown]
	v_mov_b32_e32 v1, 0
	s_mov_b32 s2, exec_lo
	ds_load_b128 v[34:37], v1 offset:1392
	s_clause 0x1
	scratch_load_b128 v[38:41], off, off offset:704
	scratch_load_b128 v[42:45], off, off offset:560
	ds_load_b128 v[157:160], v1 offset:1408
	scratch_load_b128 v[161:164], off, off offset:720
	s_waitcnt vmcnt(10) lgkmcnt(1)
	v_mul_f64 v[165:166], v[36:37], v[4:5]
	v_mul_f64 v[4:5], v[34:35], v[4:5]
	s_delay_alu instid0(VALU_DEP_2) | instskip(NEXT) | instid1(VALU_DEP_2)
	v_fma_f64 v[214:215], v[34:35], v[2:3], -v[165:166]
	v_fma_f64 v[216:217], v[36:37], v[2:3], v[4:5]
	scratch_load_b128 v[34:37], off, off offset:736
	ds_load_b128 v[2:5], v1 offset:1424
	s_waitcnt vmcnt(10) lgkmcnt(1)
	v_mul_f64 v[212:213], v[157:158], v[8:9]
	v_mul_f64 v[8:9], v[159:160], v[8:9]
	ds_load_b128 v[165:168], v1 offset:1440
	s_waitcnt vmcnt(9) lgkmcnt(1)
	v_mul_f64 v[218:219], v[2:3], v[12:13]
	v_mul_f64 v[12:13], v[4:5], v[12:13]
	v_fma_f64 v[159:160], v[159:160], v[6:7], v[212:213]
	v_fma_f64 v[157:158], v[157:158], v[6:7], -v[8:9]
	v_add_f64 v[212:213], v[214:215], 0
	v_add_f64 v[214:215], v[216:217], 0
	scratch_load_b128 v[6:9], off, off offset:752
	v_fma_f64 v[218:219], v[4:5], v[10:11], v[218:219]
	v_fma_f64 v[220:221], v[2:3], v[10:11], -v[12:13]
	scratch_load_b128 v[10:13], off, off offset:768
	ds_load_b128 v[2:5], v1 offset:1456
	s_waitcnt vmcnt(10) lgkmcnt(1)
	v_mul_f64 v[216:217], v[165:166], v[16:17]
	v_mul_f64 v[16:17], v[167:168], v[16:17]
	v_add_f64 v[212:213], v[212:213], v[157:158]
	v_add_f64 v[214:215], v[214:215], v[159:160]
	s_waitcnt vmcnt(9) lgkmcnt(0)
	v_mul_f64 v[222:223], v[2:3], v[20:21]
	v_mul_f64 v[20:21], v[4:5], v[20:21]
	ds_load_b128 v[157:160], v1 offset:1472
	v_fma_f64 v[167:168], v[167:168], v[14:15], v[216:217]
	v_fma_f64 v[165:166], v[165:166], v[14:15], -v[16:17]
	scratch_load_b128 v[14:17], off, off offset:784
	v_add_f64 v[212:213], v[212:213], v[220:221]
	v_add_f64 v[214:215], v[214:215], v[218:219]
	v_fma_f64 v[218:219], v[4:5], v[18:19], v[222:223]
	v_fma_f64 v[220:221], v[2:3], v[18:19], -v[20:21]
	scratch_load_b128 v[18:21], off, off offset:800
	ds_load_b128 v[2:5], v1 offset:1488
	s_waitcnt vmcnt(10) lgkmcnt(1)
	v_mul_f64 v[216:217], v[157:158], v[24:25]
	v_mul_f64 v[24:25], v[159:160], v[24:25]
	s_waitcnt vmcnt(9) lgkmcnt(0)
	v_mul_f64 v[222:223], v[2:3], v[28:29]
	v_mul_f64 v[28:29], v[4:5], v[28:29]
	v_add_f64 v[212:213], v[212:213], v[165:166]
	v_add_f64 v[214:215], v[214:215], v[167:168]
	ds_load_b128 v[165:168], v1 offset:1504
	v_fma_f64 v[159:160], v[159:160], v[22:23], v[216:217]
	v_fma_f64 v[22:23], v[157:158], v[22:23], -v[24:25]
	v_add_f64 v[24:25], v[212:213], v[220:221]
	v_add_f64 v[157:158], v[214:215], v[218:219]
	s_waitcnt vmcnt(8) lgkmcnt(0)
	v_mul_f64 v[212:213], v[165:166], v[32:33]
	v_mul_f64 v[32:33], v[167:168], v[32:33]
	v_fma_f64 v[214:215], v[4:5], v[26:27], v[222:223]
	v_fma_f64 v[26:27], v[2:3], v[26:27], -v[28:29]
	v_add_f64 v[28:29], v[24:25], v[22:23]
	v_add_f64 v[157:158], v[157:158], v[159:160]
	ds_load_b128 v[2:5], v1 offset:1520
	ds_load_b128 v[22:25], v1 offset:1536
	v_fma_f64 v[167:168], v[167:168], v[30:31], v[212:213]
	v_fma_f64 v[30:31], v[165:166], v[30:31], -v[32:33]
	s_waitcnt vmcnt(7) lgkmcnt(1)
	v_mul_f64 v[159:160], v[2:3], v[40:41]
	v_mul_f64 v[40:41], v[4:5], v[40:41]
	s_waitcnt vmcnt(5) lgkmcnt(0)
	v_mul_f64 v[32:33], v[22:23], v[163:164]
	v_add_f64 v[26:27], v[28:29], v[26:27]
	v_add_f64 v[28:29], v[157:158], v[214:215]
	v_mul_f64 v[157:158], v[24:25], v[163:164]
	v_fma_f64 v[159:160], v[4:5], v[38:39], v[159:160]
	v_fma_f64 v[38:39], v[2:3], v[38:39], -v[40:41]
	v_fma_f64 v[24:25], v[24:25], v[161:162], v[32:33]
	v_add_f64 v[30:31], v[26:27], v[30:31]
	v_add_f64 v[40:41], v[28:29], v[167:168]
	ds_load_b128 v[2:5], v1 offset:1552
	ds_load_b128 v[26:29], v1 offset:1568
	v_fma_f64 v[22:23], v[22:23], v[161:162], -v[157:158]
	s_waitcnt vmcnt(4) lgkmcnt(1)
	v_mul_f64 v[163:164], v[2:3], v[36:37]
	v_mul_f64 v[36:37], v[4:5], v[36:37]
	v_add_f64 v[30:31], v[30:31], v[38:39]
	v_add_f64 v[32:33], v[40:41], v[159:160]
	s_waitcnt vmcnt(3) lgkmcnt(0)
	v_mul_f64 v[38:39], v[26:27], v[8:9]
	v_mul_f64 v[8:9], v[28:29], v[8:9]
	v_fma_f64 v[40:41], v[4:5], v[34:35], v[163:164]
	v_fma_f64 v[34:35], v[2:3], v[34:35], -v[36:37]
	v_add_f64 v[30:31], v[30:31], v[22:23]
	v_add_f64 v[32:33], v[32:33], v[24:25]
	ds_load_b128 v[2:5], v1 offset:1584
	ds_load_b128 v[22:25], v1 offset:1600
	v_fma_f64 v[28:29], v[28:29], v[6:7], v[38:39]
	v_fma_f64 v[6:7], v[26:27], v[6:7], -v[8:9]
	s_waitcnt vmcnt(2) lgkmcnt(1)
	v_mul_f64 v[36:37], v[2:3], v[12:13]
	v_mul_f64 v[12:13], v[4:5], v[12:13]
	v_add_f64 v[8:9], v[30:31], v[34:35]
	v_add_f64 v[26:27], v[32:33], v[40:41]
	s_waitcnt vmcnt(1) lgkmcnt(0)
	v_mul_f64 v[30:31], v[22:23], v[16:17]
	v_mul_f64 v[16:17], v[24:25], v[16:17]
	v_fma_f64 v[32:33], v[4:5], v[10:11], v[36:37]
	v_fma_f64 v[10:11], v[2:3], v[10:11], -v[12:13]
	ds_load_b128 v[2:5], v1 offset:1616
	v_add_f64 v[6:7], v[8:9], v[6:7]
	v_add_f64 v[8:9], v[26:27], v[28:29]
	v_fma_f64 v[24:25], v[24:25], v[14:15], v[30:31]
	v_fma_f64 v[14:15], v[22:23], v[14:15], -v[16:17]
	s_waitcnt vmcnt(0) lgkmcnt(0)
	v_mul_f64 v[12:13], v[2:3], v[20:21]
	v_mul_f64 v[20:21], v[4:5], v[20:21]
	v_add_f64 v[6:7], v[6:7], v[10:11]
	v_add_f64 v[8:9], v[8:9], v[32:33]
	s_delay_alu instid0(VALU_DEP_4) | instskip(NEXT) | instid1(VALU_DEP_4)
	v_fma_f64 v[4:5], v[4:5], v[18:19], v[12:13]
	v_fma_f64 v[2:3], v[2:3], v[18:19], -v[20:21]
	s_delay_alu instid0(VALU_DEP_4) | instskip(NEXT) | instid1(VALU_DEP_4)
	v_add_f64 v[6:7], v[6:7], v[14:15]
	v_add_f64 v[8:9], v[8:9], v[24:25]
	s_delay_alu instid0(VALU_DEP_2) | instskip(NEXT) | instid1(VALU_DEP_2)
	v_add_f64 v[2:3], v[6:7], v[2:3]
	v_add_f64 v[4:5], v[8:9], v[4:5]
	s_delay_alu instid0(VALU_DEP_2) | instskip(NEXT) | instid1(VALU_DEP_2)
	v_add_f64 v[2:3], v[42:43], -v[2:3]
	v_add_f64 v[4:5], v[44:45], -v[4:5]
	scratch_store_b128 off, v[2:5], off offset:560
	v_cmpx_lt_u32_e32 34, v148
	s_cbranch_execz .LBB114_251
; %bb.250:
	scratch_load_b128 v[5:8], v205, off
	v_mov_b32_e32 v2, v1
	v_mov_b32_e32 v3, v1
	;; [unrolled: 1-line block ×3, first 2 shown]
	scratch_store_b128 off, v[1:4], off offset:544
	s_waitcnt vmcnt(0)
	ds_store_b128 v199, v[5:8]
.LBB114_251:
	s_or_b32 exec_lo, exec_lo, s2
	s_waitcnt lgkmcnt(0)
	s_waitcnt_vscnt null, 0x0
	s_barrier
	buffer_gl0_inv
	s_clause 0x8
	scratch_load_b128 v[2:5], off, off offset:560
	scratch_load_b128 v[6:9], off, off offset:576
	;; [unrolled: 1-line block ×9, first 2 shown]
	ds_load_b128 v[38:41], v1 offset:1376
	ds_load_b128 v[42:45], v1 offset:1392
	s_clause 0x1
	scratch_load_b128 v[157:160], off, off offset:544
	scratch_load_b128 v[161:164], off, off offset:704
	s_mov_b32 s2, exec_lo
	s_waitcnt vmcnt(10) lgkmcnt(1)
	v_mul_f64 v[165:166], v[40:41], v[4:5]
	v_mul_f64 v[4:5], v[38:39], v[4:5]
	s_waitcnt vmcnt(9) lgkmcnt(0)
	v_mul_f64 v[212:213], v[42:43], v[8:9]
	v_mul_f64 v[8:9], v[44:45], v[8:9]
	s_delay_alu instid0(VALU_DEP_4) | instskip(NEXT) | instid1(VALU_DEP_4)
	v_fma_f64 v[214:215], v[38:39], v[2:3], -v[165:166]
	v_fma_f64 v[216:217], v[40:41], v[2:3], v[4:5]
	ds_load_b128 v[2:5], v1 offset:1408
	ds_load_b128 v[165:168], v1 offset:1424
	scratch_load_b128 v[38:41], off, off offset:720
	v_fma_f64 v[44:45], v[44:45], v[6:7], v[212:213]
	v_fma_f64 v[42:43], v[42:43], v[6:7], -v[8:9]
	scratch_load_b128 v[6:9], off, off offset:736
	s_waitcnt vmcnt(10) lgkmcnt(1)
	v_mul_f64 v[218:219], v[2:3], v[12:13]
	v_mul_f64 v[12:13], v[4:5], v[12:13]
	v_add_f64 v[212:213], v[214:215], 0
	v_add_f64 v[214:215], v[216:217], 0
	s_waitcnt vmcnt(9) lgkmcnt(0)
	v_mul_f64 v[216:217], v[165:166], v[16:17]
	v_mul_f64 v[16:17], v[167:168], v[16:17]
	v_fma_f64 v[218:219], v[4:5], v[10:11], v[218:219]
	v_fma_f64 v[220:221], v[2:3], v[10:11], -v[12:13]
	ds_load_b128 v[2:5], v1 offset:1440
	scratch_load_b128 v[10:13], off, off offset:752
	v_add_f64 v[212:213], v[212:213], v[42:43]
	v_add_f64 v[214:215], v[214:215], v[44:45]
	ds_load_b128 v[42:45], v1 offset:1456
	v_fma_f64 v[167:168], v[167:168], v[14:15], v[216:217]
	v_fma_f64 v[165:166], v[165:166], v[14:15], -v[16:17]
	scratch_load_b128 v[14:17], off, off offset:768
	s_waitcnt vmcnt(10) lgkmcnt(1)
	v_mul_f64 v[222:223], v[2:3], v[20:21]
	v_mul_f64 v[20:21], v[4:5], v[20:21]
	s_waitcnt vmcnt(9) lgkmcnt(0)
	v_mul_f64 v[216:217], v[42:43], v[24:25]
	v_mul_f64 v[24:25], v[44:45], v[24:25]
	v_add_f64 v[212:213], v[212:213], v[220:221]
	v_add_f64 v[214:215], v[214:215], v[218:219]
	v_fma_f64 v[218:219], v[4:5], v[18:19], v[222:223]
	v_fma_f64 v[220:221], v[2:3], v[18:19], -v[20:21]
	ds_load_b128 v[2:5], v1 offset:1472
	scratch_load_b128 v[18:21], off, off offset:784
	v_fma_f64 v[44:45], v[44:45], v[22:23], v[216:217]
	v_fma_f64 v[42:43], v[42:43], v[22:23], -v[24:25]
	scratch_load_b128 v[22:25], off, off offset:800
	v_add_f64 v[212:213], v[212:213], v[165:166]
	v_add_f64 v[214:215], v[214:215], v[167:168]
	ds_load_b128 v[165:168], v1 offset:1488
	s_waitcnt vmcnt(10) lgkmcnt(1)
	v_mul_f64 v[222:223], v[2:3], v[28:29]
	v_mul_f64 v[28:29], v[4:5], v[28:29]
	s_waitcnt vmcnt(9) lgkmcnt(0)
	v_mul_f64 v[216:217], v[165:166], v[32:33]
	v_mul_f64 v[32:33], v[167:168], v[32:33]
	v_add_f64 v[212:213], v[212:213], v[220:221]
	v_add_f64 v[214:215], v[214:215], v[218:219]
	v_fma_f64 v[218:219], v[4:5], v[26:27], v[222:223]
	v_fma_f64 v[220:221], v[2:3], v[26:27], -v[28:29]
	ds_load_b128 v[2:5], v1 offset:1504
	ds_load_b128 v[26:29], v1 offset:1520
	v_fma_f64 v[167:168], v[167:168], v[30:31], v[216:217]
	v_fma_f64 v[30:31], v[165:166], v[30:31], -v[32:33]
	v_add_f64 v[42:43], v[212:213], v[42:43]
	v_add_f64 v[44:45], v[214:215], v[44:45]
	s_waitcnt vmcnt(8) lgkmcnt(1)
	v_mul_f64 v[212:213], v[2:3], v[36:37]
	v_mul_f64 v[36:37], v[4:5], v[36:37]
	s_delay_alu instid0(VALU_DEP_4) | instskip(NEXT) | instid1(VALU_DEP_4)
	v_add_f64 v[32:33], v[42:43], v[220:221]
	v_add_f64 v[42:43], v[44:45], v[218:219]
	s_waitcnt vmcnt(6) lgkmcnt(0)
	v_mul_f64 v[44:45], v[26:27], v[163:164]
	v_mul_f64 v[163:164], v[28:29], v[163:164]
	v_fma_f64 v[165:166], v[4:5], v[34:35], v[212:213]
	v_fma_f64 v[34:35], v[2:3], v[34:35], -v[36:37]
	v_add_f64 v[36:37], v[32:33], v[30:31]
	v_add_f64 v[42:43], v[42:43], v[167:168]
	ds_load_b128 v[2:5], v1 offset:1536
	ds_load_b128 v[30:33], v1 offset:1552
	v_fma_f64 v[28:29], v[28:29], v[161:162], v[44:45]
	v_fma_f64 v[26:27], v[26:27], v[161:162], -v[163:164]
	s_waitcnt vmcnt(5) lgkmcnt(1)
	v_mul_f64 v[167:168], v[2:3], v[40:41]
	v_mul_f64 v[40:41], v[4:5], v[40:41]
	v_add_f64 v[34:35], v[36:37], v[34:35]
	v_add_f64 v[36:37], v[42:43], v[165:166]
	s_waitcnt vmcnt(4) lgkmcnt(0)
	v_mul_f64 v[42:43], v[30:31], v[8:9]
	v_mul_f64 v[8:9], v[32:33], v[8:9]
	v_fma_f64 v[44:45], v[4:5], v[38:39], v[167:168]
	v_fma_f64 v[38:39], v[2:3], v[38:39], -v[40:41]
	v_add_f64 v[34:35], v[34:35], v[26:27]
	v_add_f64 v[36:37], v[36:37], v[28:29]
	ds_load_b128 v[2:5], v1 offset:1568
	ds_load_b128 v[26:29], v1 offset:1584
	v_fma_f64 v[32:33], v[32:33], v[6:7], v[42:43]
	v_fma_f64 v[6:7], v[30:31], v[6:7], -v[8:9]
	s_waitcnt vmcnt(3) lgkmcnt(1)
	v_mul_f64 v[40:41], v[2:3], v[12:13]
	v_mul_f64 v[12:13], v[4:5], v[12:13]
	;; [unrolled: 16-line block ×3, first 2 shown]
	s_waitcnt vmcnt(0) lgkmcnt(0)
	v_mul_f64 v[16:17], v[6:7], v[24:25]
	v_mul_f64 v[24:25], v[8:9], v[24:25]
	v_add_f64 v[10:11], v[12:13], v[10:11]
	v_add_f64 v[12:13], v[30:31], v[36:37]
	v_fma_f64 v[4:5], v[4:5], v[18:19], v[32:33]
	v_fma_f64 v[1:2], v[2:3], v[18:19], -v[20:21]
	v_fma_f64 v[8:9], v[8:9], v[22:23], v[16:17]
	v_fma_f64 v[6:7], v[6:7], v[22:23], -v[24:25]
	v_add_f64 v[10:11], v[10:11], v[14:15]
	v_add_f64 v[12:13], v[12:13], v[28:29]
	s_delay_alu instid0(VALU_DEP_2) | instskip(NEXT) | instid1(VALU_DEP_2)
	v_add_f64 v[1:2], v[10:11], v[1:2]
	v_add_f64 v[3:4], v[12:13], v[4:5]
	s_delay_alu instid0(VALU_DEP_2) | instskip(NEXT) | instid1(VALU_DEP_2)
	;; [unrolled: 3-line block ×3, first 2 shown]
	v_add_f64 v[1:2], v[157:158], -v[1:2]
	v_add_f64 v[3:4], v[159:160], -v[3:4]
	scratch_store_b128 off, v[1:4], off offset:544
	v_cmpx_lt_u32_e32 33, v148
	s_cbranch_execz .LBB114_253
; %bb.252:
	scratch_load_b128 v[1:4], v206, off
	v_mov_b32_e32 v5, 0
	s_delay_alu instid0(VALU_DEP_1)
	v_mov_b32_e32 v6, v5
	v_mov_b32_e32 v7, v5
	;; [unrolled: 1-line block ×3, first 2 shown]
	scratch_store_b128 off, v[5:8], off offset:528
	s_waitcnt vmcnt(0)
	ds_store_b128 v199, v[1:4]
.LBB114_253:
	s_or_b32 exec_lo, exec_lo, s2
	s_waitcnt lgkmcnt(0)
	s_waitcnt_vscnt null, 0x0
	s_barrier
	buffer_gl0_inv
	s_clause 0x7
	scratch_load_b128 v[2:5], off, off offset:544
	scratch_load_b128 v[6:9], off, off offset:560
	;; [unrolled: 1-line block ×8, first 2 shown]
	v_mov_b32_e32 v1, 0
	s_mov_b32 s2, exec_lo
	ds_load_b128 v[34:37], v1 offset:1360
	s_clause 0x1
	scratch_load_b128 v[38:41], off, off offset:672
	scratch_load_b128 v[42:45], off, off offset:528
	ds_load_b128 v[157:160], v1 offset:1376
	scratch_load_b128 v[161:164], off, off offset:688
	s_waitcnt vmcnt(10) lgkmcnt(1)
	v_mul_f64 v[165:166], v[36:37], v[4:5]
	v_mul_f64 v[4:5], v[34:35], v[4:5]
	s_delay_alu instid0(VALU_DEP_2) | instskip(NEXT) | instid1(VALU_DEP_2)
	v_fma_f64 v[214:215], v[34:35], v[2:3], -v[165:166]
	v_fma_f64 v[216:217], v[36:37], v[2:3], v[4:5]
	scratch_load_b128 v[34:37], off, off offset:704
	ds_load_b128 v[2:5], v1 offset:1392
	s_waitcnt vmcnt(10) lgkmcnt(1)
	v_mul_f64 v[212:213], v[157:158], v[8:9]
	v_mul_f64 v[8:9], v[159:160], v[8:9]
	ds_load_b128 v[165:168], v1 offset:1408
	s_waitcnt vmcnt(9) lgkmcnt(1)
	v_mul_f64 v[218:219], v[2:3], v[12:13]
	v_mul_f64 v[12:13], v[4:5], v[12:13]
	v_fma_f64 v[159:160], v[159:160], v[6:7], v[212:213]
	v_fma_f64 v[157:158], v[157:158], v[6:7], -v[8:9]
	v_add_f64 v[212:213], v[214:215], 0
	v_add_f64 v[214:215], v[216:217], 0
	scratch_load_b128 v[6:9], off, off offset:720
	v_fma_f64 v[218:219], v[4:5], v[10:11], v[218:219]
	v_fma_f64 v[220:221], v[2:3], v[10:11], -v[12:13]
	scratch_load_b128 v[10:13], off, off offset:736
	ds_load_b128 v[2:5], v1 offset:1424
	s_waitcnt vmcnt(10) lgkmcnt(1)
	v_mul_f64 v[216:217], v[165:166], v[16:17]
	v_mul_f64 v[16:17], v[167:168], v[16:17]
	v_add_f64 v[212:213], v[212:213], v[157:158]
	v_add_f64 v[214:215], v[214:215], v[159:160]
	s_waitcnt vmcnt(9) lgkmcnt(0)
	v_mul_f64 v[222:223], v[2:3], v[20:21]
	v_mul_f64 v[20:21], v[4:5], v[20:21]
	ds_load_b128 v[157:160], v1 offset:1440
	v_fma_f64 v[167:168], v[167:168], v[14:15], v[216:217]
	v_fma_f64 v[165:166], v[165:166], v[14:15], -v[16:17]
	scratch_load_b128 v[14:17], off, off offset:752
	v_add_f64 v[212:213], v[212:213], v[220:221]
	v_add_f64 v[214:215], v[214:215], v[218:219]
	v_fma_f64 v[218:219], v[4:5], v[18:19], v[222:223]
	v_fma_f64 v[220:221], v[2:3], v[18:19], -v[20:21]
	scratch_load_b128 v[18:21], off, off offset:768
	ds_load_b128 v[2:5], v1 offset:1456
	s_waitcnt vmcnt(10) lgkmcnt(1)
	v_mul_f64 v[216:217], v[157:158], v[24:25]
	v_mul_f64 v[24:25], v[159:160], v[24:25]
	s_waitcnt vmcnt(9) lgkmcnt(0)
	v_mul_f64 v[222:223], v[2:3], v[28:29]
	v_mul_f64 v[28:29], v[4:5], v[28:29]
	v_add_f64 v[212:213], v[212:213], v[165:166]
	v_add_f64 v[214:215], v[214:215], v[167:168]
	ds_load_b128 v[165:168], v1 offset:1472
	v_fma_f64 v[159:160], v[159:160], v[22:23], v[216:217]
	v_fma_f64 v[157:158], v[157:158], v[22:23], -v[24:25]
	scratch_load_b128 v[22:25], off, off offset:784
	v_add_f64 v[212:213], v[212:213], v[220:221]
	v_add_f64 v[214:215], v[214:215], v[218:219]
	v_fma_f64 v[218:219], v[4:5], v[26:27], v[222:223]
	v_fma_f64 v[220:221], v[2:3], v[26:27], -v[28:29]
	scratch_load_b128 v[26:29], off, off offset:800
	ds_load_b128 v[2:5], v1 offset:1488
	s_waitcnt vmcnt(10) lgkmcnt(1)
	v_mul_f64 v[216:217], v[165:166], v[32:33]
	v_mul_f64 v[32:33], v[167:168], v[32:33]
	s_waitcnt vmcnt(9) lgkmcnt(0)
	v_mul_f64 v[222:223], v[2:3], v[40:41]
	v_mul_f64 v[40:41], v[4:5], v[40:41]
	v_add_f64 v[212:213], v[212:213], v[157:158]
	v_add_f64 v[214:215], v[214:215], v[159:160]
	ds_load_b128 v[157:160], v1 offset:1504
	v_fma_f64 v[167:168], v[167:168], v[30:31], v[216:217]
	v_fma_f64 v[30:31], v[165:166], v[30:31], -v[32:33]
	v_add_f64 v[32:33], v[212:213], v[220:221]
	v_add_f64 v[165:166], v[214:215], v[218:219]
	s_waitcnt vmcnt(7) lgkmcnt(0)
	v_mul_f64 v[212:213], v[157:158], v[163:164]
	v_mul_f64 v[163:164], v[159:160], v[163:164]
	v_fma_f64 v[214:215], v[4:5], v[38:39], v[222:223]
	v_fma_f64 v[38:39], v[2:3], v[38:39], -v[40:41]
	v_add_f64 v[40:41], v[32:33], v[30:31]
	v_add_f64 v[165:166], v[165:166], v[167:168]
	ds_load_b128 v[2:5], v1 offset:1520
	ds_load_b128 v[30:33], v1 offset:1536
	v_fma_f64 v[159:160], v[159:160], v[161:162], v[212:213]
	v_fma_f64 v[157:158], v[157:158], v[161:162], -v[163:164]
	s_waitcnt vmcnt(6) lgkmcnt(1)
	v_mul_f64 v[167:168], v[2:3], v[36:37]
	v_mul_f64 v[36:37], v[4:5], v[36:37]
	v_add_f64 v[38:39], v[40:41], v[38:39]
	v_add_f64 v[40:41], v[165:166], v[214:215]
	s_waitcnt vmcnt(5) lgkmcnt(0)
	v_mul_f64 v[161:162], v[30:31], v[8:9]
	v_mul_f64 v[8:9], v[32:33], v[8:9]
	v_fma_f64 v[163:164], v[4:5], v[34:35], v[167:168]
	v_fma_f64 v[165:166], v[2:3], v[34:35], -v[36:37]
	ds_load_b128 v[2:5], v1 offset:1552
	ds_load_b128 v[34:37], v1 offset:1568
	v_add_f64 v[38:39], v[38:39], v[157:158]
	v_add_f64 v[40:41], v[40:41], v[159:160]
	s_waitcnt vmcnt(4) lgkmcnt(1)
	v_mul_f64 v[157:158], v[2:3], v[12:13]
	v_mul_f64 v[12:13], v[4:5], v[12:13]
	v_fma_f64 v[32:33], v[32:33], v[6:7], v[161:162]
	v_fma_f64 v[6:7], v[30:31], v[6:7], -v[8:9]
	v_add_f64 v[8:9], v[38:39], v[165:166]
	v_add_f64 v[30:31], v[40:41], v[163:164]
	s_waitcnt vmcnt(3) lgkmcnt(0)
	v_mul_f64 v[38:39], v[34:35], v[16:17]
	v_mul_f64 v[16:17], v[36:37], v[16:17]
	v_fma_f64 v[40:41], v[4:5], v[10:11], v[157:158]
	v_fma_f64 v[10:11], v[2:3], v[10:11], -v[12:13]
	v_add_f64 v[12:13], v[8:9], v[6:7]
	v_add_f64 v[30:31], v[30:31], v[32:33]
	ds_load_b128 v[2:5], v1 offset:1584
	ds_load_b128 v[6:9], v1 offset:1600
	v_fma_f64 v[36:37], v[36:37], v[14:15], v[38:39]
	v_fma_f64 v[14:15], v[34:35], v[14:15], -v[16:17]
	s_waitcnt vmcnt(2) lgkmcnt(1)
	v_mul_f64 v[32:33], v[2:3], v[20:21]
	v_mul_f64 v[20:21], v[4:5], v[20:21]
	s_waitcnt vmcnt(1) lgkmcnt(0)
	v_mul_f64 v[16:17], v[6:7], v[24:25]
	v_mul_f64 v[24:25], v[8:9], v[24:25]
	v_add_f64 v[10:11], v[12:13], v[10:11]
	v_add_f64 v[12:13], v[30:31], v[40:41]
	v_fma_f64 v[30:31], v[4:5], v[18:19], v[32:33]
	v_fma_f64 v[18:19], v[2:3], v[18:19], -v[20:21]
	ds_load_b128 v[2:5], v1 offset:1616
	v_fma_f64 v[8:9], v[8:9], v[22:23], v[16:17]
	v_fma_f64 v[6:7], v[6:7], v[22:23], -v[24:25]
	v_add_f64 v[10:11], v[10:11], v[14:15]
	v_add_f64 v[12:13], v[12:13], v[36:37]
	s_waitcnt vmcnt(0) lgkmcnt(0)
	v_mul_f64 v[14:15], v[2:3], v[28:29]
	v_mul_f64 v[20:21], v[4:5], v[28:29]
	s_delay_alu instid0(VALU_DEP_4) | instskip(NEXT) | instid1(VALU_DEP_4)
	v_add_f64 v[10:11], v[10:11], v[18:19]
	v_add_f64 v[12:13], v[12:13], v[30:31]
	s_delay_alu instid0(VALU_DEP_4) | instskip(NEXT) | instid1(VALU_DEP_4)
	v_fma_f64 v[4:5], v[4:5], v[26:27], v[14:15]
	v_fma_f64 v[2:3], v[2:3], v[26:27], -v[20:21]
	s_delay_alu instid0(VALU_DEP_4) | instskip(NEXT) | instid1(VALU_DEP_4)
	v_add_f64 v[6:7], v[10:11], v[6:7]
	v_add_f64 v[8:9], v[12:13], v[8:9]
	s_delay_alu instid0(VALU_DEP_2) | instskip(NEXT) | instid1(VALU_DEP_2)
	v_add_f64 v[2:3], v[6:7], v[2:3]
	v_add_f64 v[4:5], v[8:9], v[4:5]
	s_delay_alu instid0(VALU_DEP_2) | instskip(NEXT) | instid1(VALU_DEP_2)
	v_add_f64 v[2:3], v[42:43], -v[2:3]
	v_add_f64 v[4:5], v[44:45], -v[4:5]
	scratch_store_b128 off, v[2:5], off offset:528
	v_cmpx_lt_u32_e32 32, v148
	s_cbranch_execz .LBB114_255
; %bb.254:
	scratch_load_b128 v[5:8], v207, off
	v_mov_b32_e32 v2, v1
	v_mov_b32_e32 v3, v1
	;; [unrolled: 1-line block ×3, first 2 shown]
	scratch_store_b128 off, v[1:4], off offset:512
	s_waitcnt vmcnt(0)
	ds_store_b128 v199, v[5:8]
.LBB114_255:
	s_or_b32 exec_lo, exec_lo, s2
	s_waitcnt lgkmcnt(0)
	s_waitcnt_vscnt null, 0x0
	s_barrier
	buffer_gl0_inv
	s_clause 0x8
	scratch_load_b128 v[2:5], off, off offset:528
	scratch_load_b128 v[6:9], off, off offset:544
	;; [unrolled: 1-line block ×9, first 2 shown]
	ds_load_b128 v[38:41], v1 offset:1344
	ds_load_b128 v[42:45], v1 offset:1360
	s_clause 0x1
	scratch_load_b128 v[157:160], off, off offset:512
	scratch_load_b128 v[161:164], off, off offset:672
	s_mov_b32 s2, exec_lo
	s_waitcnt vmcnt(10) lgkmcnt(1)
	v_mul_f64 v[165:166], v[40:41], v[4:5]
	v_mul_f64 v[4:5], v[38:39], v[4:5]
	s_waitcnt vmcnt(9) lgkmcnt(0)
	v_mul_f64 v[212:213], v[42:43], v[8:9]
	v_mul_f64 v[8:9], v[44:45], v[8:9]
	s_delay_alu instid0(VALU_DEP_4) | instskip(NEXT) | instid1(VALU_DEP_4)
	v_fma_f64 v[214:215], v[38:39], v[2:3], -v[165:166]
	v_fma_f64 v[216:217], v[40:41], v[2:3], v[4:5]
	ds_load_b128 v[2:5], v1 offset:1376
	ds_load_b128 v[165:168], v1 offset:1392
	scratch_load_b128 v[38:41], off, off offset:688
	v_fma_f64 v[44:45], v[44:45], v[6:7], v[212:213]
	v_fma_f64 v[42:43], v[42:43], v[6:7], -v[8:9]
	scratch_load_b128 v[6:9], off, off offset:704
	s_waitcnt vmcnt(10) lgkmcnt(1)
	v_mul_f64 v[218:219], v[2:3], v[12:13]
	v_mul_f64 v[12:13], v[4:5], v[12:13]
	v_add_f64 v[212:213], v[214:215], 0
	v_add_f64 v[214:215], v[216:217], 0
	s_waitcnt vmcnt(9) lgkmcnt(0)
	v_mul_f64 v[216:217], v[165:166], v[16:17]
	v_mul_f64 v[16:17], v[167:168], v[16:17]
	v_fma_f64 v[218:219], v[4:5], v[10:11], v[218:219]
	v_fma_f64 v[220:221], v[2:3], v[10:11], -v[12:13]
	ds_load_b128 v[2:5], v1 offset:1408
	scratch_load_b128 v[10:13], off, off offset:720
	v_add_f64 v[212:213], v[212:213], v[42:43]
	v_add_f64 v[214:215], v[214:215], v[44:45]
	ds_load_b128 v[42:45], v1 offset:1424
	v_fma_f64 v[167:168], v[167:168], v[14:15], v[216:217]
	v_fma_f64 v[165:166], v[165:166], v[14:15], -v[16:17]
	scratch_load_b128 v[14:17], off, off offset:736
	s_waitcnt vmcnt(10) lgkmcnt(1)
	v_mul_f64 v[222:223], v[2:3], v[20:21]
	v_mul_f64 v[20:21], v[4:5], v[20:21]
	s_waitcnt vmcnt(9) lgkmcnt(0)
	v_mul_f64 v[216:217], v[42:43], v[24:25]
	v_mul_f64 v[24:25], v[44:45], v[24:25]
	v_add_f64 v[212:213], v[212:213], v[220:221]
	v_add_f64 v[214:215], v[214:215], v[218:219]
	v_fma_f64 v[218:219], v[4:5], v[18:19], v[222:223]
	v_fma_f64 v[220:221], v[2:3], v[18:19], -v[20:21]
	ds_load_b128 v[2:5], v1 offset:1440
	scratch_load_b128 v[18:21], off, off offset:752
	v_fma_f64 v[44:45], v[44:45], v[22:23], v[216:217]
	v_fma_f64 v[42:43], v[42:43], v[22:23], -v[24:25]
	scratch_load_b128 v[22:25], off, off offset:768
	v_add_f64 v[212:213], v[212:213], v[165:166]
	v_add_f64 v[214:215], v[214:215], v[167:168]
	ds_load_b128 v[165:168], v1 offset:1456
	s_waitcnt vmcnt(10) lgkmcnt(1)
	v_mul_f64 v[222:223], v[2:3], v[28:29]
	v_mul_f64 v[28:29], v[4:5], v[28:29]
	s_waitcnt vmcnt(9) lgkmcnt(0)
	v_mul_f64 v[216:217], v[165:166], v[32:33]
	v_mul_f64 v[32:33], v[167:168], v[32:33]
	v_add_f64 v[212:213], v[212:213], v[220:221]
	v_add_f64 v[214:215], v[214:215], v[218:219]
	v_fma_f64 v[218:219], v[4:5], v[26:27], v[222:223]
	v_fma_f64 v[220:221], v[2:3], v[26:27], -v[28:29]
	ds_load_b128 v[2:5], v1 offset:1472
	scratch_load_b128 v[26:29], off, off offset:784
	v_fma_f64 v[167:168], v[167:168], v[30:31], v[216:217]
	v_fma_f64 v[165:166], v[165:166], v[30:31], -v[32:33]
	scratch_load_b128 v[30:33], off, off offset:800
	v_add_f64 v[212:213], v[212:213], v[42:43]
	v_add_f64 v[214:215], v[214:215], v[44:45]
	ds_load_b128 v[42:45], v1 offset:1488
	s_waitcnt vmcnt(10) lgkmcnt(1)
	v_mul_f64 v[222:223], v[2:3], v[36:37]
	v_mul_f64 v[36:37], v[4:5], v[36:37]
	s_waitcnt vmcnt(8) lgkmcnt(0)
	v_mul_f64 v[216:217], v[42:43], v[163:164]
	v_mul_f64 v[163:164], v[44:45], v[163:164]
	v_add_f64 v[212:213], v[212:213], v[220:221]
	v_add_f64 v[214:215], v[214:215], v[218:219]
	v_fma_f64 v[218:219], v[4:5], v[34:35], v[222:223]
	v_fma_f64 v[220:221], v[2:3], v[34:35], -v[36:37]
	ds_load_b128 v[2:5], v1 offset:1504
	ds_load_b128 v[34:37], v1 offset:1520
	v_fma_f64 v[44:45], v[44:45], v[161:162], v[216:217]
	v_fma_f64 v[42:43], v[42:43], v[161:162], -v[163:164]
	v_add_f64 v[165:166], v[212:213], v[165:166]
	v_add_f64 v[167:168], v[214:215], v[167:168]
	s_waitcnt vmcnt(7) lgkmcnt(1)
	v_mul_f64 v[212:213], v[2:3], v[40:41]
	v_mul_f64 v[40:41], v[4:5], v[40:41]
	s_delay_alu instid0(VALU_DEP_4) | instskip(NEXT) | instid1(VALU_DEP_4)
	v_add_f64 v[161:162], v[165:166], v[220:221]
	v_add_f64 v[163:164], v[167:168], v[218:219]
	s_waitcnt vmcnt(6) lgkmcnt(0)
	v_mul_f64 v[165:166], v[34:35], v[8:9]
	v_mul_f64 v[8:9], v[36:37], v[8:9]
	v_fma_f64 v[167:168], v[4:5], v[38:39], v[212:213]
	v_fma_f64 v[212:213], v[2:3], v[38:39], -v[40:41]
	ds_load_b128 v[2:5], v1 offset:1536
	ds_load_b128 v[38:41], v1 offset:1552
	v_add_f64 v[42:43], v[161:162], v[42:43]
	v_add_f64 v[44:45], v[163:164], v[44:45]
	v_fma_f64 v[36:37], v[36:37], v[6:7], v[165:166]
	s_waitcnt vmcnt(5) lgkmcnt(1)
	v_mul_f64 v[161:162], v[2:3], v[12:13]
	v_mul_f64 v[12:13], v[4:5], v[12:13]
	v_fma_f64 v[6:7], v[34:35], v[6:7], -v[8:9]
	v_add_f64 v[8:9], v[42:43], v[212:213]
	v_add_f64 v[34:35], v[44:45], v[167:168]
	s_waitcnt vmcnt(4) lgkmcnt(0)
	v_mul_f64 v[42:43], v[38:39], v[16:17]
	v_mul_f64 v[16:17], v[40:41], v[16:17]
	v_fma_f64 v[44:45], v[4:5], v[10:11], v[161:162]
	v_fma_f64 v[10:11], v[2:3], v[10:11], -v[12:13]
	v_add_f64 v[12:13], v[8:9], v[6:7]
	v_add_f64 v[34:35], v[34:35], v[36:37]
	ds_load_b128 v[2:5], v1 offset:1568
	ds_load_b128 v[6:9], v1 offset:1584
	v_fma_f64 v[40:41], v[40:41], v[14:15], v[42:43]
	v_fma_f64 v[14:15], v[38:39], v[14:15], -v[16:17]
	s_waitcnt vmcnt(3) lgkmcnt(1)
	v_mul_f64 v[36:37], v[2:3], v[20:21]
	v_mul_f64 v[20:21], v[4:5], v[20:21]
	s_waitcnt vmcnt(2) lgkmcnt(0)
	v_mul_f64 v[16:17], v[6:7], v[24:25]
	v_mul_f64 v[24:25], v[8:9], v[24:25]
	v_add_f64 v[10:11], v[12:13], v[10:11]
	v_add_f64 v[12:13], v[34:35], v[44:45]
	v_fma_f64 v[34:35], v[4:5], v[18:19], v[36:37]
	v_fma_f64 v[18:19], v[2:3], v[18:19], -v[20:21]
	v_fma_f64 v[8:9], v[8:9], v[22:23], v[16:17]
	v_fma_f64 v[6:7], v[6:7], v[22:23], -v[24:25]
	v_add_f64 v[14:15], v[10:11], v[14:15]
	v_add_f64 v[20:21], v[12:13], v[40:41]
	ds_load_b128 v[2:5], v1 offset:1600
	ds_load_b128 v[10:13], v1 offset:1616
	s_waitcnt vmcnt(1) lgkmcnt(1)
	v_mul_f64 v[36:37], v[2:3], v[28:29]
	v_mul_f64 v[28:29], v[4:5], v[28:29]
	v_add_f64 v[14:15], v[14:15], v[18:19]
	v_add_f64 v[16:17], v[20:21], v[34:35]
	s_waitcnt vmcnt(0) lgkmcnt(0)
	v_mul_f64 v[18:19], v[10:11], v[32:33]
	v_mul_f64 v[20:21], v[12:13], v[32:33]
	v_fma_f64 v[4:5], v[4:5], v[26:27], v[36:37]
	v_fma_f64 v[1:2], v[2:3], v[26:27], -v[28:29]
	v_add_f64 v[6:7], v[14:15], v[6:7]
	v_add_f64 v[8:9], v[16:17], v[8:9]
	v_fma_f64 v[12:13], v[12:13], v[30:31], v[18:19]
	v_fma_f64 v[10:11], v[10:11], v[30:31], -v[20:21]
	s_delay_alu instid0(VALU_DEP_4) | instskip(NEXT) | instid1(VALU_DEP_4)
	v_add_f64 v[1:2], v[6:7], v[1:2]
	v_add_f64 v[3:4], v[8:9], v[4:5]
	s_delay_alu instid0(VALU_DEP_2) | instskip(NEXT) | instid1(VALU_DEP_2)
	v_add_f64 v[1:2], v[1:2], v[10:11]
	v_add_f64 v[3:4], v[3:4], v[12:13]
	s_delay_alu instid0(VALU_DEP_2) | instskip(NEXT) | instid1(VALU_DEP_2)
	v_add_f64 v[1:2], v[157:158], -v[1:2]
	v_add_f64 v[3:4], v[159:160], -v[3:4]
	scratch_store_b128 off, v[1:4], off offset:512
	v_cmpx_lt_u32_e32 31, v148
	s_cbranch_execz .LBB114_257
; %bb.256:
	scratch_load_b128 v[1:4], v208, off
	v_mov_b32_e32 v5, 0
	s_delay_alu instid0(VALU_DEP_1)
	v_mov_b32_e32 v6, v5
	v_mov_b32_e32 v7, v5
	v_mov_b32_e32 v8, v5
	scratch_store_b128 off, v[5:8], off offset:496
	s_waitcnt vmcnt(0)
	ds_store_b128 v199, v[1:4]
.LBB114_257:
	s_or_b32 exec_lo, exec_lo, s2
	s_waitcnt lgkmcnt(0)
	s_waitcnt_vscnt null, 0x0
	s_barrier
	buffer_gl0_inv
	s_clause 0x7
	scratch_load_b128 v[2:5], off, off offset:512
	scratch_load_b128 v[6:9], off, off offset:528
	;; [unrolled: 1-line block ×8, first 2 shown]
	v_mov_b32_e32 v1, 0
	s_mov_b32 s2, exec_lo
	ds_load_b128 v[34:37], v1 offset:1328
	s_clause 0x1
	scratch_load_b128 v[38:41], off, off offset:640
	scratch_load_b128 v[42:45], off, off offset:496
	ds_load_b128 v[157:160], v1 offset:1344
	scratch_load_b128 v[161:164], off, off offset:656
	s_waitcnt vmcnt(10) lgkmcnt(1)
	v_mul_f64 v[165:166], v[36:37], v[4:5]
	v_mul_f64 v[4:5], v[34:35], v[4:5]
	s_delay_alu instid0(VALU_DEP_2) | instskip(NEXT) | instid1(VALU_DEP_2)
	v_fma_f64 v[214:215], v[34:35], v[2:3], -v[165:166]
	v_fma_f64 v[216:217], v[36:37], v[2:3], v[4:5]
	scratch_load_b128 v[34:37], off, off offset:672
	ds_load_b128 v[2:5], v1 offset:1360
	s_waitcnt vmcnt(10) lgkmcnt(1)
	v_mul_f64 v[212:213], v[157:158], v[8:9]
	v_mul_f64 v[8:9], v[159:160], v[8:9]
	ds_load_b128 v[165:168], v1 offset:1376
	s_waitcnt vmcnt(9) lgkmcnt(1)
	v_mul_f64 v[218:219], v[2:3], v[12:13]
	v_mul_f64 v[12:13], v[4:5], v[12:13]
	v_fma_f64 v[159:160], v[159:160], v[6:7], v[212:213]
	v_fma_f64 v[157:158], v[157:158], v[6:7], -v[8:9]
	v_add_f64 v[212:213], v[214:215], 0
	v_add_f64 v[214:215], v[216:217], 0
	scratch_load_b128 v[6:9], off, off offset:688
	v_fma_f64 v[218:219], v[4:5], v[10:11], v[218:219]
	v_fma_f64 v[220:221], v[2:3], v[10:11], -v[12:13]
	scratch_load_b128 v[10:13], off, off offset:704
	ds_load_b128 v[2:5], v1 offset:1392
	s_waitcnt vmcnt(10) lgkmcnt(1)
	v_mul_f64 v[216:217], v[165:166], v[16:17]
	v_mul_f64 v[16:17], v[167:168], v[16:17]
	v_add_f64 v[212:213], v[212:213], v[157:158]
	v_add_f64 v[214:215], v[214:215], v[159:160]
	s_waitcnt vmcnt(9) lgkmcnt(0)
	v_mul_f64 v[222:223], v[2:3], v[20:21]
	v_mul_f64 v[20:21], v[4:5], v[20:21]
	ds_load_b128 v[157:160], v1 offset:1408
	v_fma_f64 v[167:168], v[167:168], v[14:15], v[216:217]
	v_fma_f64 v[165:166], v[165:166], v[14:15], -v[16:17]
	scratch_load_b128 v[14:17], off, off offset:720
	v_add_f64 v[212:213], v[212:213], v[220:221]
	v_add_f64 v[214:215], v[214:215], v[218:219]
	v_fma_f64 v[218:219], v[4:5], v[18:19], v[222:223]
	v_fma_f64 v[220:221], v[2:3], v[18:19], -v[20:21]
	scratch_load_b128 v[18:21], off, off offset:736
	ds_load_b128 v[2:5], v1 offset:1424
	s_waitcnt vmcnt(10) lgkmcnt(1)
	v_mul_f64 v[216:217], v[157:158], v[24:25]
	v_mul_f64 v[24:25], v[159:160], v[24:25]
	s_waitcnt vmcnt(9) lgkmcnt(0)
	v_mul_f64 v[222:223], v[2:3], v[28:29]
	v_mul_f64 v[28:29], v[4:5], v[28:29]
	v_add_f64 v[212:213], v[212:213], v[165:166]
	v_add_f64 v[214:215], v[214:215], v[167:168]
	ds_load_b128 v[165:168], v1 offset:1440
	v_fma_f64 v[159:160], v[159:160], v[22:23], v[216:217]
	v_fma_f64 v[157:158], v[157:158], v[22:23], -v[24:25]
	scratch_load_b128 v[22:25], off, off offset:752
	v_add_f64 v[212:213], v[212:213], v[220:221]
	v_add_f64 v[214:215], v[214:215], v[218:219]
	v_fma_f64 v[218:219], v[4:5], v[26:27], v[222:223]
	v_fma_f64 v[220:221], v[2:3], v[26:27], -v[28:29]
	scratch_load_b128 v[26:29], off, off offset:768
	ds_load_b128 v[2:5], v1 offset:1456
	s_waitcnt vmcnt(10) lgkmcnt(1)
	v_mul_f64 v[216:217], v[165:166], v[32:33]
	v_mul_f64 v[32:33], v[167:168], v[32:33]
	s_waitcnt vmcnt(9) lgkmcnt(0)
	v_mul_f64 v[222:223], v[2:3], v[40:41]
	v_mul_f64 v[40:41], v[4:5], v[40:41]
	v_add_f64 v[212:213], v[212:213], v[157:158]
	v_add_f64 v[214:215], v[214:215], v[159:160]
	ds_load_b128 v[157:160], v1 offset:1472
	v_fma_f64 v[167:168], v[167:168], v[30:31], v[216:217]
	v_fma_f64 v[165:166], v[165:166], v[30:31], -v[32:33]
	scratch_load_b128 v[30:33], off, off offset:784
	v_add_f64 v[212:213], v[212:213], v[220:221]
	v_add_f64 v[214:215], v[214:215], v[218:219]
	v_fma_f64 v[220:221], v[4:5], v[38:39], v[222:223]
	v_fma_f64 v[222:223], v[2:3], v[38:39], -v[40:41]
	scratch_load_b128 v[38:41], off, off offset:800
	ds_load_b128 v[2:5], v1 offset:1488
	s_waitcnt vmcnt(9) lgkmcnt(1)
	v_mul_f64 v[216:217], v[157:158], v[163:164]
	v_mul_f64 v[218:219], v[159:160], v[163:164]
	v_add_f64 v[212:213], v[212:213], v[165:166]
	v_add_f64 v[167:168], v[214:215], v[167:168]
	ds_load_b128 v[163:166], v1 offset:1504
	v_fma_f64 v[159:160], v[159:160], v[161:162], v[216:217]
	v_fma_f64 v[157:158], v[157:158], v[161:162], -v[218:219]
	s_waitcnt vmcnt(8) lgkmcnt(1)
	v_mul_f64 v[214:215], v[2:3], v[36:37]
	v_mul_f64 v[36:37], v[4:5], v[36:37]
	v_add_f64 v[161:162], v[212:213], v[222:223]
	v_add_f64 v[167:168], v[167:168], v[220:221]
	s_delay_alu instid0(VALU_DEP_4) | instskip(NEXT) | instid1(VALU_DEP_4)
	v_fma_f64 v[214:215], v[4:5], v[34:35], v[214:215]
	v_fma_f64 v[216:217], v[2:3], v[34:35], -v[36:37]
	ds_load_b128 v[2:5], v1 offset:1520
	ds_load_b128 v[34:37], v1 offset:1536
	s_waitcnt vmcnt(7) lgkmcnt(2)
	v_mul_f64 v[212:213], v[163:164], v[8:9]
	v_mul_f64 v[8:9], v[165:166], v[8:9]
	v_add_f64 v[157:158], v[161:162], v[157:158]
	v_add_f64 v[159:160], v[167:168], v[159:160]
	s_waitcnt vmcnt(6) lgkmcnt(1)
	v_mul_f64 v[161:162], v[2:3], v[12:13]
	v_mul_f64 v[12:13], v[4:5], v[12:13]
	v_fma_f64 v[165:166], v[165:166], v[6:7], v[212:213]
	v_fma_f64 v[6:7], v[163:164], v[6:7], -v[8:9]
	v_add_f64 v[8:9], v[157:158], v[216:217]
	v_add_f64 v[157:158], v[159:160], v[214:215]
	s_waitcnt vmcnt(5) lgkmcnt(0)
	v_mul_f64 v[159:160], v[34:35], v[16:17]
	v_mul_f64 v[16:17], v[36:37], v[16:17]
	v_fma_f64 v[161:162], v[4:5], v[10:11], v[161:162]
	v_fma_f64 v[10:11], v[2:3], v[10:11], -v[12:13]
	v_add_f64 v[12:13], v[8:9], v[6:7]
	v_add_f64 v[157:158], v[157:158], v[165:166]
	ds_load_b128 v[2:5], v1 offset:1552
	ds_load_b128 v[6:9], v1 offset:1568
	v_fma_f64 v[36:37], v[36:37], v[14:15], v[159:160]
	v_fma_f64 v[14:15], v[34:35], v[14:15], -v[16:17]
	s_waitcnt vmcnt(4) lgkmcnt(1)
	v_mul_f64 v[163:164], v[2:3], v[20:21]
	v_mul_f64 v[20:21], v[4:5], v[20:21]
	s_waitcnt vmcnt(3) lgkmcnt(0)
	v_mul_f64 v[16:17], v[6:7], v[24:25]
	v_mul_f64 v[24:25], v[8:9], v[24:25]
	v_add_f64 v[10:11], v[12:13], v[10:11]
	v_add_f64 v[12:13], v[157:158], v[161:162]
	v_fma_f64 v[34:35], v[4:5], v[18:19], v[163:164]
	v_fma_f64 v[18:19], v[2:3], v[18:19], -v[20:21]
	v_fma_f64 v[8:9], v[8:9], v[22:23], v[16:17]
	v_fma_f64 v[6:7], v[6:7], v[22:23], -v[24:25]
	v_add_f64 v[14:15], v[10:11], v[14:15]
	v_add_f64 v[20:21], v[12:13], v[36:37]
	ds_load_b128 v[2:5], v1 offset:1584
	ds_load_b128 v[10:13], v1 offset:1600
	s_waitcnt vmcnt(2) lgkmcnt(1)
	v_mul_f64 v[36:37], v[2:3], v[28:29]
	v_mul_f64 v[28:29], v[4:5], v[28:29]
	v_add_f64 v[14:15], v[14:15], v[18:19]
	v_add_f64 v[16:17], v[20:21], v[34:35]
	s_waitcnt vmcnt(1) lgkmcnt(0)
	v_mul_f64 v[18:19], v[10:11], v[32:33]
	v_mul_f64 v[20:21], v[12:13], v[32:33]
	v_fma_f64 v[22:23], v[4:5], v[26:27], v[36:37]
	v_fma_f64 v[24:25], v[2:3], v[26:27], -v[28:29]
	ds_load_b128 v[2:5], v1 offset:1616
	v_add_f64 v[6:7], v[14:15], v[6:7]
	v_add_f64 v[8:9], v[16:17], v[8:9]
	v_fma_f64 v[12:13], v[12:13], v[30:31], v[18:19]
	v_fma_f64 v[10:11], v[10:11], v[30:31], -v[20:21]
	s_waitcnt vmcnt(0) lgkmcnt(0)
	v_mul_f64 v[14:15], v[2:3], v[40:41]
	v_mul_f64 v[16:17], v[4:5], v[40:41]
	v_add_f64 v[6:7], v[6:7], v[24:25]
	v_add_f64 v[8:9], v[8:9], v[22:23]
	s_delay_alu instid0(VALU_DEP_4) | instskip(NEXT) | instid1(VALU_DEP_4)
	v_fma_f64 v[4:5], v[4:5], v[38:39], v[14:15]
	v_fma_f64 v[2:3], v[2:3], v[38:39], -v[16:17]
	s_delay_alu instid0(VALU_DEP_4) | instskip(NEXT) | instid1(VALU_DEP_4)
	v_add_f64 v[6:7], v[6:7], v[10:11]
	v_add_f64 v[8:9], v[8:9], v[12:13]
	s_delay_alu instid0(VALU_DEP_2) | instskip(NEXT) | instid1(VALU_DEP_2)
	v_add_f64 v[2:3], v[6:7], v[2:3]
	v_add_f64 v[4:5], v[8:9], v[4:5]
	s_delay_alu instid0(VALU_DEP_2) | instskip(NEXT) | instid1(VALU_DEP_2)
	v_add_f64 v[2:3], v[42:43], -v[2:3]
	v_add_f64 v[4:5], v[44:45], -v[4:5]
	scratch_store_b128 off, v[2:5], off offset:496
	v_cmpx_lt_u32_e32 30, v148
	s_cbranch_execz .LBB114_259
; %bb.258:
	scratch_load_b128 v[5:8], v209, off
	v_mov_b32_e32 v2, v1
	v_mov_b32_e32 v3, v1
	v_mov_b32_e32 v4, v1
	scratch_store_b128 off, v[1:4], off offset:480
	s_waitcnt vmcnt(0)
	ds_store_b128 v199, v[5:8]
.LBB114_259:
	s_or_b32 exec_lo, exec_lo, s2
	s_waitcnt lgkmcnt(0)
	s_waitcnt_vscnt null, 0x0
	s_barrier
	buffer_gl0_inv
	s_clause 0x8
	scratch_load_b128 v[2:5], off, off offset:496
	scratch_load_b128 v[6:9], off, off offset:512
	;; [unrolled: 1-line block ×9, first 2 shown]
	ds_load_b128 v[38:41], v1 offset:1312
	ds_load_b128 v[42:45], v1 offset:1328
	s_clause 0x1
	scratch_load_b128 v[157:160], off, off offset:480
	scratch_load_b128 v[161:164], off, off offset:640
	s_mov_b32 s2, exec_lo
	s_waitcnt vmcnt(10) lgkmcnt(1)
	v_mul_f64 v[165:166], v[40:41], v[4:5]
	v_mul_f64 v[4:5], v[38:39], v[4:5]
	s_waitcnt vmcnt(9) lgkmcnt(0)
	v_mul_f64 v[212:213], v[42:43], v[8:9]
	v_mul_f64 v[8:9], v[44:45], v[8:9]
	s_delay_alu instid0(VALU_DEP_4) | instskip(NEXT) | instid1(VALU_DEP_4)
	v_fma_f64 v[214:215], v[38:39], v[2:3], -v[165:166]
	v_fma_f64 v[216:217], v[40:41], v[2:3], v[4:5]
	ds_load_b128 v[2:5], v1 offset:1344
	ds_load_b128 v[165:168], v1 offset:1360
	scratch_load_b128 v[38:41], off, off offset:656
	v_fma_f64 v[44:45], v[44:45], v[6:7], v[212:213]
	v_fma_f64 v[42:43], v[42:43], v[6:7], -v[8:9]
	scratch_load_b128 v[6:9], off, off offset:672
	s_waitcnt vmcnt(10) lgkmcnt(1)
	v_mul_f64 v[218:219], v[2:3], v[12:13]
	v_mul_f64 v[12:13], v[4:5], v[12:13]
	v_add_f64 v[212:213], v[214:215], 0
	v_add_f64 v[214:215], v[216:217], 0
	s_waitcnt vmcnt(9) lgkmcnt(0)
	v_mul_f64 v[216:217], v[165:166], v[16:17]
	v_mul_f64 v[16:17], v[167:168], v[16:17]
	v_fma_f64 v[218:219], v[4:5], v[10:11], v[218:219]
	v_fma_f64 v[220:221], v[2:3], v[10:11], -v[12:13]
	ds_load_b128 v[2:5], v1 offset:1376
	scratch_load_b128 v[10:13], off, off offset:688
	v_add_f64 v[212:213], v[212:213], v[42:43]
	v_add_f64 v[214:215], v[214:215], v[44:45]
	ds_load_b128 v[42:45], v1 offset:1392
	v_fma_f64 v[167:168], v[167:168], v[14:15], v[216:217]
	v_fma_f64 v[165:166], v[165:166], v[14:15], -v[16:17]
	scratch_load_b128 v[14:17], off, off offset:704
	s_waitcnt vmcnt(10) lgkmcnt(1)
	v_mul_f64 v[222:223], v[2:3], v[20:21]
	v_mul_f64 v[20:21], v[4:5], v[20:21]
	s_waitcnt vmcnt(9) lgkmcnt(0)
	v_mul_f64 v[216:217], v[42:43], v[24:25]
	v_mul_f64 v[24:25], v[44:45], v[24:25]
	v_add_f64 v[212:213], v[212:213], v[220:221]
	v_add_f64 v[214:215], v[214:215], v[218:219]
	v_fma_f64 v[218:219], v[4:5], v[18:19], v[222:223]
	v_fma_f64 v[220:221], v[2:3], v[18:19], -v[20:21]
	ds_load_b128 v[2:5], v1 offset:1408
	scratch_load_b128 v[18:21], off, off offset:720
	v_fma_f64 v[44:45], v[44:45], v[22:23], v[216:217]
	v_fma_f64 v[42:43], v[42:43], v[22:23], -v[24:25]
	scratch_load_b128 v[22:25], off, off offset:736
	v_add_f64 v[212:213], v[212:213], v[165:166]
	v_add_f64 v[214:215], v[214:215], v[167:168]
	ds_load_b128 v[165:168], v1 offset:1424
	s_waitcnt vmcnt(10) lgkmcnt(1)
	v_mul_f64 v[222:223], v[2:3], v[28:29]
	v_mul_f64 v[28:29], v[4:5], v[28:29]
	s_waitcnt vmcnt(9) lgkmcnt(0)
	v_mul_f64 v[216:217], v[165:166], v[32:33]
	v_mul_f64 v[32:33], v[167:168], v[32:33]
	v_add_f64 v[212:213], v[212:213], v[220:221]
	v_add_f64 v[214:215], v[214:215], v[218:219]
	v_fma_f64 v[218:219], v[4:5], v[26:27], v[222:223]
	v_fma_f64 v[220:221], v[2:3], v[26:27], -v[28:29]
	ds_load_b128 v[2:5], v1 offset:1440
	scratch_load_b128 v[26:29], off, off offset:752
	v_fma_f64 v[167:168], v[167:168], v[30:31], v[216:217]
	v_fma_f64 v[165:166], v[165:166], v[30:31], -v[32:33]
	scratch_load_b128 v[30:33], off, off offset:768
	v_add_f64 v[212:213], v[212:213], v[42:43]
	v_add_f64 v[214:215], v[214:215], v[44:45]
	ds_load_b128 v[42:45], v1 offset:1456
	s_waitcnt vmcnt(10) lgkmcnt(1)
	v_mul_f64 v[222:223], v[2:3], v[36:37]
	v_mul_f64 v[36:37], v[4:5], v[36:37]
	s_waitcnt vmcnt(8) lgkmcnt(0)
	v_mul_f64 v[216:217], v[42:43], v[163:164]
	v_add_f64 v[212:213], v[212:213], v[220:221]
	v_add_f64 v[214:215], v[214:215], v[218:219]
	v_mul_f64 v[218:219], v[44:45], v[163:164]
	v_fma_f64 v[220:221], v[4:5], v[34:35], v[222:223]
	v_fma_f64 v[222:223], v[2:3], v[34:35], -v[36:37]
	ds_load_b128 v[2:5], v1 offset:1472
	scratch_load_b128 v[34:37], off, off offset:784
	v_fma_f64 v[44:45], v[44:45], v[161:162], v[216:217]
	v_add_f64 v[212:213], v[212:213], v[165:166]
	v_add_f64 v[167:168], v[214:215], v[167:168]
	ds_load_b128 v[163:166], v1 offset:1488
	v_fma_f64 v[161:162], v[42:43], v[161:162], -v[218:219]
	s_waitcnt vmcnt(8) lgkmcnt(1)
	v_mul_f64 v[214:215], v[2:3], v[40:41]
	v_mul_f64 v[224:225], v[4:5], v[40:41]
	scratch_load_b128 v[40:43], off, off offset:800
	s_waitcnt vmcnt(8) lgkmcnt(0)
	v_mul_f64 v[216:217], v[163:164], v[8:9]
	v_mul_f64 v[8:9], v[165:166], v[8:9]
	v_add_f64 v[212:213], v[212:213], v[222:223]
	v_add_f64 v[167:168], v[167:168], v[220:221]
	v_fma_f64 v[218:219], v[4:5], v[38:39], v[214:215]
	v_fma_f64 v[38:39], v[2:3], v[38:39], -v[224:225]
	v_fma_f64 v[165:166], v[165:166], v[6:7], v[216:217]
	v_fma_f64 v[6:7], v[163:164], v[6:7], -v[8:9]
	v_add_f64 v[161:162], v[212:213], v[161:162]
	v_add_f64 v[44:45], v[167:168], v[44:45]
	ds_load_b128 v[2:5], v1 offset:1504
	ds_load_b128 v[212:215], v1 offset:1520
	s_waitcnt vmcnt(7) lgkmcnt(1)
	v_mul_f64 v[167:168], v[2:3], v[12:13]
	v_mul_f64 v[12:13], v[4:5], v[12:13]
	v_add_f64 v[8:9], v[161:162], v[38:39]
	v_add_f64 v[38:39], v[44:45], v[218:219]
	s_waitcnt vmcnt(6) lgkmcnt(0)
	v_mul_f64 v[44:45], v[212:213], v[16:17]
	v_mul_f64 v[16:17], v[214:215], v[16:17]
	v_fma_f64 v[161:162], v[4:5], v[10:11], v[167:168]
	v_fma_f64 v[10:11], v[2:3], v[10:11], -v[12:13]
	v_add_f64 v[12:13], v[8:9], v[6:7]
	v_add_f64 v[38:39], v[38:39], v[165:166]
	ds_load_b128 v[2:5], v1 offset:1536
	ds_load_b128 v[6:9], v1 offset:1552
	v_fma_f64 v[44:45], v[214:215], v[14:15], v[44:45]
	v_fma_f64 v[14:15], v[212:213], v[14:15], -v[16:17]
	s_waitcnt vmcnt(5) lgkmcnt(1)
	v_mul_f64 v[163:164], v[2:3], v[20:21]
	v_mul_f64 v[20:21], v[4:5], v[20:21]
	s_waitcnt vmcnt(4) lgkmcnt(0)
	v_mul_f64 v[16:17], v[6:7], v[24:25]
	v_mul_f64 v[24:25], v[8:9], v[24:25]
	v_add_f64 v[10:11], v[12:13], v[10:11]
	v_add_f64 v[12:13], v[38:39], v[161:162]
	v_fma_f64 v[38:39], v[4:5], v[18:19], v[163:164]
	v_fma_f64 v[18:19], v[2:3], v[18:19], -v[20:21]
	v_fma_f64 v[8:9], v[8:9], v[22:23], v[16:17]
	v_fma_f64 v[6:7], v[6:7], v[22:23], -v[24:25]
	v_add_f64 v[14:15], v[10:11], v[14:15]
	v_add_f64 v[20:21], v[12:13], v[44:45]
	ds_load_b128 v[2:5], v1 offset:1568
	ds_load_b128 v[10:13], v1 offset:1584
	s_waitcnt vmcnt(3) lgkmcnt(1)
	v_mul_f64 v[44:45], v[2:3], v[28:29]
	v_mul_f64 v[28:29], v[4:5], v[28:29]
	v_add_f64 v[14:15], v[14:15], v[18:19]
	v_add_f64 v[16:17], v[20:21], v[38:39]
	s_waitcnt vmcnt(2) lgkmcnt(0)
	v_mul_f64 v[18:19], v[10:11], v[32:33]
	v_mul_f64 v[20:21], v[12:13], v[32:33]
	v_fma_f64 v[22:23], v[4:5], v[26:27], v[44:45]
	v_fma_f64 v[24:25], v[2:3], v[26:27], -v[28:29]
	v_add_f64 v[14:15], v[14:15], v[6:7]
	v_add_f64 v[16:17], v[16:17], v[8:9]
	ds_load_b128 v[2:5], v1 offset:1600
	ds_load_b128 v[6:9], v1 offset:1616
	v_fma_f64 v[12:13], v[12:13], v[30:31], v[18:19]
	v_fma_f64 v[10:11], v[10:11], v[30:31], -v[20:21]
	s_waitcnt vmcnt(1) lgkmcnt(1)
	v_mul_f64 v[26:27], v[2:3], v[36:37]
	v_mul_f64 v[28:29], v[4:5], v[36:37]
	s_waitcnt vmcnt(0) lgkmcnt(0)
	v_mul_f64 v[18:19], v[6:7], v[42:43]
	v_add_f64 v[14:15], v[14:15], v[24:25]
	v_add_f64 v[16:17], v[16:17], v[22:23]
	v_mul_f64 v[20:21], v[8:9], v[42:43]
	v_fma_f64 v[4:5], v[4:5], v[34:35], v[26:27]
	v_fma_f64 v[1:2], v[2:3], v[34:35], -v[28:29]
	v_fma_f64 v[8:9], v[8:9], v[40:41], v[18:19]
	v_add_f64 v[10:11], v[14:15], v[10:11]
	v_add_f64 v[12:13], v[16:17], v[12:13]
	v_fma_f64 v[6:7], v[6:7], v[40:41], -v[20:21]
	s_delay_alu instid0(VALU_DEP_3) | instskip(NEXT) | instid1(VALU_DEP_3)
	v_add_f64 v[1:2], v[10:11], v[1:2]
	v_add_f64 v[3:4], v[12:13], v[4:5]
	s_delay_alu instid0(VALU_DEP_2) | instskip(NEXT) | instid1(VALU_DEP_2)
	v_add_f64 v[1:2], v[1:2], v[6:7]
	v_add_f64 v[3:4], v[3:4], v[8:9]
	s_delay_alu instid0(VALU_DEP_2) | instskip(NEXT) | instid1(VALU_DEP_2)
	v_add_f64 v[1:2], v[157:158], -v[1:2]
	v_add_f64 v[3:4], v[159:160], -v[3:4]
	scratch_store_b128 off, v[1:4], off offset:480
	v_cmpx_lt_u32_e32 29, v148
	s_cbranch_execz .LBB114_261
; %bb.260:
	scratch_load_b128 v[1:4], v210, off
	v_mov_b32_e32 v5, 0
	s_delay_alu instid0(VALU_DEP_1)
	v_mov_b32_e32 v6, v5
	v_mov_b32_e32 v7, v5
	;; [unrolled: 1-line block ×3, first 2 shown]
	scratch_store_b128 off, v[5:8], off offset:464
	s_waitcnt vmcnt(0)
	ds_store_b128 v199, v[1:4]
.LBB114_261:
	s_or_b32 exec_lo, exec_lo, s2
	s_waitcnt lgkmcnt(0)
	s_waitcnt_vscnt null, 0x0
	s_barrier
	buffer_gl0_inv
	s_clause 0x7
	scratch_load_b128 v[2:5], off, off offset:480
	scratch_load_b128 v[6:9], off, off offset:496
	;; [unrolled: 1-line block ×8, first 2 shown]
	v_mov_b32_e32 v1, 0
	s_mov_b32 s2, exec_lo
	ds_load_b128 v[34:37], v1 offset:1296
	s_clause 0x1
	scratch_load_b128 v[38:41], off, off offset:608
	scratch_load_b128 v[42:45], off, off offset:464
	ds_load_b128 v[157:160], v1 offset:1312
	scratch_load_b128 v[161:164], off, off offset:624
	s_waitcnt vmcnt(10) lgkmcnt(1)
	v_mul_f64 v[165:166], v[36:37], v[4:5]
	v_mul_f64 v[4:5], v[34:35], v[4:5]
	s_delay_alu instid0(VALU_DEP_2) | instskip(NEXT) | instid1(VALU_DEP_2)
	v_fma_f64 v[214:215], v[34:35], v[2:3], -v[165:166]
	v_fma_f64 v[216:217], v[36:37], v[2:3], v[4:5]
	scratch_load_b128 v[34:37], off, off offset:640
	ds_load_b128 v[2:5], v1 offset:1328
	s_waitcnt vmcnt(10) lgkmcnt(1)
	v_mul_f64 v[212:213], v[157:158], v[8:9]
	v_mul_f64 v[8:9], v[159:160], v[8:9]
	ds_load_b128 v[165:168], v1 offset:1344
	s_waitcnt vmcnt(9) lgkmcnt(1)
	v_mul_f64 v[218:219], v[2:3], v[12:13]
	v_mul_f64 v[12:13], v[4:5], v[12:13]
	v_fma_f64 v[159:160], v[159:160], v[6:7], v[212:213]
	v_fma_f64 v[157:158], v[157:158], v[6:7], -v[8:9]
	v_add_f64 v[212:213], v[214:215], 0
	v_add_f64 v[214:215], v[216:217], 0
	scratch_load_b128 v[6:9], off, off offset:656
	v_fma_f64 v[218:219], v[4:5], v[10:11], v[218:219]
	v_fma_f64 v[220:221], v[2:3], v[10:11], -v[12:13]
	scratch_load_b128 v[10:13], off, off offset:672
	ds_load_b128 v[2:5], v1 offset:1360
	s_waitcnt vmcnt(10) lgkmcnt(1)
	v_mul_f64 v[216:217], v[165:166], v[16:17]
	v_mul_f64 v[16:17], v[167:168], v[16:17]
	v_add_f64 v[212:213], v[212:213], v[157:158]
	v_add_f64 v[214:215], v[214:215], v[159:160]
	s_waitcnt vmcnt(9) lgkmcnt(0)
	v_mul_f64 v[222:223], v[2:3], v[20:21]
	v_mul_f64 v[20:21], v[4:5], v[20:21]
	ds_load_b128 v[157:160], v1 offset:1376
	v_fma_f64 v[167:168], v[167:168], v[14:15], v[216:217]
	v_fma_f64 v[165:166], v[165:166], v[14:15], -v[16:17]
	scratch_load_b128 v[14:17], off, off offset:688
	v_add_f64 v[212:213], v[212:213], v[220:221]
	v_add_f64 v[214:215], v[214:215], v[218:219]
	v_fma_f64 v[218:219], v[4:5], v[18:19], v[222:223]
	v_fma_f64 v[220:221], v[2:3], v[18:19], -v[20:21]
	scratch_load_b128 v[18:21], off, off offset:704
	ds_load_b128 v[2:5], v1 offset:1392
	s_waitcnt vmcnt(10) lgkmcnt(1)
	v_mul_f64 v[216:217], v[157:158], v[24:25]
	v_mul_f64 v[24:25], v[159:160], v[24:25]
	s_waitcnt vmcnt(9) lgkmcnt(0)
	v_mul_f64 v[222:223], v[2:3], v[28:29]
	v_mul_f64 v[28:29], v[4:5], v[28:29]
	v_add_f64 v[212:213], v[212:213], v[165:166]
	v_add_f64 v[214:215], v[214:215], v[167:168]
	ds_load_b128 v[165:168], v1 offset:1408
	v_fma_f64 v[159:160], v[159:160], v[22:23], v[216:217]
	v_fma_f64 v[157:158], v[157:158], v[22:23], -v[24:25]
	scratch_load_b128 v[22:25], off, off offset:720
	v_add_f64 v[212:213], v[212:213], v[220:221]
	v_add_f64 v[214:215], v[214:215], v[218:219]
	v_fma_f64 v[218:219], v[4:5], v[26:27], v[222:223]
	v_fma_f64 v[220:221], v[2:3], v[26:27], -v[28:29]
	scratch_load_b128 v[26:29], off, off offset:736
	ds_load_b128 v[2:5], v1 offset:1424
	s_waitcnt vmcnt(10) lgkmcnt(1)
	v_mul_f64 v[216:217], v[165:166], v[32:33]
	v_mul_f64 v[32:33], v[167:168], v[32:33]
	s_waitcnt vmcnt(9) lgkmcnt(0)
	v_mul_f64 v[222:223], v[2:3], v[40:41]
	v_mul_f64 v[40:41], v[4:5], v[40:41]
	v_add_f64 v[212:213], v[212:213], v[157:158]
	v_add_f64 v[214:215], v[214:215], v[159:160]
	ds_load_b128 v[157:160], v1 offset:1440
	v_fma_f64 v[167:168], v[167:168], v[30:31], v[216:217]
	v_fma_f64 v[165:166], v[165:166], v[30:31], -v[32:33]
	scratch_load_b128 v[30:33], off, off offset:752
	v_add_f64 v[212:213], v[212:213], v[220:221]
	v_add_f64 v[214:215], v[214:215], v[218:219]
	v_fma_f64 v[220:221], v[4:5], v[38:39], v[222:223]
	v_fma_f64 v[222:223], v[2:3], v[38:39], -v[40:41]
	scratch_load_b128 v[38:41], off, off offset:768
	ds_load_b128 v[2:5], v1 offset:1456
	s_waitcnt vmcnt(9) lgkmcnt(1)
	v_mul_f64 v[216:217], v[157:158], v[163:164]
	v_mul_f64 v[218:219], v[159:160], v[163:164]
	v_add_f64 v[212:213], v[212:213], v[165:166]
	v_add_f64 v[167:168], v[214:215], v[167:168]
	ds_load_b128 v[163:166], v1 offset:1472
	v_fma_f64 v[216:217], v[159:160], v[161:162], v[216:217]
	v_fma_f64 v[161:162], v[157:158], v[161:162], -v[218:219]
	scratch_load_b128 v[157:160], off, off offset:784
	s_waitcnt vmcnt(9) lgkmcnt(1)
	v_mul_f64 v[214:215], v[2:3], v[36:37]
	v_mul_f64 v[36:37], v[4:5], v[36:37]
	v_add_f64 v[212:213], v[212:213], v[222:223]
	v_add_f64 v[167:168], v[167:168], v[220:221]
	s_delay_alu instid0(VALU_DEP_4) | instskip(NEXT) | instid1(VALU_DEP_4)
	v_fma_f64 v[220:221], v[4:5], v[34:35], v[214:215]
	v_fma_f64 v[222:223], v[2:3], v[34:35], -v[36:37]
	scratch_load_b128 v[34:37], off, off offset:800
	ds_load_b128 v[2:5], v1 offset:1488
	s_waitcnt vmcnt(9) lgkmcnt(1)
	v_mul_f64 v[218:219], v[163:164], v[8:9]
	v_mul_f64 v[8:9], v[165:166], v[8:9]
	v_add_f64 v[161:162], v[212:213], v[161:162]
	v_add_f64 v[167:168], v[167:168], v[216:217]
	s_waitcnt vmcnt(8) lgkmcnt(0)
	v_mul_f64 v[216:217], v[2:3], v[12:13]
	v_mul_f64 v[12:13], v[4:5], v[12:13]
	ds_load_b128 v[212:215], v1 offset:1504
	v_fma_f64 v[165:166], v[165:166], v[6:7], v[218:219]
	v_fma_f64 v[6:7], v[163:164], v[6:7], -v[8:9]
	v_add_f64 v[8:9], v[161:162], v[222:223]
	v_add_f64 v[161:162], v[167:168], v[220:221]
	s_waitcnt vmcnt(7) lgkmcnt(0)
	v_mul_f64 v[163:164], v[212:213], v[16:17]
	v_mul_f64 v[16:17], v[214:215], v[16:17]
	v_fma_f64 v[167:168], v[4:5], v[10:11], v[216:217]
	v_fma_f64 v[10:11], v[2:3], v[10:11], -v[12:13]
	v_add_f64 v[12:13], v[8:9], v[6:7]
	v_add_f64 v[161:162], v[161:162], v[165:166]
	ds_load_b128 v[2:5], v1 offset:1520
	ds_load_b128 v[6:9], v1 offset:1536
	v_fma_f64 v[163:164], v[214:215], v[14:15], v[163:164]
	v_fma_f64 v[14:15], v[212:213], v[14:15], -v[16:17]
	s_waitcnt vmcnt(6) lgkmcnt(1)
	v_mul_f64 v[165:166], v[2:3], v[20:21]
	v_mul_f64 v[20:21], v[4:5], v[20:21]
	s_waitcnt vmcnt(5) lgkmcnt(0)
	v_mul_f64 v[16:17], v[6:7], v[24:25]
	v_mul_f64 v[24:25], v[8:9], v[24:25]
	v_add_f64 v[10:11], v[12:13], v[10:11]
	v_add_f64 v[12:13], v[161:162], v[167:168]
	v_fma_f64 v[161:162], v[4:5], v[18:19], v[165:166]
	v_fma_f64 v[18:19], v[2:3], v[18:19], -v[20:21]
	v_fma_f64 v[8:9], v[8:9], v[22:23], v[16:17]
	v_fma_f64 v[6:7], v[6:7], v[22:23], -v[24:25]
	v_add_f64 v[14:15], v[10:11], v[14:15]
	v_add_f64 v[20:21], v[12:13], v[163:164]
	ds_load_b128 v[2:5], v1 offset:1552
	ds_load_b128 v[10:13], v1 offset:1568
	s_waitcnt vmcnt(4) lgkmcnt(1)
	v_mul_f64 v[163:164], v[2:3], v[28:29]
	v_mul_f64 v[28:29], v[4:5], v[28:29]
	v_add_f64 v[14:15], v[14:15], v[18:19]
	v_add_f64 v[16:17], v[20:21], v[161:162]
	s_waitcnt vmcnt(3) lgkmcnt(0)
	v_mul_f64 v[18:19], v[10:11], v[32:33]
	v_mul_f64 v[20:21], v[12:13], v[32:33]
	v_fma_f64 v[22:23], v[4:5], v[26:27], v[163:164]
	v_fma_f64 v[24:25], v[2:3], v[26:27], -v[28:29]
	v_add_f64 v[14:15], v[14:15], v[6:7]
	v_add_f64 v[16:17], v[16:17], v[8:9]
	ds_load_b128 v[2:5], v1 offset:1584
	ds_load_b128 v[6:9], v1 offset:1600
	v_fma_f64 v[12:13], v[12:13], v[30:31], v[18:19]
	v_fma_f64 v[10:11], v[10:11], v[30:31], -v[20:21]
	s_waitcnt vmcnt(2) lgkmcnt(1)
	v_mul_f64 v[26:27], v[2:3], v[40:41]
	v_mul_f64 v[28:29], v[4:5], v[40:41]
	s_waitcnt vmcnt(1) lgkmcnt(0)
	v_mul_f64 v[18:19], v[6:7], v[159:160]
	v_mul_f64 v[20:21], v[8:9], v[159:160]
	v_add_f64 v[14:15], v[14:15], v[24:25]
	v_add_f64 v[16:17], v[16:17], v[22:23]
	v_fma_f64 v[22:23], v[4:5], v[38:39], v[26:27]
	v_fma_f64 v[24:25], v[2:3], v[38:39], -v[28:29]
	ds_load_b128 v[2:5], v1 offset:1616
	v_fma_f64 v[8:9], v[8:9], v[157:158], v[18:19]
	v_fma_f64 v[6:7], v[6:7], v[157:158], -v[20:21]
	v_add_f64 v[10:11], v[14:15], v[10:11]
	v_add_f64 v[12:13], v[16:17], v[12:13]
	s_waitcnt vmcnt(0) lgkmcnt(0)
	v_mul_f64 v[14:15], v[2:3], v[36:37]
	v_mul_f64 v[16:17], v[4:5], v[36:37]
	s_delay_alu instid0(VALU_DEP_4) | instskip(NEXT) | instid1(VALU_DEP_4)
	v_add_f64 v[10:11], v[10:11], v[24:25]
	v_add_f64 v[12:13], v[12:13], v[22:23]
	s_delay_alu instid0(VALU_DEP_4) | instskip(NEXT) | instid1(VALU_DEP_4)
	v_fma_f64 v[4:5], v[4:5], v[34:35], v[14:15]
	v_fma_f64 v[2:3], v[2:3], v[34:35], -v[16:17]
	s_delay_alu instid0(VALU_DEP_4) | instskip(NEXT) | instid1(VALU_DEP_4)
	v_add_f64 v[6:7], v[10:11], v[6:7]
	v_add_f64 v[8:9], v[12:13], v[8:9]
	s_delay_alu instid0(VALU_DEP_2) | instskip(NEXT) | instid1(VALU_DEP_2)
	v_add_f64 v[2:3], v[6:7], v[2:3]
	v_add_f64 v[4:5], v[8:9], v[4:5]
	s_delay_alu instid0(VALU_DEP_2) | instskip(NEXT) | instid1(VALU_DEP_2)
	v_add_f64 v[2:3], v[42:43], -v[2:3]
	v_add_f64 v[4:5], v[44:45], -v[4:5]
	scratch_store_b128 off, v[2:5], off offset:464
	v_cmpx_lt_u32_e32 28, v148
	s_cbranch_execz .LBB114_263
; %bb.262:
	scratch_load_b128 v[5:8], v211, off
	v_mov_b32_e32 v2, v1
	v_mov_b32_e32 v3, v1
	;; [unrolled: 1-line block ×3, first 2 shown]
	scratch_store_b128 off, v[1:4], off offset:448
	s_waitcnt vmcnt(0)
	ds_store_b128 v199, v[5:8]
.LBB114_263:
	s_or_b32 exec_lo, exec_lo, s2
	s_waitcnt lgkmcnt(0)
	s_waitcnt_vscnt null, 0x0
	s_barrier
	buffer_gl0_inv
	s_clause 0x8
	scratch_load_b128 v[2:5], off, off offset:464
	scratch_load_b128 v[6:9], off, off offset:480
	;; [unrolled: 1-line block ×9, first 2 shown]
	ds_load_b128 v[38:41], v1 offset:1280
	ds_load_b128 v[42:45], v1 offset:1296
	s_clause 0x1
	scratch_load_b128 v[157:160], off, off offset:448
	scratch_load_b128 v[161:164], off, off offset:608
	s_mov_b32 s2, exec_lo
	s_waitcnt vmcnt(10) lgkmcnt(1)
	v_mul_f64 v[165:166], v[40:41], v[4:5]
	v_mul_f64 v[4:5], v[38:39], v[4:5]
	s_waitcnt vmcnt(9) lgkmcnt(0)
	v_mul_f64 v[212:213], v[42:43], v[8:9]
	v_mul_f64 v[8:9], v[44:45], v[8:9]
	s_delay_alu instid0(VALU_DEP_4) | instskip(NEXT) | instid1(VALU_DEP_4)
	v_fma_f64 v[214:215], v[38:39], v[2:3], -v[165:166]
	v_fma_f64 v[216:217], v[40:41], v[2:3], v[4:5]
	ds_load_b128 v[2:5], v1 offset:1312
	ds_load_b128 v[165:168], v1 offset:1328
	scratch_load_b128 v[38:41], off, off offset:624
	v_fma_f64 v[44:45], v[44:45], v[6:7], v[212:213]
	v_fma_f64 v[42:43], v[42:43], v[6:7], -v[8:9]
	scratch_load_b128 v[6:9], off, off offset:640
	s_waitcnt vmcnt(10) lgkmcnt(1)
	v_mul_f64 v[218:219], v[2:3], v[12:13]
	v_mul_f64 v[12:13], v[4:5], v[12:13]
	v_add_f64 v[212:213], v[214:215], 0
	v_add_f64 v[214:215], v[216:217], 0
	s_waitcnt vmcnt(9) lgkmcnt(0)
	v_mul_f64 v[216:217], v[165:166], v[16:17]
	v_mul_f64 v[16:17], v[167:168], v[16:17]
	v_fma_f64 v[218:219], v[4:5], v[10:11], v[218:219]
	v_fma_f64 v[220:221], v[2:3], v[10:11], -v[12:13]
	ds_load_b128 v[2:5], v1 offset:1344
	scratch_load_b128 v[10:13], off, off offset:656
	v_add_f64 v[212:213], v[212:213], v[42:43]
	v_add_f64 v[214:215], v[214:215], v[44:45]
	ds_load_b128 v[42:45], v1 offset:1360
	v_fma_f64 v[167:168], v[167:168], v[14:15], v[216:217]
	v_fma_f64 v[165:166], v[165:166], v[14:15], -v[16:17]
	scratch_load_b128 v[14:17], off, off offset:672
	s_waitcnt vmcnt(10) lgkmcnt(1)
	v_mul_f64 v[222:223], v[2:3], v[20:21]
	v_mul_f64 v[20:21], v[4:5], v[20:21]
	s_waitcnt vmcnt(9) lgkmcnt(0)
	v_mul_f64 v[216:217], v[42:43], v[24:25]
	v_mul_f64 v[24:25], v[44:45], v[24:25]
	v_add_f64 v[212:213], v[212:213], v[220:221]
	v_add_f64 v[214:215], v[214:215], v[218:219]
	v_fma_f64 v[218:219], v[4:5], v[18:19], v[222:223]
	v_fma_f64 v[220:221], v[2:3], v[18:19], -v[20:21]
	ds_load_b128 v[2:5], v1 offset:1376
	scratch_load_b128 v[18:21], off, off offset:688
	v_fma_f64 v[44:45], v[44:45], v[22:23], v[216:217]
	v_fma_f64 v[42:43], v[42:43], v[22:23], -v[24:25]
	scratch_load_b128 v[22:25], off, off offset:704
	v_add_f64 v[212:213], v[212:213], v[165:166]
	v_add_f64 v[214:215], v[214:215], v[167:168]
	ds_load_b128 v[165:168], v1 offset:1392
	s_waitcnt vmcnt(10) lgkmcnt(1)
	v_mul_f64 v[222:223], v[2:3], v[28:29]
	v_mul_f64 v[28:29], v[4:5], v[28:29]
	s_waitcnt vmcnt(9) lgkmcnt(0)
	v_mul_f64 v[216:217], v[165:166], v[32:33]
	v_mul_f64 v[32:33], v[167:168], v[32:33]
	v_add_f64 v[212:213], v[212:213], v[220:221]
	v_add_f64 v[214:215], v[214:215], v[218:219]
	v_fma_f64 v[218:219], v[4:5], v[26:27], v[222:223]
	v_fma_f64 v[220:221], v[2:3], v[26:27], -v[28:29]
	ds_load_b128 v[2:5], v1 offset:1408
	scratch_load_b128 v[26:29], off, off offset:720
	v_fma_f64 v[167:168], v[167:168], v[30:31], v[216:217]
	v_fma_f64 v[165:166], v[165:166], v[30:31], -v[32:33]
	scratch_load_b128 v[30:33], off, off offset:736
	v_add_f64 v[212:213], v[212:213], v[42:43]
	v_add_f64 v[214:215], v[214:215], v[44:45]
	ds_load_b128 v[42:45], v1 offset:1424
	s_waitcnt vmcnt(10) lgkmcnt(1)
	v_mul_f64 v[222:223], v[2:3], v[36:37]
	v_mul_f64 v[36:37], v[4:5], v[36:37]
	s_waitcnt vmcnt(8) lgkmcnt(0)
	v_mul_f64 v[216:217], v[42:43], v[163:164]
	v_add_f64 v[212:213], v[212:213], v[220:221]
	v_add_f64 v[214:215], v[214:215], v[218:219]
	v_mul_f64 v[218:219], v[44:45], v[163:164]
	v_fma_f64 v[220:221], v[4:5], v[34:35], v[222:223]
	v_fma_f64 v[222:223], v[2:3], v[34:35], -v[36:37]
	ds_load_b128 v[2:5], v1 offset:1440
	scratch_load_b128 v[34:37], off, off offset:752
	v_fma_f64 v[44:45], v[44:45], v[161:162], v[216:217]
	v_add_f64 v[212:213], v[212:213], v[165:166]
	v_add_f64 v[167:168], v[214:215], v[167:168]
	ds_load_b128 v[163:166], v1 offset:1456
	v_fma_f64 v[161:162], v[42:43], v[161:162], -v[218:219]
	ds_load_b128 v[216:219], v1 offset:1488
	s_waitcnt vmcnt(8) lgkmcnt(2)
	v_mul_f64 v[214:215], v[2:3], v[40:41]
	v_mul_f64 v[224:225], v[4:5], v[40:41]
	scratch_load_b128 v[40:43], off, off offset:768
	v_add_f64 v[212:213], v[212:213], v[222:223]
	v_add_f64 v[167:168], v[167:168], v[220:221]
	s_waitcnt vmcnt(8) lgkmcnt(1)
	v_mul_f64 v[220:221], v[163:164], v[8:9]
	v_mul_f64 v[8:9], v[165:166], v[8:9]
	v_fma_f64 v[222:223], v[4:5], v[38:39], v[214:215]
	v_fma_f64 v[38:39], v[2:3], v[38:39], -v[224:225]
	ds_load_b128 v[2:5], v1 offset:1472
	v_add_f64 v[161:162], v[212:213], v[161:162]
	v_add_f64 v[44:45], v[167:168], v[44:45]
	scratch_load_b128 v[212:215], off, off offset:784
	v_fma_f64 v[165:166], v[165:166], v[6:7], v[220:221]
	s_waitcnt vmcnt(8) lgkmcnt(0)
	v_mul_f64 v[167:168], v[2:3], v[12:13]
	v_mul_f64 v[12:13], v[4:5], v[12:13]
	v_fma_f64 v[163:164], v[163:164], v[6:7], -v[8:9]
	scratch_load_b128 v[6:9], off, off offset:800
	v_add_f64 v[38:39], v[161:162], v[38:39]
	v_add_f64 v[44:45], v[44:45], v[222:223]
	s_waitcnt vmcnt(8)
	v_mul_f64 v[161:162], v[216:217], v[16:17]
	v_mul_f64 v[16:17], v[218:219], v[16:17]
	v_fma_f64 v[167:168], v[4:5], v[10:11], v[167:168]
	v_fma_f64 v[220:221], v[2:3], v[10:11], -v[12:13]
	ds_load_b128 v[2:5], v1 offset:1504
	ds_load_b128 v[10:13], v1 offset:1520
	v_add_f64 v[38:39], v[38:39], v[163:164]
	v_add_f64 v[44:45], v[44:45], v[165:166]
	s_waitcnt vmcnt(7) lgkmcnt(1)
	v_mul_f64 v[163:164], v[2:3], v[20:21]
	v_mul_f64 v[20:21], v[4:5], v[20:21]
	v_fma_f64 v[161:162], v[218:219], v[14:15], v[161:162]
	v_fma_f64 v[14:15], v[216:217], v[14:15], -v[16:17]
	v_add_f64 v[16:17], v[38:39], v[220:221]
	v_add_f64 v[38:39], v[44:45], v[167:168]
	s_waitcnt vmcnt(6) lgkmcnt(0)
	v_mul_f64 v[44:45], v[10:11], v[24:25]
	v_mul_f64 v[24:25], v[12:13], v[24:25]
	v_fma_f64 v[163:164], v[4:5], v[18:19], v[163:164]
	v_fma_f64 v[18:19], v[2:3], v[18:19], -v[20:21]
	v_add_f64 v[20:21], v[16:17], v[14:15]
	v_add_f64 v[38:39], v[38:39], v[161:162]
	ds_load_b128 v[2:5], v1 offset:1536
	ds_load_b128 v[14:17], v1 offset:1552
	v_fma_f64 v[12:13], v[12:13], v[22:23], v[44:45]
	v_fma_f64 v[10:11], v[10:11], v[22:23], -v[24:25]
	s_waitcnt vmcnt(5) lgkmcnt(1)
	v_mul_f64 v[161:162], v[2:3], v[28:29]
	v_mul_f64 v[28:29], v[4:5], v[28:29]
	s_waitcnt vmcnt(4) lgkmcnt(0)
	v_mul_f64 v[22:23], v[14:15], v[32:33]
	v_mul_f64 v[24:25], v[16:17], v[32:33]
	v_add_f64 v[18:19], v[20:21], v[18:19]
	v_add_f64 v[20:21], v[38:39], v[163:164]
	v_fma_f64 v[32:33], v[4:5], v[26:27], v[161:162]
	v_fma_f64 v[26:27], v[2:3], v[26:27], -v[28:29]
	v_fma_f64 v[16:17], v[16:17], v[30:31], v[22:23]
	v_fma_f64 v[14:15], v[14:15], v[30:31], -v[24:25]
	v_add_f64 v[18:19], v[18:19], v[10:11]
	v_add_f64 v[20:21], v[20:21], v[12:13]
	ds_load_b128 v[2:5], v1 offset:1568
	ds_load_b128 v[10:13], v1 offset:1584
	s_waitcnt vmcnt(3) lgkmcnt(1)
	v_mul_f64 v[28:29], v[2:3], v[36:37]
	v_mul_f64 v[36:37], v[4:5], v[36:37]
	s_waitcnt vmcnt(2) lgkmcnt(0)
	v_mul_f64 v[22:23], v[10:11], v[42:43]
	v_add_f64 v[18:19], v[18:19], v[26:27]
	v_add_f64 v[20:21], v[20:21], v[32:33]
	v_mul_f64 v[24:25], v[12:13], v[42:43]
	v_fma_f64 v[26:27], v[4:5], v[34:35], v[28:29]
	v_fma_f64 v[28:29], v[2:3], v[34:35], -v[36:37]
	v_fma_f64 v[12:13], v[12:13], v[40:41], v[22:23]
	v_add_f64 v[18:19], v[18:19], v[14:15]
	v_add_f64 v[20:21], v[20:21], v[16:17]
	ds_load_b128 v[2:5], v1 offset:1600
	ds_load_b128 v[14:17], v1 offset:1616
	v_fma_f64 v[10:11], v[10:11], v[40:41], -v[24:25]
	s_waitcnt vmcnt(1) lgkmcnt(1)
	v_mul_f64 v[30:31], v[2:3], v[214:215]
	v_mul_f64 v[32:33], v[4:5], v[214:215]
	s_waitcnt vmcnt(0) lgkmcnt(0)
	v_mul_f64 v[22:23], v[14:15], v[8:9]
	v_mul_f64 v[8:9], v[16:17], v[8:9]
	v_add_f64 v[18:19], v[18:19], v[28:29]
	v_add_f64 v[20:21], v[20:21], v[26:27]
	v_fma_f64 v[4:5], v[4:5], v[212:213], v[30:31]
	v_fma_f64 v[1:2], v[2:3], v[212:213], -v[32:33]
	v_fma_f64 v[16:17], v[16:17], v[6:7], v[22:23]
	v_fma_f64 v[6:7], v[14:15], v[6:7], -v[8:9]
	v_add_f64 v[10:11], v[18:19], v[10:11]
	v_add_f64 v[12:13], v[20:21], v[12:13]
	s_delay_alu instid0(VALU_DEP_2) | instskip(NEXT) | instid1(VALU_DEP_2)
	v_add_f64 v[1:2], v[10:11], v[1:2]
	v_add_f64 v[3:4], v[12:13], v[4:5]
	s_delay_alu instid0(VALU_DEP_2) | instskip(NEXT) | instid1(VALU_DEP_2)
	;; [unrolled: 3-line block ×3, first 2 shown]
	v_add_f64 v[1:2], v[157:158], -v[1:2]
	v_add_f64 v[3:4], v[159:160], -v[3:4]
	scratch_store_b128 off, v[1:4], off offset:448
	v_cmpx_lt_u32_e32 27, v148
	s_cbranch_execz .LBB114_265
; %bb.264:
	scratch_load_b128 v[1:4], v169, off
	v_mov_b32_e32 v5, 0
	s_delay_alu instid0(VALU_DEP_1)
	v_mov_b32_e32 v6, v5
	v_mov_b32_e32 v7, v5
	v_mov_b32_e32 v8, v5
	scratch_store_b128 off, v[5:8], off offset:432
	s_waitcnt vmcnt(0)
	ds_store_b128 v199, v[1:4]
.LBB114_265:
	s_or_b32 exec_lo, exec_lo, s2
	s_waitcnt lgkmcnt(0)
	s_waitcnt_vscnt null, 0x0
	s_barrier
	buffer_gl0_inv
	s_clause 0x7
	scratch_load_b128 v[2:5], off, off offset:448
	scratch_load_b128 v[6:9], off, off offset:464
	;; [unrolled: 1-line block ×8, first 2 shown]
	v_mov_b32_e32 v1, 0
	s_mov_b32 s2, exec_lo
	ds_load_b128 v[34:37], v1 offset:1264
	s_clause 0x1
	scratch_load_b128 v[38:41], off, off offset:576
	scratch_load_b128 v[42:45], off, off offset:432
	ds_load_b128 v[157:160], v1 offset:1280
	scratch_load_b128 v[161:164], off, off offset:592
	s_waitcnt vmcnt(10) lgkmcnt(1)
	v_mul_f64 v[165:166], v[36:37], v[4:5]
	v_mul_f64 v[4:5], v[34:35], v[4:5]
	s_delay_alu instid0(VALU_DEP_2) | instskip(NEXT) | instid1(VALU_DEP_2)
	v_fma_f64 v[214:215], v[34:35], v[2:3], -v[165:166]
	v_fma_f64 v[216:217], v[36:37], v[2:3], v[4:5]
	scratch_load_b128 v[34:37], off, off offset:608
	ds_load_b128 v[2:5], v1 offset:1296
	s_waitcnt vmcnt(10) lgkmcnt(1)
	v_mul_f64 v[212:213], v[157:158], v[8:9]
	v_mul_f64 v[8:9], v[159:160], v[8:9]
	ds_load_b128 v[165:168], v1 offset:1312
	s_waitcnt vmcnt(9) lgkmcnt(1)
	v_mul_f64 v[218:219], v[2:3], v[12:13]
	v_mul_f64 v[12:13], v[4:5], v[12:13]
	v_fma_f64 v[159:160], v[159:160], v[6:7], v[212:213]
	v_fma_f64 v[157:158], v[157:158], v[6:7], -v[8:9]
	v_add_f64 v[212:213], v[214:215], 0
	v_add_f64 v[214:215], v[216:217], 0
	scratch_load_b128 v[6:9], off, off offset:624
	v_fma_f64 v[218:219], v[4:5], v[10:11], v[218:219]
	v_fma_f64 v[220:221], v[2:3], v[10:11], -v[12:13]
	scratch_load_b128 v[10:13], off, off offset:640
	ds_load_b128 v[2:5], v1 offset:1328
	s_waitcnt vmcnt(10) lgkmcnt(1)
	v_mul_f64 v[216:217], v[165:166], v[16:17]
	v_mul_f64 v[16:17], v[167:168], v[16:17]
	v_add_f64 v[212:213], v[212:213], v[157:158]
	v_add_f64 v[214:215], v[214:215], v[159:160]
	s_waitcnt vmcnt(9) lgkmcnt(0)
	v_mul_f64 v[222:223], v[2:3], v[20:21]
	v_mul_f64 v[20:21], v[4:5], v[20:21]
	ds_load_b128 v[157:160], v1 offset:1344
	v_fma_f64 v[167:168], v[167:168], v[14:15], v[216:217]
	v_fma_f64 v[165:166], v[165:166], v[14:15], -v[16:17]
	scratch_load_b128 v[14:17], off, off offset:656
	v_add_f64 v[212:213], v[212:213], v[220:221]
	v_add_f64 v[214:215], v[214:215], v[218:219]
	v_fma_f64 v[218:219], v[4:5], v[18:19], v[222:223]
	v_fma_f64 v[220:221], v[2:3], v[18:19], -v[20:21]
	scratch_load_b128 v[18:21], off, off offset:672
	ds_load_b128 v[2:5], v1 offset:1360
	s_waitcnt vmcnt(10) lgkmcnt(1)
	v_mul_f64 v[216:217], v[157:158], v[24:25]
	v_mul_f64 v[24:25], v[159:160], v[24:25]
	s_waitcnt vmcnt(9) lgkmcnt(0)
	v_mul_f64 v[222:223], v[2:3], v[28:29]
	v_mul_f64 v[28:29], v[4:5], v[28:29]
	v_add_f64 v[212:213], v[212:213], v[165:166]
	v_add_f64 v[214:215], v[214:215], v[167:168]
	ds_load_b128 v[165:168], v1 offset:1376
	v_fma_f64 v[159:160], v[159:160], v[22:23], v[216:217]
	v_fma_f64 v[157:158], v[157:158], v[22:23], -v[24:25]
	scratch_load_b128 v[22:25], off, off offset:688
	v_add_f64 v[212:213], v[212:213], v[220:221]
	v_add_f64 v[214:215], v[214:215], v[218:219]
	v_fma_f64 v[218:219], v[4:5], v[26:27], v[222:223]
	v_fma_f64 v[220:221], v[2:3], v[26:27], -v[28:29]
	scratch_load_b128 v[26:29], off, off offset:704
	ds_load_b128 v[2:5], v1 offset:1392
	s_waitcnt vmcnt(10) lgkmcnt(1)
	v_mul_f64 v[216:217], v[165:166], v[32:33]
	v_mul_f64 v[32:33], v[167:168], v[32:33]
	s_waitcnt vmcnt(9) lgkmcnt(0)
	v_mul_f64 v[222:223], v[2:3], v[40:41]
	v_mul_f64 v[40:41], v[4:5], v[40:41]
	v_add_f64 v[212:213], v[212:213], v[157:158]
	v_add_f64 v[214:215], v[214:215], v[159:160]
	ds_load_b128 v[157:160], v1 offset:1408
	v_fma_f64 v[167:168], v[167:168], v[30:31], v[216:217]
	v_fma_f64 v[165:166], v[165:166], v[30:31], -v[32:33]
	scratch_load_b128 v[30:33], off, off offset:720
	v_add_f64 v[212:213], v[212:213], v[220:221]
	v_add_f64 v[214:215], v[214:215], v[218:219]
	v_fma_f64 v[220:221], v[4:5], v[38:39], v[222:223]
	v_fma_f64 v[222:223], v[2:3], v[38:39], -v[40:41]
	scratch_load_b128 v[38:41], off, off offset:736
	ds_load_b128 v[2:5], v1 offset:1424
	s_waitcnt vmcnt(9) lgkmcnt(1)
	v_mul_f64 v[216:217], v[157:158], v[163:164]
	v_mul_f64 v[218:219], v[159:160], v[163:164]
	v_add_f64 v[212:213], v[212:213], v[165:166]
	v_add_f64 v[167:168], v[214:215], v[167:168]
	ds_load_b128 v[163:166], v1 offset:1440
	v_fma_f64 v[216:217], v[159:160], v[161:162], v[216:217]
	v_fma_f64 v[161:162], v[157:158], v[161:162], -v[218:219]
	scratch_load_b128 v[157:160], off, off offset:752
	s_waitcnt vmcnt(9) lgkmcnt(1)
	v_mul_f64 v[214:215], v[2:3], v[36:37]
	v_mul_f64 v[36:37], v[4:5], v[36:37]
	v_add_f64 v[212:213], v[212:213], v[222:223]
	v_add_f64 v[167:168], v[167:168], v[220:221]
	s_delay_alu instid0(VALU_DEP_4) | instskip(NEXT) | instid1(VALU_DEP_4)
	v_fma_f64 v[220:221], v[4:5], v[34:35], v[214:215]
	v_fma_f64 v[222:223], v[2:3], v[34:35], -v[36:37]
	scratch_load_b128 v[34:37], off, off offset:768
	ds_load_b128 v[2:5], v1 offset:1456
	s_waitcnt vmcnt(9) lgkmcnt(1)
	v_mul_f64 v[218:219], v[163:164], v[8:9]
	v_mul_f64 v[8:9], v[165:166], v[8:9]
	v_add_f64 v[161:162], v[212:213], v[161:162]
	v_add_f64 v[167:168], v[167:168], v[216:217]
	s_waitcnt vmcnt(8) lgkmcnt(0)
	v_mul_f64 v[216:217], v[2:3], v[12:13]
	v_mul_f64 v[12:13], v[4:5], v[12:13]
	ds_load_b128 v[212:215], v1 offset:1472
	v_fma_f64 v[165:166], v[165:166], v[6:7], v[218:219]
	v_fma_f64 v[163:164], v[163:164], v[6:7], -v[8:9]
	scratch_load_b128 v[6:9], off, off offset:784
	v_add_f64 v[161:162], v[161:162], v[222:223]
	v_add_f64 v[167:168], v[167:168], v[220:221]
	v_fma_f64 v[216:217], v[4:5], v[10:11], v[216:217]
	v_fma_f64 v[220:221], v[2:3], v[10:11], -v[12:13]
	scratch_load_b128 v[10:13], off, off offset:800
	ds_load_b128 v[2:5], v1 offset:1488
	s_waitcnt vmcnt(9) lgkmcnt(1)
	v_mul_f64 v[218:219], v[212:213], v[16:17]
	v_mul_f64 v[16:17], v[214:215], v[16:17]
	v_add_f64 v[222:223], v[161:162], v[163:164]
	v_add_f64 v[165:166], v[167:168], v[165:166]
	s_waitcnt vmcnt(8) lgkmcnt(0)
	v_mul_f64 v[167:168], v[2:3], v[20:21]
	v_mul_f64 v[20:21], v[4:5], v[20:21]
	ds_load_b128 v[161:164], v1 offset:1504
	v_fma_f64 v[214:215], v[214:215], v[14:15], v[218:219]
	v_fma_f64 v[14:15], v[212:213], v[14:15], -v[16:17]
	s_waitcnt vmcnt(7) lgkmcnt(0)
	v_mul_f64 v[212:213], v[161:162], v[24:25]
	v_mul_f64 v[24:25], v[163:164], v[24:25]
	v_add_f64 v[16:17], v[222:223], v[220:221]
	v_add_f64 v[165:166], v[165:166], v[216:217]
	v_fma_f64 v[167:168], v[4:5], v[18:19], v[167:168]
	v_fma_f64 v[18:19], v[2:3], v[18:19], -v[20:21]
	v_fma_f64 v[163:164], v[163:164], v[22:23], v[212:213]
	v_fma_f64 v[22:23], v[161:162], v[22:23], -v[24:25]
	v_add_f64 v[20:21], v[16:17], v[14:15]
	v_add_f64 v[165:166], v[165:166], v[214:215]
	ds_load_b128 v[2:5], v1 offset:1520
	ds_load_b128 v[14:17], v1 offset:1536
	s_waitcnt vmcnt(6) lgkmcnt(1)
	v_mul_f64 v[214:215], v[2:3], v[28:29]
	v_mul_f64 v[28:29], v[4:5], v[28:29]
	s_waitcnt vmcnt(5) lgkmcnt(0)
	v_mul_f64 v[24:25], v[14:15], v[32:33]
	v_mul_f64 v[32:33], v[16:17], v[32:33]
	v_add_f64 v[18:19], v[20:21], v[18:19]
	v_add_f64 v[20:21], v[165:166], v[167:168]
	v_fma_f64 v[161:162], v[4:5], v[26:27], v[214:215]
	v_fma_f64 v[26:27], v[2:3], v[26:27], -v[28:29]
	v_fma_f64 v[16:17], v[16:17], v[30:31], v[24:25]
	v_fma_f64 v[14:15], v[14:15], v[30:31], -v[32:33]
	v_add_f64 v[22:23], v[18:19], v[22:23]
	v_add_f64 v[28:29], v[20:21], v[163:164]
	ds_load_b128 v[2:5], v1 offset:1552
	ds_load_b128 v[18:21], v1 offset:1568
	s_waitcnt vmcnt(4) lgkmcnt(1)
	v_mul_f64 v[163:164], v[2:3], v[40:41]
	v_mul_f64 v[40:41], v[4:5], v[40:41]
	v_add_f64 v[22:23], v[22:23], v[26:27]
	v_add_f64 v[24:25], v[28:29], v[161:162]
	s_waitcnt vmcnt(3) lgkmcnt(0)
	v_mul_f64 v[26:27], v[18:19], v[159:160]
	v_mul_f64 v[28:29], v[20:21], v[159:160]
	v_fma_f64 v[30:31], v[4:5], v[38:39], v[163:164]
	v_fma_f64 v[32:33], v[2:3], v[38:39], -v[40:41]
	v_add_f64 v[22:23], v[22:23], v[14:15]
	v_add_f64 v[24:25], v[24:25], v[16:17]
	ds_load_b128 v[2:5], v1 offset:1584
	ds_load_b128 v[14:17], v1 offset:1600
	v_fma_f64 v[20:21], v[20:21], v[157:158], v[26:27]
	v_fma_f64 v[18:19], v[18:19], v[157:158], -v[28:29]
	s_waitcnt vmcnt(2) lgkmcnt(1)
	v_mul_f64 v[38:39], v[2:3], v[36:37]
	v_mul_f64 v[36:37], v[4:5], v[36:37]
	s_waitcnt vmcnt(1) lgkmcnt(0)
	v_mul_f64 v[26:27], v[14:15], v[8:9]
	v_mul_f64 v[8:9], v[16:17], v[8:9]
	v_add_f64 v[22:23], v[22:23], v[32:33]
	v_add_f64 v[24:25], v[24:25], v[30:31]
	v_fma_f64 v[28:29], v[4:5], v[34:35], v[38:39]
	v_fma_f64 v[30:31], v[2:3], v[34:35], -v[36:37]
	ds_load_b128 v[2:5], v1 offset:1616
	v_fma_f64 v[16:17], v[16:17], v[6:7], v[26:27]
	v_fma_f64 v[6:7], v[14:15], v[6:7], -v[8:9]
	v_add_f64 v[18:19], v[22:23], v[18:19]
	v_add_f64 v[20:21], v[24:25], v[20:21]
	s_waitcnt vmcnt(0) lgkmcnt(0)
	v_mul_f64 v[22:23], v[2:3], v[12:13]
	v_mul_f64 v[12:13], v[4:5], v[12:13]
	s_delay_alu instid0(VALU_DEP_4) | instskip(NEXT) | instid1(VALU_DEP_4)
	v_add_f64 v[8:9], v[18:19], v[30:31]
	v_add_f64 v[14:15], v[20:21], v[28:29]
	s_delay_alu instid0(VALU_DEP_4) | instskip(NEXT) | instid1(VALU_DEP_4)
	v_fma_f64 v[4:5], v[4:5], v[10:11], v[22:23]
	v_fma_f64 v[2:3], v[2:3], v[10:11], -v[12:13]
	s_delay_alu instid0(VALU_DEP_4) | instskip(NEXT) | instid1(VALU_DEP_4)
	v_add_f64 v[6:7], v[8:9], v[6:7]
	v_add_f64 v[8:9], v[14:15], v[16:17]
	s_delay_alu instid0(VALU_DEP_2) | instskip(NEXT) | instid1(VALU_DEP_2)
	v_add_f64 v[2:3], v[6:7], v[2:3]
	v_add_f64 v[4:5], v[8:9], v[4:5]
	s_delay_alu instid0(VALU_DEP_2) | instskip(NEXT) | instid1(VALU_DEP_2)
	v_add_f64 v[2:3], v[42:43], -v[2:3]
	v_add_f64 v[4:5], v[44:45], -v[4:5]
	scratch_store_b128 off, v[2:5], off offset:432
	v_cmpx_lt_u32_e32 26, v148
	s_cbranch_execz .LBB114_267
; %bb.266:
	scratch_load_b128 v[5:8], v172, off
	v_mov_b32_e32 v2, v1
	v_mov_b32_e32 v3, v1
	;; [unrolled: 1-line block ×3, first 2 shown]
	scratch_store_b128 off, v[1:4], off offset:416
	s_waitcnt vmcnt(0)
	ds_store_b128 v199, v[5:8]
.LBB114_267:
	s_or_b32 exec_lo, exec_lo, s2
	s_waitcnt lgkmcnt(0)
	s_waitcnt_vscnt null, 0x0
	s_barrier
	buffer_gl0_inv
	s_clause 0x8
	scratch_load_b128 v[2:5], off, off offset:432
	scratch_load_b128 v[6:9], off, off offset:448
	;; [unrolled: 1-line block ×9, first 2 shown]
	ds_load_b128 v[38:41], v1 offset:1248
	ds_load_b128 v[42:45], v1 offset:1264
	s_clause 0x1
	scratch_load_b128 v[157:160], off, off offset:416
	scratch_load_b128 v[161:164], off, off offset:576
	s_mov_b32 s2, exec_lo
	s_waitcnt vmcnt(10) lgkmcnt(1)
	v_mul_f64 v[165:166], v[40:41], v[4:5]
	v_mul_f64 v[4:5], v[38:39], v[4:5]
	s_waitcnt vmcnt(9) lgkmcnt(0)
	v_mul_f64 v[212:213], v[42:43], v[8:9]
	v_mul_f64 v[8:9], v[44:45], v[8:9]
	s_delay_alu instid0(VALU_DEP_4) | instskip(NEXT) | instid1(VALU_DEP_4)
	v_fma_f64 v[214:215], v[38:39], v[2:3], -v[165:166]
	v_fma_f64 v[216:217], v[40:41], v[2:3], v[4:5]
	ds_load_b128 v[2:5], v1 offset:1280
	ds_load_b128 v[165:168], v1 offset:1296
	scratch_load_b128 v[38:41], off, off offset:592
	v_fma_f64 v[44:45], v[44:45], v[6:7], v[212:213]
	v_fma_f64 v[42:43], v[42:43], v[6:7], -v[8:9]
	scratch_load_b128 v[6:9], off, off offset:608
	s_waitcnt vmcnt(10) lgkmcnt(1)
	v_mul_f64 v[218:219], v[2:3], v[12:13]
	v_mul_f64 v[12:13], v[4:5], v[12:13]
	v_add_f64 v[212:213], v[214:215], 0
	v_add_f64 v[214:215], v[216:217], 0
	s_waitcnt vmcnt(9) lgkmcnt(0)
	v_mul_f64 v[216:217], v[165:166], v[16:17]
	v_mul_f64 v[16:17], v[167:168], v[16:17]
	v_fma_f64 v[218:219], v[4:5], v[10:11], v[218:219]
	v_fma_f64 v[220:221], v[2:3], v[10:11], -v[12:13]
	ds_load_b128 v[2:5], v1 offset:1312
	scratch_load_b128 v[10:13], off, off offset:624
	v_add_f64 v[212:213], v[212:213], v[42:43]
	v_add_f64 v[214:215], v[214:215], v[44:45]
	ds_load_b128 v[42:45], v1 offset:1328
	v_fma_f64 v[167:168], v[167:168], v[14:15], v[216:217]
	v_fma_f64 v[165:166], v[165:166], v[14:15], -v[16:17]
	scratch_load_b128 v[14:17], off, off offset:640
	s_waitcnt vmcnt(10) lgkmcnt(1)
	v_mul_f64 v[222:223], v[2:3], v[20:21]
	v_mul_f64 v[20:21], v[4:5], v[20:21]
	s_waitcnt vmcnt(9) lgkmcnt(0)
	v_mul_f64 v[216:217], v[42:43], v[24:25]
	v_mul_f64 v[24:25], v[44:45], v[24:25]
	v_add_f64 v[212:213], v[212:213], v[220:221]
	v_add_f64 v[214:215], v[214:215], v[218:219]
	v_fma_f64 v[218:219], v[4:5], v[18:19], v[222:223]
	v_fma_f64 v[220:221], v[2:3], v[18:19], -v[20:21]
	ds_load_b128 v[2:5], v1 offset:1344
	scratch_load_b128 v[18:21], off, off offset:656
	v_fma_f64 v[44:45], v[44:45], v[22:23], v[216:217]
	v_fma_f64 v[42:43], v[42:43], v[22:23], -v[24:25]
	scratch_load_b128 v[22:25], off, off offset:672
	v_add_f64 v[212:213], v[212:213], v[165:166]
	v_add_f64 v[214:215], v[214:215], v[167:168]
	ds_load_b128 v[165:168], v1 offset:1360
	s_waitcnt vmcnt(10) lgkmcnt(1)
	v_mul_f64 v[222:223], v[2:3], v[28:29]
	v_mul_f64 v[28:29], v[4:5], v[28:29]
	s_waitcnt vmcnt(9) lgkmcnt(0)
	v_mul_f64 v[216:217], v[165:166], v[32:33]
	v_mul_f64 v[32:33], v[167:168], v[32:33]
	v_add_f64 v[212:213], v[212:213], v[220:221]
	v_add_f64 v[214:215], v[214:215], v[218:219]
	v_fma_f64 v[218:219], v[4:5], v[26:27], v[222:223]
	v_fma_f64 v[220:221], v[2:3], v[26:27], -v[28:29]
	ds_load_b128 v[2:5], v1 offset:1376
	scratch_load_b128 v[26:29], off, off offset:688
	v_fma_f64 v[167:168], v[167:168], v[30:31], v[216:217]
	v_fma_f64 v[165:166], v[165:166], v[30:31], -v[32:33]
	scratch_load_b128 v[30:33], off, off offset:704
	v_add_f64 v[212:213], v[212:213], v[42:43]
	v_add_f64 v[214:215], v[214:215], v[44:45]
	ds_load_b128 v[42:45], v1 offset:1392
	s_waitcnt vmcnt(10) lgkmcnt(1)
	v_mul_f64 v[222:223], v[2:3], v[36:37]
	v_mul_f64 v[36:37], v[4:5], v[36:37]
	s_waitcnt vmcnt(8) lgkmcnt(0)
	v_mul_f64 v[216:217], v[42:43], v[163:164]
	v_add_f64 v[212:213], v[212:213], v[220:221]
	v_add_f64 v[214:215], v[214:215], v[218:219]
	v_mul_f64 v[218:219], v[44:45], v[163:164]
	v_fma_f64 v[220:221], v[4:5], v[34:35], v[222:223]
	v_fma_f64 v[222:223], v[2:3], v[34:35], -v[36:37]
	ds_load_b128 v[2:5], v1 offset:1408
	scratch_load_b128 v[34:37], off, off offset:720
	v_fma_f64 v[44:45], v[44:45], v[161:162], v[216:217]
	v_add_f64 v[212:213], v[212:213], v[165:166]
	v_add_f64 v[167:168], v[214:215], v[167:168]
	ds_load_b128 v[163:166], v1 offset:1424
	v_fma_f64 v[161:162], v[42:43], v[161:162], -v[218:219]
	ds_load_b128 v[216:219], v1 offset:1456
	s_waitcnt vmcnt(8) lgkmcnt(2)
	v_mul_f64 v[214:215], v[2:3], v[40:41]
	v_mul_f64 v[224:225], v[4:5], v[40:41]
	scratch_load_b128 v[40:43], off, off offset:736
	v_add_f64 v[212:213], v[212:213], v[222:223]
	v_add_f64 v[167:168], v[167:168], v[220:221]
	s_waitcnt vmcnt(8) lgkmcnt(1)
	v_mul_f64 v[220:221], v[163:164], v[8:9]
	v_mul_f64 v[8:9], v[165:166], v[8:9]
	v_fma_f64 v[222:223], v[4:5], v[38:39], v[214:215]
	v_fma_f64 v[38:39], v[2:3], v[38:39], -v[224:225]
	ds_load_b128 v[2:5], v1 offset:1440
	v_add_f64 v[161:162], v[212:213], v[161:162]
	v_add_f64 v[44:45], v[167:168], v[44:45]
	scratch_load_b128 v[212:215], off, off offset:752
	v_fma_f64 v[165:166], v[165:166], v[6:7], v[220:221]
	s_waitcnt vmcnt(8) lgkmcnt(0)
	v_mul_f64 v[167:168], v[2:3], v[12:13]
	v_mul_f64 v[12:13], v[4:5], v[12:13]
	v_fma_f64 v[163:164], v[163:164], v[6:7], -v[8:9]
	scratch_load_b128 v[6:9], off, off offset:768
	s_waitcnt vmcnt(8)
	v_mul_f64 v[220:221], v[216:217], v[16:17]
	v_mul_f64 v[16:17], v[218:219], v[16:17]
	v_add_f64 v[38:39], v[161:162], v[38:39]
	v_add_f64 v[44:45], v[44:45], v[222:223]
	v_fma_f64 v[167:168], v[4:5], v[10:11], v[167:168]
	v_fma_f64 v[222:223], v[2:3], v[10:11], -v[12:13]
	ds_load_b128 v[2:5], v1 offset:1472
	scratch_load_b128 v[10:13], off, off offset:784
	v_fma_f64 v[218:219], v[218:219], v[14:15], v[220:221]
	v_fma_f64 v[216:217], v[216:217], v[14:15], -v[16:17]
	scratch_load_b128 v[14:17], off, off offset:800
	v_add_f64 v[38:39], v[38:39], v[163:164]
	v_add_f64 v[44:45], v[44:45], v[165:166]
	ds_load_b128 v[161:164], v1 offset:1488
	s_waitcnt vmcnt(9) lgkmcnt(1)
	v_mul_f64 v[165:166], v[2:3], v[20:21]
	v_mul_f64 v[20:21], v[4:5], v[20:21]
	v_add_f64 v[38:39], v[38:39], v[222:223]
	v_add_f64 v[44:45], v[44:45], v[167:168]
	s_waitcnt vmcnt(8) lgkmcnt(0)
	v_mul_f64 v[167:168], v[161:162], v[24:25]
	v_mul_f64 v[24:25], v[163:164], v[24:25]
	v_fma_f64 v[165:166], v[4:5], v[18:19], v[165:166]
	v_fma_f64 v[220:221], v[2:3], v[18:19], -v[20:21]
	ds_load_b128 v[2:5], v1 offset:1504
	ds_load_b128 v[18:21], v1 offset:1520
	v_add_f64 v[38:39], v[38:39], v[216:217]
	v_add_f64 v[44:45], v[44:45], v[218:219]
	s_waitcnt vmcnt(7) lgkmcnt(1)
	v_mul_f64 v[216:217], v[2:3], v[28:29]
	v_mul_f64 v[28:29], v[4:5], v[28:29]
	v_fma_f64 v[163:164], v[163:164], v[22:23], v[167:168]
	v_fma_f64 v[22:23], v[161:162], v[22:23], -v[24:25]
	v_add_f64 v[24:25], v[38:39], v[220:221]
	v_add_f64 v[38:39], v[44:45], v[165:166]
	s_waitcnt vmcnt(6) lgkmcnt(0)
	v_mul_f64 v[44:45], v[18:19], v[32:33]
	v_mul_f64 v[32:33], v[20:21], v[32:33]
	v_fma_f64 v[161:162], v[4:5], v[26:27], v[216:217]
	v_fma_f64 v[26:27], v[2:3], v[26:27], -v[28:29]
	v_add_f64 v[28:29], v[24:25], v[22:23]
	v_add_f64 v[38:39], v[38:39], v[163:164]
	ds_load_b128 v[2:5], v1 offset:1536
	ds_load_b128 v[22:25], v1 offset:1552
	v_fma_f64 v[20:21], v[20:21], v[30:31], v[44:45]
	v_fma_f64 v[18:19], v[18:19], v[30:31], -v[32:33]
	s_waitcnt vmcnt(5) lgkmcnt(1)
	v_mul_f64 v[163:164], v[2:3], v[36:37]
	v_mul_f64 v[36:37], v[4:5], v[36:37]
	s_waitcnt vmcnt(4) lgkmcnt(0)
	v_mul_f64 v[30:31], v[22:23], v[42:43]
	v_add_f64 v[26:27], v[28:29], v[26:27]
	v_add_f64 v[28:29], v[38:39], v[161:162]
	v_mul_f64 v[32:33], v[24:25], v[42:43]
	v_fma_f64 v[38:39], v[4:5], v[34:35], v[163:164]
	v_fma_f64 v[34:35], v[2:3], v[34:35], -v[36:37]
	v_fma_f64 v[24:25], v[24:25], v[40:41], v[30:31]
	v_add_f64 v[26:27], v[26:27], v[18:19]
	v_add_f64 v[28:29], v[28:29], v[20:21]
	ds_load_b128 v[2:5], v1 offset:1568
	ds_load_b128 v[18:21], v1 offset:1584
	v_fma_f64 v[22:23], v[22:23], v[40:41], -v[32:33]
	s_waitcnt vmcnt(3) lgkmcnt(1)
	v_mul_f64 v[36:37], v[2:3], v[214:215]
	v_mul_f64 v[42:43], v[4:5], v[214:215]
	s_waitcnt vmcnt(2) lgkmcnt(0)
	v_mul_f64 v[30:31], v[18:19], v[8:9]
	v_mul_f64 v[8:9], v[20:21], v[8:9]
	v_add_f64 v[26:27], v[26:27], v[34:35]
	v_add_f64 v[28:29], v[28:29], v[38:39]
	v_fma_f64 v[32:33], v[4:5], v[212:213], v[36:37]
	v_fma_f64 v[34:35], v[2:3], v[212:213], -v[42:43]
	v_fma_f64 v[20:21], v[20:21], v[6:7], v[30:31]
	v_fma_f64 v[6:7], v[18:19], v[6:7], -v[8:9]
	v_add_f64 v[26:27], v[26:27], v[22:23]
	v_add_f64 v[28:29], v[28:29], v[24:25]
	ds_load_b128 v[2:5], v1 offset:1600
	ds_load_b128 v[22:25], v1 offset:1616
	s_waitcnt vmcnt(1) lgkmcnt(1)
	v_mul_f64 v[36:37], v[2:3], v[12:13]
	v_mul_f64 v[12:13], v[4:5], v[12:13]
	v_add_f64 v[8:9], v[26:27], v[34:35]
	v_add_f64 v[18:19], v[28:29], v[32:33]
	s_waitcnt vmcnt(0) lgkmcnt(0)
	v_mul_f64 v[26:27], v[22:23], v[16:17]
	v_mul_f64 v[16:17], v[24:25], v[16:17]
	v_fma_f64 v[4:5], v[4:5], v[10:11], v[36:37]
	v_fma_f64 v[1:2], v[2:3], v[10:11], -v[12:13]
	v_add_f64 v[6:7], v[8:9], v[6:7]
	v_add_f64 v[8:9], v[18:19], v[20:21]
	v_fma_f64 v[10:11], v[24:25], v[14:15], v[26:27]
	v_fma_f64 v[12:13], v[22:23], v[14:15], -v[16:17]
	s_delay_alu instid0(VALU_DEP_4) | instskip(NEXT) | instid1(VALU_DEP_4)
	v_add_f64 v[1:2], v[6:7], v[1:2]
	v_add_f64 v[3:4], v[8:9], v[4:5]
	s_delay_alu instid0(VALU_DEP_2) | instskip(NEXT) | instid1(VALU_DEP_2)
	v_add_f64 v[1:2], v[1:2], v[12:13]
	v_add_f64 v[3:4], v[3:4], v[10:11]
	s_delay_alu instid0(VALU_DEP_2) | instskip(NEXT) | instid1(VALU_DEP_2)
	v_add_f64 v[1:2], v[157:158], -v[1:2]
	v_add_f64 v[3:4], v[159:160], -v[3:4]
	scratch_store_b128 off, v[1:4], off offset:416
	v_cmpx_lt_u32_e32 25, v148
	s_cbranch_execz .LBB114_269
; %bb.268:
	scratch_load_b128 v[1:4], v173, off
	v_mov_b32_e32 v5, 0
	s_delay_alu instid0(VALU_DEP_1)
	v_mov_b32_e32 v6, v5
	v_mov_b32_e32 v7, v5
	;; [unrolled: 1-line block ×3, first 2 shown]
	scratch_store_b128 off, v[5:8], off offset:400
	s_waitcnt vmcnt(0)
	ds_store_b128 v199, v[1:4]
.LBB114_269:
	s_or_b32 exec_lo, exec_lo, s2
	s_waitcnt lgkmcnt(0)
	s_waitcnt_vscnt null, 0x0
	s_barrier
	buffer_gl0_inv
	s_clause 0x7
	scratch_load_b128 v[2:5], off, off offset:416
	scratch_load_b128 v[6:9], off, off offset:432
	;; [unrolled: 1-line block ×8, first 2 shown]
	v_mov_b32_e32 v1, 0
	s_mov_b32 s2, exec_lo
	ds_load_b128 v[34:37], v1 offset:1232
	s_clause 0x1
	scratch_load_b128 v[38:41], off, off offset:544
	scratch_load_b128 v[42:45], off, off offset:400
	ds_load_b128 v[157:160], v1 offset:1248
	scratch_load_b128 v[161:164], off, off offset:560
	s_waitcnt vmcnt(10) lgkmcnt(1)
	v_mul_f64 v[165:166], v[36:37], v[4:5]
	v_mul_f64 v[4:5], v[34:35], v[4:5]
	s_delay_alu instid0(VALU_DEP_2) | instskip(NEXT) | instid1(VALU_DEP_2)
	v_fma_f64 v[214:215], v[34:35], v[2:3], -v[165:166]
	v_fma_f64 v[216:217], v[36:37], v[2:3], v[4:5]
	scratch_load_b128 v[34:37], off, off offset:576
	ds_load_b128 v[2:5], v1 offset:1264
	s_waitcnt vmcnt(10) lgkmcnt(1)
	v_mul_f64 v[212:213], v[157:158], v[8:9]
	v_mul_f64 v[8:9], v[159:160], v[8:9]
	ds_load_b128 v[165:168], v1 offset:1280
	s_waitcnt vmcnt(9) lgkmcnt(1)
	v_mul_f64 v[218:219], v[2:3], v[12:13]
	v_mul_f64 v[12:13], v[4:5], v[12:13]
	v_fma_f64 v[159:160], v[159:160], v[6:7], v[212:213]
	v_fma_f64 v[157:158], v[157:158], v[6:7], -v[8:9]
	v_add_f64 v[212:213], v[214:215], 0
	v_add_f64 v[214:215], v[216:217], 0
	scratch_load_b128 v[6:9], off, off offset:592
	v_fma_f64 v[218:219], v[4:5], v[10:11], v[218:219]
	v_fma_f64 v[220:221], v[2:3], v[10:11], -v[12:13]
	scratch_load_b128 v[10:13], off, off offset:608
	ds_load_b128 v[2:5], v1 offset:1296
	s_waitcnt vmcnt(10) lgkmcnt(1)
	v_mul_f64 v[216:217], v[165:166], v[16:17]
	v_mul_f64 v[16:17], v[167:168], v[16:17]
	v_add_f64 v[212:213], v[212:213], v[157:158]
	v_add_f64 v[214:215], v[214:215], v[159:160]
	s_waitcnt vmcnt(9) lgkmcnt(0)
	v_mul_f64 v[222:223], v[2:3], v[20:21]
	v_mul_f64 v[20:21], v[4:5], v[20:21]
	ds_load_b128 v[157:160], v1 offset:1312
	v_fma_f64 v[167:168], v[167:168], v[14:15], v[216:217]
	v_fma_f64 v[165:166], v[165:166], v[14:15], -v[16:17]
	scratch_load_b128 v[14:17], off, off offset:624
	v_add_f64 v[212:213], v[212:213], v[220:221]
	v_add_f64 v[214:215], v[214:215], v[218:219]
	v_fma_f64 v[218:219], v[4:5], v[18:19], v[222:223]
	v_fma_f64 v[220:221], v[2:3], v[18:19], -v[20:21]
	scratch_load_b128 v[18:21], off, off offset:640
	ds_load_b128 v[2:5], v1 offset:1328
	s_waitcnt vmcnt(10) lgkmcnt(1)
	v_mul_f64 v[216:217], v[157:158], v[24:25]
	v_mul_f64 v[24:25], v[159:160], v[24:25]
	s_waitcnt vmcnt(9) lgkmcnt(0)
	v_mul_f64 v[222:223], v[2:3], v[28:29]
	v_mul_f64 v[28:29], v[4:5], v[28:29]
	v_add_f64 v[212:213], v[212:213], v[165:166]
	v_add_f64 v[214:215], v[214:215], v[167:168]
	ds_load_b128 v[165:168], v1 offset:1344
	v_fma_f64 v[159:160], v[159:160], v[22:23], v[216:217]
	v_fma_f64 v[157:158], v[157:158], v[22:23], -v[24:25]
	scratch_load_b128 v[22:25], off, off offset:656
	v_add_f64 v[212:213], v[212:213], v[220:221]
	v_add_f64 v[214:215], v[214:215], v[218:219]
	v_fma_f64 v[218:219], v[4:5], v[26:27], v[222:223]
	v_fma_f64 v[220:221], v[2:3], v[26:27], -v[28:29]
	scratch_load_b128 v[26:29], off, off offset:672
	ds_load_b128 v[2:5], v1 offset:1360
	s_waitcnt vmcnt(10) lgkmcnt(1)
	v_mul_f64 v[216:217], v[165:166], v[32:33]
	v_mul_f64 v[32:33], v[167:168], v[32:33]
	s_waitcnt vmcnt(9) lgkmcnt(0)
	v_mul_f64 v[222:223], v[2:3], v[40:41]
	v_mul_f64 v[40:41], v[4:5], v[40:41]
	v_add_f64 v[212:213], v[212:213], v[157:158]
	v_add_f64 v[214:215], v[214:215], v[159:160]
	ds_load_b128 v[157:160], v1 offset:1376
	v_fma_f64 v[167:168], v[167:168], v[30:31], v[216:217]
	v_fma_f64 v[165:166], v[165:166], v[30:31], -v[32:33]
	scratch_load_b128 v[30:33], off, off offset:688
	v_add_f64 v[212:213], v[212:213], v[220:221]
	v_add_f64 v[214:215], v[214:215], v[218:219]
	v_fma_f64 v[220:221], v[4:5], v[38:39], v[222:223]
	v_fma_f64 v[222:223], v[2:3], v[38:39], -v[40:41]
	scratch_load_b128 v[38:41], off, off offset:704
	ds_load_b128 v[2:5], v1 offset:1392
	s_waitcnt vmcnt(9) lgkmcnt(1)
	v_mul_f64 v[216:217], v[157:158], v[163:164]
	v_mul_f64 v[218:219], v[159:160], v[163:164]
	v_add_f64 v[212:213], v[212:213], v[165:166]
	v_add_f64 v[167:168], v[214:215], v[167:168]
	ds_load_b128 v[163:166], v1 offset:1408
	v_fma_f64 v[216:217], v[159:160], v[161:162], v[216:217]
	v_fma_f64 v[161:162], v[157:158], v[161:162], -v[218:219]
	scratch_load_b128 v[157:160], off, off offset:720
	s_waitcnt vmcnt(9) lgkmcnt(1)
	v_mul_f64 v[214:215], v[2:3], v[36:37]
	v_mul_f64 v[36:37], v[4:5], v[36:37]
	v_add_f64 v[212:213], v[212:213], v[222:223]
	v_add_f64 v[167:168], v[167:168], v[220:221]
	s_delay_alu instid0(VALU_DEP_4) | instskip(NEXT) | instid1(VALU_DEP_4)
	v_fma_f64 v[220:221], v[4:5], v[34:35], v[214:215]
	v_fma_f64 v[222:223], v[2:3], v[34:35], -v[36:37]
	scratch_load_b128 v[34:37], off, off offset:736
	ds_load_b128 v[2:5], v1 offset:1424
	s_waitcnt vmcnt(9) lgkmcnt(1)
	v_mul_f64 v[218:219], v[163:164], v[8:9]
	v_mul_f64 v[8:9], v[165:166], v[8:9]
	v_add_f64 v[161:162], v[212:213], v[161:162]
	v_add_f64 v[167:168], v[167:168], v[216:217]
	s_waitcnt vmcnt(8) lgkmcnt(0)
	v_mul_f64 v[216:217], v[2:3], v[12:13]
	v_mul_f64 v[12:13], v[4:5], v[12:13]
	ds_load_b128 v[212:215], v1 offset:1440
	v_fma_f64 v[165:166], v[165:166], v[6:7], v[218:219]
	v_fma_f64 v[163:164], v[163:164], v[6:7], -v[8:9]
	scratch_load_b128 v[6:9], off, off offset:752
	v_add_f64 v[161:162], v[161:162], v[222:223]
	v_add_f64 v[167:168], v[167:168], v[220:221]
	v_fma_f64 v[216:217], v[4:5], v[10:11], v[216:217]
	v_fma_f64 v[220:221], v[2:3], v[10:11], -v[12:13]
	scratch_load_b128 v[10:13], off, off offset:768
	ds_load_b128 v[2:5], v1 offset:1456
	s_waitcnt vmcnt(9) lgkmcnt(1)
	v_mul_f64 v[218:219], v[212:213], v[16:17]
	v_mul_f64 v[16:17], v[214:215], v[16:17]
	v_add_f64 v[222:223], v[161:162], v[163:164]
	v_add_f64 v[165:166], v[167:168], v[165:166]
	s_waitcnt vmcnt(8) lgkmcnt(0)
	v_mul_f64 v[167:168], v[2:3], v[20:21]
	v_mul_f64 v[20:21], v[4:5], v[20:21]
	ds_load_b128 v[161:164], v1 offset:1472
	v_fma_f64 v[214:215], v[214:215], v[14:15], v[218:219]
	v_fma_f64 v[212:213], v[212:213], v[14:15], -v[16:17]
	scratch_load_b128 v[14:17], off, off offset:784
	v_add_f64 v[218:219], v[222:223], v[220:221]
	v_add_f64 v[165:166], v[165:166], v[216:217]
	v_fma_f64 v[220:221], v[4:5], v[18:19], v[167:168]
	v_fma_f64 v[222:223], v[2:3], v[18:19], -v[20:21]
	scratch_load_b128 v[18:21], off, off offset:800
	ds_load_b128 v[2:5], v1 offset:1488
	s_waitcnt vmcnt(9) lgkmcnt(1)
	v_mul_f64 v[216:217], v[161:162], v[24:25]
	v_mul_f64 v[24:25], v[163:164], v[24:25]
	v_add_f64 v[212:213], v[218:219], v[212:213]
	v_add_f64 v[214:215], v[165:166], v[214:215]
	s_waitcnt vmcnt(8) lgkmcnt(0)
	v_mul_f64 v[218:219], v[2:3], v[28:29]
	v_mul_f64 v[28:29], v[4:5], v[28:29]
	ds_load_b128 v[165:168], v1 offset:1504
	v_fma_f64 v[163:164], v[163:164], v[22:23], v[216:217]
	v_fma_f64 v[22:23], v[161:162], v[22:23], -v[24:25]
	v_add_f64 v[24:25], v[212:213], v[222:223]
	v_add_f64 v[161:162], v[214:215], v[220:221]
	s_waitcnt vmcnt(7) lgkmcnt(0)
	v_mul_f64 v[212:213], v[165:166], v[32:33]
	v_mul_f64 v[32:33], v[167:168], v[32:33]
	v_fma_f64 v[214:215], v[4:5], v[26:27], v[218:219]
	v_fma_f64 v[26:27], v[2:3], v[26:27], -v[28:29]
	v_add_f64 v[28:29], v[24:25], v[22:23]
	v_add_f64 v[161:162], v[161:162], v[163:164]
	ds_load_b128 v[2:5], v1 offset:1520
	ds_load_b128 v[22:25], v1 offset:1536
	v_fma_f64 v[167:168], v[167:168], v[30:31], v[212:213]
	v_fma_f64 v[30:31], v[165:166], v[30:31], -v[32:33]
	s_waitcnt vmcnt(6) lgkmcnt(1)
	v_mul_f64 v[163:164], v[2:3], v[40:41]
	v_mul_f64 v[40:41], v[4:5], v[40:41]
	s_waitcnt vmcnt(5) lgkmcnt(0)
	v_mul_f64 v[32:33], v[22:23], v[159:160]
	v_mul_f64 v[159:160], v[24:25], v[159:160]
	v_add_f64 v[26:27], v[28:29], v[26:27]
	v_add_f64 v[28:29], v[161:162], v[214:215]
	v_fma_f64 v[161:162], v[4:5], v[38:39], v[163:164]
	v_fma_f64 v[38:39], v[2:3], v[38:39], -v[40:41]
	v_fma_f64 v[24:25], v[24:25], v[157:158], v[32:33]
	v_fma_f64 v[22:23], v[22:23], v[157:158], -v[159:160]
	v_add_f64 v[30:31], v[26:27], v[30:31]
	v_add_f64 v[40:41], v[28:29], v[167:168]
	ds_load_b128 v[2:5], v1 offset:1552
	ds_load_b128 v[26:29], v1 offset:1568
	s_waitcnt vmcnt(4) lgkmcnt(1)
	v_mul_f64 v[163:164], v[2:3], v[36:37]
	v_mul_f64 v[36:37], v[4:5], v[36:37]
	v_add_f64 v[30:31], v[30:31], v[38:39]
	v_add_f64 v[32:33], v[40:41], v[161:162]
	s_waitcnt vmcnt(3) lgkmcnt(0)
	v_mul_f64 v[38:39], v[26:27], v[8:9]
	v_mul_f64 v[8:9], v[28:29], v[8:9]
	v_fma_f64 v[40:41], v[4:5], v[34:35], v[163:164]
	v_fma_f64 v[34:35], v[2:3], v[34:35], -v[36:37]
	v_add_f64 v[30:31], v[30:31], v[22:23]
	v_add_f64 v[32:33], v[32:33], v[24:25]
	ds_load_b128 v[2:5], v1 offset:1584
	ds_load_b128 v[22:25], v1 offset:1600
	v_fma_f64 v[28:29], v[28:29], v[6:7], v[38:39]
	v_fma_f64 v[6:7], v[26:27], v[6:7], -v[8:9]
	s_waitcnt vmcnt(2) lgkmcnt(1)
	v_mul_f64 v[36:37], v[2:3], v[12:13]
	v_mul_f64 v[12:13], v[4:5], v[12:13]
	v_add_f64 v[8:9], v[30:31], v[34:35]
	v_add_f64 v[26:27], v[32:33], v[40:41]
	s_waitcnt vmcnt(1) lgkmcnt(0)
	v_mul_f64 v[30:31], v[22:23], v[16:17]
	v_mul_f64 v[16:17], v[24:25], v[16:17]
	v_fma_f64 v[32:33], v[4:5], v[10:11], v[36:37]
	v_fma_f64 v[10:11], v[2:3], v[10:11], -v[12:13]
	ds_load_b128 v[2:5], v1 offset:1616
	v_add_f64 v[6:7], v[8:9], v[6:7]
	v_add_f64 v[8:9], v[26:27], v[28:29]
	v_fma_f64 v[24:25], v[24:25], v[14:15], v[30:31]
	v_fma_f64 v[14:15], v[22:23], v[14:15], -v[16:17]
	s_waitcnt vmcnt(0) lgkmcnt(0)
	v_mul_f64 v[12:13], v[2:3], v[20:21]
	v_mul_f64 v[20:21], v[4:5], v[20:21]
	v_add_f64 v[6:7], v[6:7], v[10:11]
	v_add_f64 v[8:9], v[8:9], v[32:33]
	s_delay_alu instid0(VALU_DEP_4) | instskip(NEXT) | instid1(VALU_DEP_4)
	v_fma_f64 v[4:5], v[4:5], v[18:19], v[12:13]
	v_fma_f64 v[2:3], v[2:3], v[18:19], -v[20:21]
	s_delay_alu instid0(VALU_DEP_4) | instskip(NEXT) | instid1(VALU_DEP_4)
	v_add_f64 v[6:7], v[6:7], v[14:15]
	v_add_f64 v[8:9], v[8:9], v[24:25]
	s_delay_alu instid0(VALU_DEP_2) | instskip(NEXT) | instid1(VALU_DEP_2)
	v_add_f64 v[2:3], v[6:7], v[2:3]
	v_add_f64 v[4:5], v[8:9], v[4:5]
	s_delay_alu instid0(VALU_DEP_2) | instskip(NEXT) | instid1(VALU_DEP_2)
	v_add_f64 v[2:3], v[42:43], -v[2:3]
	v_add_f64 v[4:5], v[44:45], -v[4:5]
	scratch_store_b128 off, v[2:5], off offset:400
	v_cmpx_lt_u32_e32 24, v148
	s_cbranch_execz .LBB114_271
; %bb.270:
	scratch_load_b128 v[5:8], v174, off
	v_mov_b32_e32 v2, v1
	v_mov_b32_e32 v3, v1
	;; [unrolled: 1-line block ×3, first 2 shown]
	scratch_store_b128 off, v[1:4], off offset:384
	s_waitcnt vmcnt(0)
	ds_store_b128 v199, v[5:8]
.LBB114_271:
	s_or_b32 exec_lo, exec_lo, s2
	s_waitcnt lgkmcnt(0)
	s_waitcnt_vscnt null, 0x0
	s_barrier
	buffer_gl0_inv
	s_clause 0x8
	scratch_load_b128 v[2:5], off, off offset:400
	scratch_load_b128 v[6:9], off, off offset:416
	;; [unrolled: 1-line block ×9, first 2 shown]
	ds_load_b128 v[38:41], v1 offset:1216
	ds_load_b128 v[42:45], v1 offset:1232
	s_clause 0x1
	scratch_load_b128 v[157:160], off, off offset:384
	scratch_load_b128 v[161:164], off, off offset:544
	s_mov_b32 s2, exec_lo
	s_waitcnt vmcnt(10) lgkmcnt(1)
	v_mul_f64 v[165:166], v[40:41], v[4:5]
	v_mul_f64 v[4:5], v[38:39], v[4:5]
	s_waitcnt vmcnt(9) lgkmcnt(0)
	v_mul_f64 v[212:213], v[42:43], v[8:9]
	v_mul_f64 v[8:9], v[44:45], v[8:9]
	s_delay_alu instid0(VALU_DEP_4) | instskip(NEXT) | instid1(VALU_DEP_4)
	v_fma_f64 v[214:215], v[38:39], v[2:3], -v[165:166]
	v_fma_f64 v[216:217], v[40:41], v[2:3], v[4:5]
	ds_load_b128 v[2:5], v1 offset:1248
	ds_load_b128 v[165:168], v1 offset:1264
	scratch_load_b128 v[38:41], off, off offset:560
	v_fma_f64 v[44:45], v[44:45], v[6:7], v[212:213]
	v_fma_f64 v[42:43], v[42:43], v[6:7], -v[8:9]
	scratch_load_b128 v[6:9], off, off offset:576
	s_waitcnt vmcnt(10) lgkmcnt(1)
	v_mul_f64 v[218:219], v[2:3], v[12:13]
	v_mul_f64 v[12:13], v[4:5], v[12:13]
	v_add_f64 v[212:213], v[214:215], 0
	v_add_f64 v[214:215], v[216:217], 0
	s_waitcnt vmcnt(9) lgkmcnt(0)
	v_mul_f64 v[216:217], v[165:166], v[16:17]
	v_mul_f64 v[16:17], v[167:168], v[16:17]
	v_fma_f64 v[218:219], v[4:5], v[10:11], v[218:219]
	v_fma_f64 v[220:221], v[2:3], v[10:11], -v[12:13]
	ds_load_b128 v[2:5], v1 offset:1280
	scratch_load_b128 v[10:13], off, off offset:592
	v_add_f64 v[212:213], v[212:213], v[42:43]
	v_add_f64 v[214:215], v[214:215], v[44:45]
	ds_load_b128 v[42:45], v1 offset:1296
	v_fma_f64 v[167:168], v[167:168], v[14:15], v[216:217]
	v_fma_f64 v[165:166], v[165:166], v[14:15], -v[16:17]
	scratch_load_b128 v[14:17], off, off offset:608
	s_waitcnt vmcnt(10) lgkmcnt(1)
	v_mul_f64 v[222:223], v[2:3], v[20:21]
	v_mul_f64 v[20:21], v[4:5], v[20:21]
	s_waitcnt vmcnt(9) lgkmcnt(0)
	v_mul_f64 v[216:217], v[42:43], v[24:25]
	v_mul_f64 v[24:25], v[44:45], v[24:25]
	v_add_f64 v[212:213], v[212:213], v[220:221]
	v_add_f64 v[214:215], v[214:215], v[218:219]
	v_fma_f64 v[218:219], v[4:5], v[18:19], v[222:223]
	v_fma_f64 v[220:221], v[2:3], v[18:19], -v[20:21]
	ds_load_b128 v[2:5], v1 offset:1312
	scratch_load_b128 v[18:21], off, off offset:624
	v_fma_f64 v[44:45], v[44:45], v[22:23], v[216:217]
	v_fma_f64 v[42:43], v[42:43], v[22:23], -v[24:25]
	scratch_load_b128 v[22:25], off, off offset:640
	v_add_f64 v[212:213], v[212:213], v[165:166]
	v_add_f64 v[214:215], v[214:215], v[167:168]
	ds_load_b128 v[165:168], v1 offset:1328
	s_waitcnt vmcnt(10) lgkmcnt(1)
	v_mul_f64 v[222:223], v[2:3], v[28:29]
	v_mul_f64 v[28:29], v[4:5], v[28:29]
	s_waitcnt vmcnt(9) lgkmcnt(0)
	v_mul_f64 v[216:217], v[165:166], v[32:33]
	v_mul_f64 v[32:33], v[167:168], v[32:33]
	v_add_f64 v[212:213], v[212:213], v[220:221]
	v_add_f64 v[214:215], v[214:215], v[218:219]
	v_fma_f64 v[218:219], v[4:5], v[26:27], v[222:223]
	v_fma_f64 v[220:221], v[2:3], v[26:27], -v[28:29]
	ds_load_b128 v[2:5], v1 offset:1344
	scratch_load_b128 v[26:29], off, off offset:656
	v_fma_f64 v[167:168], v[167:168], v[30:31], v[216:217]
	v_fma_f64 v[165:166], v[165:166], v[30:31], -v[32:33]
	scratch_load_b128 v[30:33], off, off offset:672
	v_add_f64 v[212:213], v[212:213], v[42:43]
	v_add_f64 v[214:215], v[214:215], v[44:45]
	ds_load_b128 v[42:45], v1 offset:1360
	s_waitcnt vmcnt(10) lgkmcnt(1)
	v_mul_f64 v[222:223], v[2:3], v[36:37]
	v_mul_f64 v[36:37], v[4:5], v[36:37]
	s_waitcnt vmcnt(8) lgkmcnt(0)
	v_mul_f64 v[216:217], v[42:43], v[163:164]
	v_add_f64 v[212:213], v[212:213], v[220:221]
	v_add_f64 v[214:215], v[214:215], v[218:219]
	v_mul_f64 v[218:219], v[44:45], v[163:164]
	v_fma_f64 v[220:221], v[4:5], v[34:35], v[222:223]
	v_fma_f64 v[222:223], v[2:3], v[34:35], -v[36:37]
	ds_load_b128 v[2:5], v1 offset:1376
	scratch_load_b128 v[34:37], off, off offset:688
	v_fma_f64 v[44:45], v[44:45], v[161:162], v[216:217]
	v_add_f64 v[212:213], v[212:213], v[165:166]
	v_add_f64 v[167:168], v[214:215], v[167:168]
	ds_load_b128 v[163:166], v1 offset:1392
	v_fma_f64 v[161:162], v[42:43], v[161:162], -v[218:219]
	ds_load_b128 v[216:219], v1 offset:1424
	s_waitcnt vmcnt(8) lgkmcnt(2)
	v_mul_f64 v[214:215], v[2:3], v[40:41]
	v_mul_f64 v[224:225], v[4:5], v[40:41]
	scratch_load_b128 v[40:43], off, off offset:704
	v_add_f64 v[212:213], v[212:213], v[222:223]
	v_add_f64 v[167:168], v[167:168], v[220:221]
	s_waitcnt vmcnt(8) lgkmcnt(1)
	v_mul_f64 v[220:221], v[163:164], v[8:9]
	v_mul_f64 v[8:9], v[165:166], v[8:9]
	v_fma_f64 v[222:223], v[4:5], v[38:39], v[214:215]
	v_fma_f64 v[38:39], v[2:3], v[38:39], -v[224:225]
	ds_load_b128 v[2:5], v1 offset:1408
	v_add_f64 v[161:162], v[212:213], v[161:162]
	v_add_f64 v[44:45], v[167:168], v[44:45]
	scratch_load_b128 v[212:215], off, off offset:720
	v_fma_f64 v[165:166], v[165:166], v[6:7], v[220:221]
	s_waitcnt vmcnt(8) lgkmcnt(0)
	v_mul_f64 v[167:168], v[2:3], v[12:13]
	v_mul_f64 v[12:13], v[4:5], v[12:13]
	v_fma_f64 v[163:164], v[163:164], v[6:7], -v[8:9]
	scratch_load_b128 v[6:9], off, off offset:736
	s_waitcnt vmcnt(8)
	v_mul_f64 v[220:221], v[216:217], v[16:17]
	v_mul_f64 v[16:17], v[218:219], v[16:17]
	v_add_f64 v[38:39], v[161:162], v[38:39]
	v_add_f64 v[44:45], v[44:45], v[222:223]
	v_fma_f64 v[167:168], v[4:5], v[10:11], v[167:168]
	v_fma_f64 v[222:223], v[2:3], v[10:11], -v[12:13]
	ds_load_b128 v[2:5], v1 offset:1440
	scratch_load_b128 v[10:13], off, off offset:752
	v_fma_f64 v[218:219], v[218:219], v[14:15], v[220:221]
	v_fma_f64 v[216:217], v[216:217], v[14:15], -v[16:17]
	scratch_load_b128 v[14:17], off, off offset:768
	v_add_f64 v[38:39], v[38:39], v[163:164]
	v_add_f64 v[44:45], v[44:45], v[165:166]
	ds_load_b128 v[161:164], v1 offset:1456
	s_waitcnt vmcnt(9) lgkmcnt(1)
	v_mul_f64 v[165:166], v[2:3], v[20:21]
	v_mul_f64 v[20:21], v[4:5], v[20:21]
	s_waitcnt vmcnt(8) lgkmcnt(0)
	v_mul_f64 v[220:221], v[161:162], v[24:25]
	v_mul_f64 v[24:25], v[163:164], v[24:25]
	v_add_f64 v[38:39], v[38:39], v[222:223]
	v_add_f64 v[44:45], v[44:45], v[167:168]
	v_fma_f64 v[222:223], v[4:5], v[18:19], v[165:166]
	v_fma_f64 v[224:225], v[2:3], v[18:19], -v[20:21]
	ds_load_b128 v[2:5], v1 offset:1472
	ds_load_b128 v[165:168], v1 offset:1488
	scratch_load_b128 v[18:21], off, off offset:784
	v_fma_f64 v[163:164], v[163:164], v[22:23], v[220:221]
	v_fma_f64 v[161:162], v[161:162], v[22:23], -v[24:25]
	scratch_load_b128 v[22:25], off, off offset:800
	v_add_f64 v[38:39], v[38:39], v[216:217]
	v_add_f64 v[44:45], v[44:45], v[218:219]
	s_waitcnt vmcnt(9) lgkmcnt(1)
	v_mul_f64 v[216:217], v[2:3], v[28:29]
	v_mul_f64 v[28:29], v[4:5], v[28:29]
	s_waitcnt vmcnt(8) lgkmcnt(0)
	v_mul_f64 v[218:219], v[165:166], v[32:33]
	v_mul_f64 v[32:33], v[167:168], v[32:33]
	v_add_f64 v[38:39], v[38:39], v[224:225]
	v_add_f64 v[44:45], v[44:45], v[222:223]
	v_fma_f64 v[216:217], v[4:5], v[26:27], v[216:217]
	v_fma_f64 v[220:221], v[2:3], v[26:27], -v[28:29]
	ds_load_b128 v[2:5], v1 offset:1504
	ds_load_b128 v[26:29], v1 offset:1520
	v_add_f64 v[38:39], v[38:39], v[161:162]
	v_add_f64 v[44:45], v[44:45], v[163:164]
	s_waitcnt vmcnt(7) lgkmcnt(1)
	v_mul_f64 v[161:162], v[2:3], v[36:37]
	v_mul_f64 v[36:37], v[4:5], v[36:37]
	v_fma_f64 v[163:164], v[167:168], v[30:31], v[218:219]
	v_fma_f64 v[30:31], v[165:166], v[30:31], -v[32:33]
	v_add_f64 v[32:33], v[38:39], v[220:221]
	v_add_f64 v[38:39], v[44:45], v[216:217]
	s_waitcnt vmcnt(6) lgkmcnt(0)
	v_mul_f64 v[44:45], v[26:27], v[42:43]
	v_mul_f64 v[42:43], v[28:29], v[42:43]
	v_fma_f64 v[161:162], v[4:5], v[34:35], v[161:162]
	v_fma_f64 v[34:35], v[2:3], v[34:35], -v[36:37]
	v_add_f64 v[36:37], v[32:33], v[30:31]
	v_add_f64 v[38:39], v[38:39], v[163:164]
	ds_load_b128 v[2:5], v1 offset:1536
	ds_load_b128 v[30:33], v1 offset:1552
	v_fma_f64 v[28:29], v[28:29], v[40:41], v[44:45]
	v_fma_f64 v[26:27], v[26:27], v[40:41], -v[42:43]
	s_waitcnt vmcnt(5) lgkmcnt(1)
	v_mul_f64 v[163:164], v[2:3], v[214:215]
	v_mul_f64 v[165:166], v[4:5], v[214:215]
	v_add_f64 v[34:35], v[36:37], v[34:35]
	v_add_f64 v[36:37], v[38:39], v[161:162]
	s_waitcnt vmcnt(4) lgkmcnt(0)
	v_mul_f64 v[38:39], v[30:31], v[8:9]
	v_mul_f64 v[8:9], v[32:33], v[8:9]
	v_fma_f64 v[40:41], v[4:5], v[212:213], v[163:164]
	v_fma_f64 v[42:43], v[2:3], v[212:213], -v[165:166]
	v_add_f64 v[34:35], v[34:35], v[26:27]
	v_add_f64 v[36:37], v[36:37], v[28:29]
	ds_load_b128 v[2:5], v1 offset:1568
	ds_load_b128 v[26:29], v1 offset:1584
	v_fma_f64 v[32:33], v[32:33], v[6:7], v[38:39]
	v_fma_f64 v[6:7], v[30:31], v[6:7], -v[8:9]
	s_waitcnt vmcnt(3) lgkmcnt(1)
	v_mul_f64 v[44:45], v[2:3], v[12:13]
	v_mul_f64 v[12:13], v[4:5], v[12:13]
	;; [unrolled: 16-line block ×3, first 2 shown]
	s_waitcnt vmcnt(0) lgkmcnt(0)
	v_mul_f64 v[16:17], v[6:7], v[24:25]
	v_mul_f64 v[24:25], v[8:9], v[24:25]
	v_add_f64 v[10:11], v[12:13], v[10:11]
	v_add_f64 v[12:13], v[30:31], v[36:37]
	v_fma_f64 v[4:5], v[4:5], v[18:19], v[32:33]
	v_fma_f64 v[1:2], v[2:3], v[18:19], -v[20:21]
	v_fma_f64 v[8:9], v[8:9], v[22:23], v[16:17]
	v_fma_f64 v[6:7], v[6:7], v[22:23], -v[24:25]
	v_add_f64 v[10:11], v[10:11], v[14:15]
	v_add_f64 v[12:13], v[12:13], v[28:29]
	s_delay_alu instid0(VALU_DEP_2) | instskip(NEXT) | instid1(VALU_DEP_2)
	v_add_f64 v[1:2], v[10:11], v[1:2]
	v_add_f64 v[3:4], v[12:13], v[4:5]
	s_delay_alu instid0(VALU_DEP_2) | instskip(NEXT) | instid1(VALU_DEP_2)
	;; [unrolled: 3-line block ×3, first 2 shown]
	v_add_f64 v[1:2], v[157:158], -v[1:2]
	v_add_f64 v[3:4], v[159:160], -v[3:4]
	scratch_store_b128 off, v[1:4], off offset:384
	v_cmpx_lt_u32_e32 23, v148
	s_cbranch_execz .LBB114_273
; %bb.272:
	scratch_load_b128 v[1:4], v176, off
	v_mov_b32_e32 v5, 0
	s_delay_alu instid0(VALU_DEP_1)
	v_mov_b32_e32 v6, v5
	v_mov_b32_e32 v7, v5
	;; [unrolled: 1-line block ×3, first 2 shown]
	scratch_store_b128 off, v[5:8], off offset:368
	s_waitcnt vmcnt(0)
	ds_store_b128 v199, v[1:4]
.LBB114_273:
	s_or_b32 exec_lo, exec_lo, s2
	s_waitcnt lgkmcnt(0)
	s_waitcnt_vscnt null, 0x0
	s_barrier
	buffer_gl0_inv
	s_clause 0x7
	scratch_load_b128 v[2:5], off, off offset:384
	scratch_load_b128 v[6:9], off, off offset:400
	scratch_load_b128 v[10:13], off, off offset:416
	scratch_load_b128 v[14:17], off, off offset:432
	scratch_load_b128 v[18:21], off, off offset:448
	scratch_load_b128 v[22:25], off, off offset:464
	scratch_load_b128 v[26:29], off, off offset:480
	scratch_load_b128 v[30:33], off, off offset:496
	v_mov_b32_e32 v1, 0
	s_mov_b32 s2, exec_lo
	ds_load_b128 v[38:41], v1 offset:1200
	s_clause 0x1
	scratch_load_b128 v[34:37], off, off offset:512
	scratch_load_b128 v[42:45], off, off offset:368
	ds_load_b128 v[157:160], v1 offset:1216
	scratch_load_b128 v[161:164], off, off offset:528
	s_waitcnt vmcnt(10) lgkmcnt(1)
	v_mul_f64 v[165:166], v[40:41], v[4:5]
	v_mul_f64 v[4:5], v[38:39], v[4:5]
	s_delay_alu instid0(VALU_DEP_2) | instskip(NEXT) | instid1(VALU_DEP_2)
	v_fma_f64 v[214:215], v[38:39], v[2:3], -v[165:166]
	v_fma_f64 v[216:217], v[40:41], v[2:3], v[4:5]
	scratch_load_b128 v[38:41], off, off offset:544
	ds_load_b128 v[2:5], v1 offset:1232
	s_waitcnt vmcnt(10) lgkmcnt(1)
	v_mul_f64 v[212:213], v[157:158], v[8:9]
	v_mul_f64 v[8:9], v[159:160], v[8:9]
	ds_load_b128 v[165:168], v1 offset:1248
	s_waitcnt vmcnt(9) lgkmcnt(1)
	v_mul_f64 v[218:219], v[2:3], v[12:13]
	v_mul_f64 v[12:13], v[4:5], v[12:13]
	v_fma_f64 v[159:160], v[159:160], v[6:7], v[212:213]
	v_fma_f64 v[157:158], v[157:158], v[6:7], -v[8:9]
	v_add_f64 v[212:213], v[214:215], 0
	v_add_f64 v[214:215], v[216:217], 0
	scratch_load_b128 v[6:9], off, off offset:560
	v_fma_f64 v[218:219], v[4:5], v[10:11], v[218:219]
	v_fma_f64 v[220:221], v[2:3], v[10:11], -v[12:13]
	scratch_load_b128 v[10:13], off, off offset:576
	ds_load_b128 v[2:5], v1 offset:1264
	s_waitcnt vmcnt(10) lgkmcnt(1)
	v_mul_f64 v[216:217], v[165:166], v[16:17]
	v_mul_f64 v[16:17], v[167:168], v[16:17]
	v_add_f64 v[212:213], v[212:213], v[157:158]
	v_add_f64 v[214:215], v[214:215], v[159:160]
	s_waitcnt vmcnt(9) lgkmcnt(0)
	v_mul_f64 v[222:223], v[2:3], v[20:21]
	v_mul_f64 v[20:21], v[4:5], v[20:21]
	ds_load_b128 v[157:160], v1 offset:1280
	v_fma_f64 v[167:168], v[167:168], v[14:15], v[216:217]
	v_fma_f64 v[165:166], v[165:166], v[14:15], -v[16:17]
	scratch_load_b128 v[14:17], off, off offset:592
	v_add_f64 v[212:213], v[212:213], v[220:221]
	v_add_f64 v[214:215], v[214:215], v[218:219]
	v_fma_f64 v[218:219], v[4:5], v[18:19], v[222:223]
	v_fma_f64 v[220:221], v[2:3], v[18:19], -v[20:21]
	scratch_load_b128 v[18:21], off, off offset:608
	ds_load_b128 v[2:5], v1 offset:1296
	s_waitcnt vmcnt(10) lgkmcnt(1)
	v_mul_f64 v[216:217], v[157:158], v[24:25]
	v_mul_f64 v[24:25], v[159:160], v[24:25]
	s_waitcnt vmcnt(9) lgkmcnt(0)
	v_mul_f64 v[222:223], v[2:3], v[28:29]
	v_mul_f64 v[28:29], v[4:5], v[28:29]
	v_add_f64 v[212:213], v[212:213], v[165:166]
	v_add_f64 v[214:215], v[214:215], v[167:168]
	ds_load_b128 v[165:168], v1 offset:1312
	v_fma_f64 v[159:160], v[159:160], v[22:23], v[216:217]
	v_fma_f64 v[157:158], v[157:158], v[22:23], -v[24:25]
	scratch_load_b128 v[22:25], off, off offset:624
	v_add_f64 v[212:213], v[212:213], v[220:221]
	v_add_f64 v[214:215], v[214:215], v[218:219]
	v_fma_f64 v[218:219], v[4:5], v[26:27], v[222:223]
	v_fma_f64 v[220:221], v[2:3], v[26:27], -v[28:29]
	scratch_load_b128 v[26:29], off, off offset:640
	ds_load_b128 v[2:5], v1 offset:1328
	s_waitcnt vmcnt(10) lgkmcnt(1)
	v_mul_f64 v[216:217], v[165:166], v[32:33]
	v_mul_f64 v[32:33], v[167:168], v[32:33]
	s_waitcnt vmcnt(9) lgkmcnt(0)
	v_mul_f64 v[222:223], v[2:3], v[36:37]
	v_mul_f64 v[36:37], v[4:5], v[36:37]
	v_add_f64 v[212:213], v[212:213], v[157:158]
	v_add_f64 v[214:215], v[214:215], v[159:160]
	ds_load_b128 v[157:160], v1 offset:1344
	v_fma_f64 v[167:168], v[167:168], v[30:31], v[216:217]
	v_fma_f64 v[165:166], v[165:166], v[30:31], -v[32:33]
	scratch_load_b128 v[30:33], off, off offset:656
	v_add_f64 v[212:213], v[212:213], v[220:221]
	v_add_f64 v[214:215], v[214:215], v[218:219]
	v_fma_f64 v[220:221], v[4:5], v[34:35], v[222:223]
	v_fma_f64 v[222:223], v[2:3], v[34:35], -v[36:37]
	scratch_load_b128 v[34:37], off, off offset:672
	ds_load_b128 v[2:5], v1 offset:1360
	s_waitcnt vmcnt(9) lgkmcnt(1)
	v_mul_f64 v[216:217], v[157:158], v[163:164]
	v_mul_f64 v[218:219], v[159:160], v[163:164]
	v_add_f64 v[212:213], v[212:213], v[165:166]
	v_add_f64 v[167:168], v[214:215], v[167:168]
	ds_load_b128 v[163:166], v1 offset:1376
	v_fma_f64 v[216:217], v[159:160], v[161:162], v[216:217]
	v_fma_f64 v[161:162], v[157:158], v[161:162], -v[218:219]
	scratch_load_b128 v[157:160], off, off offset:688
	s_waitcnt vmcnt(9) lgkmcnt(1)
	v_mul_f64 v[214:215], v[2:3], v[40:41]
	v_mul_f64 v[40:41], v[4:5], v[40:41]
	v_add_f64 v[212:213], v[212:213], v[222:223]
	v_add_f64 v[167:168], v[167:168], v[220:221]
	s_delay_alu instid0(VALU_DEP_4) | instskip(NEXT) | instid1(VALU_DEP_4)
	v_fma_f64 v[220:221], v[4:5], v[38:39], v[214:215]
	v_fma_f64 v[222:223], v[2:3], v[38:39], -v[40:41]
	scratch_load_b128 v[38:41], off, off offset:704
	ds_load_b128 v[2:5], v1 offset:1392
	s_waitcnt vmcnt(9) lgkmcnt(1)
	v_mul_f64 v[218:219], v[163:164], v[8:9]
	v_mul_f64 v[8:9], v[165:166], v[8:9]
	v_add_f64 v[161:162], v[212:213], v[161:162]
	v_add_f64 v[167:168], v[167:168], v[216:217]
	s_waitcnt vmcnt(8) lgkmcnt(0)
	v_mul_f64 v[216:217], v[2:3], v[12:13]
	v_mul_f64 v[12:13], v[4:5], v[12:13]
	ds_load_b128 v[212:215], v1 offset:1408
	v_fma_f64 v[165:166], v[165:166], v[6:7], v[218:219]
	v_fma_f64 v[163:164], v[163:164], v[6:7], -v[8:9]
	scratch_load_b128 v[6:9], off, off offset:720
	v_add_f64 v[161:162], v[161:162], v[222:223]
	v_add_f64 v[167:168], v[167:168], v[220:221]
	v_fma_f64 v[216:217], v[4:5], v[10:11], v[216:217]
	v_fma_f64 v[220:221], v[2:3], v[10:11], -v[12:13]
	scratch_load_b128 v[10:13], off, off offset:736
	ds_load_b128 v[2:5], v1 offset:1424
	s_waitcnt vmcnt(9) lgkmcnt(1)
	v_mul_f64 v[218:219], v[212:213], v[16:17]
	v_mul_f64 v[16:17], v[214:215], v[16:17]
	v_add_f64 v[222:223], v[161:162], v[163:164]
	v_add_f64 v[165:166], v[167:168], v[165:166]
	s_waitcnt vmcnt(8) lgkmcnt(0)
	v_mul_f64 v[167:168], v[2:3], v[20:21]
	v_mul_f64 v[20:21], v[4:5], v[20:21]
	ds_load_b128 v[161:164], v1 offset:1440
	v_fma_f64 v[214:215], v[214:215], v[14:15], v[218:219]
	v_fma_f64 v[212:213], v[212:213], v[14:15], -v[16:17]
	scratch_load_b128 v[14:17], off, off offset:752
	v_add_f64 v[218:219], v[222:223], v[220:221]
	v_add_f64 v[165:166], v[165:166], v[216:217]
	;; [unrolled: 18-line block ×3, first 2 shown]
	v_fma_f64 v[218:219], v[4:5], v[26:27], v[218:219]
	v_fma_f64 v[220:221], v[2:3], v[26:27], -v[28:29]
	scratch_load_b128 v[26:29], off, off offset:800
	ds_load_b128 v[2:5], v1 offset:1488
	s_waitcnt vmcnt(9) lgkmcnt(1)
	v_mul_f64 v[216:217], v[165:166], v[32:33]
	v_mul_f64 v[32:33], v[167:168], v[32:33]
	s_waitcnt vmcnt(8) lgkmcnt(0)
	v_mul_f64 v[222:223], v[2:3], v[36:37]
	v_mul_f64 v[36:37], v[4:5], v[36:37]
	v_add_f64 v[212:213], v[212:213], v[161:162]
	v_add_f64 v[214:215], v[214:215], v[163:164]
	ds_load_b128 v[161:164], v1 offset:1504
	v_fma_f64 v[167:168], v[167:168], v[30:31], v[216:217]
	v_fma_f64 v[30:31], v[165:166], v[30:31], -v[32:33]
	v_add_f64 v[32:33], v[212:213], v[220:221]
	v_add_f64 v[165:166], v[214:215], v[218:219]
	s_waitcnt vmcnt(7) lgkmcnt(0)
	v_mul_f64 v[212:213], v[161:162], v[159:160]
	v_mul_f64 v[159:160], v[163:164], v[159:160]
	v_fma_f64 v[214:215], v[4:5], v[34:35], v[222:223]
	v_fma_f64 v[34:35], v[2:3], v[34:35], -v[36:37]
	v_add_f64 v[36:37], v[32:33], v[30:31]
	v_add_f64 v[165:166], v[165:166], v[167:168]
	ds_load_b128 v[2:5], v1 offset:1520
	ds_load_b128 v[30:33], v1 offset:1536
	v_fma_f64 v[163:164], v[163:164], v[157:158], v[212:213]
	v_fma_f64 v[157:158], v[161:162], v[157:158], -v[159:160]
	s_waitcnt vmcnt(6) lgkmcnt(1)
	v_mul_f64 v[167:168], v[2:3], v[40:41]
	v_mul_f64 v[40:41], v[4:5], v[40:41]
	s_waitcnt vmcnt(5) lgkmcnt(0)
	v_mul_f64 v[159:160], v[30:31], v[8:9]
	v_mul_f64 v[8:9], v[32:33], v[8:9]
	v_add_f64 v[34:35], v[36:37], v[34:35]
	v_add_f64 v[36:37], v[165:166], v[214:215]
	v_fma_f64 v[161:162], v[4:5], v[38:39], v[167:168]
	v_fma_f64 v[38:39], v[2:3], v[38:39], -v[40:41]
	v_fma_f64 v[32:33], v[32:33], v[6:7], v[159:160]
	v_fma_f64 v[6:7], v[30:31], v[6:7], -v[8:9]
	v_add_f64 v[40:41], v[34:35], v[157:158]
	v_add_f64 v[157:158], v[36:37], v[163:164]
	ds_load_b128 v[2:5], v1 offset:1552
	ds_load_b128 v[34:37], v1 offset:1568
	s_waitcnt vmcnt(4) lgkmcnt(1)
	v_mul_f64 v[163:164], v[2:3], v[12:13]
	v_mul_f64 v[12:13], v[4:5], v[12:13]
	v_add_f64 v[8:9], v[40:41], v[38:39]
	v_add_f64 v[30:31], v[157:158], v[161:162]
	s_waitcnt vmcnt(3) lgkmcnt(0)
	v_mul_f64 v[38:39], v[34:35], v[16:17]
	v_mul_f64 v[16:17], v[36:37], v[16:17]
	v_fma_f64 v[40:41], v[4:5], v[10:11], v[163:164]
	v_fma_f64 v[10:11], v[2:3], v[10:11], -v[12:13]
	v_add_f64 v[12:13], v[8:9], v[6:7]
	v_add_f64 v[30:31], v[30:31], v[32:33]
	ds_load_b128 v[2:5], v1 offset:1584
	ds_load_b128 v[6:9], v1 offset:1600
	v_fma_f64 v[36:37], v[36:37], v[14:15], v[38:39]
	v_fma_f64 v[14:15], v[34:35], v[14:15], -v[16:17]
	s_waitcnt vmcnt(2) lgkmcnt(1)
	v_mul_f64 v[32:33], v[2:3], v[20:21]
	v_mul_f64 v[20:21], v[4:5], v[20:21]
	s_waitcnt vmcnt(1) lgkmcnt(0)
	v_mul_f64 v[16:17], v[6:7], v[24:25]
	v_mul_f64 v[24:25], v[8:9], v[24:25]
	v_add_f64 v[10:11], v[12:13], v[10:11]
	v_add_f64 v[12:13], v[30:31], v[40:41]
	v_fma_f64 v[30:31], v[4:5], v[18:19], v[32:33]
	v_fma_f64 v[18:19], v[2:3], v[18:19], -v[20:21]
	ds_load_b128 v[2:5], v1 offset:1616
	v_fma_f64 v[8:9], v[8:9], v[22:23], v[16:17]
	v_fma_f64 v[6:7], v[6:7], v[22:23], -v[24:25]
	v_add_f64 v[10:11], v[10:11], v[14:15]
	v_add_f64 v[12:13], v[12:13], v[36:37]
	s_waitcnt vmcnt(0) lgkmcnt(0)
	v_mul_f64 v[14:15], v[2:3], v[28:29]
	v_mul_f64 v[20:21], v[4:5], v[28:29]
	s_delay_alu instid0(VALU_DEP_4) | instskip(NEXT) | instid1(VALU_DEP_4)
	v_add_f64 v[10:11], v[10:11], v[18:19]
	v_add_f64 v[12:13], v[12:13], v[30:31]
	s_delay_alu instid0(VALU_DEP_4) | instskip(NEXT) | instid1(VALU_DEP_4)
	v_fma_f64 v[4:5], v[4:5], v[26:27], v[14:15]
	v_fma_f64 v[2:3], v[2:3], v[26:27], -v[20:21]
	s_delay_alu instid0(VALU_DEP_4) | instskip(NEXT) | instid1(VALU_DEP_4)
	v_add_f64 v[6:7], v[10:11], v[6:7]
	v_add_f64 v[8:9], v[12:13], v[8:9]
	s_delay_alu instid0(VALU_DEP_2) | instskip(NEXT) | instid1(VALU_DEP_2)
	v_add_f64 v[2:3], v[6:7], v[2:3]
	v_add_f64 v[4:5], v[8:9], v[4:5]
	s_delay_alu instid0(VALU_DEP_2) | instskip(NEXT) | instid1(VALU_DEP_2)
	v_add_f64 v[2:3], v[42:43], -v[2:3]
	v_add_f64 v[4:5], v[44:45], -v[4:5]
	scratch_store_b128 off, v[2:5], off offset:368
	v_cmpx_lt_u32_e32 22, v148
	s_cbranch_execz .LBB114_275
; %bb.274:
	scratch_load_b128 v[5:8], v177, off
	v_mov_b32_e32 v2, v1
	v_mov_b32_e32 v3, v1
	;; [unrolled: 1-line block ×3, first 2 shown]
	scratch_store_b128 off, v[1:4], off offset:352
	s_waitcnt vmcnt(0)
	ds_store_b128 v199, v[5:8]
.LBB114_275:
	s_or_b32 exec_lo, exec_lo, s2
	s_waitcnt lgkmcnt(0)
	s_waitcnt_vscnt null, 0x0
	s_barrier
	buffer_gl0_inv
	s_clause 0x8
	scratch_load_b128 v[2:5], off, off offset:368
	scratch_load_b128 v[6:9], off, off offset:384
	;; [unrolled: 1-line block ×9, first 2 shown]
	ds_load_b128 v[42:45], v1 offset:1184
	ds_load_b128 v[38:41], v1 offset:1200
	s_clause 0x1
	scratch_load_b128 v[157:160], off, off offset:352
	scratch_load_b128 v[161:164], off, off offset:512
	s_mov_b32 s2, exec_lo
	s_waitcnt vmcnt(10) lgkmcnt(1)
	v_mul_f64 v[165:166], v[44:45], v[4:5]
	v_mul_f64 v[4:5], v[42:43], v[4:5]
	s_waitcnt vmcnt(9) lgkmcnt(0)
	v_mul_f64 v[212:213], v[38:39], v[8:9]
	v_mul_f64 v[8:9], v[40:41], v[8:9]
	s_delay_alu instid0(VALU_DEP_4) | instskip(NEXT) | instid1(VALU_DEP_4)
	v_fma_f64 v[214:215], v[42:43], v[2:3], -v[165:166]
	v_fma_f64 v[216:217], v[44:45], v[2:3], v[4:5]
	ds_load_b128 v[2:5], v1 offset:1216
	ds_load_b128 v[165:168], v1 offset:1232
	scratch_load_b128 v[42:45], off, off offset:528
	v_fma_f64 v[40:41], v[40:41], v[6:7], v[212:213]
	v_fma_f64 v[38:39], v[38:39], v[6:7], -v[8:9]
	scratch_load_b128 v[6:9], off, off offset:544
	s_waitcnt vmcnt(10) lgkmcnt(1)
	v_mul_f64 v[218:219], v[2:3], v[12:13]
	v_mul_f64 v[12:13], v[4:5], v[12:13]
	v_add_f64 v[212:213], v[214:215], 0
	v_add_f64 v[214:215], v[216:217], 0
	s_waitcnt vmcnt(9) lgkmcnt(0)
	v_mul_f64 v[216:217], v[165:166], v[16:17]
	v_mul_f64 v[16:17], v[167:168], v[16:17]
	v_fma_f64 v[218:219], v[4:5], v[10:11], v[218:219]
	v_fma_f64 v[220:221], v[2:3], v[10:11], -v[12:13]
	ds_load_b128 v[2:5], v1 offset:1248
	scratch_load_b128 v[10:13], off, off offset:560
	v_add_f64 v[212:213], v[212:213], v[38:39]
	v_add_f64 v[214:215], v[214:215], v[40:41]
	ds_load_b128 v[38:41], v1 offset:1264
	v_fma_f64 v[167:168], v[167:168], v[14:15], v[216:217]
	v_fma_f64 v[165:166], v[165:166], v[14:15], -v[16:17]
	scratch_load_b128 v[14:17], off, off offset:576
	s_waitcnt vmcnt(10) lgkmcnt(1)
	v_mul_f64 v[222:223], v[2:3], v[20:21]
	v_mul_f64 v[20:21], v[4:5], v[20:21]
	s_waitcnt vmcnt(9) lgkmcnt(0)
	v_mul_f64 v[216:217], v[38:39], v[24:25]
	v_mul_f64 v[24:25], v[40:41], v[24:25]
	v_add_f64 v[212:213], v[212:213], v[220:221]
	v_add_f64 v[214:215], v[214:215], v[218:219]
	v_fma_f64 v[218:219], v[4:5], v[18:19], v[222:223]
	v_fma_f64 v[220:221], v[2:3], v[18:19], -v[20:21]
	ds_load_b128 v[2:5], v1 offset:1280
	scratch_load_b128 v[18:21], off, off offset:592
	v_fma_f64 v[40:41], v[40:41], v[22:23], v[216:217]
	v_fma_f64 v[38:39], v[38:39], v[22:23], -v[24:25]
	scratch_load_b128 v[22:25], off, off offset:608
	v_add_f64 v[212:213], v[212:213], v[165:166]
	v_add_f64 v[214:215], v[214:215], v[167:168]
	ds_load_b128 v[165:168], v1 offset:1296
	s_waitcnt vmcnt(10) lgkmcnt(1)
	v_mul_f64 v[222:223], v[2:3], v[28:29]
	v_mul_f64 v[28:29], v[4:5], v[28:29]
	s_waitcnt vmcnt(9) lgkmcnt(0)
	v_mul_f64 v[216:217], v[165:166], v[32:33]
	v_mul_f64 v[32:33], v[167:168], v[32:33]
	v_add_f64 v[212:213], v[212:213], v[220:221]
	v_add_f64 v[214:215], v[214:215], v[218:219]
	v_fma_f64 v[218:219], v[4:5], v[26:27], v[222:223]
	v_fma_f64 v[220:221], v[2:3], v[26:27], -v[28:29]
	ds_load_b128 v[2:5], v1 offset:1312
	scratch_load_b128 v[26:29], off, off offset:624
	v_fma_f64 v[167:168], v[167:168], v[30:31], v[216:217]
	v_fma_f64 v[165:166], v[165:166], v[30:31], -v[32:33]
	scratch_load_b128 v[30:33], off, off offset:640
	v_add_f64 v[212:213], v[212:213], v[38:39]
	v_add_f64 v[214:215], v[214:215], v[40:41]
	ds_load_b128 v[38:41], v1 offset:1328
	s_waitcnt vmcnt(10) lgkmcnt(1)
	v_mul_f64 v[222:223], v[2:3], v[36:37]
	v_mul_f64 v[36:37], v[4:5], v[36:37]
	s_waitcnt vmcnt(8) lgkmcnt(0)
	v_mul_f64 v[216:217], v[38:39], v[163:164]
	v_add_f64 v[212:213], v[212:213], v[220:221]
	v_add_f64 v[214:215], v[214:215], v[218:219]
	v_mul_f64 v[218:219], v[40:41], v[163:164]
	v_fma_f64 v[220:221], v[4:5], v[34:35], v[222:223]
	v_fma_f64 v[222:223], v[2:3], v[34:35], -v[36:37]
	ds_load_b128 v[2:5], v1 offset:1344
	scratch_load_b128 v[34:37], off, off offset:656
	v_fma_f64 v[216:217], v[40:41], v[161:162], v[216:217]
	v_add_f64 v[212:213], v[212:213], v[165:166]
	v_add_f64 v[167:168], v[214:215], v[167:168]
	ds_load_b128 v[163:166], v1 offset:1360
	v_fma_f64 v[161:162], v[38:39], v[161:162], -v[218:219]
	scratch_load_b128 v[38:41], off, off offset:672
	s_waitcnt vmcnt(9) lgkmcnt(1)
	v_mul_f64 v[214:215], v[2:3], v[44:45]
	v_mul_f64 v[44:45], v[4:5], v[44:45]
	s_waitcnt vmcnt(8) lgkmcnt(0)
	v_mul_f64 v[218:219], v[163:164], v[8:9]
	v_mul_f64 v[8:9], v[165:166], v[8:9]
	v_add_f64 v[212:213], v[212:213], v[222:223]
	v_add_f64 v[167:168], v[167:168], v[220:221]
	v_fma_f64 v[220:221], v[4:5], v[42:43], v[214:215]
	v_fma_f64 v[222:223], v[2:3], v[42:43], -v[44:45]
	ds_load_b128 v[2:5], v1 offset:1376
	scratch_load_b128 v[42:45], off, off offset:688
	v_fma_f64 v[165:166], v[165:166], v[6:7], v[218:219]
	v_fma_f64 v[163:164], v[163:164], v[6:7], -v[8:9]
	scratch_load_b128 v[6:9], off, off offset:704
	v_add_f64 v[161:162], v[212:213], v[161:162]
	v_add_f64 v[167:168], v[167:168], v[216:217]
	ds_load_b128 v[212:215], v1 offset:1392
	s_waitcnt vmcnt(9) lgkmcnt(1)
	v_mul_f64 v[216:217], v[2:3], v[12:13]
	v_mul_f64 v[12:13], v[4:5], v[12:13]
	s_waitcnt vmcnt(8) lgkmcnt(0)
	v_mul_f64 v[218:219], v[212:213], v[16:17]
	v_mul_f64 v[16:17], v[214:215], v[16:17]
	v_add_f64 v[161:162], v[161:162], v[222:223]
	v_add_f64 v[167:168], v[167:168], v[220:221]
	v_fma_f64 v[216:217], v[4:5], v[10:11], v[216:217]
	v_fma_f64 v[220:221], v[2:3], v[10:11], -v[12:13]
	ds_load_b128 v[2:5], v1 offset:1408
	scratch_load_b128 v[10:13], off, off offset:720
	v_fma_f64 v[214:215], v[214:215], v[14:15], v[218:219]
	v_fma_f64 v[212:213], v[212:213], v[14:15], -v[16:17]
	scratch_load_b128 v[14:17], off, off offset:736
	v_add_f64 v[222:223], v[161:162], v[163:164]
	v_add_f64 v[165:166], v[167:168], v[165:166]
	ds_load_b128 v[161:164], v1 offset:1424
	s_waitcnt vmcnt(9) lgkmcnt(1)
	v_mul_f64 v[167:168], v[2:3], v[20:21]
	v_mul_f64 v[20:21], v[4:5], v[20:21]
	v_add_f64 v[218:219], v[222:223], v[220:221]
	v_add_f64 v[165:166], v[165:166], v[216:217]
	s_waitcnt vmcnt(8) lgkmcnt(0)
	v_mul_f64 v[216:217], v[161:162], v[24:25]
	v_mul_f64 v[24:25], v[163:164], v[24:25]
	v_fma_f64 v[220:221], v[4:5], v[18:19], v[167:168]
	v_fma_f64 v[222:223], v[2:3], v[18:19], -v[20:21]
	ds_load_b128 v[2:5], v1 offset:1440
	scratch_load_b128 v[18:21], off, off offset:752
	v_add_f64 v[212:213], v[218:219], v[212:213]
	v_add_f64 v[214:215], v[165:166], v[214:215]
	ds_load_b128 v[165:168], v1 offset:1456
	s_waitcnt vmcnt(8) lgkmcnt(1)
	v_mul_f64 v[218:219], v[2:3], v[28:29]
	v_mul_f64 v[28:29], v[4:5], v[28:29]
	v_fma_f64 v[163:164], v[163:164], v[22:23], v[216:217]
	v_fma_f64 v[161:162], v[161:162], v[22:23], -v[24:25]
	scratch_load_b128 v[22:25], off, off offset:768
	s_waitcnt vmcnt(8) lgkmcnt(0)
	v_mul_f64 v[216:217], v[165:166], v[32:33]
	v_mul_f64 v[32:33], v[167:168], v[32:33]
	v_add_f64 v[212:213], v[212:213], v[222:223]
	v_add_f64 v[214:215], v[214:215], v[220:221]
	v_fma_f64 v[218:219], v[4:5], v[26:27], v[218:219]
	v_fma_f64 v[220:221], v[2:3], v[26:27], -v[28:29]
	ds_load_b128 v[2:5], v1 offset:1472
	scratch_load_b128 v[26:29], off, off offset:784
	v_fma_f64 v[167:168], v[167:168], v[30:31], v[216:217]
	v_fma_f64 v[165:166], v[165:166], v[30:31], -v[32:33]
	scratch_load_b128 v[30:33], off, off offset:800
	v_add_f64 v[212:213], v[212:213], v[161:162]
	v_add_f64 v[214:215], v[214:215], v[163:164]
	ds_load_b128 v[161:164], v1 offset:1488
	s_waitcnt vmcnt(9) lgkmcnt(1)
	v_mul_f64 v[222:223], v[2:3], v[36:37]
	v_mul_f64 v[36:37], v[4:5], v[36:37]
	s_waitcnt vmcnt(8) lgkmcnt(0)
	v_mul_f64 v[216:217], v[161:162], v[40:41]
	v_mul_f64 v[40:41], v[163:164], v[40:41]
	v_add_f64 v[212:213], v[212:213], v[220:221]
	v_add_f64 v[214:215], v[214:215], v[218:219]
	v_fma_f64 v[218:219], v[4:5], v[34:35], v[222:223]
	v_fma_f64 v[220:221], v[2:3], v[34:35], -v[36:37]
	ds_load_b128 v[2:5], v1 offset:1504
	ds_load_b128 v[34:37], v1 offset:1520
	v_fma_f64 v[163:164], v[163:164], v[38:39], v[216:217]
	v_fma_f64 v[38:39], v[161:162], v[38:39], -v[40:41]
	v_add_f64 v[165:166], v[212:213], v[165:166]
	v_add_f64 v[167:168], v[214:215], v[167:168]
	s_waitcnt vmcnt(7) lgkmcnt(1)
	v_mul_f64 v[212:213], v[2:3], v[44:45]
	v_mul_f64 v[44:45], v[4:5], v[44:45]
	s_delay_alu instid0(VALU_DEP_4) | instskip(NEXT) | instid1(VALU_DEP_4)
	v_add_f64 v[40:41], v[165:166], v[220:221]
	v_add_f64 v[161:162], v[167:168], v[218:219]
	s_waitcnt vmcnt(6) lgkmcnt(0)
	v_mul_f64 v[165:166], v[34:35], v[8:9]
	v_mul_f64 v[8:9], v[36:37], v[8:9]
	v_fma_f64 v[167:168], v[4:5], v[42:43], v[212:213]
	v_fma_f64 v[42:43], v[2:3], v[42:43], -v[44:45]
	v_add_f64 v[44:45], v[40:41], v[38:39]
	v_add_f64 v[161:162], v[161:162], v[163:164]
	ds_load_b128 v[2:5], v1 offset:1536
	ds_load_b128 v[38:41], v1 offset:1552
	v_fma_f64 v[36:37], v[36:37], v[6:7], v[165:166]
	v_fma_f64 v[6:7], v[34:35], v[6:7], -v[8:9]
	s_waitcnt vmcnt(5) lgkmcnt(1)
	v_mul_f64 v[163:164], v[2:3], v[12:13]
	v_mul_f64 v[12:13], v[4:5], v[12:13]
	v_add_f64 v[8:9], v[44:45], v[42:43]
	v_add_f64 v[34:35], v[161:162], v[167:168]
	s_waitcnt vmcnt(4) lgkmcnt(0)
	v_mul_f64 v[42:43], v[38:39], v[16:17]
	v_mul_f64 v[16:17], v[40:41], v[16:17]
	v_fma_f64 v[44:45], v[4:5], v[10:11], v[163:164]
	v_fma_f64 v[10:11], v[2:3], v[10:11], -v[12:13]
	v_add_f64 v[12:13], v[8:9], v[6:7]
	v_add_f64 v[34:35], v[34:35], v[36:37]
	ds_load_b128 v[2:5], v1 offset:1568
	ds_load_b128 v[6:9], v1 offset:1584
	v_fma_f64 v[40:41], v[40:41], v[14:15], v[42:43]
	v_fma_f64 v[14:15], v[38:39], v[14:15], -v[16:17]
	s_waitcnt vmcnt(3) lgkmcnt(1)
	v_mul_f64 v[36:37], v[2:3], v[20:21]
	v_mul_f64 v[20:21], v[4:5], v[20:21]
	s_waitcnt vmcnt(2) lgkmcnt(0)
	v_mul_f64 v[16:17], v[6:7], v[24:25]
	v_mul_f64 v[24:25], v[8:9], v[24:25]
	v_add_f64 v[10:11], v[12:13], v[10:11]
	v_add_f64 v[12:13], v[34:35], v[44:45]
	v_fma_f64 v[34:35], v[4:5], v[18:19], v[36:37]
	v_fma_f64 v[18:19], v[2:3], v[18:19], -v[20:21]
	v_fma_f64 v[8:9], v[8:9], v[22:23], v[16:17]
	v_fma_f64 v[6:7], v[6:7], v[22:23], -v[24:25]
	v_add_f64 v[14:15], v[10:11], v[14:15]
	v_add_f64 v[20:21], v[12:13], v[40:41]
	ds_load_b128 v[2:5], v1 offset:1600
	ds_load_b128 v[10:13], v1 offset:1616
	s_waitcnt vmcnt(1) lgkmcnt(1)
	v_mul_f64 v[36:37], v[2:3], v[28:29]
	v_mul_f64 v[28:29], v[4:5], v[28:29]
	v_add_f64 v[14:15], v[14:15], v[18:19]
	v_add_f64 v[16:17], v[20:21], v[34:35]
	s_waitcnt vmcnt(0) lgkmcnt(0)
	v_mul_f64 v[18:19], v[10:11], v[32:33]
	v_mul_f64 v[20:21], v[12:13], v[32:33]
	v_fma_f64 v[4:5], v[4:5], v[26:27], v[36:37]
	v_fma_f64 v[1:2], v[2:3], v[26:27], -v[28:29]
	v_add_f64 v[6:7], v[14:15], v[6:7]
	v_add_f64 v[8:9], v[16:17], v[8:9]
	v_fma_f64 v[12:13], v[12:13], v[30:31], v[18:19]
	v_fma_f64 v[10:11], v[10:11], v[30:31], -v[20:21]
	s_delay_alu instid0(VALU_DEP_4) | instskip(NEXT) | instid1(VALU_DEP_4)
	v_add_f64 v[1:2], v[6:7], v[1:2]
	v_add_f64 v[3:4], v[8:9], v[4:5]
	s_delay_alu instid0(VALU_DEP_2) | instskip(NEXT) | instid1(VALU_DEP_2)
	v_add_f64 v[1:2], v[1:2], v[10:11]
	v_add_f64 v[3:4], v[3:4], v[12:13]
	s_delay_alu instid0(VALU_DEP_2) | instskip(NEXT) | instid1(VALU_DEP_2)
	v_add_f64 v[1:2], v[157:158], -v[1:2]
	v_add_f64 v[3:4], v[159:160], -v[3:4]
	scratch_store_b128 off, v[1:4], off offset:352
	v_cmpx_lt_u32_e32 21, v148
	s_cbranch_execz .LBB114_277
; %bb.276:
	scratch_load_b128 v[1:4], v178, off
	v_mov_b32_e32 v5, 0
	s_delay_alu instid0(VALU_DEP_1)
	v_mov_b32_e32 v6, v5
	v_mov_b32_e32 v7, v5
	;; [unrolled: 1-line block ×3, first 2 shown]
	scratch_store_b128 off, v[5:8], off offset:336
	s_waitcnt vmcnt(0)
	ds_store_b128 v199, v[1:4]
.LBB114_277:
	s_or_b32 exec_lo, exec_lo, s2
	s_waitcnt lgkmcnt(0)
	s_waitcnt_vscnt null, 0x0
	s_barrier
	buffer_gl0_inv
	s_clause 0x7
	scratch_load_b128 v[2:5], off, off offset:352
	scratch_load_b128 v[6:9], off, off offset:368
	;; [unrolled: 1-line block ×8, first 2 shown]
	v_mov_b32_e32 v1, 0
	s_mov_b32 s2, exec_lo
	ds_load_b128 v[38:41], v1 offset:1168
	s_clause 0x1
	scratch_load_b128 v[34:37], off, off offset:480
	scratch_load_b128 v[42:45], off, off offset:336
	ds_load_b128 v[157:160], v1 offset:1184
	scratch_load_b128 v[161:164], off, off offset:496
	s_waitcnt vmcnt(10) lgkmcnt(1)
	v_mul_f64 v[165:166], v[40:41], v[4:5]
	v_mul_f64 v[4:5], v[38:39], v[4:5]
	s_delay_alu instid0(VALU_DEP_2) | instskip(NEXT) | instid1(VALU_DEP_2)
	v_fma_f64 v[214:215], v[38:39], v[2:3], -v[165:166]
	v_fma_f64 v[216:217], v[40:41], v[2:3], v[4:5]
	scratch_load_b128 v[38:41], off, off offset:512
	ds_load_b128 v[2:5], v1 offset:1200
	s_waitcnt vmcnt(10) lgkmcnt(1)
	v_mul_f64 v[212:213], v[157:158], v[8:9]
	v_mul_f64 v[8:9], v[159:160], v[8:9]
	ds_load_b128 v[165:168], v1 offset:1216
	s_waitcnt vmcnt(9) lgkmcnt(1)
	v_mul_f64 v[218:219], v[2:3], v[12:13]
	v_mul_f64 v[12:13], v[4:5], v[12:13]
	v_fma_f64 v[159:160], v[159:160], v[6:7], v[212:213]
	v_fma_f64 v[157:158], v[157:158], v[6:7], -v[8:9]
	v_add_f64 v[212:213], v[214:215], 0
	v_add_f64 v[214:215], v[216:217], 0
	scratch_load_b128 v[6:9], off, off offset:528
	v_fma_f64 v[218:219], v[4:5], v[10:11], v[218:219]
	v_fma_f64 v[220:221], v[2:3], v[10:11], -v[12:13]
	scratch_load_b128 v[10:13], off, off offset:544
	ds_load_b128 v[2:5], v1 offset:1232
	s_waitcnt vmcnt(10) lgkmcnt(1)
	v_mul_f64 v[216:217], v[165:166], v[16:17]
	v_mul_f64 v[16:17], v[167:168], v[16:17]
	v_add_f64 v[212:213], v[212:213], v[157:158]
	v_add_f64 v[214:215], v[214:215], v[159:160]
	s_waitcnt vmcnt(9) lgkmcnt(0)
	v_mul_f64 v[222:223], v[2:3], v[20:21]
	v_mul_f64 v[20:21], v[4:5], v[20:21]
	ds_load_b128 v[157:160], v1 offset:1248
	v_fma_f64 v[167:168], v[167:168], v[14:15], v[216:217]
	v_fma_f64 v[165:166], v[165:166], v[14:15], -v[16:17]
	scratch_load_b128 v[14:17], off, off offset:560
	v_add_f64 v[212:213], v[212:213], v[220:221]
	v_add_f64 v[214:215], v[214:215], v[218:219]
	v_fma_f64 v[218:219], v[4:5], v[18:19], v[222:223]
	v_fma_f64 v[220:221], v[2:3], v[18:19], -v[20:21]
	scratch_load_b128 v[18:21], off, off offset:576
	ds_load_b128 v[2:5], v1 offset:1264
	s_waitcnt vmcnt(10) lgkmcnt(1)
	v_mul_f64 v[216:217], v[157:158], v[24:25]
	v_mul_f64 v[24:25], v[159:160], v[24:25]
	s_waitcnt vmcnt(9) lgkmcnt(0)
	v_mul_f64 v[222:223], v[2:3], v[28:29]
	v_mul_f64 v[28:29], v[4:5], v[28:29]
	v_add_f64 v[212:213], v[212:213], v[165:166]
	v_add_f64 v[214:215], v[214:215], v[167:168]
	ds_load_b128 v[165:168], v1 offset:1280
	v_fma_f64 v[159:160], v[159:160], v[22:23], v[216:217]
	v_fma_f64 v[157:158], v[157:158], v[22:23], -v[24:25]
	scratch_load_b128 v[22:25], off, off offset:592
	v_add_f64 v[212:213], v[212:213], v[220:221]
	v_add_f64 v[214:215], v[214:215], v[218:219]
	v_fma_f64 v[218:219], v[4:5], v[26:27], v[222:223]
	v_fma_f64 v[220:221], v[2:3], v[26:27], -v[28:29]
	scratch_load_b128 v[26:29], off, off offset:608
	ds_load_b128 v[2:5], v1 offset:1296
	s_waitcnt vmcnt(10) lgkmcnt(1)
	v_mul_f64 v[216:217], v[165:166], v[32:33]
	v_mul_f64 v[32:33], v[167:168], v[32:33]
	s_waitcnt vmcnt(9) lgkmcnt(0)
	v_mul_f64 v[222:223], v[2:3], v[36:37]
	v_mul_f64 v[36:37], v[4:5], v[36:37]
	v_add_f64 v[212:213], v[212:213], v[157:158]
	v_add_f64 v[214:215], v[214:215], v[159:160]
	ds_load_b128 v[157:160], v1 offset:1312
	v_fma_f64 v[167:168], v[167:168], v[30:31], v[216:217]
	v_fma_f64 v[165:166], v[165:166], v[30:31], -v[32:33]
	scratch_load_b128 v[30:33], off, off offset:624
	v_add_f64 v[212:213], v[212:213], v[220:221]
	v_add_f64 v[214:215], v[214:215], v[218:219]
	v_fma_f64 v[220:221], v[4:5], v[34:35], v[222:223]
	v_fma_f64 v[222:223], v[2:3], v[34:35], -v[36:37]
	scratch_load_b128 v[34:37], off, off offset:640
	ds_load_b128 v[2:5], v1 offset:1328
	s_waitcnt vmcnt(9) lgkmcnt(1)
	v_mul_f64 v[216:217], v[157:158], v[163:164]
	v_mul_f64 v[218:219], v[159:160], v[163:164]
	v_add_f64 v[212:213], v[212:213], v[165:166]
	v_add_f64 v[167:168], v[214:215], v[167:168]
	ds_load_b128 v[163:166], v1 offset:1344
	v_fma_f64 v[216:217], v[159:160], v[161:162], v[216:217]
	v_fma_f64 v[161:162], v[157:158], v[161:162], -v[218:219]
	scratch_load_b128 v[157:160], off, off offset:656
	s_waitcnt vmcnt(9) lgkmcnt(1)
	v_mul_f64 v[214:215], v[2:3], v[40:41]
	v_mul_f64 v[40:41], v[4:5], v[40:41]
	v_add_f64 v[212:213], v[212:213], v[222:223]
	v_add_f64 v[167:168], v[167:168], v[220:221]
	s_delay_alu instid0(VALU_DEP_4) | instskip(NEXT) | instid1(VALU_DEP_4)
	v_fma_f64 v[220:221], v[4:5], v[38:39], v[214:215]
	v_fma_f64 v[222:223], v[2:3], v[38:39], -v[40:41]
	scratch_load_b128 v[38:41], off, off offset:672
	ds_load_b128 v[2:5], v1 offset:1360
	s_waitcnt vmcnt(9) lgkmcnt(1)
	v_mul_f64 v[218:219], v[163:164], v[8:9]
	v_mul_f64 v[8:9], v[165:166], v[8:9]
	v_add_f64 v[161:162], v[212:213], v[161:162]
	v_add_f64 v[167:168], v[167:168], v[216:217]
	s_waitcnt vmcnt(8) lgkmcnt(0)
	v_mul_f64 v[216:217], v[2:3], v[12:13]
	v_mul_f64 v[12:13], v[4:5], v[12:13]
	ds_load_b128 v[212:215], v1 offset:1376
	v_fma_f64 v[165:166], v[165:166], v[6:7], v[218:219]
	v_fma_f64 v[163:164], v[163:164], v[6:7], -v[8:9]
	scratch_load_b128 v[6:9], off, off offset:688
	v_add_f64 v[161:162], v[161:162], v[222:223]
	v_add_f64 v[167:168], v[167:168], v[220:221]
	v_fma_f64 v[216:217], v[4:5], v[10:11], v[216:217]
	v_fma_f64 v[220:221], v[2:3], v[10:11], -v[12:13]
	scratch_load_b128 v[10:13], off, off offset:704
	ds_load_b128 v[2:5], v1 offset:1392
	s_waitcnt vmcnt(9) lgkmcnt(1)
	v_mul_f64 v[218:219], v[212:213], v[16:17]
	v_mul_f64 v[16:17], v[214:215], v[16:17]
	v_add_f64 v[222:223], v[161:162], v[163:164]
	v_add_f64 v[165:166], v[167:168], v[165:166]
	s_waitcnt vmcnt(8) lgkmcnt(0)
	v_mul_f64 v[167:168], v[2:3], v[20:21]
	v_mul_f64 v[20:21], v[4:5], v[20:21]
	ds_load_b128 v[161:164], v1 offset:1408
	v_fma_f64 v[214:215], v[214:215], v[14:15], v[218:219]
	v_fma_f64 v[212:213], v[212:213], v[14:15], -v[16:17]
	scratch_load_b128 v[14:17], off, off offset:720
	v_add_f64 v[218:219], v[222:223], v[220:221]
	v_add_f64 v[165:166], v[165:166], v[216:217]
	;; [unrolled: 18-line block ×3, first 2 shown]
	v_fma_f64 v[218:219], v[4:5], v[26:27], v[218:219]
	v_fma_f64 v[220:221], v[2:3], v[26:27], -v[28:29]
	scratch_load_b128 v[26:29], off, off offset:768
	ds_load_b128 v[2:5], v1 offset:1456
	s_waitcnt vmcnt(9) lgkmcnt(1)
	v_mul_f64 v[216:217], v[165:166], v[32:33]
	v_mul_f64 v[32:33], v[167:168], v[32:33]
	s_waitcnt vmcnt(8) lgkmcnt(0)
	v_mul_f64 v[222:223], v[2:3], v[36:37]
	v_mul_f64 v[36:37], v[4:5], v[36:37]
	v_add_f64 v[212:213], v[212:213], v[161:162]
	v_add_f64 v[214:215], v[214:215], v[163:164]
	ds_load_b128 v[161:164], v1 offset:1472
	v_fma_f64 v[167:168], v[167:168], v[30:31], v[216:217]
	v_fma_f64 v[165:166], v[165:166], v[30:31], -v[32:33]
	scratch_load_b128 v[30:33], off, off offset:784
	v_add_f64 v[212:213], v[212:213], v[220:221]
	v_add_f64 v[214:215], v[214:215], v[218:219]
	v_fma_f64 v[218:219], v[4:5], v[34:35], v[222:223]
	v_fma_f64 v[220:221], v[2:3], v[34:35], -v[36:37]
	scratch_load_b128 v[34:37], off, off offset:800
	ds_load_b128 v[2:5], v1 offset:1488
	s_waitcnt vmcnt(9) lgkmcnt(1)
	v_mul_f64 v[216:217], v[161:162], v[159:160]
	v_mul_f64 v[159:160], v[163:164], v[159:160]
	s_waitcnt vmcnt(8) lgkmcnt(0)
	v_mul_f64 v[222:223], v[2:3], v[40:41]
	v_mul_f64 v[40:41], v[4:5], v[40:41]
	v_add_f64 v[212:213], v[212:213], v[165:166]
	v_add_f64 v[214:215], v[214:215], v[167:168]
	ds_load_b128 v[165:168], v1 offset:1504
	v_fma_f64 v[163:164], v[163:164], v[157:158], v[216:217]
	v_fma_f64 v[157:158], v[161:162], v[157:158], -v[159:160]
	v_fma_f64 v[216:217], v[2:3], v[38:39], -v[40:41]
	v_add_f64 v[159:160], v[212:213], v[220:221]
	v_add_f64 v[161:162], v[214:215], v[218:219]
	s_waitcnt vmcnt(7) lgkmcnt(0)
	v_mul_f64 v[212:213], v[165:166], v[8:9]
	v_mul_f64 v[8:9], v[167:168], v[8:9]
	v_fma_f64 v[214:215], v[4:5], v[38:39], v[222:223]
	ds_load_b128 v[2:5], v1 offset:1520
	ds_load_b128 v[38:41], v1 offset:1536
	v_add_f64 v[157:158], v[159:160], v[157:158]
	v_add_f64 v[159:160], v[161:162], v[163:164]
	s_waitcnt vmcnt(6) lgkmcnt(1)
	v_mul_f64 v[161:162], v[2:3], v[12:13]
	v_mul_f64 v[12:13], v[4:5], v[12:13]
	v_fma_f64 v[163:164], v[167:168], v[6:7], v[212:213]
	v_fma_f64 v[6:7], v[165:166], v[6:7], -v[8:9]
	v_add_f64 v[8:9], v[157:158], v[216:217]
	v_add_f64 v[157:158], v[159:160], v[214:215]
	s_waitcnt vmcnt(5) lgkmcnt(0)
	v_mul_f64 v[159:160], v[38:39], v[16:17]
	v_mul_f64 v[16:17], v[40:41], v[16:17]
	v_fma_f64 v[161:162], v[4:5], v[10:11], v[161:162]
	v_fma_f64 v[10:11], v[2:3], v[10:11], -v[12:13]
	v_add_f64 v[12:13], v[8:9], v[6:7]
	v_add_f64 v[157:158], v[157:158], v[163:164]
	ds_load_b128 v[2:5], v1 offset:1552
	ds_load_b128 v[6:9], v1 offset:1568
	v_fma_f64 v[40:41], v[40:41], v[14:15], v[159:160]
	v_fma_f64 v[14:15], v[38:39], v[14:15], -v[16:17]
	s_waitcnt vmcnt(4) lgkmcnt(1)
	v_mul_f64 v[163:164], v[2:3], v[20:21]
	v_mul_f64 v[20:21], v[4:5], v[20:21]
	s_waitcnt vmcnt(3) lgkmcnt(0)
	v_mul_f64 v[16:17], v[6:7], v[24:25]
	v_mul_f64 v[24:25], v[8:9], v[24:25]
	v_add_f64 v[10:11], v[12:13], v[10:11]
	v_add_f64 v[12:13], v[157:158], v[161:162]
	v_fma_f64 v[38:39], v[4:5], v[18:19], v[163:164]
	v_fma_f64 v[18:19], v[2:3], v[18:19], -v[20:21]
	v_fma_f64 v[8:9], v[8:9], v[22:23], v[16:17]
	v_fma_f64 v[6:7], v[6:7], v[22:23], -v[24:25]
	v_add_f64 v[14:15], v[10:11], v[14:15]
	v_add_f64 v[20:21], v[12:13], v[40:41]
	ds_load_b128 v[2:5], v1 offset:1584
	ds_load_b128 v[10:13], v1 offset:1600
	s_waitcnt vmcnt(2) lgkmcnt(1)
	v_mul_f64 v[40:41], v[2:3], v[28:29]
	v_mul_f64 v[28:29], v[4:5], v[28:29]
	v_add_f64 v[14:15], v[14:15], v[18:19]
	v_add_f64 v[16:17], v[20:21], v[38:39]
	s_waitcnt vmcnt(1) lgkmcnt(0)
	v_mul_f64 v[18:19], v[10:11], v[32:33]
	v_mul_f64 v[20:21], v[12:13], v[32:33]
	v_fma_f64 v[22:23], v[4:5], v[26:27], v[40:41]
	v_fma_f64 v[24:25], v[2:3], v[26:27], -v[28:29]
	ds_load_b128 v[2:5], v1 offset:1616
	v_add_f64 v[6:7], v[14:15], v[6:7]
	v_add_f64 v[8:9], v[16:17], v[8:9]
	v_fma_f64 v[12:13], v[12:13], v[30:31], v[18:19]
	v_fma_f64 v[10:11], v[10:11], v[30:31], -v[20:21]
	s_waitcnt vmcnt(0) lgkmcnt(0)
	v_mul_f64 v[14:15], v[2:3], v[36:37]
	v_mul_f64 v[16:17], v[4:5], v[36:37]
	v_add_f64 v[6:7], v[6:7], v[24:25]
	v_add_f64 v[8:9], v[8:9], v[22:23]
	s_delay_alu instid0(VALU_DEP_4) | instskip(NEXT) | instid1(VALU_DEP_4)
	v_fma_f64 v[4:5], v[4:5], v[34:35], v[14:15]
	v_fma_f64 v[2:3], v[2:3], v[34:35], -v[16:17]
	s_delay_alu instid0(VALU_DEP_4) | instskip(NEXT) | instid1(VALU_DEP_4)
	v_add_f64 v[6:7], v[6:7], v[10:11]
	v_add_f64 v[8:9], v[8:9], v[12:13]
	s_delay_alu instid0(VALU_DEP_2) | instskip(NEXT) | instid1(VALU_DEP_2)
	v_add_f64 v[2:3], v[6:7], v[2:3]
	v_add_f64 v[4:5], v[8:9], v[4:5]
	s_delay_alu instid0(VALU_DEP_2) | instskip(NEXT) | instid1(VALU_DEP_2)
	v_add_f64 v[2:3], v[42:43], -v[2:3]
	v_add_f64 v[4:5], v[44:45], -v[4:5]
	scratch_store_b128 off, v[2:5], off offset:336
	v_cmpx_lt_u32_e32 20, v148
	s_cbranch_execz .LBB114_279
; %bb.278:
	scratch_load_b128 v[5:8], v179, off
	v_mov_b32_e32 v2, v1
	v_mov_b32_e32 v3, v1
	;; [unrolled: 1-line block ×3, first 2 shown]
	scratch_store_b128 off, v[1:4], off offset:320
	s_waitcnt vmcnt(0)
	ds_store_b128 v199, v[5:8]
.LBB114_279:
	s_or_b32 exec_lo, exec_lo, s2
	s_waitcnt lgkmcnt(0)
	s_waitcnt_vscnt null, 0x0
	s_barrier
	buffer_gl0_inv
	s_clause 0x8
	scratch_load_b128 v[2:5], off, off offset:336
	scratch_load_b128 v[6:9], off, off offset:352
	;; [unrolled: 1-line block ×9, first 2 shown]
	ds_load_b128 v[42:45], v1 offset:1152
	ds_load_b128 v[38:41], v1 offset:1168
	s_clause 0x1
	scratch_load_b128 v[157:160], off, off offset:320
	scratch_load_b128 v[161:164], off, off offset:480
	s_mov_b32 s2, exec_lo
	s_waitcnt vmcnt(10) lgkmcnt(1)
	v_mul_f64 v[165:166], v[44:45], v[4:5]
	v_mul_f64 v[4:5], v[42:43], v[4:5]
	s_waitcnt vmcnt(9) lgkmcnt(0)
	v_mul_f64 v[212:213], v[38:39], v[8:9]
	v_mul_f64 v[8:9], v[40:41], v[8:9]
	s_delay_alu instid0(VALU_DEP_4) | instskip(NEXT) | instid1(VALU_DEP_4)
	v_fma_f64 v[214:215], v[42:43], v[2:3], -v[165:166]
	v_fma_f64 v[216:217], v[44:45], v[2:3], v[4:5]
	ds_load_b128 v[2:5], v1 offset:1184
	ds_load_b128 v[165:168], v1 offset:1200
	scratch_load_b128 v[42:45], off, off offset:496
	v_fma_f64 v[40:41], v[40:41], v[6:7], v[212:213]
	v_fma_f64 v[38:39], v[38:39], v[6:7], -v[8:9]
	scratch_load_b128 v[6:9], off, off offset:512
	s_waitcnt vmcnt(10) lgkmcnt(1)
	v_mul_f64 v[218:219], v[2:3], v[12:13]
	v_mul_f64 v[12:13], v[4:5], v[12:13]
	v_add_f64 v[212:213], v[214:215], 0
	v_add_f64 v[214:215], v[216:217], 0
	s_waitcnt vmcnt(9) lgkmcnt(0)
	v_mul_f64 v[216:217], v[165:166], v[16:17]
	v_mul_f64 v[16:17], v[167:168], v[16:17]
	v_fma_f64 v[218:219], v[4:5], v[10:11], v[218:219]
	v_fma_f64 v[220:221], v[2:3], v[10:11], -v[12:13]
	ds_load_b128 v[2:5], v1 offset:1216
	scratch_load_b128 v[10:13], off, off offset:528
	v_add_f64 v[212:213], v[212:213], v[38:39]
	v_add_f64 v[214:215], v[214:215], v[40:41]
	ds_load_b128 v[38:41], v1 offset:1232
	v_fma_f64 v[167:168], v[167:168], v[14:15], v[216:217]
	v_fma_f64 v[165:166], v[165:166], v[14:15], -v[16:17]
	scratch_load_b128 v[14:17], off, off offset:544
	s_waitcnt vmcnt(10) lgkmcnt(1)
	v_mul_f64 v[222:223], v[2:3], v[20:21]
	v_mul_f64 v[20:21], v[4:5], v[20:21]
	s_waitcnt vmcnt(9) lgkmcnt(0)
	v_mul_f64 v[216:217], v[38:39], v[24:25]
	v_mul_f64 v[24:25], v[40:41], v[24:25]
	v_add_f64 v[212:213], v[212:213], v[220:221]
	v_add_f64 v[214:215], v[214:215], v[218:219]
	v_fma_f64 v[218:219], v[4:5], v[18:19], v[222:223]
	v_fma_f64 v[220:221], v[2:3], v[18:19], -v[20:21]
	ds_load_b128 v[2:5], v1 offset:1248
	scratch_load_b128 v[18:21], off, off offset:560
	v_fma_f64 v[40:41], v[40:41], v[22:23], v[216:217]
	v_fma_f64 v[38:39], v[38:39], v[22:23], -v[24:25]
	scratch_load_b128 v[22:25], off, off offset:576
	v_add_f64 v[212:213], v[212:213], v[165:166]
	v_add_f64 v[214:215], v[214:215], v[167:168]
	ds_load_b128 v[165:168], v1 offset:1264
	s_waitcnt vmcnt(10) lgkmcnt(1)
	v_mul_f64 v[222:223], v[2:3], v[28:29]
	v_mul_f64 v[28:29], v[4:5], v[28:29]
	s_waitcnt vmcnt(9) lgkmcnt(0)
	v_mul_f64 v[216:217], v[165:166], v[32:33]
	v_mul_f64 v[32:33], v[167:168], v[32:33]
	v_add_f64 v[212:213], v[212:213], v[220:221]
	v_add_f64 v[214:215], v[214:215], v[218:219]
	v_fma_f64 v[218:219], v[4:5], v[26:27], v[222:223]
	v_fma_f64 v[220:221], v[2:3], v[26:27], -v[28:29]
	ds_load_b128 v[2:5], v1 offset:1280
	scratch_load_b128 v[26:29], off, off offset:592
	v_fma_f64 v[167:168], v[167:168], v[30:31], v[216:217]
	v_fma_f64 v[165:166], v[165:166], v[30:31], -v[32:33]
	scratch_load_b128 v[30:33], off, off offset:608
	v_add_f64 v[212:213], v[212:213], v[38:39]
	v_add_f64 v[214:215], v[214:215], v[40:41]
	ds_load_b128 v[38:41], v1 offset:1296
	s_waitcnt vmcnt(10) lgkmcnt(1)
	v_mul_f64 v[222:223], v[2:3], v[36:37]
	v_mul_f64 v[36:37], v[4:5], v[36:37]
	s_waitcnt vmcnt(8) lgkmcnt(0)
	v_mul_f64 v[216:217], v[38:39], v[163:164]
	v_add_f64 v[212:213], v[212:213], v[220:221]
	v_add_f64 v[214:215], v[214:215], v[218:219]
	v_mul_f64 v[218:219], v[40:41], v[163:164]
	v_fma_f64 v[220:221], v[4:5], v[34:35], v[222:223]
	v_fma_f64 v[222:223], v[2:3], v[34:35], -v[36:37]
	ds_load_b128 v[2:5], v1 offset:1312
	scratch_load_b128 v[34:37], off, off offset:624
	v_fma_f64 v[216:217], v[40:41], v[161:162], v[216:217]
	v_add_f64 v[212:213], v[212:213], v[165:166]
	v_add_f64 v[167:168], v[214:215], v[167:168]
	ds_load_b128 v[163:166], v1 offset:1328
	v_fma_f64 v[161:162], v[38:39], v[161:162], -v[218:219]
	scratch_load_b128 v[38:41], off, off offset:640
	s_waitcnt vmcnt(9) lgkmcnt(1)
	v_mul_f64 v[214:215], v[2:3], v[44:45]
	v_mul_f64 v[44:45], v[4:5], v[44:45]
	s_waitcnt vmcnt(8) lgkmcnt(0)
	v_mul_f64 v[218:219], v[163:164], v[8:9]
	v_mul_f64 v[8:9], v[165:166], v[8:9]
	v_add_f64 v[212:213], v[212:213], v[222:223]
	v_add_f64 v[167:168], v[167:168], v[220:221]
	v_fma_f64 v[220:221], v[4:5], v[42:43], v[214:215]
	v_fma_f64 v[222:223], v[2:3], v[42:43], -v[44:45]
	ds_load_b128 v[2:5], v1 offset:1344
	scratch_load_b128 v[42:45], off, off offset:656
	v_fma_f64 v[165:166], v[165:166], v[6:7], v[218:219]
	v_fma_f64 v[163:164], v[163:164], v[6:7], -v[8:9]
	scratch_load_b128 v[6:9], off, off offset:672
	v_add_f64 v[161:162], v[212:213], v[161:162]
	v_add_f64 v[167:168], v[167:168], v[216:217]
	ds_load_b128 v[212:215], v1 offset:1360
	s_waitcnt vmcnt(9) lgkmcnt(1)
	v_mul_f64 v[216:217], v[2:3], v[12:13]
	v_mul_f64 v[12:13], v[4:5], v[12:13]
	s_waitcnt vmcnt(8) lgkmcnt(0)
	v_mul_f64 v[218:219], v[212:213], v[16:17]
	v_mul_f64 v[16:17], v[214:215], v[16:17]
	v_add_f64 v[161:162], v[161:162], v[222:223]
	v_add_f64 v[167:168], v[167:168], v[220:221]
	v_fma_f64 v[216:217], v[4:5], v[10:11], v[216:217]
	v_fma_f64 v[220:221], v[2:3], v[10:11], -v[12:13]
	ds_load_b128 v[2:5], v1 offset:1376
	scratch_load_b128 v[10:13], off, off offset:688
	v_fma_f64 v[214:215], v[214:215], v[14:15], v[218:219]
	v_fma_f64 v[212:213], v[212:213], v[14:15], -v[16:17]
	scratch_load_b128 v[14:17], off, off offset:704
	v_add_f64 v[222:223], v[161:162], v[163:164]
	v_add_f64 v[165:166], v[167:168], v[165:166]
	ds_load_b128 v[161:164], v1 offset:1392
	s_waitcnt vmcnt(9) lgkmcnt(1)
	v_mul_f64 v[167:168], v[2:3], v[20:21]
	v_mul_f64 v[20:21], v[4:5], v[20:21]
	v_add_f64 v[218:219], v[222:223], v[220:221]
	v_add_f64 v[165:166], v[165:166], v[216:217]
	s_waitcnt vmcnt(8) lgkmcnt(0)
	v_mul_f64 v[216:217], v[161:162], v[24:25]
	v_mul_f64 v[24:25], v[163:164], v[24:25]
	v_fma_f64 v[220:221], v[4:5], v[18:19], v[167:168]
	v_fma_f64 v[222:223], v[2:3], v[18:19], -v[20:21]
	ds_load_b128 v[2:5], v1 offset:1408
	scratch_load_b128 v[18:21], off, off offset:720
	v_add_f64 v[212:213], v[218:219], v[212:213]
	v_add_f64 v[214:215], v[165:166], v[214:215]
	ds_load_b128 v[165:168], v1 offset:1424
	s_waitcnt vmcnt(8) lgkmcnt(1)
	v_mul_f64 v[218:219], v[2:3], v[28:29]
	v_mul_f64 v[28:29], v[4:5], v[28:29]
	v_fma_f64 v[163:164], v[163:164], v[22:23], v[216:217]
	v_fma_f64 v[161:162], v[161:162], v[22:23], -v[24:25]
	scratch_load_b128 v[22:25], off, off offset:736
	s_waitcnt vmcnt(8) lgkmcnt(0)
	v_mul_f64 v[216:217], v[165:166], v[32:33]
	v_mul_f64 v[32:33], v[167:168], v[32:33]
	v_add_f64 v[212:213], v[212:213], v[222:223]
	v_add_f64 v[214:215], v[214:215], v[220:221]
	v_fma_f64 v[218:219], v[4:5], v[26:27], v[218:219]
	v_fma_f64 v[220:221], v[2:3], v[26:27], -v[28:29]
	ds_load_b128 v[2:5], v1 offset:1440
	scratch_load_b128 v[26:29], off, off offset:752
	v_fma_f64 v[167:168], v[167:168], v[30:31], v[216:217]
	v_fma_f64 v[165:166], v[165:166], v[30:31], -v[32:33]
	scratch_load_b128 v[30:33], off, off offset:768
	v_add_f64 v[212:213], v[212:213], v[161:162]
	v_add_f64 v[214:215], v[214:215], v[163:164]
	ds_load_b128 v[161:164], v1 offset:1456
	s_waitcnt vmcnt(9) lgkmcnt(1)
	v_mul_f64 v[222:223], v[2:3], v[36:37]
	v_mul_f64 v[36:37], v[4:5], v[36:37]
	s_waitcnt vmcnt(8) lgkmcnt(0)
	v_mul_f64 v[216:217], v[161:162], v[40:41]
	v_mul_f64 v[40:41], v[163:164], v[40:41]
	v_add_f64 v[212:213], v[212:213], v[220:221]
	v_add_f64 v[214:215], v[214:215], v[218:219]
	v_fma_f64 v[218:219], v[4:5], v[34:35], v[222:223]
	v_fma_f64 v[220:221], v[2:3], v[34:35], -v[36:37]
	ds_load_b128 v[2:5], v1 offset:1472
	scratch_load_b128 v[34:37], off, off offset:784
	v_fma_f64 v[163:164], v[163:164], v[38:39], v[216:217]
	v_fma_f64 v[161:162], v[161:162], v[38:39], -v[40:41]
	scratch_load_b128 v[38:41], off, off offset:800
	v_add_f64 v[212:213], v[212:213], v[165:166]
	v_add_f64 v[214:215], v[214:215], v[167:168]
	ds_load_b128 v[165:168], v1 offset:1488
	s_waitcnt vmcnt(9) lgkmcnt(1)
	v_mul_f64 v[222:223], v[2:3], v[44:45]
	v_mul_f64 v[44:45], v[4:5], v[44:45]
	s_waitcnt vmcnt(8) lgkmcnt(0)
	v_mul_f64 v[216:217], v[165:166], v[8:9]
	v_mul_f64 v[8:9], v[167:168], v[8:9]
	v_add_f64 v[212:213], v[212:213], v[220:221]
	v_add_f64 v[214:215], v[214:215], v[218:219]
	v_fma_f64 v[218:219], v[4:5], v[42:43], v[222:223]
	v_fma_f64 v[220:221], v[2:3], v[42:43], -v[44:45]
	ds_load_b128 v[2:5], v1 offset:1504
	ds_load_b128 v[42:45], v1 offset:1520
	v_fma_f64 v[167:168], v[167:168], v[6:7], v[216:217]
	v_fma_f64 v[6:7], v[165:166], v[6:7], -v[8:9]
	v_add_f64 v[161:162], v[212:213], v[161:162]
	v_add_f64 v[163:164], v[214:215], v[163:164]
	s_waitcnt vmcnt(7) lgkmcnt(1)
	v_mul_f64 v[212:213], v[2:3], v[12:13]
	v_mul_f64 v[12:13], v[4:5], v[12:13]
	s_delay_alu instid0(VALU_DEP_4) | instskip(NEXT) | instid1(VALU_DEP_4)
	v_add_f64 v[8:9], v[161:162], v[220:221]
	v_add_f64 v[161:162], v[163:164], v[218:219]
	s_waitcnt vmcnt(6) lgkmcnt(0)
	v_mul_f64 v[163:164], v[42:43], v[16:17]
	v_mul_f64 v[16:17], v[44:45], v[16:17]
	v_fma_f64 v[165:166], v[4:5], v[10:11], v[212:213]
	v_fma_f64 v[10:11], v[2:3], v[10:11], -v[12:13]
	v_add_f64 v[12:13], v[8:9], v[6:7]
	v_add_f64 v[161:162], v[161:162], v[167:168]
	ds_load_b128 v[2:5], v1 offset:1536
	ds_load_b128 v[6:9], v1 offset:1552
	v_fma_f64 v[44:45], v[44:45], v[14:15], v[163:164]
	v_fma_f64 v[14:15], v[42:43], v[14:15], -v[16:17]
	s_waitcnt vmcnt(5) lgkmcnt(1)
	v_mul_f64 v[167:168], v[2:3], v[20:21]
	v_mul_f64 v[20:21], v[4:5], v[20:21]
	s_waitcnt vmcnt(4) lgkmcnt(0)
	v_mul_f64 v[16:17], v[6:7], v[24:25]
	v_mul_f64 v[24:25], v[8:9], v[24:25]
	v_add_f64 v[10:11], v[12:13], v[10:11]
	v_add_f64 v[12:13], v[161:162], v[165:166]
	v_fma_f64 v[42:43], v[4:5], v[18:19], v[167:168]
	v_fma_f64 v[18:19], v[2:3], v[18:19], -v[20:21]
	v_fma_f64 v[8:9], v[8:9], v[22:23], v[16:17]
	v_fma_f64 v[6:7], v[6:7], v[22:23], -v[24:25]
	v_add_f64 v[14:15], v[10:11], v[14:15]
	v_add_f64 v[20:21], v[12:13], v[44:45]
	ds_load_b128 v[2:5], v1 offset:1568
	ds_load_b128 v[10:13], v1 offset:1584
	s_waitcnt vmcnt(3) lgkmcnt(1)
	v_mul_f64 v[44:45], v[2:3], v[28:29]
	v_mul_f64 v[28:29], v[4:5], v[28:29]
	v_add_f64 v[14:15], v[14:15], v[18:19]
	v_add_f64 v[16:17], v[20:21], v[42:43]
	s_waitcnt vmcnt(2) lgkmcnt(0)
	v_mul_f64 v[18:19], v[10:11], v[32:33]
	v_mul_f64 v[20:21], v[12:13], v[32:33]
	v_fma_f64 v[22:23], v[4:5], v[26:27], v[44:45]
	v_fma_f64 v[24:25], v[2:3], v[26:27], -v[28:29]
	v_add_f64 v[14:15], v[14:15], v[6:7]
	v_add_f64 v[16:17], v[16:17], v[8:9]
	ds_load_b128 v[2:5], v1 offset:1600
	ds_load_b128 v[6:9], v1 offset:1616
	v_fma_f64 v[12:13], v[12:13], v[30:31], v[18:19]
	v_fma_f64 v[10:11], v[10:11], v[30:31], -v[20:21]
	s_waitcnt vmcnt(1) lgkmcnt(1)
	v_mul_f64 v[26:27], v[2:3], v[36:37]
	v_mul_f64 v[28:29], v[4:5], v[36:37]
	s_waitcnt vmcnt(0) lgkmcnt(0)
	v_mul_f64 v[18:19], v[6:7], v[40:41]
	v_mul_f64 v[20:21], v[8:9], v[40:41]
	v_add_f64 v[14:15], v[14:15], v[24:25]
	v_add_f64 v[16:17], v[16:17], v[22:23]
	v_fma_f64 v[4:5], v[4:5], v[34:35], v[26:27]
	v_fma_f64 v[1:2], v[2:3], v[34:35], -v[28:29]
	v_fma_f64 v[8:9], v[8:9], v[38:39], v[18:19]
	v_fma_f64 v[6:7], v[6:7], v[38:39], -v[20:21]
	v_add_f64 v[10:11], v[14:15], v[10:11]
	v_add_f64 v[12:13], v[16:17], v[12:13]
	s_delay_alu instid0(VALU_DEP_2) | instskip(NEXT) | instid1(VALU_DEP_2)
	v_add_f64 v[1:2], v[10:11], v[1:2]
	v_add_f64 v[3:4], v[12:13], v[4:5]
	s_delay_alu instid0(VALU_DEP_2) | instskip(NEXT) | instid1(VALU_DEP_2)
	;; [unrolled: 3-line block ×3, first 2 shown]
	v_add_f64 v[1:2], v[157:158], -v[1:2]
	v_add_f64 v[3:4], v[159:160], -v[3:4]
	scratch_store_b128 off, v[1:4], off offset:320
	v_cmpx_lt_u32_e32 19, v148
	s_cbranch_execz .LBB114_281
; %bb.280:
	scratch_load_b128 v[1:4], v180, off
	v_mov_b32_e32 v5, 0
	s_delay_alu instid0(VALU_DEP_1)
	v_mov_b32_e32 v6, v5
	v_mov_b32_e32 v7, v5
	;; [unrolled: 1-line block ×3, first 2 shown]
	scratch_store_b128 off, v[5:8], off offset:304
	s_waitcnt vmcnt(0)
	ds_store_b128 v199, v[1:4]
.LBB114_281:
	s_or_b32 exec_lo, exec_lo, s2
	s_waitcnt lgkmcnt(0)
	s_waitcnt_vscnt null, 0x0
	s_barrier
	buffer_gl0_inv
	s_clause 0x7
	scratch_load_b128 v[2:5], off, off offset:320
	scratch_load_b128 v[6:9], off, off offset:336
	;; [unrolled: 1-line block ×8, first 2 shown]
	v_mov_b32_e32 v1, 0
	s_mov_b32 s2, exec_lo
	ds_load_b128 v[38:41], v1 offset:1136
	s_clause 0x1
	scratch_load_b128 v[34:37], off, off offset:448
	scratch_load_b128 v[42:45], off, off offset:304
	ds_load_b128 v[157:160], v1 offset:1152
	scratch_load_b128 v[161:164], off, off offset:464
	s_waitcnt vmcnt(10) lgkmcnt(1)
	v_mul_f64 v[165:166], v[40:41], v[4:5]
	v_mul_f64 v[4:5], v[38:39], v[4:5]
	s_delay_alu instid0(VALU_DEP_2) | instskip(NEXT) | instid1(VALU_DEP_2)
	v_fma_f64 v[214:215], v[38:39], v[2:3], -v[165:166]
	v_fma_f64 v[216:217], v[40:41], v[2:3], v[4:5]
	scratch_load_b128 v[38:41], off, off offset:480
	ds_load_b128 v[2:5], v1 offset:1168
	s_waitcnt vmcnt(10) lgkmcnt(1)
	v_mul_f64 v[212:213], v[157:158], v[8:9]
	v_mul_f64 v[8:9], v[159:160], v[8:9]
	ds_load_b128 v[165:168], v1 offset:1184
	s_waitcnt vmcnt(9) lgkmcnt(1)
	v_mul_f64 v[218:219], v[2:3], v[12:13]
	v_mul_f64 v[12:13], v[4:5], v[12:13]
	v_fma_f64 v[159:160], v[159:160], v[6:7], v[212:213]
	v_fma_f64 v[157:158], v[157:158], v[6:7], -v[8:9]
	v_add_f64 v[212:213], v[214:215], 0
	v_add_f64 v[214:215], v[216:217], 0
	scratch_load_b128 v[6:9], off, off offset:496
	v_fma_f64 v[218:219], v[4:5], v[10:11], v[218:219]
	v_fma_f64 v[220:221], v[2:3], v[10:11], -v[12:13]
	scratch_load_b128 v[10:13], off, off offset:512
	ds_load_b128 v[2:5], v1 offset:1200
	s_waitcnt vmcnt(10) lgkmcnt(1)
	v_mul_f64 v[216:217], v[165:166], v[16:17]
	v_mul_f64 v[16:17], v[167:168], v[16:17]
	v_add_f64 v[212:213], v[212:213], v[157:158]
	v_add_f64 v[214:215], v[214:215], v[159:160]
	s_waitcnt vmcnt(9) lgkmcnt(0)
	v_mul_f64 v[222:223], v[2:3], v[20:21]
	v_mul_f64 v[20:21], v[4:5], v[20:21]
	ds_load_b128 v[157:160], v1 offset:1216
	v_fma_f64 v[167:168], v[167:168], v[14:15], v[216:217]
	v_fma_f64 v[165:166], v[165:166], v[14:15], -v[16:17]
	scratch_load_b128 v[14:17], off, off offset:528
	v_add_f64 v[212:213], v[212:213], v[220:221]
	v_add_f64 v[214:215], v[214:215], v[218:219]
	v_fma_f64 v[218:219], v[4:5], v[18:19], v[222:223]
	v_fma_f64 v[220:221], v[2:3], v[18:19], -v[20:21]
	scratch_load_b128 v[18:21], off, off offset:544
	ds_load_b128 v[2:5], v1 offset:1232
	s_waitcnt vmcnt(10) lgkmcnt(1)
	v_mul_f64 v[216:217], v[157:158], v[24:25]
	v_mul_f64 v[24:25], v[159:160], v[24:25]
	s_waitcnt vmcnt(9) lgkmcnt(0)
	v_mul_f64 v[222:223], v[2:3], v[28:29]
	v_mul_f64 v[28:29], v[4:5], v[28:29]
	v_add_f64 v[212:213], v[212:213], v[165:166]
	v_add_f64 v[214:215], v[214:215], v[167:168]
	ds_load_b128 v[165:168], v1 offset:1248
	v_fma_f64 v[159:160], v[159:160], v[22:23], v[216:217]
	v_fma_f64 v[157:158], v[157:158], v[22:23], -v[24:25]
	scratch_load_b128 v[22:25], off, off offset:560
	v_add_f64 v[212:213], v[212:213], v[220:221]
	v_add_f64 v[214:215], v[214:215], v[218:219]
	v_fma_f64 v[218:219], v[4:5], v[26:27], v[222:223]
	v_fma_f64 v[220:221], v[2:3], v[26:27], -v[28:29]
	scratch_load_b128 v[26:29], off, off offset:576
	ds_load_b128 v[2:5], v1 offset:1264
	s_waitcnt vmcnt(10) lgkmcnt(1)
	v_mul_f64 v[216:217], v[165:166], v[32:33]
	v_mul_f64 v[32:33], v[167:168], v[32:33]
	s_waitcnt vmcnt(9) lgkmcnt(0)
	v_mul_f64 v[222:223], v[2:3], v[36:37]
	v_mul_f64 v[36:37], v[4:5], v[36:37]
	v_add_f64 v[212:213], v[212:213], v[157:158]
	v_add_f64 v[214:215], v[214:215], v[159:160]
	ds_load_b128 v[157:160], v1 offset:1280
	v_fma_f64 v[167:168], v[167:168], v[30:31], v[216:217]
	v_fma_f64 v[165:166], v[165:166], v[30:31], -v[32:33]
	scratch_load_b128 v[30:33], off, off offset:592
	v_add_f64 v[212:213], v[212:213], v[220:221]
	v_add_f64 v[214:215], v[214:215], v[218:219]
	v_fma_f64 v[220:221], v[4:5], v[34:35], v[222:223]
	v_fma_f64 v[222:223], v[2:3], v[34:35], -v[36:37]
	scratch_load_b128 v[34:37], off, off offset:608
	ds_load_b128 v[2:5], v1 offset:1296
	s_waitcnt vmcnt(9) lgkmcnt(1)
	v_mul_f64 v[216:217], v[157:158], v[163:164]
	v_mul_f64 v[218:219], v[159:160], v[163:164]
	v_add_f64 v[212:213], v[212:213], v[165:166]
	v_add_f64 v[167:168], v[214:215], v[167:168]
	ds_load_b128 v[163:166], v1 offset:1312
	v_fma_f64 v[216:217], v[159:160], v[161:162], v[216:217]
	v_fma_f64 v[161:162], v[157:158], v[161:162], -v[218:219]
	scratch_load_b128 v[157:160], off, off offset:624
	s_waitcnt vmcnt(9) lgkmcnt(1)
	v_mul_f64 v[214:215], v[2:3], v[40:41]
	v_mul_f64 v[40:41], v[4:5], v[40:41]
	v_add_f64 v[212:213], v[212:213], v[222:223]
	v_add_f64 v[167:168], v[167:168], v[220:221]
	s_delay_alu instid0(VALU_DEP_4) | instskip(NEXT) | instid1(VALU_DEP_4)
	v_fma_f64 v[220:221], v[4:5], v[38:39], v[214:215]
	v_fma_f64 v[222:223], v[2:3], v[38:39], -v[40:41]
	scratch_load_b128 v[38:41], off, off offset:640
	ds_load_b128 v[2:5], v1 offset:1328
	s_waitcnt vmcnt(9) lgkmcnt(1)
	v_mul_f64 v[218:219], v[163:164], v[8:9]
	v_mul_f64 v[8:9], v[165:166], v[8:9]
	v_add_f64 v[161:162], v[212:213], v[161:162]
	v_add_f64 v[167:168], v[167:168], v[216:217]
	s_waitcnt vmcnt(8) lgkmcnt(0)
	v_mul_f64 v[216:217], v[2:3], v[12:13]
	v_mul_f64 v[12:13], v[4:5], v[12:13]
	ds_load_b128 v[212:215], v1 offset:1344
	v_fma_f64 v[165:166], v[165:166], v[6:7], v[218:219]
	v_fma_f64 v[163:164], v[163:164], v[6:7], -v[8:9]
	scratch_load_b128 v[6:9], off, off offset:656
	v_add_f64 v[161:162], v[161:162], v[222:223]
	v_add_f64 v[167:168], v[167:168], v[220:221]
	v_fma_f64 v[216:217], v[4:5], v[10:11], v[216:217]
	v_fma_f64 v[220:221], v[2:3], v[10:11], -v[12:13]
	scratch_load_b128 v[10:13], off, off offset:672
	ds_load_b128 v[2:5], v1 offset:1360
	s_waitcnt vmcnt(9) lgkmcnt(1)
	v_mul_f64 v[218:219], v[212:213], v[16:17]
	v_mul_f64 v[16:17], v[214:215], v[16:17]
	v_add_f64 v[222:223], v[161:162], v[163:164]
	v_add_f64 v[165:166], v[167:168], v[165:166]
	s_waitcnt vmcnt(8) lgkmcnt(0)
	v_mul_f64 v[167:168], v[2:3], v[20:21]
	v_mul_f64 v[20:21], v[4:5], v[20:21]
	ds_load_b128 v[161:164], v1 offset:1376
	v_fma_f64 v[214:215], v[214:215], v[14:15], v[218:219]
	v_fma_f64 v[212:213], v[212:213], v[14:15], -v[16:17]
	scratch_load_b128 v[14:17], off, off offset:688
	v_add_f64 v[218:219], v[222:223], v[220:221]
	v_add_f64 v[165:166], v[165:166], v[216:217]
	;; [unrolled: 18-line block ×3, first 2 shown]
	v_fma_f64 v[218:219], v[4:5], v[26:27], v[218:219]
	v_fma_f64 v[220:221], v[2:3], v[26:27], -v[28:29]
	scratch_load_b128 v[26:29], off, off offset:736
	ds_load_b128 v[2:5], v1 offset:1424
	s_waitcnt vmcnt(9) lgkmcnt(1)
	v_mul_f64 v[216:217], v[165:166], v[32:33]
	v_mul_f64 v[32:33], v[167:168], v[32:33]
	s_waitcnt vmcnt(8) lgkmcnt(0)
	v_mul_f64 v[222:223], v[2:3], v[36:37]
	v_mul_f64 v[36:37], v[4:5], v[36:37]
	v_add_f64 v[212:213], v[212:213], v[161:162]
	v_add_f64 v[214:215], v[214:215], v[163:164]
	ds_load_b128 v[161:164], v1 offset:1440
	v_fma_f64 v[167:168], v[167:168], v[30:31], v[216:217]
	v_fma_f64 v[165:166], v[165:166], v[30:31], -v[32:33]
	scratch_load_b128 v[30:33], off, off offset:752
	v_add_f64 v[212:213], v[212:213], v[220:221]
	v_add_f64 v[214:215], v[214:215], v[218:219]
	v_fma_f64 v[218:219], v[4:5], v[34:35], v[222:223]
	v_fma_f64 v[220:221], v[2:3], v[34:35], -v[36:37]
	scratch_load_b128 v[34:37], off, off offset:768
	ds_load_b128 v[2:5], v1 offset:1456
	s_waitcnt vmcnt(9) lgkmcnt(1)
	v_mul_f64 v[216:217], v[161:162], v[159:160]
	v_mul_f64 v[159:160], v[163:164], v[159:160]
	s_waitcnt vmcnt(8) lgkmcnt(0)
	v_mul_f64 v[222:223], v[2:3], v[40:41]
	v_mul_f64 v[40:41], v[4:5], v[40:41]
	v_add_f64 v[212:213], v[212:213], v[165:166]
	v_add_f64 v[214:215], v[214:215], v[167:168]
	ds_load_b128 v[165:168], v1 offset:1472
	v_fma_f64 v[163:164], v[163:164], v[157:158], v[216:217]
	v_fma_f64 v[161:162], v[161:162], v[157:158], -v[159:160]
	scratch_load_b128 v[157:160], off, off offset:784
	v_add_f64 v[212:213], v[212:213], v[220:221]
	v_add_f64 v[214:215], v[214:215], v[218:219]
	v_fma_f64 v[218:219], v[4:5], v[38:39], v[222:223]
	v_fma_f64 v[220:221], v[2:3], v[38:39], -v[40:41]
	scratch_load_b128 v[38:41], off, off offset:800
	ds_load_b128 v[2:5], v1 offset:1488
	s_waitcnt vmcnt(9) lgkmcnt(1)
	v_mul_f64 v[216:217], v[165:166], v[8:9]
	v_mul_f64 v[8:9], v[167:168], v[8:9]
	s_waitcnt vmcnt(8) lgkmcnt(0)
	v_mul_f64 v[222:223], v[2:3], v[12:13]
	v_mul_f64 v[12:13], v[4:5], v[12:13]
	v_add_f64 v[212:213], v[212:213], v[161:162]
	v_add_f64 v[214:215], v[214:215], v[163:164]
	ds_load_b128 v[161:164], v1 offset:1504
	v_fma_f64 v[167:168], v[167:168], v[6:7], v[216:217]
	v_fma_f64 v[6:7], v[165:166], v[6:7], -v[8:9]
	v_add_f64 v[8:9], v[212:213], v[220:221]
	v_add_f64 v[165:166], v[214:215], v[218:219]
	s_waitcnt vmcnt(7) lgkmcnt(0)
	v_mul_f64 v[212:213], v[161:162], v[16:17]
	v_mul_f64 v[16:17], v[163:164], v[16:17]
	v_fma_f64 v[214:215], v[4:5], v[10:11], v[222:223]
	v_fma_f64 v[10:11], v[2:3], v[10:11], -v[12:13]
	v_add_f64 v[12:13], v[8:9], v[6:7]
	v_add_f64 v[165:166], v[165:166], v[167:168]
	ds_load_b128 v[2:5], v1 offset:1520
	ds_load_b128 v[6:9], v1 offset:1536
	v_fma_f64 v[163:164], v[163:164], v[14:15], v[212:213]
	v_fma_f64 v[14:15], v[161:162], v[14:15], -v[16:17]
	s_waitcnt vmcnt(6) lgkmcnt(1)
	v_mul_f64 v[167:168], v[2:3], v[20:21]
	v_mul_f64 v[20:21], v[4:5], v[20:21]
	s_waitcnt vmcnt(5) lgkmcnt(0)
	v_mul_f64 v[16:17], v[6:7], v[24:25]
	v_mul_f64 v[24:25], v[8:9], v[24:25]
	v_add_f64 v[10:11], v[12:13], v[10:11]
	v_add_f64 v[12:13], v[165:166], v[214:215]
	v_fma_f64 v[161:162], v[4:5], v[18:19], v[167:168]
	v_fma_f64 v[18:19], v[2:3], v[18:19], -v[20:21]
	v_fma_f64 v[8:9], v[8:9], v[22:23], v[16:17]
	v_fma_f64 v[6:7], v[6:7], v[22:23], -v[24:25]
	v_add_f64 v[14:15], v[10:11], v[14:15]
	v_add_f64 v[20:21], v[12:13], v[163:164]
	ds_load_b128 v[2:5], v1 offset:1552
	ds_load_b128 v[10:13], v1 offset:1568
	s_waitcnt vmcnt(4) lgkmcnt(1)
	v_mul_f64 v[163:164], v[2:3], v[28:29]
	v_mul_f64 v[28:29], v[4:5], v[28:29]
	v_add_f64 v[14:15], v[14:15], v[18:19]
	v_add_f64 v[16:17], v[20:21], v[161:162]
	s_waitcnt vmcnt(3) lgkmcnt(0)
	v_mul_f64 v[18:19], v[10:11], v[32:33]
	v_mul_f64 v[20:21], v[12:13], v[32:33]
	v_fma_f64 v[22:23], v[4:5], v[26:27], v[163:164]
	v_fma_f64 v[24:25], v[2:3], v[26:27], -v[28:29]
	v_add_f64 v[14:15], v[14:15], v[6:7]
	v_add_f64 v[16:17], v[16:17], v[8:9]
	ds_load_b128 v[2:5], v1 offset:1584
	ds_load_b128 v[6:9], v1 offset:1600
	v_fma_f64 v[12:13], v[12:13], v[30:31], v[18:19]
	v_fma_f64 v[10:11], v[10:11], v[30:31], -v[20:21]
	s_waitcnt vmcnt(2) lgkmcnt(1)
	v_mul_f64 v[26:27], v[2:3], v[36:37]
	v_mul_f64 v[28:29], v[4:5], v[36:37]
	s_waitcnt vmcnt(1) lgkmcnt(0)
	v_mul_f64 v[18:19], v[6:7], v[159:160]
	v_mul_f64 v[20:21], v[8:9], v[159:160]
	v_add_f64 v[14:15], v[14:15], v[24:25]
	v_add_f64 v[16:17], v[16:17], v[22:23]
	v_fma_f64 v[22:23], v[4:5], v[34:35], v[26:27]
	v_fma_f64 v[24:25], v[2:3], v[34:35], -v[28:29]
	ds_load_b128 v[2:5], v1 offset:1616
	v_fma_f64 v[8:9], v[8:9], v[157:158], v[18:19]
	v_fma_f64 v[6:7], v[6:7], v[157:158], -v[20:21]
	v_add_f64 v[10:11], v[14:15], v[10:11]
	v_add_f64 v[12:13], v[16:17], v[12:13]
	s_waitcnt vmcnt(0) lgkmcnt(0)
	v_mul_f64 v[14:15], v[2:3], v[40:41]
	v_mul_f64 v[16:17], v[4:5], v[40:41]
	s_delay_alu instid0(VALU_DEP_4) | instskip(NEXT) | instid1(VALU_DEP_4)
	v_add_f64 v[10:11], v[10:11], v[24:25]
	v_add_f64 v[12:13], v[12:13], v[22:23]
	s_delay_alu instid0(VALU_DEP_4) | instskip(NEXT) | instid1(VALU_DEP_4)
	v_fma_f64 v[4:5], v[4:5], v[38:39], v[14:15]
	v_fma_f64 v[2:3], v[2:3], v[38:39], -v[16:17]
	s_delay_alu instid0(VALU_DEP_4) | instskip(NEXT) | instid1(VALU_DEP_4)
	v_add_f64 v[6:7], v[10:11], v[6:7]
	v_add_f64 v[8:9], v[12:13], v[8:9]
	s_delay_alu instid0(VALU_DEP_2) | instskip(NEXT) | instid1(VALU_DEP_2)
	v_add_f64 v[2:3], v[6:7], v[2:3]
	v_add_f64 v[4:5], v[8:9], v[4:5]
	s_delay_alu instid0(VALU_DEP_2) | instskip(NEXT) | instid1(VALU_DEP_2)
	v_add_f64 v[2:3], v[42:43], -v[2:3]
	v_add_f64 v[4:5], v[44:45], -v[4:5]
	scratch_store_b128 off, v[2:5], off offset:304
	v_cmpx_lt_u32_e32 18, v148
	s_cbranch_execz .LBB114_283
; %bb.282:
	scratch_load_b128 v[5:8], v181, off
	v_mov_b32_e32 v2, v1
	v_mov_b32_e32 v3, v1
	;; [unrolled: 1-line block ×3, first 2 shown]
	scratch_store_b128 off, v[1:4], off offset:288
	s_waitcnt vmcnt(0)
	ds_store_b128 v199, v[5:8]
.LBB114_283:
	s_or_b32 exec_lo, exec_lo, s2
	s_waitcnt lgkmcnt(0)
	s_waitcnt_vscnt null, 0x0
	s_barrier
	buffer_gl0_inv
	s_clause 0x8
	scratch_load_b128 v[2:5], off, off offset:304
	scratch_load_b128 v[6:9], off, off offset:320
	;; [unrolled: 1-line block ×9, first 2 shown]
	ds_load_b128 v[42:45], v1 offset:1120
	ds_load_b128 v[38:41], v1 offset:1136
	s_clause 0x1
	scratch_load_b128 v[157:160], off, off offset:288
	scratch_load_b128 v[161:164], off, off offset:448
	s_mov_b32 s2, exec_lo
	s_waitcnt vmcnt(10) lgkmcnt(1)
	v_mul_f64 v[165:166], v[44:45], v[4:5]
	v_mul_f64 v[4:5], v[42:43], v[4:5]
	s_waitcnt vmcnt(9) lgkmcnt(0)
	v_mul_f64 v[212:213], v[38:39], v[8:9]
	v_mul_f64 v[8:9], v[40:41], v[8:9]
	s_delay_alu instid0(VALU_DEP_4) | instskip(NEXT) | instid1(VALU_DEP_4)
	v_fma_f64 v[214:215], v[42:43], v[2:3], -v[165:166]
	v_fma_f64 v[216:217], v[44:45], v[2:3], v[4:5]
	ds_load_b128 v[2:5], v1 offset:1152
	ds_load_b128 v[165:168], v1 offset:1168
	scratch_load_b128 v[42:45], off, off offset:464
	v_fma_f64 v[40:41], v[40:41], v[6:7], v[212:213]
	v_fma_f64 v[38:39], v[38:39], v[6:7], -v[8:9]
	scratch_load_b128 v[6:9], off, off offset:480
	s_waitcnt vmcnt(10) lgkmcnt(1)
	v_mul_f64 v[218:219], v[2:3], v[12:13]
	v_mul_f64 v[12:13], v[4:5], v[12:13]
	v_add_f64 v[212:213], v[214:215], 0
	v_add_f64 v[214:215], v[216:217], 0
	s_waitcnt vmcnt(9) lgkmcnt(0)
	v_mul_f64 v[216:217], v[165:166], v[16:17]
	v_mul_f64 v[16:17], v[167:168], v[16:17]
	v_fma_f64 v[218:219], v[4:5], v[10:11], v[218:219]
	v_fma_f64 v[220:221], v[2:3], v[10:11], -v[12:13]
	ds_load_b128 v[2:5], v1 offset:1184
	scratch_load_b128 v[10:13], off, off offset:496
	v_add_f64 v[212:213], v[212:213], v[38:39]
	v_add_f64 v[214:215], v[214:215], v[40:41]
	ds_load_b128 v[38:41], v1 offset:1200
	v_fma_f64 v[167:168], v[167:168], v[14:15], v[216:217]
	v_fma_f64 v[165:166], v[165:166], v[14:15], -v[16:17]
	scratch_load_b128 v[14:17], off, off offset:512
	s_waitcnt vmcnt(10) lgkmcnt(1)
	v_mul_f64 v[222:223], v[2:3], v[20:21]
	v_mul_f64 v[20:21], v[4:5], v[20:21]
	s_waitcnt vmcnt(9) lgkmcnt(0)
	v_mul_f64 v[216:217], v[38:39], v[24:25]
	v_mul_f64 v[24:25], v[40:41], v[24:25]
	v_add_f64 v[212:213], v[212:213], v[220:221]
	v_add_f64 v[214:215], v[214:215], v[218:219]
	v_fma_f64 v[218:219], v[4:5], v[18:19], v[222:223]
	v_fma_f64 v[220:221], v[2:3], v[18:19], -v[20:21]
	ds_load_b128 v[2:5], v1 offset:1216
	scratch_load_b128 v[18:21], off, off offset:528
	v_fma_f64 v[40:41], v[40:41], v[22:23], v[216:217]
	v_fma_f64 v[38:39], v[38:39], v[22:23], -v[24:25]
	scratch_load_b128 v[22:25], off, off offset:544
	v_add_f64 v[212:213], v[212:213], v[165:166]
	v_add_f64 v[214:215], v[214:215], v[167:168]
	ds_load_b128 v[165:168], v1 offset:1232
	s_waitcnt vmcnt(10) lgkmcnt(1)
	v_mul_f64 v[222:223], v[2:3], v[28:29]
	v_mul_f64 v[28:29], v[4:5], v[28:29]
	s_waitcnt vmcnt(9) lgkmcnt(0)
	v_mul_f64 v[216:217], v[165:166], v[32:33]
	v_mul_f64 v[32:33], v[167:168], v[32:33]
	v_add_f64 v[212:213], v[212:213], v[220:221]
	v_add_f64 v[214:215], v[214:215], v[218:219]
	v_fma_f64 v[218:219], v[4:5], v[26:27], v[222:223]
	v_fma_f64 v[220:221], v[2:3], v[26:27], -v[28:29]
	ds_load_b128 v[2:5], v1 offset:1248
	scratch_load_b128 v[26:29], off, off offset:560
	v_fma_f64 v[167:168], v[167:168], v[30:31], v[216:217]
	v_fma_f64 v[165:166], v[165:166], v[30:31], -v[32:33]
	scratch_load_b128 v[30:33], off, off offset:576
	v_add_f64 v[212:213], v[212:213], v[38:39]
	v_add_f64 v[214:215], v[214:215], v[40:41]
	ds_load_b128 v[38:41], v1 offset:1264
	s_waitcnt vmcnt(10) lgkmcnt(1)
	v_mul_f64 v[222:223], v[2:3], v[36:37]
	v_mul_f64 v[36:37], v[4:5], v[36:37]
	s_waitcnt vmcnt(8) lgkmcnt(0)
	v_mul_f64 v[216:217], v[38:39], v[163:164]
	v_add_f64 v[212:213], v[212:213], v[220:221]
	v_add_f64 v[214:215], v[214:215], v[218:219]
	v_mul_f64 v[218:219], v[40:41], v[163:164]
	v_fma_f64 v[220:221], v[4:5], v[34:35], v[222:223]
	v_fma_f64 v[222:223], v[2:3], v[34:35], -v[36:37]
	ds_load_b128 v[2:5], v1 offset:1280
	scratch_load_b128 v[34:37], off, off offset:592
	v_fma_f64 v[216:217], v[40:41], v[161:162], v[216:217]
	v_add_f64 v[212:213], v[212:213], v[165:166]
	v_add_f64 v[167:168], v[214:215], v[167:168]
	ds_load_b128 v[163:166], v1 offset:1296
	v_fma_f64 v[161:162], v[38:39], v[161:162], -v[218:219]
	scratch_load_b128 v[38:41], off, off offset:608
	s_waitcnt vmcnt(9) lgkmcnt(1)
	v_mul_f64 v[214:215], v[2:3], v[44:45]
	v_mul_f64 v[44:45], v[4:5], v[44:45]
	s_waitcnt vmcnt(8) lgkmcnt(0)
	v_mul_f64 v[218:219], v[163:164], v[8:9]
	v_mul_f64 v[8:9], v[165:166], v[8:9]
	v_add_f64 v[212:213], v[212:213], v[222:223]
	v_add_f64 v[167:168], v[167:168], v[220:221]
	v_fma_f64 v[220:221], v[4:5], v[42:43], v[214:215]
	v_fma_f64 v[222:223], v[2:3], v[42:43], -v[44:45]
	ds_load_b128 v[2:5], v1 offset:1312
	scratch_load_b128 v[42:45], off, off offset:624
	v_fma_f64 v[165:166], v[165:166], v[6:7], v[218:219]
	v_fma_f64 v[163:164], v[163:164], v[6:7], -v[8:9]
	scratch_load_b128 v[6:9], off, off offset:640
	v_add_f64 v[161:162], v[212:213], v[161:162]
	v_add_f64 v[167:168], v[167:168], v[216:217]
	ds_load_b128 v[212:215], v1 offset:1328
	s_waitcnt vmcnt(9) lgkmcnt(1)
	v_mul_f64 v[216:217], v[2:3], v[12:13]
	v_mul_f64 v[12:13], v[4:5], v[12:13]
	s_waitcnt vmcnt(8) lgkmcnt(0)
	v_mul_f64 v[218:219], v[212:213], v[16:17]
	v_mul_f64 v[16:17], v[214:215], v[16:17]
	v_add_f64 v[161:162], v[161:162], v[222:223]
	v_add_f64 v[167:168], v[167:168], v[220:221]
	v_fma_f64 v[216:217], v[4:5], v[10:11], v[216:217]
	v_fma_f64 v[220:221], v[2:3], v[10:11], -v[12:13]
	ds_load_b128 v[2:5], v1 offset:1344
	scratch_load_b128 v[10:13], off, off offset:656
	v_fma_f64 v[214:215], v[214:215], v[14:15], v[218:219]
	v_fma_f64 v[212:213], v[212:213], v[14:15], -v[16:17]
	scratch_load_b128 v[14:17], off, off offset:672
	v_add_f64 v[222:223], v[161:162], v[163:164]
	v_add_f64 v[165:166], v[167:168], v[165:166]
	ds_load_b128 v[161:164], v1 offset:1360
	s_waitcnt vmcnt(9) lgkmcnt(1)
	v_mul_f64 v[167:168], v[2:3], v[20:21]
	v_mul_f64 v[20:21], v[4:5], v[20:21]
	v_add_f64 v[218:219], v[222:223], v[220:221]
	v_add_f64 v[165:166], v[165:166], v[216:217]
	s_waitcnt vmcnt(8) lgkmcnt(0)
	v_mul_f64 v[216:217], v[161:162], v[24:25]
	v_mul_f64 v[24:25], v[163:164], v[24:25]
	v_fma_f64 v[220:221], v[4:5], v[18:19], v[167:168]
	v_fma_f64 v[222:223], v[2:3], v[18:19], -v[20:21]
	ds_load_b128 v[2:5], v1 offset:1376
	scratch_load_b128 v[18:21], off, off offset:688
	v_add_f64 v[212:213], v[218:219], v[212:213]
	v_add_f64 v[214:215], v[165:166], v[214:215]
	ds_load_b128 v[165:168], v1 offset:1392
	s_waitcnt vmcnt(8) lgkmcnt(1)
	v_mul_f64 v[218:219], v[2:3], v[28:29]
	v_mul_f64 v[28:29], v[4:5], v[28:29]
	v_fma_f64 v[163:164], v[163:164], v[22:23], v[216:217]
	v_fma_f64 v[161:162], v[161:162], v[22:23], -v[24:25]
	scratch_load_b128 v[22:25], off, off offset:704
	s_waitcnt vmcnt(8) lgkmcnt(0)
	v_mul_f64 v[216:217], v[165:166], v[32:33]
	v_mul_f64 v[32:33], v[167:168], v[32:33]
	v_add_f64 v[212:213], v[212:213], v[222:223]
	v_add_f64 v[214:215], v[214:215], v[220:221]
	v_fma_f64 v[218:219], v[4:5], v[26:27], v[218:219]
	v_fma_f64 v[220:221], v[2:3], v[26:27], -v[28:29]
	ds_load_b128 v[2:5], v1 offset:1408
	scratch_load_b128 v[26:29], off, off offset:720
	v_fma_f64 v[167:168], v[167:168], v[30:31], v[216:217]
	v_fma_f64 v[165:166], v[165:166], v[30:31], -v[32:33]
	scratch_load_b128 v[30:33], off, off offset:736
	v_add_f64 v[212:213], v[212:213], v[161:162]
	v_add_f64 v[214:215], v[214:215], v[163:164]
	ds_load_b128 v[161:164], v1 offset:1424
	s_waitcnt vmcnt(9) lgkmcnt(1)
	v_mul_f64 v[222:223], v[2:3], v[36:37]
	v_mul_f64 v[36:37], v[4:5], v[36:37]
	s_waitcnt vmcnt(8) lgkmcnt(0)
	v_mul_f64 v[216:217], v[161:162], v[40:41]
	v_mul_f64 v[40:41], v[163:164], v[40:41]
	v_add_f64 v[212:213], v[212:213], v[220:221]
	v_add_f64 v[214:215], v[214:215], v[218:219]
	v_fma_f64 v[218:219], v[4:5], v[34:35], v[222:223]
	v_fma_f64 v[220:221], v[2:3], v[34:35], -v[36:37]
	ds_load_b128 v[2:5], v1 offset:1440
	scratch_load_b128 v[34:37], off, off offset:752
	v_fma_f64 v[163:164], v[163:164], v[38:39], v[216:217]
	v_fma_f64 v[161:162], v[161:162], v[38:39], -v[40:41]
	scratch_load_b128 v[38:41], off, off offset:768
	v_add_f64 v[212:213], v[212:213], v[165:166]
	v_add_f64 v[214:215], v[214:215], v[167:168]
	ds_load_b128 v[165:168], v1 offset:1456
	s_waitcnt vmcnt(9) lgkmcnt(1)
	v_mul_f64 v[222:223], v[2:3], v[44:45]
	v_mul_f64 v[44:45], v[4:5], v[44:45]
	;; [unrolled: 18-line block ×3, first 2 shown]
	s_waitcnt vmcnt(8) lgkmcnt(0)
	v_mul_f64 v[216:217], v[161:162], v[16:17]
	v_mul_f64 v[16:17], v[163:164], v[16:17]
	v_add_f64 v[212:213], v[212:213], v[220:221]
	v_add_f64 v[214:215], v[214:215], v[218:219]
	v_fma_f64 v[218:219], v[4:5], v[10:11], v[222:223]
	v_fma_f64 v[220:221], v[2:3], v[10:11], -v[12:13]
	ds_load_b128 v[2:5], v1 offset:1504
	ds_load_b128 v[10:13], v1 offset:1520
	v_fma_f64 v[163:164], v[163:164], v[14:15], v[216:217]
	v_fma_f64 v[14:15], v[161:162], v[14:15], -v[16:17]
	v_add_f64 v[165:166], v[212:213], v[165:166]
	v_add_f64 v[167:168], v[214:215], v[167:168]
	s_waitcnt vmcnt(7) lgkmcnt(1)
	v_mul_f64 v[212:213], v[2:3], v[20:21]
	v_mul_f64 v[20:21], v[4:5], v[20:21]
	s_delay_alu instid0(VALU_DEP_4) | instskip(NEXT) | instid1(VALU_DEP_4)
	v_add_f64 v[16:17], v[165:166], v[220:221]
	v_add_f64 v[161:162], v[167:168], v[218:219]
	s_waitcnt vmcnt(6) lgkmcnt(0)
	v_mul_f64 v[165:166], v[10:11], v[24:25]
	v_mul_f64 v[24:25], v[12:13], v[24:25]
	v_fma_f64 v[167:168], v[4:5], v[18:19], v[212:213]
	v_fma_f64 v[18:19], v[2:3], v[18:19], -v[20:21]
	v_add_f64 v[20:21], v[16:17], v[14:15]
	v_add_f64 v[161:162], v[161:162], v[163:164]
	ds_load_b128 v[2:5], v1 offset:1536
	ds_load_b128 v[14:17], v1 offset:1552
	v_fma_f64 v[12:13], v[12:13], v[22:23], v[165:166]
	v_fma_f64 v[10:11], v[10:11], v[22:23], -v[24:25]
	s_waitcnt vmcnt(5) lgkmcnt(1)
	v_mul_f64 v[163:164], v[2:3], v[28:29]
	v_mul_f64 v[28:29], v[4:5], v[28:29]
	s_waitcnt vmcnt(4) lgkmcnt(0)
	v_mul_f64 v[22:23], v[14:15], v[32:33]
	v_mul_f64 v[24:25], v[16:17], v[32:33]
	v_add_f64 v[18:19], v[20:21], v[18:19]
	v_add_f64 v[20:21], v[161:162], v[167:168]
	v_fma_f64 v[32:33], v[4:5], v[26:27], v[163:164]
	v_fma_f64 v[26:27], v[2:3], v[26:27], -v[28:29]
	v_fma_f64 v[16:17], v[16:17], v[30:31], v[22:23]
	v_fma_f64 v[14:15], v[14:15], v[30:31], -v[24:25]
	v_add_f64 v[18:19], v[18:19], v[10:11]
	v_add_f64 v[20:21], v[20:21], v[12:13]
	ds_load_b128 v[2:5], v1 offset:1568
	ds_load_b128 v[10:13], v1 offset:1584
	s_waitcnt vmcnt(3) lgkmcnt(1)
	v_mul_f64 v[28:29], v[2:3], v[36:37]
	v_mul_f64 v[36:37], v[4:5], v[36:37]
	s_waitcnt vmcnt(2) lgkmcnt(0)
	v_mul_f64 v[22:23], v[10:11], v[40:41]
	v_mul_f64 v[24:25], v[12:13], v[40:41]
	v_add_f64 v[18:19], v[18:19], v[26:27]
	v_add_f64 v[20:21], v[20:21], v[32:33]
	v_fma_f64 v[26:27], v[4:5], v[34:35], v[28:29]
	v_fma_f64 v[28:29], v[2:3], v[34:35], -v[36:37]
	v_fma_f64 v[12:13], v[12:13], v[38:39], v[22:23]
	v_fma_f64 v[10:11], v[10:11], v[38:39], -v[24:25]
	v_add_f64 v[18:19], v[18:19], v[14:15]
	v_add_f64 v[20:21], v[20:21], v[16:17]
	ds_load_b128 v[2:5], v1 offset:1600
	ds_load_b128 v[14:17], v1 offset:1616
	s_waitcnt vmcnt(1) lgkmcnt(1)
	v_mul_f64 v[30:31], v[2:3], v[44:45]
	v_mul_f64 v[32:33], v[4:5], v[44:45]
	s_waitcnt vmcnt(0) lgkmcnt(0)
	v_mul_f64 v[22:23], v[14:15], v[8:9]
	v_mul_f64 v[8:9], v[16:17], v[8:9]
	v_add_f64 v[18:19], v[18:19], v[28:29]
	v_add_f64 v[20:21], v[20:21], v[26:27]
	v_fma_f64 v[4:5], v[4:5], v[42:43], v[30:31]
	v_fma_f64 v[1:2], v[2:3], v[42:43], -v[32:33]
	v_fma_f64 v[16:17], v[16:17], v[6:7], v[22:23]
	v_fma_f64 v[6:7], v[14:15], v[6:7], -v[8:9]
	v_add_f64 v[10:11], v[18:19], v[10:11]
	v_add_f64 v[12:13], v[20:21], v[12:13]
	s_delay_alu instid0(VALU_DEP_2) | instskip(NEXT) | instid1(VALU_DEP_2)
	v_add_f64 v[1:2], v[10:11], v[1:2]
	v_add_f64 v[3:4], v[12:13], v[4:5]
	s_delay_alu instid0(VALU_DEP_2) | instskip(NEXT) | instid1(VALU_DEP_2)
	v_add_f64 v[1:2], v[1:2], v[6:7]
	v_add_f64 v[3:4], v[3:4], v[16:17]
	s_delay_alu instid0(VALU_DEP_2) | instskip(NEXT) | instid1(VALU_DEP_2)
	v_add_f64 v[1:2], v[157:158], -v[1:2]
	v_add_f64 v[3:4], v[159:160], -v[3:4]
	scratch_store_b128 off, v[1:4], off offset:288
	v_cmpx_lt_u32_e32 17, v148
	s_cbranch_execz .LBB114_285
; %bb.284:
	scratch_load_b128 v[1:4], v182, off
	v_mov_b32_e32 v5, 0
	s_delay_alu instid0(VALU_DEP_1)
	v_mov_b32_e32 v6, v5
	v_mov_b32_e32 v7, v5
	;; [unrolled: 1-line block ×3, first 2 shown]
	scratch_store_b128 off, v[5:8], off offset:272
	s_waitcnt vmcnt(0)
	ds_store_b128 v199, v[1:4]
.LBB114_285:
	s_or_b32 exec_lo, exec_lo, s2
	s_waitcnt lgkmcnt(0)
	s_waitcnt_vscnt null, 0x0
	s_barrier
	buffer_gl0_inv
	s_clause 0x7
	scratch_load_b128 v[2:5], off, off offset:288
	scratch_load_b128 v[6:9], off, off offset:304
	;; [unrolled: 1-line block ×8, first 2 shown]
	v_mov_b32_e32 v1, 0
	s_mov_b32 s2, exec_lo
	ds_load_b128 v[38:41], v1 offset:1104
	s_clause 0x1
	scratch_load_b128 v[34:37], off, off offset:416
	scratch_load_b128 v[42:45], off, off offset:272
	ds_load_b128 v[157:160], v1 offset:1120
	scratch_load_b128 v[161:164], off, off offset:432
	s_waitcnt vmcnt(10) lgkmcnt(1)
	v_mul_f64 v[165:166], v[40:41], v[4:5]
	v_mul_f64 v[4:5], v[38:39], v[4:5]
	s_delay_alu instid0(VALU_DEP_2) | instskip(NEXT) | instid1(VALU_DEP_2)
	v_fma_f64 v[214:215], v[38:39], v[2:3], -v[165:166]
	v_fma_f64 v[216:217], v[40:41], v[2:3], v[4:5]
	scratch_load_b128 v[38:41], off, off offset:448
	ds_load_b128 v[2:5], v1 offset:1136
	s_waitcnt vmcnt(10) lgkmcnt(1)
	v_mul_f64 v[212:213], v[157:158], v[8:9]
	v_mul_f64 v[8:9], v[159:160], v[8:9]
	ds_load_b128 v[165:168], v1 offset:1152
	s_waitcnt vmcnt(9) lgkmcnt(1)
	v_mul_f64 v[218:219], v[2:3], v[12:13]
	v_mul_f64 v[12:13], v[4:5], v[12:13]
	v_fma_f64 v[159:160], v[159:160], v[6:7], v[212:213]
	v_fma_f64 v[157:158], v[157:158], v[6:7], -v[8:9]
	v_add_f64 v[212:213], v[214:215], 0
	v_add_f64 v[214:215], v[216:217], 0
	scratch_load_b128 v[6:9], off, off offset:464
	v_fma_f64 v[218:219], v[4:5], v[10:11], v[218:219]
	v_fma_f64 v[220:221], v[2:3], v[10:11], -v[12:13]
	scratch_load_b128 v[10:13], off, off offset:480
	ds_load_b128 v[2:5], v1 offset:1168
	s_waitcnt vmcnt(10) lgkmcnt(1)
	v_mul_f64 v[216:217], v[165:166], v[16:17]
	v_mul_f64 v[16:17], v[167:168], v[16:17]
	v_add_f64 v[212:213], v[212:213], v[157:158]
	v_add_f64 v[214:215], v[214:215], v[159:160]
	s_waitcnt vmcnt(9) lgkmcnt(0)
	v_mul_f64 v[222:223], v[2:3], v[20:21]
	v_mul_f64 v[20:21], v[4:5], v[20:21]
	ds_load_b128 v[157:160], v1 offset:1184
	v_fma_f64 v[167:168], v[167:168], v[14:15], v[216:217]
	v_fma_f64 v[165:166], v[165:166], v[14:15], -v[16:17]
	scratch_load_b128 v[14:17], off, off offset:496
	v_add_f64 v[212:213], v[212:213], v[220:221]
	v_add_f64 v[214:215], v[214:215], v[218:219]
	v_fma_f64 v[218:219], v[4:5], v[18:19], v[222:223]
	v_fma_f64 v[220:221], v[2:3], v[18:19], -v[20:21]
	scratch_load_b128 v[18:21], off, off offset:512
	ds_load_b128 v[2:5], v1 offset:1200
	s_waitcnt vmcnt(10) lgkmcnt(1)
	v_mul_f64 v[216:217], v[157:158], v[24:25]
	v_mul_f64 v[24:25], v[159:160], v[24:25]
	s_waitcnt vmcnt(9) lgkmcnt(0)
	v_mul_f64 v[222:223], v[2:3], v[28:29]
	v_mul_f64 v[28:29], v[4:5], v[28:29]
	v_add_f64 v[212:213], v[212:213], v[165:166]
	v_add_f64 v[214:215], v[214:215], v[167:168]
	ds_load_b128 v[165:168], v1 offset:1216
	v_fma_f64 v[159:160], v[159:160], v[22:23], v[216:217]
	v_fma_f64 v[157:158], v[157:158], v[22:23], -v[24:25]
	scratch_load_b128 v[22:25], off, off offset:528
	v_add_f64 v[212:213], v[212:213], v[220:221]
	v_add_f64 v[214:215], v[214:215], v[218:219]
	v_fma_f64 v[218:219], v[4:5], v[26:27], v[222:223]
	v_fma_f64 v[220:221], v[2:3], v[26:27], -v[28:29]
	scratch_load_b128 v[26:29], off, off offset:544
	ds_load_b128 v[2:5], v1 offset:1232
	s_waitcnt vmcnt(10) lgkmcnt(1)
	v_mul_f64 v[216:217], v[165:166], v[32:33]
	v_mul_f64 v[32:33], v[167:168], v[32:33]
	s_waitcnt vmcnt(9) lgkmcnt(0)
	v_mul_f64 v[222:223], v[2:3], v[36:37]
	v_mul_f64 v[36:37], v[4:5], v[36:37]
	v_add_f64 v[212:213], v[212:213], v[157:158]
	v_add_f64 v[214:215], v[214:215], v[159:160]
	ds_load_b128 v[157:160], v1 offset:1248
	v_fma_f64 v[167:168], v[167:168], v[30:31], v[216:217]
	v_fma_f64 v[165:166], v[165:166], v[30:31], -v[32:33]
	scratch_load_b128 v[30:33], off, off offset:560
	v_add_f64 v[212:213], v[212:213], v[220:221]
	v_add_f64 v[214:215], v[214:215], v[218:219]
	v_fma_f64 v[220:221], v[4:5], v[34:35], v[222:223]
	v_fma_f64 v[222:223], v[2:3], v[34:35], -v[36:37]
	scratch_load_b128 v[34:37], off, off offset:576
	ds_load_b128 v[2:5], v1 offset:1264
	s_waitcnt vmcnt(9) lgkmcnt(1)
	v_mul_f64 v[216:217], v[157:158], v[163:164]
	v_mul_f64 v[218:219], v[159:160], v[163:164]
	v_add_f64 v[212:213], v[212:213], v[165:166]
	v_add_f64 v[167:168], v[214:215], v[167:168]
	ds_load_b128 v[163:166], v1 offset:1280
	v_fma_f64 v[216:217], v[159:160], v[161:162], v[216:217]
	v_fma_f64 v[161:162], v[157:158], v[161:162], -v[218:219]
	scratch_load_b128 v[157:160], off, off offset:592
	s_waitcnt vmcnt(9) lgkmcnt(1)
	v_mul_f64 v[214:215], v[2:3], v[40:41]
	v_mul_f64 v[40:41], v[4:5], v[40:41]
	v_add_f64 v[212:213], v[212:213], v[222:223]
	v_add_f64 v[167:168], v[167:168], v[220:221]
	s_delay_alu instid0(VALU_DEP_4) | instskip(NEXT) | instid1(VALU_DEP_4)
	v_fma_f64 v[220:221], v[4:5], v[38:39], v[214:215]
	v_fma_f64 v[222:223], v[2:3], v[38:39], -v[40:41]
	scratch_load_b128 v[38:41], off, off offset:608
	ds_load_b128 v[2:5], v1 offset:1296
	s_waitcnt vmcnt(9) lgkmcnt(1)
	v_mul_f64 v[218:219], v[163:164], v[8:9]
	v_mul_f64 v[8:9], v[165:166], v[8:9]
	v_add_f64 v[161:162], v[212:213], v[161:162]
	v_add_f64 v[167:168], v[167:168], v[216:217]
	s_waitcnt vmcnt(8) lgkmcnt(0)
	v_mul_f64 v[216:217], v[2:3], v[12:13]
	v_mul_f64 v[12:13], v[4:5], v[12:13]
	ds_load_b128 v[212:215], v1 offset:1312
	v_fma_f64 v[165:166], v[165:166], v[6:7], v[218:219]
	v_fma_f64 v[163:164], v[163:164], v[6:7], -v[8:9]
	scratch_load_b128 v[6:9], off, off offset:624
	v_add_f64 v[161:162], v[161:162], v[222:223]
	v_add_f64 v[167:168], v[167:168], v[220:221]
	v_fma_f64 v[216:217], v[4:5], v[10:11], v[216:217]
	v_fma_f64 v[220:221], v[2:3], v[10:11], -v[12:13]
	scratch_load_b128 v[10:13], off, off offset:640
	ds_load_b128 v[2:5], v1 offset:1328
	s_waitcnt vmcnt(9) lgkmcnt(1)
	v_mul_f64 v[218:219], v[212:213], v[16:17]
	v_mul_f64 v[16:17], v[214:215], v[16:17]
	v_add_f64 v[222:223], v[161:162], v[163:164]
	v_add_f64 v[165:166], v[167:168], v[165:166]
	s_waitcnt vmcnt(8) lgkmcnt(0)
	v_mul_f64 v[167:168], v[2:3], v[20:21]
	v_mul_f64 v[20:21], v[4:5], v[20:21]
	ds_load_b128 v[161:164], v1 offset:1344
	v_fma_f64 v[214:215], v[214:215], v[14:15], v[218:219]
	v_fma_f64 v[212:213], v[212:213], v[14:15], -v[16:17]
	scratch_load_b128 v[14:17], off, off offset:656
	v_add_f64 v[218:219], v[222:223], v[220:221]
	v_add_f64 v[165:166], v[165:166], v[216:217]
	;; [unrolled: 18-line block ×3, first 2 shown]
	v_fma_f64 v[218:219], v[4:5], v[26:27], v[218:219]
	v_fma_f64 v[220:221], v[2:3], v[26:27], -v[28:29]
	scratch_load_b128 v[26:29], off, off offset:704
	ds_load_b128 v[2:5], v1 offset:1392
	s_waitcnt vmcnt(9) lgkmcnt(1)
	v_mul_f64 v[216:217], v[165:166], v[32:33]
	v_mul_f64 v[32:33], v[167:168], v[32:33]
	s_waitcnt vmcnt(8) lgkmcnt(0)
	v_mul_f64 v[222:223], v[2:3], v[36:37]
	v_mul_f64 v[36:37], v[4:5], v[36:37]
	v_add_f64 v[212:213], v[212:213], v[161:162]
	v_add_f64 v[214:215], v[214:215], v[163:164]
	ds_load_b128 v[161:164], v1 offset:1408
	v_fma_f64 v[167:168], v[167:168], v[30:31], v[216:217]
	v_fma_f64 v[165:166], v[165:166], v[30:31], -v[32:33]
	scratch_load_b128 v[30:33], off, off offset:720
	v_add_f64 v[212:213], v[212:213], v[220:221]
	v_add_f64 v[214:215], v[214:215], v[218:219]
	v_fma_f64 v[218:219], v[4:5], v[34:35], v[222:223]
	v_fma_f64 v[220:221], v[2:3], v[34:35], -v[36:37]
	scratch_load_b128 v[34:37], off, off offset:736
	ds_load_b128 v[2:5], v1 offset:1424
	s_waitcnt vmcnt(9) lgkmcnt(1)
	v_mul_f64 v[216:217], v[161:162], v[159:160]
	v_mul_f64 v[159:160], v[163:164], v[159:160]
	s_waitcnt vmcnt(8) lgkmcnt(0)
	v_mul_f64 v[222:223], v[2:3], v[40:41]
	v_mul_f64 v[40:41], v[4:5], v[40:41]
	v_add_f64 v[212:213], v[212:213], v[165:166]
	v_add_f64 v[214:215], v[214:215], v[167:168]
	ds_load_b128 v[165:168], v1 offset:1440
	v_fma_f64 v[163:164], v[163:164], v[157:158], v[216:217]
	v_fma_f64 v[161:162], v[161:162], v[157:158], -v[159:160]
	scratch_load_b128 v[157:160], off, off offset:752
	v_add_f64 v[212:213], v[212:213], v[220:221]
	v_add_f64 v[214:215], v[214:215], v[218:219]
	;; [unrolled: 18-line block ×3, first 2 shown]
	v_fma_f64 v[218:219], v[4:5], v[10:11], v[222:223]
	v_fma_f64 v[220:221], v[2:3], v[10:11], -v[12:13]
	scratch_load_b128 v[10:13], off, off offset:800
	ds_load_b128 v[2:5], v1 offset:1488
	s_waitcnt vmcnt(9) lgkmcnt(1)
	v_mul_f64 v[216:217], v[161:162], v[16:17]
	v_mul_f64 v[16:17], v[163:164], v[16:17]
	s_waitcnt vmcnt(8) lgkmcnt(0)
	v_mul_f64 v[222:223], v[2:3], v[20:21]
	v_mul_f64 v[20:21], v[4:5], v[20:21]
	v_add_f64 v[212:213], v[212:213], v[165:166]
	v_add_f64 v[214:215], v[214:215], v[167:168]
	ds_load_b128 v[165:168], v1 offset:1504
	v_fma_f64 v[163:164], v[163:164], v[14:15], v[216:217]
	v_fma_f64 v[14:15], v[161:162], v[14:15], -v[16:17]
	v_add_f64 v[16:17], v[212:213], v[220:221]
	v_add_f64 v[161:162], v[214:215], v[218:219]
	s_waitcnt vmcnt(7) lgkmcnt(0)
	v_mul_f64 v[212:213], v[165:166], v[24:25]
	v_mul_f64 v[24:25], v[167:168], v[24:25]
	v_fma_f64 v[214:215], v[4:5], v[18:19], v[222:223]
	v_fma_f64 v[18:19], v[2:3], v[18:19], -v[20:21]
	v_add_f64 v[20:21], v[16:17], v[14:15]
	v_add_f64 v[161:162], v[161:162], v[163:164]
	ds_load_b128 v[2:5], v1 offset:1520
	ds_load_b128 v[14:17], v1 offset:1536
	v_fma_f64 v[167:168], v[167:168], v[22:23], v[212:213]
	v_fma_f64 v[22:23], v[165:166], v[22:23], -v[24:25]
	s_waitcnt vmcnt(6) lgkmcnt(1)
	v_mul_f64 v[163:164], v[2:3], v[28:29]
	v_mul_f64 v[28:29], v[4:5], v[28:29]
	s_waitcnt vmcnt(5) lgkmcnt(0)
	v_mul_f64 v[24:25], v[14:15], v[32:33]
	v_mul_f64 v[32:33], v[16:17], v[32:33]
	v_add_f64 v[18:19], v[20:21], v[18:19]
	v_add_f64 v[20:21], v[161:162], v[214:215]
	v_fma_f64 v[161:162], v[4:5], v[26:27], v[163:164]
	v_fma_f64 v[26:27], v[2:3], v[26:27], -v[28:29]
	v_fma_f64 v[16:17], v[16:17], v[30:31], v[24:25]
	v_fma_f64 v[14:15], v[14:15], v[30:31], -v[32:33]
	v_add_f64 v[22:23], v[18:19], v[22:23]
	v_add_f64 v[28:29], v[20:21], v[167:168]
	ds_load_b128 v[2:5], v1 offset:1552
	ds_load_b128 v[18:21], v1 offset:1568
	s_waitcnt vmcnt(4) lgkmcnt(1)
	v_mul_f64 v[163:164], v[2:3], v[36:37]
	v_mul_f64 v[36:37], v[4:5], v[36:37]
	v_add_f64 v[22:23], v[22:23], v[26:27]
	v_add_f64 v[24:25], v[28:29], v[161:162]
	s_waitcnt vmcnt(3) lgkmcnt(0)
	v_mul_f64 v[26:27], v[18:19], v[159:160]
	v_mul_f64 v[28:29], v[20:21], v[159:160]
	v_fma_f64 v[30:31], v[4:5], v[34:35], v[163:164]
	v_fma_f64 v[32:33], v[2:3], v[34:35], -v[36:37]
	v_add_f64 v[22:23], v[22:23], v[14:15]
	v_add_f64 v[24:25], v[24:25], v[16:17]
	ds_load_b128 v[2:5], v1 offset:1584
	ds_load_b128 v[14:17], v1 offset:1600
	v_fma_f64 v[20:21], v[20:21], v[157:158], v[26:27]
	v_fma_f64 v[18:19], v[18:19], v[157:158], -v[28:29]
	s_waitcnt vmcnt(2) lgkmcnt(1)
	v_mul_f64 v[34:35], v[2:3], v[40:41]
	v_mul_f64 v[36:37], v[4:5], v[40:41]
	s_waitcnt vmcnt(1) lgkmcnt(0)
	v_mul_f64 v[26:27], v[14:15], v[8:9]
	v_mul_f64 v[8:9], v[16:17], v[8:9]
	v_add_f64 v[22:23], v[22:23], v[32:33]
	v_add_f64 v[24:25], v[24:25], v[30:31]
	v_fma_f64 v[28:29], v[4:5], v[38:39], v[34:35]
	v_fma_f64 v[30:31], v[2:3], v[38:39], -v[36:37]
	ds_load_b128 v[2:5], v1 offset:1616
	v_fma_f64 v[16:17], v[16:17], v[6:7], v[26:27]
	v_fma_f64 v[6:7], v[14:15], v[6:7], -v[8:9]
	v_add_f64 v[18:19], v[22:23], v[18:19]
	v_add_f64 v[20:21], v[24:25], v[20:21]
	s_waitcnt vmcnt(0) lgkmcnt(0)
	v_mul_f64 v[22:23], v[2:3], v[12:13]
	v_mul_f64 v[12:13], v[4:5], v[12:13]
	s_delay_alu instid0(VALU_DEP_4) | instskip(NEXT) | instid1(VALU_DEP_4)
	v_add_f64 v[8:9], v[18:19], v[30:31]
	v_add_f64 v[14:15], v[20:21], v[28:29]
	s_delay_alu instid0(VALU_DEP_4) | instskip(NEXT) | instid1(VALU_DEP_4)
	v_fma_f64 v[4:5], v[4:5], v[10:11], v[22:23]
	v_fma_f64 v[2:3], v[2:3], v[10:11], -v[12:13]
	s_delay_alu instid0(VALU_DEP_4) | instskip(NEXT) | instid1(VALU_DEP_4)
	v_add_f64 v[6:7], v[8:9], v[6:7]
	v_add_f64 v[8:9], v[14:15], v[16:17]
	s_delay_alu instid0(VALU_DEP_2) | instskip(NEXT) | instid1(VALU_DEP_2)
	v_add_f64 v[2:3], v[6:7], v[2:3]
	v_add_f64 v[4:5], v[8:9], v[4:5]
	s_delay_alu instid0(VALU_DEP_2) | instskip(NEXT) | instid1(VALU_DEP_2)
	v_add_f64 v[2:3], v[42:43], -v[2:3]
	v_add_f64 v[4:5], v[44:45], -v[4:5]
	scratch_store_b128 off, v[2:5], off offset:272
	v_cmpx_lt_u32_e32 16, v148
	s_cbranch_execz .LBB114_287
; %bb.286:
	scratch_load_b128 v[5:8], v183, off
	v_mov_b32_e32 v2, v1
	v_mov_b32_e32 v3, v1
	;; [unrolled: 1-line block ×3, first 2 shown]
	scratch_store_b128 off, v[1:4], off offset:256
	s_waitcnt vmcnt(0)
	ds_store_b128 v199, v[5:8]
.LBB114_287:
	s_or_b32 exec_lo, exec_lo, s2
	s_waitcnt lgkmcnt(0)
	s_waitcnt_vscnt null, 0x0
	s_barrier
	buffer_gl0_inv
	s_clause 0x8
	scratch_load_b128 v[2:5], off, off offset:272
	scratch_load_b128 v[6:9], off, off offset:288
	;; [unrolled: 1-line block ×9, first 2 shown]
	ds_load_b128 v[42:45], v1 offset:1088
	ds_load_b128 v[38:41], v1 offset:1104
	s_clause 0x1
	scratch_load_b128 v[157:160], off, off offset:256
	scratch_load_b128 v[161:164], off, off offset:416
	s_mov_b32 s2, exec_lo
	s_waitcnt vmcnt(10) lgkmcnt(1)
	v_mul_f64 v[165:166], v[44:45], v[4:5]
	v_mul_f64 v[4:5], v[42:43], v[4:5]
	s_waitcnt vmcnt(9) lgkmcnt(0)
	v_mul_f64 v[212:213], v[38:39], v[8:9]
	v_mul_f64 v[8:9], v[40:41], v[8:9]
	s_delay_alu instid0(VALU_DEP_4) | instskip(NEXT) | instid1(VALU_DEP_4)
	v_fma_f64 v[214:215], v[42:43], v[2:3], -v[165:166]
	v_fma_f64 v[216:217], v[44:45], v[2:3], v[4:5]
	ds_load_b128 v[2:5], v1 offset:1120
	ds_load_b128 v[165:168], v1 offset:1136
	scratch_load_b128 v[42:45], off, off offset:432
	v_fma_f64 v[40:41], v[40:41], v[6:7], v[212:213]
	v_fma_f64 v[38:39], v[38:39], v[6:7], -v[8:9]
	scratch_load_b128 v[6:9], off, off offset:448
	s_waitcnt vmcnt(10) lgkmcnt(1)
	v_mul_f64 v[218:219], v[2:3], v[12:13]
	v_mul_f64 v[12:13], v[4:5], v[12:13]
	v_add_f64 v[212:213], v[214:215], 0
	v_add_f64 v[214:215], v[216:217], 0
	s_waitcnt vmcnt(9) lgkmcnt(0)
	v_mul_f64 v[216:217], v[165:166], v[16:17]
	v_mul_f64 v[16:17], v[167:168], v[16:17]
	v_fma_f64 v[218:219], v[4:5], v[10:11], v[218:219]
	v_fma_f64 v[220:221], v[2:3], v[10:11], -v[12:13]
	ds_load_b128 v[2:5], v1 offset:1152
	scratch_load_b128 v[10:13], off, off offset:464
	v_add_f64 v[212:213], v[212:213], v[38:39]
	v_add_f64 v[214:215], v[214:215], v[40:41]
	ds_load_b128 v[38:41], v1 offset:1168
	v_fma_f64 v[167:168], v[167:168], v[14:15], v[216:217]
	v_fma_f64 v[165:166], v[165:166], v[14:15], -v[16:17]
	scratch_load_b128 v[14:17], off, off offset:480
	s_waitcnt vmcnt(10) lgkmcnt(1)
	v_mul_f64 v[222:223], v[2:3], v[20:21]
	v_mul_f64 v[20:21], v[4:5], v[20:21]
	s_waitcnt vmcnt(9) lgkmcnt(0)
	v_mul_f64 v[216:217], v[38:39], v[24:25]
	v_mul_f64 v[24:25], v[40:41], v[24:25]
	v_add_f64 v[212:213], v[212:213], v[220:221]
	v_add_f64 v[214:215], v[214:215], v[218:219]
	v_fma_f64 v[218:219], v[4:5], v[18:19], v[222:223]
	v_fma_f64 v[220:221], v[2:3], v[18:19], -v[20:21]
	ds_load_b128 v[2:5], v1 offset:1184
	scratch_load_b128 v[18:21], off, off offset:496
	v_fma_f64 v[40:41], v[40:41], v[22:23], v[216:217]
	v_fma_f64 v[38:39], v[38:39], v[22:23], -v[24:25]
	scratch_load_b128 v[22:25], off, off offset:512
	v_add_f64 v[212:213], v[212:213], v[165:166]
	v_add_f64 v[214:215], v[214:215], v[167:168]
	ds_load_b128 v[165:168], v1 offset:1200
	s_waitcnt vmcnt(10) lgkmcnt(1)
	v_mul_f64 v[222:223], v[2:3], v[28:29]
	v_mul_f64 v[28:29], v[4:5], v[28:29]
	s_waitcnt vmcnt(9) lgkmcnt(0)
	v_mul_f64 v[216:217], v[165:166], v[32:33]
	v_mul_f64 v[32:33], v[167:168], v[32:33]
	v_add_f64 v[212:213], v[212:213], v[220:221]
	v_add_f64 v[214:215], v[214:215], v[218:219]
	v_fma_f64 v[218:219], v[4:5], v[26:27], v[222:223]
	v_fma_f64 v[220:221], v[2:3], v[26:27], -v[28:29]
	ds_load_b128 v[2:5], v1 offset:1216
	scratch_load_b128 v[26:29], off, off offset:528
	v_fma_f64 v[167:168], v[167:168], v[30:31], v[216:217]
	v_fma_f64 v[165:166], v[165:166], v[30:31], -v[32:33]
	scratch_load_b128 v[30:33], off, off offset:544
	v_add_f64 v[212:213], v[212:213], v[38:39]
	v_add_f64 v[214:215], v[214:215], v[40:41]
	ds_load_b128 v[38:41], v1 offset:1232
	s_waitcnt vmcnt(10) lgkmcnt(1)
	v_mul_f64 v[222:223], v[2:3], v[36:37]
	v_mul_f64 v[36:37], v[4:5], v[36:37]
	s_waitcnt vmcnt(8) lgkmcnt(0)
	v_mul_f64 v[216:217], v[38:39], v[163:164]
	v_add_f64 v[212:213], v[212:213], v[220:221]
	v_add_f64 v[214:215], v[214:215], v[218:219]
	v_mul_f64 v[218:219], v[40:41], v[163:164]
	v_fma_f64 v[220:221], v[4:5], v[34:35], v[222:223]
	v_fma_f64 v[222:223], v[2:3], v[34:35], -v[36:37]
	ds_load_b128 v[2:5], v1 offset:1248
	scratch_load_b128 v[34:37], off, off offset:560
	v_fma_f64 v[216:217], v[40:41], v[161:162], v[216:217]
	v_add_f64 v[212:213], v[212:213], v[165:166]
	v_add_f64 v[167:168], v[214:215], v[167:168]
	ds_load_b128 v[163:166], v1 offset:1264
	v_fma_f64 v[161:162], v[38:39], v[161:162], -v[218:219]
	scratch_load_b128 v[38:41], off, off offset:576
	s_waitcnt vmcnt(9) lgkmcnt(1)
	v_mul_f64 v[214:215], v[2:3], v[44:45]
	v_mul_f64 v[44:45], v[4:5], v[44:45]
	s_waitcnt vmcnt(8) lgkmcnt(0)
	v_mul_f64 v[218:219], v[163:164], v[8:9]
	v_mul_f64 v[8:9], v[165:166], v[8:9]
	v_add_f64 v[212:213], v[212:213], v[222:223]
	v_add_f64 v[167:168], v[167:168], v[220:221]
	v_fma_f64 v[220:221], v[4:5], v[42:43], v[214:215]
	v_fma_f64 v[222:223], v[2:3], v[42:43], -v[44:45]
	ds_load_b128 v[2:5], v1 offset:1280
	scratch_load_b128 v[42:45], off, off offset:592
	v_fma_f64 v[165:166], v[165:166], v[6:7], v[218:219]
	v_fma_f64 v[163:164], v[163:164], v[6:7], -v[8:9]
	scratch_load_b128 v[6:9], off, off offset:608
	v_add_f64 v[161:162], v[212:213], v[161:162]
	v_add_f64 v[167:168], v[167:168], v[216:217]
	ds_load_b128 v[212:215], v1 offset:1296
	s_waitcnt vmcnt(9) lgkmcnt(1)
	v_mul_f64 v[216:217], v[2:3], v[12:13]
	v_mul_f64 v[12:13], v[4:5], v[12:13]
	s_waitcnt vmcnt(8) lgkmcnt(0)
	v_mul_f64 v[218:219], v[212:213], v[16:17]
	v_mul_f64 v[16:17], v[214:215], v[16:17]
	v_add_f64 v[161:162], v[161:162], v[222:223]
	v_add_f64 v[167:168], v[167:168], v[220:221]
	v_fma_f64 v[216:217], v[4:5], v[10:11], v[216:217]
	v_fma_f64 v[220:221], v[2:3], v[10:11], -v[12:13]
	ds_load_b128 v[2:5], v1 offset:1312
	scratch_load_b128 v[10:13], off, off offset:624
	v_fma_f64 v[214:215], v[214:215], v[14:15], v[218:219]
	v_fma_f64 v[212:213], v[212:213], v[14:15], -v[16:17]
	scratch_load_b128 v[14:17], off, off offset:640
	v_add_f64 v[222:223], v[161:162], v[163:164]
	v_add_f64 v[165:166], v[167:168], v[165:166]
	ds_load_b128 v[161:164], v1 offset:1328
	s_waitcnt vmcnt(9) lgkmcnt(1)
	v_mul_f64 v[167:168], v[2:3], v[20:21]
	v_mul_f64 v[20:21], v[4:5], v[20:21]
	v_add_f64 v[218:219], v[222:223], v[220:221]
	v_add_f64 v[165:166], v[165:166], v[216:217]
	s_waitcnt vmcnt(8) lgkmcnt(0)
	v_mul_f64 v[216:217], v[161:162], v[24:25]
	v_mul_f64 v[24:25], v[163:164], v[24:25]
	v_fma_f64 v[220:221], v[4:5], v[18:19], v[167:168]
	v_fma_f64 v[222:223], v[2:3], v[18:19], -v[20:21]
	ds_load_b128 v[2:5], v1 offset:1344
	scratch_load_b128 v[18:21], off, off offset:656
	v_add_f64 v[212:213], v[218:219], v[212:213]
	v_add_f64 v[214:215], v[165:166], v[214:215]
	ds_load_b128 v[165:168], v1 offset:1360
	s_waitcnt vmcnt(8) lgkmcnt(1)
	v_mul_f64 v[218:219], v[2:3], v[28:29]
	v_mul_f64 v[28:29], v[4:5], v[28:29]
	v_fma_f64 v[163:164], v[163:164], v[22:23], v[216:217]
	v_fma_f64 v[161:162], v[161:162], v[22:23], -v[24:25]
	scratch_load_b128 v[22:25], off, off offset:672
	s_waitcnt vmcnt(8) lgkmcnt(0)
	v_mul_f64 v[216:217], v[165:166], v[32:33]
	v_mul_f64 v[32:33], v[167:168], v[32:33]
	v_add_f64 v[212:213], v[212:213], v[222:223]
	v_add_f64 v[214:215], v[214:215], v[220:221]
	v_fma_f64 v[218:219], v[4:5], v[26:27], v[218:219]
	v_fma_f64 v[220:221], v[2:3], v[26:27], -v[28:29]
	ds_load_b128 v[2:5], v1 offset:1376
	scratch_load_b128 v[26:29], off, off offset:688
	v_fma_f64 v[167:168], v[167:168], v[30:31], v[216:217]
	v_fma_f64 v[165:166], v[165:166], v[30:31], -v[32:33]
	scratch_load_b128 v[30:33], off, off offset:704
	v_add_f64 v[212:213], v[212:213], v[161:162]
	v_add_f64 v[214:215], v[214:215], v[163:164]
	ds_load_b128 v[161:164], v1 offset:1392
	s_waitcnt vmcnt(9) lgkmcnt(1)
	v_mul_f64 v[222:223], v[2:3], v[36:37]
	v_mul_f64 v[36:37], v[4:5], v[36:37]
	s_waitcnt vmcnt(8) lgkmcnt(0)
	v_mul_f64 v[216:217], v[161:162], v[40:41]
	v_mul_f64 v[40:41], v[163:164], v[40:41]
	v_add_f64 v[212:213], v[212:213], v[220:221]
	v_add_f64 v[214:215], v[214:215], v[218:219]
	v_fma_f64 v[218:219], v[4:5], v[34:35], v[222:223]
	v_fma_f64 v[220:221], v[2:3], v[34:35], -v[36:37]
	ds_load_b128 v[2:5], v1 offset:1408
	scratch_load_b128 v[34:37], off, off offset:720
	v_fma_f64 v[163:164], v[163:164], v[38:39], v[216:217]
	v_fma_f64 v[161:162], v[161:162], v[38:39], -v[40:41]
	scratch_load_b128 v[38:41], off, off offset:736
	v_add_f64 v[212:213], v[212:213], v[165:166]
	v_add_f64 v[214:215], v[214:215], v[167:168]
	ds_load_b128 v[165:168], v1 offset:1424
	s_waitcnt vmcnt(9) lgkmcnt(1)
	v_mul_f64 v[222:223], v[2:3], v[44:45]
	v_mul_f64 v[44:45], v[4:5], v[44:45]
	;; [unrolled: 18-line block ×4, first 2 shown]
	s_waitcnt vmcnt(8) lgkmcnt(0)
	v_mul_f64 v[216:217], v[165:166], v[24:25]
	v_mul_f64 v[24:25], v[167:168], v[24:25]
	v_add_f64 v[212:213], v[212:213], v[220:221]
	v_add_f64 v[214:215], v[214:215], v[218:219]
	v_fma_f64 v[218:219], v[4:5], v[18:19], v[222:223]
	v_fma_f64 v[220:221], v[2:3], v[18:19], -v[20:21]
	ds_load_b128 v[2:5], v1 offset:1504
	ds_load_b128 v[18:21], v1 offset:1520
	v_fma_f64 v[167:168], v[167:168], v[22:23], v[216:217]
	v_fma_f64 v[22:23], v[165:166], v[22:23], -v[24:25]
	v_add_f64 v[161:162], v[212:213], v[161:162]
	v_add_f64 v[163:164], v[214:215], v[163:164]
	s_waitcnt vmcnt(7) lgkmcnt(1)
	v_mul_f64 v[212:213], v[2:3], v[28:29]
	v_mul_f64 v[28:29], v[4:5], v[28:29]
	s_delay_alu instid0(VALU_DEP_4) | instskip(NEXT) | instid1(VALU_DEP_4)
	v_add_f64 v[24:25], v[161:162], v[220:221]
	v_add_f64 v[161:162], v[163:164], v[218:219]
	s_waitcnt vmcnt(6) lgkmcnt(0)
	v_mul_f64 v[163:164], v[18:19], v[32:33]
	v_mul_f64 v[32:33], v[20:21], v[32:33]
	v_fma_f64 v[165:166], v[4:5], v[26:27], v[212:213]
	v_fma_f64 v[26:27], v[2:3], v[26:27], -v[28:29]
	v_add_f64 v[28:29], v[24:25], v[22:23]
	v_add_f64 v[161:162], v[161:162], v[167:168]
	ds_load_b128 v[2:5], v1 offset:1536
	ds_load_b128 v[22:25], v1 offset:1552
	v_fma_f64 v[20:21], v[20:21], v[30:31], v[163:164]
	v_fma_f64 v[18:19], v[18:19], v[30:31], -v[32:33]
	s_waitcnt vmcnt(5) lgkmcnt(1)
	v_mul_f64 v[167:168], v[2:3], v[36:37]
	v_mul_f64 v[36:37], v[4:5], v[36:37]
	s_waitcnt vmcnt(4) lgkmcnt(0)
	v_mul_f64 v[30:31], v[22:23], v[40:41]
	v_mul_f64 v[32:33], v[24:25], v[40:41]
	v_add_f64 v[26:27], v[28:29], v[26:27]
	v_add_f64 v[28:29], v[161:162], v[165:166]
	v_fma_f64 v[40:41], v[4:5], v[34:35], v[167:168]
	v_fma_f64 v[34:35], v[2:3], v[34:35], -v[36:37]
	v_fma_f64 v[24:25], v[24:25], v[38:39], v[30:31]
	v_fma_f64 v[22:23], v[22:23], v[38:39], -v[32:33]
	v_add_f64 v[26:27], v[26:27], v[18:19]
	v_add_f64 v[28:29], v[28:29], v[20:21]
	ds_load_b128 v[2:5], v1 offset:1568
	ds_load_b128 v[18:21], v1 offset:1584
	s_waitcnt vmcnt(3) lgkmcnt(1)
	v_mul_f64 v[36:37], v[2:3], v[44:45]
	v_mul_f64 v[44:45], v[4:5], v[44:45]
	s_waitcnt vmcnt(2) lgkmcnt(0)
	v_mul_f64 v[30:31], v[18:19], v[8:9]
	v_mul_f64 v[8:9], v[20:21], v[8:9]
	v_add_f64 v[26:27], v[26:27], v[34:35]
	v_add_f64 v[28:29], v[28:29], v[40:41]
	v_fma_f64 v[32:33], v[4:5], v[42:43], v[36:37]
	v_fma_f64 v[34:35], v[2:3], v[42:43], -v[44:45]
	v_fma_f64 v[20:21], v[20:21], v[6:7], v[30:31]
	v_fma_f64 v[6:7], v[18:19], v[6:7], -v[8:9]
	v_add_f64 v[26:27], v[26:27], v[22:23]
	v_add_f64 v[28:29], v[28:29], v[24:25]
	ds_load_b128 v[2:5], v1 offset:1600
	ds_load_b128 v[22:25], v1 offset:1616
	s_waitcnt vmcnt(1) lgkmcnt(1)
	v_mul_f64 v[36:37], v[2:3], v[12:13]
	v_mul_f64 v[12:13], v[4:5], v[12:13]
	v_add_f64 v[8:9], v[26:27], v[34:35]
	v_add_f64 v[18:19], v[28:29], v[32:33]
	s_waitcnt vmcnt(0) lgkmcnt(0)
	v_mul_f64 v[26:27], v[22:23], v[16:17]
	v_mul_f64 v[16:17], v[24:25], v[16:17]
	v_fma_f64 v[4:5], v[4:5], v[10:11], v[36:37]
	v_fma_f64 v[1:2], v[2:3], v[10:11], -v[12:13]
	v_add_f64 v[6:7], v[8:9], v[6:7]
	v_add_f64 v[8:9], v[18:19], v[20:21]
	v_fma_f64 v[10:11], v[24:25], v[14:15], v[26:27]
	v_fma_f64 v[12:13], v[22:23], v[14:15], -v[16:17]
	s_delay_alu instid0(VALU_DEP_4) | instskip(NEXT) | instid1(VALU_DEP_4)
	v_add_f64 v[1:2], v[6:7], v[1:2]
	v_add_f64 v[3:4], v[8:9], v[4:5]
	s_delay_alu instid0(VALU_DEP_2) | instskip(NEXT) | instid1(VALU_DEP_2)
	v_add_f64 v[1:2], v[1:2], v[12:13]
	v_add_f64 v[3:4], v[3:4], v[10:11]
	s_delay_alu instid0(VALU_DEP_2) | instskip(NEXT) | instid1(VALU_DEP_2)
	v_add_f64 v[1:2], v[157:158], -v[1:2]
	v_add_f64 v[3:4], v[159:160], -v[3:4]
	scratch_store_b128 off, v[1:4], off offset:256
	v_cmpx_lt_u32_e32 15, v148
	s_cbranch_execz .LBB114_289
; %bb.288:
	scratch_load_b128 v[1:4], v184, off
	v_mov_b32_e32 v5, 0
	s_delay_alu instid0(VALU_DEP_1)
	v_mov_b32_e32 v6, v5
	v_mov_b32_e32 v7, v5
	;; [unrolled: 1-line block ×3, first 2 shown]
	scratch_store_b128 off, v[5:8], off offset:240
	s_waitcnt vmcnt(0)
	ds_store_b128 v199, v[1:4]
.LBB114_289:
	s_or_b32 exec_lo, exec_lo, s2
	s_waitcnt lgkmcnt(0)
	s_waitcnt_vscnt null, 0x0
	s_barrier
	buffer_gl0_inv
	s_clause 0x7
	scratch_load_b128 v[2:5], off, off offset:256
	scratch_load_b128 v[6:9], off, off offset:272
	;; [unrolled: 1-line block ×8, first 2 shown]
	v_mov_b32_e32 v1, 0
	s_mov_b32 s2, exec_lo
	ds_load_b128 v[38:41], v1 offset:1072
	s_clause 0x1
	scratch_load_b128 v[34:37], off, off offset:384
	scratch_load_b128 v[42:45], off, off offset:240
	ds_load_b128 v[157:160], v1 offset:1088
	scratch_load_b128 v[161:164], off, off offset:400
	s_waitcnt vmcnt(10) lgkmcnt(1)
	v_mul_f64 v[165:166], v[40:41], v[4:5]
	v_mul_f64 v[4:5], v[38:39], v[4:5]
	s_delay_alu instid0(VALU_DEP_2) | instskip(NEXT) | instid1(VALU_DEP_2)
	v_fma_f64 v[214:215], v[38:39], v[2:3], -v[165:166]
	v_fma_f64 v[216:217], v[40:41], v[2:3], v[4:5]
	scratch_load_b128 v[38:41], off, off offset:416
	ds_load_b128 v[2:5], v1 offset:1104
	s_waitcnt vmcnt(10) lgkmcnt(1)
	v_mul_f64 v[212:213], v[157:158], v[8:9]
	v_mul_f64 v[8:9], v[159:160], v[8:9]
	ds_load_b128 v[165:168], v1 offset:1120
	s_waitcnt vmcnt(9) lgkmcnt(1)
	v_mul_f64 v[218:219], v[2:3], v[12:13]
	v_mul_f64 v[12:13], v[4:5], v[12:13]
	v_fma_f64 v[159:160], v[159:160], v[6:7], v[212:213]
	v_fma_f64 v[157:158], v[157:158], v[6:7], -v[8:9]
	v_add_f64 v[212:213], v[214:215], 0
	v_add_f64 v[214:215], v[216:217], 0
	scratch_load_b128 v[6:9], off, off offset:432
	v_fma_f64 v[218:219], v[4:5], v[10:11], v[218:219]
	v_fma_f64 v[220:221], v[2:3], v[10:11], -v[12:13]
	scratch_load_b128 v[10:13], off, off offset:448
	ds_load_b128 v[2:5], v1 offset:1136
	s_waitcnt vmcnt(10) lgkmcnt(1)
	v_mul_f64 v[216:217], v[165:166], v[16:17]
	v_mul_f64 v[16:17], v[167:168], v[16:17]
	v_add_f64 v[212:213], v[212:213], v[157:158]
	v_add_f64 v[214:215], v[214:215], v[159:160]
	s_waitcnt vmcnt(9) lgkmcnt(0)
	v_mul_f64 v[222:223], v[2:3], v[20:21]
	v_mul_f64 v[20:21], v[4:5], v[20:21]
	ds_load_b128 v[157:160], v1 offset:1152
	v_fma_f64 v[167:168], v[167:168], v[14:15], v[216:217]
	v_fma_f64 v[165:166], v[165:166], v[14:15], -v[16:17]
	scratch_load_b128 v[14:17], off, off offset:464
	v_add_f64 v[212:213], v[212:213], v[220:221]
	v_add_f64 v[214:215], v[214:215], v[218:219]
	v_fma_f64 v[218:219], v[4:5], v[18:19], v[222:223]
	v_fma_f64 v[220:221], v[2:3], v[18:19], -v[20:21]
	scratch_load_b128 v[18:21], off, off offset:480
	ds_load_b128 v[2:5], v1 offset:1168
	s_waitcnt vmcnt(10) lgkmcnt(1)
	v_mul_f64 v[216:217], v[157:158], v[24:25]
	v_mul_f64 v[24:25], v[159:160], v[24:25]
	s_waitcnt vmcnt(9) lgkmcnt(0)
	v_mul_f64 v[222:223], v[2:3], v[28:29]
	v_mul_f64 v[28:29], v[4:5], v[28:29]
	v_add_f64 v[212:213], v[212:213], v[165:166]
	v_add_f64 v[214:215], v[214:215], v[167:168]
	ds_load_b128 v[165:168], v1 offset:1184
	v_fma_f64 v[159:160], v[159:160], v[22:23], v[216:217]
	v_fma_f64 v[157:158], v[157:158], v[22:23], -v[24:25]
	scratch_load_b128 v[22:25], off, off offset:496
	v_add_f64 v[212:213], v[212:213], v[220:221]
	v_add_f64 v[214:215], v[214:215], v[218:219]
	v_fma_f64 v[218:219], v[4:5], v[26:27], v[222:223]
	v_fma_f64 v[220:221], v[2:3], v[26:27], -v[28:29]
	scratch_load_b128 v[26:29], off, off offset:512
	ds_load_b128 v[2:5], v1 offset:1200
	s_waitcnt vmcnt(10) lgkmcnt(1)
	v_mul_f64 v[216:217], v[165:166], v[32:33]
	v_mul_f64 v[32:33], v[167:168], v[32:33]
	s_waitcnt vmcnt(9) lgkmcnt(0)
	v_mul_f64 v[222:223], v[2:3], v[36:37]
	v_mul_f64 v[36:37], v[4:5], v[36:37]
	v_add_f64 v[212:213], v[212:213], v[157:158]
	v_add_f64 v[214:215], v[214:215], v[159:160]
	ds_load_b128 v[157:160], v1 offset:1216
	v_fma_f64 v[167:168], v[167:168], v[30:31], v[216:217]
	v_fma_f64 v[165:166], v[165:166], v[30:31], -v[32:33]
	scratch_load_b128 v[30:33], off, off offset:528
	v_add_f64 v[212:213], v[212:213], v[220:221]
	v_add_f64 v[214:215], v[214:215], v[218:219]
	v_fma_f64 v[220:221], v[4:5], v[34:35], v[222:223]
	v_fma_f64 v[222:223], v[2:3], v[34:35], -v[36:37]
	scratch_load_b128 v[34:37], off, off offset:544
	ds_load_b128 v[2:5], v1 offset:1232
	s_waitcnt vmcnt(9) lgkmcnt(1)
	v_mul_f64 v[216:217], v[157:158], v[163:164]
	v_mul_f64 v[218:219], v[159:160], v[163:164]
	v_add_f64 v[212:213], v[212:213], v[165:166]
	v_add_f64 v[167:168], v[214:215], v[167:168]
	ds_load_b128 v[163:166], v1 offset:1248
	v_fma_f64 v[216:217], v[159:160], v[161:162], v[216:217]
	v_fma_f64 v[161:162], v[157:158], v[161:162], -v[218:219]
	scratch_load_b128 v[157:160], off, off offset:560
	s_waitcnt vmcnt(9) lgkmcnt(1)
	v_mul_f64 v[214:215], v[2:3], v[40:41]
	v_mul_f64 v[40:41], v[4:5], v[40:41]
	v_add_f64 v[212:213], v[212:213], v[222:223]
	v_add_f64 v[167:168], v[167:168], v[220:221]
	s_delay_alu instid0(VALU_DEP_4) | instskip(NEXT) | instid1(VALU_DEP_4)
	v_fma_f64 v[220:221], v[4:5], v[38:39], v[214:215]
	v_fma_f64 v[222:223], v[2:3], v[38:39], -v[40:41]
	scratch_load_b128 v[38:41], off, off offset:576
	ds_load_b128 v[2:5], v1 offset:1264
	s_waitcnt vmcnt(9) lgkmcnt(1)
	v_mul_f64 v[218:219], v[163:164], v[8:9]
	v_mul_f64 v[8:9], v[165:166], v[8:9]
	v_add_f64 v[161:162], v[212:213], v[161:162]
	v_add_f64 v[167:168], v[167:168], v[216:217]
	s_waitcnt vmcnt(8) lgkmcnt(0)
	v_mul_f64 v[216:217], v[2:3], v[12:13]
	v_mul_f64 v[12:13], v[4:5], v[12:13]
	ds_load_b128 v[212:215], v1 offset:1280
	v_fma_f64 v[165:166], v[165:166], v[6:7], v[218:219]
	v_fma_f64 v[163:164], v[163:164], v[6:7], -v[8:9]
	scratch_load_b128 v[6:9], off, off offset:592
	v_add_f64 v[161:162], v[161:162], v[222:223]
	v_add_f64 v[167:168], v[167:168], v[220:221]
	v_fma_f64 v[216:217], v[4:5], v[10:11], v[216:217]
	v_fma_f64 v[220:221], v[2:3], v[10:11], -v[12:13]
	scratch_load_b128 v[10:13], off, off offset:608
	ds_load_b128 v[2:5], v1 offset:1296
	s_waitcnt vmcnt(9) lgkmcnt(1)
	v_mul_f64 v[218:219], v[212:213], v[16:17]
	v_mul_f64 v[16:17], v[214:215], v[16:17]
	v_add_f64 v[222:223], v[161:162], v[163:164]
	v_add_f64 v[165:166], v[167:168], v[165:166]
	s_waitcnt vmcnt(8) lgkmcnt(0)
	v_mul_f64 v[167:168], v[2:3], v[20:21]
	v_mul_f64 v[20:21], v[4:5], v[20:21]
	ds_load_b128 v[161:164], v1 offset:1312
	v_fma_f64 v[214:215], v[214:215], v[14:15], v[218:219]
	v_fma_f64 v[212:213], v[212:213], v[14:15], -v[16:17]
	scratch_load_b128 v[14:17], off, off offset:624
	v_add_f64 v[218:219], v[222:223], v[220:221]
	v_add_f64 v[165:166], v[165:166], v[216:217]
	;; [unrolled: 18-line block ×3, first 2 shown]
	v_fma_f64 v[218:219], v[4:5], v[26:27], v[218:219]
	v_fma_f64 v[220:221], v[2:3], v[26:27], -v[28:29]
	scratch_load_b128 v[26:29], off, off offset:672
	ds_load_b128 v[2:5], v1 offset:1360
	s_waitcnt vmcnt(9) lgkmcnt(1)
	v_mul_f64 v[216:217], v[165:166], v[32:33]
	v_mul_f64 v[32:33], v[167:168], v[32:33]
	s_waitcnt vmcnt(8) lgkmcnt(0)
	v_mul_f64 v[222:223], v[2:3], v[36:37]
	v_mul_f64 v[36:37], v[4:5], v[36:37]
	v_add_f64 v[212:213], v[212:213], v[161:162]
	v_add_f64 v[214:215], v[214:215], v[163:164]
	ds_load_b128 v[161:164], v1 offset:1376
	v_fma_f64 v[167:168], v[167:168], v[30:31], v[216:217]
	v_fma_f64 v[165:166], v[165:166], v[30:31], -v[32:33]
	scratch_load_b128 v[30:33], off, off offset:688
	v_add_f64 v[212:213], v[212:213], v[220:221]
	v_add_f64 v[214:215], v[214:215], v[218:219]
	v_fma_f64 v[218:219], v[4:5], v[34:35], v[222:223]
	v_fma_f64 v[220:221], v[2:3], v[34:35], -v[36:37]
	scratch_load_b128 v[34:37], off, off offset:704
	ds_load_b128 v[2:5], v1 offset:1392
	s_waitcnt vmcnt(9) lgkmcnt(1)
	v_mul_f64 v[216:217], v[161:162], v[159:160]
	v_mul_f64 v[159:160], v[163:164], v[159:160]
	s_waitcnt vmcnt(8) lgkmcnt(0)
	v_mul_f64 v[222:223], v[2:3], v[40:41]
	v_mul_f64 v[40:41], v[4:5], v[40:41]
	v_add_f64 v[212:213], v[212:213], v[165:166]
	v_add_f64 v[214:215], v[214:215], v[167:168]
	ds_load_b128 v[165:168], v1 offset:1408
	v_fma_f64 v[163:164], v[163:164], v[157:158], v[216:217]
	v_fma_f64 v[161:162], v[161:162], v[157:158], -v[159:160]
	scratch_load_b128 v[157:160], off, off offset:720
	v_add_f64 v[212:213], v[212:213], v[220:221]
	v_add_f64 v[214:215], v[214:215], v[218:219]
	;; [unrolled: 18-line block ×4, first 2 shown]
	v_fma_f64 v[218:219], v[4:5], v[18:19], v[222:223]
	v_fma_f64 v[220:221], v[2:3], v[18:19], -v[20:21]
	scratch_load_b128 v[18:21], off, off offset:800
	ds_load_b128 v[2:5], v1 offset:1488
	s_waitcnt vmcnt(9) lgkmcnt(1)
	v_mul_f64 v[216:217], v[165:166], v[24:25]
	v_mul_f64 v[24:25], v[167:168], v[24:25]
	s_waitcnt vmcnt(8) lgkmcnt(0)
	v_mul_f64 v[222:223], v[2:3], v[28:29]
	v_mul_f64 v[28:29], v[4:5], v[28:29]
	v_add_f64 v[212:213], v[212:213], v[161:162]
	v_add_f64 v[214:215], v[214:215], v[163:164]
	ds_load_b128 v[161:164], v1 offset:1504
	v_fma_f64 v[167:168], v[167:168], v[22:23], v[216:217]
	v_fma_f64 v[22:23], v[165:166], v[22:23], -v[24:25]
	v_add_f64 v[24:25], v[212:213], v[220:221]
	v_add_f64 v[165:166], v[214:215], v[218:219]
	s_waitcnt vmcnt(7) lgkmcnt(0)
	v_mul_f64 v[212:213], v[161:162], v[32:33]
	v_mul_f64 v[32:33], v[163:164], v[32:33]
	v_fma_f64 v[214:215], v[4:5], v[26:27], v[222:223]
	v_fma_f64 v[26:27], v[2:3], v[26:27], -v[28:29]
	v_add_f64 v[28:29], v[24:25], v[22:23]
	v_add_f64 v[165:166], v[165:166], v[167:168]
	ds_load_b128 v[2:5], v1 offset:1520
	ds_load_b128 v[22:25], v1 offset:1536
	v_fma_f64 v[163:164], v[163:164], v[30:31], v[212:213]
	v_fma_f64 v[30:31], v[161:162], v[30:31], -v[32:33]
	s_waitcnt vmcnt(6) lgkmcnt(1)
	v_mul_f64 v[167:168], v[2:3], v[36:37]
	v_mul_f64 v[36:37], v[4:5], v[36:37]
	s_waitcnt vmcnt(5) lgkmcnt(0)
	v_mul_f64 v[32:33], v[22:23], v[159:160]
	v_mul_f64 v[159:160], v[24:25], v[159:160]
	v_add_f64 v[26:27], v[28:29], v[26:27]
	v_add_f64 v[28:29], v[165:166], v[214:215]
	v_fma_f64 v[161:162], v[4:5], v[34:35], v[167:168]
	v_fma_f64 v[34:35], v[2:3], v[34:35], -v[36:37]
	v_fma_f64 v[24:25], v[24:25], v[157:158], v[32:33]
	v_fma_f64 v[22:23], v[22:23], v[157:158], -v[159:160]
	v_add_f64 v[30:31], v[26:27], v[30:31]
	v_add_f64 v[36:37], v[28:29], v[163:164]
	ds_load_b128 v[2:5], v1 offset:1552
	ds_load_b128 v[26:29], v1 offset:1568
	s_waitcnt vmcnt(4) lgkmcnt(1)
	v_mul_f64 v[163:164], v[2:3], v[40:41]
	v_mul_f64 v[40:41], v[4:5], v[40:41]
	v_add_f64 v[30:31], v[30:31], v[34:35]
	v_add_f64 v[32:33], v[36:37], v[161:162]
	s_waitcnt vmcnt(3) lgkmcnt(0)
	v_mul_f64 v[34:35], v[26:27], v[8:9]
	v_mul_f64 v[8:9], v[28:29], v[8:9]
	v_fma_f64 v[36:37], v[4:5], v[38:39], v[163:164]
	v_fma_f64 v[38:39], v[2:3], v[38:39], -v[40:41]
	v_add_f64 v[30:31], v[30:31], v[22:23]
	v_add_f64 v[32:33], v[32:33], v[24:25]
	ds_load_b128 v[2:5], v1 offset:1584
	ds_load_b128 v[22:25], v1 offset:1600
	v_fma_f64 v[28:29], v[28:29], v[6:7], v[34:35]
	v_fma_f64 v[6:7], v[26:27], v[6:7], -v[8:9]
	s_waitcnt vmcnt(2) lgkmcnt(1)
	v_mul_f64 v[40:41], v[2:3], v[12:13]
	v_mul_f64 v[12:13], v[4:5], v[12:13]
	v_add_f64 v[8:9], v[30:31], v[38:39]
	v_add_f64 v[26:27], v[32:33], v[36:37]
	s_waitcnt vmcnt(1) lgkmcnt(0)
	v_mul_f64 v[30:31], v[22:23], v[16:17]
	v_mul_f64 v[16:17], v[24:25], v[16:17]
	v_fma_f64 v[32:33], v[4:5], v[10:11], v[40:41]
	v_fma_f64 v[10:11], v[2:3], v[10:11], -v[12:13]
	ds_load_b128 v[2:5], v1 offset:1616
	v_add_f64 v[6:7], v[8:9], v[6:7]
	v_add_f64 v[8:9], v[26:27], v[28:29]
	v_fma_f64 v[24:25], v[24:25], v[14:15], v[30:31]
	v_fma_f64 v[14:15], v[22:23], v[14:15], -v[16:17]
	s_waitcnt vmcnt(0) lgkmcnt(0)
	v_mul_f64 v[12:13], v[2:3], v[20:21]
	v_mul_f64 v[20:21], v[4:5], v[20:21]
	v_add_f64 v[6:7], v[6:7], v[10:11]
	v_add_f64 v[8:9], v[8:9], v[32:33]
	s_delay_alu instid0(VALU_DEP_4) | instskip(NEXT) | instid1(VALU_DEP_4)
	v_fma_f64 v[4:5], v[4:5], v[18:19], v[12:13]
	v_fma_f64 v[2:3], v[2:3], v[18:19], -v[20:21]
	s_delay_alu instid0(VALU_DEP_4) | instskip(NEXT) | instid1(VALU_DEP_4)
	v_add_f64 v[6:7], v[6:7], v[14:15]
	v_add_f64 v[8:9], v[8:9], v[24:25]
	s_delay_alu instid0(VALU_DEP_2) | instskip(NEXT) | instid1(VALU_DEP_2)
	v_add_f64 v[2:3], v[6:7], v[2:3]
	v_add_f64 v[4:5], v[8:9], v[4:5]
	s_delay_alu instid0(VALU_DEP_2) | instskip(NEXT) | instid1(VALU_DEP_2)
	v_add_f64 v[2:3], v[42:43], -v[2:3]
	v_add_f64 v[4:5], v[44:45], -v[4:5]
	scratch_store_b128 off, v[2:5], off offset:240
	v_cmpx_lt_u32_e32 14, v148
	s_cbranch_execz .LBB114_291
; %bb.290:
	scratch_load_b128 v[5:8], v185, off
	v_mov_b32_e32 v2, v1
	v_mov_b32_e32 v3, v1
	;; [unrolled: 1-line block ×3, first 2 shown]
	scratch_store_b128 off, v[1:4], off offset:224
	s_waitcnt vmcnt(0)
	ds_store_b128 v199, v[5:8]
.LBB114_291:
	s_or_b32 exec_lo, exec_lo, s2
	s_waitcnt lgkmcnt(0)
	s_waitcnt_vscnt null, 0x0
	s_barrier
	buffer_gl0_inv
	s_clause 0x8
	scratch_load_b128 v[2:5], off, off offset:240
	scratch_load_b128 v[6:9], off, off offset:256
	;; [unrolled: 1-line block ×9, first 2 shown]
	ds_load_b128 v[42:45], v1 offset:1056
	ds_load_b128 v[38:41], v1 offset:1072
	s_clause 0x1
	scratch_load_b128 v[157:160], off, off offset:224
	scratch_load_b128 v[161:164], off, off offset:384
	s_mov_b32 s2, exec_lo
	s_waitcnt vmcnt(10) lgkmcnt(1)
	v_mul_f64 v[165:166], v[44:45], v[4:5]
	v_mul_f64 v[4:5], v[42:43], v[4:5]
	s_waitcnt vmcnt(9) lgkmcnt(0)
	v_mul_f64 v[212:213], v[38:39], v[8:9]
	v_mul_f64 v[8:9], v[40:41], v[8:9]
	s_delay_alu instid0(VALU_DEP_4) | instskip(NEXT) | instid1(VALU_DEP_4)
	v_fma_f64 v[214:215], v[42:43], v[2:3], -v[165:166]
	v_fma_f64 v[216:217], v[44:45], v[2:3], v[4:5]
	ds_load_b128 v[2:5], v1 offset:1088
	ds_load_b128 v[165:168], v1 offset:1104
	scratch_load_b128 v[42:45], off, off offset:400
	v_fma_f64 v[40:41], v[40:41], v[6:7], v[212:213]
	v_fma_f64 v[38:39], v[38:39], v[6:7], -v[8:9]
	scratch_load_b128 v[6:9], off, off offset:416
	s_waitcnt vmcnt(10) lgkmcnt(1)
	v_mul_f64 v[218:219], v[2:3], v[12:13]
	v_mul_f64 v[12:13], v[4:5], v[12:13]
	v_add_f64 v[212:213], v[214:215], 0
	v_add_f64 v[214:215], v[216:217], 0
	s_waitcnt vmcnt(9) lgkmcnt(0)
	v_mul_f64 v[216:217], v[165:166], v[16:17]
	v_mul_f64 v[16:17], v[167:168], v[16:17]
	v_fma_f64 v[218:219], v[4:5], v[10:11], v[218:219]
	v_fma_f64 v[220:221], v[2:3], v[10:11], -v[12:13]
	ds_load_b128 v[2:5], v1 offset:1120
	scratch_load_b128 v[10:13], off, off offset:432
	v_add_f64 v[212:213], v[212:213], v[38:39]
	v_add_f64 v[214:215], v[214:215], v[40:41]
	ds_load_b128 v[38:41], v1 offset:1136
	v_fma_f64 v[167:168], v[167:168], v[14:15], v[216:217]
	v_fma_f64 v[165:166], v[165:166], v[14:15], -v[16:17]
	scratch_load_b128 v[14:17], off, off offset:448
	s_waitcnt vmcnt(10) lgkmcnt(1)
	v_mul_f64 v[222:223], v[2:3], v[20:21]
	v_mul_f64 v[20:21], v[4:5], v[20:21]
	s_waitcnt vmcnt(9) lgkmcnt(0)
	v_mul_f64 v[216:217], v[38:39], v[24:25]
	v_mul_f64 v[24:25], v[40:41], v[24:25]
	v_add_f64 v[212:213], v[212:213], v[220:221]
	v_add_f64 v[214:215], v[214:215], v[218:219]
	v_fma_f64 v[218:219], v[4:5], v[18:19], v[222:223]
	v_fma_f64 v[220:221], v[2:3], v[18:19], -v[20:21]
	ds_load_b128 v[2:5], v1 offset:1152
	scratch_load_b128 v[18:21], off, off offset:464
	v_fma_f64 v[40:41], v[40:41], v[22:23], v[216:217]
	v_fma_f64 v[38:39], v[38:39], v[22:23], -v[24:25]
	scratch_load_b128 v[22:25], off, off offset:480
	v_add_f64 v[212:213], v[212:213], v[165:166]
	v_add_f64 v[214:215], v[214:215], v[167:168]
	ds_load_b128 v[165:168], v1 offset:1168
	s_waitcnt vmcnt(10) lgkmcnt(1)
	v_mul_f64 v[222:223], v[2:3], v[28:29]
	v_mul_f64 v[28:29], v[4:5], v[28:29]
	s_waitcnt vmcnt(9) lgkmcnt(0)
	v_mul_f64 v[216:217], v[165:166], v[32:33]
	v_mul_f64 v[32:33], v[167:168], v[32:33]
	v_add_f64 v[212:213], v[212:213], v[220:221]
	v_add_f64 v[214:215], v[214:215], v[218:219]
	v_fma_f64 v[218:219], v[4:5], v[26:27], v[222:223]
	v_fma_f64 v[220:221], v[2:3], v[26:27], -v[28:29]
	ds_load_b128 v[2:5], v1 offset:1184
	scratch_load_b128 v[26:29], off, off offset:496
	v_fma_f64 v[167:168], v[167:168], v[30:31], v[216:217]
	v_fma_f64 v[165:166], v[165:166], v[30:31], -v[32:33]
	scratch_load_b128 v[30:33], off, off offset:512
	v_add_f64 v[212:213], v[212:213], v[38:39]
	v_add_f64 v[214:215], v[214:215], v[40:41]
	ds_load_b128 v[38:41], v1 offset:1200
	s_waitcnt vmcnt(10) lgkmcnt(1)
	v_mul_f64 v[222:223], v[2:3], v[36:37]
	v_mul_f64 v[36:37], v[4:5], v[36:37]
	s_waitcnt vmcnt(8) lgkmcnt(0)
	v_mul_f64 v[216:217], v[38:39], v[163:164]
	v_add_f64 v[212:213], v[212:213], v[220:221]
	v_add_f64 v[214:215], v[214:215], v[218:219]
	v_mul_f64 v[218:219], v[40:41], v[163:164]
	v_fma_f64 v[220:221], v[4:5], v[34:35], v[222:223]
	v_fma_f64 v[222:223], v[2:3], v[34:35], -v[36:37]
	ds_load_b128 v[2:5], v1 offset:1216
	scratch_load_b128 v[34:37], off, off offset:528
	v_fma_f64 v[216:217], v[40:41], v[161:162], v[216:217]
	v_add_f64 v[212:213], v[212:213], v[165:166]
	v_add_f64 v[167:168], v[214:215], v[167:168]
	ds_load_b128 v[163:166], v1 offset:1232
	v_fma_f64 v[161:162], v[38:39], v[161:162], -v[218:219]
	scratch_load_b128 v[38:41], off, off offset:544
	s_waitcnt vmcnt(9) lgkmcnt(1)
	v_mul_f64 v[214:215], v[2:3], v[44:45]
	v_mul_f64 v[44:45], v[4:5], v[44:45]
	s_waitcnt vmcnt(8) lgkmcnt(0)
	v_mul_f64 v[218:219], v[163:164], v[8:9]
	v_mul_f64 v[8:9], v[165:166], v[8:9]
	v_add_f64 v[212:213], v[212:213], v[222:223]
	v_add_f64 v[167:168], v[167:168], v[220:221]
	v_fma_f64 v[220:221], v[4:5], v[42:43], v[214:215]
	v_fma_f64 v[222:223], v[2:3], v[42:43], -v[44:45]
	ds_load_b128 v[2:5], v1 offset:1248
	scratch_load_b128 v[42:45], off, off offset:560
	v_fma_f64 v[165:166], v[165:166], v[6:7], v[218:219]
	v_fma_f64 v[163:164], v[163:164], v[6:7], -v[8:9]
	scratch_load_b128 v[6:9], off, off offset:576
	v_add_f64 v[161:162], v[212:213], v[161:162]
	v_add_f64 v[167:168], v[167:168], v[216:217]
	ds_load_b128 v[212:215], v1 offset:1264
	s_waitcnt vmcnt(9) lgkmcnt(1)
	v_mul_f64 v[216:217], v[2:3], v[12:13]
	v_mul_f64 v[12:13], v[4:5], v[12:13]
	s_waitcnt vmcnt(8) lgkmcnt(0)
	v_mul_f64 v[218:219], v[212:213], v[16:17]
	v_mul_f64 v[16:17], v[214:215], v[16:17]
	v_add_f64 v[161:162], v[161:162], v[222:223]
	v_add_f64 v[167:168], v[167:168], v[220:221]
	v_fma_f64 v[216:217], v[4:5], v[10:11], v[216:217]
	v_fma_f64 v[220:221], v[2:3], v[10:11], -v[12:13]
	ds_load_b128 v[2:5], v1 offset:1280
	scratch_load_b128 v[10:13], off, off offset:592
	v_fma_f64 v[214:215], v[214:215], v[14:15], v[218:219]
	v_fma_f64 v[212:213], v[212:213], v[14:15], -v[16:17]
	scratch_load_b128 v[14:17], off, off offset:608
	v_add_f64 v[222:223], v[161:162], v[163:164]
	v_add_f64 v[165:166], v[167:168], v[165:166]
	ds_load_b128 v[161:164], v1 offset:1296
	s_waitcnt vmcnt(9) lgkmcnt(1)
	v_mul_f64 v[167:168], v[2:3], v[20:21]
	v_mul_f64 v[20:21], v[4:5], v[20:21]
	v_add_f64 v[218:219], v[222:223], v[220:221]
	v_add_f64 v[165:166], v[165:166], v[216:217]
	s_waitcnt vmcnt(8) lgkmcnt(0)
	v_mul_f64 v[216:217], v[161:162], v[24:25]
	v_mul_f64 v[24:25], v[163:164], v[24:25]
	v_fma_f64 v[220:221], v[4:5], v[18:19], v[167:168]
	v_fma_f64 v[222:223], v[2:3], v[18:19], -v[20:21]
	ds_load_b128 v[2:5], v1 offset:1312
	scratch_load_b128 v[18:21], off, off offset:624
	v_add_f64 v[212:213], v[218:219], v[212:213]
	v_add_f64 v[214:215], v[165:166], v[214:215]
	ds_load_b128 v[165:168], v1 offset:1328
	s_waitcnt vmcnt(8) lgkmcnt(1)
	v_mul_f64 v[218:219], v[2:3], v[28:29]
	v_mul_f64 v[28:29], v[4:5], v[28:29]
	v_fma_f64 v[163:164], v[163:164], v[22:23], v[216:217]
	v_fma_f64 v[161:162], v[161:162], v[22:23], -v[24:25]
	scratch_load_b128 v[22:25], off, off offset:640
	s_waitcnt vmcnt(8) lgkmcnt(0)
	v_mul_f64 v[216:217], v[165:166], v[32:33]
	v_mul_f64 v[32:33], v[167:168], v[32:33]
	v_add_f64 v[212:213], v[212:213], v[222:223]
	v_add_f64 v[214:215], v[214:215], v[220:221]
	v_fma_f64 v[218:219], v[4:5], v[26:27], v[218:219]
	v_fma_f64 v[220:221], v[2:3], v[26:27], -v[28:29]
	ds_load_b128 v[2:5], v1 offset:1344
	scratch_load_b128 v[26:29], off, off offset:656
	v_fma_f64 v[167:168], v[167:168], v[30:31], v[216:217]
	v_fma_f64 v[165:166], v[165:166], v[30:31], -v[32:33]
	scratch_load_b128 v[30:33], off, off offset:672
	v_add_f64 v[212:213], v[212:213], v[161:162]
	v_add_f64 v[214:215], v[214:215], v[163:164]
	ds_load_b128 v[161:164], v1 offset:1360
	s_waitcnt vmcnt(9) lgkmcnt(1)
	v_mul_f64 v[222:223], v[2:3], v[36:37]
	v_mul_f64 v[36:37], v[4:5], v[36:37]
	s_waitcnt vmcnt(8) lgkmcnt(0)
	v_mul_f64 v[216:217], v[161:162], v[40:41]
	v_mul_f64 v[40:41], v[163:164], v[40:41]
	v_add_f64 v[212:213], v[212:213], v[220:221]
	v_add_f64 v[214:215], v[214:215], v[218:219]
	v_fma_f64 v[218:219], v[4:5], v[34:35], v[222:223]
	v_fma_f64 v[220:221], v[2:3], v[34:35], -v[36:37]
	ds_load_b128 v[2:5], v1 offset:1376
	scratch_load_b128 v[34:37], off, off offset:688
	v_fma_f64 v[163:164], v[163:164], v[38:39], v[216:217]
	v_fma_f64 v[161:162], v[161:162], v[38:39], -v[40:41]
	scratch_load_b128 v[38:41], off, off offset:704
	v_add_f64 v[212:213], v[212:213], v[165:166]
	v_add_f64 v[214:215], v[214:215], v[167:168]
	ds_load_b128 v[165:168], v1 offset:1392
	s_waitcnt vmcnt(9) lgkmcnt(1)
	v_mul_f64 v[222:223], v[2:3], v[44:45]
	v_mul_f64 v[44:45], v[4:5], v[44:45]
	;; [unrolled: 18-line block ×5, first 2 shown]
	s_waitcnt vmcnt(8) lgkmcnt(0)
	v_mul_f64 v[216:217], v[161:162], v[32:33]
	v_mul_f64 v[32:33], v[163:164], v[32:33]
	v_add_f64 v[212:213], v[212:213], v[220:221]
	v_add_f64 v[214:215], v[214:215], v[218:219]
	v_fma_f64 v[218:219], v[4:5], v[26:27], v[222:223]
	v_fma_f64 v[220:221], v[2:3], v[26:27], -v[28:29]
	ds_load_b128 v[2:5], v1 offset:1504
	ds_load_b128 v[26:29], v1 offset:1520
	v_fma_f64 v[163:164], v[163:164], v[30:31], v[216:217]
	v_fma_f64 v[30:31], v[161:162], v[30:31], -v[32:33]
	v_add_f64 v[165:166], v[212:213], v[165:166]
	v_add_f64 v[167:168], v[214:215], v[167:168]
	s_waitcnt vmcnt(7) lgkmcnt(1)
	v_mul_f64 v[212:213], v[2:3], v[36:37]
	v_mul_f64 v[36:37], v[4:5], v[36:37]
	s_delay_alu instid0(VALU_DEP_4) | instskip(NEXT) | instid1(VALU_DEP_4)
	v_add_f64 v[32:33], v[165:166], v[220:221]
	v_add_f64 v[161:162], v[167:168], v[218:219]
	s_waitcnt vmcnt(6) lgkmcnt(0)
	v_mul_f64 v[165:166], v[26:27], v[40:41]
	v_mul_f64 v[40:41], v[28:29], v[40:41]
	v_fma_f64 v[167:168], v[4:5], v[34:35], v[212:213]
	v_fma_f64 v[34:35], v[2:3], v[34:35], -v[36:37]
	v_add_f64 v[36:37], v[32:33], v[30:31]
	v_add_f64 v[161:162], v[161:162], v[163:164]
	ds_load_b128 v[2:5], v1 offset:1536
	ds_load_b128 v[30:33], v1 offset:1552
	v_fma_f64 v[28:29], v[28:29], v[38:39], v[165:166]
	v_fma_f64 v[26:27], v[26:27], v[38:39], -v[40:41]
	s_waitcnt vmcnt(5) lgkmcnt(1)
	v_mul_f64 v[163:164], v[2:3], v[44:45]
	v_mul_f64 v[44:45], v[4:5], v[44:45]
	s_waitcnt vmcnt(4) lgkmcnt(0)
	v_mul_f64 v[38:39], v[30:31], v[8:9]
	v_mul_f64 v[8:9], v[32:33], v[8:9]
	v_add_f64 v[34:35], v[36:37], v[34:35]
	v_add_f64 v[36:37], v[161:162], v[167:168]
	v_fma_f64 v[40:41], v[4:5], v[42:43], v[163:164]
	v_fma_f64 v[42:43], v[2:3], v[42:43], -v[44:45]
	v_fma_f64 v[32:33], v[32:33], v[6:7], v[38:39]
	v_fma_f64 v[6:7], v[30:31], v[6:7], -v[8:9]
	v_add_f64 v[34:35], v[34:35], v[26:27]
	v_add_f64 v[36:37], v[36:37], v[28:29]
	ds_load_b128 v[2:5], v1 offset:1568
	ds_load_b128 v[26:29], v1 offset:1584
	s_waitcnt vmcnt(3) lgkmcnt(1)
	v_mul_f64 v[44:45], v[2:3], v[12:13]
	v_mul_f64 v[12:13], v[4:5], v[12:13]
	v_add_f64 v[8:9], v[34:35], v[42:43]
	v_add_f64 v[30:31], v[36:37], v[40:41]
	s_waitcnt vmcnt(2) lgkmcnt(0)
	v_mul_f64 v[34:35], v[26:27], v[16:17]
	v_mul_f64 v[16:17], v[28:29], v[16:17]
	v_fma_f64 v[36:37], v[4:5], v[10:11], v[44:45]
	v_fma_f64 v[10:11], v[2:3], v[10:11], -v[12:13]
	v_add_f64 v[12:13], v[8:9], v[6:7]
	v_add_f64 v[30:31], v[30:31], v[32:33]
	ds_load_b128 v[2:5], v1 offset:1600
	ds_load_b128 v[6:9], v1 offset:1616
	v_fma_f64 v[28:29], v[28:29], v[14:15], v[34:35]
	v_fma_f64 v[14:15], v[26:27], v[14:15], -v[16:17]
	s_waitcnt vmcnt(1) lgkmcnt(1)
	v_mul_f64 v[32:33], v[2:3], v[20:21]
	v_mul_f64 v[20:21], v[4:5], v[20:21]
	s_waitcnt vmcnt(0) lgkmcnt(0)
	v_mul_f64 v[16:17], v[6:7], v[24:25]
	v_mul_f64 v[24:25], v[8:9], v[24:25]
	v_add_f64 v[10:11], v[12:13], v[10:11]
	v_add_f64 v[12:13], v[30:31], v[36:37]
	v_fma_f64 v[4:5], v[4:5], v[18:19], v[32:33]
	v_fma_f64 v[1:2], v[2:3], v[18:19], -v[20:21]
	v_fma_f64 v[8:9], v[8:9], v[22:23], v[16:17]
	v_fma_f64 v[6:7], v[6:7], v[22:23], -v[24:25]
	v_add_f64 v[10:11], v[10:11], v[14:15]
	v_add_f64 v[12:13], v[12:13], v[28:29]
	s_delay_alu instid0(VALU_DEP_2) | instskip(NEXT) | instid1(VALU_DEP_2)
	v_add_f64 v[1:2], v[10:11], v[1:2]
	v_add_f64 v[3:4], v[12:13], v[4:5]
	s_delay_alu instid0(VALU_DEP_2) | instskip(NEXT) | instid1(VALU_DEP_2)
	;; [unrolled: 3-line block ×3, first 2 shown]
	v_add_f64 v[1:2], v[157:158], -v[1:2]
	v_add_f64 v[3:4], v[159:160], -v[3:4]
	scratch_store_b128 off, v[1:4], off offset:224
	v_cmpx_lt_u32_e32 13, v148
	s_cbranch_execz .LBB114_293
; %bb.292:
	scratch_load_b128 v[1:4], v186, off
	v_mov_b32_e32 v5, 0
	s_delay_alu instid0(VALU_DEP_1)
	v_mov_b32_e32 v6, v5
	v_mov_b32_e32 v7, v5
	;; [unrolled: 1-line block ×3, first 2 shown]
	scratch_store_b128 off, v[5:8], off offset:208
	s_waitcnt vmcnt(0)
	ds_store_b128 v199, v[1:4]
.LBB114_293:
	s_or_b32 exec_lo, exec_lo, s2
	s_waitcnt lgkmcnt(0)
	s_waitcnt_vscnt null, 0x0
	s_barrier
	buffer_gl0_inv
	s_clause 0x7
	scratch_load_b128 v[2:5], off, off offset:224
	scratch_load_b128 v[6:9], off, off offset:240
	;; [unrolled: 1-line block ×8, first 2 shown]
	v_mov_b32_e32 v1, 0
	s_mov_b32 s2, exec_lo
	ds_load_b128 v[38:41], v1 offset:1040
	s_clause 0x1
	scratch_load_b128 v[34:37], off, off offset:352
	scratch_load_b128 v[42:45], off, off offset:208
	ds_load_b128 v[157:160], v1 offset:1056
	scratch_load_b128 v[161:164], off, off offset:368
	s_waitcnt vmcnt(10) lgkmcnt(1)
	v_mul_f64 v[165:166], v[40:41], v[4:5]
	v_mul_f64 v[4:5], v[38:39], v[4:5]
	s_delay_alu instid0(VALU_DEP_2) | instskip(NEXT) | instid1(VALU_DEP_2)
	v_fma_f64 v[214:215], v[38:39], v[2:3], -v[165:166]
	v_fma_f64 v[216:217], v[40:41], v[2:3], v[4:5]
	scratch_load_b128 v[38:41], off, off offset:384
	ds_load_b128 v[2:5], v1 offset:1072
	s_waitcnt vmcnt(10) lgkmcnt(1)
	v_mul_f64 v[212:213], v[157:158], v[8:9]
	v_mul_f64 v[8:9], v[159:160], v[8:9]
	ds_load_b128 v[165:168], v1 offset:1088
	s_waitcnt vmcnt(9) lgkmcnt(1)
	v_mul_f64 v[218:219], v[2:3], v[12:13]
	v_mul_f64 v[12:13], v[4:5], v[12:13]
	v_fma_f64 v[159:160], v[159:160], v[6:7], v[212:213]
	v_fma_f64 v[157:158], v[157:158], v[6:7], -v[8:9]
	v_add_f64 v[212:213], v[214:215], 0
	v_add_f64 v[214:215], v[216:217], 0
	scratch_load_b128 v[6:9], off, off offset:400
	v_fma_f64 v[218:219], v[4:5], v[10:11], v[218:219]
	v_fma_f64 v[220:221], v[2:3], v[10:11], -v[12:13]
	scratch_load_b128 v[10:13], off, off offset:416
	ds_load_b128 v[2:5], v1 offset:1104
	s_waitcnt vmcnt(10) lgkmcnt(1)
	v_mul_f64 v[216:217], v[165:166], v[16:17]
	v_mul_f64 v[16:17], v[167:168], v[16:17]
	v_add_f64 v[212:213], v[212:213], v[157:158]
	v_add_f64 v[214:215], v[214:215], v[159:160]
	s_waitcnt vmcnt(9) lgkmcnt(0)
	v_mul_f64 v[222:223], v[2:3], v[20:21]
	v_mul_f64 v[20:21], v[4:5], v[20:21]
	ds_load_b128 v[157:160], v1 offset:1120
	v_fma_f64 v[167:168], v[167:168], v[14:15], v[216:217]
	v_fma_f64 v[165:166], v[165:166], v[14:15], -v[16:17]
	scratch_load_b128 v[14:17], off, off offset:432
	v_add_f64 v[212:213], v[212:213], v[220:221]
	v_add_f64 v[214:215], v[214:215], v[218:219]
	v_fma_f64 v[218:219], v[4:5], v[18:19], v[222:223]
	v_fma_f64 v[220:221], v[2:3], v[18:19], -v[20:21]
	scratch_load_b128 v[18:21], off, off offset:448
	ds_load_b128 v[2:5], v1 offset:1136
	s_waitcnt vmcnt(10) lgkmcnt(1)
	v_mul_f64 v[216:217], v[157:158], v[24:25]
	v_mul_f64 v[24:25], v[159:160], v[24:25]
	s_waitcnt vmcnt(9) lgkmcnt(0)
	v_mul_f64 v[222:223], v[2:3], v[28:29]
	v_mul_f64 v[28:29], v[4:5], v[28:29]
	v_add_f64 v[212:213], v[212:213], v[165:166]
	v_add_f64 v[214:215], v[214:215], v[167:168]
	ds_load_b128 v[165:168], v1 offset:1152
	v_fma_f64 v[159:160], v[159:160], v[22:23], v[216:217]
	v_fma_f64 v[157:158], v[157:158], v[22:23], -v[24:25]
	scratch_load_b128 v[22:25], off, off offset:464
	v_add_f64 v[212:213], v[212:213], v[220:221]
	v_add_f64 v[214:215], v[214:215], v[218:219]
	v_fma_f64 v[218:219], v[4:5], v[26:27], v[222:223]
	v_fma_f64 v[220:221], v[2:3], v[26:27], -v[28:29]
	scratch_load_b128 v[26:29], off, off offset:480
	ds_load_b128 v[2:5], v1 offset:1168
	s_waitcnt vmcnt(10) lgkmcnt(1)
	v_mul_f64 v[216:217], v[165:166], v[32:33]
	v_mul_f64 v[32:33], v[167:168], v[32:33]
	s_waitcnt vmcnt(9) lgkmcnt(0)
	v_mul_f64 v[222:223], v[2:3], v[36:37]
	v_mul_f64 v[36:37], v[4:5], v[36:37]
	v_add_f64 v[212:213], v[212:213], v[157:158]
	v_add_f64 v[214:215], v[214:215], v[159:160]
	ds_load_b128 v[157:160], v1 offset:1184
	v_fma_f64 v[167:168], v[167:168], v[30:31], v[216:217]
	v_fma_f64 v[165:166], v[165:166], v[30:31], -v[32:33]
	scratch_load_b128 v[30:33], off, off offset:496
	v_add_f64 v[212:213], v[212:213], v[220:221]
	v_add_f64 v[214:215], v[214:215], v[218:219]
	v_fma_f64 v[220:221], v[4:5], v[34:35], v[222:223]
	v_fma_f64 v[222:223], v[2:3], v[34:35], -v[36:37]
	scratch_load_b128 v[34:37], off, off offset:512
	ds_load_b128 v[2:5], v1 offset:1200
	s_waitcnt vmcnt(9) lgkmcnt(1)
	v_mul_f64 v[216:217], v[157:158], v[163:164]
	v_mul_f64 v[218:219], v[159:160], v[163:164]
	v_add_f64 v[212:213], v[212:213], v[165:166]
	v_add_f64 v[167:168], v[214:215], v[167:168]
	ds_load_b128 v[163:166], v1 offset:1216
	v_fma_f64 v[216:217], v[159:160], v[161:162], v[216:217]
	v_fma_f64 v[161:162], v[157:158], v[161:162], -v[218:219]
	scratch_load_b128 v[157:160], off, off offset:528
	s_waitcnt vmcnt(9) lgkmcnt(1)
	v_mul_f64 v[214:215], v[2:3], v[40:41]
	v_mul_f64 v[40:41], v[4:5], v[40:41]
	v_add_f64 v[212:213], v[212:213], v[222:223]
	v_add_f64 v[167:168], v[167:168], v[220:221]
	s_delay_alu instid0(VALU_DEP_4) | instskip(NEXT) | instid1(VALU_DEP_4)
	v_fma_f64 v[220:221], v[4:5], v[38:39], v[214:215]
	v_fma_f64 v[222:223], v[2:3], v[38:39], -v[40:41]
	scratch_load_b128 v[38:41], off, off offset:544
	ds_load_b128 v[2:5], v1 offset:1232
	s_waitcnt vmcnt(9) lgkmcnt(1)
	v_mul_f64 v[218:219], v[163:164], v[8:9]
	v_mul_f64 v[8:9], v[165:166], v[8:9]
	v_add_f64 v[161:162], v[212:213], v[161:162]
	v_add_f64 v[167:168], v[167:168], v[216:217]
	s_waitcnt vmcnt(8) lgkmcnt(0)
	v_mul_f64 v[216:217], v[2:3], v[12:13]
	v_mul_f64 v[12:13], v[4:5], v[12:13]
	ds_load_b128 v[212:215], v1 offset:1248
	v_fma_f64 v[165:166], v[165:166], v[6:7], v[218:219]
	v_fma_f64 v[163:164], v[163:164], v[6:7], -v[8:9]
	scratch_load_b128 v[6:9], off, off offset:560
	v_add_f64 v[161:162], v[161:162], v[222:223]
	v_add_f64 v[167:168], v[167:168], v[220:221]
	v_fma_f64 v[216:217], v[4:5], v[10:11], v[216:217]
	v_fma_f64 v[220:221], v[2:3], v[10:11], -v[12:13]
	scratch_load_b128 v[10:13], off, off offset:576
	ds_load_b128 v[2:5], v1 offset:1264
	s_waitcnt vmcnt(9) lgkmcnt(1)
	v_mul_f64 v[218:219], v[212:213], v[16:17]
	v_mul_f64 v[16:17], v[214:215], v[16:17]
	v_add_f64 v[222:223], v[161:162], v[163:164]
	v_add_f64 v[165:166], v[167:168], v[165:166]
	s_waitcnt vmcnt(8) lgkmcnt(0)
	v_mul_f64 v[167:168], v[2:3], v[20:21]
	v_mul_f64 v[20:21], v[4:5], v[20:21]
	ds_load_b128 v[161:164], v1 offset:1280
	v_fma_f64 v[214:215], v[214:215], v[14:15], v[218:219]
	v_fma_f64 v[212:213], v[212:213], v[14:15], -v[16:17]
	scratch_load_b128 v[14:17], off, off offset:592
	v_add_f64 v[218:219], v[222:223], v[220:221]
	v_add_f64 v[165:166], v[165:166], v[216:217]
	;; [unrolled: 18-line block ×3, first 2 shown]
	v_fma_f64 v[218:219], v[4:5], v[26:27], v[218:219]
	v_fma_f64 v[220:221], v[2:3], v[26:27], -v[28:29]
	scratch_load_b128 v[26:29], off, off offset:640
	ds_load_b128 v[2:5], v1 offset:1328
	s_waitcnt vmcnt(9) lgkmcnt(1)
	v_mul_f64 v[216:217], v[165:166], v[32:33]
	v_mul_f64 v[32:33], v[167:168], v[32:33]
	s_waitcnt vmcnt(8) lgkmcnt(0)
	v_mul_f64 v[222:223], v[2:3], v[36:37]
	v_mul_f64 v[36:37], v[4:5], v[36:37]
	v_add_f64 v[212:213], v[212:213], v[161:162]
	v_add_f64 v[214:215], v[214:215], v[163:164]
	ds_load_b128 v[161:164], v1 offset:1344
	v_fma_f64 v[167:168], v[167:168], v[30:31], v[216:217]
	v_fma_f64 v[165:166], v[165:166], v[30:31], -v[32:33]
	scratch_load_b128 v[30:33], off, off offset:656
	v_add_f64 v[212:213], v[212:213], v[220:221]
	v_add_f64 v[214:215], v[214:215], v[218:219]
	v_fma_f64 v[218:219], v[4:5], v[34:35], v[222:223]
	v_fma_f64 v[220:221], v[2:3], v[34:35], -v[36:37]
	scratch_load_b128 v[34:37], off, off offset:672
	ds_load_b128 v[2:5], v1 offset:1360
	s_waitcnt vmcnt(9) lgkmcnt(1)
	v_mul_f64 v[216:217], v[161:162], v[159:160]
	v_mul_f64 v[159:160], v[163:164], v[159:160]
	s_waitcnt vmcnt(8) lgkmcnt(0)
	v_mul_f64 v[222:223], v[2:3], v[40:41]
	v_mul_f64 v[40:41], v[4:5], v[40:41]
	v_add_f64 v[212:213], v[212:213], v[165:166]
	v_add_f64 v[214:215], v[214:215], v[167:168]
	ds_load_b128 v[165:168], v1 offset:1376
	v_fma_f64 v[163:164], v[163:164], v[157:158], v[216:217]
	v_fma_f64 v[161:162], v[161:162], v[157:158], -v[159:160]
	scratch_load_b128 v[157:160], off, off offset:688
	v_add_f64 v[212:213], v[212:213], v[220:221]
	v_add_f64 v[214:215], v[214:215], v[218:219]
	;; [unrolled: 18-line block ×5, first 2 shown]
	v_fma_f64 v[218:219], v[4:5], v[26:27], v[222:223]
	v_fma_f64 v[220:221], v[2:3], v[26:27], -v[28:29]
	scratch_load_b128 v[26:29], off, off offset:800
	ds_load_b128 v[2:5], v1 offset:1488
	s_waitcnt vmcnt(9) lgkmcnt(1)
	v_mul_f64 v[216:217], v[161:162], v[32:33]
	v_mul_f64 v[32:33], v[163:164], v[32:33]
	s_waitcnt vmcnt(8) lgkmcnt(0)
	v_mul_f64 v[222:223], v[2:3], v[36:37]
	v_mul_f64 v[36:37], v[4:5], v[36:37]
	v_add_f64 v[212:213], v[212:213], v[165:166]
	v_add_f64 v[214:215], v[214:215], v[167:168]
	ds_load_b128 v[165:168], v1 offset:1504
	v_fma_f64 v[163:164], v[163:164], v[30:31], v[216:217]
	v_fma_f64 v[30:31], v[161:162], v[30:31], -v[32:33]
	v_add_f64 v[32:33], v[212:213], v[220:221]
	v_add_f64 v[161:162], v[214:215], v[218:219]
	s_waitcnt vmcnt(7) lgkmcnt(0)
	v_mul_f64 v[212:213], v[165:166], v[159:160]
	v_mul_f64 v[159:160], v[167:168], v[159:160]
	v_fma_f64 v[214:215], v[4:5], v[34:35], v[222:223]
	v_fma_f64 v[34:35], v[2:3], v[34:35], -v[36:37]
	v_add_f64 v[36:37], v[32:33], v[30:31]
	v_add_f64 v[161:162], v[161:162], v[163:164]
	ds_load_b128 v[2:5], v1 offset:1520
	ds_load_b128 v[30:33], v1 offset:1536
	v_fma_f64 v[167:168], v[167:168], v[157:158], v[212:213]
	v_fma_f64 v[157:158], v[165:166], v[157:158], -v[159:160]
	s_waitcnt vmcnt(6) lgkmcnt(1)
	v_mul_f64 v[163:164], v[2:3], v[40:41]
	v_mul_f64 v[40:41], v[4:5], v[40:41]
	s_waitcnt vmcnt(5) lgkmcnt(0)
	v_mul_f64 v[159:160], v[30:31], v[8:9]
	v_mul_f64 v[8:9], v[32:33], v[8:9]
	v_add_f64 v[34:35], v[36:37], v[34:35]
	v_add_f64 v[36:37], v[161:162], v[214:215]
	v_fma_f64 v[161:162], v[4:5], v[38:39], v[163:164]
	v_fma_f64 v[38:39], v[2:3], v[38:39], -v[40:41]
	v_fma_f64 v[32:33], v[32:33], v[6:7], v[159:160]
	v_fma_f64 v[6:7], v[30:31], v[6:7], -v[8:9]
	v_add_f64 v[40:41], v[34:35], v[157:158]
	v_add_f64 v[157:158], v[36:37], v[167:168]
	ds_load_b128 v[2:5], v1 offset:1552
	ds_load_b128 v[34:37], v1 offset:1568
	s_waitcnt vmcnt(4) lgkmcnt(1)
	v_mul_f64 v[163:164], v[2:3], v[12:13]
	v_mul_f64 v[12:13], v[4:5], v[12:13]
	v_add_f64 v[8:9], v[40:41], v[38:39]
	v_add_f64 v[30:31], v[157:158], v[161:162]
	s_waitcnt vmcnt(3) lgkmcnt(0)
	v_mul_f64 v[38:39], v[34:35], v[16:17]
	v_mul_f64 v[16:17], v[36:37], v[16:17]
	v_fma_f64 v[40:41], v[4:5], v[10:11], v[163:164]
	v_fma_f64 v[10:11], v[2:3], v[10:11], -v[12:13]
	v_add_f64 v[12:13], v[8:9], v[6:7]
	v_add_f64 v[30:31], v[30:31], v[32:33]
	ds_load_b128 v[2:5], v1 offset:1584
	ds_load_b128 v[6:9], v1 offset:1600
	v_fma_f64 v[36:37], v[36:37], v[14:15], v[38:39]
	v_fma_f64 v[14:15], v[34:35], v[14:15], -v[16:17]
	s_waitcnt vmcnt(2) lgkmcnt(1)
	v_mul_f64 v[32:33], v[2:3], v[20:21]
	v_mul_f64 v[20:21], v[4:5], v[20:21]
	s_waitcnt vmcnt(1) lgkmcnt(0)
	v_mul_f64 v[16:17], v[6:7], v[24:25]
	v_mul_f64 v[24:25], v[8:9], v[24:25]
	v_add_f64 v[10:11], v[12:13], v[10:11]
	v_add_f64 v[12:13], v[30:31], v[40:41]
	v_fma_f64 v[30:31], v[4:5], v[18:19], v[32:33]
	v_fma_f64 v[18:19], v[2:3], v[18:19], -v[20:21]
	ds_load_b128 v[2:5], v1 offset:1616
	v_fma_f64 v[8:9], v[8:9], v[22:23], v[16:17]
	v_fma_f64 v[6:7], v[6:7], v[22:23], -v[24:25]
	v_add_f64 v[10:11], v[10:11], v[14:15]
	v_add_f64 v[12:13], v[12:13], v[36:37]
	s_waitcnt vmcnt(0) lgkmcnt(0)
	v_mul_f64 v[14:15], v[2:3], v[28:29]
	v_mul_f64 v[20:21], v[4:5], v[28:29]
	s_delay_alu instid0(VALU_DEP_4) | instskip(NEXT) | instid1(VALU_DEP_4)
	v_add_f64 v[10:11], v[10:11], v[18:19]
	v_add_f64 v[12:13], v[12:13], v[30:31]
	s_delay_alu instid0(VALU_DEP_4) | instskip(NEXT) | instid1(VALU_DEP_4)
	v_fma_f64 v[4:5], v[4:5], v[26:27], v[14:15]
	v_fma_f64 v[2:3], v[2:3], v[26:27], -v[20:21]
	s_delay_alu instid0(VALU_DEP_4) | instskip(NEXT) | instid1(VALU_DEP_4)
	v_add_f64 v[6:7], v[10:11], v[6:7]
	v_add_f64 v[8:9], v[12:13], v[8:9]
	s_delay_alu instid0(VALU_DEP_2) | instskip(NEXT) | instid1(VALU_DEP_2)
	v_add_f64 v[2:3], v[6:7], v[2:3]
	v_add_f64 v[4:5], v[8:9], v[4:5]
	s_delay_alu instid0(VALU_DEP_2) | instskip(NEXT) | instid1(VALU_DEP_2)
	v_add_f64 v[2:3], v[42:43], -v[2:3]
	v_add_f64 v[4:5], v[44:45], -v[4:5]
	scratch_store_b128 off, v[2:5], off offset:208
	v_cmpx_lt_u32_e32 12, v148
	s_cbranch_execz .LBB114_295
; %bb.294:
	scratch_load_b128 v[5:8], v187, off
	v_mov_b32_e32 v2, v1
	v_mov_b32_e32 v3, v1
	;; [unrolled: 1-line block ×3, first 2 shown]
	scratch_store_b128 off, v[1:4], off offset:192
	s_waitcnt vmcnt(0)
	ds_store_b128 v199, v[5:8]
.LBB114_295:
	s_or_b32 exec_lo, exec_lo, s2
	s_waitcnt lgkmcnt(0)
	s_waitcnt_vscnt null, 0x0
	s_barrier
	buffer_gl0_inv
	s_clause 0x8
	scratch_load_b128 v[2:5], off, off offset:208
	scratch_load_b128 v[6:9], off, off offset:224
	;; [unrolled: 1-line block ×9, first 2 shown]
	ds_load_b128 v[42:45], v1 offset:1024
	ds_load_b128 v[38:41], v1 offset:1040
	s_clause 0x1
	scratch_load_b128 v[157:160], off, off offset:192
	scratch_load_b128 v[161:164], off, off offset:352
	s_mov_b32 s2, exec_lo
	s_waitcnt vmcnt(10) lgkmcnt(1)
	v_mul_f64 v[165:166], v[44:45], v[4:5]
	v_mul_f64 v[4:5], v[42:43], v[4:5]
	s_waitcnt vmcnt(9) lgkmcnt(0)
	v_mul_f64 v[212:213], v[38:39], v[8:9]
	v_mul_f64 v[8:9], v[40:41], v[8:9]
	s_delay_alu instid0(VALU_DEP_4) | instskip(NEXT) | instid1(VALU_DEP_4)
	v_fma_f64 v[214:215], v[42:43], v[2:3], -v[165:166]
	v_fma_f64 v[216:217], v[44:45], v[2:3], v[4:5]
	ds_load_b128 v[2:5], v1 offset:1056
	ds_load_b128 v[165:168], v1 offset:1072
	scratch_load_b128 v[42:45], off, off offset:368
	v_fma_f64 v[40:41], v[40:41], v[6:7], v[212:213]
	v_fma_f64 v[38:39], v[38:39], v[6:7], -v[8:9]
	scratch_load_b128 v[6:9], off, off offset:384
	s_waitcnt vmcnt(10) lgkmcnt(1)
	v_mul_f64 v[218:219], v[2:3], v[12:13]
	v_mul_f64 v[12:13], v[4:5], v[12:13]
	v_add_f64 v[212:213], v[214:215], 0
	v_add_f64 v[214:215], v[216:217], 0
	s_waitcnt vmcnt(9) lgkmcnt(0)
	v_mul_f64 v[216:217], v[165:166], v[16:17]
	v_mul_f64 v[16:17], v[167:168], v[16:17]
	v_fma_f64 v[218:219], v[4:5], v[10:11], v[218:219]
	v_fma_f64 v[220:221], v[2:3], v[10:11], -v[12:13]
	ds_load_b128 v[2:5], v1 offset:1088
	scratch_load_b128 v[10:13], off, off offset:400
	v_add_f64 v[212:213], v[212:213], v[38:39]
	v_add_f64 v[214:215], v[214:215], v[40:41]
	ds_load_b128 v[38:41], v1 offset:1104
	v_fma_f64 v[167:168], v[167:168], v[14:15], v[216:217]
	v_fma_f64 v[165:166], v[165:166], v[14:15], -v[16:17]
	scratch_load_b128 v[14:17], off, off offset:416
	s_waitcnt vmcnt(10) lgkmcnt(1)
	v_mul_f64 v[222:223], v[2:3], v[20:21]
	v_mul_f64 v[20:21], v[4:5], v[20:21]
	s_waitcnt vmcnt(9) lgkmcnt(0)
	v_mul_f64 v[216:217], v[38:39], v[24:25]
	v_mul_f64 v[24:25], v[40:41], v[24:25]
	v_add_f64 v[212:213], v[212:213], v[220:221]
	v_add_f64 v[214:215], v[214:215], v[218:219]
	v_fma_f64 v[218:219], v[4:5], v[18:19], v[222:223]
	v_fma_f64 v[220:221], v[2:3], v[18:19], -v[20:21]
	ds_load_b128 v[2:5], v1 offset:1120
	scratch_load_b128 v[18:21], off, off offset:432
	v_fma_f64 v[40:41], v[40:41], v[22:23], v[216:217]
	v_fma_f64 v[38:39], v[38:39], v[22:23], -v[24:25]
	scratch_load_b128 v[22:25], off, off offset:448
	v_add_f64 v[212:213], v[212:213], v[165:166]
	v_add_f64 v[214:215], v[214:215], v[167:168]
	ds_load_b128 v[165:168], v1 offset:1136
	s_waitcnt vmcnt(10) lgkmcnt(1)
	v_mul_f64 v[222:223], v[2:3], v[28:29]
	v_mul_f64 v[28:29], v[4:5], v[28:29]
	s_waitcnt vmcnt(9) lgkmcnt(0)
	v_mul_f64 v[216:217], v[165:166], v[32:33]
	v_mul_f64 v[32:33], v[167:168], v[32:33]
	v_add_f64 v[212:213], v[212:213], v[220:221]
	v_add_f64 v[214:215], v[214:215], v[218:219]
	v_fma_f64 v[218:219], v[4:5], v[26:27], v[222:223]
	v_fma_f64 v[220:221], v[2:3], v[26:27], -v[28:29]
	ds_load_b128 v[2:5], v1 offset:1152
	scratch_load_b128 v[26:29], off, off offset:464
	v_fma_f64 v[167:168], v[167:168], v[30:31], v[216:217]
	v_fma_f64 v[165:166], v[165:166], v[30:31], -v[32:33]
	scratch_load_b128 v[30:33], off, off offset:480
	v_add_f64 v[212:213], v[212:213], v[38:39]
	v_add_f64 v[214:215], v[214:215], v[40:41]
	ds_load_b128 v[38:41], v1 offset:1168
	s_waitcnt vmcnt(10) lgkmcnt(1)
	v_mul_f64 v[222:223], v[2:3], v[36:37]
	v_mul_f64 v[36:37], v[4:5], v[36:37]
	s_waitcnt vmcnt(8) lgkmcnt(0)
	v_mul_f64 v[216:217], v[38:39], v[163:164]
	v_add_f64 v[212:213], v[212:213], v[220:221]
	v_add_f64 v[214:215], v[214:215], v[218:219]
	v_mul_f64 v[218:219], v[40:41], v[163:164]
	v_fma_f64 v[220:221], v[4:5], v[34:35], v[222:223]
	v_fma_f64 v[222:223], v[2:3], v[34:35], -v[36:37]
	ds_load_b128 v[2:5], v1 offset:1184
	scratch_load_b128 v[34:37], off, off offset:496
	v_fma_f64 v[216:217], v[40:41], v[161:162], v[216:217]
	v_add_f64 v[212:213], v[212:213], v[165:166]
	v_add_f64 v[167:168], v[214:215], v[167:168]
	ds_load_b128 v[163:166], v1 offset:1200
	v_fma_f64 v[161:162], v[38:39], v[161:162], -v[218:219]
	scratch_load_b128 v[38:41], off, off offset:512
	s_waitcnt vmcnt(9) lgkmcnt(1)
	v_mul_f64 v[214:215], v[2:3], v[44:45]
	v_mul_f64 v[44:45], v[4:5], v[44:45]
	s_waitcnt vmcnt(8) lgkmcnt(0)
	v_mul_f64 v[218:219], v[163:164], v[8:9]
	v_mul_f64 v[8:9], v[165:166], v[8:9]
	v_add_f64 v[212:213], v[212:213], v[222:223]
	v_add_f64 v[167:168], v[167:168], v[220:221]
	v_fma_f64 v[220:221], v[4:5], v[42:43], v[214:215]
	v_fma_f64 v[222:223], v[2:3], v[42:43], -v[44:45]
	ds_load_b128 v[2:5], v1 offset:1216
	scratch_load_b128 v[42:45], off, off offset:528
	v_fma_f64 v[165:166], v[165:166], v[6:7], v[218:219]
	v_fma_f64 v[163:164], v[163:164], v[6:7], -v[8:9]
	scratch_load_b128 v[6:9], off, off offset:544
	v_add_f64 v[161:162], v[212:213], v[161:162]
	v_add_f64 v[167:168], v[167:168], v[216:217]
	ds_load_b128 v[212:215], v1 offset:1232
	s_waitcnt vmcnt(9) lgkmcnt(1)
	v_mul_f64 v[216:217], v[2:3], v[12:13]
	v_mul_f64 v[12:13], v[4:5], v[12:13]
	s_waitcnt vmcnt(8) lgkmcnt(0)
	v_mul_f64 v[218:219], v[212:213], v[16:17]
	v_mul_f64 v[16:17], v[214:215], v[16:17]
	v_add_f64 v[161:162], v[161:162], v[222:223]
	v_add_f64 v[167:168], v[167:168], v[220:221]
	v_fma_f64 v[216:217], v[4:5], v[10:11], v[216:217]
	v_fma_f64 v[220:221], v[2:3], v[10:11], -v[12:13]
	ds_load_b128 v[2:5], v1 offset:1248
	scratch_load_b128 v[10:13], off, off offset:560
	v_fma_f64 v[214:215], v[214:215], v[14:15], v[218:219]
	v_fma_f64 v[212:213], v[212:213], v[14:15], -v[16:17]
	scratch_load_b128 v[14:17], off, off offset:576
	v_add_f64 v[222:223], v[161:162], v[163:164]
	v_add_f64 v[165:166], v[167:168], v[165:166]
	ds_load_b128 v[161:164], v1 offset:1264
	s_waitcnt vmcnt(9) lgkmcnt(1)
	v_mul_f64 v[167:168], v[2:3], v[20:21]
	v_mul_f64 v[20:21], v[4:5], v[20:21]
	v_add_f64 v[218:219], v[222:223], v[220:221]
	v_add_f64 v[165:166], v[165:166], v[216:217]
	s_waitcnt vmcnt(8) lgkmcnt(0)
	v_mul_f64 v[216:217], v[161:162], v[24:25]
	v_mul_f64 v[24:25], v[163:164], v[24:25]
	v_fma_f64 v[220:221], v[4:5], v[18:19], v[167:168]
	v_fma_f64 v[222:223], v[2:3], v[18:19], -v[20:21]
	ds_load_b128 v[2:5], v1 offset:1280
	scratch_load_b128 v[18:21], off, off offset:592
	v_add_f64 v[212:213], v[218:219], v[212:213]
	v_add_f64 v[214:215], v[165:166], v[214:215]
	ds_load_b128 v[165:168], v1 offset:1296
	s_waitcnt vmcnt(8) lgkmcnt(1)
	v_mul_f64 v[218:219], v[2:3], v[28:29]
	v_mul_f64 v[28:29], v[4:5], v[28:29]
	v_fma_f64 v[163:164], v[163:164], v[22:23], v[216:217]
	v_fma_f64 v[161:162], v[161:162], v[22:23], -v[24:25]
	scratch_load_b128 v[22:25], off, off offset:608
	s_waitcnt vmcnt(8) lgkmcnt(0)
	v_mul_f64 v[216:217], v[165:166], v[32:33]
	v_mul_f64 v[32:33], v[167:168], v[32:33]
	v_add_f64 v[212:213], v[212:213], v[222:223]
	v_add_f64 v[214:215], v[214:215], v[220:221]
	v_fma_f64 v[218:219], v[4:5], v[26:27], v[218:219]
	v_fma_f64 v[220:221], v[2:3], v[26:27], -v[28:29]
	ds_load_b128 v[2:5], v1 offset:1312
	scratch_load_b128 v[26:29], off, off offset:624
	v_fma_f64 v[167:168], v[167:168], v[30:31], v[216:217]
	v_fma_f64 v[165:166], v[165:166], v[30:31], -v[32:33]
	scratch_load_b128 v[30:33], off, off offset:640
	v_add_f64 v[212:213], v[212:213], v[161:162]
	v_add_f64 v[214:215], v[214:215], v[163:164]
	ds_load_b128 v[161:164], v1 offset:1328
	s_waitcnt vmcnt(9) lgkmcnt(1)
	v_mul_f64 v[222:223], v[2:3], v[36:37]
	v_mul_f64 v[36:37], v[4:5], v[36:37]
	s_waitcnt vmcnt(8) lgkmcnt(0)
	v_mul_f64 v[216:217], v[161:162], v[40:41]
	v_mul_f64 v[40:41], v[163:164], v[40:41]
	v_add_f64 v[212:213], v[212:213], v[220:221]
	v_add_f64 v[214:215], v[214:215], v[218:219]
	v_fma_f64 v[218:219], v[4:5], v[34:35], v[222:223]
	v_fma_f64 v[220:221], v[2:3], v[34:35], -v[36:37]
	ds_load_b128 v[2:5], v1 offset:1344
	scratch_load_b128 v[34:37], off, off offset:656
	v_fma_f64 v[163:164], v[163:164], v[38:39], v[216:217]
	v_fma_f64 v[161:162], v[161:162], v[38:39], -v[40:41]
	scratch_load_b128 v[38:41], off, off offset:672
	v_add_f64 v[212:213], v[212:213], v[165:166]
	v_add_f64 v[214:215], v[214:215], v[167:168]
	ds_load_b128 v[165:168], v1 offset:1360
	s_waitcnt vmcnt(9) lgkmcnt(1)
	v_mul_f64 v[222:223], v[2:3], v[44:45]
	v_mul_f64 v[44:45], v[4:5], v[44:45]
	;; [unrolled: 18-line block ×6, first 2 shown]
	s_waitcnt vmcnt(8) lgkmcnt(0)
	v_mul_f64 v[216:217], v[165:166], v[40:41]
	v_mul_f64 v[40:41], v[167:168], v[40:41]
	v_add_f64 v[212:213], v[212:213], v[220:221]
	v_add_f64 v[214:215], v[214:215], v[218:219]
	v_fma_f64 v[218:219], v[4:5], v[34:35], v[222:223]
	v_fma_f64 v[220:221], v[2:3], v[34:35], -v[36:37]
	ds_load_b128 v[2:5], v1 offset:1504
	ds_load_b128 v[34:37], v1 offset:1520
	v_fma_f64 v[167:168], v[167:168], v[38:39], v[216:217]
	v_fma_f64 v[38:39], v[165:166], v[38:39], -v[40:41]
	v_add_f64 v[161:162], v[212:213], v[161:162]
	v_add_f64 v[163:164], v[214:215], v[163:164]
	s_waitcnt vmcnt(7) lgkmcnt(1)
	v_mul_f64 v[212:213], v[2:3], v[44:45]
	v_mul_f64 v[44:45], v[4:5], v[44:45]
	s_delay_alu instid0(VALU_DEP_4) | instskip(NEXT) | instid1(VALU_DEP_4)
	v_add_f64 v[40:41], v[161:162], v[220:221]
	v_add_f64 v[161:162], v[163:164], v[218:219]
	s_waitcnt vmcnt(6) lgkmcnt(0)
	v_mul_f64 v[163:164], v[34:35], v[8:9]
	v_mul_f64 v[8:9], v[36:37], v[8:9]
	v_fma_f64 v[165:166], v[4:5], v[42:43], v[212:213]
	v_fma_f64 v[42:43], v[2:3], v[42:43], -v[44:45]
	v_add_f64 v[44:45], v[40:41], v[38:39]
	v_add_f64 v[161:162], v[161:162], v[167:168]
	ds_load_b128 v[2:5], v1 offset:1536
	ds_load_b128 v[38:41], v1 offset:1552
	v_fma_f64 v[36:37], v[36:37], v[6:7], v[163:164]
	v_fma_f64 v[6:7], v[34:35], v[6:7], -v[8:9]
	s_waitcnt vmcnt(5) lgkmcnt(1)
	v_mul_f64 v[167:168], v[2:3], v[12:13]
	v_mul_f64 v[12:13], v[4:5], v[12:13]
	v_add_f64 v[8:9], v[44:45], v[42:43]
	v_add_f64 v[34:35], v[161:162], v[165:166]
	s_waitcnt vmcnt(4) lgkmcnt(0)
	v_mul_f64 v[42:43], v[38:39], v[16:17]
	v_mul_f64 v[16:17], v[40:41], v[16:17]
	v_fma_f64 v[44:45], v[4:5], v[10:11], v[167:168]
	v_fma_f64 v[10:11], v[2:3], v[10:11], -v[12:13]
	v_add_f64 v[12:13], v[8:9], v[6:7]
	v_add_f64 v[34:35], v[34:35], v[36:37]
	ds_load_b128 v[2:5], v1 offset:1568
	ds_load_b128 v[6:9], v1 offset:1584
	v_fma_f64 v[40:41], v[40:41], v[14:15], v[42:43]
	v_fma_f64 v[14:15], v[38:39], v[14:15], -v[16:17]
	s_waitcnt vmcnt(3) lgkmcnt(1)
	v_mul_f64 v[36:37], v[2:3], v[20:21]
	v_mul_f64 v[20:21], v[4:5], v[20:21]
	s_waitcnt vmcnt(2) lgkmcnt(0)
	v_mul_f64 v[16:17], v[6:7], v[24:25]
	v_mul_f64 v[24:25], v[8:9], v[24:25]
	v_add_f64 v[10:11], v[12:13], v[10:11]
	v_add_f64 v[12:13], v[34:35], v[44:45]
	v_fma_f64 v[34:35], v[4:5], v[18:19], v[36:37]
	v_fma_f64 v[18:19], v[2:3], v[18:19], -v[20:21]
	v_fma_f64 v[8:9], v[8:9], v[22:23], v[16:17]
	v_fma_f64 v[6:7], v[6:7], v[22:23], -v[24:25]
	v_add_f64 v[14:15], v[10:11], v[14:15]
	v_add_f64 v[20:21], v[12:13], v[40:41]
	ds_load_b128 v[2:5], v1 offset:1600
	ds_load_b128 v[10:13], v1 offset:1616
	s_waitcnt vmcnt(1) lgkmcnt(1)
	v_mul_f64 v[36:37], v[2:3], v[28:29]
	v_mul_f64 v[28:29], v[4:5], v[28:29]
	v_add_f64 v[14:15], v[14:15], v[18:19]
	v_add_f64 v[16:17], v[20:21], v[34:35]
	s_waitcnt vmcnt(0) lgkmcnt(0)
	v_mul_f64 v[18:19], v[10:11], v[32:33]
	v_mul_f64 v[20:21], v[12:13], v[32:33]
	v_fma_f64 v[4:5], v[4:5], v[26:27], v[36:37]
	v_fma_f64 v[1:2], v[2:3], v[26:27], -v[28:29]
	v_add_f64 v[6:7], v[14:15], v[6:7]
	v_add_f64 v[8:9], v[16:17], v[8:9]
	v_fma_f64 v[12:13], v[12:13], v[30:31], v[18:19]
	v_fma_f64 v[10:11], v[10:11], v[30:31], -v[20:21]
	s_delay_alu instid0(VALU_DEP_4) | instskip(NEXT) | instid1(VALU_DEP_4)
	v_add_f64 v[1:2], v[6:7], v[1:2]
	v_add_f64 v[3:4], v[8:9], v[4:5]
	s_delay_alu instid0(VALU_DEP_2) | instskip(NEXT) | instid1(VALU_DEP_2)
	v_add_f64 v[1:2], v[1:2], v[10:11]
	v_add_f64 v[3:4], v[3:4], v[12:13]
	s_delay_alu instid0(VALU_DEP_2) | instskip(NEXT) | instid1(VALU_DEP_2)
	v_add_f64 v[1:2], v[157:158], -v[1:2]
	v_add_f64 v[3:4], v[159:160], -v[3:4]
	scratch_store_b128 off, v[1:4], off offset:192
	v_cmpx_lt_u32_e32 11, v148
	s_cbranch_execz .LBB114_297
; %bb.296:
	scratch_load_b128 v[1:4], v188, off
	v_mov_b32_e32 v5, 0
	s_delay_alu instid0(VALU_DEP_1)
	v_mov_b32_e32 v6, v5
	v_mov_b32_e32 v7, v5
	;; [unrolled: 1-line block ×3, first 2 shown]
	scratch_store_b128 off, v[5:8], off offset:176
	s_waitcnt vmcnt(0)
	ds_store_b128 v199, v[1:4]
.LBB114_297:
	s_or_b32 exec_lo, exec_lo, s2
	s_waitcnt lgkmcnt(0)
	s_waitcnt_vscnt null, 0x0
	s_barrier
	buffer_gl0_inv
	s_clause 0x7
	scratch_load_b128 v[2:5], off, off offset:192
	scratch_load_b128 v[6:9], off, off offset:208
	;; [unrolled: 1-line block ×8, first 2 shown]
	v_mov_b32_e32 v1, 0
	s_mov_b32 s2, exec_lo
	ds_load_b128 v[38:41], v1 offset:1008
	s_clause 0x1
	scratch_load_b128 v[34:37], off, off offset:320
	scratch_load_b128 v[42:45], off, off offset:176
	ds_load_b128 v[157:160], v1 offset:1024
	scratch_load_b128 v[161:164], off, off offset:336
	s_waitcnt vmcnt(10) lgkmcnt(1)
	v_mul_f64 v[165:166], v[40:41], v[4:5]
	v_mul_f64 v[4:5], v[38:39], v[4:5]
	s_delay_alu instid0(VALU_DEP_2) | instskip(NEXT) | instid1(VALU_DEP_2)
	v_fma_f64 v[214:215], v[38:39], v[2:3], -v[165:166]
	v_fma_f64 v[216:217], v[40:41], v[2:3], v[4:5]
	scratch_load_b128 v[38:41], off, off offset:352
	ds_load_b128 v[2:5], v1 offset:1040
	s_waitcnt vmcnt(10) lgkmcnt(1)
	v_mul_f64 v[212:213], v[157:158], v[8:9]
	v_mul_f64 v[8:9], v[159:160], v[8:9]
	ds_load_b128 v[165:168], v1 offset:1056
	s_waitcnt vmcnt(9) lgkmcnt(1)
	v_mul_f64 v[218:219], v[2:3], v[12:13]
	v_mul_f64 v[12:13], v[4:5], v[12:13]
	v_fma_f64 v[159:160], v[159:160], v[6:7], v[212:213]
	v_fma_f64 v[157:158], v[157:158], v[6:7], -v[8:9]
	v_add_f64 v[212:213], v[214:215], 0
	v_add_f64 v[214:215], v[216:217], 0
	scratch_load_b128 v[6:9], off, off offset:368
	v_fma_f64 v[218:219], v[4:5], v[10:11], v[218:219]
	v_fma_f64 v[220:221], v[2:3], v[10:11], -v[12:13]
	scratch_load_b128 v[10:13], off, off offset:384
	ds_load_b128 v[2:5], v1 offset:1072
	s_waitcnt vmcnt(10) lgkmcnt(1)
	v_mul_f64 v[216:217], v[165:166], v[16:17]
	v_mul_f64 v[16:17], v[167:168], v[16:17]
	v_add_f64 v[212:213], v[212:213], v[157:158]
	v_add_f64 v[214:215], v[214:215], v[159:160]
	s_waitcnt vmcnt(9) lgkmcnt(0)
	v_mul_f64 v[222:223], v[2:3], v[20:21]
	v_mul_f64 v[20:21], v[4:5], v[20:21]
	ds_load_b128 v[157:160], v1 offset:1088
	v_fma_f64 v[167:168], v[167:168], v[14:15], v[216:217]
	v_fma_f64 v[165:166], v[165:166], v[14:15], -v[16:17]
	scratch_load_b128 v[14:17], off, off offset:400
	v_add_f64 v[212:213], v[212:213], v[220:221]
	v_add_f64 v[214:215], v[214:215], v[218:219]
	v_fma_f64 v[218:219], v[4:5], v[18:19], v[222:223]
	v_fma_f64 v[220:221], v[2:3], v[18:19], -v[20:21]
	scratch_load_b128 v[18:21], off, off offset:416
	ds_load_b128 v[2:5], v1 offset:1104
	s_waitcnt vmcnt(10) lgkmcnt(1)
	v_mul_f64 v[216:217], v[157:158], v[24:25]
	v_mul_f64 v[24:25], v[159:160], v[24:25]
	s_waitcnt vmcnt(9) lgkmcnt(0)
	v_mul_f64 v[222:223], v[2:3], v[28:29]
	v_mul_f64 v[28:29], v[4:5], v[28:29]
	v_add_f64 v[212:213], v[212:213], v[165:166]
	v_add_f64 v[214:215], v[214:215], v[167:168]
	ds_load_b128 v[165:168], v1 offset:1120
	v_fma_f64 v[159:160], v[159:160], v[22:23], v[216:217]
	v_fma_f64 v[157:158], v[157:158], v[22:23], -v[24:25]
	scratch_load_b128 v[22:25], off, off offset:432
	v_add_f64 v[212:213], v[212:213], v[220:221]
	v_add_f64 v[214:215], v[214:215], v[218:219]
	v_fma_f64 v[218:219], v[4:5], v[26:27], v[222:223]
	v_fma_f64 v[220:221], v[2:3], v[26:27], -v[28:29]
	scratch_load_b128 v[26:29], off, off offset:448
	ds_load_b128 v[2:5], v1 offset:1136
	s_waitcnt vmcnt(10) lgkmcnt(1)
	v_mul_f64 v[216:217], v[165:166], v[32:33]
	v_mul_f64 v[32:33], v[167:168], v[32:33]
	s_waitcnt vmcnt(9) lgkmcnt(0)
	v_mul_f64 v[222:223], v[2:3], v[36:37]
	v_mul_f64 v[36:37], v[4:5], v[36:37]
	v_add_f64 v[212:213], v[212:213], v[157:158]
	v_add_f64 v[214:215], v[214:215], v[159:160]
	ds_load_b128 v[157:160], v1 offset:1152
	v_fma_f64 v[167:168], v[167:168], v[30:31], v[216:217]
	v_fma_f64 v[165:166], v[165:166], v[30:31], -v[32:33]
	scratch_load_b128 v[30:33], off, off offset:464
	v_add_f64 v[212:213], v[212:213], v[220:221]
	v_add_f64 v[214:215], v[214:215], v[218:219]
	v_fma_f64 v[220:221], v[4:5], v[34:35], v[222:223]
	v_fma_f64 v[222:223], v[2:3], v[34:35], -v[36:37]
	scratch_load_b128 v[34:37], off, off offset:480
	ds_load_b128 v[2:5], v1 offset:1168
	s_waitcnt vmcnt(9) lgkmcnt(1)
	v_mul_f64 v[216:217], v[157:158], v[163:164]
	v_mul_f64 v[218:219], v[159:160], v[163:164]
	v_add_f64 v[212:213], v[212:213], v[165:166]
	v_add_f64 v[167:168], v[214:215], v[167:168]
	ds_load_b128 v[163:166], v1 offset:1184
	v_fma_f64 v[216:217], v[159:160], v[161:162], v[216:217]
	v_fma_f64 v[161:162], v[157:158], v[161:162], -v[218:219]
	scratch_load_b128 v[157:160], off, off offset:496
	s_waitcnt vmcnt(9) lgkmcnt(1)
	v_mul_f64 v[214:215], v[2:3], v[40:41]
	v_mul_f64 v[40:41], v[4:5], v[40:41]
	v_add_f64 v[212:213], v[212:213], v[222:223]
	v_add_f64 v[167:168], v[167:168], v[220:221]
	s_delay_alu instid0(VALU_DEP_4) | instskip(NEXT) | instid1(VALU_DEP_4)
	v_fma_f64 v[220:221], v[4:5], v[38:39], v[214:215]
	v_fma_f64 v[222:223], v[2:3], v[38:39], -v[40:41]
	scratch_load_b128 v[38:41], off, off offset:512
	ds_load_b128 v[2:5], v1 offset:1200
	s_waitcnt vmcnt(9) lgkmcnt(1)
	v_mul_f64 v[218:219], v[163:164], v[8:9]
	v_mul_f64 v[8:9], v[165:166], v[8:9]
	v_add_f64 v[161:162], v[212:213], v[161:162]
	v_add_f64 v[167:168], v[167:168], v[216:217]
	s_waitcnt vmcnt(8) lgkmcnt(0)
	v_mul_f64 v[216:217], v[2:3], v[12:13]
	v_mul_f64 v[12:13], v[4:5], v[12:13]
	ds_load_b128 v[212:215], v1 offset:1216
	v_fma_f64 v[165:166], v[165:166], v[6:7], v[218:219]
	v_fma_f64 v[163:164], v[163:164], v[6:7], -v[8:9]
	scratch_load_b128 v[6:9], off, off offset:528
	v_add_f64 v[161:162], v[161:162], v[222:223]
	v_add_f64 v[167:168], v[167:168], v[220:221]
	v_fma_f64 v[216:217], v[4:5], v[10:11], v[216:217]
	v_fma_f64 v[220:221], v[2:3], v[10:11], -v[12:13]
	scratch_load_b128 v[10:13], off, off offset:544
	ds_load_b128 v[2:5], v1 offset:1232
	s_waitcnt vmcnt(9) lgkmcnt(1)
	v_mul_f64 v[218:219], v[212:213], v[16:17]
	v_mul_f64 v[16:17], v[214:215], v[16:17]
	v_add_f64 v[222:223], v[161:162], v[163:164]
	v_add_f64 v[165:166], v[167:168], v[165:166]
	s_waitcnt vmcnt(8) lgkmcnt(0)
	v_mul_f64 v[167:168], v[2:3], v[20:21]
	v_mul_f64 v[20:21], v[4:5], v[20:21]
	ds_load_b128 v[161:164], v1 offset:1248
	v_fma_f64 v[214:215], v[214:215], v[14:15], v[218:219]
	v_fma_f64 v[212:213], v[212:213], v[14:15], -v[16:17]
	scratch_load_b128 v[14:17], off, off offset:560
	v_add_f64 v[218:219], v[222:223], v[220:221]
	v_add_f64 v[165:166], v[165:166], v[216:217]
	;; [unrolled: 18-line block ×3, first 2 shown]
	v_fma_f64 v[218:219], v[4:5], v[26:27], v[218:219]
	v_fma_f64 v[220:221], v[2:3], v[26:27], -v[28:29]
	scratch_load_b128 v[26:29], off, off offset:608
	ds_load_b128 v[2:5], v1 offset:1296
	s_waitcnt vmcnt(9) lgkmcnt(1)
	v_mul_f64 v[216:217], v[165:166], v[32:33]
	v_mul_f64 v[32:33], v[167:168], v[32:33]
	s_waitcnt vmcnt(8) lgkmcnt(0)
	v_mul_f64 v[222:223], v[2:3], v[36:37]
	v_mul_f64 v[36:37], v[4:5], v[36:37]
	v_add_f64 v[212:213], v[212:213], v[161:162]
	v_add_f64 v[214:215], v[214:215], v[163:164]
	ds_load_b128 v[161:164], v1 offset:1312
	v_fma_f64 v[167:168], v[167:168], v[30:31], v[216:217]
	v_fma_f64 v[165:166], v[165:166], v[30:31], -v[32:33]
	scratch_load_b128 v[30:33], off, off offset:624
	v_add_f64 v[212:213], v[212:213], v[220:221]
	v_add_f64 v[214:215], v[214:215], v[218:219]
	v_fma_f64 v[218:219], v[4:5], v[34:35], v[222:223]
	v_fma_f64 v[220:221], v[2:3], v[34:35], -v[36:37]
	scratch_load_b128 v[34:37], off, off offset:640
	ds_load_b128 v[2:5], v1 offset:1328
	s_waitcnt vmcnt(9) lgkmcnt(1)
	v_mul_f64 v[216:217], v[161:162], v[159:160]
	v_mul_f64 v[159:160], v[163:164], v[159:160]
	s_waitcnt vmcnt(8) lgkmcnt(0)
	v_mul_f64 v[222:223], v[2:3], v[40:41]
	v_mul_f64 v[40:41], v[4:5], v[40:41]
	v_add_f64 v[212:213], v[212:213], v[165:166]
	v_add_f64 v[214:215], v[214:215], v[167:168]
	ds_load_b128 v[165:168], v1 offset:1344
	v_fma_f64 v[163:164], v[163:164], v[157:158], v[216:217]
	v_fma_f64 v[161:162], v[161:162], v[157:158], -v[159:160]
	scratch_load_b128 v[157:160], off, off offset:656
	v_add_f64 v[212:213], v[212:213], v[220:221]
	v_add_f64 v[214:215], v[214:215], v[218:219]
	;; [unrolled: 18-line block ×6, first 2 shown]
	v_fma_f64 v[220:221], v[4:5], v[34:35], v[222:223]
	v_fma_f64 v[222:223], v[2:3], v[34:35], -v[36:37]
	scratch_load_b128 v[34:37], off, off offset:800
	ds_load_b128 v[2:5], v1 offset:1488
	s_waitcnt vmcnt(9) lgkmcnt(1)
	v_mul_f64 v[216:217], v[165:166], v[159:160]
	v_mul_f64 v[218:219], v[167:168], v[159:160]
	v_add_f64 v[212:213], v[212:213], v[161:162]
	v_add_f64 v[163:164], v[214:215], v[163:164]
	s_waitcnt vmcnt(8) lgkmcnt(0)
	v_mul_f64 v[214:215], v[2:3], v[40:41]
	v_mul_f64 v[40:41], v[4:5], v[40:41]
	ds_load_b128 v[159:162], v1 offset:1504
	v_fma_f64 v[167:168], v[167:168], v[157:158], v[216:217]
	v_fma_f64 v[157:158], v[165:166], v[157:158], -v[218:219]
	v_add_f64 v[165:166], v[212:213], v[222:223]
	v_add_f64 v[163:164], v[163:164], v[220:221]
	s_waitcnt vmcnt(7) lgkmcnt(0)
	v_mul_f64 v[212:213], v[159:160], v[8:9]
	v_mul_f64 v[8:9], v[161:162], v[8:9]
	v_fma_f64 v[214:215], v[4:5], v[38:39], v[214:215]
	v_fma_f64 v[216:217], v[2:3], v[38:39], -v[40:41]
	ds_load_b128 v[2:5], v1 offset:1520
	ds_load_b128 v[38:41], v1 offset:1536
	v_add_f64 v[157:158], v[165:166], v[157:158]
	v_add_f64 v[163:164], v[163:164], v[167:168]
	s_waitcnt vmcnt(6) lgkmcnt(1)
	v_mul_f64 v[165:166], v[2:3], v[12:13]
	v_mul_f64 v[12:13], v[4:5], v[12:13]
	v_fma_f64 v[161:162], v[161:162], v[6:7], v[212:213]
	v_fma_f64 v[6:7], v[159:160], v[6:7], -v[8:9]
	s_waitcnt vmcnt(5) lgkmcnt(0)
	v_mul_f64 v[159:160], v[38:39], v[16:17]
	v_mul_f64 v[16:17], v[40:41], v[16:17]
	v_add_f64 v[8:9], v[157:158], v[216:217]
	v_add_f64 v[157:158], v[163:164], v[214:215]
	v_fma_f64 v[163:164], v[4:5], v[10:11], v[165:166]
	v_fma_f64 v[10:11], v[2:3], v[10:11], -v[12:13]
	v_fma_f64 v[40:41], v[40:41], v[14:15], v[159:160]
	v_fma_f64 v[14:15], v[38:39], v[14:15], -v[16:17]
	v_add_f64 v[12:13], v[8:9], v[6:7]
	v_add_f64 v[157:158], v[157:158], v[161:162]
	ds_load_b128 v[2:5], v1 offset:1552
	ds_load_b128 v[6:9], v1 offset:1568
	s_waitcnt vmcnt(4) lgkmcnt(1)
	v_mul_f64 v[161:162], v[2:3], v[20:21]
	v_mul_f64 v[20:21], v[4:5], v[20:21]
	s_waitcnt vmcnt(3) lgkmcnt(0)
	v_mul_f64 v[16:17], v[6:7], v[24:25]
	v_mul_f64 v[24:25], v[8:9], v[24:25]
	v_add_f64 v[10:11], v[12:13], v[10:11]
	v_add_f64 v[12:13], v[157:158], v[163:164]
	v_fma_f64 v[38:39], v[4:5], v[18:19], v[161:162]
	v_fma_f64 v[18:19], v[2:3], v[18:19], -v[20:21]
	v_fma_f64 v[8:9], v[8:9], v[22:23], v[16:17]
	v_fma_f64 v[6:7], v[6:7], v[22:23], -v[24:25]
	v_add_f64 v[14:15], v[10:11], v[14:15]
	v_add_f64 v[20:21], v[12:13], v[40:41]
	ds_load_b128 v[2:5], v1 offset:1584
	ds_load_b128 v[10:13], v1 offset:1600
	s_waitcnt vmcnt(2) lgkmcnt(1)
	v_mul_f64 v[40:41], v[2:3], v[28:29]
	v_mul_f64 v[28:29], v[4:5], v[28:29]
	v_add_f64 v[14:15], v[14:15], v[18:19]
	v_add_f64 v[16:17], v[20:21], v[38:39]
	s_waitcnt vmcnt(1) lgkmcnt(0)
	v_mul_f64 v[18:19], v[10:11], v[32:33]
	v_mul_f64 v[20:21], v[12:13], v[32:33]
	v_fma_f64 v[22:23], v[4:5], v[26:27], v[40:41]
	v_fma_f64 v[24:25], v[2:3], v[26:27], -v[28:29]
	ds_load_b128 v[2:5], v1 offset:1616
	v_add_f64 v[6:7], v[14:15], v[6:7]
	v_add_f64 v[8:9], v[16:17], v[8:9]
	v_fma_f64 v[12:13], v[12:13], v[30:31], v[18:19]
	v_fma_f64 v[10:11], v[10:11], v[30:31], -v[20:21]
	s_waitcnt vmcnt(0) lgkmcnt(0)
	v_mul_f64 v[14:15], v[2:3], v[36:37]
	v_mul_f64 v[16:17], v[4:5], v[36:37]
	v_add_f64 v[6:7], v[6:7], v[24:25]
	v_add_f64 v[8:9], v[8:9], v[22:23]
	s_delay_alu instid0(VALU_DEP_4) | instskip(NEXT) | instid1(VALU_DEP_4)
	v_fma_f64 v[4:5], v[4:5], v[34:35], v[14:15]
	v_fma_f64 v[2:3], v[2:3], v[34:35], -v[16:17]
	s_delay_alu instid0(VALU_DEP_4) | instskip(NEXT) | instid1(VALU_DEP_4)
	v_add_f64 v[6:7], v[6:7], v[10:11]
	v_add_f64 v[8:9], v[8:9], v[12:13]
	s_delay_alu instid0(VALU_DEP_2) | instskip(NEXT) | instid1(VALU_DEP_2)
	v_add_f64 v[2:3], v[6:7], v[2:3]
	v_add_f64 v[4:5], v[8:9], v[4:5]
	s_delay_alu instid0(VALU_DEP_2) | instskip(NEXT) | instid1(VALU_DEP_2)
	v_add_f64 v[2:3], v[42:43], -v[2:3]
	v_add_f64 v[4:5], v[44:45], -v[4:5]
	scratch_store_b128 off, v[2:5], off offset:176
	v_cmpx_lt_u32_e32 10, v148
	s_cbranch_execz .LBB114_299
; %bb.298:
	scratch_load_b128 v[5:8], v189, off
	v_mov_b32_e32 v2, v1
	v_mov_b32_e32 v3, v1
	;; [unrolled: 1-line block ×3, first 2 shown]
	scratch_store_b128 off, v[1:4], off offset:160
	s_waitcnt vmcnt(0)
	ds_store_b128 v199, v[5:8]
.LBB114_299:
	s_or_b32 exec_lo, exec_lo, s2
	s_waitcnt lgkmcnt(0)
	s_waitcnt_vscnt null, 0x0
	s_barrier
	buffer_gl0_inv
	s_clause 0x8
	scratch_load_b128 v[2:5], off, off offset:176
	scratch_load_b128 v[6:9], off, off offset:192
	;; [unrolled: 1-line block ×9, first 2 shown]
	ds_load_b128 v[42:45], v1 offset:992
	ds_load_b128 v[38:41], v1 offset:1008
	s_clause 0x1
	scratch_load_b128 v[157:160], off, off offset:160
	scratch_load_b128 v[161:164], off, off offset:320
	s_mov_b32 s2, exec_lo
	s_waitcnt vmcnt(10) lgkmcnt(1)
	v_mul_f64 v[165:166], v[44:45], v[4:5]
	v_mul_f64 v[4:5], v[42:43], v[4:5]
	s_waitcnt vmcnt(9) lgkmcnt(0)
	v_mul_f64 v[212:213], v[38:39], v[8:9]
	v_mul_f64 v[8:9], v[40:41], v[8:9]
	s_delay_alu instid0(VALU_DEP_4) | instskip(NEXT) | instid1(VALU_DEP_4)
	v_fma_f64 v[214:215], v[42:43], v[2:3], -v[165:166]
	v_fma_f64 v[216:217], v[44:45], v[2:3], v[4:5]
	ds_load_b128 v[2:5], v1 offset:1024
	ds_load_b128 v[165:168], v1 offset:1040
	scratch_load_b128 v[42:45], off, off offset:336
	v_fma_f64 v[40:41], v[40:41], v[6:7], v[212:213]
	v_fma_f64 v[38:39], v[38:39], v[6:7], -v[8:9]
	scratch_load_b128 v[6:9], off, off offset:352
	s_waitcnt vmcnt(10) lgkmcnt(1)
	v_mul_f64 v[218:219], v[2:3], v[12:13]
	v_mul_f64 v[12:13], v[4:5], v[12:13]
	v_add_f64 v[212:213], v[214:215], 0
	v_add_f64 v[214:215], v[216:217], 0
	s_waitcnt vmcnt(9) lgkmcnt(0)
	v_mul_f64 v[216:217], v[165:166], v[16:17]
	v_mul_f64 v[16:17], v[167:168], v[16:17]
	v_fma_f64 v[218:219], v[4:5], v[10:11], v[218:219]
	v_fma_f64 v[220:221], v[2:3], v[10:11], -v[12:13]
	ds_load_b128 v[2:5], v1 offset:1056
	scratch_load_b128 v[10:13], off, off offset:368
	v_add_f64 v[212:213], v[212:213], v[38:39]
	v_add_f64 v[214:215], v[214:215], v[40:41]
	ds_load_b128 v[38:41], v1 offset:1072
	v_fma_f64 v[167:168], v[167:168], v[14:15], v[216:217]
	v_fma_f64 v[165:166], v[165:166], v[14:15], -v[16:17]
	scratch_load_b128 v[14:17], off, off offset:384
	s_waitcnt vmcnt(10) lgkmcnt(1)
	v_mul_f64 v[222:223], v[2:3], v[20:21]
	v_mul_f64 v[20:21], v[4:5], v[20:21]
	s_waitcnt vmcnt(9) lgkmcnt(0)
	v_mul_f64 v[216:217], v[38:39], v[24:25]
	v_mul_f64 v[24:25], v[40:41], v[24:25]
	v_add_f64 v[212:213], v[212:213], v[220:221]
	v_add_f64 v[214:215], v[214:215], v[218:219]
	v_fma_f64 v[218:219], v[4:5], v[18:19], v[222:223]
	v_fma_f64 v[220:221], v[2:3], v[18:19], -v[20:21]
	ds_load_b128 v[2:5], v1 offset:1088
	scratch_load_b128 v[18:21], off, off offset:400
	v_fma_f64 v[40:41], v[40:41], v[22:23], v[216:217]
	v_fma_f64 v[38:39], v[38:39], v[22:23], -v[24:25]
	scratch_load_b128 v[22:25], off, off offset:416
	v_add_f64 v[212:213], v[212:213], v[165:166]
	v_add_f64 v[214:215], v[214:215], v[167:168]
	ds_load_b128 v[165:168], v1 offset:1104
	s_waitcnt vmcnt(10) lgkmcnt(1)
	v_mul_f64 v[222:223], v[2:3], v[28:29]
	v_mul_f64 v[28:29], v[4:5], v[28:29]
	s_waitcnt vmcnt(9) lgkmcnt(0)
	v_mul_f64 v[216:217], v[165:166], v[32:33]
	v_mul_f64 v[32:33], v[167:168], v[32:33]
	v_add_f64 v[212:213], v[212:213], v[220:221]
	v_add_f64 v[214:215], v[214:215], v[218:219]
	v_fma_f64 v[218:219], v[4:5], v[26:27], v[222:223]
	v_fma_f64 v[220:221], v[2:3], v[26:27], -v[28:29]
	ds_load_b128 v[2:5], v1 offset:1120
	scratch_load_b128 v[26:29], off, off offset:432
	v_fma_f64 v[167:168], v[167:168], v[30:31], v[216:217]
	v_fma_f64 v[165:166], v[165:166], v[30:31], -v[32:33]
	scratch_load_b128 v[30:33], off, off offset:448
	v_add_f64 v[212:213], v[212:213], v[38:39]
	v_add_f64 v[214:215], v[214:215], v[40:41]
	ds_load_b128 v[38:41], v1 offset:1136
	s_waitcnt vmcnt(10) lgkmcnt(1)
	v_mul_f64 v[222:223], v[2:3], v[36:37]
	v_mul_f64 v[36:37], v[4:5], v[36:37]
	s_waitcnt vmcnt(8) lgkmcnt(0)
	v_mul_f64 v[216:217], v[38:39], v[163:164]
	v_add_f64 v[212:213], v[212:213], v[220:221]
	v_add_f64 v[214:215], v[214:215], v[218:219]
	v_mul_f64 v[218:219], v[40:41], v[163:164]
	v_fma_f64 v[220:221], v[4:5], v[34:35], v[222:223]
	v_fma_f64 v[222:223], v[2:3], v[34:35], -v[36:37]
	ds_load_b128 v[2:5], v1 offset:1152
	scratch_load_b128 v[34:37], off, off offset:464
	v_fma_f64 v[216:217], v[40:41], v[161:162], v[216:217]
	v_add_f64 v[212:213], v[212:213], v[165:166]
	v_add_f64 v[167:168], v[214:215], v[167:168]
	ds_load_b128 v[163:166], v1 offset:1168
	v_fma_f64 v[161:162], v[38:39], v[161:162], -v[218:219]
	scratch_load_b128 v[38:41], off, off offset:480
	s_waitcnt vmcnt(9) lgkmcnt(1)
	v_mul_f64 v[214:215], v[2:3], v[44:45]
	v_mul_f64 v[44:45], v[4:5], v[44:45]
	s_waitcnt vmcnt(8) lgkmcnt(0)
	v_mul_f64 v[218:219], v[163:164], v[8:9]
	v_mul_f64 v[8:9], v[165:166], v[8:9]
	v_add_f64 v[212:213], v[212:213], v[222:223]
	v_add_f64 v[167:168], v[167:168], v[220:221]
	v_fma_f64 v[220:221], v[4:5], v[42:43], v[214:215]
	v_fma_f64 v[222:223], v[2:3], v[42:43], -v[44:45]
	ds_load_b128 v[2:5], v1 offset:1184
	scratch_load_b128 v[42:45], off, off offset:496
	v_fma_f64 v[165:166], v[165:166], v[6:7], v[218:219]
	v_fma_f64 v[163:164], v[163:164], v[6:7], -v[8:9]
	scratch_load_b128 v[6:9], off, off offset:512
	v_add_f64 v[161:162], v[212:213], v[161:162]
	v_add_f64 v[167:168], v[167:168], v[216:217]
	ds_load_b128 v[212:215], v1 offset:1200
	s_waitcnt vmcnt(9) lgkmcnt(1)
	v_mul_f64 v[216:217], v[2:3], v[12:13]
	v_mul_f64 v[12:13], v[4:5], v[12:13]
	s_waitcnt vmcnt(8) lgkmcnt(0)
	v_mul_f64 v[218:219], v[212:213], v[16:17]
	v_mul_f64 v[16:17], v[214:215], v[16:17]
	v_add_f64 v[161:162], v[161:162], v[222:223]
	v_add_f64 v[167:168], v[167:168], v[220:221]
	v_fma_f64 v[216:217], v[4:5], v[10:11], v[216:217]
	v_fma_f64 v[220:221], v[2:3], v[10:11], -v[12:13]
	ds_load_b128 v[2:5], v1 offset:1216
	scratch_load_b128 v[10:13], off, off offset:528
	v_fma_f64 v[214:215], v[214:215], v[14:15], v[218:219]
	v_fma_f64 v[212:213], v[212:213], v[14:15], -v[16:17]
	scratch_load_b128 v[14:17], off, off offset:544
	v_add_f64 v[222:223], v[161:162], v[163:164]
	v_add_f64 v[165:166], v[167:168], v[165:166]
	ds_load_b128 v[161:164], v1 offset:1232
	s_waitcnt vmcnt(9) lgkmcnt(1)
	v_mul_f64 v[167:168], v[2:3], v[20:21]
	v_mul_f64 v[20:21], v[4:5], v[20:21]
	v_add_f64 v[218:219], v[222:223], v[220:221]
	v_add_f64 v[165:166], v[165:166], v[216:217]
	s_waitcnt vmcnt(8) lgkmcnt(0)
	v_mul_f64 v[216:217], v[161:162], v[24:25]
	v_mul_f64 v[24:25], v[163:164], v[24:25]
	v_fma_f64 v[220:221], v[4:5], v[18:19], v[167:168]
	v_fma_f64 v[222:223], v[2:3], v[18:19], -v[20:21]
	ds_load_b128 v[2:5], v1 offset:1248
	scratch_load_b128 v[18:21], off, off offset:560
	v_add_f64 v[212:213], v[218:219], v[212:213]
	v_add_f64 v[214:215], v[165:166], v[214:215]
	ds_load_b128 v[165:168], v1 offset:1264
	s_waitcnt vmcnt(8) lgkmcnt(1)
	v_mul_f64 v[218:219], v[2:3], v[28:29]
	v_mul_f64 v[28:29], v[4:5], v[28:29]
	v_fma_f64 v[163:164], v[163:164], v[22:23], v[216:217]
	v_fma_f64 v[161:162], v[161:162], v[22:23], -v[24:25]
	scratch_load_b128 v[22:25], off, off offset:576
	s_waitcnt vmcnt(8) lgkmcnt(0)
	v_mul_f64 v[216:217], v[165:166], v[32:33]
	v_mul_f64 v[32:33], v[167:168], v[32:33]
	v_add_f64 v[212:213], v[212:213], v[222:223]
	v_add_f64 v[214:215], v[214:215], v[220:221]
	v_fma_f64 v[218:219], v[4:5], v[26:27], v[218:219]
	v_fma_f64 v[220:221], v[2:3], v[26:27], -v[28:29]
	ds_load_b128 v[2:5], v1 offset:1280
	scratch_load_b128 v[26:29], off, off offset:592
	v_fma_f64 v[167:168], v[167:168], v[30:31], v[216:217]
	v_fma_f64 v[165:166], v[165:166], v[30:31], -v[32:33]
	scratch_load_b128 v[30:33], off, off offset:608
	v_add_f64 v[212:213], v[212:213], v[161:162]
	v_add_f64 v[214:215], v[214:215], v[163:164]
	ds_load_b128 v[161:164], v1 offset:1296
	s_waitcnt vmcnt(9) lgkmcnt(1)
	v_mul_f64 v[222:223], v[2:3], v[36:37]
	v_mul_f64 v[36:37], v[4:5], v[36:37]
	s_waitcnt vmcnt(8) lgkmcnt(0)
	v_mul_f64 v[216:217], v[161:162], v[40:41]
	v_mul_f64 v[40:41], v[163:164], v[40:41]
	v_add_f64 v[212:213], v[212:213], v[220:221]
	v_add_f64 v[214:215], v[214:215], v[218:219]
	v_fma_f64 v[218:219], v[4:5], v[34:35], v[222:223]
	v_fma_f64 v[220:221], v[2:3], v[34:35], -v[36:37]
	ds_load_b128 v[2:5], v1 offset:1312
	scratch_load_b128 v[34:37], off, off offset:624
	v_fma_f64 v[163:164], v[163:164], v[38:39], v[216:217]
	v_fma_f64 v[161:162], v[161:162], v[38:39], -v[40:41]
	scratch_load_b128 v[38:41], off, off offset:640
	v_add_f64 v[212:213], v[212:213], v[165:166]
	v_add_f64 v[214:215], v[214:215], v[167:168]
	ds_load_b128 v[165:168], v1 offset:1328
	s_waitcnt vmcnt(9) lgkmcnt(1)
	v_mul_f64 v[222:223], v[2:3], v[44:45]
	v_mul_f64 v[44:45], v[4:5], v[44:45]
	;; [unrolled: 18-line block ×7, first 2 shown]
	s_waitcnt vmcnt(8) lgkmcnt(0)
	v_mul_f64 v[216:217], v[161:162], v[8:9]
	v_mul_f64 v[8:9], v[163:164], v[8:9]
	v_add_f64 v[212:213], v[212:213], v[220:221]
	v_add_f64 v[214:215], v[214:215], v[218:219]
	v_fma_f64 v[218:219], v[4:5], v[42:43], v[222:223]
	v_fma_f64 v[220:221], v[2:3], v[42:43], -v[44:45]
	ds_load_b128 v[2:5], v1 offset:1504
	ds_load_b128 v[42:45], v1 offset:1520
	v_fma_f64 v[163:164], v[163:164], v[6:7], v[216:217]
	v_fma_f64 v[6:7], v[161:162], v[6:7], -v[8:9]
	v_add_f64 v[165:166], v[212:213], v[165:166]
	v_add_f64 v[167:168], v[214:215], v[167:168]
	s_waitcnt vmcnt(7) lgkmcnt(1)
	v_mul_f64 v[212:213], v[2:3], v[12:13]
	v_mul_f64 v[12:13], v[4:5], v[12:13]
	s_delay_alu instid0(VALU_DEP_4) | instskip(NEXT) | instid1(VALU_DEP_4)
	v_add_f64 v[8:9], v[165:166], v[220:221]
	v_add_f64 v[161:162], v[167:168], v[218:219]
	s_waitcnt vmcnt(6) lgkmcnt(0)
	v_mul_f64 v[165:166], v[42:43], v[16:17]
	v_mul_f64 v[16:17], v[44:45], v[16:17]
	v_fma_f64 v[167:168], v[4:5], v[10:11], v[212:213]
	v_fma_f64 v[10:11], v[2:3], v[10:11], -v[12:13]
	v_add_f64 v[12:13], v[8:9], v[6:7]
	v_add_f64 v[161:162], v[161:162], v[163:164]
	ds_load_b128 v[2:5], v1 offset:1536
	ds_load_b128 v[6:9], v1 offset:1552
	v_fma_f64 v[44:45], v[44:45], v[14:15], v[165:166]
	v_fma_f64 v[14:15], v[42:43], v[14:15], -v[16:17]
	s_waitcnt vmcnt(5) lgkmcnt(1)
	v_mul_f64 v[163:164], v[2:3], v[20:21]
	v_mul_f64 v[20:21], v[4:5], v[20:21]
	s_waitcnt vmcnt(4) lgkmcnt(0)
	v_mul_f64 v[16:17], v[6:7], v[24:25]
	v_mul_f64 v[24:25], v[8:9], v[24:25]
	v_add_f64 v[10:11], v[12:13], v[10:11]
	v_add_f64 v[12:13], v[161:162], v[167:168]
	v_fma_f64 v[42:43], v[4:5], v[18:19], v[163:164]
	v_fma_f64 v[18:19], v[2:3], v[18:19], -v[20:21]
	v_fma_f64 v[8:9], v[8:9], v[22:23], v[16:17]
	v_fma_f64 v[6:7], v[6:7], v[22:23], -v[24:25]
	v_add_f64 v[14:15], v[10:11], v[14:15]
	v_add_f64 v[20:21], v[12:13], v[44:45]
	ds_load_b128 v[2:5], v1 offset:1568
	ds_load_b128 v[10:13], v1 offset:1584
	s_waitcnt vmcnt(3) lgkmcnt(1)
	v_mul_f64 v[44:45], v[2:3], v[28:29]
	v_mul_f64 v[28:29], v[4:5], v[28:29]
	v_add_f64 v[14:15], v[14:15], v[18:19]
	v_add_f64 v[16:17], v[20:21], v[42:43]
	s_waitcnt vmcnt(2) lgkmcnt(0)
	v_mul_f64 v[18:19], v[10:11], v[32:33]
	v_mul_f64 v[20:21], v[12:13], v[32:33]
	v_fma_f64 v[22:23], v[4:5], v[26:27], v[44:45]
	v_fma_f64 v[24:25], v[2:3], v[26:27], -v[28:29]
	v_add_f64 v[14:15], v[14:15], v[6:7]
	v_add_f64 v[16:17], v[16:17], v[8:9]
	ds_load_b128 v[2:5], v1 offset:1600
	ds_load_b128 v[6:9], v1 offset:1616
	v_fma_f64 v[12:13], v[12:13], v[30:31], v[18:19]
	v_fma_f64 v[10:11], v[10:11], v[30:31], -v[20:21]
	s_waitcnt vmcnt(1) lgkmcnt(1)
	v_mul_f64 v[26:27], v[2:3], v[36:37]
	v_mul_f64 v[28:29], v[4:5], v[36:37]
	s_waitcnt vmcnt(0) lgkmcnt(0)
	v_mul_f64 v[18:19], v[6:7], v[40:41]
	v_mul_f64 v[20:21], v[8:9], v[40:41]
	v_add_f64 v[14:15], v[14:15], v[24:25]
	v_add_f64 v[16:17], v[16:17], v[22:23]
	v_fma_f64 v[4:5], v[4:5], v[34:35], v[26:27]
	v_fma_f64 v[1:2], v[2:3], v[34:35], -v[28:29]
	v_fma_f64 v[8:9], v[8:9], v[38:39], v[18:19]
	v_fma_f64 v[6:7], v[6:7], v[38:39], -v[20:21]
	v_add_f64 v[10:11], v[14:15], v[10:11]
	v_add_f64 v[12:13], v[16:17], v[12:13]
	s_delay_alu instid0(VALU_DEP_2) | instskip(NEXT) | instid1(VALU_DEP_2)
	v_add_f64 v[1:2], v[10:11], v[1:2]
	v_add_f64 v[3:4], v[12:13], v[4:5]
	s_delay_alu instid0(VALU_DEP_2) | instskip(NEXT) | instid1(VALU_DEP_2)
	;; [unrolled: 3-line block ×3, first 2 shown]
	v_add_f64 v[1:2], v[157:158], -v[1:2]
	v_add_f64 v[3:4], v[159:160], -v[3:4]
	scratch_store_b128 off, v[1:4], off offset:160
	v_cmpx_lt_u32_e32 9, v148
	s_cbranch_execz .LBB114_301
; %bb.300:
	scratch_load_b128 v[1:4], v190, off
	v_mov_b32_e32 v5, 0
	s_delay_alu instid0(VALU_DEP_1)
	v_mov_b32_e32 v6, v5
	v_mov_b32_e32 v7, v5
	;; [unrolled: 1-line block ×3, first 2 shown]
	scratch_store_b128 off, v[5:8], off offset:144
	s_waitcnt vmcnt(0)
	ds_store_b128 v199, v[1:4]
.LBB114_301:
	s_or_b32 exec_lo, exec_lo, s2
	s_waitcnt lgkmcnt(0)
	s_waitcnt_vscnt null, 0x0
	s_barrier
	buffer_gl0_inv
	s_clause 0x7
	scratch_load_b128 v[2:5], off, off offset:160
	scratch_load_b128 v[6:9], off, off offset:176
	;; [unrolled: 1-line block ×8, first 2 shown]
	v_mov_b32_e32 v1, 0
	s_mov_b32 s2, exec_lo
	ds_load_b128 v[38:41], v1 offset:976
	s_clause 0x1
	scratch_load_b128 v[34:37], off, off offset:288
	scratch_load_b128 v[42:45], off, off offset:144
	ds_load_b128 v[157:160], v1 offset:992
	scratch_load_b128 v[161:164], off, off offset:304
	s_waitcnt vmcnt(10) lgkmcnt(1)
	v_mul_f64 v[165:166], v[40:41], v[4:5]
	v_mul_f64 v[4:5], v[38:39], v[4:5]
	s_delay_alu instid0(VALU_DEP_2) | instskip(NEXT) | instid1(VALU_DEP_2)
	v_fma_f64 v[214:215], v[38:39], v[2:3], -v[165:166]
	v_fma_f64 v[216:217], v[40:41], v[2:3], v[4:5]
	scratch_load_b128 v[38:41], off, off offset:320
	ds_load_b128 v[2:5], v1 offset:1008
	s_waitcnt vmcnt(10) lgkmcnt(1)
	v_mul_f64 v[212:213], v[157:158], v[8:9]
	v_mul_f64 v[8:9], v[159:160], v[8:9]
	ds_load_b128 v[165:168], v1 offset:1024
	s_waitcnt vmcnt(9) lgkmcnt(1)
	v_mul_f64 v[218:219], v[2:3], v[12:13]
	v_mul_f64 v[12:13], v[4:5], v[12:13]
	v_fma_f64 v[159:160], v[159:160], v[6:7], v[212:213]
	v_fma_f64 v[157:158], v[157:158], v[6:7], -v[8:9]
	v_add_f64 v[212:213], v[214:215], 0
	v_add_f64 v[214:215], v[216:217], 0
	scratch_load_b128 v[6:9], off, off offset:336
	v_fma_f64 v[218:219], v[4:5], v[10:11], v[218:219]
	v_fma_f64 v[220:221], v[2:3], v[10:11], -v[12:13]
	scratch_load_b128 v[10:13], off, off offset:352
	ds_load_b128 v[2:5], v1 offset:1040
	s_waitcnt vmcnt(10) lgkmcnt(1)
	v_mul_f64 v[216:217], v[165:166], v[16:17]
	v_mul_f64 v[16:17], v[167:168], v[16:17]
	v_add_f64 v[212:213], v[212:213], v[157:158]
	v_add_f64 v[214:215], v[214:215], v[159:160]
	s_waitcnt vmcnt(9) lgkmcnt(0)
	v_mul_f64 v[222:223], v[2:3], v[20:21]
	v_mul_f64 v[20:21], v[4:5], v[20:21]
	ds_load_b128 v[157:160], v1 offset:1056
	v_fma_f64 v[167:168], v[167:168], v[14:15], v[216:217]
	v_fma_f64 v[165:166], v[165:166], v[14:15], -v[16:17]
	scratch_load_b128 v[14:17], off, off offset:368
	v_add_f64 v[212:213], v[212:213], v[220:221]
	v_add_f64 v[214:215], v[214:215], v[218:219]
	v_fma_f64 v[218:219], v[4:5], v[18:19], v[222:223]
	v_fma_f64 v[220:221], v[2:3], v[18:19], -v[20:21]
	scratch_load_b128 v[18:21], off, off offset:384
	ds_load_b128 v[2:5], v1 offset:1072
	s_waitcnt vmcnt(10) lgkmcnt(1)
	v_mul_f64 v[216:217], v[157:158], v[24:25]
	v_mul_f64 v[24:25], v[159:160], v[24:25]
	s_waitcnt vmcnt(9) lgkmcnt(0)
	v_mul_f64 v[222:223], v[2:3], v[28:29]
	v_mul_f64 v[28:29], v[4:5], v[28:29]
	v_add_f64 v[212:213], v[212:213], v[165:166]
	v_add_f64 v[214:215], v[214:215], v[167:168]
	ds_load_b128 v[165:168], v1 offset:1088
	v_fma_f64 v[159:160], v[159:160], v[22:23], v[216:217]
	v_fma_f64 v[157:158], v[157:158], v[22:23], -v[24:25]
	scratch_load_b128 v[22:25], off, off offset:400
	v_add_f64 v[212:213], v[212:213], v[220:221]
	v_add_f64 v[214:215], v[214:215], v[218:219]
	v_fma_f64 v[218:219], v[4:5], v[26:27], v[222:223]
	v_fma_f64 v[220:221], v[2:3], v[26:27], -v[28:29]
	scratch_load_b128 v[26:29], off, off offset:416
	ds_load_b128 v[2:5], v1 offset:1104
	s_waitcnt vmcnt(10) lgkmcnt(1)
	v_mul_f64 v[216:217], v[165:166], v[32:33]
	v_mul_f64 v[32:33], v[167:168], v[32:33]
	s_waitcnt vmcnt(9) lgkmcnt(0)
	v_mul_f64 v[222:223], v[2:3], v[36:37]
	v_mul_f64 v[36:37], v[4:5], v[36:37]
	v_add_f64 v[212:213], v[212:213], v[157:158]
	v_add_f64 v[214:215], v[214:215], v[159:160]
	ds_load_b128 v[157:160], v1 offset:1120
	v_fma_f64 v[167:168], v[167:168], v[30:31], v[216:217]
	v_fma_f64 v[165:166], v[165:166], v[30:31], -v[32:33]
	scratch_load_b128 v[30:33], off, off offset:432
	v_add_f64 v[212:213], v[212:213], v[220:221]
	v_add_f64 v[214:215], v[214:215], v[218:219]
	v_fma_f64 v[220:221], v[4:5], v[34:35], v[222:223]
	v_fma_f64 v[222:223], v[2:3], v[34:35], -v[36:37]
	scratch_load_b128 v[34:37], off, off offset:448
	ds_load_b128 v[2:5], v1 offset:1136
	s_waitcnt vmcnt(9) lgkmcnt(1)
	v_mul_f64 v[216:217], v[157:158], v[163:164]
	v_mul_f64 v[218:219], v[159:160], v[163:164]
	v_add_f64 v[212:213], v[212:213], v[165:166]
	v_add_f64 v[167:168], v[214:215], v[167:168]
	ds_load_b128 v[163:166], v1 offset:1152
	v_fma_f64 v[216:217], v[159:160], v[161:162], v[216:217]
	v_fma_f64 v[161:162], v[157:158], v[161:162], -v[218:219]
	scratch_load_b128 v[157:160], off, off offset:464
	s_waitcnt vmcnt(9) lgkmcnt(1)
	v_mul_f64 v[214:215], v[2:3], v[40:41]
	v_mul_f64 v[40:41], v[4:5], v[40:41]
	v_add_f64 v[212:213], v[212:213], v[222:223]
	v_add_f64 v[167:168], v[167:168], v[220:221]
	s_delay_alu instid0(VALU_DEP_4) | instskip(NEXT) | instid1(VALU_DEP_4)
	v_fma_f64 v[220:221], v[4:5], v[38:39], v[214:215]
	v_fma_f64 v[222:223], v[2:3], v[38:39], -v[40:41]
	scratch_load_b128 v[38:41], off, off offset:480
	ds_load_b128 v[2:5], v1 offset:1168
	s_waitcnt vmcnt(9) lgkmcnt(1)
	v_mul_f64 v[218:219], v[163:164], v[8:9]
	v_mul_f64 v[8:9], v[165:166], v[8:9]
	v_add_f64 v[161:162], v[212:213], v[161:162]
	v_add_f64 v[167:168], v[167:168], v[216:217]
	s_waitcnt vmcnt(8) lgkmcnt(0)
	v_mul_f64 v[216:217], v[2:3], v[12:13]
	v_mul_f64 v[12:13], v[4:5], v[12:13]
	ds_load_b128 v[212:215], v1 offset:1184
	v_fma_f64 v[165:166], v[165:166], v[6:7], v[218:219]
	v_fma_f64 v[163:164], v[163:164], v[6:7], -v[8:9]
	scratch_load_b128 v[6:9], off, off offset:496
	v_add_f64 v[161:162], v[161:162], v[222:223]
	v_add_f64 v[167:168], v[167:168], v[220:221]
	v_fma_f64 v[216:217], v[4:5], v[10:11], v[216:217]
	v_fma_f64 v[220:221], v[2:3], v[10:11], -v[12:13]
	scratch_load_b128 v[10:13], off, off offset:512
	ds_load_b128 v[2:5], v1 offset:1200
	s_waitcnt vmcnt(9) lgkmcnt(1)
	v_mul_f64 v[218:219], v[212:213], v[16:17]
	v_mul_f64 v[16:17], v[214:215], v[16:17]
	v_add_f64 v[222:223], v[161:162], v[163:164]
	v_add_f64 v[165:166], v[167:168], v[165:166]
	s_waitcnt vmcnt(8) lgkmcnt(0)
	v_mul_f64 v[167:168], v[2:3], v[20:21]
	v_mul_f64 v[20:21], v[4:5], v[20:21]
	ds_load_b128 v[161:164], v1 offset:1216
	v_fma_f64 v[214:215], v[214:215], v[14:15], v[218:219]
	v_fma_f64 v[212:213], v[212:213], v[14:15], -v[16:17]
	scratch_load_b128 v[14:17], off, off offset:528
	v_add_f64 v[218:219], v[222:223], v[220:221]
	v_add_f64 v[165:166], v[165:166], v[216:217]
	;; [unrolled: 18-line block ×3, first 2 shown]
	v_fma_f64 v[218:219], v[4:5], v[26:27], v[218:219]
	v_fma_f64 v[220:221], v[2:3], v[26:27], -v[28:29]
	scratch_load_b128 v[26:29], off, off offset:576
	ds_load_b128 v[2:5], v1 offset:1264
	s_waitcnt vmcnt(9) lgkmcnt(1)
	v_mul_f64 v[216:217], v[165:166], v[32:33]
	v_mul_f64 v[32:33], v[167:168], v[32:33]
	s_waitcnt vmcnt(8) lgkmcnt(0)
	v_mul_f64 v[222:223], v[2:3], v[36:37]
	v_mul_f64 v[36:37], v[4:5], v[36:37]
	v_add_f64 v[212:213], v[212:213], v[161:162]
	v_add_f64 v[214:215], v[214:215], v[163:164]
	ds_load_b128 v[161:164], v1 offset:1280
	v_fma_f64 v[167:168], v[167:168], v[30:31], v[216:217]
	v_fma_f64 v[165:166], v[165:166], v[30:31], -v[32:33]
	scratch_load_b128 v[30:33], off, off offset:592
	v_add_f64 v[212:213], v[212:213], v[220:221]
	v_add_f64 v[214:215], v[214:215], v[218:219]
	v_fma_f64 v[218:219], v[4:5], v[34:35], v[222:223]
	v_fma_f64 v[220:221], v[2:3], v[34:35], -v[36:37]
	scratch_load_b128 v[34:37], off, off offset:608
	ds_load_b128 v[2:5], v1 offset:1296
	s_waitcnt vmcnt(9) lgkmcnt(1)
	v_mul_f64 v[216:217], v[161:162], v[159:160]
	v_mul_f64 v[159:160], v[163:164], v[159:160]
	s_waitcnt vmcnt(8) lgkmcnt(0)
	v_mul_f64 v[222:223], v[2:3], v[40:41]
	v_mul_f64 v[40:41], v[4:5], v[40:41]
	v_add_f64 v[212:213], v[212:213], v[165:166]
	v_add_f64 v[214:215], v[214:215], v[167:168]
	ds_load_b128 v[165:168], v1 offset:1312
	v_fma_f64 v[163:164], v[163:164], v[157:158], v[216:217]
	v_fma_f64 v[161:162], v[161:162], v[157:158], -v[159:160]
	scratch_load_b128 v[157:160], off, off offset:624
	v_add_f64 v[212:213], v[212:213], v[220:221]
	v_add_f64 v[214:215], v[214:215], v[218:219]
	v_fma_f64 v[218:219], v[4:5], v[38:39], v[222:223]
	v_fma_f64 v[220:221], v[2:3], v[38:39], -v[40:41]
	scratch_load_b128 v[38:41], off, off offset:640
	ds_load_b128 v[2:5], v1 offset:1328
	s_waitcnt vmcnt(9) lgkmcnt(1)
	v_mul_f64 v[216:217], v[165:166], v[8:9]
	v_mul_f64 v[8:9], v[167:168], v[8:9]
	s_waitcnt vmcnt(8) lgkmcnt(0)
	v_mul_f64 v[222:223], v[2:3], v[12:13]
	v_mul_f64 v[12:13], v[4:5], v[12:13]
	v_add_f64 v[212:213], v[212:213], v[161:162]
	v_add_f64 v[214:215], v[214:215], v[163:164]
	ds_load_b128 v[161:164], v1 offset:1344
	v_fma_f64 v[167:168], v[167:168], v[6:7], v[216:217]
	v_fma_f64 v[165:166], v[165:166], v[6:7], -v[8:9]
	scratch_load_b128 v[6:9], off, off offset:656
	v_add_f64 v[212:213], v[212:213], v[220:221]
	v_add_f64 v[214:215], v[214:215], v[218:219]
	v_fma_f64 v[218:219], v[4:5], v[10:11], v[222:223]
	v_fma_f64 v[220:221], v[2:3], v[10:11], -v[12:13]
	scratch_load_b128 v[10:13], off, off offset:672
	ds_load_b128 v[2:5], v1 offset:1360
	s_waitcnt vmcnt(9) lgkmcnt(1)
	v_mul_f64 v[216:217], v[161:162], v[16:17]
	v_mul_f64 v[16:17], v[163:164], v[16:17]
	s_waitcnt vmcnt(8) lgkmcnt(0)
	v_mul_f64 v[222:223], v[2:3], v[20:21]
	v_mul_f64 v[20:21], v[4:5], v[20:21]
	v_add_f64 v[212:213], v[212:213], v[165:166]
	v_add_f64 v[214:215], v[214:215], v[167:168]
	ds_load_b128 v[165:168], v1 offset:1376
	v_fma_f64 v[163:164], v[163:164], v[14:15], v[216:217]
	v_fma_f64 v[161:162], v[161:162], v[14:15], -v[16:17]
	scratch_load_b128 v[14:17], off, off offset:688
	v_add_f64 v[212:213], v[212:213], v[220:221]
	v_add_f64 v[214:215], v[214:215], v[218:219]
	v_fma_f64 v[218:219], v[4:5], v[18:19], v[222:223]
	v_fma_f64 v[220:221], v[2:3], v[18:19], -v[20:21]
	scratch_load_b128 v[18:21], off, off offset:704
	ds_load_b128 v[2:5], v1 offset:1392
	s_waitcnt vmcnt(9) lgkmcnt(1)
	v_mul_f64 v[216:217], v[165:166], v[24:25]
	v_mul_f64 v[24:25], v[167:168], v[24:25]
	s_waitcnt vmcnt(8) lgkmcnt(0)
	v_mul_f64 v[222:223], v[2:3], v[28:29]
	v_mul_f64 v[28:29], v[4:5], v[28:29]
	v_add_f64 v[212:213], v[212:213], v[161:162]
	v_add_f64 v[214:215], v[214:215], v[163:164]
	ds_load_b128 v[161:164], v1 offset:1408
	v_fma_f64 v[167:168], v[167:168], v[22:23], v[216:217]
	v_fma_f64 v[165:166], v[165:166], v[22:23], -v[24:25]
	scratch_load_b128 v[22:25], off, off offset:720
	v_add_f64 v[212:213], v[212:213], v[220:221]
	v_add_f64 v[214:215], v[214:215], v[218:219]
	v_fma_f64 v[218:219], v[4:5], v[26:27], v[222:223]
	v_fma_f64 v[220:221], v[2:3], v[26:27], -v[28:29]
	scratch_load_b128 v[26:29], off, off offset:736
	ds_load_b128 v[2:5], v1 offset:1424
	s_waitcnt vmcnt(9) lgkmcnt(1)
	v_mul_f64 v[216:217], v[161:162], v[32:33]
	v_mul_f64 v[32:33], v[163:164], v[32:33]
	s_waitcnt vmcnt(8) lgkmcnt(0)
	v_mul_f64 v[222:223], v[2:3], v[36:37]
	v_mul_f64 v[36:37], v[4:5], v[36:37]
	v_add_f64 v[212:213], v[212:213], v[165:166]
	v_add_f64 v[214:215], v[214:215], v[167:168]
	ds_load_b128 v[165:168], v1 offset:1440
	v_fma_f64 v[163:164], v[163:164], v[30:31], v[216:217]
	v_fma_f64 v[161:162], v[161:162], v[30:31], -v[32:33]
	scratch_load_b128 v[30:33], off, off offset:752
	v_add_f64 v[212:213], v[212:213], v[220:221]
	v_add_f64 v[214:215], v[214:215], v[218:219]
	v_fma_f64 v[220:221], v[4:5], v[34:35], v[222:223]
	v_fma_f64 v[222:223], v[2:3], v[34:35], -v[36:37]
	scratch_load_b128 v[34:37], off, off offset:768
	ds_load_b128 v[2:5], v1 offset:1456
	s_waitcnt vmcnt(9) lgkmcnt(1)
	v_mul_f64 v[216:217], v[165:166], v[159:160]
	v_mul_f64 v[218:219], v[167:168], v[159:160]
	v_add_f64 v[212:213], v[212:213], v[161:162]
	v_add_f64 v[163:164], v[214:215], v[163:164]
	s_waitcnt vmcnt(8) lgkmcnt(0)
	v_mul_f64 v[214:215], v[2:3], v[40:41]
	v_mul_f64 v[40:41], v[4:5], v[40:41]
	ds_load_b128 v[159:162], v1 offset:1472
	v_fma_f64 v[167:168], v[167:168], v[157:158], v[216:217]
	v_fma_f64 v[157:158], v[165:166], v[157:158], -v[218:219]
	v_add_f64 v[212:213], v[212:213], v[222:223]
	v_add_f64 v[216:217], v[163:164], v[220:221]
	scratch_load_b128 v[163:166], off, off offset:784
	v_fma_f64 v[220:221], v[4:5], v[38:39], v[214:215]
	v_fma_f64 v[222:223], v[2:3], v[38:39], -v[40:41]
	scratch_load_b128 v[38:41], off, off offset:800
	ds_load_b128 v[2:5], v1 offset:1488
	s_waitcnt vmcnt(9) lgkmcnt(1)
	v_mul_f64 v[218:219], v[159:160], v[8:9]
	v_mul_f64 v[8:9], v[161:162], v[8:9]
	v_add_f64 v[157:158], v[212:213], v[157:158]
	v_add_f64 v[167:168], v[216:217], v[167:168]
	s_waitcnt vmcnt(8) lgkmcnt(0)
	v_mul_f64 v[216:217], v[2:3], v[12:13]
	v_mul_f64 v[12:13], v[4:5], v[12:13]
	ds_load_b128 v[212:215], v1 offset:1504
	v_fma_f64 v[161:162], v[161:162], v[6:7], v[218:219]
	v_fma_f64 v[6:7], v[159:160], v[6:7], -v[8:9]
	s_waitcnt vmcnt(7) lgkmcnt(0)
	v_mul_f64 v[159:160], v[212:213], v[16:17]
	v_mul_f64 v[16:17], v[214:215], v[16:17]
	v_add_f64 v[8:9], v[157:158], v[222:223]
	v_add_f64 v[157:158], v[167:168], v[220:221]
	v_fma_f64 v[167:168], v[4:5], v[10:11], v[216:217]
	v_fma_f64 v[10:11], v[2:3], v[10:11], -v[12:13]
	v_fma_f64 v[159:160], v[214:215], v[14:15], v[159:160]
	v_fma_f64 v[14:15], v[212:213], v[14:15], -v[16:17]
	v_add_f64 v[12:13], v[8:9], v[6:7]
	v_add_f64 v[157:158], v[157:158], v[161:162]
	ds_load_b128 v[2:5], v1 offset:1520
	ds_load_b128 v[6:9], v1 offset:1536
	s_waitcnt vmcnt(6) lgkmcnt(1)
	v_mul_f64 v[161:162], v[2:3], v[20:21]
	v_mul_f64 v[20:21], v[4:5], v[20:21]
	s_waitcnt vmcnt(5) lgkmcnt(0)
	v_mul_f64 v[16:17], v[6:7], v[24:25]
	v_mul_f64 v[24:25], v[8:9], v[24:25]
	v_add_f64 v[10:11], v[12:13], v[10:11]
	v_add_f64 v[12:13], v[157:158], v[167:168]
	v_fma_f64 v[157:158], v[4:5], v[18:19], v[161:162]
	v_fma_f64 v[18:19], v[2:3], v[18:19], -v[20:21]
	v_fma_f64 v[8:9], v[8:9], v[22:23], v[16:17]
	v_fma_f64 v[6:7], v[6:7], v[22:23], -v[24:25]
	v_add_f64 v[14:15], v[10:11], v[14:15]
	v_add_f64 v[20:21], v[12:13], v[159:160]
	ds_load_b128 v[2:5], v1 offset:1552
	ds_load_b128 v[10:13], v1 offset:1568
	s_waitcnt vmcnt(4) lgkmcnt(1)
	v_mul_f64 v[159:160], v[2:3], v[28:29]
	v_mul_f64 v[28:29], v[4:5], v[28:29]
	v_add_f64 v[14:15], v[14:15], v[18:19]
	v_add_f64 v[16:17], v[20:21], v[157:158]
	s_waitcnt vmcnt(3) lgkmcnt(0)
	v_mul_f64 v[18:19], v[10:11], v[32:33]
	v_mul_f64 v[20:21], v[12:13], v[32:33]
	v_fma_f64 v[22:23], v[4:5], v[26:27], v[159:160]
	v_fma_f64 v[24:25], v[2:3], v[26:27], -v[28:29]
	v_add_f64 v[14:15], v[14:15], v[6:7]
	v_add_f64 v[16:17], v[16:17], v[8:9]
	ds_load_b128 v[2:5], v1 offset:1584
	ds_load_b128 v[6:9], v1 offset:1600
	v_fma_f64 v[12:13], v[12:13], v[30:31], v[18:19]
	v_fma_f64 v[10:11], v[10:11], v[30:31], -v[20:21]
	s_waitcnt vmcnt(2) lgkmcnt(1)
	v_mul_f64 v[26:27], v[2:3], v[36:37]
	v_mul_f64 v[28:29], v[4:5], v[36:37]
	v_add_f64 v[14:15], v[14:15], v[24:25]
	v_add_f64 v[16:17], v[16:17], v[22:23]
	s_waitcnt vmcnt(1) lgkmcnt(0)
	v_mul_f64 v[18:19], v[6:7], v[165:166]
	v_mul_f64 v[20:21], v[8:9], v[165:166]
	v_fma_f64 v[22:23], v[4:5], v[34:35], v[26:27]
	v_fma_f64 v[24:25], v[2:3], v[34:35], -v[28:29]
	ds_load_b128 v[2:5], v1 offset:1616
	v_add_f64 v[10:11], v[14:15], v[10:11]
	v_add_f64 v[12:13], v[16:17], v[12:13]
	s_waitcnt vmcnt(0) lgkmcnt(0)
	v_mul_f64 v[14:15], v[2:3], v[40:41]
	v_mul_f64 v[16:17], v[4:5], v[40:41]
	v_fma_f64 v[8:9], v[8:9], v[163:164], v[18:19]
	v_fma_f64 v[6:7], v[6:7], v[163:164], -v[20:21]
	v_add_f64 v[10:11], v[10:11], v[24:25]
	v_add_f64 v[12:13], v[12:13], v[22:23]
	v_fma_f64 v[4:5], v[4:5], v[38:39], v[14:15]
	v_fma_f64 v[2:3], v[2:3], v[38:39], -v[16:17]
	s_delay_alu instid0(VALU_DEP_4) | instskip(NEXT) | instid1(VALU_DEP_4)
	v_add_f64 v[6:7], v[10:11], v[6:7]
	v_add_f64 v[8:9], v[12:13], v[8:9]
	s_delay_alu instid0(VALU_DEP_2) | instskip(NEXT) | instid1(VALU_DEP_2)
	v_add_f64 v[2:3], v[6:7], v[2:3]
	v_add_f64 v[4:5], v[8:9], v[4:5]
	s_delay_alu instid0(VALU_DEP_2) | instskip(NEXT) | instid1(VALU_DEP_2)
	v_add_f64 v[2:3], v[42:43], -v[2:3]
	v_add_f64 v[4:5], v[44:45], -v[4:5]
	scratch_store_b128 off, v[2:5], off offset:144
	v_cmpx_lt_u32_e32 8, v148
	s_cbranch_execz .LBB114_303
; %bb.302:
	scratch_load_b128 v[5:8], v191, off
	v_mov_b32_e32 v2, v1
	v_mov_b32_e32 v3, v1
	;; [unrolled: 1-line block ×3, first 2 shown]
	scratch_store_b128 off, v[1:4], off offset:128
	s_waitcnt vmcnt(0)
	ds_store_b128 v199, v[5:8]
.LBB114_303:
	s_or_b32 exec_lo, exec_lo, s2
	s_waitcnt lgkmcnt(0)
	s_waitcnt_vscnt null, 0x0
	s_barrier
	buffer_gl0_inv
	s_clause 0x8
	scratch_load_b128 v[2:5], off, off offset:144
	scratch_load_b128 v[6:9], off, off offset:160
	;; [unrolled: 1-line block ×9, first 2 shown]
	ds_load_b128 v[42:45], v1 offset:960
	ds_load_b128 v[38:41], v1 offset:976
	s_clause 0x1
	scratch_load_b128 v[157:160], off, off offset:128
	scratch_load_b128 v[161:164], off, off offset:288
	s_mov_b32 s2, exec_lo
	s_waitcnt vmcnt(10) lgkmcnt(1)
	v_mul_f64 v[165:166], v[44:45], v[4:5]
	v_mul_f64 v[4:5], v[42:43], v[4:5]
	s_waitcnt vmcnt(9) lgkmcnt(0)
	v_mul_f64 v[212:213], v[38:39], v[8:9]
	v_mul_f64 v[8:9], v[40:41], v[8:9]
	s_delay_alu instid0(VALU_DEP_4) | instskip(NEXT) | instid1(VALU_DEP_4)
	v_fma_f64 v[214:215], v[42:43], v[2:3], -v[165:166]
	v_fma_f64 v[216:217], v[44:45], v[2:3], v[4:5]
	ds_load_b128 v[2:5], v1 offset:992
	ds_load_b128 v[165:168], v1 offset:1008
	scratch_load_b128 v[42:45], off, off offset:304
	v_fma_f64 v[40:41], v[40:41], v[6:7], v[212:213]
	v_fma_f64 v[38:39], v[38:39], v[6:7], -v[8:9]
	scratch_load_b128 v[6:9], off, off offset:320
	s_waitcnt vmcnt(10) lgkmcnt(1)
	v_mul_f64 v[218:219], v[2:3], v[12:13]
	v_mul_f64 v[12:13], v[4:5], v[12:13]
	v_add_f64 v[212:213], v[214:215], 0
	v_add_f64 v[214:215], v[216:217], 0
	s_waitcnt vmcnt(9) lgkmcnt(0)
	v_mul_f64 v[216:217], v[165:166], v[16:17]
	v_mul_f64 v[16:17], v[167:168], v[16:17]
	v_fma_f64 v[218:219], v[4:5], v[10:11], v[218:219]
	v_fma_f64 v[220:221], v[2:3], v[10:11], -v[12:13]
	ds_load_b128 v[2:5], v1 offset:1024
	scratch_load_b128 v[10:13], off, off offset:336
	v_add_f64 v[212:213], v[212:213], v[38:39]
	v_add_f64 v[214:215], v[214:215], v[40:41]
	ds_load_b128 v[38:41], v1 offset:1040
	v_fma_f64 v[167:168], v[167:168], v[14:15], v[216:217]
	v_fma_f64 v[165:166], v[165:166], v[14:15], -v[16:17]
	scratch_load_b128 v[14:17], off, off offset:352
	s_waitcnt vmcnt(10) lgkmcnt(1)
	v_mul_f64 v[222:223], v[2:3], v[20:21]
	v_mul_f64 v[20:21], v[4:5], v[20:21]
	s_waitcnt vmcnt(9) lgkmcnt(0)
	v_mul_f64 v[216:217], v[38:39], v[24:25]
	v_mul_f64 v[24:25], v[40:41], v[24:25]
	v_add_f64 v[212:213], v[212:213], v[220:221]
	v_add_f64 v[214:215], v[214:215], v[218:219]
	v_fma_f64 v[218:219], v[4:5], v[18:19], v[222:223]
	v_fma_f64 v[220:221], v[2:3], v[18:19], -v[20:21]
	ds_load_b128 v[2:5], v1 offset:1056
	scratch_load_b128 v[18:21], off, off offset:368
	v_fma_f64 v[40:41], v[40:41], v[22:23], v[216:217]
	v_fma_f64 v[38:39], v[38:39], v[22:23], -v[24:25]
	scratch_load_b128 v[22:25], off, off offset:384
	v_add_f64 v[212:213], v[212:213], v[165:166]
	v_add_f64 v[214:215], v[214:215], v[167:168]
	ds_load_b128 v[165:168], v1 offset:1072
	s_waitcnt vmcnt(10) lgkmcnt(1)
	v_mul_f64 v[222:223], v[2:3], v[28:29]
	v_mul_f64 v[28:29], v[4:5], v[28:29]
	s_waitcnt vmcnt(9) lgkmcnt(0)
	v_mul_f64 v[216:217], v[165:166], v[32:33]
	v_mul_f64 v[32:33], v[167:168], v[32:33]
	v_add_f64 v[212:213], v[212:213], v[220:221]
	v_add_f64 v[214:215], v[214:215], v[218:219]
	v_fma_f64 v[218:219], v[4:5], v[26:27], v[222:223]
	v_fma_f64 v[220:221], v[2:3], v[26:27], -v[28:29]
	ds_load_b128 v[2:5], v1 offset:1088
	scratch_load_b128 v[26:29], off, off offset:400
	v_fma_f64 v[167:168], v[167:168], v[30:31], v[216:217]
	v_fma_f64 v[165:166], v[165:166], v[30:31], -v[32:33]
	scratch_load_b128 v[30:33], off, off offset:416
	v_add_f64 v[212:213], v[212:213], v[38:39]
	v_add_f64 v[214:215], v[214:215], v[40:41]
	ds_load_b128 v[38:41], v1 offset:1104
	s_waitcnt vmcnt(10) lgkmcnt(1)
	v_mul_f64 v[222:223], v[2:3], v[36:37]
	v_mul_f64 v[36:37], v[4:5], v[36:37]
	s_waitcnt vmcnt(8) lgkmcnt(0)
	v_mul_f64 v[216:217], v[38:39], v[163:164]
	v_add_f64 v[212:213], v[212:213], v[220:221]
	v_add_f64 v[214:215], v[214:215], v[218:219]
	v_mul_f64 v[218:219], v[40:41], v[163:164]
	v_fma_f64 v[220:221], v[4:5], v[34:35], v[222:223]
	v_fma_f64 v[222:223], v[2:3], v[34:35], -v[36:37]
	ds_load_b128 v[2:5], v1 offset:1120
	scratch_load_b128 v[34:37], off, off offset:432
	v_fma_f64 v[216:217], v[40:41], v[161:162], v[216:217]
	v_add_f64 v[212:213], v[212:213], v[165:166]
	v_add_f64 v[167:168], v[214:215], v[167:168]
	ds_load_b128 v[163:166], v1 offset:1136
	v_fma_f64 v[161:162], v[38:39], v[161:162], -v[218:219]
	scratch_load_b128 v[38:41], off, off offset:448
	s_waitcnt vmcnt(9) lgkmcnt(1)
	v_mul_f64 v[214:215], v[2:3], v[44:45]
	v_mul_f64 v[44:45], v[4:5], v[44:45]
	s_waitcnt vmcnt(8) lgkmcnt(0)
	v_mul_f64 v[218:219], v[163:164], v[8:9]
	v_mul_f64 v[8:9], v[165:166], v[8:9]
	v_add_f64 v[212:213], v[212:213], v[222:223]
	v_add_f64 v[167:168], v[167:168], v[220:221]
	v_fma_f64 v[220:221], v[4:5], v[42:43], v[214:215]
	v_fma_f64 v[222:223], v[2:3], v[42:43], -v[44:45]
	ds_load_b128 v[2:5], v1 offset:1152
	scratch_load_b128 v[42:45], off, off offset:464
	v_fma_f64 v[165:166], v[165:166], v[6:7], v[218:219]
	v_fma_f64 v[163:164], v[163:164], v[6:7], -v[8:9]
	scratch_load_b128 v[6:9], off, off offset:480
	v_add_f64 v[161:162], v[212:213], v[161:162]
	v_add_f64 v[167:168], v[167:168], v[216:217]
	ds_load_b128 v[212:215], v1 offset:1168
	s_waitcnt vmcnt(9) lgkmcnt(1)
	v_mul_f64 v[216:217], v[2:3], v[12:13]
	v_mul_f64 v[12:13], v[4:5], v[12:13]
	s_waitcnt vmcnt(8) lgkmcnt(0)
	v_mul_f64 v[218:219], v[212:213], v[16:17]
	v_mul_f64 v[16:17], v[214:215], v[16:17]
	v_add_f64 v[161:162], v[161:162], v[222:223]
	v_add_f64 v[167:168], v[167:168], v[220:221]
	v_fma_f64 v[216:217], v[4:5], v[10:11], v[216:217]
	v_fma_f64 v[220:221], v[2:3], v[10:11], -v[12:13]
	ds_load_b128 v[2:5], v1 offset:1184
	scratch_load_b128 v[10:13], off, off offset:496
	v_fma_f64 v[214:215], v[214:215], v[14:15], v[218:219]
	v_fma_f64 v[212:213], v[212:213], v[14:15], -v[16:17]
	scratch_load_b128 v[14:17], off, off offset:512
	v_add_f64 v[222:223], v[161:162], v[163:164]
	v_add_f64 v[165:166], v[167:168], v[165:166]
	ds_load_b128 v[161:164], v1 offset:1200
	s_waitcnt vmcnt(9) lgkmcnt(1)
	v_mul_f64 v[167:168], v[2:3], v[20:21]
	v_mul_f64 v[20:21], v[4:5], v[20:21]
	v_add_f64 v[218:219], v[222:223], v[220:221]
	v_add_f64 v[165:166], v[165:166], v[216:217]
	s_waitcnt vmcnt(8) lgkmcnt(0)
	v_mul_f64 v[216:217], v[161:162], v[24:25]
	v_mul_f64 v[24:25], v[163:164], v[24:25]
	v_fma_f64 v[220:221], v[4:5], v[18:19], v[167:168]
	v_fma_f64 v[222:223], v[2:3], v[18:19], -v[20:21]
	ds_load_b128 v[2:5], v1 offset:1216
	scratch_load_b128 v[18:21], off, off offset:528
	v_add_f64 v[212:213], v[218:219], v[212:213]
	v_add_f64 v[214:215], v[165:166], v[214:215]
	ds_load_b128 v[165:168], v1 offset:1232
	s_waitcnt vmcnt(8) lgkmcnt(1)
	v_mul_f64 v[218:219], v[2:3], v[28:29]
	v_mul_f64 v[28:29], v[4:5], v[28:29]
	v_fma_f64 v[163:164], v[163:164], v[22:23], v[216:217]
	v_fma_f64 v[161:162], v[161:162], v[22:23], -v[24:25]
	scratch_load_b128 v[22:25], off, off offset:544
	s_waitcnt vmcnt(8) lgkmcnt(0)
	v_mul_f64 v[216:217], v[165:166], v[32:33]
	v_mul_f64 v[32:33], v[167:168], v[32:33]
	v_add_f64 v[212:213], v[212:213], v[222:223]
	v_add_f64 v[214:215], v[214:215], v[220:221]
	v_fma_f64 v[218:219], v[4:5], v[26:27], v[218:219]
	v_fma_f64 v[220:221], v[2:3], v[26:27], -v[28:29]
	ds_load_b128 v[2:5], v1 offset:1248
	scratch_load_b128 v[26:29], off, off offset:560
	v_fma_f64 v[167:168], v[167:168], v[30:31], v[216:217]
	v_fma_f64 v[165:166], v[165:166], v[30:31], -v[32:33]
	scratch_load_b128 v[30:33], off, off offset:576
	v_add_f64 v[212:213], v[212:213], v[161:162]
	v_add_f64 v[214:215], v[214:215], v[163:164]
	ds_load_b128 v[161:164], v1 offset:1264
	s_waitcnt vmcnt(9) lgkmcnt(1)
	v_mul_f64 v[222:223], v[2:3], v[36:37]
	v_mul_f64 v[36:37], v[4:5], v[36:37]
	s_waitcnt vmcnt(8) lgkmcnt(0)
	v_mul_f64 v[216:217], v[161:162], v[40:41]
	v_mul_f64 v[40:41], v[163:164], v[40:41]
	v_add_f64 v[212:213], v[212:213], v[220:221]
	v_add_f64 v[214:215], v[214:215], v[218:219]
	v_fma_f64 v[218:219], v[4:5], v[34:35], v[222:223]
	v_fma_f64 v[220:221], v[2:3], v[34:35], -v[36:37]
	ds_load_b128 v[2:5], v1 offset:1280
	scratch_load_b128 v[34:37], off, off offset:592
	v_fma_f64 v[163:164], v[163:164], v[38:39], v[216:217]
	v_fma_f64 v[161:162], v[161:162], v[38:39], -v[40:41]
	scratch_load_b128 v[38:41], off, off offset:608
	v_add_f64 v[212:213], v[212:213], v[165:166]
	v_add_f64 v[214:215], v[214:215], v[167:168]
	ds_load_b128 v[165:168], v1 offset:1296
	s_waitcnt vmcnt(9) lgkmcnt(1)
	v_mul_f64 v[222:223], v[2:3], v[44:45]
	v_mul_f64 v[44:45], v[4:5], v[44:45]
	;; [unrolled: 18-line block ×8, first 2 shown]
	s_waitcnt vmcnt(8) lgkmcnt(0)
	v_mul_f64 v[216:217], v[165:166], v[16:17]
	v_mul_f64 v[16:17], v[167:168], v[16:17]
	v_add_f64 v[212:213], v[212:213], v[220:221]
	v_add_f64 v[214:215], v[214:215], v[218:219]
	v_fma_f64 v[218:219], v[4:5], v[10:11], v[222:223]
	v_fma_f64 v[220:221], v[2:3], v[10:11], -v[12:13]
	ds_load_b128 v[2:5], v1 offset:1504
	ds_load_b128 v[10:13], v1 offset:1520
	v_fma_f64 v[167:168], v[167:168], v[14:15], v[216:217]
	v_fma_f64 v[14:15], v[165:166], v[14:15], -v[16:17]
	v_add_f64 v[161:162], v[212:213], v[161:162]
	v_add_f64 v[163:164], v[214:215], v[163:164]
	s_waitcnt vmcnt(7) lgkmcnt(1)
	v_mul_f64 v[212:213], v[2:3], v[20:21]
	v_mul_f64 v[20:21], v[4:5], v[20:21]
	s_delay_alu instid0(VALU_DEP_4) | instskip(NEXT) | instid1(VALU_DEP_4)
	v_add_f64 v[16:17], v[161:162], v[220:221]
	v_add_f64 v[161:162], v[163:164], v[218:219]
	s_waitcnt vmcnt(6) lgkmcnt(0)
	v_mul_f64 v[163:164], v[10:11], v[24:25]
	v_mul_f64 v[24:25], v[12:13], v[24:25]
	v_fma_f64 v[165:166], v[4:5], v[18:19], v[212:213]
	v_fma_f64 v[18:19], v[2:3], v[18:19], -v[20:21]
	v_add_f64 v[20:21], v[16:17], v[14:15]
	v_add_f64 v[161:162], v[161:162], v[167:168]
	ds_load_b128 v[2:5], v1 offset:1536
	ds_load_b128 v[14:17], v1 offset:1552
	v_fma_f64 v[12:13], v[12:13], v[22:23], v[163:164]
	v_fma_f64 v[10:11], v[10:11], v[22:23], -v[24:25]
	s_waitcnt vmcnt(5) lgkmcnt(1)
	v_mul_f64 v[167:168], v[2:3], v[28:29]
	v_mul_f64 v[28:29], v[4:5], v[28:29]
	s_waitcnt vmcnt(4) lgkmcnt(0)
	v_mul_f64 v[22:23], v[14:15], v[32:33]
	v_mul_f64 v[24:25], v[16:17], v[32:33]
	v_add_f64 v[18:19], v[20:21], v[18:19]
	v_add_f64 v[20:21], v[161:162], v[165:166]
	v_fma_f64 v[32:33], v[4:5], v[26:27], v[167:168]
	v_fma_f64 v[26:27], v[2:3], v[26:27], -v[28:29]
	v_fma_f64 v[16:17], v[16:17], v[30:31], v[22:23]
	v_fma_f64 v[14:15], v[14:15], v[30:31], -v[24:25]
	v_add_f64 v[18:19], v[18:19], v[10:11]
	v_add_f64 v[20:21], v[20:21], v[12:13]
	ds_load_b128 v[2:5], v1 offset:1568
	ds_load_b128 v[10:13], v1 offset:1584
	s_waitcnt vmcnt(3) lgkmcnt(1)
	v_mul_f64 v[28:29], v[2:3], v[36:37]
	v_mul_f64 v[36:37], v[4:5], v[36:37]
	s_waitcnt vmcnt(2) lgkmcnt(0)
	v_mul_f64 v[22:23], v[10:11], v[40:41]
	v_mul_f64 v[24:25], v[12:13], v[40:41]
	v_add_f64 v[18:19], v[18:19], v[26:27]
	v_add_f64 v[20:21], v[20:21], v[32:33]
	v_fma_f64 v[26:27], v[4:5], v[34:35], v[28:29]
	v_fma_f64 v[28:29], v[2:3], v[34:35], -v[36:37]
	v_fma_f64 v[12:13], v[12:13], v[38:39], v[22:23]
	v_fma_f64 v[10:11], v[10:11], v[38:39], -v[24:25]
	v_add_f64 v[18:19], v[18:19], v[14:15]
	v_add_f64 v[20:21], v[20:21], v[16:17]
	ds_load_b128 v[2:5], v1 offset:1600
	ds_load_b128 v[14:17], v1 offset:1616
	s_waitcnt vmcnt(1) lgkmcnt(1)
	v_mul_f64 v[30:31], v[2:3], v[44:45]
	v_mul_f64 v[32:33], v[4:5], v[44:45]
	s_waitcnt vmcnt(0) lgkmcnt(0)
	v_mul_f64 v[22:23], v[14:15], v[8:9]
	v_mul_f64 v[8:9], v[16:17], v[8:9]
	v_add_f64 v[18:19], v[18:19], v[28:29]
	v_add_f64 v[20:21], v[20:21], v[26:27]
	v_fma_f64 v[4:5], v[4:5], v[42:43], v[30:31]
	v_fma_f64 v[1:2], v[2:3], v[42:43], -v[32:33]
	v_fma_f64 v[16:17], v[16:17], v[6:7], v[22:23]
	v_fma_f64 v[6:7], v[14:15], v[6:7], -v[8:9]
	v_add_f64 v[10:11], v[18:19], v[10:11]
	v_add_f64 v[12:13], v[20:21], v[12:13]
	s_delay_alu instid0(VALU_DEP_2) | instskip(NEXT) | instid1(VALU_DEP_2)
	v_add_f64 v[1:2], v[10:11], v[1:2]
	v_add_f64 v[3:4], v[12:13], v[4:5]
	s_delay_alu instid0(VALU_DEP_2) | instskip(NEXT) | instid1(VALU_DEP_2)
	;; [unrolled: 3-line block ×3, first 2 shown]
	v_add_f64 v[1:2], v[157:158], -v[1:2]
	v_add_f64 v[3:4], v[159:160], -v[3:4]
	scratch_store_b128 off, v[1:4], off offset:128
	v_cmpx_lt_u32_e32 7, v148
	s_cbranch_execz .LBB114_305
; %bb.304:
	scratch_load_b128 v[1:4], v192, off
	v_mov_b32_e32 v5, 0
	s_delay_alu instid0(VALU_DEP_1)
	v_mov_b32_e32 v6, v5
	v_mov_b32_e32 v7, v5
	;; [unrolled: 1-line block ×3, first 2 shown]
	scratch_store_b128 off, v[5:8], off offset:112
	s_waitcnt vmcnt(0)
	ds_store_b128 v199, v[1:4]
.LBB114_305:
	s_or_b32 exec_lo, exec_lo, s2
	s_waitcnt lgkmcnt(0)
	s_waitcnt_vscnt null, 0x0
	s_barrier
	buffer_gl0_inv
	s_clause 0x7
	scratch_load_b128 v[2:5], off, off offset:128
	scratch_load_b128 v[6:9], off, off offset:144
	;; [unrolled: 1-line block ×8, first 2 shown]
	v_mov_b32_e32 v1, 0
	s_mov_b32 s2, exec_lo
	ds_load_b128 v[38:41], v1 offset:944
	s_clause 0x1
	scratch_load_b128 v[34:37], off, off offset:256
	scratch_load_b128 v[42:45], off, off offset:112
	ds_load_b128 v[157:160], v1 offset:960
	scratch_load_b128 v[161:164], off, off offset:272
	s_waitcnt vmcnt(10) lgkmcnt(1)
	v_mul_f64 v[165:166], v[40:41], v[4:5]
	v_mul_f64 v[4:5], v[38:39], v[4:5]
	s_delay_alu instid0(VALU_DEP_2) | instskip(NEXT) | instid1(VALU_DEP_2)
	v_fma_f64 v[214:215], v[38:39], v[2:3], -v[165:166]
	v_fma_f64 v[216:217], v[40:41], v[2:3], v[4:5]
	scratch_load_b128 v[38:41], off, off offset:288
	ds_load_b128 v[2:5], v1 offset:976
	s_waitcnt vmcnt(10) lgkmcnt(1)
	v_mul_f64 v[212:213], v[157:158], v[8:9]
	v_mul_f64 v[8:9], v[159:160], v[8:9]
	ds_load_b128 v[165:168], v1 offset:992
	s_waitcnt vmcnt(9) lgkmcnt(1)
	v_mul_f64 v[218:219], v[2:3], v[12:13]
	v_mul_f64 v[12:13], v[4:5], v[12:13]
	v_fma_f64 v[159:160], v[159:160], v[6:7], v[212:213]
	v_fma_f64 v[157:158], v[157:158], v[6:7], -v[8:9]
	v_add_f64 v[212:213], v[214:215], 0
	v_add_f64 v[214:215], v[216:217], 0
	scratch_load_b128 v[6:9], off, off offset:304
	v_fma_f64 v[218:219], v[4:5], v[10:11], v[218:219]
	v_fma_f64 v[220:221], v[2:3], v[10:11], -v[12:13]
	scratch_load_b128 v[10:13], off, off offset:320
	ds_load_b128 v[2:5], v1 offset:1008
	s_waitcnt vmcnt(10) lgkmcnt(1)
	v_mul_f64 v[216:217], v[165:166], v[16:17]
	v_mul_f64 v[16:17], v[167:168], v[16:17]
	v_add_f64 v[212:213], v[212:213], v[157:158]
	v_add_f64 v[214:215], v[214:215], v[159:160]
	s_waitcnt vmcnt(9) lgkmcnt(0)
	v_mul_f64 v[222:223], v[2:3], v[20:21]
	v_mul_f64 v[20:21], v[4:5], v[20:21]
	ds_load_b128 v[157:160], v1 offset:1024
	v_fma_f64 v[167:168], v[167:168], v[14:15], v[216:217]
	v_fma_f64 v[165:166], v[165:166], v[14:15], -v[16:17]
	scratch_load_b128 v[14:17], off, off offset:336
	v_add_f64 v[212:213], v[212:213], v[220:221]
	v_add_f64 v[214:215], v[214:215], v[218:219]
	v_fma_f64 v[218:219], v[4:5], v[18:19], v[222:223]
	v_fma_f64 v[220:221], v[2:3], v[18:19], -v[20:21]
	scratch_load_b128 v[18:21], off, off offset:352
	ds_load_b128 v[2:5], v1 offset:1040
	s_waitcnt vmcnt(10) lgkmcnt(1)
	v_mul_f64 v[216:217], v[157:158], v[24:25]
	v_mul_f64 v[24:25], v[159:160], v[24:25]
	s_waitcnt vmcnt(9) lgkmcnt(0)
	v_mul_f64 v[222:223], v[2:3], v[28:29]
	v_mul_f64 v[28:29], v[4:5], v[28:29]
	v_add_f64 v[212:213], v[212:213], v[165:166]
	v_add_f64 v[214:215], v[214:215], v[167:168]
	ds_load_b128 v[165:168], v1 offset:1056
	v_fma_f64 v[159:160], v[159:160], v[22:23], v[216:217]
	v_fma_f64 v[157:158], v[157:158], v[22:23], -v[24:25]
	scratch_load_b128 v[22:25], off, off offset:368
	v_add_f64 v[212:213], v[212:213], v[220:221]
	v_add_f64 v[214:215], v[214:215], v[218:219]
	v_fma_f64 v[218:219], v[4:5], v[26:27], v[222:223]
	v_fma_f64 v[220:221], v[2:3], v[26:27], -v[28:29]
	scratch_load_b128 v[26:29], off, off offset:384
	ds_load_b128 v[2:5], v1 offset:1072
	s_waitcnt vmcnt(10) lgkmcnt(1)
	v_mul_f64 v[216:217], v[165:166], v[32:33]
	v_mul_f64 v[32:33], v[167:168], v[32:33]
	s_waitcnt vmcnt(9) lgkmcnt(0)
	v_mul_f64 v[222:223], v[2:3], v[36:37]
	v_mul_f64 v[36:37], v[4:5], v[36:37]
	v_add_f64 v[212:213], v[212:213], v[157:158]
	v_add_f64 v[214:215], v[214:215], v[159:160]
	ds_load_b128 v[157:160], v1 offset:1088
	v_fma_f64 v[167:168], v[167:168], v[30:31], v[216:217]
	v_fma_f64 v[165:166], v[165:166], v[30:31], -v[32:33]
	scratch_load_b128 v[30:33], off, off offset:400
	v_add_f64 v[212:213], v[212:213], v[220:221]
	v_add_f64 v[214:215], v[214:215], v[218:219]
	v_fma_f64 v[220:221], v[4:5], v[34:35], v[222:223]
	v_fma_f64 v[222:223], v[2:3], v[34:35], -v[36:37]
	scratch_load_b128 v[34:37], off, off offset:416
	ds_load_b128 v[2:5], v1 offset:1104
	s_waitcnt vmcnt(9) lgkmcnt(1)
	v_mul_f64 v[216:217], v[157:158], v[163:164]
	v_mul_f64 v[218:219], v[159:160], v[163:164]
	v_add_f64 v[212:213], v[212:213], v[165:166]
	v_add_f64 v[167:168], v[214:215], v[167:168]
	ds_load_b128 v[163:166], v1 offset:1120
	v_fma_f64 v[216:217], v[159:160], v[161:162], v[216:217]
	v_fma_f64 v[161:162], v[157:158], v[161:162], -v[218:219]
	scratch_load_b128 v[157:160], off, off offset:432
	s_waitcnt vmcnt(9) lgkmcnt(1)
	v_mul_f64 v[214:215], v[2:3], v[40:41]
	v_mul_f64 v[40:41], v[4:5], v[40:41]
	v_add_f64 v[212:213], v[212:213], v[222:223]
	v_add_f64 v[167:168], v[167:168], v[220:221]
	s_delay_alu instid0(VALU_DEP_4) | instskip(NEXT) | instid1(VALU_DEP_4)
	v_fma_f64 v[220:221], v[4:5], v[38:39], v[214:215]
	v_fma_f64 v[222:223], v[2:3], v[38:39], -v[40:41]
	scratch_load_b128 v[38:41], off, off offset:448
	ds_load_b128 v[2:5], v1 offset:1136
	s_waitcnt vmcnt(9) lgkmcnt(1)
	v_mul_f64 v[218:219], v[163:164], v[8:9]
	v_mul_f64 v[8:9], v[165:166], v[8:9]
	v_add_f64 v[161:162], v[212:213], v[161:162]
	v_add_f64 v[167:168], v[167:168], v[216:217]
	s_waitcnt vmcnt(8) lgkmcnt(0)
	v_mul_f64 v[216:217], v[2:3], v[12:13]
	v_mul_f64 v[12:13], v[4:5], v[12:13]
	ds_load_b128 v[212:215], v1 offset:1152
	v_fma_f64 v[165:166], v[165:166], v[6:7], v[218:219]
	v_fma_f64 v[163:164], v[163:164], v[6:7], -v[8:9]
	scratch_load_b128 v[6:9], off, off offset:464
	v_add_f64 v[161:162], v[161:162], v[222:223]
	v_add_f64 v[167:168], v[167:168], v[220:221]
	v_fma_f64 v[216:217], v[4:5], v[10:11], v[216:217]
	v_fma_f64 v[220:221], v[2:3], v[10:11], -v[12:13]
	scratch_load_b128 v[10:13], off, off offset:480
	ds_load_b128 v[2:5], v1 offset:1168
	s_waitcnt vmcnt(9) lgkmcnt(1)
	v_mul_f64 v[218:219], v[212:213], v[16:17]
	v_mul_f64 v[16:17], v[214:215], v[16:17]
	v_add_f64 v[222:223], v[161:162], v[163:164]
	v_add_f64 v[165:166], v[167:168], v[165:166]
	s_waitcnt vmcnt(8) lgkmcnt(0)
	v_mul_f64 v[167:168], v[2:3], v[20:21]
	v_mul_f64 v[20:21], v[4:5], v[20:21]
	ds_load_b128 v[161:164], v1 offset:1184
	v_fma_f64 v[214:215], v[214:215], v[14:15], v[218:219]
	v_fma_f64 v[212:213], v[212:213], v[14:15], -v[16:17]
	scratch_load_b128 v[14:17], off, off offset:496
	v_add_f64 v[218:219], v[222:223], v[220:221]
	v_add_f64 v[165:166], v[165:166], v[216:217]
	;; [unrolled: 18-line block ×3, first 2 shown]
	v_fma_f64 v[218:219], v[4:5], v[26:27], v[218:219]
	v_fma_f64 v[220:221], v[2:3], v[26:27], -v[28:29]
	scratch_load_b128 v[26:29], off, off offset:544
	ds_load_b128 v[2:5], v1 offset:1232
	s_waitcnt vmcnt(9) lgkmcnt(1)
	v_mul_f64 v[216:217], v[165:166], v[32:33]
	v_mul_f64 v[32:33], v[167:168], v[32:33]
	s_waitcnt vmcnt(8) lgkmcnt(0)
	v_mul_f64 v[222:223], v[2:3], v[36:37]
	v_mul_f64 v[36:37], v[4:5], v[36:37]
	v_add_f64 v[212:213], v[212:213], v[161:162]
	v_add_f64 v[214:215], v[214:215], v[163:164]
	ds_load_b128 v[161:164], v1 offset:1248
	v_fma_f64 v[167:168], v[167:168], v[30:31], v[216:217]
	v_fma_f64 v[165:166], v[165:166], v[30:31], -v[32:33]
	scratch_load_b128 v[30:33], off, off offset:560
	v_add_f64 v[212:213], v[212:213], v[220:221]
	v_add_f64 v[214:215], v[214:215], v[218:219]
	v_fma_f64 v[218:219], v[4:5], v[34:35], v[222:223]
	v_fma_f64 v[220:221], v[2:3], v[34:35], -v[36:37]
	scratch_load_b128 v[34:37], off, off offset:576
	ds_load_b128 v[2:5], v1 offset:1264
	s_waitcnt vmcnt(9) lgkmcnt(1)
	v_mul_f64 v[216:217], v[161:162], v[159:160]
	v_mul_f64 v[159:160], v[163:164], v[159:160]
	s_waitcnt vmcnt(8) lgkmcnt(0)
	v_mul_f64 v[222:223], v[2:3], v[40:41]
	v_mul_f64 v[40:41], v[4:5], v[40:41]
	v_add_f64 v[212:213], v[212:213], v[165:166]
	v_add_f64 v[214:215], v[214:215], v[167:168]
	ds_load_b128 v[165:168], v1 offset:1280
	v_fma_f64 v[163:164], v[163:164], v[157:158], v[216:217]
	v_fma_f64 v[161:162], v[161:162], v[157:158], -v[159:160]
	scratch_load_b128 v[157:160], off, off offset:592
	v_add_f64 v[212:213], v[212:213], v[220:221]
	v_add_f64 v[214:215], v[214:215], v[218:219]
	;; [unrolled: 18-line block ×6, first 2 shown]
	v_fma_f64 v[220:221], v[4:5], v[34:35], v[222:223]
	v_fma_f64 v[222:223], v[2:3], v[34:35], -v[36:37]
	scratch_load_b128 v[34:37], off, off offset:736
	ds_load_b128 v[2:5], v1 offset:1424
	s_waitcnt vmcnt(9) lgkmcnt(1)
	v_mul_f64 v[216:217], v[165:166], v[159:160]
	v_mul_f64 v[218:219], v[167:168], v[159:160]
	v_add_f64 v[212:213], v[212:213], v[161:162]
	v_add_f64 v[163:164], v[214:215], v[163:164]
	s_waitcnt vmcnt(8) lgkmcnt(0)
	v_mul_f64 v[214:215], v[2:3], v[40:41]
	v_mul_f64 v[40:41], v[4:5], v[40:41]
	ds_load_b128 v[159:162], v1 offset:1440
	v_fma_f64 v[167:168], v[167:168], v[157:158], v[216:217]
	v_fma_f64 v[157:158], v[165:166], v[157:158], -v[218:219]
	v_add_f64 v[212:213], v[212:213], v[222:223]
	v_add_f64 v[216:217], v[163:164], v[220:221]
	scratch_load_b128 v[163:166], off, off offset:752
	v_fma_f64 v[220:221], v[4:5], v[38:39], v[214:215]
	v_fma_f64 v[222:223], v[2:3], v[38:39], -v[40:41]
	scratch_load_b128 v[38:41], off, off offset:768
	ds_load_b128 v[2:5], v1 offset:1456
	s_waitcnt vmcnt(9) lgkmcnt(1)
	v_mul_f64 v[218:219], v[159:160], v[8:9]
	v_mul_f64 v[8:9], v[161:162], v[8:9]
	v_add_f64 v[157:158], v[212:213], v[157:158]
	v_add_f64 v[167:168], v[216:217], v[167:168]
	s_waitcnt vmcnt(8) lgkmcnt(0)
	v_mul_f64 v[216:217], v[2:3], v[12:13]
	v_mul_f64 v[12:13], v[4:5], v[12:13]
	ds_load_b128 v[212:215], v1 offset:1472
	v_fma_f64 v[161:162], v[161:162], v[6:7], v[218:219]
	v_fma_f64 v[159:160], v[159:160], v[6:7], -v[8:9]
	scratch_load_b128 v[6:9], off, off offset:784
	v_add_f64 v[157:158], v[157:158], v[222:223]
	v_add_f64 v[167:168], v[167:168], v[220:221]
	v_fma_f64 v[216:217], v[4:5], v[10:11], v[216:217]
	v_fma_f64 v[220:221], v[2:3], v[10:11], -v[12:13]
	scratch_load_b128 v[10:13], off, off offset:800
	ds_load_b128 v[2:5], v1 offset:1488
	s_waitcnt vmcnt(9) lgkmcnt(1)
	v_mul_f64 v[218:219], v[212:213], v[16:17]
	v_mul_f64 v[16:17], v[214:215], v[16:17]
	v_add_f64 v[222:223], v[157:158], v[159:160]
	v_add_f64 v[161:162], v[167:168], v[161:162]
	s_waitcnt vmcnt(8) lgkmcnt(0)
	v_mul_f64 v[167:168], v[2:3], v[20:21]
	v_mul_f64 v[20:21], v[4:5], v[20:21]
	ds_load_b128 v[157:160], v1 offset:1504
	v_fma_f64 v[214:215], v[214:215], v[14:15], v[218:219]
	v_fma_f64 v[14:15], v[212:213], v[14:15], -v[16:17]
	s_waitcnt vmcnt(7) lgkmcnt(0)
	v_mul_f64 v[212:213], v[157:158], v[24:25]
	v_mul_f64 v[24:25], v[159:160], v[24:25]
	v_add_f64 v[16:17], v[222:223], v[220:221]
	v_add_f64 v[161:162], v[161:162], v[216:217]
	v_fma_f64 v[167:168], v[4:5], v[18:19], v[167:168]
	v_fma_f64 v[18:19], v[2:3], v[18:19], -v[20:21]
	v_fma_f64 v[159:160], v[159:160], v[22:23], v[212:213]
	v_fma_f64 v[22:23], v[157:158], v[22:23], -v[24:25]
	v_add_f64 v[20:21], v[16:17], v[14:15]
	v_add_f64 v[161:162], v[161:162], v[214:215]
	ds_load_b128 v[2:5], v1 offset:1520
	ds_load_b128 v[14:17], v1 offset:1536
	s_waitcnt vmcnt(6) lgkmcnt(1)
	v_mul_f64 v[214:215], v[2:3], v[28:29]
	v_mul_f64 v[28:29], v[4:5], v[28:29]
	s_waitcnt vmcnt(5) lgkmcnt(0)
	v_mul_f64 v[24:25], v[14:15], v[32:33]
	v_mul_f64 v[32:33], v[16:17], v[32:33]
	v_add_f64 v[18:19], v[20:21], v[18:19]
	v_add_f64 v[20:21], v[161:162], v[167:168]
	v_fma_f64 v[157:158], v[4:5], v[26:27], v[214:215]
	v_fma_f64 v[26:27], v[2:3], v[26:27], -v[28:29]
	v_fma_f64 v[16:17], v[16:17], v[30:31], v[24:25]
	v_fma_f64 v[14:15], v[14:15], v[30:31], -v[32:33]
	v_add_f64 v[22:23], v[18:19], v[22:23]
	v_add_f64 v[28:29], v[20:21], v[159:160]
	ds_load_b128 v[2:5], v1 offset:1552
	ds_load_b128 v[18:21], v1 offset:1568
	s_waitcnt vmcnt(4) lgkmcnt(1)
	v_mul_f64 v[159:160], v[2:3], v[36:37]
	v_mul_f64 v[36:37], v[4:5], v[36:37]
	v_add_f64 v[22:23], v[22:23], v[26:27]
	v_add_f64 v[24:25], v[28:29], v[157:158]
	s_waitcnt vmcnt(3) lgkmcnt(0)
	v_mul_f64 v[26:27], v[18:19], v[165:166]
	v_mul_f64 v[28:29], v[20:21], v[165:166]
	v_fma_f64 v[30:31], v[4:5], v[34:35], v[159:160]
	v_fma_f64 v[32:33], v[2:3], v[34:35], -v[36:37]
	v_add_f64 v[22:23], v[22:23], v[14:15]
	v_add_f64 v[24:25], v[24:25], v[16:17]
	ds_load_b128 v[2:5], v1 offset:1584
	ds_load_b128 v[14:17], v1 offset:1600
	v_fma_f64 v[20:21], v[20:21], v[163:164], v[26:27]
	v_fma_f64 v[18:19], v[18:19], v[163:164], -v[28:29]
	s_waitcnt vmcnt(2) lgkmcnt(1)
	v_mul_f64 v[34:35], v[2:3], v[40:41]
	v_mul_f64 v[36:37], v[4:5], v[40:41]
	s_waitcnt vmcnt(1) lgkmcnt(0)
	v_mul_f64 v[26:27], v[14:15], v[8:9]
	v_mul_f64 v[8:9], v[16:17], v[8:9]
	v_add_f64 v[22:23], v[22:23], v[32:33]
	v_add_f64 v[24:25], v[24:25], v[30:31]
	v_fma_f64 v[28:29], v[4:5], v[38:39], v[34:35]
	v_fma_f64 v[30:31], v[2:3], v[38:39], -v[36:37]
	ds_load_b128 v[2:5], v1 offset:1616
	v_fma_f64 v[16:17], v[16:17], v[6:7], v[26:27]
	v_fma_f64 v[6:7], v[14:15], v[6:7], -v[8:9]
	v_add_f64 v[18:19], v[22:23], v[18:19]
	v_add_f64 v[20:21], v[24:25], v[20:21]
	s_waitcnt vmcnt(0) lgkmcnt(0)
	v_mul_f64 v[22:23], v[2:3], v[12:13]
	v_mul_f64 v[12:13], v[4:5], v[12:13]
	s_delay_alu instid0(VALU_DEP_4) | instskip(NEXT) | instid1(VALU_DEP_4)
	v_add_f64 v[8:9], v[18:19], v[30:31]
	v_add_f64 v[14:15], v[20:21], v[28:29]
	s_delay_alu instid0(VALU_DEP_4) | instskip(NEXT) | instid1(VALU_DEP_4)
	v_fma_f64 v[4:5], v[4:5], v[10:11], v[22:23]
	v_fma_f64 v[2:3], v[2:3], v[10:11], -v[12:13]
	s_delay_alu instid0(VALU_DEP_4) | instskip(NEXT) | instid1(VALU_DEP_4)
	v_add_f64 v[6:7], v[8:9], v[6:7]
	v_add_f64 v[8:9], v[14:15], v[16:17]
	s_delay_alu instid0(VALU_DEP_2) | instskip(NEXT) | instid1(VALU_DEP_2)
	v_add_f64 v[2:3], v[6:7], v[2:3]
	v_add_f64 v[4:5], v[8:9], v[4:5]
	s_delay_alu instid0(VALU_DEP_2) | instskip(NEXT) | instid1(VALU_DEP_2)
	v_add_f64 v[2:3], v[42:43], -v[2:3]
	v_add_f64 v[4:5], v[44:45], -v[4:5]
	scratch_store_b128 off, v[2:5], off offset:112
	v_cmpx_lt_u32_e32 6, v148
	s_cbranch_execz .LBB114_307
; %bb.306:
	scratch_load_b128 v[5:8], v193, off
	v_mov_b32_e32 v2, v1
	v_mov_b32_e32 v3, v1
	;; [unrolled: 1-line block ×3, first 2 shown]
	scratch_store_b128 off, v[1:4], off offset:96
	s_waitcnt vmcnt(0)
	ds_store_b128 v199, v[5:8]
.LBB114_307:
	s_or_b32 exec_lo, exec_lo, s2
	s_waitcnt lgkmcnt(0)
	s_waitcnt_vscnt null, 0x0
	s_barrier
	buffer_gl0_inv
	s_clause 0x8
	scratch_load_b128 v[2:5], off, off offset:112
	scratch_load_b128 v[6:9], off, off offset:128
	;; [unrolled: 1-line block ×9, first 2 shown]
	ds_load_b128 v[42:45], v1 offset:928
	ds_load_b128 v[38:41], v1 offset:944
	s_clause 0x1
	scratch_load_b128 v[157:160], off, off offset:96
	scratch_load_b128 v[161:164], off, off offset:256
	s_mov_b32 s2, exec_lo
	s_waitcnt vmcnt(10) lgkmcnt(1)
	v_mul_f64 v[165:166], v[44:45], v[4:5]
	v_mul_f64 v[4:5], v[42:43], v[4:5]
	s_waitcnt vmcnt(9) lgkmcnt(0)
	v_mul_f64 v[212:213], v[38:39], v[8:9]
	v_mul_f64 v[8:9], v[40:41], v[8:9]
	s_delay_alu instid0(VALU_DEP_4) | instskip(NEXT) | instid1(VALU_DEP_4)
	v_fma_f64 v[214:215], v[42:43], v[2:3], -v[165:166]
	v_fma_f64 v[216:217], v[44:45], v[2:3], v[4:5]
	ds_load_b128 v[2:5], v1 offset:960
	ds_load_b128 v[165:168], v1 offset:976
	scratch_load_b128 v[42:45], off, off offset:272
	v_fma_f64 v[40:41], v[40:41], v[6:7], v[212:213]
	v_fma_f64 v[38:39], v[38:39], v[6:7], -v[8:9]
	scratch_load_b128 v[6:9], off, off offset:288
	s_waitcnt vmcnt(10) lgkmcnt(1)
	v_mul_f64 v[218:219], v[2:3], v[12:13]
	v_mul_f64 v[12:13], v[4:5], v[12:13]
	v_add_f64 v[212:213], v[214:215], 0
	v_add_f64 v[214:215], v[216:217], 0
	s_waitcnt vmcnt(9) lgkmcnt(0)
	v_mul_f64 v[216:217], v[165:166], v[16:17]
	v_mul_f64 v[16:17], v[167:168], v[16:17]
	v_fma_f64 v[218:219], v[4:5], v[10:11], v[218:219]
	v_fma_f64 v[220:221], v[2:3], v[10:11], -v[12:13]
	ds_load_b128 v[2:5], v1 offset:992
	scratch_load_b128 v[10:13], off, off offset:304
	v_add_f64 v[212:213], v[212:213], v[38:39]
	v_add_f64 v[214:215], v[214:215], v[40:41]
	ds_load_b128 v[38:41], v1 offset:1008
	v_fma_f64 v[167:168], v[167:168], v[14:15], v[216:217]
	v_fma_f64 v[165:166], v[165:166], v[14:15], -v[16:17]
	scratch_load_b128 v[14:17], off, off offset:320
	s_waitcnt vmcnt(10) lgkmcnt(1)
	v_mul_f64 v[222:223], v[2:3], v[20:21]
	v_mul_f64 v[20:21], v[4:5], v[20:21]
	s_waitcnt vmcnt(9) lgkmcnt(0)
	v_mul_f64 v[216:217], v[38:39], v[24:25]
	v_mul_f64 v[24:25], v[40:41], v[24:25]
	v_add_f64 v[212:213], v[212:213], v[220:221]
	v_add_f64 v[214:215], v[214:215], v[218:219]
	v_fma_f64 v[218:219], v[4:5], v[18:19], v[222:223]
	v_fma_f64 v[220:221], v[2:3], v[18:19], -v[20:21]
	ds_load_b128 v[2:5], v1 offset:1024
	scratch_load_b128 v[18:21], off, off offset:336
	v_fma_f64 v[40:41], v[40:41], v[22:23], v[216:217]
	v_fma_f64 v[38:39], v[38:39], v[22:23], -v[24:25]
	scratch_load_b128 v[22:25], off, off offset:352
	v_add_f64 v[212:213], v[212:213], v[165:166]
	v_add_f64 v[214:215], v[214:215], v[167:168]
	ds_load_b128 v[165:168], v1 offset:1040
	s_waitcnt vmcnt(10) lgkmcnt(1)
	v_mul_f64 v[222:223], v[2:3], v[28:29]
	v_mul_f64 v[28:29], v[4:5], v[28:29]
	s_waitcnt vmcnt(9) lgkmcnt(0)
	v_mul_f64 v[216:217], v[165:166], v[32:33]
	v_mul_f64 v[32:33], v[167:168], v[32:33]
	v_add_f64 v[212:213], v[212:213], v[220:221]
	v_add_f64 v[214:215], v[214:215], v[218:219]
	v_fma_f64 v[218:219], v[4:5], v[26:27], v[222:223]
	v_fma_f64 v[220:221], v[2:3], v[26:27], -v[28:29]
	ds_load_b128 v[2:5], v1 offset:1056
	scratch_load_b128 v[26:29], off, off offset:368
	v_fma_f64 v[167:168], v[167:168], v[30:31], v[216:217]
	v_fma_f64 v[165:166], v[165:166], v[30:31], -v[32:33]
	scratch_load_b128 v[30:33], off, off offset:384
	v_add_f64 v[212:213], v[212:213], v[38:39]
	v_add_f64 v[214:215], v[214:215], v[40:41]
	ds_load_b128 v[38:41], v1 offset:1072
	s_waitcnt vmcnt(10) lgkmcnt(1)
	v_mul_f64 v[222:223], v[2:3], v[36:37]
	v_mul_f64 v[36:37], v[4:5], v[36:37]
	s_waitcnt vmcnt(8) lgkmcnt(0)
	v_mul_f64 v[216:217], v[38:39], v[163:164]
	v_add_f64 v[212:213], v[212:213], v[220:221]
	v_add_f64 v[214:215], v[214:215], v[218:219]
	v_mul_f64 v[218:219], v[40:41], v[163:164]
	v_fma_f64 v[220:221], v[4:5], v[34:35], v[222:223]
	v_fma_f64 v[222:223], v[2:3], v[34:35], -v[36:37]
	ds_load_b128 v[2:5], v1 offset:1088
	scratch_load_b128 v[34:37], off, off offset:400
	v_fma_f64 v[216:217], v[40:41], v[161:162], v[216:217]
	v_add_f64 v[212:213], v[212:213], v[165:166]
	v_add_f64 v[167:168], v[214:215], v[167:168]
	ds_load_b128 v[163:166], v1 offset:1104
	v_fma_f64 v[161:162], v[38:39], v[161:162], -v[218:219]
	scratch_load_b128 v[38:41], off, off offset:416
	s_waitcnt vmcnt(9) lgkmcnt(1)
	v_mul_f64 v[214:215], v[2:3], v[44:45]
	v_mul_f64 v[44:45], v[4:5], v[44:45]
	s_waitcnt vmcnt(8) lgkmcnt(0)
	v_mul_f64 v[218:219], v[163:164], v[8:9]
	v_mul_f64 v[8:9], v[165:166], v[8:9]
	v_add_f64 v[212:213], v[212:213], v[222:223]
	v_add_f64 v[167:168], v[167:168], v[220:221]
	v_fma_f64 v[220:221], v[4:5], v[42:43], v[214:215]
	v_fma_f64 v[222:223], v[2:3], v[42:43], -v[44:45]
	ds_load_b128 v[2:5], v1 offset:1120
	scratch_load_b128 v[42:45], off, off offset:432
	v_fma_f64 v[165:166], v[165:166], v[6:7], v[218:219]
	v_fma_f64 v[163:164], v[163:164], v[6:7], -v[8:9]
	scratch_load_b128 v[6:9], off, off offset:448
	v_add_f64 v[161:162], v[212:213], v[161:162]
	v_add_f64 v[167:168], v[167:168], v[216:217]
	ds_load_b128 v[212:215], v1 offset:1136
	s_waitcnt vmcnt(9) lgkmcnt(1)
	v_mul_f64 v[216:217], v[2:3], v[12:13]
	v_mul_f64 v[12:13], v[4:5], v[12:13]
	s_waitcnt vmcnt(8) lgkmcnt(0)
	v_mul_f64 v[218:219], v[212:213], v[16:17]
	v_mul_f64 v[16:17], v[214:215], v[16:17]
	v_add_f64 v[161:162], v[161:162], v[222:223]
	v_add_f64 v[167:168], v[167:168], v[220:221]
	v_fma_f64 v[216:217], v[4:5], v[10:11], v[216:217]
	v_fma_f64 v[220:221], v[2:3], v[10:11], -v[12:13]
	ds_load_b128 v[2:5], v1 offset:1152
	scratch_load_b128 v[10:13], off, off offset:464
	v_fma_f64 v[214:215], v[214:215], v[14:15], v[218:219]
	v_fma_f64 v[212:213], v[212:213], v[14:15], -v[16:17]
	scratch_load_b128 v[14:17], off, off offset:480
	v_add_f64 v[222:223], v[161:162], v[163:164]
	v_add_f64 v[165:166], v[167:168], v[165:166]
	ds_load_b128 v[161:164], v1 offset:1168
	s_waitcnt vmcnt(9) lgkmcnt(1)
	v_mul_f64 v[167:168], v[2:3], v[20:21]
	v_mul_f64 v[20:21], v[4:5], v[20:21]
	v_add_f64 v[218:219], v[222:223], v[220:221]
	v_add_f64 v[165:166], v[165:166], v[216:217]
	s_waitcnt vmcnt(8) lgkmcnt(0)
	v_mul_f64 v[216:217], v[161:162], v[24:25]
	v_mul_f64 v[24:25], v[163:164], v[24:25]
	v_fma_f64 v[220:221], v[4:5], v[18:19], v[167:168]
	v_fma_f64 v[222:223], v[2:3], v[18:19], -v[20:21]
	ds_load_b128 v[2:5], v1 offset:1184
	scratch_load_b128 v[18:21], off, off offset:496
	v_add_f64 v[212:213], v[218:219], v[212:213]
	v_add_f64 v[214:215], v[165:166], v[214:215]
	ds_load_b128 v[165:168], v1 offset:1200
	s_waitcnt vmcnt(8) lgkmcnt(1)
	v_mul_f64 v[218:219], v[2:3], v[28:29]
	v_mul_f64 v[28:29], v[4:5], v[28:29]
	v_fma_f64 v[163:164], v[163:164], v[22:23], v[216:217]
	v_fma_f64 v[161:162], v[161:162], v[22:23], -v[24:25]
	scratch_load_b128 v[22:25], off, off offset:512
	s_waitcnt vmcnt(8) lgkmcnt(0)
	v_mul_f64 v[216:217], v[165:166], v[32:33]
	v_mul_f64 v[32:33], v[167:168], v[32:33]
	v_add_f64 v[212:213], v[212:213], v[222:223]
	v_add_f64 v[214:215], v[214:215], v[220:221]
	v_fma_f64 v[218:219], v[4:5], v[26:27], v[218:219]
	v_fma_f64 v[220:221], v[2:3], v[26:27], -v[28:29]
	ds_load_b128 v[2:5], v1 offset:1216
	scratch_load_b128 v[26:29], off, off offset:528
	v_fma_f64 v[167:168], v[167:168], v[30:31], v[216:217]
	v_fma_f64 v[165:166], v[165:166], v[30:31], -v[32:33]
	scratch_load_b128 v[30:33], off, off offset:544
	v_add_f64 v[212:213], v[212:213], v[161:162]
	v_add_f64 v[214:215], v[214:215], v[163:164]
	ds_load_b128 v[161:164], v1 offset:1232
	s_waitcnt vmcnt(9) lgkmcnt(1)
	v_mul_f64 v[222:223], v[2:3], v[36:37]
	v_mul_f64 v[36:37], v[4:5], v[36:37]
	s_waitcnt vmcnt(8) lgkmcnt(0)
	v_mul_f64 v[216:217], v[161:162], v[40:41]
	v_mul_f64 v[40:41], v[163:164], v[40:41]
	v_add_f64 v[212:213], v[212:213], v[220:221]
	v_add_f64 v[214:215], v[214:215], v[218:219]
	v_fma_f64 v[218:219], v[4:5], v[34:35], v[222:223]
	v_fma_f64 v[220:221], v[2:3], v[34:35], -v[36:37]
	ds_load_b128 v[2:5], v1 offset:1248
	scratch_load_b128 v[34:37], off, off offset:560
	v_fma_f64 v[163:164], v[163:164], v[38:39], v[216:217]
	v_fma_f64 v[161:162], v[161:162], v[38:39], -v[40:41]
	scratch_load_b128 v[38:41], off, off offset:576
	v_add_f64 v[212:213], v[212:213], v[165:166]
	v_add_f64 v[214:215], v[214:215], v[167:168]
	ds_load_b128 v[165:168], v1 offset:1264
	s_waitcnt vmcnt(9) lgkmcnt(1)
	v_mul_f64 v[222:223], v[2:3], v[44:45]
	v_mul_f64 v[44:45], v[4:5], v[44:45]
	;; [unrolled: 18-line block ×9, first 2 shown]
	s_waitcnt vmcnt(8) lgkmcnt(0)
	v_mul_f64 v[216:217], v[161:162], v[24:25]
	v_mul_f64 v[24:25], v[163:164], v[24:25]
	v_add_f64 v[212:213], v[212:213], v[220:221]
	v_add_f64 v[214:215], v[214:215], v[218:219]
	v_fma_f64 v[218:219], v[4:5], v[18:19], v[222:223]
	v_fma_f64 v[220:221], v[2:3], v[18:19], -v[20:21]
	ds_load_b128 v[2:5], v1 offset:1504
	ds_load_b128 v[18:21], v1 offset:1520
	v_fma_f64 v[163:164], v[163:164], v[22:23], v[216:217]
	v_fma_f64 v[22:23], v[161:162], v[22:23], -v[24:25]
	v_add_f64 v[165:166], v[212:213], v[165:166]
	v_add_f64 v[167:168], v[214:215], v[167:168]
	s_waitcnt vmcnt(7) lgkmcnt(1)
	v_mul_f64 v[212:213], v[2:3], v[28:29]
	v_mul_f64 v[28:29], v[4:5], v[28:29]
	s_delay_alu instid0(VALU_DEP_4) | instskip(NEXT) | instid1(VALU_DEP_4)
	v_add_f64 v[24:25], v[165:166], v[220:221]
	v_add_f64 v[161:162], v[167:168], v[218:219]
	s_waitcnt vmcnt(6) lgkmcnt(0)
	v_mul_f64 v[165:166], v[18:19], v[32:33]
	v_mul_f64 v[32:33], v[20:21], v[32:33]
	v_fma_f64 v[167:168], v[4:5], v[26:27], v[212:213]
	v_fma_f64 v[26:27], v[2:3], v[26:27], -v[28:29]
	v_add_f64 v[28:29], v[24:25], v[22:23]
	v_add_f64 v[161:162], v[161:162], v[163:164]
	ds_load_b128 v[2:5], v1 offset:1536
	ds_load_b128 v[22:25], v1 offset:1552
	v_fma_f64 v[20:21], v[20:21], v[30:31], v[165:166]
	v_fma_f64 v[18:19], v[18:19], v[30:31], -v[32:33]
	s_waitcnt vmcnt(5) lgkmcnt(1)
	v_mul_f64 v[163:164], v[2:3], v[36:37]
	v_mul_f64 v[36:37], v[4:5], v[36:37]
	s_waitcnt vmcnt(4) lgkmcnt(0)
	v_mul_f64 v[30:31], v[22:23], v[40:41]
	v_mul_f64 v[32:33], v[24:25], v[40:41]
	v_add_f64 v[26:27], v[28:29], v[26:27]
	v_add_f64 v[28:29], v[161:162], v[167:168]
	v_fma_f64 v[40:41], v[4:5], v[34:35], v[163:164]
	v_fma_f64 v[34:35], v[2:3], v[34:35], -v[36:37]
	v_fma_f64 v[24:25], v[24:25], v[38:39], v[30:31]
	v_fma_f64 v[22:23], v[22:23], v[38:39], -v[32:33]
	v_add_f64 v[26:27], v[26:27], v[18:19]
	v_add_f64 v[28:29], v[28:29], v[20:21]
	ds_load_b128 v[2:5], v1 offset:1568
	ds_load_b128 v[18:21], v1 offset:1584
	s_waitcnt vmcnt(3) lgkmcnt(1)
	v_mul_f64 v[36:37], v[2:3], v[44:45]
	v_mul_f64 v[44:45], v[4:5], v[44:45]
	s_waitcnt vmcnt(2) lgkmcnt(0)
	v_mul_f64 v[30:31], v[18:19], v[8:9]
	v_mul_f64 v[8:9], v[20:21], v[8:9]
	v_add_f64 v[26:27], v[26:27], v[34:35]
	v_add_f64 v[28:29], v[28:29], v[40:41]
	v_fma_f64 v[32:33], v[4:5], v[42:43], v[36:37]
	v_fma_f64 v[34:35], v[2:3], v[42:43], -v[44:45]
	v_fma_f64 v[20:21], v[20:21], v[6:7], v[30:31]
	v_fma_f64 v[6:7], v[18:19], v[6:7], -v[8:9]
	v_add_f64 v[26:27], v[26:27], v[22:23]
	v_add_f64 v[28:29], v[28:29], v[24:25]
	ds_load_b128 v[2:5], v1 offset:1600
	ds_load_b128 v[22:25], v1 offset:1616
	s_waitcnt vmcnt(1) lgkmcnt(1)
	v_mul_f64 v[36:37], v[2:3], v[12:13]
	v_mul_f64 v[12:13], v[4:5], v[12:13]
	v_add_f64 v[8:9], v[26:27], v[34:35]
	v_add_f64 v[18:19], v[28:29], v[32:33]
	s_waitcnt vmcnt(0) lgkmcnt(0)
	v_mul_f64 v[26:27], v[22:23], v[16:17]
	v_mul_f64 v[16:17], v[24:25], v[16:17]
	v_fma_f64 v[4:5], v[4:5], v[10:11], v[36:37]
	v_fma_f64 v[1:2], v[2:3], v[10:11], -v[12:13]
	v_add_f64 v[6:7], v[8:9], v[6:7]
	v_add_f64 v[8:9], v[18:19], v[20:21]
	v_fma_f64 v[10:11], v[24:25], v[14:15], v[26:27]
	v_fma_f64 v[12:13], v[22:23], v[14:15], -v[16:17]
	s_delay_alu instid0(VALU_DEP_4) | instskip(NEXT) | instid1(VALU_DEP_4)
	v_add_f64 v[1:2], v[6:7], v[1:2]
	v_add_f64 v[3:4], v[8:9], v[4:5]
	s_delay_alu instid0(VALU_DEP_2) | instskip(NEXT) | instid1(VALU_DEP_2)
	v_add_f64 v[1:2], v[1:2], v[12:13]
	v_add_f64 v[3:4], v[3:4], v[10:11]
	s_delay_alu instid0(VALU_DEP_2) | instskip(NEXT) | instid1(VALU_DEP_2)
	v_add_f64 v[1:2], v[157:158], -v[1:2]
	v_add_f64 v[3:4], v[159:160], -v[3:4]
	scratch_store_b128 off, v[1:4], off offset:96
	v_cmpx_lt_u32_e32 5, v148
	s_cbranch_execz .LBB114_309
; %bb.308:
	scratch_load_b128 v[1:4], v194, off
	v_mov_b32_e32 v5, 0
	s_delay_alu instid0(VALU_DEP_1)
	v_mov_b32_e32 v6, v5
	v_mov_b32_e32 v7, v5
	v_mov_b32_e32 v8, v5
	scratch_store_b128 off, v[5:8], off offset:80
	s_waitcnt vmcnt(0)
	ds_store_b128 v199, v[1:4]
.LBB114_309:
	s_or_b32 exec_lo, exec_lo, s2
	s_waitcnt lgkmcnt(0)
	s_waitcnt_vscnt null, 0x0
	s_barrier
	buffer_gl0_inv
	s_clause 0x7
	scratch_load_b128 v[2:5], off, off offset:96
	scratch_load_b128 v[6:9], off, off offset:112
	;; [unrolled: 1-line block ×8, first 2 shown]
	v_mov_b32_e32 v1, 0
	s_mov_b32 s2, exec_lo
	ds_load_b128 v[38:41], v1 offset:912
	s_clause 0x1
	scratch_load_b128 v[34:37], off, off offset:224
	scratch_load_b128 v[42:45], off, off offset:80
	ds_load_b128 v[157:160], v1 offset:928
	scratch_load_b128 v[161:164], off, off offset:240
	s_waitcnt vmcnt(10) lgkmcnt(1)
	v_mul_f64 v[165:166], v[40:41], v[4:5]
	v_mul_f64 v[4:5], v[38:39], v[4:5]
	s_delay_alu instid0(VALU_DEP_2) | instskip(NEXT) | instid1(VALU_DEP_2)
	v_fma_f64 v[214:215], v[38:39], v[2:3], -v[165:166]
	v_fma_f64 v[216:217], v[40:41], v[2:3], v[4:5]
	scratch_load_b128 v[38:41], off, off offset:256
	ds_load_b128 v[2:5], v1 offset:944
	s_waitcnt vmcnt(10) lgkmcnt(1)
	v_mul_f64 v[212:213], v[157:158], v[8:9]
	v_mul_f64 v[8:9], v[159:160], v[8:9]
	ds_load_b128 v[165:168], v1 offset:960
	s_waitcnt vmcnt(9) lgkmcnt(1)
	v_mul_f64 v[218:219], v[2:3], v[12:13]
	v_mul_f64 v[12:13], v[4:5], v[12:13]
	v_fma_f64 v[159:160], v[159:160], v[6:7], v[212:213]
	v_fma_f64 v[157:158], v[157:158], v[6:7], -v[8:9]
	v_add_f64 v[212:213], v[214:215], 0
	v_add_f64 v[214:215], v[216:217], 0
	scratch_load_b128 v[6:9], off, off offset:272
	v_fma_f64 v[218:219], v[4:5], v[10:11], v[218:219]
	v_fma_f64 v[220:221], v[2:3], v[10:11], -v[12:13]
	scratch_load_b128 v[10:13], off, off offset:288
	ds_load_b128 v[2:5], v1 offset:976
	s_waitcnt vmcnt(10) lgkmcnt(1)
	v_mul_f64 v[216:217], v[165:166], v[16:17]
	v_mul_f64 v[16:17], v[167:168], v[16:17]
	v_add_f64 v[212:213], v[212:213], v[157:158]
	v_add_f64 v[214:215], v[214:215], v[159:160]
	s_waitcnt vmcnt(9) lgkmcnt(0)
	v_mul_f64 v[222:223], v[2:3], v[20:21]
	v_mul_f64 v[20:21], v[4:5], v[20:21]
	ds_load_b128 v[157:160], v1 offset:992
	v_fma_f64 v[167:168], v[167:168], v[14:15], v[216:217]
	v_fma_f64 v[165:166], v[165:166], v[14:15], -v[16:17]
	scratch_load_b128 v[14:17], off, off offset:304
	v_add_f64 v[212:213], v[212:213], v[220:221]
	v_add_f64 v[214:215], v[214:215], v[218:219]
	v_fma_f64 v[218:219], v[4:5], v[18:19], v[222:223]
	v_fma_f64 v[220:221], v[2:3], v[18:19], -v[20:21]
	scratch_load_b128 v[18:21], off, off offset:320
	ds_load_b128 v[2:5], v1 offset:1008
	s_waitcnt vmcnt(10) lgkmcnt(1)
	v_mul_f64 v[216:217], v[157:158], v[24:25]
	v_mul_f64 v[24:25], v[159:160], v[24:25]
	s_waitcnt vmcnt(9) lgkmcnt(0)
	v_mul_f64 v[222:223], v[2:3], v[28:29]
	v_mul_f64 v[28:29], v[4:5], v[28:29]
	v_add_f64 v[212:213], v[212:213], v[165:166]
	v_add_f64 v[214:215], v[214:215], v[167:168]
	ds_load_b128 v[165:168], v1 offset:1024
	v_fma_f64 v[159:160], v[159:160], v[22:23], v[216:217]
	v_fma_f64 v[157:158], v[157:158], v[22:23], -v[24:25]
	scratch_load_b128 v[22:25], off, off offset:336
	v_add_f64 v[212:213], v[212:213], v[220:221]
	v_add_f64 v[214:215], v[214:215], v[218:219]
	v_fma_f64 v[218:219], v[4:5], v[26:27], v[222:223]
	v_fma_f64 v[220:221], v[2:3], v[26:27], -v[28:29]
	scratch_load_b128 v[26:29], off, off offset:352
	ds_load_b128 v[2:5], v1 offset:1040
	s_waitcnt vmcnt(10) lgkmcnt(1)
	v_mul_f64 v[216:217], v[165:166], v[32:33]
	v_mul_f64 v[32:33], v[167:168], v[32:33]
	s_waitcnt vmcnt(9) lgkmcnt(0)
	v_mul_f64 v[222:223], v[2:3], v[36:37]
	v_mul_f64 v[36:37], v[4:5], v[36:37]
	v_add_f64 v[212:213], v[212:213], v[157:158]
	v_add_f64 v[214:215], v[214:215], v[159:160]
	ds_load_b128 v[157:160], v1 offset:1056
	v_fma_f64 v[167:168], v[167:168], v[30:31], v[216:217]
	v_fma_f64 v[165:166], v[165:166], v[30:31], -v[32:33]
	scratch_load_b128 v[30:33], off, off offset:368
	v_add_f64 v[212:213], v[212:213], v[220:221]
	v_add_f64 v[214:215], v[214:215], v[218:219]
	v_fma_f64 v[220:221], v[4:5], v[34:35], v[222:223]
	v_fma_f64 v[222:223], v[2:3], v[34:35], -v[36:37]
	scratch_load_b128 v[34:37], off, off offset:384
	ds_load_b128 v[2:5], v1 offset:1072
	s_waitcnt vmcnt(9) lgkmcnt(1)
	v_mul_f64 v[216:217], v[157:158], v[163:164]
	v_mul_f64 v[218:219], v[159:160], v[163:164]
	v_add_f64 v[212:213], v[212:213], v[165:166]
	v_add_f64 v[167:168], v[214:215], v[167:168]
	ds_load_b128 v[163:166], v1 offset:1088
	v_fma_f64 v[216:217], v[159:160], v[161:162], v[216:217]
	v_fma_f64 v[161:162], v[157:158], v[161:162], -v[218:219]
	scratch_load_b128 v[157:160], off, off offset:400
	s_waitcnt vmcnt(9) lgkmcnt(1)
	v_mul_f64 v[214:215], v[2:3], v[40:41]
	v_mul_f64 v[40:41], v[4:5], v[40:41]
	v_add_f64 v[212:213], v[212:213], v[222:223]
	v_add_f64 v[167:168], v[167:168], v[220:221]
	s_delay_alu instid0(VALU_DEP_4) | instskip(NEXT) | instid1(VALU_DEP_4)
	v_fma_f64 v[220:221], v[4:5], v[38:39], v[214:215]
	v_fma_f64 v[222:223], v[2:3], v[38:39], -v[40:41]
	scratch_load_b128 v[38:41], off, off offset:416
	ds_load_b128 v[2:5], v1 offset:1104
	s_waitcnt vmcnt(9) lgkmcnt(1)
	v_mul_f64 v[218:219], v[163:164], v[8:9]
	v_mul_f64 v[8:9], v[165:166], v[8:9]
	v_add_f64 v[161:162], v[212:213], v[161:162]
	v_add_f64 v[167:168], v[167:168], v[216:217]
	s_waitcnt vmcnt(8) lgkmcnt(0)
	v_mul_f64 v[216:217], v[2:3], v[12:13]
	v_mul_f64 v[12:13], v[4:5], v[12:13]
	ds_load_b128 v[212:215], v1 offset:1120
	v_fma_f64 v[165:166], v[165:166], v[6:7], v[218:219]
	v_fma_f64 v[163:164], v[163:164], v[6:7], -v[8:9]
	scratch_load_b128 v[6:9], off, off offset:432
	v_add_f64 v[161:162], v[161:162], v[222:223]
	v_add_f64 v[167:168], v[167:168], v[220:221]
	v_fma_f64 v[216:217], v[4:5], v[10:11], v[216:217]
	v_fma_f64 v[220:221], v[2:3], v[10:11], -v[12:13]
	scratch_load_b128 v[10:13], off, off offset:448
	ds_load_b128 v[2:5], v1 offset:1136
	s_waitcnt vmcnt(9) lgkmcnt(1)
	v_mul_f64 v[218:219], v[212:213], v[16:17]
	v_mul_f64 v[16:17], v[214:215], v[16:17]
	v_add_f64 v[222:223], v[161:162], v[163:164]
	v_add_f64 v[165:166], v[167:168], v[165:166]
	s_waitcnt vmcnt(8) lgkmcnt(0)
	v_mul_f64 v[167:168], v[2:3], v[20:21]
	v_mul_f64 v[20:21], v[4:5], v[20:21]
	ds_load_b128 v[161:164], v1 offset:1152
	v_fma_f64 v[214:215], v[214:215], v[14:15], v[218:219]
	v_fma_f64 v[212:213], v[212:213], v[14:15], -v[16:17]
	scratch_load_b128 v[14:17], off, off offset:464
	v_add_f64 v[218:219], v[222:223], v[220:221]
	v_add_f64 v[165:166], v[165:166], v[216:217]
	;; [unrolled: 18-line block ×3, first 2 shown]
	v_fma_f64 v[218:219], v[4:5], v[26:27], v[218:219]
	v_fma_f64 v[220:221], v[2:3], v[26:27], -v[28:29]
	scratch_load_b128 v[26:29], off, off offset:512
	ds_load_b128 v[2:5], v1 offset:1200
	s_waitcnt vmcnt(9) lgkmcnt(1)
	v_mul_f64 v[216:217], v[165:166], v[32:33]
	v_mul_f64 v[32:33], v[167:168], v[32:33]
	s_waitcnt vmcnt(8) lgkmcnt(0)
	v_mul_f64 v[222:223], v[2:3], v[36:37]
	v_mul_f64 v[36:37], v[4:5], v[36:37]
	v_add_f64 v[212:213], v[212:213], v[161:162]
	v_add_f64 v[214:215], v[214:215], v[163:164]
	ds_load_b128 v[161:164], v1 offset:1216
	v_fma_f64 v[167:168], v[167:168], v[30:31], v[216:217]
	v_fma_f64 v[165:166], v[165:166], v[30:31], -v[32:33]
	scratch_load_b128 v[30:33], off, off offset:528
	v_add_f64 v[212:213], v[212:213], v[220:221]
	v_add_f64 v[214:215], v[214:215], v[218:219]
	v_fma_f64 v[218:219], v[4:5], v[34:35], v[222:223]
	v_fma_f64 v[220:221], v[2:3], v[34:35], -v[36:37]
	scratch_load_b128 v[34:37], off, off offset:544
	ds_load_b128 v[2:5], v1 offset:1232
	s_waitcnt vmcnt(9) lgkmcnt(1)
	v_mul_f64 v[216:217], v[161:162], v[159:160]
	v_mul_f64 v[159:160], v[163:164], v[159:160]
	s_waitcnt vmcnt(8) lgkmcnt(0)
	v_mul_f64 v[222:223], v[2:3], v[40:41]
	v_mul_f64 v[40:41], v[4:5], v[40:41]
	v_add_f64 v[212:213], v[212:213], v[165:166]
	v_add_f64 v[214:215], v[214:215], v[167:168]
	ds_load_b128 v[165:168], v1 offset:1248
	v_fma_f64 v[163:164], v[163:164], v[157:158], v[216:217]
	v_fma_f64 v[161:162], v[161:162], v[157:158], -v[159:160]
	scratch_load_b128 v[157:160], off, off offset:560
	v_add_f64 v[212:213], v[212:213], v[220:221]
	v_add_f64 v[214:215], v[214:215], v[218:219]
	;; [unrolled: 18-line block ×6, first 2 shown]
	v_fma_f64 v[220:221], v[4:5], v[34:35], v[222:223]
	v_fma_f64 v[222:223], v[2:3], v[34:35], -v[36:37]
	scratch_load_b128 v[34:37], off, off offset:704
	ds_load_b128 v[2:5], v1 offset:1392
	s_waitcnt vmcnt(9) lgkmcnt(1)
	v_mul_f64 v[216:217], v[165:166], v[159:160]
	v_mul_f64 v[218:219], v[167:168], v[159:160]
	v_add_f64 v[212:213], v[212:213], v[161:162]
	v_add_f64 v[163:164], v[214:215], v[163:164]
	s_waitcnt vmcnt(8) lgkmcnt(0)
	v_mul_f64 v[214:215], v[2:3], v[40:41]
	v_mul_f64 v[40:41], v[4:5], v[40:41]
	ds_load_b128 v[159:162], v1 offset:1408
	v_fma_f64 v[167:168], v[167:168], v[157:158], v[216:217]
	v_fma_f64 v[157:158], v[165:166], v[157:158], -v[218:219]
	v_add_f64 v[212:213], v[212:213], v[222:223]
	v_add_f64 v[216:217], v[163:164], v[220:221]
	scratch_load_b128 v[163:166], off, off offset:720
	v_fma_f64 v[220:221], v[4:5], v[38:39], v[214:215]
	v_fma_f64 v[222:223], v[2:3], v[38:39], -v[40:41]
	scratch_load_b128 v[38:41], off, off offset:736
	ds_load_b128 v[2:5], v1 offset:1424
	s_waitcnt vmcnt(9) lgkmcnt(1)
	v_mul_f64 v[218:219], v[159:160], v[8:9]
	v_mul_f64 v[8:9], v[161:162], v[8:9]
	v_add_f64 v[157:158], v[212:213], v[157:158]
	v_add_f64 v[167:168], v[216:217], v[167:168]
	s_waitcnt vmcnt(8) lgkmcnt(0)
	v_mul_f64 v[216:217], v[2:3], v[12:13]
	v_mul_f64 v[12:13], v[4:5], v[12:13]
	ds_load_b128 v[212:215], v1 offset:1440
	v_fma_f64 v[161:162], v[161:162], v[6:7], v[218:219]
	v_fma_f64 v[159:160], v[159:160], v[6:7], -v[8:9]
	scratch_load_b128 v[6:9], off, off offset:752
	v_add_f64 v[157:158], v[157:158], v[222:223]
	v_add_f64 v[167:168], v[167:168], v[220:221]
	v_fma_f64 v[216:217], v[4:5], v[10:11], v[216:217]
	v_fma_f64 v[220:221], v[2:3], v[10:11], -v[12:13]
	scratch_load_b128 v[10:13], off, off offset:768
	ds_load_b128 v[2:5], v1 offset:1456
	s_waitcnt vmcnt(9) lgkmcnt(1)
	v_mul_f64 v[218:219], v[212:213], v[16:17]
	v_mul_f64 v[16:17], v[214:215], v[16:17]
	v_add_f64 v[222:223], v[157:158], v[159:160]
	v_add_f64 v[161:162], v[167:168], v[161:162]
	s_waitcnt vmcnt(8) lgkmcnt(0)
	v_mul_f64 v[167:168], v[2:3], v[20:21]
	v_mul_f64 v[20:21], v[4:5], v[20:21]
	ds_load_b128 v[157:160], v1 offset:1472
	v_fma_f64 v[214:215], v[214:215], v[14:15], v[218:219]
	v_fma_f64 v[212:213], v[212:213], v[14:15], -v[16:17]
	scratch_load_b128 v[14:17], off, off offset:784
	v_add_f64 v[218:219], v[222:223], v[220:221]
	v_add_f64 v[161:162], v[161:162], v[216:217]
	v_fma_f64 v[167:168], v[4:5], v[18:19], v[167:168]
	v_fma_f64 v[220:221], v[2:3], v[18:19], -v[20:21]
	scratch_load_b128 v[18:21], off, off offset:800
	ds_load_b128 v[2:5], v1 offset:1488
	s_waitcnt vmcnt(9) lgkmcnt(1)
	v_mul_f64 v[216:217], v[157:158], v[24:25]
	v_mul_f64 v[24:25], v[159:160], v[24:25]
	s_waitcnt vmcnt(8) lgkmcnt(0)
	v_mul_f64 v[222:223], v[2:3], v[28:29]
	v_mul_f64 v[28:29], v[4:5], v[28:29]
	v_add_f64 v[218:219], v[218:219], v[212:213]
	v_add_f64 v[161:162], v[161:162], v[214:215]
	ds_load_b128 v[212:215], v1 offset:1504
	v_fma_f64 v[159:160], v[159:160], v[22:23], v[216:217]
	v_fma_f64 v[22:23], v[157:158], v[22:23], -v[24:25]
	v_add_f64 v[24:25], v[218:219], v[220:221]
	v_add_f64 v[157:158], v[161:162], v[167:168]
	s_waitcnt vmcnt(7) lgkmcnt(0)
	v_mul_f64 v[161:162], v[212:213], v[32:33]
	v_mul_f64 v[32:33], v[214:215], v[32:33]
	v_fma_f64 v[167:168], v[4:5], v[26:27], v[222:223]
	v_fma_f64 v[26:27], v[2:3], v[26:27], -v[28:29]
	v_add_f64 v[28:29], v[24:25], v[22:23]
	v_add_f64 v[157:158], v[157:158], v[159:160]
	ds_load_b128 v[2:5], v1 offset:1520
	ds_load_b128 v[22:25], v1 offset:1536
	v_fma_f64 v[161:162], v[214:215], v[30:31], v[161:162]
	v_fma_f64 v[30:31], v[212:213], v[30:31], -v[32:33]
	s_waitcnt vmcnt(6) lgkmcnt(1)
	v_mul_f64 v[159:160], v[2:3], v[36:37]
	v_mul_f64 v[36:37], v[4:5], v[36:37]
	v_add_f64 v[26:27], v[28:29], v[26:27]
	v_add_f64 v[28:29], v[157:158], v[167:168]
	s_waitcnt vmcnt(5) lgkmcnt(0)
	v_mul_f64 v[32:33], v[22:23], v[165:166]
	v_mul_f64 v[157:158], v[24:25], v[165:166]
	v_fma_f64 v[159:160], v[4:5], v[34:35], v[159:160]
	v_fma_f64 v[34:35], v[2:3], v[34:35], -v[36:37]
	v_add_f64 v[30:31], v[26:27], v[30:31]
	v_add_f64 v[36:37], v[28:29], v[161:162]
	ds_load_b128 v[2:5], v1 offset:1552
	ds_load_b128 v[26:29], v1 offset:1568
	v_fma_f64 v[24:25], v[24:25], v[163:164], v[32:33]
	v_fma_f64 v[22:23], v[22:23], v[163:164], -v[157:158]
	s_waitcnt vmcnt(4) lgkmcnt(1)
	v_mul_f64 v[161:162], v[2:3], v[40:41]
	v_mul_f64 v[40:41], v[4:5], v[40:41]
	;; [unrolled: 16-line block ×3, first 2 shown]
	v_add_f64 v[8:9], v[30:31], v[38:39]
	v_add_f64 v[26:27], v[32:33], v[36:37]
	s_waitcnt vmcnt(1) lgkmcnt(0)
	v_mul_f64 v[30:31], v[22:23], v[16:17]
	v_mul_f64 v[16:17], v[24:25], v[16:17]
	v_fma_f64 v[32:33], v[4:5], v[10:11], v[40:41]
	v_fma_f64 v[10:11], v[2:3], v[10:11], -v[12:13]
	ds_load_b128 v[2:5], v1 offset:1616
	v_add_f64 v[6:7], v[8:9], v[6:7]
	v_add_f64 v[8:9], v[26:27], v[28:29]
	v_fma_f64 v[24:25], v[24:25], v[14:15], v[30:31]
	v_fma_f64 v[14:15], v[22:23], v[14:15], -v[16:17]
	s_waitcnt vmcnt(0) lgkmcnt(0)
	v_mul_f64 v[12:13], v[2:3], v[20:21]
	v_mul_f64 v[20:21], v[4:5], v[20:21]
	v_add_f64 v[6:7], v[6:7], v[10:11]
	v_add_f64 v[8:9], v[8:9], v[32:33]
	s_delay_alu instid0(VALU_DEP_4) | instskip(NEXT) | instid1(VALU_DEP_4)
	v_fma_f64 v[4:5], v[4:5], v[18:19], v[12:13]
	v_fma_f64 v[2:3], v[2:3], v[18:19], -v[20:21]
	s_delay_alu instid0(VALU_DEP_4) | instskip(NEXT) | instid1(VALU_DEP_4)
	v_add_f64 v[6:7], v[6:7], v[14:15]
	v_add_f64 v[8:9], v[8:9], v[24:25]
	s_delay_alu instid0(VALU_DEP_2) | instskip(NEXT) | instid1(VALU_DEP_2)
	v_add_f64 v[2:3], v[6:7], v[2:3]
	v_add_f64 v[4:5], v[8:9], v[4:5]
	s_delay_alu instid0(VALU_DEP_2) | instskip(NEXT) | instid1(VALU_DEP_2)
	v_add_f64 v[2:3], v[42:43], -v[2:3]
	v_add_f64 v[4:5], v[44:45], -v[4:5]
	scratch_store_b128 off, v[2:5], off offset:80
	v_cmpx_lt_u32_e32 4, v148
	s_cbranch_execz .LBB114_311
; %bb.310:
	scratch_load_b128 v[5:8], v195, off
	v_mov_b32_e32 v2, v1
	v_mov_b32_e32 v3, v1
	;; [unrolled: 1-line block ×3, first 2 shown]
	scratch_store_b128 off, v[1:4], off offset:64
	s_waitcnt vmcnt(0)
	ds_store_b128 v199, v[5:8]
.LBB114_311:
	s_or_b32 exec_lo, exec_lo, s2
	s_waitcnt lgkmcnt(0)
	s_waitcnt_vscnt null, 0x0
	s_barrier
	buffer_gl0_inv
	s_clause 0x8
	scratch_load_b128 v[2:5], off, off offset:80
	scratch_load_b128 v[6:9], off, off offset:96
	scratch_load_b128 v[10:13], off, off offset:112
	scratch_load_b128 v[14:17], off, off offset:128
	scratch_load_b128 v[18:21], off, off offset:144
	scratch_load_b128 v[22:25], off, off offset:160
	scratch_load_b128 v[26:29], off, off offset:176
	scratch_load_b128 v[30:33], off, off offset:192
	scratch_load_b128 v[34:37], off, off offset:208
	ds_load_b128 v[42:45], v1 offset:896
	ds_load_b128 v[38:41], v1 offset:912
	s_clause 0x1
	scratch_load_b128 v[157:160], off, off offset:64
	scratch_load_b128 v[161:164], off, off offset:224
	s_mov_b32 s2, exec_lo
	s_waitcnt vmcnt(10) lgkmcnt(1)
	v_mul_f64 v[165:166], v[44:45], v[4:5]
	v_mul_f64 v[4:5], v[42:43], v[4:5]
	s_waitcnt vmcnt(9) lgkmcnt(0)
	v_mul_f64 v[212:213], v[38:39], v[8:9]
	v_mul_f64 v[8:9], v[40:41], v[8:9]
	s_delay_alu instid0(VALU_DEP_4) | instskip(NEXT) | instid1(VALU_DEP_4)
	v_fma_f64 v[214:215], v[42:43], v[2:3], -v[165:166]
	v_fma_f64 v[216:217], v[44:45], v[2:3], v[4:5]
	ds_load_b128 v[2:5], v1 offset:928
	ds_load_b128 v[165:168], v1 offset:944
	scratch_load_b128 v[42:45], off, off offset:240
	v_fma_f64 v[40:41], v[40:41], v[6:7], v[212:213]
	v_fma_f64 v[38:39], v[38:39], v[6:7], -v[8:9]
	scratch_load_b128 v[6:9], off, off offset:256
	s_waitcnt vmcnt(10) lgkmcnt(1)
	v_mul_f64 v[218:219], v[2:3], v[12:13]
	v_mul_f64 v[12:13], v[4:5], v[12:13]
	v_add_f64 v[212:213], v[214:215], 0
	v_add_f64 v[214:215], v[216:217], 0
	s_waitcnt vmcnt(9) lgkmcnt(0)
	v_mul_f64 v[216:217], v[165:166], v[16:17]
	v_mul_f64 v[16:17], v[167:168], v[16:17]
	v_fma_f64 v[218:219], v[4:5], v[10:11], v[218:219]
	v_fma_f64 v[220:221], v[2:3], v[10:11], -v[12:13]
	ds_load_b128 v[2:5], v1 offset:960
	scratch_load_b128 v[10:13], off, off offset:272
	v_add_f64 v[212:213], v[212:213], v[38:39]
	v_add_f64 v[214:215], v[214:215], v[40:41]
	ds_load_b128 v[38:41], v1 offset:976
	v_fma_f64 v[167:168], v[167:168], v[14:15], v[216:217]
	v_fma_f64 v[165:166], v[165:166], v[14:15], -v[16:17]
	scratch_load_b128 v[14:17], off, off offset:288
	s_waitcnt vmcnt(10) lgkmcnt(1)
	v_mul_f64 v[222:223], v[2:3], v[20:21]
	v_mul_f64 v[20:21], v[4:5], v[20:21]
	s_waitcnt vmcnt(9) lgkmcnt(0)
	v_mul_f64 v[216:217], v[38:39], v[24:25]
	v_mul_f64 v[24:25], v[40:41], v[24:25]
	v_add_f64 v[212:213], v[212:213], v[220:221]
	v_add_f64 v[214:215], v[214:215], v[218:219]
	v_fma_f64 v[218:219], v[4:5], v[18:19], v[222:223]
	v_fma_f64 v[220:221], v[2:3], v[18:19], -v[20:21]
	ds_load_b128 v[2:5], v1 offset:992
	scratch_load_b128 v[18:21], off, off offset:304
	v_fma_f64 v[40:41], v[40:41], v[22:23], v[216:217]
	v_fma_f64 v[38:39], v[38:39], v[22:23], -v[24:25]
	scratch_load_b128 v[22:25], off, off offset:320
	v_add_f64 v[212:213], v[212:213], v[165:166]
	v_add_f64 v[214:215], v[214:215], v[167:168]
	ds_load_b128 v[165:168], v1 offset:1008
	s_waitcnt vmcnt(10) lgkmcnt(1)
	v_mul_f64 v[222:223], v[2:3], v[28:29]
	v_mul_f64 v[28:29], v[4:5], v[28:29]
	s_waitcnt vmcnt(9) lgkmcnt(0)
	v_mul_f64 v[216:217], v[165:166], v[32:33]
	v_mul_f64 v[32:33], v[167:168], v[32:33]
	v_add_f64 v[212:213], v[212:213], v[220:221]
	v_add_f64 v[214:215], v[214:215], v[218:219]
	v_fma_f64 v[218:219], v[4:5], v[26:27], v[222:223]
	v_fma_f64 v[220:221], v[2:3], v[26:27], -v[28:29]
	ds_load_b128 v[2:5], v1 offset:1024
	scratch_load_b128 v[26:29], off, off offset:336
	v_fma_f64 v[167:168], v[167:168], v[30:31], v[216:217]
	v_fma_f64 v[165:166], v[165:166], v[30:31], -v[32:33]
	scratch_load_b128 v[30:33], off, off offset:352
	v_add_f64 v[212:213], v[212:213], v[38:39]
	v_add_f64 v[214:215], v[214:215], v[40:41]
	ds_load_b128 v[38:41], v1 offset:1040
	s_waitcnt vmcnt(10) lgkmcnt(1)
	v_mul_f64 v[222:223], v[2:3], v[36:37]
	v_mul_f64 v[36:37], v[4:5], v[36:37]
	s_waitcnt vmcnt(8) lgkmcnt(0)
	v_mul_f64 v[216:217], v[38:39], v[163:164]
	v_add_f64 v[212:213], v[212:213], v[220:221]
	v_add_f64 v[214:215], v[214:215], v[218:219]
	v_mul_f64 v[218:219], v[40:41], v[163:164]
	v_fma_f64 v[220:221], v[4:5], v[34:35], v[222:223]
	v_fma_f64 v[222:223], v[2:3], v[34:35], -v[36:37]
	ds_load_b128 v[2:5], v1 offset:1056
	scratch_load_b128 v[34:37], off, off offset:368
	v_fma_f64 v[216:217], v[40:41], v[161:162], v[216:217]
	v_add_f64 v[212:213], v[212:213], v[165:166]
	v_add_f64 v[167:168], v[214:215], v[167:168]
	ds_load_b128 v[163:166], v1 offset:1072
	v_fma_f64 v[161:162], v[38:39], v[161:162], -v[218:219]
	scratch_load_b128 v[38:41], off, off offset:384
	s_waitcnt vmcnt(9) lgkmcnt(1)
	v_mul_f64 v[214:215], v[2:3], v[44:45]
	v_mul_f64 v[44:45], v[4:5], v[44:45]
	s_waitcnt vmcnt(8) lgkmcnt(0)
	v_mul_f64 v[218:219], v[163:164], v[8:9]
	v_mul_f64 v[8:9], v[165:166], v[8:9]
	v_add_f64 v[212:213], v[212:213], v[222:223]
	v_add_f64 v[167:168], v[167:168], v[220:221]
	v_fma_f64 v[220:221], v[4:5], v[42:43], v[214:215]
	v_fma_f64 v[222:223], v[2:3], v[42:43], -v[44:45]
	ds_load_b128 v[2:5], v1 offset:1088
	scratch_load_b128 v[42:45], off, off offset:400
	v_fma_f64 v[165:166], v[165:166], v[6:7], v[218:219]
	v_fma_f64 v[163:164], v[163:164], v[6:7], -v[8:9]
	scratch_load_b128 v[6:9], off, off offset:416
	v_add_f64 v[161:162], v[212:213], v[161:162]
	v_add_f64 v[167:168], v[167:168], v[216:217]
	ds_load_b128 v[212:215], v1 offset:1104
	s_waitcnt vmcnt(9) lgkmcnt(1)
	v_mul_f64 v[216:217], v[2:3], v[12:13]
	v_mul_f64 v[12:13], v[4:5], v[12:13]
	s_waitcnt vmcnt(8) lgkmcnt(0)
	v_mul_f64 v[218:219], v[212:213], v[16:17]
	v_mul_f64 v[16:17], v[214:215], v[16:17]
	v_add_f64 v[161:162], v[161:162], v[222:223]
	v_add_f64 v[167:168], v[167:168], v[220:221]
	v_fma_f64 v[216:217], v[4:5], v[10:11], v[216:217]
	v_fma_f64 v[220:221], v[2:3], v[10:11], -v[12:13]
	ds_load_b128 v[2:5], v1 offset:1120
	scratch_load_b128 v[10:13], off, off offset:432
	v_fma_f64 v[214:215], v[214:215], v[14:15], v[218:219]
	v_fma_f64 v[212:213], v[212:213], v[14:15], -v[16:17]
	scratch_load_b128 v[14:17], off, off offset:448
	v_add_f64 v[222:223], v[161:162], v[163:164]
	v_add_f64 v[165:166], v[167:168], v[165:166]
	ds_load_b128 v[161:164], v1 offset:1136
	s_waitcnt vmcnt(9) lgkmcnt(1)
	v_mul_f64 v[167:168], v[2:3], v[20:21]
	v_mul_f64 v[20:21], v[4:5], v[20:21]
	v_add_f64 v[218:219], v[222:223], v[220:221]
	v_add_f64 v[165:166], v[165:166], v[216:217]
	s_waitcnt vmcnt(8) lgkmcnt(0)
	v_mul_f64 v[216:217], v[161:162], v[24:25]
	v_mul_f64 v[24:25], v[163:164], v[24:25]
	v_fma_f64 v[220:221], v[4:5], v[18:19], v[167:168]
	v_fma_f64 v[222:223], v[2:3], v[18:19], -v[20:21]
	ds_load_b128 v[2:5], v1 offset:1152
	scratch_load_b128 v[18:21], off, off offset:464
	v_add_f64 v[212:213], v[218:219], v[212:213]
	v_add_f64 v[214:215], v[165:166], v[214:215]
	ds_load_b128 v[165:168], v1 offset:1168
	s_waitcnt vmcnt(8) lgkmcnt(1)
	v_mul_f64 v[218:219], v[2:3], v[28:29]
	v_mul_f64 v[28:29], v[4:5], v[28:29]
	v_fma_f64 v[163:164], v[163:164], v[22:23], v[216:217]
	v_fma_f64 v[161:162], v[161:162], v[22:23], -v[24:25]
	scratch_load_b128 v[22:25], off, off offset:480
	s_waitcnt vmcnt(8) lgkmcnt(0)
	v_mul_f64 v[216:217], v[165:166], v[32:33]
	v_mul_f64 v[32:33], v[167:168], v[32:33]
	v_add_f64 v[212:213], v[212:213], v[222:223]
	v_add_f64 v[214:215], v[214:215], v[220:221]
	v_fma_f64 v[218:219], v[4:5], v[26:27], v[218:219]
	v_fma_f64 v[220:221], v[2:3], v[26:27], -v[28:29]
	ds_load_b128 v[2:5], v1 offset:1184
	scratch_load_b128 v[26:29], off, off offset:496
	v_fma_f64 v[167:168], v[167:168], v[30:31], v[216:217]
	v_fma_f64 v[165:166], v[165:166], v[30:31], -v[32:33]
	scratch_load_b128 v[30:33], off, off offset:512
	v_add_f64 v[212:213], v[212:213], v[161:162]
	v_add_f64 v[214:215], v[214:215], v[163:164]
	ds_load_b128 v[161:164], v1 offset:1200
	s_waitcnt vmcnt(9) lgkmcnt(1)
	v_mul_f64 v[222:223], v[2:3], v[36:37]
	v_mul_f64 v[36:37], v[4:5], v[36:37]
	s_waitcnt vmcnt(8) lgkmcnt(0)
	v_mul_f64 v[216:217], v[161:162], v[40:41]
	v_mul_f64 v[40:41], v[163:164], v[40:41]
	v_add_f64 v[212:213], v[212:213], v[220:221]
	v_add_f64 v[214:215], v[214:215], v[218:219]
	v_fma_f64 v[218:219], v[4:5], v[34:35], v[222:223]
	v_fma_f64 v[220:221], v[2:3], v[34:35], -v[36:37]
	ds_load_b128 v[2:5], v1 offset:1216
	scratch_load_b128 v[34:37], off, off offset:528
	v_fma_f64 v[163:164], v[163:164], v[38:39], v[216:217]
	v_fma_f64 v[161:162], v[161:162], v[38:39], -v[40:41]
	scratch_load_b128 v[38:41], off, off offset:544
	v_add_f64 v[212:213], v[212:213], v[165:166]
	v_add_f64 v[214:215], v[214:215], v[167:168]
	ds_load_b128 v[165:168], v1 offset:1232
	s_waitcnt vmcnt(9) lgkmcnt(1)
	v_mul_f64 v[222:223], v[2:3], v[44:45]
	v_mul_f64 v[44:45], v[4:5], v[44:45]
	;; [unrolled: 18-line block ×10, first 2 shown]
	s_waitcnt vmcnt(8) lgkmcnt(0)
	v_mul_f64 v[216:217], v[165:166], v[32:33]
	v_mul_f64 v[32:33], v[167:168], v[32:33]
	v_add_f64 v[212:213], v[212:213], v[220:221]
	v_add_f64 v[214:215], v[214:215], v[218:219]
	v_fma_f64 v[218:219], v[4:5], v[26:27], v[222:223]
	v_fma_f64 v[220:221], v[2:3], v[26:27], -v[28:29]
	ds_load_b128 v[2:5], v1 offset:1504
	ds_load_b128 v[26:29], v1 offset:1520
	v_fma_f64 v[167:168], v[167:168], v[30:31], v[216:217]
	v_fma_f64 v[30:31], v[165:166], v[30:31], -v[32:33]
	v_add_f64 v[161:162], v[212:213], v[161:162]
	v_add_f64 v[163:164], v[214:215], v[163:164]
	s_waitcnt vmcnt(7) lgkmcnt(1)
	v_mul_f64 v[212:213], v[2:3], v[36:37]
	v_mul_f64 v[36:37], v[4:5], v[36:37]
	s_delay_alu instid0(VALU_DEP_4) | instskip(NEXT) | instid1(VALU_DEP_4)
	v_add_f64 v[32:33], v[161:162], v[220:221]
	v_add_f64 v[161:162], v[163:164], v[218:219]
	s_waitcnt vmcnt(6) lgkmcnt(0)
	v_mul_f64 v[163:164], v[26:27], v[40:41]
	v_mul_f64 v[40:41], v[28:29], v[40:41]
	v_fma_f64 v[165:166], v[4:5], v[34:35], v[212:213]
	v_fma_f64 v[34:35], v[2:3], v[34:35], -v[36:37]
	v_add_f64 v[36:37], v[32:33], v[30:31]
	v_add_f64 v[161:162], v[161:162], v[167:168]
	ds_load_b128 v[2:5], v1 offset:1536
	ds_load_b128 v[30:33], v1 offset:1552
	v_fma_f64 v[28:29], v[28:29], v[38:39], v[163:164]
	v_fma_f64 v[26:27], v[26:27], v[38:39], -v[40:41]
	s_waitcnt vmcnt(5) lgkmcnt(1)
	v_mul_f64 v[167:168], v[2:3], v[44:45]
	v_mul_f64 v[44:45], v[4:5], v[44:45]
	s_waitcnt vmcnt(4) lgkmcnt(0)
	v_mul_f64 v[38:39], v[30:31], v[8:9]
	v_mul_f64 v[8:9], v[32:33], v[8:9]
	v_add_f64 v[34:35], v[36:37], v[34:35]
	v_add_f64 v[36:37], v[161:162], v[165:166]
	v_fma_f64 v[40:41], v[4:5], v[42:43], v[167:168]
	v_fma_f64 v[42:43], v[2:3], v[42:43], -v[44:45]
	v_fma_f64 v[32:33], v[32:33], v[6:7], v[38:39]
	v_fma_f64 v[6:7], v[30:31], v[6:7], -v[8:9]
	v_add_f64 v[34:35], v[34:35], v[26:27]
	v_add_f64 v[36:37], v[36:37], v[28:29]
	ds_load_b128 v[2:5], v1 offset:1568
	ds_load_b128 v[26:29], v1 offset:1584
	s_waitcnt vmcnt(3) lgkmcnt(1)
	v_mul_f64 v[44:45], v[2:3], v[12:13]
	v_mul_f64 v[12:13], v[4:5], v[12:13]
	v_add_f64 v[8:9], v[34:35], v[42:43]
	v_add_f64 v[30:31], v[36:37], v[40:41]
	s_waitcnt vmcnt(2) lgkmcnt(0)
	v_mul_f64 v[34:35], v[26:27], v[16:17]
	v_mul_f64 v[16:17], v[28:29], v[16:17]
	v_fma_f64 v[36:37], v[4:5], v[10:11], v[44:45]
	v_fma_f64 v[10:11], v[2:3], v[10:11], -v[12:13]
	v_add_f64 v[12:13], v[8:9], v[6:7]
	v_add_f64 v[30:31], v[30:31], v[32:33]
	ds_load_b128 v[2:5], v1 offset:1600
	ds_load_b128 v[6:9], v1 offset:1616
	v_fma_f64 v[28:29], v[28:29], v[14:15], v[34:35]
	v_fma_f64 v[14:15], v[26:27], v[14:15], -v[16:17]
	s_waitcnt vmcnt(1) lgkmcnt(1)
	v_mul_f64 v[32:33], v[2:3], v[20:21]
	v_mul_f64 v[20:21], v[4:5], v[20:21]
	s_waitcnt vmcnt(0) lgkmcnt(0)
	v_mul_f64 v[16:17], v[6:7], v[24:25]
	v_mul_f64 v[24:25], v[8:9], v[24:25]
	v_add_f64 v[10:11], v[12:13], v[10:11]
	v_add_f64 v[12:13], v[30:31], v[36:37]
	v_fma_f64 v[4:5], v[4:5], v[18:19], v[32:33]
	v_fma_f64 v[1:2], v[2:3], v[18:19], -v[20:21]
	v_fma_f64 v[8:9], v[8:9], v[22:23], v[16:17]
	v_fma_f64 v[6:7], v[6:7], v[22:23], -v[24:25]
	v_add_f64 v[10:11], v[10:11], v[14:15]
	v_add_f64 v[12:13], v[12:13], v[28:29]
	s_delay_alu instid0(VALU_DEP_2) | instskip(NEXT) | instid1(VALU_DEP_2)
	v_add_f64 v[1:2], v[10:11], v[1:2]
	v_add_f64 v[3:4], v[12:13], v[4:5]
	s_delay_alu instid0(VALU_DEP_2) | instskip(NEXT) | instid1(VALU_DEP_2)
	;; [unrolled: 3-line block ×3, first 2 shown]
	v_add_f64 v[1:2], v[157:158], -v[1:2]
	v_add_f64 v[3:4], v[159:160], -v[3:4]
	scratch_store_b128 off, v[1:4], off offset:64
	v_cmpx_lt_u32_e32 3, v148
	s_cbranch_execz .LBB114_313
; %bb.312:
	scratch_load_b128 v[1:4], v196, off
	v_mov_b32_e32 v5, 0
	s_delay_alu instid0(VALU_DEP_1)
	v_mov_b32_e32 v6, v5
	v_mov_b32_e32 v7, v5
	;; [unrolled: 1-line block ×3, first 2 shown]
	scratch_store_b128 off, v[5:8], off offset:48
	s_waitcnt vmcnt(0)
	ds_store_b128 v199, v[1:4]
.LBB114_313:
	s_or_b32 exec_lo, exec_lo, s2
	s_waitcnt lgkmcnt(0)
	s_waitcnt_vscnt null, 0x0
	s_barrier
	buffer_gl0_inv
	s_clause 0x7
	scratch_load_b128 v[2:5], off, off offset:64
	scratch_load_b128 v[6:9], off, off offset:80
	;; [unrolled: 1-line block ×8, first 2 shown]
	v_mov_b32_e32 v1, 0
	s_mov_b32 s2, exec_lo
	ds_load_b128 v[38:41], v1 offset:880
	s_clause 0x1
	scratch_load_b128 v[34:37], off, off offset:192
	scratch_load_b128 v[42:45], off, off offset:48
	ds_load_b128 v[157:160], v1 offset:896
	scratch_load_b128 v[161:164], off, off offset:208
	s_waitcnt vmcnt(10) lgkmcnt(1)
	v_mul_f64 v[165:166], v[40:41], v[4:5]
	v_mul_f64 v[4:5], v[38:39], v[4:5]
	s_delay_alu instid0(VALU_DEP_2) | instskip(NEXT) | instid1(VALU_DEP_2)
	v_fma_f64 v[214:215], v[38:39], v[2:3], -v[165:166]
	v_fma_f64 v[216:217], v[40:41], v[2:3], v[4:5]
	scratch_load_b128 v[38:41], off, off offset:224
	ds_load_b128 v[2:5], v1 offset:912
	s_waitcnt vmcnt(10) lgkmcnt(1)
	v_mul_f64 v[212:213], v[157:158], v[8:9]
	v_mul_f64 v[8:9], v[159:160], v[8:9]
	ds_load_b128 v[165:168], v1 offset:928
	s_waitcnt vmcnt(9) lgkmcnt(1)
	v_mul_f64 v[218:219], v[2:3], v[12:13]
	v_mul_f64 v[12:13], v[4:5], v[12:13]
	v_fma_f64 v[159:160], v[159:160], v[6:7], v[212:213]
	v_fma_f64 v[157:158], v[157:158], v[6:7], -v[8:9]
	v_add_f64 v[212:213], v[214:215], 0
	v_add_f64 v[214:215], v[216:217], 0
	scratch_load_b128 v[6:9], off, off offset:240
	v_fma_f64 v[218:219], v[4:5], v[10:11], v[218:219]
	v_fma_f64 v[220:221], v[2:3], v[10:11], -v[12:13]
	scratch_load_b128 v[10:13], off, off offset:256
	ds_load_b128 v[2:5], v1 offset:944
	s_waitcnt vmcnt(10) lgkmcnt(1)
	v_mul_f64 v[216:217], v[165:166], v[16:17]
	v_mul_f64 v[16:17], v[167:168], v[16:17]
	v_add_f64 v[212:213], v[212:213], v[157:158]
	v_add_f64 v[214:215], v[214:215], v[159:160]
	s_waitcnt vmcnt(9) lgkmcnt(0)
	v_mul_f64 v[222:223], v[2:3], v[20:21]
	v_mul_f64 v[20:21], v[4:5], v[20:21]
	ds_load_b128 v[157:160], v1 offset:960
	v_fma_f64 v[167:168], v[167:168], v[14:15], v[216:217]
	v_fma_f64 v[165:166], v[165:166], v[14:15], -v[16:17]
	scratch_load_b128 v[14:17], off, off offset:272
	v_add_f64 v[212:213], v[212:213], v[220:221]
	v_add_f64 v[214:215], v[214:215], v[218:219]
	v_fma_f64 v[218:219], v[4:5], v[18:19], v[222:223]
	v_fma_f64 v[220:221], v[2:3], v[18:19], -v[20:21]
	scratch_load_b128 v[18:21], off, off offset:288
	ds_load_b128 v[2:5], v1 offset:976
	s_waitcnt vmcnt(10) lgkmcnt(1)
	v_mul_f64 v[216:217], v[157:158], v[24:25]
	v_mul_f64 v[24:25], v[159:160], v[24:25]
	s_waitcnt vmcnt(9) lgkmcnt(0)
	v_mul_f64 v[222:223], v[2:3], v[28:29]
	v_mul_f64 v[28:29], v[4:5], v[28:29]
	v_add_f64 v[212:213], v[212:213], v[165:166]
	v_add_f64 v[214:215], v[214:215], v[167:168]
	ds_load_b128 v[165:168], v1 offset:992
	v_fma_f64 v[159:160], v[159:160], v[22:23], v[216:217]
	v_fma_f64 v[157:158], v[157:158], v[22:23], -v[24:25]
	scratch_load_b128 v[22:25], off, off offset:304
	v_add_f64 v[212:213], v[212:213], v[220:221]
	v_add_f64 v[214:215], v[214:215], v[218:219]
	v_fma_f64 v[218:219], v[4:5], v[26:27], v[222:223]
	v_fma_f64 v[220:221], v[2:3], v[26:27], -v[28:29]
	scratch_load_b128 v[26:29], off, off offset:320
	ds_load_b128 v[2:5], v1 offset:1008
	s_waitcnt vmcnt(10) lgkmcnt(1)
	v_mul_f64 v[216:217], v[165:166], v[32:33]
	v_mul_f64 v[32:33], v[167:168], v[32:33]
	s_waitcnt vmcnt(9) lgkmcnt(0)
	v_mul_f64 v[222:223], v[2:3], v[36:37]
	v_mul_f64 v[36:37], v[4:5], v[36:37]
	v_add_f64 v[212:213], v[212:213], v[157:158]
	v_add_f64 v[214:215], v[214:215], v[159:160]
	ds_load_b128 v[157:160], v1 offset:1024
	v_fma_f64 v[167:168], v[167:168], v[30:31], v[216:217]
	v_fma_f64 v[165:166], v[165:166], v[30:31], -v[32:33]
	scratch_load_b128 v[30:33], off, off offset:336
	v_add_f64 v[212:213], v[212:213], v[220:221]
	v_add_f64 v[214:215], v[214:215], v[218:219]
	v_fma_f64 v[220:221], v[4:5], v[34:35], v[222:223]
	v_fma_f64 v[222:223], v[2:3], v[34:35], -v[36:37]
	scratch_load_b128 v[34:37], off, off offset:352
	ds_load_b128 v[2:5], v1 offset:1040
	s_waitcnt vmcnt(9) lgkmcnt(1)
	v_mul_f64 v[216:217], v[157:158], v[163:164]
	v_mul_f64 v[218:219], v[159:160], v[163:164]
	v_add_f64 v[212:213], v[212:213], v[165:166]
	v_add_f64 v[167:168], v[214:215], v[167:168]
	ds_load_b128 v[163:166], v1 offset:1056
	v_fma_f64 v[216:217], v[159:160], v[161:162], v[216:217]
	v_fma_f64 v[161:162], v[157:158], v[161:162], -v[218:219]
	scratch_load_b128 v[157:160], off, off offset:368
	s_waitcnt vmcnt(9) lgkmcnt(1)
	v_mul_f64 v[214:215], v[2:3], v[40:41]
	v_mul_f64 v[40:41], v[4:5], v[40:41]
	v_add_f64 v[212:213], v[212:213], v[222:223]
	v_add_f64 v[167:168], v[167:168], v[220:221]
	s_delay_alu instid0(VALU_DEP_4) | instskip(NEXT) | instid1(VALU_DEP_4)
	v_fma_f64 v[220:221], v[4:5], v[38:39], v[214:215]
	v_fma_f64 v[222:223], v[2:3], v[38:39], -v[40:41]
	scratch_load_b128 v[38:41], off, off offset:384
	ds_load_b128 v[2:5], v1 offset:1072
	s_waitcnt vmcnt(9) lgkmcnt(1)
	v_mul_f64 v[218:219], v[163:164], v[8:9]
	v_mul_f64 v[8:9], v[165:166], v[8:9]
	v_add_f64 v[161:162], v[212:213], v[161:162]
	v_add_f64 v[167:168], v[167:168], v[216:217]
	s_waitcnt vmcnt(8) lgkmcnt(0)
	v_mul_f64 v[216:217], v[2:3], v[12:13]
	v_mul_f64 v[12:13], v[4:5], v[12:13]
	ds_load_b128 v[212:215], v1 offset:1088
	v_fma_f64 v[165:166], v[165:166], v[6:7], v[218:219]
	v_fma_f64 v[163:164], v[163:164], v[6:7], -v[8:9]
	scratch_load_b128 v[6:9], off, off offset:400
	v_add_f64 v[161:162], v[161:162], v[222:223]
	v_add_f64 v[167:168], v[167:168], v[220:221]
	v_fma_f64 v[216:217], v[4:5], v[10:11], v[216:217]
	v_fma_f64 v[220:221], v[2:3], v[10:11], -v[12:13]
	scratch_load_b128 v[10:13], off, off offset:416
	ds_load_b128 v[2:5], v1 offset:1104
	s_waitcnt vmcnt(9) lgkmcnt(1)
	v_mul_f64 v[218:219], v[212:213], v[16:17]
	v_mul_f64 v[16:17], v[214:215], v[16:17]
	v_add_f64 v[222:223], v[161:162], v[163:164]
	v_add_f64 v[165:166], v[167:168], v[165:166]
	s_waitcnt vmcnt(8) lgkmcnt(0)
	v_mul_f64 v[167:168], v[2:3], v[20:21]
	v_mul_f64 v[20:21], v[4:5], v[20:21]
	ds_load_b128 v[161:164], v1 offset:1120
	v_fma_f64 v[214:215], v[214:215], v[14:15], v[218:219]
	v_fma_f64 v[212:213], v[212:213], v[14:15], -v[16:17]
	scratch_load_b128 v[14:17], off, off offset:432
	v_add_f64 v[218:219], v[222:223], v[220:221]
	v_add_f64 v[165:166], v[165:166], v[216:217]
	v_fma_f64 v[220:221], v[4:5], v[18:19], v[167:168]
	v_fma_f64 v[222:223], v[2:3], v[18:19], -v[20:21]
	scratch_load_b128 v[18:21], off, off offset:448
	ds_load_b128 v[2:5], v1 offset:1136
	s_waitcnt vmcnt(9) lgkmcnt(1)
	v_mul_f64 v[216:217], v[161:162], v[24:25]
	v_mul_f64 v[24:25], v[163:164], v[24:25]
	v_add_f64 v[212:213], v[218:219], v[212:213]
	v_add_f64 v[214:215], v[165:166], v[214:215]
	s_waitcnt vmcnt(8) lgkmcnt(0)
	v_mul_f64 v[218:219], v[2:3], v[28:29]
	v_mul_f64 v[28:29], v[4:5], v[28:29]
	ds_load_b128 v[165:168], v1 offset:1152
	v_fma_f64 v[163:164], v[163:164], v[22:23], v[216:217]
	v_fma_f64 v[161:162], v[161:162], v[22:23], -v[24:25]
	scratch_load_b128 v[22:25], off, off offset:464
	v_add_f64 v[212:213], v[212:213], v[222:223]
	v_add_f64 v[214:215], v[214:215], v[220:221]
	v_fma_f64 v[218:219], v[4:5], v[26:27], v[218:219]
	v_fma_f64 v[220:221], v[2:3], v[26:27], -v[28:29]
	scratch_load_b128 v[26:29], off, off offset:480
	ds_load_b128 v[2:5], v1 offset:1168
	s_waitcnt vmcnt(9) lgkmcnt(1)
	v_mul_f64 v[216:217], v[165:166], v[32:33]
	v_mul_f64 v[32:33], v[167:168], v[32:33]
	s_waitcnt vmcnt(8) lgkmcnt(0)
	v_mul_f64 v[222:223], v[2:3], v[36:37]
	v_mul_f64 v[36:37], v[4:5], v[36:37]
	v_add_f64 v[212:213], v[212:213], v[161:162]
	v_add_f64 v[214:215], v[214:215], v[163:164]
	ds_load_b128 v[161:164], v1 offset:1184
	v_fma_f64 v[167:168], v[167:168], v[30:31], v[216:217]
	v_fma_f64 v[165:166], v[165:166], v[30:31], -v[32:33]
	scratch_load_b128 v[30:33], off, off offset:496
	v_add_f64 v[212:213], v[212:213], v[220:221]
	v_add_f64 v[214:215], v[214:215], v[218:219]
	v_fma_f64 v[218:219], v[4:5], v[34:35], v[222:223]
	v_fma_f64 v[220:221], v[2:3], v[34:35], -v[36:37]
	scratch_load_b128 v[34:37], off, off offset:512
	ds_load_b128 v[2:5], v1 offset:1200
	s_waitcnt vmcnt(9) lgkmcnt(1)
	v_mul_f64 v[216:217], v[161:162], v[159:160]
	v_mul_f64 v[159:160], v[163:164], v[159:160]
	s_waitcnt vmcnt(8) lgkmcnt(0)
	v_mul_f64 v[222:223], v[2:3], v[40:41]
	v_mul_f64 v[40:41], v[4:5], v[40:41]
	v_add_f64 v[212:213], v[212:213], v[165:166]
	v_add_f64 v[214:215], v[214:215], v[167:168]
	ds_load_b128 v[165:168], v1 offset:1216
	v_fma_f64 v[163:164], v[163:164], v[157:158], v[216:217]
	v_fma_f64 v[161:162], v[161:162], v[157:158], -v[159:160]
	scratch_load_b128 v[157:160], off, off offset:528
	v_add_f64 v[212:213], v[212:213], v[220:221]
	v_add_f64 v[214:215], v[214:215], v[218:219]
	;; [unrolled: 18-line block ×6, first 2 shown]
	v_fma_f64 v[220:221], v[4:5], v[34:35], v[222:223]
	v_fma_f64 v[222:223], v[2:3], v[34:35], -v[36:37]
	scratch_load_b128 v[34:37], off, off offset:672
	ds_load_b128 v[2:5], v1 offset:1360
	s_waitcnt vmcnt(9) lgkmcnt(1)
	v_mul_f64 v[216:217], v[165:166], v[159:160]
	v_mul_f64 v[218:219], v[167:168], v[159:160]
	v_add_f64 v[212:213], v[212:213], v[161:162]
	v_add_f64 v[163:164], v[214:215], v[163:164]
	s_waitcnt vmcnt(8) lgkmcnt(0)
	v_mul_f64 v[214:215], v[2:3], v[40:41]
	v_mul_f64 v[40:41], v[4:5], v[40:41]
	ds_load_b128 v[159:162], v1 offset:1376
	v_fma_f64 v[167:168], v[167:168], v[157:158], v[216:217]
	v_fma_f64 v[157:158], v[165:166], v[157:158], -v[218:219]
	v_add_f64 v[212:213], v[212:213], v[222:223]
	v_add_f64 v[216:217], v[163:164], v[220:221]
	scratch_load_b128 v[163:166], off, off offset:688
	v_fma_f64 v[220:221], v[4:5], v[38:39], v[214:215]
	v_fma_f64 v[222:223], v[2:3], v[38:39], -v[40:41]
	scratch_load_b128 v[38:41], off, off offset:704
	ds_load_b128 v[2:5], v1 offset:1392
	s_waitcnt vmcnt(9) lgkmcnt(1)
	v_mul_f64 v[218:219], v[159:160], v[8:9]
	v_mul_f64 v[8:9], v[161:162], v[8:9]
	v_add_f64 v[157:158], v[212:213], v[157:158]
	v_add_f64 v[167:168], v[216:217], v[167:168]
	s_waitcnt vmcnt(8) lgkmcnt(0)
	v_mul_f64 v[216:217], v[2:3], v[12:13]
	v_mul_f64 v[12:13], v[4:5], v[12:13]
	ds_load_b128 v[212:215], v1 offset:1408
	v_fma_f64 v[161:162], v[161:162], v[6:7], v[218:219]
	v_fma_f64 v[159:160], v[159:160], v[6:7], -v[8:9]
	scratch_load_b128 v[6:9], off, off offset:720
	v_add_f64 v[157:158], v[157:158], v[222:223]
	v_add_f64 v[167:168], v[167:168], v[220:221]
	v_fma_f64 v[216:217], v[4:5], v[10:11], v[216:217]
	v_fma_f64 v[220:221], v[2:3], v[10:11], -v[12:13]
	scratch_load_b128 v[10:13], off, off offset:736
	ds_load_b128 v[2:5], v1 offset:1424
	s_waitcnt vmcnt(9) lgkmcnt(1)
	v_mul_f64 v[218:219], v[212:213], v[16:17]
	v_mul_f64 v[16:17], v[214:215], v[16:17]
	v_add_f64 v[222:223], v[157:158], v[159:160]
	v_add_f64 v[161:162], v[167:168], v[161:162]
	s_waitcnt vmcnt(8) lgkmcnt(0)
	v_mul_f64 v[167:168], v[2:3], v[20:21]
	v_mul_f64 v[20:21], v[4:5], v[20:21]
	ds_load_b128 v[157:160], v1 offset:1440
	v_fma_f64 v[214:215], v[214:215], v[14:15], v[218:219]
	v_fma_f64 v[212:213], v[212:213], v[14:15], -v[16:17]
	scratch_load_b128 v[14:17], off, off offset:752
	v_add_f64 v[218:219], v[222:223], v[220:221]
	v_add_f64 v[161:162], v[161:162], v[216:217]
	v_fma_f64 v[167:168], v[4:5], v[18:19], v[167:168]
	v_fma_f64 v[220:221], v[2:3], v[18:19], -v[20:21]
	scratch_load_b128 v[18:21], off, off offset:768
	ds_load_b128 v[2:5], v1 offset:1456
	s_waitcnt vmcnt(9) lgkmcnt(1)
	v_mul_f64 v[216:217], v[157:158], v[24:25]
	v_mul_f64 v[24:25], v[159:160], v[24:25]
	s_waitcnt vmcnt(8) lgkmcnt(0)
	v_mul_f64 v[222:223], v[2:3], v[28:29]
	v_mul_f64 v[28:29], v[4:5], v[28:29]
	v_add_f64 v[218:219], v[218:219], v[212:213]
	v_add_f64 v[161:162], v[161:162], v[214:215]
	ds_load_b128 v[212:215], v1 offset:1472
	v_fma_f64 v[159:160], v[159:160], v[22:23], v[216:217]
	v_fma_f64 v[157:158], v[157:158], v[22:23], -v[24:25]
	scratch_load_b128 v[22:25], off, off offset:784
	v_add_f64 v[216:217], v[218:219], v[220:221]
	v_add_f64 v[161:162], v[161:162], v[167:168]
	v_fma_f64 v[218:219], v[4:5], v[26:27], v[222:223]
	v_fma_f64 v[220:221], v[2:3], v[26:27], -v[28:29]
	scratch_load_b128 v[26:29], off, off offset:800
	ds_load_b128 v[2:5], v1 offset:1488
	s_waitcnt vmcnt(9) lgkmcnt(1)
	v_mul_f64 v[167:168], v[212:213], v[32:33]
	v_mul_f64 v[32:33], v[214:215], v[32:33]
	s_waitcnt vmcnt(8) lgkmcnt(0)
	v_mul_f64 v[222:223], v[2:3], v[36:37]
	v_mul_f64 v[36:37], v[4:5], v[36:37]
	v_add_f64 v[216:217], v[216:217], v[157:158]
	v_add_f64 v[161:162], v[161:162], v[159:160]
	ds_load_b128 v[157:160], v1 offset:1504
	v_fma_f64 v[167:168], v[214:215], v[30:31], v[167:168]
	v_fma_f64 v[30:31], v[212:213], v[30:31], -v[32:33]
	v_fma_f64 v[214:215], v[4:5], v[34:35], v[222:223]
	v_fma_f64 v[34:35], v[2:3], v[34:35], -v[36:37]
	v_add_f64 v[32:33], v[216:217], v[220:221]
	v_add_f64 v[161:162], v[161:162], v[218:219]
	s_waitcnt vmcnt(7) lgkmcnt(0)
	v_mul_f64 v[212:213], v[157:158], v[165:166]
	v_mul_f64 v[165:166], v[159:160], v[165:166]
	s_delay_alu instid0(VALU_DEP_4) | instskip(NEXT) | instid1(VALU_DEP_4)
	v_add_f64 v[36:37], v[32:33], v[30:31]
	v_add_f64 v[161:162], v[161:162], v[167:168]
	ds_load_b128 v[2:5], v1 offset:1520
	ds_load_b128 v[30:33], v1 offset:1536
	v_fma_f64 v[159:160], v[159:160], v[163:164], v[212:213]
	v_fma_f64 v[157:158], v[157:158], v[163:164], -v[165:166]
	s_waitcnt vmcnt(6) lgkmcnt(1)
	v_mul_f64 v[167:168], v[2:3], v[40:41]
	v_mul_f64 v[40:41], v[4:5], v[40:41]
	v_add_f64 v[34:35], v[36:37], v[34:35]
	v_add_f64 v[36:37], v[161:162], v[214:215]
	s_waitcnt vmcnt(5) lgkmcnt(0)
	v_mul_f64 v[161:162], v[30:31], v[8:9]
	v_mul_f64 v[8:9], v[32:33], v[8:9]
	v_fma_f64 v[163:164], v[4:5], v[38:39], v[167:168]
	v_fma_f64 v[38:39], v[2:3], v[38:39], -v[40:41]
	v_add_f64 v[40:41], v[34:35], v[157:158]
	v_add_f64 v[157:158], v[36:37], v[159:160]
	ds_load_b128 v[2:5], v1 offset:1552
	ds_load_b128 v[34:37], v1 offset:1568
	v_fma_f64 v[32:33], v[32:33], v[6:7], v[161:162]
	v_fma_f64 v[6:7], v[30:31], v[6:7], -v[8:9]
	s_waitcnt vmcnt(4) lgkmcnt(1)
	v_mul_f64 v[159:160], v[2:3], v[12:13]
	v_mul_f64 v[12:13], v[4:5], v[12:13]
	v_add_f64 v[8:9], v[40:41], v[38:39]
	v_add_f64 v[30:31], v[157:158], v[163:164]
	s_waitcnt vmcnt(3) lgkmcnt(0)
	v_mul_f64 v[38:39], v[34:35], v[16:17]
	v_mul_f64 v[16:17], v[36:37], v[16:17]
	v_fma_f64 v[40:41], v[4:5], v[10:11], v[159:160]
	v_fma_f64 v[10:11], v[2:3], v[10:11], -v[12:13]
	v_add_f64 v[12:13], v[8:9], v[6:7]
	v_add_f64 v[30:31], v[30:31], v[32:33]
	ds_load_b128 v[2:5], v1 offset:1584
	ds_load_b128 v[6:9], v1 offset:1600
	v_fma_f64 v[36:37], v[36:37], v[14:15], v[38:39]
	v_fma_f64 v[14:15], v[34:35], v[14:15], -v[16:17]
	s_waitcnt vmcnt(2) lgkmcnt(1)
	v_mul_f64 v[32:33], v[2:3], v[20:21]
	v_mul_f64 v[20:21], v[4:5], v[20:21]
	s_waitcnt vmcnt(1) lgkmcnt(0)
	v_mul_f64 v[16:17], v[6:7], v[24:25]
	v_mul_f64 v[24:25], v[8:9], v[24:25]
	v_add_f64 v[10:11], v[12:13], v[10:11]
	v_add_f64 v[12:13], v[30:31], v[40:41]
	v_fma_f64 v[30:31], v[4:5], v[18:19], v[32:33]
	v_fma_f64 v[18:19], v[2:3], v[18:19], -v[20:21]
	ds_load_b128 v[2:5], v1 offset:1616
	v_fma_f64 v[8:9], v[8:9], v[22:23], v[16:17]
	v_fma_f64 v[6:7], v[6:7], v[22:23], -v[24:25]
	v_add_f64 v[10:11], v[10:11], v[14:15]
	v_add_f64 v[12:13], v[12:13], v[36:37]
	s_waitcnt vmcnt(0) lgkmcnt(0)
	v_mul_f64 v[14:15], v[2:3], v[28:29]
	v_mul_f64 v[20:21], v[4:5], v[28:29]
	s_delay_alu instid0(VALU_DEP_4) | instskip(NEXT) | instid1(VALU_DEP_4)
	v_add_f64 v[10:11], v[10:11], v[18:19]
	v_add_f64 v[12:13], v[12:13], v[30:31]
	s_delay_alu instid0(VALU_DEP_4) | instskip(NEXT) | instid1(VALU_DEP_4)
	v_fma_f64 v[4:5], v[4:5], v[26:27], v[14:15]
	v_fma_f64 v[2:3], v[2:3], v[26:27], -v[20:21]
	s_delay_alu instid0(VALU_DEP_4) | instskip(NEXT) | instid1(VALU_DEP_4)
	v_add_f64 v[6:7], v[10:11], v[6:7]
	v_add_f64 v[8:9], v[12:13], v[8:9]
	s_delay_alu instid0(VALU_DEP_2) | instskip(NEXT) | instid1(VALU_DEP_2)
	v_add_f64 v[2:3], v[6:7], v[2:3]
	v_add_f64 v[4:5], v[8:9], v[4:5]
	s_delay_alu instid0(VALU_DEP_2) | instskip(NEXT) | instid1(VALU_DEP_2)
	v_add_f64 v[2:3], v[42:43], -v[2:3]
	v_add_f64 v[4:5], v[44:45], -v[4:5]
	scratch_store_b128 off, v[2:5], off offset:48
	v_cmpx_lt_u32_e32 2, v148
	s_cbranch_execz .LBB114_315
; %bb.314:
	scratch_load_b128 v[5:8], v197, off
	v_mov_b32_e32 v2, v1
	v_mov_b32_e32 v3, v1
	v_mov_b32_e32 v4, v1
	scratch_store_b128 off, v[1:4], off offset:32
	s_waitcnt vmcnt(0)
	ds_store_b128 v199, v[5:8]
.LBB114_315:
	s_or_b32 exec_lo, exec_lo, s2
	s_waitcnt lgkmcnt(0)
	s_waitcnt_vscnt null, 0x0
	s_barrier
	buffer_gl0_inv
	s_clause 0x8
	scratch_load_b128 v[2:5], off, off offset:48
	scratch_load_b128 v[6:9], off, off offset:64
	;; [unrolled: 1-line block ×9, first 2 shown]
	ds_load_b128 v[42:45], v1 offset:864
	ds_load_b128 v[38:41], v1 offset:880
	s_clause 0x1
	scratch_load_b128 v[157:160], off, off offset:32
	scratch_load_b128 v[161:164], off, off offset:192
	s_mov_b32 s2, exec_lo
	s_waitcnt vmcnt(10) lgkmcnt(1)
	v_mul_f64 v[165:166], v[44:45], v[4:5]
	v_mul_f64 v[4:5], v[42:43], v[4:5]
	s_waitcnt vmcnt(9) lgkmcnt(0)
	v_mul_f64 v[212:213], v[38:39], v[8:9]
	v_mul_f64 v[8:9], v[40:41], v[8:9]
	s_delay_alu instid0(VALU_DEP_4) | instskip(NEXT) | instid1(VALU_DEP_4)
	v_fma_f64 v[214:215], v[42:43], v[2:3], -v[165:166]
	v_fma_f64 v[216:217], v[44:45], v[2:3], v[4:5]
	ds_load_b128 v[2:5], v1 offset:896
	ds_load_b128 v[165:168], v1 offset:912
	scratch_load_b128 v[42:45], off, off offset:208
	v_fma_f64 v[40:41], v[40:41], v[6:7], v[212:213]
	v_fma_f64 v[38:39], v[38:39], v[6:7], -v[8:9]
	scratch_load_b128 v[6:9], off, off offset:224
	s_waitcnt vmcnt(10) lgkmcnt(1)
	v_mul_f64 v[218:219], v[2:3], v[12:13]
	v_mul_f64 v[12:13], v[4:5], v[12:13]
	v_add_f64 v[212:213], v[214:215], 0
	v_add_f64 v[214:215], v[216:217], 0
	s_waitcnt vmcnt(9) lgkmcnt(0)
	v_mul_f64 v[216:217], v[165:166], v[16:17]
	v_mul_f64 v[16:17], v[167:168], v[16:17]
	v_fma_f64 v[218:219], v[4:5], v[10:11], v[218:219]
	v_fma_f64 v[220:221], v[2:3], v[10:11], -v[12:13]
	ds_load_b128 v[2:5], v1 offset:928
	scratch_load_b128 v[10:13], off, off offset:240
	v_add_f64 v[212:213], v[212:213], v[38:39]
	v_add_f64 v[214:215], v[214:215], v[40:41]
	ds_load_b128 v[38:41], v1 offset:944
	v_fma_f64 v[167:168], v[167:168], v[14:15], v[216:217]
	v_fma_f64 v[165:166], v[165:166], v[14:15], -v[16:17]
	scratch_load_b128 v[14:17], off, off offset:256
	s_waitcnt vmcnt(10) lgkmcnt(1)
	v_mul_f64 v[222:223], v[2:3], v[20:21]
	v_mul_f64 v[20:21], v[4:5], v[20:21]
	s_waitcnt vmcnt(9) lgkmcnt(0)
	v_mul_f64 v[216:217], v[38:39], v[24:25]
	v_mul_f64 v[24:25], v[40:41], v[24:25]
	v_add_f64 v[212:213], v[212:213], v[220:221]
	v_add_f64 v[214:215], v[214:215], v[218:219]
	v_fma_f64 v[218:219], v[4:5], v[18:19], v[222:223]
	v_fma_f64 v[220:221], v[2:3], v[18:19], -v[20:21]
	ds_load_b128 v[2:5], v1 offset:960
	scratch_load_b128 v[18:21], off, off offset:272
	v_fma_f64 v[40:41], v[40:41], v[22:23], v[216:217]
	v_fma_f64 v[38:39], v[38:39], v[22:23], -v[24:25]
	scratch_load_b128 v[22:25], off, off offset:288
	v_add_f64 v[212:213], v[212:213], v[165:166]
	v_add_f64 v[214:215], v[214:215], v[167:168]
	ds_load_b128 v[165:168], v1 offset:976
	s_waitcnt vmcnt(10) lgkmcnt(1)
	v_mul_f64 v[222:223], v[2:3], v[28:29]
	v_mul_f64 v[28:29], v[4:5], v[28:29]
	s_waitcnt vmcnt(9) lgkmcnt(0)
	v_mul_f64 v[216:217], v[165:166], v[32:33]
	v_mul_f64 v[32:33], v[167:168], v[32:33]
	v_add_f64 v[212:213], v[212:213], v[220:221]
	v_add_f64 v[214:215], v[214:215], v[218:219]
	v_fma_f64 v[218:219], v[4:5], v[26:27], v[222:223]
	v_fma_f64 v[220:221], v[2:3], v[26:27], -v[28:29]
	ds_load_b128 v[2:5], v1 offset:992
	scratch_load_b128 v[26:29], off, off offset:304
	v_fma_f64 v[167:168], v[167:168], v[30:31], v[216:217]
	v_fma_f64 v[165:166], v[165:166], v[30:31], -v[32:33]
	scratch_load_b128 v[30:33], off, off offset:320
	v_add_f64 v[212:213], v[212:213], v[38:39]
	v_add_f64 v[214:215], v[214:215], v[40:41]
	ds_load_b128 v[38:41], v1 offset:1008
	s_waitcnt vmcnt(10) lgkmcnt(1)
	v_mul_f64 v[222:223], v[2:3], v[36:37]
	v_mul_f64 v[36:37], v[4:5], v[36:37]
	s_waitcnt vmcnt(8) lgkmcnt(0)
	v_mul_f64 v[216:217], v[38:39], v[163:164]
	v_add_f64 v[212:213], v[212:213], v[220:221]
	v_add_f64 v[214:215], v[214:215], v[218:219]
	v_mul_f64 v[218:219], v[40:41], v[163:164]
	v_fma_f64 v[220:221], v[4:5], v[34:35], v[222:223]
	v_fma_f64 v[222:223], v[2:3], v[34:35], -v[36:37]
	ds_load_b128 v[2:5], v1 offset:1024
	scratch_load_b128 v[34:37], off, off offset:336
	v_fma_f64 v[216:217], v[40:41], v[161:162], v[216:217]
	v_add_f64 v[212:213], v[212:213], v[165:166]
	v_add_f64 v[167:168], v[214:215], v[167:168]
	ds_load_b128 v[163:166], v1 offset:1040
	v_fma_f64 v[161:162], v[38:39], v[161:162], -v[218:219]
	scratch_load_b128 v[38:41], off, off offset:352
	s_waitcnt vmcnt(9) lgkmcnt(1)
	v_mul_f64 v[214:215], v[2:3], v[44:45]
	v_mul_f64 v[44:45], v[4:5], v[44:45]
	s_waitcnt vmcnt(8) lgkmcnt(0)
	v_mul_f64 v[218:219], v[163:164], v[8:9]
	v_mul_f64 v[8:9], v[165:166], v[8:9]
	v_add_f64 v[212:213], v[212:213], v[222:223]
	v_add_f64 v[167:168], v[167:168], v[220:221]
	v_fma_f64 v[220:221], v[4:5], v[42:43], v[214:215]
	v_fma_f64 v[222:223], v[2:3], v[42:43], -v[44:45]
	ds_load_b128 v[2:5], v1 offset:1056
	scratch_load_b128 v[42:45], off, off offset:368
	v_fma_f64 v[165:166], v[165:166], v[6:7], v[218:219]
	v_fma_f64 v[163:164], v[163:164], v[6:7], -v[8:9]
	scratch_load_b128 v[6:9], off, off offset:384
	v_add_f64 v[161:162], v[212:213], v[161:162]
	v_add_f64 v[167:168], v[167:168], v[216:217]
	ds_load_b128 v[212:215], v1 offset:1072
	s_waitcnt vmcnt(9) lgkmcnt(1)
	v_mul_f64 v[216:217], v[2:3], v[12:13]
	v_mul_f64 v[12:13], v[4:5], v[12:13]
	s_waitcnt vmcnt(8) lgkmcnt(0)
	v_mul_f64 v[218:219], v[212:213], v[16:17]
	v_mul_f64 v[16:17], v[214:215], v[16:17]
	v_add_f64 v[161:162], v[161:162], v[222:223]
	v_add_f64 v[167:168], v[167:168], v[220:221]
	v_fma_f64 v[216:217], v[4:5], v[10:11], v[216:217]
	v_fma_f64 v[220:221], v[2:3], v[10:11], -v[12:13]
	ds_load_b128 v[2:5], v1 offset:1088
	scratch_load_b128 v[10:13], off, off offset:400
	v_fma_f64 v[214:215], v[214:215], v[14:15], v[218:219]
	v_fma_f64 v[212:213], v[212:213], v[14:15], -v[16:17]
	scratch_load_b128 v[14:17], off, off offset:416
	v_add_f64 v[222:223], v[161:162], v[163:164]
	v_add_f64 v[165:166], v[167:168], v[165:166]
	ds_load_b128 v[161:164], v1 offset:1104
	s_waitcnt vmcnt(9) lgkmcnt(1)
	v_mul_f64 v[167:168], v[2:3], v[20:21]
	v_mul_f64 v[20:21], v[4:5], v[20:21]
	v_add_f64 v[218:219], v[222:223], v[220:221]
	v_add_f64 v[165:166], v[165:166], v[216:217]
	s_waitcnt vmcnt(8) lgkmcnt(0)
	v_mul_f64 v[216:217], v[161:162], v[24:25]
	v_mul_f64 v[24:25], v[163:164], v[24:25]
	v_fma_f64 v[220:221], v[4:5], v[18:19], v[167:168]
	v_fma_f64 v[222:223], v[2:3], v[18:19], -v[20:21]
	ds_load_b128 v[2:5], v1 offset:1120
	scratch_load_b128 v[18:21], off, off offset:432
	v_add_f64 v[212:213], v[218:219], v[212:213]
	v_add_f64 v[214:215], v[165:166], v[214:215]
	ds_load_b128 v[165:168], v1 offset:1136
	s_waitcnt vmcnt(8) lgkmcnt(1)
	v_mul_f64 v[218:219], v[2:3], v[28:29]
	v_mul_f64 v[28:29], v[4:5], v[28:29]
	v_fma_f64 v[163:164], v[163:164], v[22:23], v[216:217]
	v_fma_f64 v[161:162], v[161:162], v[22:23], -v[24:25]
	scratch_load_b128 v[22:25], off, off offset:448
	s_waitcnt vmcnt(8) lgkmcnt(0)
	v_mul_f64 v[216:217], v[165:166], v[32:33]
	v_mul_f64 v[32:33], v[167:168], v[32:33]
	v_add_f64 v[212:213], v[212:213], v[222:223]
	v_add_f64 v[214:215], v[214:215], v[220:221]
	v_fma_f64 v[218:219], v[4:5], v[26:27], v[218:219]
	v_fma_f64 v[220:221], v[2:3], v[26:27], -v[28:29]
	ds_load_b128 v[2:5], v1 offset:1152
	scratch_load_b128 v[26:29], off, off offset:464
	v_fma_f64 v[167:168], v[167:168], v[30:31], v[216:217]
	v_fma_f64 v[165:166], v[165:166], v[30:31], -v[32:33]
	scratch_load_b128 v[30:33], off, off offset:480
	v_add_f64 v[212:213], v[212:213], v[161:162]
	v_add_f64 v[214:215], v[214:215], v[163:164]
	ds_load_b128 v[161:164], v1 offset:1168
	s_waitcnt vmcnt(9) lgkmcnt(1)
	v_mul_f64 v[222:223], v[2:3], v[36:37]
	v_mul_f64 v[36:37], v[4:5], v[36:37]
	s_waitcnt vmcnt(8) lgkmcnt(0)
	v_mul_f64 v[216:217], v[161:162], v[40:41]
	v_mul_f64 v[40:41], v[163:164], v[40:41]
	v_add_f64 v[212:213], v[212:213], v[220:221]
	v_add_f64 v[214:215], v[214:215], v[218:219]
	v_fma_f64 v[218:219], v[4:5], v[34:35], v[222:223]
	v_fma_f64 v[220:221], v[2:3], v[34:35], -v[36:37]
	ds_load_b128 v[2:5], v1 offset:1184
	scratch_load_b128 v[34:37], off, off offset:496
	v_fma_f64 v[163:164], v[163:164], v[38:39], v[216:217]
	v_fma_f64 v[161:162], v[161:162], v[38:39], -v[40:41]
	scratch_load_b128 v[38:41], off, off offset:512
	v_add_f64 v[212:213], v[212:213], v[165:166]
	v_add_f64 v[214:215], v[214:215], v[167:168]
	ds_load_b128 v[165:168], v1 offset:1200
	s_waitcnt vmcnt(9) lgkmcnt(1)
	v_mul_f64 v[222:223], v[2:3], v[44:45]
	v_mul_f64 v[44:45], v[4:5], v[44:45]
	s_waitcnt vmcnt(8) lgkmcnt(0)
	v_mul_f64 v[216:217], v[165:166], v[8:9]
	v_mul_f64 v[8:9], v[167:168], v[8:9]
	v_add_f64 v[212:213], v[212:213], v[220:221]
	v_add_f64 v[214:215], v[214:215], v[218:219]
	v_fma_f64 v[218:219], v[4:5], v[42:43], v[222:223]
	v_fma_f64 v[220:221], v[2:3], v[42:43], -v[44:45]
	ds_load_b128 v[2:5], v1 offset:1216
	scratch_load_b128 v[42:45], off, off offset:528
	v_fma_f64 v[167:168], v[167:168], v[6:7], v[216:217]
	v_fma_f64 v[165:166], v[165:166], v[6:7], -v[8:9]
	scratch_load_b128 v[6:9], off, off offset:544
	v_add_f64 v[212:213], v[212:213], v[161:162]
	v_add_f64 v[214:215], v[214:215], v[163:164]
	ds_load_b128 v[161:164], v1 offset:1232
	s_waitcnt vmcnt(9) lgkmcnt(1)
	v_mul_f64 v[222:223], v[2:3], v[12:13]
	v_mul_f64 v[12:13], v[4:5], v[12:13]
	s_waitcnt vmcnt(8) lgkmcnt(0)
	v_mul_f64 v[216:217], v[161:162], v[16:17]
	v_mul_f64 v[16:17], v[163:164], v[16:17]
	v_add_f64 v[212:213], v[212:213], v[220:221]
	v_add_f64 v[214:215], v[214:215], v[218:219]
	v_fma_f64 v[218:219], v[4:5], v[10:11], v[222:223]
	v_fma_f64 v[220:221], v[2:3], v[10:11], -v[12:13]
	ds_load_b128 v[2:5], v1 offset:1248
	scratch_load_b128 v[10:13], off, off offset:560
	v_fma_f64 v[163:164], v[163:164], v[14:15], v[216:217]
	v_fma_f64 v[161:162], v[161:162], v[14:15], -v[16:17]
	scratch_load_b128 v[14:17], off, off offset:576
	v_add_f64 v[212:213], v[212:213], v[165:166]
	v_add_f64 v[214:215], v[214:215], v[167:168]
	ds_load_b128 v[165:168], v1 offset:1264
	s_waitcnt vmcnt(9) lgkmcnt(1)
	v_mul_f64 v[222:223], v[2:3], v[20:21]
	v_mul_f64 v[20:21], v[4:5], v[20:21]
	s_waitcnt vmcnt(8) lgkmcnt(0)
	v_mul_f64 v[216:217], v[165:166], v[24:25]
	v_mul_f64 v[24:25], v[167:168], v[24:25]
	v_add_f64 v[212:213], v[212:213], v[220:221]
	v_add_f64 v[214:215], v[214:215], v[218:219]
	v_fma_f64 v[218:219], v[4:5], v[18:19], v[222:223]
	v_fma_f64 v[220:221], v[2:3], v[18:19], -v[20:21]
	ds_load_b128 v[2:5], v1 offset:1280
	scratch_load_b128 v[18:21], off, off offset:592
	v_fma_f64 v[167:168], v[167:168], v[22:23], v[216:217]
	v_fma_f64 v[165:166], v[165:166], v[22:23], -v[24:25]
	scratch_load_b128 v[22:25], off, off offset:608
	v_add_f64 v[212:213], v[212:213], v[161:162]
	v_add_f64 v[214:215], v[214:215], v[163:164]
	ds_load_b128 v[161:164], v1 offset:1296
	s_waitcnt vmcnt(9) lgkmcnt(1)
	v_mul_f64 v[222:223], v[2:3], v[28:29]
	v_mul_f64 v[28:29], v[4:5], v[28:29]
	s_waitcnt vmcnt(8) lgkmcnt(0)
	v_mul_f64 v[216:217], v[161:162], v[32:33]
	v_mul_f64 v[32:33], v[163:164], v[32:33]
	v_add_f64 v[212:213], v[212:213], v[220:221]
	v_add_f64 v[214:215], v[214:215], v[218:219]
	v_fma_f64 v[218:219], v[4:5], v[26:27], v[222:223]
	v_fma_f64 v[220:221], v[2:3], v[26:27], -v[28:29]
	ds_load_b128 v[2:5], v1 offset:1312
	scratch_load_b128 v[26:29], off, off offset:624
	v_fma_f64 v[163:164], v[163:164], v[30:31], v[216:217]
	v_fma_f64 v[161:162], v[161:162], v[30:31], -v[32:33]
	scratch_load_b128 v[30:33], off, off offset:640
	v_add_f64 v[212:213], v[212:213], v[165:166]
	v_add_f64 v[214:215], v[214:215], v[167:168]
	ds_load_b128 v[165:168], v1 offset:1328
	s_waitcnt vmcnt(9) lgkmcnt(1)
	v_mul_f64 v[222:223], v[2:3], v[36:37]
	v_mul_f64 v[36:37], v[4:5], v[36:37]
	s_waitcnt vmcnt(8) lgkmcnt(0)
	v_mul_f64 v[216:217], v[165:166], v[40:41]
	v_mul_f64 v[40:41], v[167:168], v[40:41]
	v_add_f64 v[212:213], v[212:213], v[220:221]
	v_add_f64 v[214:215], v[214:215], v[218:219]
	v_fma_f64 v[218:219], v[4:5], v[34:35], v[222:223]
	v_fma_f64 v[220:221], v[2:3], v[34:35], -v[36:37]
	ds_load_b128 v[2:5], v1 offset:1344
	scratch_load_b128 v[34:37], off, off offset:656
	v_fma_f64 v[167:168], v[167:168], v[38:39], v[216:217]
	v_fma_f64 v[165:166], v[165:166], v[38:39], -v[40:41]
	scratch_load_b128 v[38:41], off, off offset:672
	v_add_f64 v[212:213], v[212:213], v[161:162]
	v_add_f64 v[214:215], v[214:215], v[163:164]
	ds_load_b128 v[161:164], v1 offset:1360
	s_waitcnt vmcnt(9) lgkmcnt(1)
	v_mul_f64 v[222:223], v[2:3], v[44:45]
	v_mul_f64 v[44:45], v[4:5], v[44:45]
	s_waitcnt vmcnt(8) lgkmcnt(0)
	v_mul_f64 v[216:217], v[161:162], v[8:9]
	v_mul_f64 v[8:9], v[163:164], v[8:9]
	v_add_f64 v[212:213], v[212:213], v[220:221]
	v_add_f64 v[214:215], v[214:215], v[218:219]
	v_fma_f64 v[218:219], v[4:5], v[42:43], v[222:223]
	v_fma_f64 v[220:221], v[2:3], v[42:43], -v[44:45]
	ds_load_b128 v[2:5], v1 offset:1376
	scratch_load_b128 v[42:45], off, off offset:688
	v_fma_f64 v[163:164], v[163:164], v[6:7], v[216:217]
	v_fma_f64 v[161:162], v[161:162], v[6:7], -v[8:9]
	scratch_load_b128 v[6:9], off, off offset:704
	v_add_f64 v[212:213], v[212:213], v[165:166]
	v_add_f64 v[214:215], v[214:215], v[167:168]
	ds_load_b128 v[165:168], v1 offset:1392
	s_waitcnt vmcnt(9) lgkmcnt(1)
	v_mul_f64 v[222:223], v[2:3], v[12:13]
	v_mul_f64 v[12:13], v[4:5], v[12:13]
	s_waitcnt vmcnt(8) lgkmcnt(0)
	v_mul_f64 v[216:217], v[165:166], v[16:17]
	v_mul_f64 v[16:17], v[167:168], v[16:17]
	v_add_f64 v[212:213], v[212:213], v[220:221]
	v_add_f64 v[214:215], v[214:215], v[218:219]
	v_fma_f64 v[218:219], v[4:5], v[10:11], v[222:223]
	v_fma_f64 v[220:221], v[2:3], v[10:11], -v[12:13]
	ds_load_b128 v[2:5], v1 offset:1408
	scratch_load_b128 v[10:13], off, off offset:720
	v_fma_f64 v[167:168], v[167:168], v[14:15], v[216:217]
	v_fma_f64 v[165:166], v[165:166], v[14:15], -v[16:17]
	scratch_load_b128 v[14:17], off, off offset:736
	v_add_f64 v[212:213], v[212:213], v[161:162]
	v_add_f64 v[214:215], v[214:215], v[163:164]
	ds_load_b128 v[161:164], v1 offset:1424
	s_waitcnt vmcnt(9) lgkmcnt(1)
	v_mul_f64 v[222:223], v[2:3], v[20:21]
	v_mul_f64 v[20:21], v[4:5], v[20:21]
	s_waitcnt vmcnt(8) lgkmcnt(0)
	v_mul_f64 v[216:217], v[161:162], v[24:25]
	v_mul_f64 v[24:25], v[163:164], v[24:25]
	v_add_f64 v[212:213], v[212:213], v[220:221]
	v_add_f64 v[214:215], v[214:215], v[218:219]
	v_fma_f64 v[218:219], v[4:5], v[18:19], v[222:223]
	v_fma_f64 v[220:221], v[2:3], v[18:19], -v[20:21]
	ds_load_b128 v[2:5], v1 offset:1440
	scratch_load_b128 v[18:21], off, off offset:752
	v_fma_f64 v[163:164], v[163:164], v[22:23], v[216:217]
	v_fma_f64 v[161:162], v[161:162], v[22:23], -v[24:25]
	scratch_load_b128 v[22:25], off, off offset:768
	v_add_f64 v[212:213], v[212:213], v[165:166]
	v_add_f64 v[214:215], v[214:215], v[167:168]
	ds_load_b128 v[165:168], v1 offset:1456
	s_waitcnt vmcnt(9) lgkmcnt(1)
	v_mul_f64 v[222:223], v[2:3], v[28:29]
	v_mul_f64 v[28:29], v[4:5], v[28:29]
	s_waitcnt vmcnt(8) lgkmcnt(0)
	v_mul_f64 v[216:217], v[165:166], v[32:33]
	v_mul_f64 v[32:33], v[167:168], v[32:33]
	v_add_f64 v[212:213], v[212:213], v[220:221]
	v_add_f64 v[214:215], v[214:215], v[218:219]
	v_fma_f64 v[218:219], v[4:5], v[26:27], v[222:223]
	v_fma_f64 v[220:221], v[2:3], v[26:27], -v[28:29]
	ds_load_b128 v[2:5], v1 offset:1472
	scratch_load_b128 v[26:29], off, off offset:784
	v_fma_f64 v[167:168], v[167:168], v[30:31], v[216:217]
	v_fma_f64 v[165:166], v[165:166], v[30:31], -v[32:33]
	scratch_load_b128 v[30:33], off, off offset:800
	v_add_f64 v[212:213], v[212:213], v[161:162]
	v_add_f64 v[214:215], v[214:215], v[163:164]
	ds_load_b128 v[161:164], v1 offset:1488
	s_waitcnt vmcnt(9) lgkmcnt(1)
	v_mul_f64 v[222:223], v[2:3], v[36:37]
	v_mul_f64 v[36:37], v[4:5], v[36:37]
	s_waitcnt vmcnt(8) lgkmcnt(0)
	v_mul_f64 v[216:217], v[161:162], v[40:41]
	v_mul_f64 v[40:41], v[163:164], v[40:41]
	v_add_f64 v[212:213], v[212:213], v[220:221]
	v_add_f64 v[214:215], v[214:215], v[218:219]
	v_fma_f64 v[218:219], v[4:5], v[34:35], v[222:223]
	v_fma_f64 v[220:221], v[2:3], v[34:35], -v[36:37]
	ds_load_b128 v[2:5], v1 offset:1504
	ds_load_b128 v[34:37], v1 offset:1520
	v_fma_f64 v[163:164], v[163:164], v[38:39], v[216:217]
	v_fma_f64 v[38:39], v[161:162], v[38:39], -v[40:41]
	v_add_f64 v[165:166], v[212:213], v[165:166]
	v_add_f64 v[167:168], v[214:215], v[167:168]
	s_waitcnt vmcnt(7) lgkmcnt(1)
	v_mul_f64 v[212:213], v[2:3], v[44:45]
	v_mul_f64 v[44:45], v[4:5], v[44:45]
	s_delay_alu instid0(VALU_DEP_4) | instskip(NEXT) | instid1(VALU_DEP_4)
	v_add_f64 v[40:41], v[165:166], v[220:221]
	v_add_f64 v[161:162], v[167:168], v[218:219]
	s_waitcnt vmcnt(6) lgkmcnt(0)
	v_mul_f64 v[165:166], v[34:35], v[8:9]
	v_mul_f64 v[8:9], v[36:37], v[8:9]
	v_fma_f64 v[167:168], v[4:5], v[42:43], v[212:213]
	v_fma_f64 v[42:43], v[2:3], v[42:43], -v[44:45]
	v_add_f64 v[44:45], v[40:41], v[38:39]
	v_add_f64 v[161:162], v[161:162], v[163:164]
	ds_load_b128 v[2:5], v1 offset:1536
	ds_load_b128 v[38:41], v1 offset:1552
	v_fma_f64 v[36:37], v[36:37], v[6:7], v[165:166]
	v_fma_f64 v[6:7], v[34:35], v[6:7], -v[8:9]
	s_waitcnt vmcnt(5) lgkmcnt(1)
	v_mul_f64 v[163:164], v[2:3], v[12:13]
	v_mul_f64 v[12:13], v[4:5], v[12:13]
	v_add_f64 v[8:9], v[44:45], v[42:43]
	v_add_f64 v[34:35], v[161:162], v[167:168]
	s_waitcnt vmcnt(4) lgkmcnt(0)
	v_mul_f64 v[42:43], v[38:39], v[16:17]
	v_mul_f64 v[16:17], v[40:41], v[16:17]
	v_fma_f64 v[44:45], v[4:5], v[10:11], v[163:164]
	v_fma_f64 v[10:11], v[2:3], v[10:11], -v[12:13]
	v_add_f64 v[12:13], v[8:9], v[6:7]
	v_add_f64 v[34:35], v[34:35], v[36:37]
	ds_load_b128 v[2:5], v1 offset:1568
	ds_load_b128 v[6:9], v1 offset:1584
	v_fma_f64 v[40:41], v[40:41], v[14:15], v[42:43]
	v_fma_f64 v[14:15], v[38:39], v[14:15], -v[16:17]
	s_waitcnt vmcnt(3) lgkmcnt(1)
	v_mul_f64 v[36:37], v[2:3], v[20:21]
	v_mul_f64 v[20:21], v[4:5], v[20:21]
	s_waitcnt vmcnt(2) lgkmcnt(0)
	v_mul_f64 v[16:17], v[6:7], v[24:25]
	v_mul_f64 v[24:25], v[8:9], v[24:25]
	v_add_f64 v[10:11], v[12:13], v[10:11]
	v_add_f64 v[12:13], v[34:35], v[44:45]
	v_fma_f64 v[34:35], v[4:5], v[18:19], v[36:37]
	v_fma_f64 v[18:19], v[2:3], v[18:19], -v[20:21]
	v_fma_f64 v[8:9], v[8:9], v[22:23], v[16:17]
	v_fma_f64 v[6:7], v[6:7], v[22:23], -v[24:25]
	v_add_f64 v[14:15], v[10:11], v[14:15]
	v_add_f64 v[20:21], v[12:13], v[40:41]
	ds_load_b128 v[2:5], v1 offset:1600
	ds_load_b128 v[10:13], v1 offset:1616
	s_waitcnt vmcnt(1) lgkmcnt(1)
	v_mul_f64 v[36:37], v[2:3], v[28:29]
	v_mul_f64 v[28:29], v[4:5], v[28:29]
	v_add_f64 v[14:15], v[14:15], v[18:19]
	v_add_f64 v[16:17], v[20:21], v[34:35]
	s_waitcnt vmcnt(0) lgkmcnt(0)
	v_mul_f64 v[18:19], v[10:11], v[32:33]
	v_mul_f64 v[20:21], v[12:13], v[32:33]
	v_fma_f64 v[4:5], v[4:5], v[26:27], v[36:37]
	v_fma_f64 v[1:2], v[2:3], v[26:27], -v[28:29]
	v_add_f64 v[6:7], v[14:15], v[6:7]
	v_add_f64 v[8:9], v[16:17], v[8:9]
	v_fma_f64 v[12:13], v[12:13], v[30:31], v[18:19]
	v_fma_f64 v[10:11], v[10:11], v[30:31], -v[20:21]
	s_delay_alu instid0(VALU_DEP_4) | instskip(NEXT) | instid1(VALU_DEP_4)
	v_add_f64 v[1:2], v[6:7], v[1:2]
	v_add_f64 v[3:4], v[8:9], v[4:5]
	s_delay_alu instid0(VALU_DEP_2) | instskip(NEXT) | instid1(VALU_DEP_2)
	v_add_f64 v[1:2], v[1:2], v[10:11]
	v_add_f64 v[3:4], v[3:4], v[12:13]
	s_delay_alu instid0(VALU_DEP_2) | instskip(NEXT) | instid1(VALU_DEP_2)
	v_add_f64 v[1:2], v[157:158], -v[1:2]
	v_add_f64 v[3:4], v[159:160], -v[3:4]
	scratch_store_b128 off, v[1:4], off offset:32
	v_cmpx_lt_u32_e32 1, v148
	s_cbranch_execz .LBB114_317
; %bb.316:
	scratch_load_b128 v[1:4], v198, off
	v_mov_b32_e32 v5, 0
	s_delay_alu instid0(VALU_DEP_1)
	v_mov_b32_e32 v6, v5
	v_mov_b32_e32 v7, v5
	;; [unrolled: 1-line block ×3, first 2 shown]
	scratch_store_b128 off, v[5:8], off offset:16
	s_waitcnt vmcnt(0)
	ds_store_b128 v199, v[1:4]
.LBB114_317:
	s_or_b32 exec_lo, exec_lo, s2
	s_waitcnt lgkmcnt(0)
	s_waitcnt_vscnt null, 0x0
	s_barrier
	buffer_gl0_inv
	s_clause 0x7
	scratch_load_b128 v[2:5], off, off offset:32
	scratch_load_b128 v[6:9], off, off offset:48
	;; [unrolled: 1-line block ×8, first 2 shown]
	v_mov_b32_e32 v1, 0
	s_mov_b32 s2, exec_lo
	ds_load_b128 v[38:41], v1 offset:848
	s_clause 0x1
	scratch_load_b128 v[34:37], off, off offset:160
	scratch_load_b128 v[42:45], off, off offset:16
	ds_load_b128 v[157:160], v1 offset:864
	scratch_load_b128 v[161:164], off, off offset:176
	s_waitcnt vmcnt(10) lgkmcnt(1)
	v_mul_f64 v[165:166], v[40:41], v[4:5]
	v_mul_f64 v[4:5], v[38:39], v[4:5]
	s_delay_alu instid0(VALU_DEP_2) | instskip(NEXT) | instid1(VALU_DEP_2)
	v_fma_f64 v[214:215], v[38:39], v[2:3], -v[165:166]
	v_fma_f64 v[216:217], v[40:41], v[2:3], v[4:5]
	scratch_load_b128 v[38:41], off, off offset:192
	ds_load_b128 v[2:5], v1 offset:880
	s_waitcnt vmcnt(10) lgkmcnt(1)
	v_mul_f64 v[212:213], v[157:158], v[8:9]
	v_mul_f64 v[8:9], v[159:160], v[8:9]
	ds_load_b128 v[165:168], v1 offset:896
	s_waitcnt vmcnt(9) lgkmcnt(1)
	v_mul_f64 v[218:219], v[2:3], v[12:13]
	v_mul_f64 v[12:13], v[4:5], v[12:13]
	v_fma_f64 v[159:160], v[159:160], v[6:7], v[212:213]
	v_fma_f64 v[157:158], v[157:158], v[6:7], -v[8:9]
	v_add_f64 v[212:213], v[214:215], 0
	v_add_f64 v[214:215], v[216:217], 0
	scratch_load_b128 v[6:9], off, off offset:208
	v_fma_f64 v[218:219], v[4:5], v[10:11], v[218:219]
	v_fma_f64 v[220:221], v[2:3], v[10:11], -v[12:13]
	scratch_load_b128 v[10:13], off, off offset:224
	ds_load_b128 v[2:5], v1 offset:912
	s_waitcnt vmcnt(10) lgkmcnt(1)
	v_mul_f64 v[216:217], v[165:166], v[16:17]
	v_mul_f64 v[16:17], v[167:168], v[16:17]
	v_add_f64 v[212:213], v[212:213], v[157:158]
	v_add_f64 v[214:215], v[214:215], v[159:160]
	s_waitcnt vmcnt(9) lgkmcnt(0)
	v_mul_f64 v[222:223], v[2:3], v[20:21]
	v_mul_f64 v[20:21], v[4:5], v[20:21]
	ds_load_b128 v[157:160], v1 offset:928
	v_fma_f64 v[167:168], v[167:168], v[14:15], v[216:217]
	v_fma_f64 v[165:166], v[165:166], v[14:15], -v[16:17]
	scratch_load_b128 v[14:17], off, off offset:240
	v_add_f64 v[212:213], v[212:213], v[220:221]
	v_add_f64 v[214:215], v[214:215], v[218:219]
	v_fma_f64 v[218:219], v[4:5], v[18:19], v[222:223]
	v_fma_f64 v[220:221], v[2:3], v[18:19], -v[20:21]
	scratch_load_b128 v[18:21], off, off offset:256
	ds_load_b128 v[2:5], v1 offset:944
	s_waitcnt vmcnt(10) lgkmcnt(1)
	v_mul_f64 v[216:217], v[157:158], v[24:25]
	v_mul_f64 v[24:25], v[159:160], v[24:25]
	s_waitcnt vmcnt(9) lgkmcnt(0)
	v_mul_f64 v[222:223], v[2:3], v[28:29]
	v_mul_f64 v[28:29], v[4:5], v[28:29]
	v_add_f64 v[212:213], v[212:213], v[165:166]
	v_add_f64 v[214:215], v[214:215], v[167:168]
	ds_load_b128 v[165:168], v1 offset:960
	v_fma_f64 v[159:160], v[159:160], v[22:23], v[216:217]
	v_fma_f64 v[157:158], v[157:158], v[22:23], -v[24:25]
	scratch_load_b128 v[22:25], off, off offset:272
	v_add_f64 v[212:213], v[212:213], v[220:221]
	v_add_f64 v[214:215], v[214:215], v[218:219]
	v_fma_f64 v[218:219], v[4:5], v[26:27], v[222:223]
	v_fma_f64 v[220:221], v[2:3], v[26:27], -v[28:29]
	scratch_load_b128 v[26:29], off, off offset:288
	ds_load_b128 v[2:5], v1 offset:976
	s_waitcnt vmcnt(10) lgkmcnt(1)
	v_mul_f64 v[216:217], v[165:166], v[32:33]
	v_mul_f64 v[32:33], v[167:168], v[32:33]
	s_waitcnt vmcnt(9) lgkmcnt(0)
	v_mul_f64 v[222:223], v[2:3], v[36:37]
	v_mul_f64 v[36:37], v[4:5], v[36:37]
	v_add_f64 v[212:213], v[212:213], v[157:158]
	v_add_f64 v[214:215], v[214:215], v[159:160]
	ds_load_b128 v[157:160], v1 offset:992
	v_fma_f64 v[167:168], v[167:168], v[30:31], v[216:217]
	v_fma_f64 v[165:166], v[165:166], v[30:31], -v[32:33]
	scratch_load_b128 v[30:33], off, off offset:304
	v_add_f64 v[212:213], v[212:213], v[220:221]
	v_add_f64 v[214:215], v[214:215], v[218:219]
	v_fma_f64 v[220:221], v[4:5], v[34:35], v[222:223]
	v_fma_f64 v[222:223], v[2:3], v[34:35], -v[36:37]
	scratch_load_b128 v[34:37], off, off offset:320
	ds_load_b128 v[2:5], v1 offset:1008
	s_waitcnt vmcnt(9) lgkmcnt(1)
	v_mul_f64 v[216:217], v[157:158], v[163:164]
	v_mul_f64 v[218:219], v[159:160], v[163:164]
	v_add_f64 v[212:213], v[212:213], v[165:166]
	v_add_f64 v[167:168], v[214:215], v[167:168]
	ds_load_b128 v[163:166], v1 offset:1024
	v_fma_f64 v[216:217], v[159:160], v[161:162], v[216:217]
	v_fma_f64 v[161:162], v[157:158], v[161:162], -v[218:219]
	scratch_load_b128 v[157:160], off, off offset:336
	s_waitcnt vmcnt(9) lgkmcnt(1)
	v_mul_f64 v[214:215], v[2:3], v[40:41]
	v_mul_f64 v[40:41], v[4:5], v[40:41]
	v_add_f64 v[212:213], v[212:213], v[222:223]
	v_add_f64 v[167:168], v[167:168], v[220:221]
	s_delay_alu instid0(VALU_DEP_4) | instskip(NEXT) | instid1(VALU_DEP_4)
	v_fma_f64 v[220:221], v[4:5], v[38:39], v[214:215]
	v_fma_f64 v[222:223], v[2:3], v[38:39], -v[40:41]
	scratch_load_b128 v[38:41], off, off offset:352
	ds_load_b128 v[2:5], v1 offset:1040
	s_waitcnt vmcnt(9) lgkmcnt(1)
	v_mul_f64 v[218:219], v[163:164], v[8:9]
	v_mul_f64 v[8:9], v[165:166], v[8:9]
	v_add_f64 v[161:162], v[212:213], v[161:162]
	v_add_f64 v[167:168], v[167:168], v[216:217]
	s_waitcnt vmcnt(8) lgkmcnt(0)
	v_mul_f64 v[216:217], v[2:3], v[12:13]
	v_mul_f64 v[12:13], v[4:5], v[12:13]
	ds_load_b128 v[212:215], v1 offset:1056
	v_fma_f64 v[165:166], v[165:166], v[6:7], v[218:219]
	v_fma_f64 v[163:164], v[163:164], v[6:7], -v[8:9]
	scratch_load_b128 v[6:9], off, off offset:368
	v_add_f64 v[161:162], v[161:162], v[222:223]
	v_add_f64 v[167:168], v[167:168], v[220:221]
	v_fma_f64 v[216:217], v[4:5], v[10:11], v[216:217]
	v_fma_f64 v[220:221], v[2:3], v[10:11], -v[12:13]
	scratch_load_b128 v[10:13], off, off offset:384
	ds_load_b128 v[2:5], v1 offset:1072
	s_waitcnt vmcnt(9) lgkmcnt(1)
	v_mul_f64 v[218:219], v[212:213], v[16:17]
	v_mul_f64 v[16:17], v[214:215], v[16:17]
	v_add_f64 v[222:223], v[161:162], v[163:164]
	v_add_f64 v[165:166], v[167:168], v[165:166]
	s_waitcnt vmcnt(8) lgkmcnt(0)
	v_mul_f64 v[167:168], v[2:3], v[20:21]
	v_mul_f64 v[20:21], v[4:5], v[20:21]
	ds_load_b128 v[161:164], v1 offset:1088
	v_fma_f64 v[214:215], v[214:215], v[14:15], v[218:219]
	v_fma_f64 v[212:213], v[212:213], v[14:15], -v[16:17]
	scratch_load_b128 v[14:17], off, off offset:400
	v_add_f64 v[218:219], v[222:223], v[220:221]
	v_add_f64 v[165:166], v[165:166], v[216:217]
	;; [unrolled: 18-line block ×3, first 2 shown]
	v_fma_f64 v[218:219], v[4:5], v[26:27], v[218:219]
	v_fma_f64 v[220:221], v[2:3], v[26:27], -v[28:29]
	scratch_load_b128 v[26:29], off, off offset:448
	ds_load_b128 v[2:5], v1 offset:1136
	s_waitcnt vmcnt(9) lgkmcnt(1)
	v_mul_f64 v[216:217], v[165:166], v[32:33]
	v_mul_f64 v[32:33], v[167:168], v[32:33]
	s_waitcnt vmcnt(8) lgkmcnt(0)
	v_mul_f64 v[222:223], v[2:3], v[36:37]
	v_mul_f64 v[36:37], v[4:5], v[36:37]
	v_add_f64 v[212:213], v[212:213], v[161:162]
	v_add_f64 v[214:215], v[214:215], v[163:164]
	ds_load_b128 v[161:164], v1 offset:1152
	v_fma_f64 v[167:168], v[167:168], v[30:31], v[216:217]
	v_fma_f64 v[165:166], v[165:166], v[30:31], -v[32:33]
	scratch_load_b128 v[30:33], off, off offset:464
	v_add_f64 v[212:213], v[212:213], v[220:221]
	v_add_f64 v[214:215], v[214:215], v[218:219]
	v_fma_f64 v[218:219], v[4:5], v[34:35], v[222:223]
	v_fma_f64 v[220:221], v[2:3], v[34:35], -v[36:37]
	scratch_load_b128 v[34:37], off, off offset:480
	ds_load_b128 v[2:5], v1 offset:1168
	s_waitcnt vmcnt(9) lgkmcnt(1)
	v_mul_f64 v[216:217], v[161:162], v[159:160]
	v_mul_f64 v[159:160], v[163:164], v[159:160]
	s_waitcnt vmcnt(8) lgkmcnt(0)
	v_mul_f64 v[222:223], v[2:3], v[40:41]
	v_mul_f64 v[40:41], v[4:5], v[40:41]
	v_add_f64 v[212:213], v[212:213], v[165:166]
	v_add_f64 v[214:215], v[214:215], v[167:168]
	ds_load_b128 v[165:168], v1 offset:1184
	v_fma_f64 v[163:164], v[163:164], v[157:158], v[216:217]
	v_fma_f64 v[161:162], v[161:162], v[157:158], -v[159:160]
	scratch_load_b128 v[157:160], off, off offset:496
	v_add_f64 v[212:213], v[212:213], v[220:221]
	v_add_f64 v[214:215], v[214:215], v[218:219]
	;; [unrolled: 18-line block ×6, first 2 shown]
	v_fma_f64 v[220:221], v[4:5], v[34:35], v[222:223]
	v_fma_f64 v[222:223], v[2:3], v[34:35], -v[36:37]
	scratch_load_b128 v[34:37], off, off offset:640
	ds_load_b128 v[2:5], v1 offset:1328
	s_waitcnt vmcnt(9) lgkmcnt(1)
	v_mul_f64 v[216:217], v[165:166], v[159:160]
	v_mul_f64 v[218:219], v[167:168], v[159:160]
	v_add_f64 v[212:213], v[212:213], v[161:162]
	v_add_f64 v[163:164], v[214:215], v[163:164]
	s_waitcnt vmcnt(8) lgkmcnt(0)
	v_mul_f64 v[214:215], v[2:3], v[40:41]
	v_mul_f64 v[40:41], v[4:5], v[40:41]
	ds_load_b128 v[159:162], v1 offset:1344
	v_fma_f64 v[167:168], v[167:168], v[157:158], v[216:217]
	v_fma_f64 v[157:158], v[165:166], v[157:158], -v[218:219]
	v_add_f64 v[212:213], v[212:213], v[222:223]
	v_add_f64 v[216:217], v[163:164], v[220:221]
	scratch_load_b128 v[163:166], off, off offset:656
	v_fma_f64 v[220:221], v[4:5], v[38:39], v[214:215]
	v_fma_f64 v[222:223], v[2:3], v[38:39], -v[40:41]
	scratch_load_b128 v[38:41], off, off offset:672
	ds_load_b128 v[2:5], v1 offset:1360
	s_waitcnt vmcnt(9) lgkmcnt(1)
	v_mul_f64 v[218:219], v[159:160], v[8:9]
	v_mul_f64 v[8:9], v[161:162], v[8:9]
	v_add_f64 v[157:158], v[212:213], v[157:158]
	v_add_f64 v[167:168], v[216:217], v[167:168]
	s_waitcnt vmcnt(8) lgkmcnt(0)
	v_mul_f64 v[216:217], v[2:3], v[12:13]
	v_mul_f64 v[12:13], v[4:5], v[12:13]
	ds_load_b128 v[212:215], v1 offset:1376
	v_fma_f64 v[161:162], v[161:162], v[6:7], v[218:219]
	v_fma_f64 v[159:160], v[159:160], v[6:7], -v[8:9]
	scratch_load_b128 v[6:9], off, off offset:688
	v_add_f64 v[157:158], v[157:158], v[222:223]
	v_add_f64 v[167:168], v[167:168], v[220:221]
	v_fma_f64 v[216:217], v[4:5], v[10:11], v[216:217]
	v_fma_f64 v[220:221], v[2:3], v[10:11], -v[12:13]
	scratch_load_b128 v[10:13], off, off offset:704
	ds_load_b128 v[2:5], v1 offset:1392
	s_waitcnt vmcnt(9) lgkmcnt(1)
	v_mul_f64 v[218:219], v[212:213], v[16:17]
	v_mul_f64 v[16:17], v[214:215], v[16:17]
	v_add_f64 v[222:223], v[157:158], v[159:160]
	v_add_f64 v[161:162], v[167:168], v[161:162]
	s_waitcnt vmcnt(8) lgkmcnt(0)
	v_mul_f64 v[167:168], v[2:3], v[20:21]
	v_mul_f64 v[20:21], v[4:5], v[20:21]
	ds_load_b128 v[157:160], v1 offset:1408
	v_fma_f64 v[214:215], v[214:215], v[14:15], v[218:219]
	v_fma_f64 v[212:213], v[212:213], v[14:15], -v[16:17]
	scratch_load_b128 v[14:17], off, off offset:720
	v_add_f64 v[218:219], v[222:223], v[220:221]
	v_add_f64 v[161:162], v[161:162], v[216:217]
	v_fma_f64 v[167:168], v[4:5], v[18:19], v[167:168]
	v_fma_f64 v[220:221], v[2:3], v[18:19], -v[20:21]
	scratch_load_b128 v[18:21], off, off offset:736
	ds_load_b128 v[2:5], v1 offset:1424
	s_waitcnt vmcnt(9) lgkmcnt(1)
	v_mul_f64 v[216:217], v[157:158], v[24:25]
	v_mul_f64 v[24:25], v[159:160], v[24:25]
	s_waitcnt vmcnt(8) lgkmcnt(0)
	v_mul_f64 v[222:223], v[2:3], v[28:29]
	v_mul_f64 v[28:29], v[4:5], v[28:29]
	v_add_f64 v[218:219], v[218:219], v[212:213]
	v_add_f64 v[161:162], v[161:162], v[214:215]
	ds_load_b128 v[212:215], v1 offset:1440
	v_fma_f64 v[159:160], v[159:160], v[22:23], v[216:217]
	v_fma_f64 v[157:158], v[157:158], v[22:23], -v[24:25]
	scratch_load_b128 v[22:25], off, off offset:752
	v_add_f64 v[216:217], v[218:219], v[220:221]
	v_add_f64 v[161:162], v[161:162], v[167:168]
	v_fma_f64 v[218:219], v[4:5], v[26:27], v[222:223]
	v_fma_f64 v[220:221], v[2:3], v[26:27], -v[28:29]
	scratch_load_b128 v[26:29], off, off offset:768
	ds_load_b128 v[2:5], v1 offset:1456
	s_waitcnt vmcnt(9) lgkmcnt(1)
	v_mul_f64 v[167:168], v[212:213], v[32:33]
	v_mul_f64 v[32:33], v[214:215], v[32:33]
	s_waitcnt vmcnt(8) lgkmcnt(0)
	v_mul_f64 v[222:223], v[2:3], v[36:37]
	v_mul_f64 v[36:37], v[4:5], v[36:37]
	v_add_f64 v[216:217], v[216:217], v[157:158]
	v_add_f64 v[161:162], v[161:162], v[159:160]
	ds_load_b128 v[157:160], v1 offset:1472
	v_fma_f64 v[167:168], v[214:215], v[30:31], v[167:168]
	v_fma_f64 v[212:213], v[212:213], v[30:31], -v[32:33]
	scratch_load_b128 v[30:33], off, off offset:784
	v_add_f64 v[214:215], v[216:217], v[220:221]
	v_add_f64 v[161:162], v[161:162], v[218:219]
	v_fma_f64 v[220:221], v[4:5], v[34:35], v[222:223]
	v_fma_f64 v[222:223], v[2:3], v[34:35], -v[36:37]
	scratch_load_b128 v[34:37], off, off offset:800
	ds_load_b128 v[2:5], v1 offset:1488
	s_waitcnt vmcnt(9) lgkmcnt(1)
	v_mul_f64 v[216:217], v[157:158], v[165:166]
	v_mul_f64 v[218:219], v[159:160], v[165:166]
	v_add_f64 v[212:213], v[214:215], v[212:213]
	v_add_f64 v[161:162], v[161:162], v[167:168]
	s_waitcnt vmcnt(8) lgkmcnt(0)
	v_mul_f64 v[214:215], v[2:3], v[40:41]
	v_mul_f64 v[40:41], v[4:5], v[40:41]
	ds_load_b128 v[165:168], v1 offset:1504
	v_fma_f64 v[159:160], v[159:160], v[163:164], v[216:217]
	v_fma_f64 v[157:158], v[157:158], v[163:164], -v[218:219]
	v_add_f64 v[163:164], v[212:213], v[222:223]
	v_add_f64 v[161:162], v[161:162], v[220:221]
	s_waitcnt vmcnt(7) lgkmcnt(0)
	v_mul_f64 v[212:213], v[165:166], v[8:9]
	v_mul_f64 v[8:9], v[167:168], v[8:9]
	v_fma_f64 v[214:215], v[4:5], v[38:39], v[214:215]
	v_fma_f64 v[216:217], v[2:3], v[38:39], -v[40:41]
	ds_load_b128 v[2:5], v1 offset:1520
	ds_load_b128 v[38:41], v1 offset:1536
	v_add_f64 v[157:158], v[163:164], v[157:158]
	v_add_f64 v[159:160], v[161:162], v[159:160]
	s_waitcnt vmcnt(6) lgkmcnt(1)
	v_mul_f64 v[161:162], v[2:3], v[12:13]
	v_mul_f64 v[12:13], v[4:5], v[12:13]
	v_fma_f64 v[163:164], v[167:168], v[6:7], v[212:213]
	v_fma_f64 v[6:7], v[165:166], v[6:7], -v[8:9]
	v_add_f64 v[8:9], v[157:158], v[216:217]
	v_add_f64 v[157:158], v[159:160], v[214:215]
	s_waitcnt vmcnt(5) lgkmcnt(0)
	v_mul_f64 v[159:160], v[38:39], v[16:17]
	v_mul_f64 v[16:17], v[40:41], v[16:17]
	v_fma_f64 v[161:162], v[4:5], v[10:11], v[161:162]
	v_fma_f64 v[10:11], v[2:3], v[10:11], -v[12:13]
	v_add_f64 v[12:13], v[8:9], v[6:7]
	v_add_f64 v[157:158], v[157:158], v[163:164]
	ds_load_b128 v[2:5], v1 offset:1552
	ds_load_b128 v[6:9], v1 offset:1568
	v_fma_f64 v[40:41], v[40:41], v[14:15], v[159:160]
	v_fma_f64 v[14:15], v[38:39], v[14:15], -v[16:17]
	s_waitcnt vmcnt(4) lgkmcnt(1)
	v_mul_f64 v[163:164], v[2:3], v[20:21]
	v_mul_f64 v[20:21], v[4:5], v[20:21]
	s_waitcnt vmcnt(3) lgkmcnt(0)
	v_mul_f64 v[16:17], v[6:7], v[24:25]
	v_mul_f64 v[24:25], v[8:9], v[24:25]
	v_add_f64 v[10:11], v[12:13], v[10:11]
	v_add_f64 v[12:13], v[157:158], v[161:162]
	v_fma_f64 v[38:39], v[4:5], v[18:19], v[163:164]
	v_fma_f64 v[18:19], v[2:3], v[18:19], -v[20:21]
	v_fma_f64 v[8:9], v[8:9], v[22:23], v[16:17]
	v_fma_f64 v[6:7], v[6:7], v[22:23], -v[24:25]
	v_add_f64 v[14:15], v[10:11], v[14:15]
	v_add_f64 v[20:21], v[12:13], v[40:41]
	ds_load_b128 v[2:5], v1 offset:1584
	ds_load_b128 v[10:13], v1 offset:1600
	s_waitcnt vmcnt(2) lgkmcnt(1)
	v_mul_f64 v[40:41], v[2:3], v[28:29]
	v_mul_f64 v[28:29], v[4:5], v[28:29]
	v_add_f64 v[14:15], v[14:15], v[18:19]
	v_add_f64 v[16:17], v[20:21], v[38:39]
	s_waitcnt vmcnt(1) lgkmcnt(0)
	v_mul_f64 v[18:19], v[10:11], v[32:33]
	v_mul_f64 v[20:21], v[12:13], v[32:33]
	v_fma_f64 v[22:23], v[4:5], v[26:27], v[40:41]
	v_fma_f64 v[24:25], v[2:3], v[26:27], -v[28:29]
	ds_load_b128 v[2:5], v1 offset:1616
	v_add_f64 v[6:7], v[14:15], v[6:7]
	v_add_f64 v[8:9], v[16:17], v[8:9]
	v_fma_f64 v[12:13], v[12:13], v[30:31], v[18:19]
	v_fma_f64 v[10:11], v[10:11], v[30:31], -v[20:21]
	s_waitcnt vmcnt(0) lgkmcnt(0)
	v_mul_f64 v[14:15], v[2:3], v[36:37]
	v_mul_f64 v[16:17], v[4:5], v[36:37]
	v_add_f64 v[6:7], v[6:7], v[24:25]
	v_add_f64 v[8:9], v[8:9], v[22:23]
	s_delay_alu instid0(VALU_DEP_4) | instskip(NEXT) | instid1(VALU_DEP_4)
	v_fma_f64 v[4:5], v[4:5], v[34:35], v[14:15]
	v_fma_f64 v[2:3], v[2:3], v[34:35], -v[16:17]
	s_delay_alu instid0(VALU_DEP_4) | instskip(NEXT) | instid1(VALU_DEP_4)
	v_add_f64 v[6:7], v[6:7], v[10:11]
	v_add_f64 v[8:9], v[8:9], v[12:13]
	s_delay_alu instid0(VALU_DEP_2) | instskip(NEXT) | instid1(VALU_DEP_2)
	v_add_f64 v[2:3], v[6:7], v[2:3]
	v_add_f64 v[4:5], v[8:9], v[4:5]
	s_delay_alu instid0(VALU_DEP_2) | instskip(NEXT) | instid1(VALU_DEP_2)
	v_add_f64 v[2:3], v[42:43], -v[2:3]
	v_add_f64 v[4:5], v[44:45], -v[4:5]
	scratch_store_b128 off, v[2:5], off offset:16
	v_cmpx_ne_u32_e32 0, v148
	s_cbranch_execz .LBB114_319
; %bb.318:
	scratch_load_b128 v[5:8], off, off
	v_mov_b32_e32 v2, v1
	v_mov_b32_e32 v3, v1
	;; [unrolled: 1-line block ×3, first 2 shown]
	scratch_store_b128 off, v[1:4], off
	s_waitcnt vmcnt(0)
	ds_store_b128 v199, v[5:8]
.LBB114_319:
	s_or_b32 exec_lo, exec_lo, s2
	s_waitcnt lgkmcnt(0)
	s_waitcnt_vscnt null, 0x0
	s_barrier
	buffer_gl0_inv
	s_clause 0x8
	scratch_load_b128 v[2:5], off, off offset:16
	scratch_load_b128 v[6:9], off, off offset:32
	;; [unrolled: 1-line block ×9, first 2 shown]
	ds_load_b128 v[42:45], v1 offset:832
	ds_load_b128 v[38:41], v1 offset:848
	s_clause 0x1
	scratch_load_b128 v[157:160], off, off
	scratch_load_b128 v[161:164], off, off offset:160
	s_and_b32 vcc_lo, exec_lo, s14
	s_waitcnt vmcnt(10) lgkmcnt(1)
	v_mul_f64 v[165:166], v[44:45], v[4:5]
	v_mul_f64 v[4:5], v[42:43], v[4:5]
	s_waitcnt vmcnt(9) lgkmcnt(0)
	v_mul_f64 v[212:213], v[38:39], v[8:9]
	v_mul_f64 v[8:9], v[40:41], v[8:9]
	s_delay_alu instid0(VALU_DEP_4) | instskip(NEXT) | instid1(VALU_DEP_4)
	v_fma_f64 v[214:215], v[42:43], v[2:3], -v[165:166]
	v_fma_f64 v[216:217], v[44:45], v[2:3], v[4:5]
	ds_load_b128 v[2:5], v1 offset:864
	ds_load_b128 v[165:168], v1 offset:880
	scratch_load_b128 v[42:45], off, off offset:176
	v_fma_f64 v[40:41], v[40:41], v[6:7], v[212:213]
	v_fma_f64 v[38:39], v[38:39], v[6:7], -v[8:9]
	scratch_load_b128 v[6:9], off, off offset:192
	s_waitcnt vmcnt(10) lgkmcnt(1)
	v_mul_f64 v[218:219], v[2:3], v[12:13]
	v_mul_f64 v[12:13], v[4:5], v[12:13]
	v_add_f64 v[212:213], v[214:215], 0
	v_add_f64 v[214:215], v[216:217], 0
	s_waitcnt vmcnt(9) lgkmcnt(0)
	v_mul_f64 v[216:217], v[165:166], v[16:17]
	v_mul_f64 v[16:17], v[167:168], v[16:17]
	v_fma_f64 v[218:219], v[4:5], v[10:11], v[218:219]
	v_fma_f64 v[220:221], v[2:3], v[10:11], -v[12:13]
	ds_load_b128 v[2:5], v1 offset:896
	scratch_load_b128 v[10:13], off, off offset:208
	v_add_f64 v[212:213], v[212:213], v[38:39]
	v_add_f64 v[214:215], v[214:215], v[40:41]
	ds_load_b128 v[38:41], v1 offset:912
	v_fma_f64 v[167:168], v[167:168], v[14:15], v[216:217]
	v_fma_f64 v[165:166], v[165:166], v[14:15], -v[16:17]
	scratch_load_b128 v[14:17], off, off offset:224
	s_waitcnt vmcnt(10) lgkmcnt(1)
	v_mul_f64 v[222:223], v[2:3], v[20:21]
	v_mul_f64 v[20:21], v[4:5], v[20:21]
	s_waitcnt vmcnt(9) lgkmcnt(0)
	v_mul_f64 v[216:217], v[38:39], v[24:25]
	v_mul_f64 v[24:25], v[40:41], v[24:25]
	v_add_f64 v[212:213], v[212:213], v[220:221]
	v_add_f64 v[214:215], v[214:215], v[218:219]
	v_fma_f64 v[218:219], v[4:5], v[18:19], v[222:223]
	v_fma_f64 v[220:221], v[2:3], v[18:19], -v[20:21]
	ds_load_b128 v[2:5], v1 offset:928
	scratch_load_b128 v[18:21], off, off offset:240
	v_fma_f64 v[40:41], v[40:41], v[22:23], v[216:217]
	v_fma_f64 v[38:39], v[38:39], v[22:23], -v[24:25]
	scratch_load_b128 v[22:25], off, off offset:256
	v_add_f64 v[212:213], v[212:213], v[165:166]
	v_add_f64 v[214:215], v[214:215], v[167:168]
	ds_load_b128 v[165:168], v1 offset:944
	s_waitcnt vmcnt(10) lgkmcnt(1)
	v_mul_f64 v[222:223], v[2:3], v[28:29]
	v_mul_f64 v[28:29], v[4:5], v[28:29]
	s_waitcnt vmcnt(9) lgkmcnt(0)
	v_mul_f64 v[216:217], v[165:166], v[32:33]
	v_mul_f64 v[32:33], v[167:168], v[32:33]
	v_add_f64 v[212:213], v[212:213], v[220:221]
	v_add_f64 v[214:215], v[214:215], v[218:219]
	v_fma_f64 v[218:219], v[4:5], v[26:27], v[222:223]
	v_fma_f64 v[220:221], v[2:3], v[26:27], -v[28:29]
	ds_load_b128 v[2:5], v1 offset:960
	scratch_load_b128 v[26:29], off, off offset:272
	v_fma_f64 v[167:168], v[167:168], v[30:31], v[216:217]
	v_fma_f64 v[165:166], v[165:166], v[30:31], -v[32:33]
	scratch_load_b128 v[30:33], off, off offset:288
	v_add_f64 v[212:213], v[212:213], v[38:39]
	v_add_f64 v[214:215], v[214:215], v[40:41]
	ds_load_b128 v[38:41], v1 offset:976
	s_waitcnt vmcnt(10) lgkmcnt(1)
	v_mul_f64 v[222:223], v[2:3], v[36:37]
	v_mul_f64 v[36:37], v[4:5], v[36:37]
	s_waitcnt vmcnt(8) lgkmcnt(0)
	v_mul_f64 v[216:217], v[38:39], v[163:164]
	v_add_f64 v[212:213], v[212:213], v[220:221]
	v_add_f64 v[214:215], v[214:215], v[218:219]
	v_mul_f64 v[218:219], v[40:41], v[163:164]
	v_fma_f64 v[220:221], v[4:5], v[34:35], v[222:223]
	v_fma_f64 v[222:223], v[2:3], v[34:35], -v[36:37]
	ds_load_b128 v[2:5], v1 offset:992
	scratch_load_b128 v[34:37], off, off offset:304
	v_fma_f64 v[216:217], v[40:41], v[161:162], v[216:217]
	v_add_f64 v[212:213], v[212:213], v[165:166]
	v_add_f64 v[167:168], v[214:215], v[167:168]
	ds_load_b128 v[163:166], v1 offset:1008
	v_fma_f64 v[161:162], v[38:39], v[161:162], -v[218:219]
	scratch_load_b128 v[38:41], off, off offset:320
	s_waitcnt vmcnt(9) lgkmcnt(1)
	v_mul_f64 v[214:215], v[2:3], v[44:45]
	v_mul_f64 v[44:45], v[4:5], v[44:45]
	s_waitcnt vmcnt(8) lgkmcnt(0)
	v_mul_f64 v[218:219], v[163:164], v[8:9]
	v_mul_f64 v[8:9], v[165:166], v[8:9]
	v_add_f64 v[212:213], v[212:213], v[222:223]
	v_add_f64 v[167:168], v[167:168], v[220:221]
	v_fma_f64 v[220:221], v[4:5], v[42:43], v[214:215]
	v_fma_f64 v[222:223], v[2:3], v[42:43], -v[44:45]
	ds_load_b128 v[2:5], v1 offset:1024
	scratch_load_b128 v[42:45], off, off offset:336
	v_fma_f64 v[165:166], v[165:166], v[6:7], v[218:219]
	v_fma_f64 v[163:164], v[163:164], v[6:7], -v[8:9]
	scratch_load_b128 v[6:9], off, off offset:352
	v_add_f64 v[161:162], v[212:213], v[161:162]
	v_add_f64 v[167:168], v[167:168], v[216:217]
	ds_load_b128 v[212:215], v1 offset:1040
	s_waitcnt vmcnt(9) lgkmcnt(1)
	v_mul_f64 v[216:217], v[2:3], v[12:13]
	v_mul_f64 v[12:13], v[4:5], v[12:13]
	s_waitcnt vmcnt(8) lgkmcnt(0)
	v_mul_f64 v[218:219], v[212:213], v[16:17]
	v_mul_f64 v[16:17], v[214:215], v[16:17]
	v_add_f64 v[161:162], v[161:162], v[222:223]
	v_add_f64 v[167:168], v[167:168], v[220:221]
	v_fma_f64 v[216:217], v[4:5], v[10:11], v[216:217]
	v_fma_f64 v[220:221], v[2:3], v[10:11], -v[12:13]
	ds_load_b128 v[2:5], v1 offset:1056
	scratch_load_b128 v[10:13], off, off offset:368
	v_fma_f64 v[214:215], v[214:215], v[14:15], v[218:219]
	v_fma_f64 v[212:213], v[212:213], v[14:15], -v[16:17]
	scratch_load_b128 v[14:17], off, off offset:384
	v_add_f64 v[222:223], v[161:162], v[163:164]
	v_add_f64 v[165:166], v[167:168], v[165:166]
	ds_load_b128 v[161:164], v1 offset:1072
	s_waitcnt vmcnt(9) lgkmcnt(1)
	v_mul_f64 v[167:168], v[2:3], v[20:21]
	v_mul_f64 v[20:21], v[4:5], v[20:21]
	v_add_f64 v[218:219], v[222:223], v[220:221]
	v_add_f64 v[165:166], v[165:166], v[216:217]
	s_waitcnt vmcnt(8) lgkmcnt(0)
	v_mul_f64 v[216:217], v[161:162], v[24:25]
	v_mul_f64 v[24:25], v[163:164], v[24:25]
	v_fma_f64 v[220:221], v[4:5], v[18:19], v[167:168]
	v_fma_f64 v[222:223], v[2:3], v[18:19], -v[20:21]
	ds_load_b128 v[2:5], v1 offset:1088
	scratch_load_b128 v[18:21], off, off offset:400
	v_add_f64 v[212:213], v[218:219], v[212:213]
	v_add_f64 v[214:215], v[165:166], v[214:215]
	ds_load_b128 v[165:168], v1 offset:1104
	s_waitcnt vmcnt(8) lgkmcnt(1)
	v_mul_f64 v[218:219], v[2:3], v[28:29]
	v_mul_f64 v[28:29], v[4:5], v[28:29]
	v_fma_f64 v[163:164], v[163:164], v[22:23], v[216:217]
	v_fma_f64 v[161:162], v[161:162], v[22:23], -v[24:25]
	scratch_load_b128 v[22:25], off, off offset:416
	s_waitcnt vmcnt(8) lgkmcnt(0)
	v_mul_f64 v[216:217], v[165:166], v[32:33]
	v_mul_f64 v[32:33], v[167:168], v[32:33]
	v_add_f64 v[212:213], v[212:213], v[222:223]
	v_add_f64 v[214:215], v[214:215], v[220:221]
	v_fma_f64 v[218:219], v[4:5], v[26:27], v[218:219]
	v_fma_f64 v[220:221], v[2:3], v[26:27], -v[28:29]
	ds_load_b128 v[2:5], v1 offset:1120
	scratch_load_b128 v[26:29], off, off offset:432
	v_fma_f64 v[167:168], v[167:168], v[30:31], v[216:217]
	v_fma_f64 v[165:166], v[165:166], v[30:31], -v[32:33]
	scratch_load_b128 v[30:33], off, off offset:448
	v_add_f64 v[212:213], v[212:213], v[161:162]
	v_add_f64 v[214:215], v[214:215], v[163:164]
	ds_load_b128 v[161:164], v1 offset:1136
	s_waitcnt vmcnt(9) lgkmcnt(1)
	v_mul_f64 v[222:223], v[2:3], v[36:37]
	v_mul_f64 v[36:37], v[4:5], v[36:37]
	s_waitcnt vmcnt(8) lgkmcnt(0)
	v_mul_f64 v[216:217], v[161:162], v[40:41]
	v_mul_f64 v[40:41], v[163:164], v[40:41]
	v_add_f64 v[212:213], v[212:213], v[220:221]
	v_add_f64 v[214:215], v[214:215], v[218:219]
	v_fma_f64 v[218:219], v[4:5], v[34:35], v[222:223]
	v_fma_f64 v[220:221], v[2:3], v[34:35], -v[36:37]
	ds_load_b128 v[2:5], v1 offset:1152
	scratch_load_b128 v[34:37], off, off offset:464
	v_fma_f64 v[163:164], v[163:164], v[38:39], v[216:217]
	v_fma_f64 v[161:162], v[161:162], v[38:39], -v[40:41]
	scratch_load_b128 v[38:41], off, off offset:480
	v_add_f64 v[212:213], v[212:213], v[165:166]
	v_add_f64 v[214:215], v[214:215], v[167:168]
	ds_load_b128 v[165:168], v1 offset:1168
	s_waitcnt vmcnt(9) lgkmcnt(1)
	v_mul_f64 v[222:223], v[2:3], v[44:45]
	v_mul_f64 v[44:45], v[4:5], v[44:45]
	;; [unrolled: 18-line block ×12, first 2 shown]
	s_waitcnt vmcnt(8) lgkmcnt(0)
	v_mul_f64 v[216:217], v[165:166], v[8:9]
	v_mul_f64 v[8:9], v[167:168], v[8:9]
	v_add_f64 v[212:213], v[212:213], v[220:221]
	v_add_f64 v[214:215], v[214:215], v[218:219]
	v_fma_f64 v[218:219], v[4:5], v[42:43], v[222:223]
	v_fma_f64 v[220:221], v[2:3], v[42:43], -v[44:45]
	ds_load_b128 v[2:5], v1 offset:1504
	ds_load_b128 v[42:45], v1 offset:1520
	v_fma_f64 v[167:168], v[167:168], v[6:7], v[216:217]
	v_fma_f64 v[6:7], v[165:166], v[6:7], -v[8:9]
	v_add_f64 v[161:162], v[212:213], v[161:162]
	v_add_f64 v[163:164], v[214:215], v[163:164]
	s_waitcnt vmcnt(7) lgkmcnt(1)
	v_mul_f64 v[212:213], v[2:3], v[12:13]
	v_mul_f64 v[12:13], v[4:5], v[12:13]
	s_delay_alu instid0(VALU_DEP_4) | instskip(NEXT) | instid1(VALU_DEP_4)
	v_add_f64 v[8:9], v[161:162], v[220:221]
	v_add_f64 v[161:162], v[163:164], v[218:219]
	s_waitcnt vmcnt(6) lgkmcnt(0)
	v_mul_f64 v[163:164], v[42:43], v[16:17]
	v_mul_f64 v[16:17], v[44:45], v[16:17]
	v_fma_f64 v[165:166], v[4:5], v[10:11], v[212:213]
	v_fma_f64 v[10:11], v[2:3], v[10:11], -v[12:13]
	v_add_f64 v[12:13], v[8:9], v[6:7]
	v_add_f64 v[161:162], v[161:162], v[167:168]
	ds_load_b128 v[2:5], v1 offset:1536
	ds_load_b128 v[6:9], v1 offset:1552
	v_fma_f64 v[44:45], v[44:45], v[14:15], v[163:164]
	v_fma_f64 v[14:15], v[42:43], v[14:15], -v[16:17]
	s_waitcnt vmcnt(5) lgkmcnt(1)
	v_mul_f64 v[167:168], v[2:3], v[20:21]
	v_mul_f64 v[20:21], v[4:5], v[20:21]
	s_waitcnt vmcnt(4) lgkmcnt(0)
	v_mul_f64 v[16:17], v[6:7], v[24:25]
	v_mul_f64 v[24:25], v[8:9], v[24:25]
	v_add_f64 v[10:11], v[12:13], v[10:11]
	v_add_f64 v[12:13], v[161:162], v[165:166]
	v_fma_f64 v[42:43], v[4:5], v[18:19], v[167:168]
	v_fma_f64 v[18:19], v[2:3], v[18:19], -v[20:21]
	v_fma_f64 v[8:9], v[8:9], v[22:23], v[16:17]
	v_fma_f64 v[6:7], v[6:7], v[22:23], -v[24:25]
	v_add_f64 v[14:15], v[10:11], v[14:15]
	v_add_f64 v[20:21], v[12:13], v[44:45]
	ds_load_b128 v[2:5], v1 offset:1568
	ds_load_b128 v[10:13], v1 offset:1584
	s_waitcnt vmcnt(3) lgkmcnt(1)
	v_mul_f64 v[44:45], v[2:3], v[28:29]
	v_mul_f64 v[28:29], v[4:5], v[28:29]
	v_add_f64 v[14:15], v[14:15], v[18:19]
	v_add_f64 v[16:17], v[20:21], v[42:43]
	s_waitcnt vmcnt(2) lgkmcnt(0)
	v_mul_f64 v[18:19], v[10:11], v[32:33]
	v_mul_f64 v[20:21], v[12:13], v[32:33]
	v_fma_f64 v[22:23], v[4:5], v[26:27], v[44:45]
	v_fma_f64 v[24:25], v[2:3], v[26:27], -v[28:29]
	v_add_f64 v[14:15], v[14:15], v[6:7]
	v_add_f64 v[16:17], v[16:17], v[8:9]
	ds_load_b128 v[2:5], v1 offset:1600
	ds_load_b128 v[6:9], v1 offset:1616
	v_fma_f64 v[12:13], v[12:13], v[30:31], v[18:19]
	v_fma_f64 v[10:11], v[10:11], v[30:31], -v[20:21]
	s_waitcnt vmcnt(1) lgkmcnt(1)
	v_mul_f64 v[26:27], v[2:3], v[36:37]
	v_mul_f64 v[28:29], v[4:5], v[36:37]
	s_waitcnt vmcnt(0) lgkmcnt(0)
	v_mul_f64 v[18:19], v[6:7], v[40:41]
	v_mul_f64 v[20:21], v[8:9], v[40:41]
	v_add_f64 v[14:15], v[14:15], v[24:25]
	v_add_f64 v[16:17], v[16:17], v[22:23]
	v_fma_f64 v[4:5], v[4:5], v[34:35], v[26:27]
	v_fma_f64 v[1:2], v[2:3], v[34:35], -v[28:29]
	v_fma_f64 v[8:9], v[8:9], v[38:39], v[18:19]
	v_fma_f64 v[6:7], v[6:7], v[38:39], -v[20:21]
	v_add_f64 v[10:11], v[14:15], v[10:11]
	v_add_f64 v[12:13], v[16:17], v[12:13]
	s_delay_alu instid0(VALU_DEP_2) | instskip(NEXT) | instid1(VALU_DEP_2)
	v_add_f64 v[1:2], v[10:11], v[1:2]
	v_add_f64 v[3:4], v[12:13], v[4:5]
	s_delay_alu instid0(VALU_DEP_2) | instskip(NEXT) | instid1(VALU_DEP_2)
	v_add_f64 v[1:2], v[1:2], v[6:7]
	v_add_f64 v[3:4], v[3:4], v[8:9]
	s_delay_alu instid0(VALU_DEP_2) | instskip(NEXT) | instid1(VALU_DEP_2)
	v_add_f64 v[1:2], v[157:158], -v[1:2]
	v_add_f64 v[3:4], v[159:160], -v[3:4]
	scratch_store_b128 off, v[1:4], off
	s_cbranch_vccz .LBB114_421
; %bb.320:
	v_dual_mov_b32 v1, s8 :: v_dual_mov_b32 v2, s9
	s_load_b64 s[0:1], s[0:1], 0x4
	flat_load_b32 v1, v[1:2] offset:196
	v_bfe_u32 v2, v0, 10, 10
	v_bfe_u32 v0, v0, 20, 10
	s_waitcnt lgkmcnt(0)
	s_lshr_b32 s0, s0, 16
	s_delay_alu instid0(VALU_DEP_2) | instskip(SKIP_1) | instid1(SALU_CYCLE_1)
	v_mul_u32_u24_e32 v2, s1, v2
	s_mul_i32 s0, s0, s1
	v_mul_u32_u24_e32 v3, s0, v148
	s_mov_b32 s0, exec_lo
	s_delay_alu instid0(VALU_DEP_1) | instskip(NEXT) | instid1(VALU_DEP_1)
	v_add3_u32 v0, v3, v2, v0
	v_lshl_add_u32 v0, v0, 4, 0x668
	s_waitcnt vmcnt(0)
	v_cmpx_ne_u32_e32 50, v1
	s_cbranch_execz .LBB114_322
; %bb.321:
	v_lshl_add_u32 v9, v1, 4, 0
	s_clause 0x1
	scratch_load_b128 v[1:4], v154, off
	scratch_load_b128 v[5:8], v9, off offset:-16
	s_waitcnt vmcnt(1)
	ds_store_2addr_b64 v0, v[1:2], v[3:4] offset1:1
	s_waitcnt vmcnt(0)
	s_clause 0x1
	scratch_store_b128 v154, v[5:8], off
	scratch_store_b128 v9, v[1:4], off offset:-16
.LBB114_322:
	s_or_b32 exec_lo, exec_lo, s0
	v_dual_mov_b32 v1, s8 :: v_dual_mov_b32 v2, s9
	s_mov_b32 s0, exec_lo
	flat_load_b32 v1, v[1:2] offset:192
	s_waitcnt vmcnt(0) lgkmcnt(0)
	v_cmpx_ne_u32_e32 49, v1
	s_cbranch_execz .LBB114_324
; %bb.323:
	v_lshl_add_u32 v9, v1, 4, 0
	s_clause 0x1
	scratch_load_b128 v[1:4], v156, off
	scratch_load_b128 v[5:8], v9, off offset:-16
	s_waitcnt vmcnt(1)
	ds_store_2addr_b64 v0, v[1:2], v[3:4] offset1:1
	s_waitcnt vmcnt(0)
	s_clause 0x1
	scratch_store_b128 v156, v[5:8], off
	scratch_store_b128 v9, v[1:4], off offset:-16
.LBB114_324:
	s_or_b32 exec_lo, exec_lo, s0
	v_dual_mov_b32 v1, s8 :: v_dual_mov_b32 v2, s9
	s_mov_b32 s0, exec_lo
	flat_load_b32 v1, v[1:2] offset:188
	s_waitcnt vmcnt(0) lgkmcnt(0)
	;; [unrolled: 19-line block ×48, first 2 shown]
	v_cmpx_ne_u32_e32 2, v1
	s_cbranch_execz .LBB114_418
; %bb.417:
	v_lshl_add_u32 v9, v1, 4, 0
	s_clause 0x1
	scratch_load_b128 v[1:4], v198, off
	scratch_load_b128 v[5:8], v9, off offset:-16
	s_waitcnt vmcnt(1)
	ds_store_2addr_b64 v0, v[1:2], v[3:4] offset1:1
	s_waitcnt vmcnt(0)
	s_clause 0x1
	scratch_store_b128 v198, v[5:8], off
	scratch_store_b128 v9, v[1:4], off offset:-16
.LBB114_418:
	s_or_b32 exec_lo, exec_lo, s0
	v_dual_mov_b32 v1, s8 :: v_dual_mov_b32 v2, s9
	s_mov_b32 s0, exec_lo
	flat_load_b32 v1, v[1:2]
	s_waitcnt vmcnt(0) lgkmcnt(0)
	v_cmpx_ne_u32_e32 1, v1
	s_cbranch_execz .LBB114_420
; %bb.419:
	v_lshl_add_u32 v9, v1, 4, 0
	scratch_load_b128 v[1:4], off, off
	scratch_load_b128 v[5:8], v9, off offset:-16
	s_waitcnt vmcnt(1)
	ds_store_2addr_b64 v0, v[1:2], v[3:4] offset1:1
	s_waitcnt vmcnt(0)
	scratch_store_b128 off, v[5:8], off
	scratch_store_b128 v9, v[1:4], off offset:-16
.LBB114_420:
	s_or_b32 exec_lo, exec_lo, s0
.LBB114_421:
	scratch_load_b128 v[0:3], off, off
	s_clause 0x19
	scratch_load_b128 v[4:7], v198, off
	scratch_load_b128 v[8:11], v197, off
	;; [unrolled: 1-line block ×26, first 2 shown]
	s_waitcnt vmcnt(26)
	global_store_b128 v[46:47], v[0:3], off
	s_clause 0x1
	scratch_load_b128 v[0:3], v169, off
	scratch_load_b128 v[44:47], v211, off
	s_waitcnt vmcnt(27)
	global_store_b128 v[48:49], v[4:7], off
	s_clause 0x1
	scratch_load_b128 v[4:7], v210, off
	scratch_load_b128 v[244:247], v209, off
	s_waitcnt vmcnt(28)
	global_store_b128 v[50:51], v[8:11], off
	s_clause 0x1
	scratch_load_b128 v[8:11], v208, off
	scratch_load_b128 v[48:51], v207, off
	s_waitcnt vmcnt(29)
	global_store_b128 v[52:53], v[12:15], off
	s_clause 0x1
	scratch_load_b128 v[12:15], v206, off
	scratch_load_b128 v[205:208], v205, off
	s_waitcnt vmcnt(30)
	global_store_b128 v[54:55], v[16:19], off
	s_clause 0x1
	scratch_load_b128 v[16:19], v204, off
	scratch_load_b128 v[52:55], v203, off
	s_waitcnt vmcnt(31)
	global_store_b128 v[56:57], v[20:23], off
	s_clause 0x1
	scratch_load_b128 v[20:23], v202, off
	scratch_load_b128 v[201:204], v201, off
	s_waitcnt vmcnt(32)
	global_store_b128 v[58:59], v[24:27], off
	s_clause 0x1
	scratch_load_b128 v[24:27], v200, off
	scratch_load_b128 v[56:59], v175, off
	s_waitcnt vmcnt(33)
	global_store_b128 v[60:61], v[28:31], off
	s_clause 0x1
	scratch_load_b128 v[28:31], v171, off
	scratch_load_b128 v[169:172], v170, off
	s_waitcnt vmcnt(34)
	global_store_b128 v[62:63], v[32:35], off
	s_clause 0x1
	scratch_load_b128 v[32:35], v155, off
	scratch_load_b128 v[60:63], v153, off
	s_waitcnt vmcnt(35)
	global_store_b128 v[64:65], v[36:39], off
	s_clause 0x1
	scratch_load_b128 v[36:39], v151, off
	scratch_load_b128 v[173:176], v150, off
	s_waitcnt vmcnt(36)
	global_store_b128 v[66:67], v[40:43], off
	s_clause 0x1
	scratch_load_b128 v[40:43], v149, off
	scratch_load_b128 v[64:67], v156, off
	s_waitcnt vmcnt(37)
	global_store_b128 v[68:69], v[157:160], off
	s_clause 0x1
	scratch_load_b128 v[148:151], v154, off
	scratch_load_b128 v[152:155], v152, off
	s_waitcnt vmcnt(38)
	global_store_b128 v[70:71], v[161:164], off
	s_waitcnt vmcnt(37)
	global_store_b128 v[72:73], v[165:168], off
	;; [unrolled: 2-line block ×39, first 2 shown]
	s_endpgm
	.section	.rodata,"a",@progbits
	.p2align	6, 0x0
	.amdhsa_kernel _ZN9rocsolver6v33100L18getri_kernel_smallILi51E19rocblas_complex_numIdEPKPS3_EEvT1_iilPiilS8_bb
		.amdhsa_group_segment_fixed_size 2664
		.amdhsa_private_segment_fixed_size 832
		.amdhsa_kernarg_size 60
		.amdhsa_user_sgpr_count 15
		.amdhsa_user_sgpr_dispatch_ptr 1
		.amdhsa_user_sgpr_queue_ptr 0
		.amdhsa_user_sgpr_kernarg_segment_ptr 1
		.amdhsa_user_sgpr_dispatch_id 0
		.amdhsa_user_sgpr_private_segment_size 0
		.amdhsa_wavefront_size32 1
		.amdhsa_uses_dynamic_stack 0
		.amdhsa_enable_private_segment 1
		.amdhsa_system_sgpr_workgroup_id_x 1
		.amdhsa_system_sgpr_workgroup_id_y 0
		.amdhsa_system_sgpr_workgroup_id_z 0
		.amdhsa_system_sgpr_workgroup_info 0
		.amdhsa_system_vgpr_workitem_id 2
		.amdhsa_next_free_vgpr 255
		.amdhsa_next_free_sgpr 57
		.amdhsa_reserve_vcc 1
		.amdhsa_float_round_mode_32 0
		.amdhsa_float_round_mode_16_64 0
		.amdhsa_float_denorm_mode_32 3
		.amdhsa_float_denorm_mode_16_64 3
		.amdhsa_dx10_clamp 1
		.amdhsa_ieee_mode 1
		.amdhsa_fp16_overflow 0
		.amdhsa_workgroup_processor_mode 1
		.amdhsa_memory_ordered 1
		.amdhsa_forward_progress 0
		.amdhsa_shared_vgpr_count 0
		.amdhsa_exception_fp_ieee_invalid_op 0
		.amdhsa_exception_fp_denorm_src 0
		.amdhsa_exception_fp_ieee_div_zero 0
		.amdhsa_exception_fp_ieee_overflow 0
		.amdhsa_exception_fp_ieee_underflow 0
		.amdhsa_exception_fp_ieee_inexact 0
		.amdhsa_exception_int_div_zero 0
	.end_amdhsa_kernel
	.section	.text._ZN9rocsolver6v33100L18getri_kernel_smallILi51E19rocblas_complex_numIdEPKPS3_EEvT1_iilPiilS8_bb,"axG",@progbits,_ZN9rocsolver6v33100L18getri_kernel_smallILi51E19rocblas_complex_numIdEPKPS3_EEvT1_iilPiilS8_bb,comdat
.Lfunc_end114:
	.size	_ZN9rocsolver6v33100L18getri_kernel_smallILi51E19rocblas_complex_numIdEPKPS3_EEvT1_iilPiilS8_bb, .Lfunc_end114-_ZN9rocsolver6v33100L18getri_kernel_smallILi51E19rocblas_complex_numIdEPKPS3_EEvT1_iilPiilS8_bb
                                        ; -- End function
	.section	.AMDGPU.csdata,"",@progbits
; Kernel info:
; codeLenInByte = 118352
; NumSgprs: 59
; NumVgprs: 255
; ScratchSize: 832
; MemoryBound: 0
; FloatMode: 240
; IeeeMode: 1
; LDSByteSize: 2664 bytes/workgroup (compile time only)
; SGPRBlocks: 7
; VGPRBlocks: 31
; NumSGPRsForWavesPerEU: 59
; NumVGPRsForWavesPerEU: 255
; Occupancy: 5
; WaveLimiterHint : 1
; COMPUTE_PGM_RSRC2:SCRATCH_EN: 1
; COMPUTE_PGM_RSRC2:USER_SGPR: 15
; COMPUTE_PGM_RSRC2:TRAP_HANDLER: 0
; COMPUTE_PGM_RSRC2:TGID_X_EN: 1
; COMPUTE_PGM_RSRC2:TGID_Y_EN: 0
; COMPUTE_PGM_RSRC2:TGID_Z_EN: 0
; COMPUTE_PGM_RSRC2:TIDIG_COMP_CNT: 2
	.section	.text._ZN9rocsolver6v33100L18getri_kernel_smallILi52E19rocblas_complex_numIdEPKPS3_EEvT1_iilPiilS8_bb,"axG",@progbits,_ZN9rocsolver6v33100L18getri_kernel_smallILi52E19rocblas_complex_numIdEPKPS3_EEvT1_iilPiilS8_bb,comdat
	.globl	_ZN9rocsolver6v33100L18getri_kernel_smallILi52E19rocblas_complex_numIdEPKPS3_EEvT1_iilPiilS8_bb ; -- Begin function _ZN9rocsolver6v33100L18getri_kernel_smallILi52E19rocblas_complex_numIdEPKPS3_EEvT1_iilPiilS8_bb
	.p2align	8
	.type	_ZN9rocsolver6v33100L18getri_kernel_smallILi52E19rocblas_complex_numIdEPKPS3_EEvT1_iilPiilS8_bb,@function
_ZN9rocsolver6v33100L18getri_kernel_smallILi52E19rocblas_complex_numIdEPKPS3_EEvT1_iilPiilS8_bb: ; @_ZN9rocsolver6v33100L18getri_kernel_smallILi52E19rocblas_complex_numIdEPKPS3_EEvT1_iilPiilS8_bb
; %bb.0:
	v_and_b32_e32 v150, 0x3ff, v0
	s_mov_b32 s4, exec_lo
	s_delay_alu instid0(VALU_DEP_1)
	v_cmpx_gt_u32_e32 52, v150
	s_cbranch_execz .LBB115_222
; %bb.1:
	s_mov_b32 s10, s15
	s_clause 0x2
	s_load_b32 s15, s[2:3], 0x38
	s_load_b64 s[8:9], s[2:3], 0x0
	s_load_b128 s[4:7], s[2:3], 0x28
	s_waitcnt lgkmcnt(0)
	s_bitcmp1_b32 s15, 8
	s_cselect_b32 s14, -1, 0
	s_ashr_i32 s11, s10, 31
	s_delay_alu instid0(SALU_CYCLE_1) | instskip(NEXT) | instid1(SALU_CYCLE_1)
	s_lshl_b64 s[12:13], s[10:11], 3
	s_add_u32 s8, s8, s12
	s_addc_u32 s9, s9, s13
	s_load_b64 s[12:13], s[8:9], 0x0
	s_bfe_u32 s8, s15, 0x10008
	s_delay_alu instid0(SALU_CYCLE_1)
	s_cmp_eq_u32 s8, 0
                                        ; implicit-def: $sgpr8_sgpr9
	s_cbranch_scc1 .LBB115_3
; %bb.2:
	s_clause 0x1
	s_load_b32 s8, s[2:3], 0x20
	s_load_b64 s[16:17], s[2:3], 0x18
	s_mul_i32 s5, s10, s5
	s_mul_hi_u32 s9, s10, s4
	s_mul_i32 s18, s11, s4
	s_add_i32 s5, s9, s5
	s_mul_i32 s4, s10, s4
	s_add_i32 s5, s5, s18
	s_delay_alu instid0(SALU_CYCLE_1)
	s_lshl_b64 s[4:5], s[4:5], 2
	s_waitcnt lgkmcnt(0)
	s_ashr_i32 s9, s8, 31
	s_add_u32 s16, s16, s4
	s_addc_u32 s17, s17, s5
	s_lshl_b64 s[4:5], s[8:9], 2
	s_delay_alu instid0(SALU_CYCLE_1)
	s_add_u32 s8, s16, s4
	s_addc_u32 s9, s17, s5
.LBB115_3:
	s_load_b64 s[2:3], s[2:3], 0x8
	v_lshlrev_b32_e32 v13, 4, v150
	s_movk_i32 s18, 0xd0
	s_movk_i32 s19, 0xe0
	;; [unrolled: 1-line block ×18, first 2 shown]
	s_waitcnt lgkmcnt(0)
	v_add3_u32 v1, s3, s3, v150
	s_ashr_i32 s5, s2, 31
	s_mov_b32 s4, s2
	s_mov_b32 s16, s3
	s_lshl_b64 s[4:5], s[4:5], 4
	v_add_nc_u32_e32 v7, s3, v1
	v_ashrrev_i32_e32 v2, 31, v1
	s_add_u32 s4, s12, s4
	s_addc_u32 s5, s13, s5
	v_add_co_u32 v46, s2, s4, v13
	v_add_nc_u32_e32 v11, s3, v7
	s_ashr_i32 s17, s3, 31
	v_add_co_ci_u32_e64 v47, null, s5, 0, s2
	v_lshlrev_b64 v[1:2], 4, v[1:2]
	s_lshl_b64 s[12:13], s[16:17], 4
	v_add_nc_u32_e32 v18, s3, v11
	v_ashrrev_i32_e32 v8, 31, v7
	v_add_co_u32 v48, vcc_lo, v46, s12
	v_add_co_ci_u32_e32 v49, vcc_lo, s13, v47, vcc_lo
	v_ashrrev_i32_e32 v12, 31, v11
	v_add_co_u32 v50, vcc_lo, s4, v1
	v_add_nc_u32_e32 v1, s3, v18
	v_lshlrev_b64 v[14:15], 4, v[7:8]
	s_delay_alu instid0(VALU_DEP_4) | instskip(SKIP_1) | instid1(VALU_DEP_4)
	v_lshlrev_b64 v[11:12], 4, v[11:12]
	v_add_co_ci_u32_e32 v51, vcc_lo, s5, v2, vcc_lo
	v_add_nc_u32_e32 v26, s3, v1
	v_ashrrev_i32_e32 v19, 31, v18
	v_add_co_u32 v52, vcc_lo, s4, v14
	v_add_co_ci_u32_e32 v53, vcc_lo, s5, v15, vcc_lo
	v_ashrrev_i32_e32 v2, 31, v1
	v_add_co_u32 v54, vcc_lo, s4, v11
	v_add_nc_u32_e32 v11, s3, v26
	v_lshlrev_b64 v[22:23], 4, v[18:19]
	s_delay_alu instid0(VALU_DEP_4) | instskip(SKIP_1) | instid1(VALU_DEP_4)
	v_lshlrev_b64 v[1:2], 4, v[1:2]
	v_add_co_ci_u32_e32 v55, vcc_lo, s5, v12, vcc_lo
	;; [unrolled: 11-line block ×4, first 2 shown]
	v_add_nc_u32_e32 v70, s3, v11
	v_ashrrev_i32_e32 v43, 31, v42
	v_add_co_u32 v64, vcc_lo, s4, v38
	v_add_co_ci_u32_e32 v65, vcc_lo, s5, v39, vcc_lo
	v_ashrrev_i32_e32 v12, 31, v11
	v_add_co_u32 v66, vcc_lo, s4, v1
	v_add_nc_u32_e32 v1, s3, v70
	v_lshlrev_b64 v[68:69], 4, v[42:43]
	s_delay_alu instid0(VALU_DEP_4)
	v_lshlrev_b64 v[11:12], 4, v[11:12]
	v_ashrrev_i32_e32 v71, 31, v70
	v_add_co_ci_u32_e32 v67, vcc_lo, s5, v2, vcc_lo
	v_add_nc_u32_e32 v74, s3, v1
	v_add_co_u32 v68, vcc_lo, s4, v68
	v_add_co_ci_u32_e32 v69, vcc_lo, s5, v69, vcc_lo
	v_ashrrev_i32_e32 v2, 31, v1
	v_lshlrev_b64 v[72:73], 4, v[70:71]
	v_add_co_u32 v70, vcc_lo, s4, v11
	v_add_nc_u32_e32 v11, s3, v74
	v_ashrrev_i32_e32 v75, 31, v74
	v_lshlrev_b64 v[1:2], 4, v[1:2]
	s_clause 0x1
	global_load_b128 v[3:6], v13, s[4:5]
	global_load_b128 v[7:10], v[48:49], off
	v_add_co_ci_u32_e32 v71, vcc_lo, s5, v12, vcc_lo
	v_ashrrev_i32_e32 v12, 31, v11
	s_clause 0x1
	global_load_b128 v[14:17], v[50:51], off
	global_load_b128 v[18:21], v[52:53], off
	v_add_nc_u32_e32 v80, s3, v11
	s_clause 0x1
	global_load_b128 v[22:25], v[54:55], off
	global_load_b128 v[26:29], v[56:57], off
	v_add_co_u32 v72, vcc_lo, s4, v72
	v_lshlrev_b64 v[76:77], 4, v[74:75]
	s_clause 0x3
	global_load_b128 v[30:33], v[58:59], off
	global_load_b128 v[34:37], v[60:61], off
	;; [unrolled: 1-line block ×4, first 2 shown]
	v_add_co_ci_u32_e32 v73, vcc_lo, s5, v73, vcc_lo
	s_clause 0x1
	global_load_b128 v[134:137], v[66:67], off
	global_load_b128 v[138:141], v[68:69], off
	v_add_co_u32 v74, vcc_lo, s4, v1
	v_lshlrev_b64 v[11:12], 4, v[11:12]
	v_add_nc_u32_e32 v1, s3, v80
	v_add_co_ci_u32_e32 v75, vcc_lo, s5, v2, vcc_lo
	v_add_co_u32 v76, vcc_lo, s4, v76
	v_ashrrev_i32_e32 v81, 31, v80
	v_add_co_ci_u32_e32 v77, vcc_lo, s5, v77, vcc_lo
	s_clause 0x1
	global_load_b128 v[142:145], v[70:71], off
	global_load_b128 v[146:149], v[72:73], off
	v_ashrrev_i32_e32 v2, 31, v1
	v_add_co_u32 v78, vcc_lo, s4, v11
	v_add_co_ci_u32_e32 v79, vcc_lo, s5, v12, vcc_lo
	v_lshlrev_b64 v[11:12], 4, v[80:81]
	v_add_nc_u32_e32 v84, s3, v1
	v_lshlrev_b64 v[1:2], 4, v[1:2]
	s_clause 0x2
	global_load_b128 v[151:154], v[74:75], off
	global_load_b128 v[155:158], v[76:77], off
	;; [unrolled: 1-line block ×3, first 2 shown]
	v_add_co_u32 v80, vcc_lo, s4, v11
	v_add_co_ci_u32_e32 v81, vcc_lo, s5, v12, vcc_lo
	v_add_co_u32 v82, vcc_lo, s4, v1
	v_add_co_ci_u32_e32 v83, vcc_lo, s5, v2, vcc_lo
	s_clause 0x1
	global_load_b128 v[163:166], v[80:81], off
	global_load_b128 v[167:170], v[82:83], off
	v_add_nc_u32_e32 v86, s3, v84
	v_ashrrev_i32_e32 v85, 31, v84
	s_movk_i32 s2, 0x50
	s_movk_i32 s12, 0x90
	;; [unrolled: 1-line block ×3, first 2 shown]
	v_add_nc_u32_e32 v11, s3, v86
	v_lshlrev_b64 v[1:2], 4, v[84:85]
	v_ashrrev_i32_e32 v87, 31, v86
	s_movk_i32 s16, 0xb0
	s_movk_i32 s17, 0xc0
	v_add_nc_u32_e32 v88, s3, v11
	v_ashrrev_i32_e32 v12, 31, v11
	v_add_co_u32 v84, vcc_lo, s4, v1
	v_lshlrev_b64 v[86:87], 4, v[86:87]
	s_delay_alu instid0(VALU_DEP_4) | instskip(SKIP_3) | instid1(VALU_DEP_4)
	v_add_nc_u32_e32 v1, s3, v88
	v_ashrrev_i32_e32 v89, 31, v88
	v_lshlrev_b64 v[11:12], 4, v[11:12]
	v_add_co_ci_u32_e32 v85, vcc_lo, s5, v2, vcc_lo
	v_add_nc_u32_e32 v92, s3, v1
	v_ashrrev_i32_e32 v2, 31, v1
	v_add_co_u32 v86, vcc_lo, s4, v86
	v_lshlrev_b64 v[90:91], 4, v[88:89]
	s_delay_alu instid0(VALU_DEP_4) | instskip(SKIP_2) | instid1(VALU_DEP_3)
	v_add_nc_u32_e32 v94, s3, v92
	v_add_co_ci_u32_e32 v87, vcc_lo, s5, v87, vcc_lo
	v_add_co_u32 v88, vcc_lo, s4, v11
	v_add_nc_u32_e32 v96, s3, v94
	v_lshlrev_b64 v[1:2], 4, v[1:2]
	v_ashrrev_i32_e32 v93, 31, v92
	v_add_co_ci_u32_e32 v89, vcc_lo, s5, v12, vcc_lo
	s_delay_alu instid0(VALU_DEP_4) | instskip(SKIP_3) | instid1(VALU_DEP_4)
	v_add_nc_u32_e32 v98, s3, v96
	v_add_co_u32 v90, vcc_lo, s4, v90
	v_ashrrev_i32_e32 v95, 31, v94
	v_add_co_ci_u32_e32 v91, vcc_lo, s5, v91, vcc_lo
	v_add_nc_u32_e32 v100, s3, v98
	v_lshlrev_b64 v[11:12], 4, v[92:93]
	v_add_co_u32 v92, vcc_lo, s4, v1
	v_add_co_ci_u32_e32 v93, vcc_lo, s5, v2, vcc_lo
	s_delay_alu instid0(VALU_DEP_4) | instskip(SKIP_3) | instid1(VALU_DEP_4)
	v_add_nc_u32_e32 v102, s3, v100
	v_lshlrev_b64 v[1:2], 4, v[94:95]
	v_ashrrev_i32_e32 v97, 31, v96
	v_add_co_u32 v94, vcc_lo, s4, v11
	v_add_nc_u32_e32 v104, s3, v102
	v_ashrrev_i32_e32 v99, 31, v98
	v_add_co_ci_u32_e32 v95, vcc_lo, s5, v12, vcc_lo
	v_lshlrev_b64 v[11:12], 4, v[96:97]
	s_delay_alu instid0(VALU_DEP_4) | instskip(SKIP_2) | instid1(VALU_DEP_3)
	v_add_nc_u32_e32 v106, s3, v104
	v_add_co_u32 v96, vcc_lo, s4, v1
	v_add_co_ci_u32_e32 v97, vcc_lo, s5, v2, vcc_lo
	v_add_nc_u32_e32 v110, s3, v106
	v_lshlrev_b64 v[1:2], 4, v[98:99]
	v_ashrrev_i32_e32 v101, 31, v100
	v_add_co_u32 v98, vcc_lo, s4, v11
	s_delay_alu instid0(VALU_DEP_4) | instskip(SKIP_3) | instid1(VALU_DEP_4)
	v_add_nc_u32_e32 v112, s3, v110
	v_ashrrev_i32_e32 v103, 31, v102
	v_add_co_ci_u32_e32 v99, vcc_lo, s5, v12, vcc_lo
	v_lshlrev_b64 v[11:12], 4, v[100:101]
	v_add_nc_u32_e32 v114, s3, v112
	v_add_co_u32 v100, vcc_lo, s4, v1
	v_add_co_ci_u32_e32 v101, vcc_lo, s5, v2, vcc_lo
	s_delay_alu instid0(VALU_DEP_3) | instskip(SKIP_3) | instid1(VALU_DEP_4)
	v_add_nc_u32_e32 v116, s3, v114
	v_lshlrev_b64 v[1:2], 4, v[102:103]
	v_ashrrev_i32_e32 v105, 31, v104
	v_add_co_u32 v102, vcc_lo, s4, v11
	v_add_nc_u32_e32 v118, s3, v116
	v_ashrrev_i32_e32 v107, 31, v106
	v_add_co_ci_u32_e32 v103, vcc_lo, s5, v12, vcc_lo
	v_lshlrev_b64 v[11:12], 4, v[104:105]
	s_delay_alu instid0(VALU_DEP_4) | instskip(SKIP_2) | instid1(VALU_DEP_3)
	v_add_nc_u32_e32 v120, s3, v118
	v_add_co_u32 v104, vcc_lo, s4, v1
	v_add_co_ci_u32_e32 v105, vcc_lo, s5, v2, vcc_lo
	v_add_nc_u32_e32 v122, s3, v120
	v_lshlrev_b64 v[1:2], 4, v[106:107]
	v_ashrrev_i32_e32 v111, 31, v110
	v_add_co_u32 v108, vcc_lo, s4, v11
	s_delay_alu instid0(VALU_DEP_4) | instskip(SKIP_3) | instid1(VALU_DEP_4)
	v_add_nc_u32_e32 v124, s3, v122
	v_ashrrev_i32_e32 v113, 31, v112
	v_add_co_ci_u32_e32 v109, vcc_lo, s5, v12, vcc_lo
	v_lshlrev_b64 v[11:12], 4, v[110:111]
	v_add_nc_u32_e32 v126, s3, v124
	v_add_co_u32 v110, vcc_lo, s4, v1
	v_add_co_ci_u32_e32 v111, vcc_lo, s5, v2, vcc_lo
	s_delay_alu instid0(VALU_DEP_3)
	v_add_nc_u32_e32 v128, s3, v126
	v_lshlrev_b64 v[200:201], 4, v[112:113]
	v_ashrrev_i32_e32 v115, 31, v114
	v_ashrrev_i32_e32 v117, 31, v116
	;; [unrolled: 1-line block ×3, first 2 shown]
	v_add_nc_u32_e32 v130, s3, v128
	v_ashrrev_i32_e32 v121, 31, v120
	v_ashrrev_i32_e32 v123, 31, v122
	;; [unrolled: 1-line block ×3, first 2 shown]
	v_lshlrev_b64 v[238:239], 4, v[118:119]
	v_add_nc_u32_e32 v132, s3, v130
	v_ashrrev_i32_e32 v127, 31, v126
	v_ashrrev_i32_e32 v129, 31, v128
	v_ashrrev_i32_e32 v131, 31, v130
	s_clause 0x1
	global_load_b128 v[171:174], v[84:85], off
	global_load_b128 v[175:178], v[86:87], off
	v_add_nc_u32_e32 v187, s3, v132
	v_ashrrev_i32_e32 v133, 31, v132
	s_clause 0x5
	global_load_b128 v[179:182], v[88:89], off
	global_load_b128 v[183:186], v[90:91], off
	global_load_b128 v[202:205], v[92:93], off
	global_load_b128 v[206:209], v[94:95], off
	global_load_b128 v[210:213], v[96:97], off
	global_load_b128 v[214:217], v[98:99], off
	v_add_nc_u32_e32 v189, s3, v187
	v_ashrrev_i32_e32 v188, 31, v187
	s_clause 0x3
	global_load_b128 v[218:221], v[100:101], off
	global_load_b128 v[222:225], v[102:103], off
	;; [unrolled: 1-line block ×4, first 2 shown]
	s_movk_i32 s37, 0x1f0
	v_add_nc_u32_e32 v191, s3, v189
	v_ashrrev_i32_e32 v190, 31, v189
	v_lshlrev_b64 v[187:188], 4, v[187:188]
	s_movk_i32 s38, 0x200
	s_movk_i32 s39, 0x210
	v_add_nc_u32_e32 v193, s3, v191
	v_ashrrev_i32_e32 v192, 31, v191
	s_movk_i32 s40, 0x220
	s_movk_i32 s41, 0x230
	s_movk_i32 s42, 0x240
	v_add_nc_u32_e32 v195, s3, v193
	v_ashrrev_i32_e32 v194, 31, v193
	s_movk_i32 s43, 0x250
	;; [unrolled: 5-line block ×4, first 2 shown]
	s_movk_i32 s50, 0x2c0
	s_movk_i32 s51, 0x2d0
	v_add_nc_u32_e32 v106, s3, v199
	s_movk_i32 s3, 0x60
	s_movk_i32 s52, 0x2e0
	;; [unrolled: 1-line block ×4, first 2 shown]
	v_ashrrev_i32_e32 v107, 31, v106
	s_movk_i32 s55, 0x310
	s_movk_i32 s56, 0x320
	;; [unrolled: 1-line block ×3, first 2 shown]
	s_bitcmp0_b32 s15, 0
	v_lshlrev_b64 v[106:107], 4, v[106:107]
	s_delay_alu instid0(VALU_DEP_1) | instskip(NEXT) | instid1(VALU_DEP_2)
	v_add_co_u32 v106, vcc_lo, s4, v106
	v_add_co_ci_u32_e32 v107, vcc_lo, s5, v107, vcc_lo
	v_add_co_u32 v112, vcc_lo, s4, v11
	v_add_co_ci_u32_e32 v113, vcc_lo, s5, v12, vcc_lo
	v_lshlrev_b64 v[11:12], 4, v[114:115]
	v_add_co_u32 v114, vcc_lo, s4, v200
	v_add_co_ci_u32_e32 v115, vcc_lo, s5, v201, vcc_lo
	v_lshlrev_b64 v[200:201], 4, v[116:117]
	s_delay_alu instid0(VALU_DEP_4)
	v_add_co_u32 v116, vcc_lo, s4, v11
	v_add_co_ci_u32_e32 v117, vcc_lo, s5, v12, vcc_lo
	global_load_b128 v[234:237], v[106:107], off
	v_add_co_u32 v118, vcc_lo, s4, v200
	v_add_co_ci_u32_e32 v119, vcc_lo, s5, v201, vcc_lo
	v_lshlrev_b64 v[200:201], 4, v[120:121]
	v_add_co_u32 v120, vcc_lo, s4, v238
	v_add_co_ci_u32_e32 v121, vcc_lo, s5, v239, vcc_lo
	v_lshlrev_b64 v[238:239], 4, v[122:123]
	s_delay_alu instid0(VALU_DEP_4) | instskip(SKIP_2) | instid1(VALU_DEP_4)
	v_add_co_u32 v122, vcc_lo, s4, v200
	v_add_co_ci_u32_e32 v123, vcc_lo, s5, v201, vcc_lo
	v_lshlrev_b64 v[200:201], 4, v[124:125]
	v_add_co_u32 v124, vcc_lo, s4, v238
	v_add_co_ci_u32_e32 v125, vcc_lo, s5, v239, vcc_lo
	v_lshlrev_b64 v[238:239], 4, v[126:127]
	s_delay_alu instid0(VALU_DEP_4) | instskip(SKIP_2) | instid1(VALU_DEP_4)
	v_add_co_u32 v126, vcc_lo, s4, v200
	v_add_co_ci_u32_e32 v127, vcc_lo, s5, v201, vcc_lo
	v_lshlrev_b64 v[200:201], 4, v[128:129]
	v_add_co_u32 v128, vcc_lo, s4, v238
	v_add_co_ci_u32_e32 v129, vcc_lo, s5, v239, vcc_lo
	v_lshlrev_b64 v[238:239], 4, v[130:131]
	s_delay_alu instid0(VALU_DEP_4)
	v_add_co_u32 v130, vcc_lo, s4, v200
	v_add_co_ci_u32_e32 v131, vcc_lo, s5, v201, vcc_lo
	v_lshlrev_b64 v[200:201], 4, v[132:133]
	s_waitcnt vmcnt(31)
	scratch_store_b128 off, v[3:6], off
	s_waitcnt vmcnt(30)
	scratch_store_b128 off, v[7:10], off offset:16
	s_clause 0x1
	global_load_b128 v[1:4], v[110:111], off
	global_load_b128 v[5:8], v[112:113], off
	s_waitcnt vmcnt(31)
	scratch_store_b128 off, v[14:17], off offset:32
	s_waitcnt vmcnt(30)
	scratch_store_b128 off, v[18:21], off offset:48
	s_clause 0x1
	global_load_b128 v[9:12], v[114:115], off
	global_load_b128 v[14:17], v[116:117], off
	s_waitcnt vmcnt(31)
	scratch_store_b128 off, v[22:25], off offset:64
	s_waitcnt vmcnt(30)
	scratch_store_b128 off, v[26:29], off offset:80
	v_add_co_u32 v132, vcc_lo, s4, v238
	s_clause 0x1
	global_load_b128 v[18:21], v[118:119], off
	global_load_b128 v[22:25], v[120:121], off
	s_waitcnt vmcnt(31)
	scratch_store_b128 off, v[30:33], off offset:96
	s_waitcnt vmcnt(30)
	scratch_store_b128 off, v[34:37], off offset:112
	s_clause 0x1
	global_load_b128 v[26:29], v[122:123], off
	global_load_b128 v[30:33], v[124:125], off
	s_waitcnt vmcnt(31)
	scratch_store_b128 off, v[38:41], off offset:128
	s_waitcnt vmcnt(30)
	scratch_store_b128 off, v[42:45], off offset:144
	v_add_co_ci_u32_e32 v133, vcc_lo, s5, v239, vcc_lo
	s_clause 0x1
	global_load_b128 v[34:37], v[126:127], off
	global_load_b128 v[38:41], v[128:129], off
	s_waitcnt vmcnt(31)
	scratch_store_b128 off, v[134:137], off offset:160
	s_waitcnt vmcnt(30)
	scratch_store_b128 off, v[138:141], off offset:176
	v_add_co_u32 v134, vcc_lo, s4, v200
	v_lshlrev_b64 v[138:139], 4, v[189:190]
	v_add_co_ci_u32_e32 v135, vcc_lo, s5, v201, vcc_lo
	v_add_co_u32 v136, vcc_lo, s4, v187
	v_lshlrev_b64 v[140:141], 4, v[191:192]
	v_add_co_ci_u32_e32 v137, vcc_lo, s5, v188, vcc_lo
	s_clause 0x1
	global_load_b128 v[42:45], v[130:131], off
	global_load_b128 v[238:241], v[132:133], off
	s_waitcnt vmcnt(31)
	scratch_store_b128 off, v[142:145], off offset:192
	s_waitcnt vmcnt(30)
	scratch_store_b128 off, v[146:149], off offset:208
	v_add_co_u32 v138, vcc_lo, s4, v138
	v_lshlrev_b64 v[142:143], 4, v[193:194]
	v_add_co_ci_u32_e32 v139, vcc_lo, s5, v139, vcc_lo
	v_add_co_u32 v140, vcc_lo, s4, v140
	v_lshlrev_b64 v[144:145], 4, v[195:196]
	v_ashrrev_i32_e32 v200, 31, v199
	v_add_co_ci_u32_e32 v141, vcc_lo, s5, v141, vcc_lo
	v_add_co_u32 v142, vcc_lo, s4, v142
	v_lshlrev_b64 v[146:147], 4, v[197:198]
	v_add_co_ci_u32_e32 v143, vcc_lo, s5, v143, vcc_lo
	v_add_co_u32 v144, vcc_lo, s4, v144
	v_lshlrev_b64 v[148:149], 4, v[199:200]
	v_add_co_ci_u32_e32 v145, vcc_lo, s5, v145, vcc_lo
	v_add_co_u32 v146, vcc_lo, s4, v146
	v_add_co_ci_u32_e32 v147, vcc_lo, s5, v147, vcc_lo
	s_clause 0x1
	global_load_b128 v[242:245], v[134:135], off
	global_load_b128 v[246:249], v[136:137], off
	s_waitcnt vmcnt(31)
	scratch_store_b128 off, v[151:154], off offset:224
	s_waitcnt vmcnt(30)
	scratch_store_b128 off, v[155:158], off offset:240
	v_add_co_u32 v148, vcc_lo, s4, v148
	s_clause 0x1
	global_load_b128 v[250:253], v[138:139], off
	global_load_b128 v[151:154], v[140:141], off
	s_waitcnt vmcnt(31)
	scratch_store_b128 off, v[159:162], off offset:256
	s_waitcnt vmcnt(30)
	scratch_store_b128 off, v[163:166], off offset:272
	s_clause 0x1
	global_load_b128 v[155:158], v[142:143], off
	global_load_b128 v[159:162], v[144:145], off
	v_add_co_ci_u32_e32 v149, vcc_lo, s5, v149, vcc_lo
	s_waitcnt vmcnt(31)
	scratch_store_b128 off, v[167:170], off offset:288
	global_load_b128 v[163:166], v[146:147], off
	s_movk_i32 s4, 0x70
	global_load_b128 v[167:170], v[148:149], off
	s_movk_i32 s5, 0x80
	v_add_nc_u32_e64 v201, 0, 16
	v_add_nc_u32_e64 v200, 0, 32
	;; [unrolled: 1-line block ×15, first 2 shown]
	s_mov_b32 s3, -1
	s_waitcnt vmcnt(32)
	scratch_store_b128 off, v[171:174], off offset:304
	s_waitcnt vmcnt(31)
	scratch_store_b128 off, v[175:178], off offset:320
	v_add_nc_u32_e64 v178, s29, 0
	s_waitcnt vmcnt(30)
	scratch_store_b128 off, v[179:182], off offset:336
	s_waitcnt vmcnt(29)
	scratch_store_b128 off, v[183:186], off offset:352
	;; [unrolled: 2-line block ×3, first 2 shown]
	v_add_nc_u32_e64 v186, s21, 0
	v_add_nc_u32_e64 v185, s22, 0
	;; [unrolled: 1-line block ×3, first 2 shown]
	s_waitcnt vmcnt(27)
	scratch_store_b128 off, v[206:209], off offset:384
	s_waitcnt vmcnt(26)
	scratch_store_b128 off, v[210:213], off offset:400
	v_add_nc_u32_e64 v183, s24, 0
	v_add_nc_u32_e64 v182, s25, 0
	;; [unrolled: 1-line block ×7, first 2 shown]
	s_waitcnt vmcnt(25)
	scratch_store_b128 off, v[214:217], off offset:416
	s_waitcnt vmcnt(24)
	scratch_store_b128 off, v[218:221], off offset:432
	v_add_nc_u32_e64 v175, s33, 0
	v_add_nc_u32_e64 v174, s34, 0
	;; [unrolled: 1-line block ×8, first 2 shown]
	s_waitcnt vmcnt(23)
	scratch_store_b128 off, v[222:225], off offset:448
	s_waitcnt vmcnt(22)
	scratch_store_b128 off, v[226:229], off offset:464
	v_add_nc_u32_e64 v212, s41, 0
	v_add_nc_u32_e64 v211, s42, 0
	;; [unrolled: 1-line block ×8, first 2 shown]
	s_waitcnt vmcnt(21)
	scratch_store_b128 off, v[230:233], off offset:480
	v_add_nc_u32_e64 v204, s49, 0
	v_add_nc_u32_e64 v203, s50, 0
	;; [unrolled: 1-line block ×3, first 2 shown]
	s_waitcnt vmcnt(19)
	scratch_store_b128 off, v[1:4], off offset:496
	s_waitcnt vmcnt(18)
	scratch_store_b128 off, v[5:8], off offset:512
	;; [unrolled: 2-line block ×19, first 2 shown]
	v_add_nc_u32_e64 v152, s52, 0
	v_add_nc_u32_e64 v151, s53, 0
	;; [unrolled: 1-line block ×6, first 2 shown]
	s_waitcnt vmcnt(0)
	s_clause 0x1
	scratch_store_b128 off, v[167:170], off offset:800
	scratch_store_b128 off, v[234:237], off offset:816
	s_cbranch_scc1 .LBB115_220
; %bb.4:
	v_cmp_eq_u32_e64 s2, 0, v150
	s_delay_alu instid0(VALU_DEP_1)
	s_and_saveexec_b32 s3, s2
	s_cbranch_execz .LBB115_6
; %bb.5:
	v_mov_b32_e32 v1, 0
	ds_store_b32 v1, v1 offset:1664
.LBB115_6:
	s_or_b32 exec_lo, exec_lo, s3
	s_waitcnt lgkmcnt(0)
	s_waitcnt_vscnt null, 0x0
	s_barrier
	buffer_gl0_inv
	scratch_load_b128 v[1:4], v13, off
	s_waitcnt vmcnt(0)
	v_cmp_eq_f64_e32 vcc_lo, 0, v[1:2]
	v_cmp_eq_f64_e64 s3, 0, v[3:4]
	s_delay_alu instid0(VALU_DEP_1) | instskip(NEXT) | instid1(SALU_CYCLE_1)
	s_and_b32 s3, vcc_lo, s3
	s_and_saveexec_b32 s4, s3
	s_cbranch_execz .LBB115_10
; %bb.7:
	v_mov_b32_e32 v1, 0
	s_mov_b32 s5, 0
	ds_load_b32 v2, v1 offset:1664
	s_waitcnt lgkmcnt(0)
	v_readfirstlane_b32 s3, v2
	v_add_nc_u32_e32 v2, 1, v150
	s_delay_alu instid0(VALU_DEP_2) | instskip(NEXT) | instid1(VALU_DEP_1)
	s_cmp_eq_u32 s3, 0
	v_cmp_gt_i32_e32 vcc_lo, s3, v2
	s_cselect_b32 s12, -1, 0
	s_delay_alu instid0(SALU_CYCLE_1) | instskip(NEXT) | instid1(SALU_CYCLE_1)
	s_or_b32 s12, s12, vcc_lo
	s_and_b32 exec_lo, exec_lo, s12
	s_cbranch_execz .LBB115_10
; %bb.8:
	v_mov_b32_e32 v3, s3
.LBB115_9:                              ; =>This Inner Loop Header: Depth=1
	ds_cmpstore_rtn_b32 v3, v1, v2, v3 offset:1664
	s_waitcnt lgkmcnt(0)
	v_cmp_ne_u32_e32 vcc_lo, 0, v3
	v_cmp_le_i32_e64 s3, v3, v2
	s_delay_alu instid0(VALU_DEP_1) | instskip(NEXT) | instid1(SALU_CYCLE_1)
	s_and_b32 s3, vcc_lo, s3
	s_and_b32 s3, exec_lo, s3
	s_delay_alu instid0(SALU_CYCLE_1) | instskip(NEXT) | instid1(SALU_CYCLE_1)
	s_or_b32 s5, s3, s5
	s_and_not1_b32 exec_lo, exec_lo, s5
	s_cbranch_execnz .LBB115_9
.LBB115_10:
	s_or_b32 exec_lo, exec_lo, s4
	v_mov_b32_e32 v1, 0
	s_barrier
	buffer_gl0_inv
	ds_load_b32 v2, v1 offset:1664
	s_and_saveexec_b32 s3, s2
	s_cbranch_execz .LBB115_12
; %bb.11:
	s_lshl_b64 s[4:5], s[10:11], 2
	s_delay_alu instid0(SALU_CYCLE_1)
	s_add_u32 s4, s6, s4
	s_addc_u32 s5, s7, s5
	s_waitcnt lgkmcnt(0)
	global_store_b32 v1, v2, s[4:5]
.LBB115_12:
	s_or_b32 exec_lo, exec_lo, s3
	s_waitcnt lgkmcnt(0)
	v_cmp_ne_u32_e32 vcc_lo, 0, v2
	s_mov_b32 s3, 0
	s_cbranch_vccnz .LBB115_220
; %bb.13:
	v_add_nc_u32_e32 v14, 0, v13
                                        ; implicit-def: $vgpr9_vgpr10
	scratch_load_b128 v[1:4], v14, off
	s_waitcnt vmcnt(0)
	v_mov_b32_e32 v5, v1
	v_cmp_gt_f64_e32 vcc_lo, 0, v[1:2]
	v_xor_b32_e32 v6, 0x80000000, v2
	v_xor_b32_e32 v7, 0x80000000, v4
	s_delay_alu instid0(VALU_DEP_2) | instskip(SKIP_1) | instid1(VALU_DEP_3)
	v_cndmask_b32_e32 v6, v2, v6, vcc_lo
	v_cmp_gt_f64_e32 vcc_lo, 0, v[3:4]
	v_dual_cndmask_b32 v8, v4, v7 :: v_dual_mov_b32 v7, v3
	s_delay_alu instid0(VALU_DEP_1) | instskip(SKIP_1) | instid1(SALU_CYCLE_1)
	v_cmp_ngt_f64_e32 vcc_lo, v[5:6], v[7:8]
                                        ; implicit-def: $vgpr5_vgpr6
	s_and_saveexec_b32 s3, vcc_lo
	s_xor_b32 s3, exec_lo, s3
	s_cbranch_execz .LBB115_15
; %bb.14:
	v_div_scale_f64 v[5:6], null, v[3:4], v[3:4], v[1:2]
	v_div_scale_f64 v[11:12], vcc_lo, v[1:2], v[3:4], v[1:2]
	s_delay_alu instid0(VALU_DEP_2) | instskip(SKIP_2) | instid1(VALU_DEP_1)
	v_rcp_f64_e32 v[7:8], v[5:6]
	s_waitcnt_depctr 0xfff
	v_fma_f64 v[9:10], -v[5:6], v[7:8], 1.0
	v_fma_f64 v[7:8], v[7:8], v[9:10], v[7:8]
	s_delay_alu instid0(VALU_DEP_1) | instskip(NEXT) | instid1(VALU_DEP_1)
	v_fma_f64 v[9:10], -v[5:6], v[7:8], 1.0
	v_fma_f64 v[7:8], v[7:8], v[9:10], v[7:8]
	s_delay_alu instid0(VALU_DEP_1) | instskip(NEXT) | instid1(VALU_DEP_1)
	v_mul_f64 v[9:10], v[11:12], v[7:8]
	v_fma_f64 v[5:6], -v[5:6], v[9:10], v[11:12]
	s_delay_alu instid0(VALU_DEP_1) | instskip(NEXT) | instid1(VALU_DEP_1)
	v_div_fmas_f64 v[5:6], v[5:6], v[7:8], v[9:10]
	v_div_fixup_f64 v[5:6], v[5:6], v[3:4], v[1:2]
	s_delay_alu instid0(VALU_DEP_1) | instskip(NEXT) | instid1(VALU_DEP_1)
	v_fma_f64 v[1:2], v[1:2], v[5:6], v[3:4]
	v_div_scale_f64 v[3:4], null, v[1:2], v[1:2], 1.0
	v_div_scale_f64 v[11:12], vcc_lo, 1.0, v[1:2], 1.0
	s_delay_alu instid0(VALU_DEP_2) | instskip(SKIP_2) | instid1(VALU_DEP_1)
	v_rcp_f64_e32 v[7:8], v[3:4]
	s_waitcnt_depctr 0xfff
	v_fma_f64 v[9:10], -v[3:4], v[7:8], 1.0
	v_fma_f64 v[7:8], v[7:8], v[9:10], v[7:8]
	s_delay_alu instid0(VALU_DEP_1) | instskip(NEXT) | instid1(VALU_DEP_1)
	v_fma_f64 v[9:10], -v[3:4], v[7:8], 1.0
	v_fma_f64 v[7:8], v[7:8], v[9:10], v[7:8]
	s_delay_alu instid0(VALU_DEP_1) | instskip(NEXT) | instid1(VALU_DEP_1)
	v_mul_f64 v[9:10], v[11:12], v[7:8]
	v_fma_f64 v[3:4], -v[3:4], v[9:10], v[11:12]
	s_delay_alu instid0(VALU_DEP_1) | instskip(NEXT) | instid1(VALU_DEP_1)
	v_div_fmas_f64 v[3:4], v[3:4], v[7:8], v[9:10]
	v_div_fixup_f64 v[7:8], v[3:4], v[1:2], 1.0
                                        ; implicit-def: $vgpr1_vgpr2
	s_delay_alu instid0(VALU_DEP_1) | instskip(SKIP_1) | instid1(VALU_DEP_2)
	v_mul_f64 v[5:6], v[5:6], v[7:8]
	v_xor_b32_e32 v8, 0x80000000, v8
	v_xor_b32_e32 v10, 0x80000000, v6
	s_delay_alu instid0(VALU_DEP_3)
	v_mov_b32_e32 v9, v5
.LBB115_15:
	s_and_not1_saveexec_b32 s3, s3
	s_cbranch_execz .LBB115_17
; %bb.16:
	v_div_scale_f64 v[5:6], null, v[1:2], v[1:2], v[3:4]
	v_div_scale_f64 v[11:12], vcc_lo, v[3:4], v[1:2], v[3:4]
	s_delay_alu instid0(VALU_DEP_2) | instskip(SKIP_2) | instid1(VALU_DEP_1)
	v_rcp_f64_e32 v[7:8], v[5:6]
	s_waitcnt_depctr 0xfff
	v_fma_f64 v[9:10], -v[5:6], v[7:8], 1.0
	v_fma_f64 v[7:8], v[7:8], v[9:10], v[7:8]
	s_delay_alu instid0(VALU_DEP_1) | instskip(NEXT) | instid1(VALU_DEP_1)
	v_fma_f64 v[9:10], -v[5:6], v[7:8], 1.0
	v_fma_f64 v[7:8], v[7:8], v[9:10], v[7:8]
	s_delay_alu instid0(VALU_DEP_1) | instskip(NEXT) | instid1(VALU_DEP_1)
	v_mul_f64 v[9:10], v[11:12], v[7:8]
	v_fma_f64 v[5:6], -v[5:6], v[9:10], v[11:12]
	s_delay_alu instid0(VALU_DEP_1) | instskip(NEXT) | instid1(VALU_DEP_1)
	v_div_fmas_f64 v[5:6], v[5:6], v[7:8], v[9:10]
	v_div_fixup_f64 v[7:8], v[5:6], v[1:2], v[3:4]
	s_delay_alu instid0(VALU_DEP_1) | instskip(NEXT) | instid1(VALU_DEP_1)
	v_fma_f64 v[1:2], v[3:4], v[7:8], v[1:2]
	v_div_scale_f64 v[3:4], null, v[1:2], v[1:2], 1.0
	s_delay_alu instid0(VALU_DEP_1) | instskip(SKIP_2) | instid1(VALU_DEP_1)
	v_rcp_f64_e32 v[5:6], v[3:4]
	s_waitcnt_depctr 0xfff
	v_fma_f64 v[9:10], -v[3:4], v[5:6], 1.0
	v_fma_f64 v[5:6], v[5:6], v[9:10], v[5:6]
	s_delay_alu instid0(VALU_DEP_1) | instskip(NEXT) | instid1(VALU_DEP_1)
	v_fma_f64 v[9:10], -v[3:4], v[5:6], 1.0
	v_fma_f64 v[5:6], v[5:6], v[9:10], v[5:6]
	v_div_scale_f64 v[9:10], vcc_lo, 1.0, v[1:2], 1.0
	s_delay_alu instid0(VALU_DEP_1) | instskip(NEXT) | instid1(VALU_DEP_1)
	v_mul_f64 v[11:12], v[9:10], v[5:6]
	v_fma_f64 v[3:4], -v[3:4], v[11:12], v[9:10]
	s_delay_alu instid0(VALU_DEP_1) | instskip(NEXT) | instid1(VALU_DEP_1)
	v_div_fmas_f64 v[3:4], v[3:4], v[5:6], v[11:12]
	v_div_fixup_f64 v[5:6], v[3:4], v[1:2], 1.0
	s_delay_alu instid0(VALU_DEP_1)
	v_mul_f64 v[7:8], v[7:8], -v[5:6]
	v_xor_b32_e32 v10, 0x80000000, v6
	v_mov_b32_e32 v9, v5
.LBB115_17:
	s_or_b32 exec_lo, exec_lo, s3
	scratch_store_b128 v14, v[5:8], off
	scratch_load_b128 v[1:4], v201, off
	v_xor_b32_e32 v12, 0x80000000, v8
	v_mov_b32_e32 v11, v7
	v_add_nc_u32_e32 v5, 0x340, v13
	ds_store_b128 v13, v[9:12]
	s_waitcnt vmcnt(0)
	ds_store_b128 v13, v[1:4] offset:832
	s_waitcnt lgkmcnt(0)
	s_waitcnt_vscnt null, 0x0
	s_barrier
	buffer_gl0_inv
	s_and_saveexec_b32 s3, s2
	s_cbranch_execz .LBB115_19
; %bb.18:
	scratch_load_b128 v[1:4], v14, off
	ds_load_b128 v[6:9], v5
	v_mov_b32_e32 v10, 0
	ds_load_b128 v[15:18], v10 offset:16
	s_waitcnt vmcnt(0) lgkmcnt(1)
	v_mul_f64 v[10:11], v[6:7], v[3:4]
	v_mul_f64 v[3:4], v[8:9], v[3:4]
	s_delay_alu instid0(VALU_DEP_2) | instskip(NEXT) | instid1(VALU_DEP_2)
	v_fma_f64 v[8:9], v[8:9], v[1:2], v[10:11]
	v_fma_f64 v[1:2], v[6:7], v[1:2], -v[3:4]
	s_delay_alu instid0(VALU_DEP_2) | instskip(NEXT) | instid1(VALU_DEP_2)
	v_add_f64 v[3:4], v[8:9], 0
	v_add_f64 v[1:2], v[1:2], 0
	s_waitcnt lgkmcnt(0)
	s_delay_alu instid0(VALU_DEP_2) | instskip(NEXT) | instid1(VALU_DEP_2)
	v_mul_f64 v[6:7], v[3:4], v[17:18]
	v_mul_f64 v[8:9], v[1:2], v[17:18]
	s_delay_alu instid0(VALU_DEP_2) | instskip(NEXT) | instid1(VALU_DEP_2)
	v_fma_f64 v[1:2], v[1:2], v[15:16], -v[6:7]
	v_fma_f64 v[3:4], v[3:4], v[15:16], v[8:9]
	scratch_store_b128 off, v[1:4], off offset:16
.LBB115_19:
	s_or_b32 exec_lo, exec_lo, s3
	s_waitcnt_vscnt null, 0x0
	s_barrier
	buffer_gl0_inv
	scratch_load_b128 v[1:4], v200, off
	s_mov_b32 s3, exec_lo
	s_waitcnt vmcnt(0)
	ds_store_b128 v5, v[1:4]
	s_waitcnt lgkmcnt(0)
	s_barrier
	buffer_gl0_inv
	v_cmpx_gt_u32_e32 2, v150
	s_cbranch_execz .LBB115_23
; %bb.20:
	scratch_load_b128 v[1:4], v14, off
	ds_load_b128 v[6:9], v5
	s_waitcnt vmcnt(0) lgkmcnt(0)
	v_mul_f64 v[10:11], v[8:9], v[3:4]
	v_mul_f64 v[3:4], v[6:7], v[3:4]
	s_delay_alu instid0(VALU_DEP_2) | instskip(NEXT) | instid1(VALU_DEP_2)
	v_fma_f64 v[6:7], v[6:7], v[1:2], -v[10:11]
	v_fma_f64 v[3:4], v[8:9], v[1:2], v[3:4]
	s_delay_alu instid0(VALU_DEP_2) | instskip(NEXT) | instid1(VALU_DEP_2)
	v_add_f64 v[1:2], v[6:7], 0
	v_add_f64 v[3:4], v[3:4], 0
	s_and_saveexec_b32 s4, s2
	s_cbranch_execz .LBB115_22
; %bb.21:
	scratch_load_b128 v[6:9], off, off offset:16
	v_mov_b32_e32 v10, 0
	ds_load_b128 v[15:18], v10 offset:848
	s_waitcnt vmcnt(0) lgkmcnt(0)
	v_mul_f64 v[10:11], v[15:16], v[8:9]
	v_mul_f64 v[8:9], v[17:18], v[8:9]
	s_delay_alu instid0(VALU_DEP_2) | instskip(NEXT) | instid1(VALU_DEP_2)
	v_fma_f64 v[10:11], v[17:18], v[6:7], v[10:11]
	v_fma_f64 v[6:7], v[15:16], v[6:7], -v[8:9]
	s_delay_alu instid0(VALU_DEP_2) | instskip(NEXT) | instid1(VALU_DEP_2)
	v_add_f64 v[3:4], v[3:4], v[10:11]
	v_add_f64 v[1:2], v[1:2], v[6:7]
.LBB115_22:
	s_or_b32 exec_lo, exec_lo, s4
	v_mov_b32_e32 v6, 0
	ds_load_b128 v[6:9], v6 offset:32
	s_waitcnt lgkmcnt(0)
	v_mul_f64 v[10:11], v[3:4], v[8:9]
	v_mul_f64 v[8:9], v[1:2], v[8:9]
	s_delay_alu instid0(VALU_DEP_2) | instskip(NEXT) | instid1(VALU_DEP_2)
	v_fma_f64 v[1:2], v[1:2], v[6:7], -v[10:11]
	v_fma_f64 v[3:4], v[3:4], v[6:7], v[8:9]
	scratch_store_b128 off, v[1:4], off offset:32
.LBB115_23:
	s_or_b32 exec_lo, exec_lo, s3
	s_waitcnt_vscnt null, 0x0
	s_barrier
	buffer_gl0_inv
	scratch_load_b128 v[1:4], v199, off
	v_add_nc_u32_e32 v6, -1, v150
	s_mov_b32 s2, exec_lo
	s_waitcnt vmcnt(0)
	ds_store_b128 v5, v[1:4]
	s_waitcnt lgkmcnt(0)
	s_barrier
	buffer_gl0_inv
	v_cmpx_gt_u32_e32 3, v150
	s_cbranch_execz .LBB115_27
; %bb.24:
	v_dual_mov_b32 v1, 0 :: v_dual_add_nc_u32 v8, 0x340, v13
	v_dual_mov_b32 v2, 0 :: v_dual_add_nc_u32 v7, -1, v150
	v_or_b32_e32 v9, 8, v14
	s_mov_b32 s3, 0
	s_delay_alu instid0(VALU_DEP_2)
	v_dual_mov_b32 v4, v2 :: v_dual_mov_b32 v3, v1
	.p2align	6
.LBB115_25:                             ; =>This Inner Loop Header: Depth=1
	scratch_load_b128 v[15:18], v9, off offset:-8
	ds_load_b128 v[19:22], v8
	v_add_nc_u32_e32 v7, 1, v7
	v_add_nc_u32_e32 v8, 16, v8
	;; [unrolled: 1-line block ×3, first 2 shown]
	s_delay_alu instid0(VALU_DEP_3) | instskip(SKIP_4) | instid1(VALU_DEP_2)
	v_cmp_lt_u32_e32 vcc_lo, 1, v7
	s_or_b32 s3, vcc_lo, s3
	s_waitcnt vmcnt(0) lgkmcnt(0)
	v_mul_f64 v[10:11], v[21:22], v[17:18]
	v_mul_f64 v[17:18], v[19:20], v[17:18]
	v_fma_f64 v[10:11], v[19:20], v[15:16], -v[10:11]
	s_delay_alu instid0(VALU_DEP_2) | instskip(NEXT) | instid1(VALU_DEP_2)
	v_fma_f64 v[15:16], v[21:22], v[15:16], v[17:18]
	v_add_f64 v[3:4], v[3:4], v[10:11]
	s_delay_alu instid0(VALU_DEP_2)
	v_add_f64 v[1:2], v[1:2], v[15:16]
	s_and_not1_b32 exec_lo, exec_lo, s3
	s_cbranch_execnz .LBB115_25
; %bb.26:
	s_or_b32 exec_lo, exec_lo, s3
	v_mov_b32_e32 v7, 0
	ds_load_b128 v[7:10], v7 offset:48
	s_waitcnt lgkmcnt(0)
	v_mul_f64 v[11:12], v[1:2], v[9:10]
	v_mul_f64 v[15:16], v[3:4], v[9:10]
	s_delay_alu instid0(VALU_DEP_2) | instskip(NEXT) | instid1(VALU_DEP_2)
	v_fma_f64 v[9:10], v[3:4], v[7:8], -v[11:12]
	v_fma_f64 v[11:12], v[1:2], v[7:8], v[15:16]
	scratch_store_b128 off, v[9:12], off offset:48
.LBB115_27:
	s_or_b32 exec_lo, exec_lo, s2
	s_waitcnt_vscnt null, 0x0
	s_barrier
	buffer_gl0_inv
	scratch_load_b128 v[1:4], v198, off
	s_mov_b32 s2, exec_lo
	s_waitcnt vmcnt(0)
	ds_store_b128 v5, v[1:4]
	s_waitcnt lgkmcnt(0)
	s_barrier
	buffer_gl0_inv
	v_cmpx_gt_u32_e32 4, v150
	s_cbranch_execz .LBB115_31
; %bb.28:
	v_dual_mov_b32 v1, 0 :: v_dual_add_nc_u32 v8, 0x340, v13
	v_dual_mov_b32 v2, 0 :: v_dual_add_nc_u32 v7, -1, v150
	v_or_b32_e32 v9, 8, v14
	s_mov_b32 s3, 0
	s_delay_alu instid0(VALU_DEP_2)
	v_dual_mov_b32 v4, v2 :: v_dual_mov_b32 v3, v1
	.p2align	6
.LBB115_29:                             ; =>This Inner Loop Header: Depth=1
	scratch_load_b128 v[15:18], v9, off offset:-8
	ds_load_b128 v[19:22], v8
	v_add_nc_u32_e32 v7, 1, v7
	v_add_nc_u32_e32 v8, 16, v8
	;; [unrolled: 1-line block ×3, first 2 shown]
	s_delay_alu instid0(VALU_DEP_3) | instskip(SKIP_4) | instid1(VALU_DEP_2)
	v_cmp_lt_u32_e32 vcc_lo, 2, v7
	s_or_b32 s3, vcc_lo, s3
	s_waitcnt vmcnt(0) lgkmcnt(0)
	v_mul_f64 v[10:11], v[21:22], v[17:18]
	v_mul_f64 v[17:18], v[19:20], v[17:18]
	v_fma_f64 v[10:11], v[19:20], v[15:16], -v[10:11]
	s_delay_alu instid0(VALU_DEP_2) | instskip(NEXT) | instid1(VALU_DEP_2)
	v_fma_f64 v[15:16], v[21:22], v[15:16], v[17:18]
	v_add_f64 v[3:4], v[3:4], v[10:11]
	s_delay_alu instid0(VALU_DEP_2)
	v_add_f64 v[1:2], v[1:2], v[15:16]
	s_and_not1_b32 exec_lo, exec_lo, s3
	s_cbranch_execnz .LBB115_29
; %bb.30:
	s_or_b32 exec_lo, exec_lo, s3
	v_mov_b32_e32 v7, 0
	ds_load_b128 v[7:10], v7 offset:64
	s_waitcnt lgkmcnt(0)
	v_mul_f64 v[11:12], v[1:2], v[9:10]
	v_mul_f64 v[15:16], v[3:4], v[9:10]
	s_delay_alu instid0(VALU_DEP_2) | instskip(NEXT) | instid1(VALU_DEP_2)
	v_fma_f64 v[9:10], v[3:4], v[7:8], -v[11:12]
	v_fma_f64 v[11:12], v[1:2], v[7:8], v[15:16]
	scratch_store_b128 off, v[9:12], off offset:64
.LBB115_31:
	s_or_b32 exec_lo, exec_lo, s2
	s_waitcnt_vscnt null, 0x0
	s_barrier
	buffer_gl0_inv
	scratch_load_b128 v[1:4], v197, off
	s_mov_b32 s2, exec_lo
	s_waitcnt vmcnt(0)
	ds_store_b128 v5, v[1:4]
	s_waitcnt lgkmcnt(0)
	s_barrier
	buffer_gl0_inv
	v_cmpx_gt_u32_e32 5, v150
	s_cbranch_execz .LBB115_35
; %bb.32:
	v_dual_mov_b32 v1, 0 :: v_dual_add_nc_u32 v8, 0x340, v13
	v_dual_mov_b32 v2, 0 :: v_dual_add_nc_u32 v7, -1, v150
	v_or_b32_e32 v9, 8, v14
	s_mov_b32 s3, 0
	s_delay_alu instid0(VALU_DEP_2)
	v_dual_mov_b32 v4, v2 :: v_dual_mov_b32 v3, v1
	.p2align	6
.LBB115_33:                             ; =>This Inner Loop Header: Depth=1
	scratch_load_b128 v[15:18], v9, off offset:-8
	ds_load_b128 v[19:22], v8
	v_add_nc_u32_e32 v7, 1, v7
	v_add_nc_u32_e32 v8, 16, v8
	;; [unrolled: 1-line block ×3, first 2 shown]
	s_delay_alu instid0(VALU_DEP_3) | instskip(SKIP_4) | instid1(VALU_DEP_2)
	v_cmp_lt_u32_e32 vcc_lo, 3, v7
	s_or_b32 s3, vcc_lo, s3
	s_waitcnt vmcnt(0) lgkmcnt(0)
	v_mul_f64 v[10:11], v[21:22], v[17:18]
	v_mul_f64 v[17:18], v[19:20], v[17:18]
	v_fma_f64 v[10:11], v[19:20], v[15:16], -v[10:11]
	s_delay_alu instid0(VALU_DEP_2) | instskip(NEXT) | instid1(VALU_DEP_2)
	v_fma_f64 v[15:16], v[21:22], v[15:16], v[17:18]
	v_add_f64 v[3:4], v[3:4], v[10:11]
	s_delay_alu instid0(VALU_DEP_2)
	v_add_f64 v[1:2], v[1:2], v[15:16]
	s_and_not1_b32 exec_lo, exec_lo, s3
	s_cbranch_execnz .LBB115_33
; %bb.34:
	s_or_b32 exec_lo, exec_lo, s3
	v_mov_b32_e32 v7, 0
	ds_load_b128 v[7:10], v7 offset:80
	s_waitcnt lgkmcnt(0)
	v_mul_f64 v[11:12], v[1:2], v[9:10]
	v_mul_f64 v[15:16], v[3:4], v[9:10]
	s_delay_alu instid0(VALU_DEP_2) | instskip(NEXT) | instid1(VALU_DEP_2)
	v_fma_f64 v[9:10], v[3:4], v[7:8], -v[11:12]
	v_fma_f64 v[11:12], v[1:2], v[7:8], v[15:16]
	scratch_store_b128 off, v[9:12], off offset:80
.LBB115_35:
	s_or_b32 exec_lo, exec_lo, s2
	s_waitcnt_vscnt null, 0x0
	s_barrier
	buffer_gl0_inv
	scratch_load_b128 v[1:4], v196, off
	s_mov_b32 s2, exec_lo
	s_waitcnt vmcnt(0)
	ds_store_b128 v5, v[1:4]
	s_waitcnt lgkmcnt(0)
	s_barrier
	buffer_gl0_inv
	v_cmpx_gt_u32_e32 6, v150
	s_cbranch_execz .LBB115_39
; %bb.36:
	v_dual_mov_b32 v1, 0 :: v_dual_add_nc_u32 v8, 0x340, v13
	v_dual_mov_b32 v2, 0 :: v_dual_add_nc_u32 v7, -1, v150
	v_or_b32_e32 v9, 8, v14
	s_mov_b32 s3, 0
	s_delay_alu instid0(VALU_DEP_2)
	v_dual_mov_b32 v4, v2 :: v_dual_mov_b32 v3, v1
	.p2align	6
.LBB115_37:                             ; =>This Inner Loop Header: Depth=1
	scratch_load_b128 v[15:18], v9, off offset:-8
	ds_load_b128 v[19:22], v8
	v_add_nc_u32_e32 v7, 1, v7
	v_add_nc_u32_e32 v8, 16, v8
	;; [unrolled: 1-line block ×3, first 2 shown]
	s_delay_alu instid0(VALU_DEP_3) | instskip(SKIP_4) | instid1(VALU_DEP_2)
	v_cmp_lt_u32_e32 vcc_lo, 4, v7
	s_or_b32 s3, vcc_lo, s3
	s_waitcnt vmcnt(0) lgkmcnt(0)
	v_mul_f64 v[10:11], v[21:22], v[17:18]
	v_mul_f64 v[17:18], v[19:20], v[17:18]
	v_fma_f64 v[10:11], v[19:20], v[15:16], -v[10:11]
	s_delay_alu instid0(VALU_DEP_2) | instskip(NEXT) | instid1(VALU_DEP_2)
	v_fma_f64 v[15:16], v[21:22], v[15:16], v[17:18]
	v_add_f64 v[3:4], v[3:4], v[10:11]
	s_delay_alu instid0(VALU_DEP_2)
	v_add_f64 v[1:2], v[1:2], v[15:16]
	s_and_not1_b32 exec_lo, exec_lo, s3
	s_cbranch_execnz .LBB115_37
; %bb.38:
	s_or_b32 exec_lo, exec_lo, s3
	v_mov_b32_e32 v7, 0
	ds_load_b128 v[7:10], v7 offset:96
	s_waitcnt lgkmcnt(0)
	v_mul_f64 v[11:12], v[1:2], v[9:10]
	v_mul_f64 v[15:16], v[3:4], v[9:10]
	s_delay_alu instid0(VALU_DEP_2) | instskip(NEXT) | instid1(VALU_DEP_2)
	v_fma_f64 v[9:10], v[3:4], v[7:8], -v[11:12]
	v_fma_f64 v[11:12], v[1:2], v[7:8], v[15:16]
	scratch_store_b128 off, v[9:12], off offset:96
.LBB115_39:
	s_or_b32 exec_lo, exec_lo, s2
	s_waitcnt_vscnt null, 0x0
	s_barrier
	buffer_gl0_inv
	scratch_load_b128 v[1:4], v195, off
	s_mov_b32 s2, exec_lo
	s_waitcnt vmcnt(0)
	ds_store_b128 v5, v[1:4]
	s_waitcnt lgkmcnt(0)
	s_barrier
	buffer_gl0_inv
	v_cmpx_gt_u32_e32 7, v150
	s_cbranch_execz .LBB115_43
; %bb.40:
	v_dual_mov_b32 v1, 0 :: v_dual_add_nc_u32 v8, 0x340, v13
	v_dual_mov_b32 v2, 0 :: v_dual_add_nc_u32 v7, -1, v150
	v_or_b32_e32 v9, 8, v14
	s_mov_b32 s3, 0
	s_delay_alu instid0(VALU_DEP_2)
	v_dual_mov_b32 v4, v2 :: v_dual_mov_b32 v3, v1
	.p2align	6
.LBB115_41:                             ; =>This Inner Loop Header: Depth=1
	scratch_load_b128 v[15:18], v9, off offset:-8
	ds_load_b128 v[19:22], v8
	v_add_nc_u32_e32 v7, 1, v7
	v_add_nc_u32_e32 v8, 16, v8
	;; [unrolled: 1-line block ×3, first 2 shown]
	s_delay_alu instid0(VALU_DEP_3) | instskip(SKIP_4) | instid1(VALU_DEP_2)
	v_cmp_lt_u32_e32 vcc_lo, 5, v7
	s_or_b32 s3, vcc_lo, s3
	s_waitcnt vmcnt(0) lgkmcnt(0)
	v_mul_f64 v[10:11], v[21:22], v[17:18]
	v_mul_f64 v[17:18], v[19:20], v[17:18]
	v_fma_f64 v[10:11], v[19:20], v[15:16], -v[10:11]
	s_delay_alu instid0(VALU_DEP_2) | instskip(NEXT) | instid1(VALU_DEP_2)
	v_fma_f64 v[15:16], v[21:22], v[15:16], v[17:18]
	v_add_f64 v[3:4], v[3:4], v[10:11]
	s_delay_alu instid0(VALU_DEP_2)
	v_add_f64 v[1:2], v[1:2], v[15:16]
	s_and_not1_b32 exec_lo, exec_lo, s3
	s_cbranch_execnz .LBB115_41
; %bb.42:
	s_or_b32 exec_lo, exec_lo, s3
	v_mov_b32_e32 v7, 0
	ds_load_b128 v[7:10], v7 offset:112
	s_waitcnt lgkmcnt(0)
	v_mul_f64 v[11:12], v[1:2], v[9:10]
	v_mul_f64 v[15:16], v[3:4], v[9:10]
	s_delay_alu instid0(VALU_DEP_2) | instskip(NEXT) | instid1(VALU_DEP_2)
	v_fma_f64 v[9:10], v[3:4], v[7:8], -v[11:12]
	v_fma_f64 v[11:12], v[1:2], v[7:8], v[15:16]
	scratch_store_b128 off, v[9:12], off offset:112
.LBB115_43:
	s_or_b32 exec_lo, exec_lo, s2
	s_waitcnt_vscnt null, 0x0
	s_barrier
	buffer_gl0_inv
	scratch_load_b128 v[1:4], v194, off
	s_mov_b32 s2, exec_lo
	s_waitcnt vmcnt(0)
	ds_store_b128 v5, v[1:4]
	s_waitcnt lgkmcnt(0)
	s_barrier
	buffer_gl0_inv
	v_cmpx_gt_u32_e32 8, v150
	s_cbranch_execz .LBB115_47
; %bb.44:
	v_dual_mov_b32 v1, 0 :: v_dual_add_nc_u32 v8, 0x340, v13
	v_dual_mov_b32 v2, 0 :: v_dual_add_nc_u32 v7, -1, v150
	v_or_b32_e32 v9, 8, v14
	s_mov_b32 s3, 0
	s_delay_alu instid0(VALU_DEP_2)
	v_dual_mov_b32 v4, v2 :: v_dual_mov_b32 v3, v1
	.p2align	6
.LBB115_45:                             ; =>This Inner Loop Header: Depth=1
	scratch_load_b128 v[15:18], v9, off offset:-8
	ds_load_b128 v[19:22], v8
	v_add_nc_u32_e32 v7, 1, v7
	v_add_nc_u32_e32 v8, 16, v8
	;; [unrolled: 1-line block ×3, first 2 shown]
	s_delay_alu instid0(VALU_DEP_3) | instskip(SKIP_4) | instid1(VALU_DEP_2)
	v_cmp_lt_u32_e32 vcc_lo, 6, v7
	s_or_b32 s3, vcc_lo, s3
	s_waitcnt vmcnt(0) lgkmcnt(0)
	v_mul_f64 v[10:11], v[21:22], v[17:18]
	v_mul_f64 v[17:18], v[19:20], v[17:18]
	v_fma_f64 v[10:11], v[19:20], v[15:16], -v[10:11]
	s_delay_alu instid0(VALU_DEP_2) | instskip(NEXT) | instid1(VALU_DEP_2)
	v_fma_f64 v[15:16], v[21:22], v[15:16], v[17:18]
	v_add_f64 v[3:4], v[3:4], v[10:11]
	s_delay_alu instid0(VALU_DEP_2)
	v_add_f64 v[1:2], v[1:2], v[15:16]
	s_and_not1_b32 exec_lo, exec_lo, s3
	s_cbranch_execnz .LBB115_45
; %bb.46:
	s_or_b32 exec_lo, exec_lo, s3
	v_mov_b32_e32 v7, 0
	ds_load_b128 v[7:10], v7 offset:128
	s_waitcnt lgkmcnt(0)
	v_mul_f64 v[11:12], v[1:2], v[9:10]
	v_mul_f64 v[15:16], v[3:4], v[9:10]
	s_delay_alu instid0(VALU_DEP_2) | instskip(NEXT) | instid1(VALU_DEP_2)
	v_fma_f64 v[9:10], v[3:4], v[7:8], -v[11:12]
	v_fma_f64 v[11:12], v[1:2], v[7:8], v[15:16]
	scratch_store_b128 off, v[9:12], off offset:128
.LBB115_47:
	s_or_b32 exec_lo, exec_lo, s2
	s_waitcnt_vscnt null, 0x0
	s_barrier
	buffer_gl0_inv
	scratch_load_b128 v[1:4], v193, off
	s_mov_b32 s2, exec_lo
	s_waitcnt vmcnt(0)
	ds_store_b128 v5, v[1:4]
	s_waitcnt lgkmcnt(0)
	s_barrier
	buffer_gl0_inv
	v_cmpx_gt_u32_e32 9, v150
	s_cbranch_execz .LBB115_51
; %bb.48:
	v_dual_mov_b32 v1, 0 :: v_dual_add_nc_u32 v8, 0x340, v13
	v_dual_mov_b32 v2, 0 :: v_dual_add_nc_u32 v7, -1, v150
	v_or_b32_e32 v9, 8, v14
	s_mov_b32 s3, 0
	s_delay_alu instid0(VALU_DEP_2)
	v_dual_mov_b32 v4, v2 :: v_dual_mov_b32 v3, v1
	.p2align	6
.LBB115_49:                             ; =>This Inner Loop Header: Depth=1
	scratch_load_b128 v[15:18], v9, off offset:-8
	ds_load_b128 v[19:22], v8
	v_add_nc_u32_e32 v7, 1, v7
	v_add_nc_u32_e32 v8, 16, v8
	;; [unrolled: 1-line block ×3, first 2 shown]
	s_delay_alu instid0(VALU_DEP_3) | instskip(SKIP_4) | instid1(VALU_DEP_2)
	v_cmp_lt_u32_e32 vcc_lo, 7, v7
	s_or_b32 s3, vcc_lo, s3
	s_waitcnt vmcnt(0) lgkmcnt(0)
	v_mul_f64 v[10:11], v[21:22], v[17:18]
	v_mul_f64 v[17:18], v[19:20], v[17:18]
	v_fma_f64 v[10:11], v[19:20], v[15:16], -v[10:11]
	s_delay_alu instid0(VALU_DEP_2) | instskip(NEXT) | instid1(VALU_DEP_2)
	v_fma_f64 v[15:16], v[21:22], v[15:16], v[17:18]
	v_add_f64 v[3:4], v[3:4], v[10:11]
	s_delay_alu instid0(VALU_DEP_2)
	v_add_f64 v[1:2], v[1:2], v[15:16]
	s_and_not1_b32 exec_lo, exec_lo, s3
	s_cbranch_execnz .LBB115_49
; %bb.50:
	s_or_b32 exec_lo, exec_lo, s3
	v_mov_b32_e32 v7, 0
	ds_load_b128 v[7:10], v7 offset:144
	s_waitcnt lgkmcnt(0)
	v_mul_f64 v[11:12], v[1:2], v[9:10]
	v_mul_f64 v[15:16], v[3:4], v[9:10]
	s_delay_alu instid0(VALU_DEP_2) | instskip(NEXT) | instid1(VALU_DEP_2)
	v_fma_f64 v[9:10], v[3:4], v[7:8], -v[11:12]
	v_fma_f64 v[11:12], v[1:2], v[7:8], v[15:16]
	scratch_store_b128 off, v[9:12], off offset:144
.LBB115_51:
	s_or_b32 exec_lo, exec_lo, s2
	s_waitcnt_vscnt null, 0x0
	s_barrier
	buffer_gl0_inv
	scratch_load_b128 v[1:4], v192, off
	s_mov_b32 s2, exec_lo
	s_waitcnt vmcnt(0)
	ds_store_b128 v5, v[1:4]
	s_waitcnt lgkmcnt(0)
	s_barrier
	buffer_gl0_inv
	v_cmpx_gt_u32_e32 10, v150
	s_cbranch_execz .LBB115_55
; %bb.52:
	v_dual_mov_b32 v1, 0 :: v_dual_add_nc_u32 v8, 0x340, v13
	v_dual_mov_b32 v2, 0 :: v_dual_add_nc_u32 v7, -1, v150
	v_or_b32_e32 v9, 8, v14
	s_mov_b32 s3, 0
	s_delay_alu instid0(VALU_DEP_2)
	v_dual_mov_b32 v4, v2 :: v_dual_mov_b32 v3, v1
	.p2align	6
.LBB115_53:                             ; =>This Inner Loop Header: Depth=1
	scratch_load_b128 v[15:18], v9, off offset:-8
	ds_load_b128 v[19:22], v8
	v_add_nc_u32_e32 v7, 1, v7
	v_add_nc_u32_e32 v8, 16, v8
	;; [unrolled: 1-line block ×3, first 2 shown]
	s_delay_alu instid0(VALU_DEP_3) | instskip(SKIP_4) | instid1(VALU_DEP_2)
	v_cmp_lt_u32_e32 vcc_lo, 8, v7
	s_or_b32 s3, vcc_lo, s3
	s_waitcnt vmcnt(0) lgkmcnt(0)
	v_mul_f64 v[10:11], v[21:22], v[17:18]
	v_mul_f64 v[17:18], v[19:20], v[17:18]
	v_fma_f64 v[10:11], v[19:20], v[15:16], -v[10:11]
	s_delay_alu instid0(VALU_DEP_2) | instskip(NEXT) | instid1(VALU_DEP_2)
	v_fma_f64 v[15:16], v[21:22], v[15:16], v[17:18]
	v_add_f64 v[3:4], v[3:4], v[10:11]
	s_delay_alu instid0(VALU_DEP_2)
	v_add_f64 v[1:2], v[1:2], v[15:16]
	s_and_not1_b32 exec_lo, exec_lo, s3
	s_cbranch_execnz .LBB115_53
; %bb.54:
	s_or_b32 exec_lo, exec_lo, s3
	v_mov_b32_e32 v7, 0
	ds_load_b128 v[7:10], v7 offset:160
	s_waitcnt lgkmcnt(0)
	v_mul_f64 v[11:12], v[1:2], v[9:10]
	v_mul_f64 v[15:16], v[3:4], v[9:10]
	s_delay_alu instid0(VALU_DEP_2) | instskip(NEXT) | instid1(VALU_DEP_2)
	v_fma_f64 v[9:10], v[3:4], v[7:8], -v[11:12]
	v_fma_f64 v[11:12], v[1:2], v[7:8], v[15:16]
	scratch_store_b128 off, v[9:12], off offset:160
.LBB115_55:
	s_or_b32 exec_lo, exec_lo, s2
	s_waitcnt_vscnt null, 0x0
	s_barrier
	buffer_gl0_inv
	scratch_load_b128 v[1:4], v191, off
	s_mov_b32 s2, exec_lo
	s_waitcnt vmcnt(0)
	ds_store_b128 v5, v[1:4]
	s_waitcnt lgkmcnt(0)
	s_barrier
	buffer_gl0_inv
	v_cmpx_gt_u32_e32 11, v150
	s_cbranch_execz .LBB115_59
; %bb.56:
	v_dual_mov_b32 v1, 0 :: v_dual_add_nc_u32 v8, 0x340, v13
	v_dual_mov_b32 v2, 0 :: v_dual_add_nc_u32 v7, -1, v150
	v_or_b32_e32 v9, 8, v14
	s_mov_b32 s3, 0
	s_delay_alu instid0(VALU_DEP_2)
	v_dual_mov_b32 v4, v2 :: v_dual_mov_b32 v3, v1
	.p2align	6
.LBB115_57:                             ; =>This Inner Loop Header: Depth=1
	scratch_load_b128 v[15:18], v9, off offset:-8
	ds_load_b128 v[19:22], v8
	v_add_nc_u32_e32 v7, 1, v7
	v_add_nc_u32_e32 v8, 16, v8
	v_add_nc_u32_e32 v9, 16, v9
	s_delay_alu instid0(VALU_DEP_3) | instskip(SKIP_4) | instid1(VALU_DEP_2)
	v_cmp_lt_u32_e32 vcc_lo, 9, v7
	s_or_b32 s3, vcc_lo, s3
	s_waitcnt vmcnt(0) lgkmcnt(0)
	v_mul_f64 v[10:11], v[21:22], v[17:18]
	v_mul_f64 v[17:18], v[19:20], v[17:18]
	v_fma_f64 v[10:11], v[19:20], v[15:16], -v[10:11]
	s_delay_alu instid0(VALU_DEP_2) | instskip(NEXT) | instid1(VALU_DEP_2)
	v_fma_f64 v[15:16], v[21:22], v[15:16], v[17:18]
	v_add_f64 v[3:4], v[3:4], v[10:11]
	s_delay_alu instid0(VALU_DEP_2)
	v_add_f64 v[1:2], v[1:2], v[15:16]
	s_and_not1_b32 exec_lo, exec_lo, s3
	s_cbranch_execnz .LBB115_57
; %bb.58:
	s_or_b32 exec_lo, exec_lo, s3
	v_mov_b32_e32 v7, 0
	ds_load_b128 v[7:10], v7 offset:176
	s_waitcnt lgkmcnt(0)
	v_mul_f64 v[11:12], v[1:2], v[9:10]
	v_mul_f64 v[15:16], v[3:4], v[9:10]
	s_delay_alu instid0(VALU_DEP_2) | instskip(NEXT) | instid1(VALU_DEP_2)
	v_fma_f64 v[9:10], v[3:4], v[7:8], -v[11:12]
	v_fma_f64 v[11:12], v[1:2], v[7:8], v[15:16]
	scratch_store_b128 off, v[9:12], off offset:176
.LBB115_59:
	s_or_b32 exec_lo, exec_lo, s2
	s_waitcnt_vscnt null, 0x0
	s_barrier
	buffer_gl0_inv
	scratch_load_b128 v[1:4], v190, off
	s_mov_b32 s2, exec_lo
	s_waitcnt vmcnt(0)
	ds_store_b128 v5, v[1:4]
	s_waitcnt lgkmcnt(0)
	s_barrier
	buffer_gl0_inv
	v_cmpx_gt_u32_e32 12, v150
	s_cbranch_execz .LBB115_63
; %bb.60:
	v_dual_mov_b32 v1, 0 :: v_dual_add_nc_u32 v8, 0x340, v13
	v_dual_mov_b32 v2, 0 :: v_dual_add_nc_u32 v7, -1, v150
	v_or_b32_e32 v9, 8, v14
	s_mov_b32 s3, 0
	s_delay_alu instid0(VALU_DEP_2)
	v_dual_mov_b32 v4, v2 :: v_dual_mov_b32 v3, v1
	.p2align	6
.LBB115_61:                             ; =>This Inner Loop Header: Depth=1
	scratch_load_b128 v[15:18], v9, off offset:-8
	ds_load_b128 v[19:22], v8
	v_add_nc_u32_e32 v7, 1, v7
	v_add_nc_u32_e32 v8, 16, v8
	v_add_nc_u32_e32 v9, 16, v9
	s_delay_alu instid0(VALU_DEP_3) | instskip(SKIP_4) | instid1(VALU_DEP_2)
	v_cmp_lt_u32_e32 vcc_lo, 10, v7
	s_or_b32 s3, vcc_lo, s3
	s_waitcnt vmcnt(0) lgkmcnt(0)
	v_mul_f64 v[10:11], v[21:22], v[17:18]
	v_mul_f64 v[17:18], v[19:20], v[17:18]
	v_fma_f64 v[10:11], v[19:20], v[15:16], -v[10:11]
	s_delay_alu instid0(VALU_DEP_2) | instskip(NEXT) | instid1(VALU_DEP_2)
	v_fma_f64 v[15:16], v[21:22], v[15:16], v[17:18]
	v_add_f64 v[3:4], v[3:4], v[10:11]
	s_delay_alu instid0(VALU_DEP_2)
	v_add_f64 v[1:2], v[1:2], v[15:16]
	s_and_not1_b32 exec_lo, exec_lo, s3
	s_cbranch_execnz .LBB115_61
; %bb.62:
	s_or_b32 exec_lo, exec_lo, s3
	v_mov_b32_e32 v7, 0
	ds_load_b128 v[7:10], v7 offset:192
	s_waitcnt lgkmcnt(0)
	v_mul_f64 v[11:12], v[1:2], v[9:10]
	v_mul_f64 v[15:16], v[3:4], v[9:10]
	s_delay_alu instid0(VALU_DEP_2) | instskip(NEXT) | instid1(VALU_DEP_2)
	v_fma_f64 v[9:10], v[3:4], v[7:8], -v[11:12]
	v_fma_f64 v[11:12], v[1:2], v[7:8], v[15:16]
	scratch_store_b128 off, v[9:12], off offset:192
.LBB115_63:
	s_or_b32 exec_lo, exec_lo, s2
	s_waitcnt_vscnt null, 0x0
	s_barrier
	buffer_gl0_inv
	scratch_load_b128 v[1:4], v189, off
	s_mov_b32 s2, exec_lo
	s_waitcnt vmcnt(0)
	ds_store_b128 v5, v[1:4]
	s_waitcnt lgkmcnt(0)
	s_barrier
	buffer_gl0_inv
	v_cmpx_gt_u32_e32 13, v150
	s_cbranch_execz .LBB115_67
; %bb.64:
	v_dual_mov_b32 v1, 0 :: v_dual_add_nc_u32 v8, 0x340, v13
	v_dual_mov_b32 v2, 0 :: v_dual_add_nc_u32 v7, -1, v150
	v_or_b32_e32 v9, 8, v14
	s_mov_b32 s3, 0
	s_delay_alu instid0(VALU_DEP_2)
	v_dual_mov_b32 v4, v2 :: v_dual_mov_b32 v3, v1
	.p2align	6
.LBB115_65:                             ; =>This Inner Loop Header: Depth=1
	scratch_load_b128 v[15:18], v9, off offset:-8
	ds_load_b128 v[19:22], v8
	v_add_nc_u32_e32 v7, 1, v7
	v_add_nc_u32_e32 v8, 16, v8
	;; [unrolled: 1-line block ×3, first 2 shown]
	s_delay_alu instid0(VALU_DEP_3) | instskip(SKIP_4) | instid1(VALU_DEP_2)
	v_cmp_lt_u32_e32 vcc_lo, 11, v7
	s_or_b32 s3, vcc_lo, s3
	s_waitcnt vmcnt(0) lgkmcnt(0)
	v_mul_f64 v[10:11], v[21:22], v[17:18]
	v_mul_f64 v[17:18], v[19:20], v[17:18]
	v_fma_f64 v[10:11], v[19:20], v[15:16], -v[10:11]
	s_delay_alu instid0(VALU_DEP_2) | instskip(NEXT) | instid1(VALU_DEP_2)
	v_fma_f64 v[15:16], v[21:22], v[15:16], v[17:18]
	v_add_f64 v[3:4], v[3:4], v[10:11]
	s_delay_alu instid0(VALU_DEP_2)
	v_add_f64 v[1:2], v[1:2], v[15:16]
	s_and_not1_b32 exec_lo, exec_lo, s3
	s_cbranch_execnz .LBB115_65
; %bb.66:
	s_or_b32 exec_lo, exec_lo, s3
	v_mov_b32_e32 v7, 0
	ds_load_b128 v[7:10], v7 offset:208
	s_waitcnt lgkmcnt(0)
	v_mul_f64 v[11:12], v[1:2], v[9:10]
	v_mul_f64 v[15:16], v[3:4], v[9:10]
	s_delay_alu instid0(VALU_DEP_2) | instskip(NEXT) | instid1(VALU_DEP_2)
	v_fma_f64 v[9:10], v[3:4], v[7:8], -v[11:12]
	v_fma_f64 v[11:12], v[1:2], v[7:8], v[15:16]
	scratch_store_b128 off, v[9:12], off offset:208
.LBB115_67:
	s_or_b32 exec_lo, exec_lo, s2
	s_waitcnt_vscnt null, 0x0
	s_barrier
	buffer_gl0_inv
	scratch_load_b128 v[1:4], v188, off
	s_mov_b32 s2, exec_lo
	s_waitcnt vmcnt(0)
	ds_store_b128 v5, v[1:4]
	s_waitcnt lgkmcnt(0)
	s_barrier
	buffer_gl0_inv
	v_cmpx_gt_u32_e32 14, v150
	s_cbranch_execz .LBB115_71
; %bb.68:
	v_dual_mov_b32 v1, 0 :: v_dual_add_nc_u32 v8, 0x340, v13
	v_dual_mov_b32 v2, 0 :: v_dual_add_nc_u32 v7, -1, v150
	v_or_b32_e32 v9, 8, v14
	s_mov_b32 s3, 0
	s_delay_alu instid0(VALU_DEP_2)
	v_dual_mov_b32 v4, v2 :: v_dual_mov_b32 v3, v1
	.p2align	6
.LBB115_69:                             ; =>This Inner Loop Header: Depth=1
	scratch_load_b128 v[15:18], v9, off offset:-8
	ds_load_b128 v[19:22], v8
	v_add_nc_u32_e32 v7, 1, v7
	v_add_nc_u32_e32 v8, 16, v8
	;; [unrolled: 1-line block ×3, first 2 shown]
	s_delay_alu instid0(VALU_DEP_3) | instskip(SKIP_4) | instid1(VALU_DEP_2)
	v_cmp_lt_u32_e32 vcc_lo, 12, v7
	s_or_b32 s3, vcc_lo, s3
	s_waitcnt vmcnt(0) lgkmcnt(0)
	v_mul_f64 v[10:11], v[21:22], v[17:18]
	v_mul_f64 v[17:18], v[19:20], v[17:18]
	v_fma_f64 v[10:11], v[19:20], v[15:16], -v[10:11]
	s_delay_alu instid0(VALU_DEP_2) | instskip(NEXT) | instid1(VALU_DEP_2)
	v_fma_f64 v[15:16], v[21:22], v[15:16], v[17:18]
	v_add_f64 v[3:4], v[3:4], v[10:11]
	s_delay_alu instid0(VALU_DEP_2)
	v_add_f64 v[1:2], v[1:2], v[15:16]
	s_and_not1_b32 exec_lo, exec_lo, s3
	s_cbranch_execnz .LBB115_69
; %bb.70:
	s_or_b32 exec_lo, exec_lo, s3
	v_mov_b32_e32 v7, 0
	ds_load_b128 v[7:10], v7 offset:224
	s_waitcnt lgkmcnt(0)
	v_mul_f64 v[11:12], v[1:2], v[9:10]
	v_mul_f64 v[15:16], v[3:4], v[9:10]
	s_delay_alu instid0(VALU_DEP_2) | instskip(NEXT) | instid1(VALU_DEP_2)
	v_fma_f64 v[9:10], v[3:4], v[7:8], -v[11:12]
	v_fma_f64 v[11:12], v[1:2], v[7:8], v[15:16]
	scratch_store_b128 off, v[9:12], off offset:224
.LBB115_71:
	s_or_b32 exec_lo, exec_lo, s2
	s_waitcnt_vscnt null, 0x0
	s_barrier
	buffer_gl0_inv
	scratch_load_b128 v[1:4], v187, off
	s_mov_b32 s2, exec_lo
	s_waitcnt vmcnt(0)
	ds_store_b128 v5, v[1:4]
	s_waitcnt lgkmcnt(0)
	s_barrier
	buffer_gl0_inv
	v_cmpx_gt_u32_e32 15, v150
	s_cbranch_execz .LBB115_75
; %bb.72:
	v_dual_mov_b32 v1, 0 :: v_dual_add_nc_u32 v8, 0x340, v13
	v_dual_mov_b32 v2, 0 :: v_dual_add_nc_u32 v7, -1, v150
	v_or_b32_e32 v9, 8, v14
	s_mov_b32 s3, 0
	s_delay_alu instid0(VALU_DEP_2)
	v_dual_mov_b32 v4, v2 :: v_dual_mov_b32 v3, v1
	.p2align	6
.LBB115_73:                             ; =>This Inner Loop Header: Depth=1
	scratch_load_b128 v[15:18], v9, off offset:-8
	ds_load_b128 v[19:22], v8
	v_add_nc_u32_e32 v7, 1, v7
	v_add_nc_u32_e32 v8, 16, v8
	;; [unrolled: 1-line block ×3, first 2 shown]
	s_delay_alu instid0(VALU_DEP_3) | instskip(SKIP_4) | instid1(VALU_DEP_2)
	v_cmp_lt_u32_e32 vcc_lo, 13, v7
	s_or_b32 s3, vcc_lo, s3
	s_waitcnt vmcnt(0) lgkmcnt(0)
	v_mul_f64 v[10:11], v[21:22], v[17:18]
	v_mul_f64 v[17:18], v[19:20], v[17:18]
	v_fma_f64 v[10:11], v[19:20], v[15:16], -v[10:11]
	s_delay_alu instid0(VALU_DEP_2) | instskip(NEXT) | instid1(VALU_DEP_2)
	v_fma_f64 v[15:16], v[21:22], v[15:16], v[17:18]
	v_add_f64 v[3:4], v[3:4], v[10:11]
	s_delay_alu instid0(VALU_DEP_2)
	v_add_f64 v[1:2], v[1:2], v[15:16]
	s_and_not1_b32 exec_lo, exec_lo, s3
	s_cbranch_execnz .LBB115_73
; %bb.74:
	s_or_b32 exec_lo, exec_lo, s3
	v_mov_b32_e32 v7, 0
	ds_load_b128 v[7:10], v7 offset:240
	s_waitcnt lgkmcnt(0)
	v_mul_f64 v[11:12], v[1:2], v[9:10]
	v_mul_f64 v[15:16], v[3:4], v[9:10]
	s_delay_alu instid0(VALU_DEP_2) | instskip(NEXT) | instid1(VALU_DEP_2)
	v_fma_f64 v[9:10], v[3:4], v[7:8], -v[11:12]
	v_fma_f64 v[11:12], v[1:2], v[7:8], v[15:16]
	scratch_store_b128 off, v[9:12], off offset:240
.LBB115_75:
	s_or_b32 exec_lo, exec_lo, s2
	s_waitcnt_vscnt null, 0x0
	s_barrier
	buffer_gl0_inv
	scratch_load_b128 v[1:4], v186, off
	s_mov_b32 s2, exec_lo
	s_waitcnt vmcnt(0)
	ds_store_b128 v5, v[1:4]
	s_waitcnt lgkmcnt(0)
	s_barrier
	buffer_gl0_inv
	v_cmpx_gt_u32_e32 16, v150
	s_cbranch_execz .LBB115_79
; %bb.76:
	v_dual_mov_b32 v1, 0 :: v_dual_add_nc_u32 v8, 0x340, v13
	v_dual_mov_b32 v2, 0 :: v_dual_add_nc_u32 v7, -1, v150
	v_or_b32_e32 v9, 8, v14
	s_mov_b32 s3, 0
	s_delay_alu instid0(VALU_DEP_2)
	v_dual_mov_b32 v4, v2 :: v_dual_mov_b32 v3, v1
	.p2align	6
.LBB115_77:                             ; =>This Inner Loop Header: Depth=1
	scratch_load_b128 v[15:18], v9, off offset:-8
	ds_load_b128 v[19:22], v8
	v_add_nc_u32_e32 v7, 1, v7
	v_add_nc_u32_e32 v8, 16, v8
	;; [unrolled: 1-line block ×3, first 2 shown]
	s_delay_alu instid0(VALU_DEP_3) | instskip(SKIP_4) | instid1(VALU_DEP_2)
	v_cmp_lt_u32_e32 vcc_lo, 14, v7
	s_or_b32 s3, vcc_lo, s3
	s_waitcnt vmcnt(0) lgkmcnt(0)
	v_mul_f64 v[10:11], v[21:22], v[17:18]
	v_mul_f64 v[17:18], v[19:20], v[17:18]
	v_fma_f64 v[10:11], v[19:20], v[15:16], -v[10:11]
	s_delay_alu instid0(VALU_DEP_2) | instskip(NEXT) | instid1(VALU_DEP_2)
	v_fma_f64 v[15:16], v[21:22], v[15:16], v[17:18]
	v_add_f64 v[3:4], v[3:4], v[10:11]
	s_delay_alu instid0(VALU_DEP_2)
	v_add_f64 v[1:2], v[1:2], v[15:16]
	s_and_not1_b32 exec_lo, exec_lo, s3
	s_cbranch_execnz .LBB115_77
; %bb.78:
	s_or_b32 exec_lo, exec_lo, s3
	v_mov_b32_e32 v7, 0
	ds_load_b128 v[7:10], v7 offset:256
	s_waitcnt lgkmcnt(0)
	v_mul_f64 v[11:12], v[1:2], v[9:10]
	v_mul_f64 v[15:16], v[3:4], v[9:10]
	s_delay_alu instid0(VALU_DEP_2) | instskip(NEXT) | instid1(VALU_DEP_2)
	v_fma_f64 v[9:10], v[3:4], v[7:8], -v[11:12]
	v_fma_f64 v[11:12], v[1:2], v[7:8], v[15:16]
	scratch_store_b128 off, v[9:12], off offset:256
.LBB115_79:
	s_or_b32 exec_lo, exec_lo, s2
	s_waitcnt_vscnt null, 0x0
	s_barrier
	buffer_gl0_inv
	scratch_load_b128 v[1:4], v185, off
	s_mov_b32 s2, exec_lo
	s_waitcnt vmcnt(0)
	ds_store_b128 v5, v[1:4]
	s_waitcnt lgkmcnt(0)
	s_barrier
	buffer_gl0_inv
	v_cmpx_gt_u32_e32 17, v150
	s_cbranch_execz .LBB115_83
; %bb.80:
	v_dual_mov_b32 v1, 0 :: v_dual_add_nc_u32 v8, 0x340, v13
	v_dual_mov_b32 v2, 0 :: v_dual_add_nc_u32 v7, -1, v150
	v_or_b32_e32 v9, 8, v14
	s_mov_b32 s3, 0
	s_delay_alu instid0(VALU_DEP_2)
	v_dual_mov_b32 v4, v2 :: v_dual_mov_b32 v3, v1
	.p2align	6
.LBB115_81:                             ; =>This Inner Loop Header: Depth=1
	scratch_load_b128 v[15:18], v9, off offset:-8
	ds_load_b128 v[19:22], v8
	v_add_nc_u32_e32 v7, 1, v7
	v_add_nc_u32_e32 v8, 16, v8
	;; [unrolled: 1-line block ×3, first 2 shown]
	s_delay_alu instid0(VALU_DEP_3) | instskip(SKIP_4) | instid1(VALU_DEP_2)
	v_cmp_lt_u32_e32 vcc_lo, 15, v7
	s_or_b32 s3, vcc_lo, s3
	s_waitcnt vmcnt(0) lgkmcnt(0)
	v_mul_f64 v[10:11], v[21:22], v[17:18]
	v_mul_f64 v[17:18], v[19:20], v[17:18]
	v_fma_f64 v[10:11], v[19:20], v[15:16], -v[10:11]
	s_delay_alu instid0(VALU_DEP_2) | instskip(NEXT) | instid1(VALU_DEP_2)
	v_fma_f64 v[15:16], v[21:22], v[15:16], v[17:18]
	v_add_f64 v[3:4], v[3:4], v[10:11]
	s_delay_alu instid0(VALU_DEP_2)
	v_add_f64 v[1:2], v[1:2], v[15:16]
	s_and_not1_b32 exec_lo, exec_lo, s3
	s_cbranch_execnz .LBB115_81
; %bb.82:
	s_or_b32 exec_lo, exec_lo, s3
	v_mov_b32_e32 v7, 0
	ds_load_b128 v[7:10], v7 offset:272
	s_waitcnt lgkmcnt(0)
	v_mul_f64 v[11:12], v[1:2], v[9:10]
	v_mul_f64 v[15:16], v[3:4], v[9:10]
	s_delay_alu instid0(VALU_DEP_2) | instskip(NEXT) | instid1(VALU_DEP_2)
	v_fma_f64 v[9:10], v[3:4], v[7:8], -v[11:12]
	v_fma_f64 v[11:12], v[1:2], v[7:8], v[15:16]
	scratch_store_b128 off, v[9:12], off offset:272
.LBB115_83:
	s_or_b32 exec_lo, exec_lo, s2
	s_waitcnt_vscnt null, 0x0
	s_barrier
	buffer_gl0_inv
	scratch_load_b128 v[1:4], v184, off
	s_mov_b32 s2, exec_lo
	s_waitcnt vmcnt(0)
	ds_store_b128 v5, v[1:4]
	s_waitcnt lgkmcnt(0)
	s_barrier
	buffer_gl0_inv
	v_cmpx_gt_u32_e32 18, v150
	s_cbranch_execz .LBB115_87
; %bb.84:
	v_dual_mov_b32 v1, 0 :: v_dual_add_nc_u32 v8, 0x340, v13
	v_dual_mov_b32 v2, 0 :: v_dual_add_nc_u32 v7, -1, v150
	v_or_b32_e32 v9, 8, v14
	s_mov_b32 s3, 0
	s_delay_alu instid0(VALU_DEP_2)
	v_dual_mov_b32 v4, v2 :: v_dual_mov_b32 v3, v1
	.p2align	6
.LBB115_85:                             ; =>This Inner Loop Header: Depth=1
	scratch_load_b128 v[15:18], v9, off offset:-8
	ds_load_b128 v[19:22], v8
	v_add_nc_u32_e32 v7, 1, v7
	v_add_nc_u32_e32 v8, 16, v8
	;; [unrolled: 1-line block ×3, first 2 shown]
	s_delay_alu instid0(VALU_DEP_3) | instskip(SKIP_4) | instid1(VALU_DEP_2)
	v_cmp_lt_u32_e32 vcc_lo, 16, v7
	s_or_b32 s3, vcc_lo, s3
	s_waitcnt vmcnt(0) lgkmcnt(0)
	v_mul_f64 v[10:11], v[21:22], v[17:18]
	v_mul_f64 v[17:18], v[19:20], v[17:18]
	v_fma_f64 v[10:11], v[19:20], v[15:16], -v[10:11]
	s_delay_alu instid0(VALU_DEP_2) | instskip(NEXT) | instid1(VALU_DEP_2)
	v_fma_f64 v[15:16], v[21:22], v[15:16], v[17:18]
	v_add_f64 v[3:4], v[3:4], v[10:11]
	s_delay_alu instid0(VALU_DEP_2)
	v_add_f64 v[1:2], v[1:2], v[15:16]
	s_and_not1_b32 exec_lo, exec_lo, s3
	s_cbranch_execnz .LBB115_85
; %bb.86:
	s_or_b32 exec_lo, exec_lo, s3
	v_mov_b32_e32 v7, 0
	ds_load_b128 v[7:10], v7 offset:288
	s_waitcnt lgkmcnt(0)
	v_mul_f64 v[11:12], v[1:2], v[9:10]
	v_mul_f64 v[15:16], v[3:4], v[9:10]
	s_delay_alu instid0(VALU_DEP_2) | instskip(NEXT) | instid1(VALU_DEP_2)
	v_fma_f64 v[9:10], v[3:4], v[7:8], -v[11:12]
	v_fma_f64 v[11:12], v[1:2], v[7:8], v[15:16]
	scratch_store_b128 off, v[9:12], off offset:288
.LBB115_87:
	s_or_b32 exec_lo, exec_lo, s2
	s_waitcnt_vscnt null, 0x0
	s_barrier
	buffer_gl0_inv
	scratch_load_b128 v[1:4], v183, off
	s_mov_b32 s2, exec_lo
	s_waitcnt vmcnt(0)
	ds_store_b128 v5, v[1:4]
	s_waitcnt lgkmcnt(0)
	s_barrier
	buffer_gl0_inv
	v_cmpx_gt_u32_e32 19, v150
	s_cbranch_execz .LBB115_91
; %bb.88:
	v_dual_mov_b32 v1, 0 :: v_dual_add_nc_u32 v8, 0x340, v13
	v_dual_mov_b32 v2, 0 :: v_dual_add_nc_u32 v7, -1, v150
	v_or_b32_e32 v9, 8, v14
	s_mov_b32 s3, 0
	s_delay_alu instid0(VALU_DEP_2)
	v_dual_mov_b32 v4, v2 :: v_dual_mov_b32 v3, v1
	.p2align	6
.LBB115_89:                             ; =>This Inner Loop Header: Depth=1
	scratch_load_b128 v[15:18], v9, off offset:-8
	ds_load_b128 v[19:22], v8
	v_add_nc_u32_e32 v7, 1, v7
	v_add_nc_u32_e32 v8, 16, v8
	;; [unrolled: 1-line block ×3, first 2 shown]
	s_delay_alu instid0(VALU_DEP_3) | instskip(SKIP_4) | instid1(VALU_DEP_2)
	v_cmp_lt_u32_e32 vcc_lo, 17, v7
	s_or_b32 s3, vcc_lo, s3
	s_waitcnt vmcnt(0) lgkmcnt(0)
	v_mul_f64 v[10:11], v[21:22], v[17:18]
	v_mul_f64 v[17:18], v[19:20], v[17:18]
	v_fma_f64 v[10:11], v[19:20], v[15:16], -v[10:11]
	s_delay_alu instid0(VALU_DEP_2) | instskip(NEXT) | instid1(VALU_DEP_2)
	v_fma_f64 v[15:16], v[21:22], v[15:16], v[17:18]
	v_add_f64 v[3:4], v[3:4], v[10:11]
	s_delay_alu instid0(VALU_DEP_2)
	v_add_f64 v[1:2], v[1:2], v[15:16]
	s_and_not1_b32 exec_lo, exec_lo, s3
	s_cbranch_execnz .LBB115_89
; %bb.90:
	s_or_b32 exec_lo, exec_lo, s3
	v_mov_b32_e32 v7, 0
	ds_load_b128 v[7:10], v7 offset:304
	s_waitcnt lgkmcnt(0)
	v_mul_f64 v[11:12], v[1:2], v[9:10]
	v_mul_f64 v[15:16], v[3:4], v[9:10]
	s_delay_alu instid0(VALU_DEP_2) | instskip(NEXT) | instid1(VALU_DEP_2)
	v_fma_f64 v[9:10], v[3:4], v[7:8], -v[11:12]
	v_fma_f64 v[11:12], v[1:2], v[7:8], v[15:16]
	scratch_store_b128 off, v[9:12], off offset:304
.LBB115_91:
	s_or_b32 exec_lo, exec_lo, s2
	s_waitcnt_vscnt null, 0x0
	s_barrier
	buffer_gl0_inv
	scratch_load_b128 v[1:4], v182, off
	s_mov_b32 s2, exec_lo
	s_waitcnt vmcnt(0)
	ds_store_b128 v5, v[1:4]
	s_waitcnt lgkmcnt(0)
	s_barrier
	buffer_gl0_inv
	v_cmpx_gt_u32_e32 20, v150
	s_cbranch_execz .LBB115_95
; %bb.92:
	v_dual_mov_b32 v1, 0 :: v_dual_add_nc_u32 v8, 0x340, v13
	v_dual_mov_b32 v2, 0 :: v_dual_add_nc_u32 v7, -1, v150
	v_or_b32_e32 v9, 8, v14
	s_mov_b32 s3, 0
	s_delay_alu instid0(VALU_DEP_2)
	v_dual_mov_b32 v4, v2 :: v_dual_mov_b32 v3, v1
	.p2align	6
.LBB115_93:                             ; =>This Inner Loop Header: Depth=1
	scratch_load_b128 v[15:18], v9, off offset:-8
	ds_load_b128 v[19:22], v8
	v_add_nc_u32_e32 v7, 1, v7
	v_add_nc_u32_e32 v8, 16, v8
	;; [unrolled: 1-line block ×3, first 2 shown]
	s_delay_alu instid0(VALU_DEP_3) | instskip(SKIP_4) | instid1(VALU_DEP_2)
	v_cmp_lt_u32_e32 vcc_lo, 18, v7
	s_or_b32 s3, vcc_lo, s3
	s_waitcnt vmcnt(0) lgkmcnt(0)
	v_mul_f64 v[10:11], v[21:22], v[17:18]
	v_mul_f64 v[17:18], v[19:20], v[17:18]
	v_fma_f64 v[10:11], v[19:20], v[15:16], -v[10:11]
	s_delay_alu instid0(VALU_DEP_2) | instskip(NEXT) | instid1(VALU_DEP_2)
	v_fma_f64 v[15:16], v[21:22], v[15:16], v[17:18]
	v_add_f64 v[3:4], v[3:4], v[10:11]
	s_delay_alu instid0(VALU_DEP_2)
	v_add_f64 v[1:2], v[1:2], v[15:16]
	s_and_not1_b32 exec_lo, exec_lo, s3
	s_cbranch_execnz .LBB115_93
; %bb.94:
	s_or_b32 exec_lo, exec_lo, s3
	v_mov_b32_e32 v7, 0
	ds_load_b128 v[7:10], v7 offset:320
	s_waitcnt lgkmcnt(0)
	v_mul_f64 v[11:12], v[1:2], v[9:10]
	v_mul_f64 v[15:16], v[3:4], v[9:10]
	s_delay_alu instid0(VALU_DEP_2) | instskip(NEXT) | instid1(VALU_DEP_2)
	v_fma_f64 v[9:10], v[3:4], v[7:8], -v[11:12]
	v_fma_f64 v[11:12], v[1:2], v[7:8], v[15:16]
	scratch_store_b128 off, v[9:12], off offset:320
.LBB115_95:
	s_or_b32 exec_lo, exec_lo, s2
	s_waitcnt_vscnt null, 0x0
	s_barrier
	buffer_gl0_inv
	scratch_load_b128 v[1:4], v181, off
	s_mov_b32 s2, exec_lo
	s_waitcnt vmcnt(0)
	ds_store_b128 v5, v[1:4]
	s_waitcnt lgkmcnt(0)
	s_barrier
	buffer_gl0_inv
	v_cmpx_gt_u32_e32 21, v150
	s_cbranch_execz .LBB115_99
; %bb.96:
	v_dual_mov_b32 v1, 0 :: v_dual_add_nc_u32 v8, 0x340, v13
	v_dual_mov_b32 v2, 0 :: v_dual_add_nc_u32 v7, -1, v150
	v_or_b32_e32 v9, 8, v14
	s_mov_b32 s3, 0
	s_delay_alu instid0(VALU_DEP_2)
	v_dual_mov_b32 v4, v2 :: v_dual_mov_b32 v3, v1
	.p2align	6
.LBB115_97:                             ; =>This Inner Loop Header: Depth=1
	scratch_load_b128 v[15:18], v9, off offset:-8
	ds_load_b128 v[19:22], v8
	v_add_nc_u32_e32 v7, 1, v7
	v_add_nc_u32_e32 v8, 16, v8
	;; [unrolled: 1-line block ×3, first 2 shown]
	s_delay_alu instid0(VALU_DEP_3) | instskip(SKIP_4) | instid1(VALU_DEP_2)
	v_cmp_lt_u32_e32 vcc_lo, 19, v7
	s_or_b32 s3, vcc_lo, s3
	s_waitcnt vmcnt(0) lgkmcnt(0)
	v_mul_f64 v[10:11], v[21:22], v[17:18]
	v_mul_f64 v[17:18], v[19:20], v[17:18]
	v_fma_f64 v[10:11], v[19:20], v[15:16], -v[10:11]
	s_delay_alu instid0(VALU_DEP_2) | instskip(NEXT) | instid1(VALU_DEP_2)
	v_fma_f64 v[15:16], v[21:22], v[15:16], v[17:18]
	v_add_f64 v[3:4], v[3:4], v[10:11]
	s_delay_alu instid0(VALU_DEP_2)
	v_add_f64 v[1:2], v[1:2], v[15:16]
	s_and_not1_b32 exec_lo, exec_lo, s3
	s_cbranch_execnz .LBB115_97
; %bb.98:
	s_or_b32 exec_lo, exec_lo, s3
	v_mov_b32_e32 v7, 0
	ds_load_b128 v[7:10], v7 offset:336
	s_waitcnt lgkmcnt(0)
	v_mul_f64 v[11:12], v[1:2], v[9:10]
	v_mul_f64 v[15:16], v[3:4], v[9:10]
	s_delay_alu instid0(VALU_DEP_2) | instskip(NEXT) | instid1(VALU_DEP_2)
	v_fma_f64 v[9:10], v[3:4], v[7:8], -v[11:12]
	v_fma_f64 v[11:12], v[1:2], v[7:8], v[15:16]
	scratch_store_b128 off, v[9:12], off offset:336
.LBB115_99:
	s_or_b32 exec_lo, exec_lo, s2
	s_waitcnt_vscnt null, 0x0
	s_barrier
	buffer_gl0_inv
	scratch_load_b128 v[1:4], v180, off
	s_mov_b32 s2, exec_lo
	s_waitcnt vmcnt(0)
	ds_store_b128 v5, v[1:4]
	s_waitcnt lgkmcnt(0)
	s_barrier
	buffer_gl0_inv
	v_cmpx_gt_u32_e32 22, v150
	s_cbranch_execz .LBB115_103
; %bb.100:
	v_dual_mov_b32 v1, 0 :: v_dual_add_nc_u32 v8, 0x340, v13
	v_dual_mov_b32 v2, 0 :: v_dual_add_nc_u32 v7, -1, v150
	v_or_b32_e32 v9, 8, v14
	s_mov_b32 s3, 0
	s_delay_alu instid0(VALU_DEP_2)
	v_dual_mov_b32 v4, v2 :: v_dual_mov_b32 v3, v1
	.p2align	6
.LBB115_101:                            ; =>This Inner Loop Header: Depth=1
	scratch_load_b128 v[15:18], v9, off offset:-8
	ds_load_b128 v[19:22], v8
	v_add_nc_u32_e32 v7, 1, v7
	v_add_nc_u32_e32 v8, 16, v8
	;; [unrolled: 1-line block ×3, first 2 shown]
	s_delay_alu instid0(VALU_DEP_3) | instskip(SKIP_4) | instid1(VALU_DEP_2)
	v_cmp_lt_u32_e32 vcc_lo, 20, v7
	s_or_b32 s3, vcc_lo, s3
	s_waitcnt vmcnt(0) lgkmcnt(0)
	v_mul_f64 v[10:11], v[21:22], v[17:18]
	v_mul_f64 v[17:18], v[19:20], v[17:18]
	v_fma_f64 v[10:11], v[19:20], v[15:16], -v[10:11]
	s_delay_alu instid0(VALU_DEP_2) | instskip(NEXT) | instid1(VALU_DEP_2)
	v_fma_f64 v[15:16], v[21:22], v[15:16], v[17:18]
	v_add_f64 v[3:4], v[3:4], v[10:11]
	s_delay_alu instid0(VALU_DEP_2)
	v_add_f64 v[1:2], v[1:2], v[15:16]
	s_and_not1_b32 exec_lo, exec_lo, s3
	s_cbranch_execnz .LBB115_101
; %bb.102:
	s_or_b32 exec_lo, exec_lo, s3
	v_mov_b32_e32 v7, 0
	ds_load_b128 v[7:10], v7 offset:352
	s_waitcnt lgkmcnt(0)
	v_mul_f64 v[11:12], v[1:2], v[9:10]
	v_mul_f64 v[15:16], v[3:4], v[9:10]
	s_delay_alu instid0(VALU_DEP_2) | instskip(NEXT) | instid1(VALU_DEP_2)
	v_fma_f64 v[9:10], v[3:4], v[7:8], -v[11:12]
	v_fma_f64 v[11:12], v[1:2], v[7:8], v[15:16]
	scratch_store_b128 off, v[9:12], off offset:352
.LBB115_103:
	s_or_b32 exec_lo, exec_lo, s2
	s_waitcnt_vscnt null, 0x0
	s_barrier
	buffer_gl0_inv
	scratch_load_b128 v[1:4], v179, off
	s_mov_b32 s2, exec_lo
	s_waitcnt vmcnt(0)
	ds_store_b128 v5, v[1:4]
	s_waitcnt lgkmcnt(0)
	s_barrier
	buffer_gl0_inv
	v_cmpx_gt_u32_e32 23, v150
	s_cbranch_execz .LBB115_107
; %bb.104:
	v_dual_mov_b32 v1, 0 :: v_dual_add_nc_u32 v8, 0x340, v13
	v_dual_mov_b32 v2, 0 :: v_dual_add_nc_u32 v7, -1, v150
	v_or_b32_e32 v9, 8, v14
	s_mov_b32 s3, 0
	s_delay_alu instid0(VALU_DEP_2)
	v_dual_mov_b32 v4, v2 :: v_dual_mov_b32 v3, v1
	.p2align	6
.LBB115_105:                            ; =>This Inner Loop Header: Depth=1
	scratch_load_b128 v[15:18], v9, off offset:-8
	ds_load_b128 v[19:22], v8
	v_add_nc_u32_e32 v7, 1, v7
	v_add_nc_u32_e32 v8, 16, v8
	;; [unrolled: 1-line block ×3, first 2 shown]
	s_delay_alu instid0(VALU_DEP_3) | instskip(SKIP_4) | instid1(VALU_DEP_2)
	v_cmp_lt_u32_e32 vcc_lo, 21, v7
	s_or_b32 s3, vcc_lo, s3
	s_waitcnt vmcnt(0) lgkmcnt(0)
	v_mul_f64 v[10:11], v[21:22], v[17:18]
	v_mul_f64 v[17:18], v[19:20], v[17:18]
	v_fma_f64 v[10:11], v[19:20], v[15:16], -v[10:11]
	s_delay_alu instid0(VALU_DEP_2) | instskip(NEXT) | instid1(VALU_DEP_2)
	v_fma_f64 v[15:16], v[21:22], v[15:16], v[17:18]
	v_add_f64 v[3:4], v[3:4], v[10:11]
	s_delay_alu instid0(VALU_DEP_2)
	v_add_f64 v[1:2], v[1:2], v[15:16]
	s_and_not1_b32 exec_lo, exec_lo, s3
	s_cbranch_execnz .LBB115_105
; %bb.106:
	s_or_b32 exec_lo, exec_lo, s3
	v_mov_b32_e32 v7, 0
	ds_load_b128 v[7:10], v7 offset:368
	s_waitcnt lgkmcnt(0)
	v_mul_f64 v[11:12], v[1:2], v[9:10]
	v_mul_f64 v[15:16], v[3:4], v[9:10]
	s_delay_alu instid0(VALU_DEP_2) | instskip(NEXT) | instid1(VALU_DEP_2)
	v_fma_f64 v[9:10], v[3:4], v[7:8], -v[11:12]
	v_fma_f64 v[11:12], v[1:2], v[7:8], v[15:16]
	scratch_store_b128 off, v[9:12], off offset:368
.LBB115_107:
	s_or_b32 exec_lo, exec_lo, s2
	s_waitcnt_vscnt null, 0x0
	s_barrier
	buffer_gl0_inv
	scratch_load_b128 v[1:4], v178, off
	s_mov_b32 s2, exec_lo
	s_waitcnt vmcnt(0)
	ds_store_b128 v5, v[1:4]
	s_waitcnt lgkmcnt(0)
	s_barrier
	buffer_gl0_inv
	v_cmpx_gt_u32_e32 24, v150
	s_cbranch_execz .LBB115_111
; %bb.108:
	v_dual_mov_b32 v1, 0 :: v_dual_add_nc_u32 v8, 0x340, v13
	v_dual_mov_b32 v2, 0 :: v_dual_add_nc_u32 v7, -1, v150
	v_or_b32_e32 v9, 8, v14
	s_mov_b32 s3, 0
	s_delay_alu instid0(VALU_DEP_2)
	v_dual_mov_b32 v4, v2 :: v_dual_mov_b32 v3, v1
	.p2align	6
.LBB115_109:                            ; =>This Inner Loop Header: Depth=1
	scratch_load_b128 v[15:18], v9, off offset:-8
	ds_load_b128 v[19:22], v8
	v_add_nc_u32_e32 v7, 1, v7
	v_add_nc_u32_e32 v8, 16, v8
	;; [unrolled: 1-line block ×3, first 2 shown]
	s_delay_alu instid0(VALU_DEP_3) | instskip(SKIP_4) | instid1(VALU_DEP_2)
	v_cmp_lt_u32_e32 vcc_lo, 22, v7
	s_or_b32 s3, vcc_lo, s3
	s_waitcnt vmcnt(0) lgkmcnt(0)
	v_mul_f64 v[10:11], v[21:22], v[17:18]
	v_mul_f64 v[17:18], v[19:20], v[17:18]
	v_fma_f64 v[10:11], v[19:20], v[15:16], -v[10:11]
	s_delay_alu instid0(VALU_DEP_2) | instskip(NEXT) | instid1(VALU_DEP_2)
	v_fma_f64 v[15:16], v[21:22], v[15:16], v[17:18]
	v_add_f64 v[3:4], v[3:4], v[10:11]
	s_delay_alu instid0(VALU_DEP_2)
	v_add_f64 v[1:2], v[1:2], v[15:16]
	s_and_not1_b32 exec_lo, exec_lo, s3
	s_cbranch_execnz .LBB115_109
; %bb.110:
	s_or_b32 exec_lo, exec_lo, s3
	v_mov_b32_e32 v7, 0
	ds_load_b128 v[7:10], v7 offset:384
	s_waitcnt lgkmcnt(0)
	v_mul_f64 v[11:12], v[1:2], v[9:10]
	v_mul_f64 v[15:16], v[3:4], v[9:10]
	s_delay_alu instid0(VALU_DEP_2) | instskip(NEXT) | instid1(VALU_DEP_2)
	v_fma_f64 v[9:10], v[3:4], v[7:8], -v[11:12]
	v_fma_f64 v[11:12], v[1:2], v[7:8], v[15:16]
	scratch_store_b128 off, v[9:12], off offset:384
.LBB115_111:
	s_or_b32 exec_lo, exec_lo, s2
	s_waitcnt_vscnt null, 0x0
	s_barrier
	buffer_gl0_inv
	scratch_load_b128 v[1:4], v177, off
	s_mov_b32 s2, exec_lo
	s_waitcnt vmcnt(0)
	ds_store_b128 v5, v[1:4]
	s_waitcnt lgkmcnt(0)
	s_barrier
	buffer_gl0_inv
	v_cmpx_gt_u32_e32 25, v150
	s_cbranch_execz .LBB115_115
; %bb.112:
	v_dual_mov_b32 v1, 0 :: v_dual_add_nc_u32 v8, 0x340, v13
	v_dual_mov_b32 v2, 0 :: v_dual_add_nc_u32 v7, -1, v150
	v_or_b32_e32 v9, 8, v14
	s_mov_b32 s3, 0
	s_delay_alu instid0(VALU_DEP_2)
	v_dual_mov_b32 v4, v2 :: v_dual_mov_b32 v3, v1
	.p2align	6
.LBB115_113:                            ; =>This Inner Loop Header: Depth=1
	scratch_load_b128 v[15:18], v9, off offset:-8
	ds_load_b128 v[19:22], v8
	v_add_nc_u32_e32 v7, 1, v7
	v_add_nc_u32_e32 v8, 16, v8
	;; [unrolled: 1-line block ×3, first 2 shown]
	s_delay_alu instid0(VALU_DEP_3) | instskip(SKIP_4) | instid1(VALU_DEP_2)
	v_cmp_lt_u32_e32 vcc_lo, 23, v7
	s_or_b32 s3, vcc_lo, s3
	s_waitcnt vmcnt(0) lgkmcnt(0)
	v_mul_f64 v[10:11], v[21:22], v[17:18]
	v_mul_f64 v[17:18], v[19:20], v[17:18]
	v_fma_f64 v[10:11], v[19:20], v[15:16], -v[10:11]
	s_delay_alu instid0(VALU_DEP_2) | instskip(NEXT) | instid1(VALU_DEP_2)
	v_fma_f64 v[15:16], v[21:22], v[15:16], v[17:18]
	v_add_f64 v[3:4], v[3:4], v[10:11]
	s_delay_alu instid0(VALU_DEP_2)
	v_add_f64 v[1:2], v[1:2], v[15:16]
	s_and_not1_b32 exec_lo, exec_lo, s3
	s_cbranch_execnz .LBB115_113
; %bb.114:
	s_or_b32 exec_lo, exec_lo, s3
	v_mov_b32_e32 v7, 0
	ds_load_b128 v[7:10], v7 offset:400
	s_waitcnt lgkmcnt(0)
	v_mul_f64 v[11:12], v[1:2], v[9:10]
	v_mul_f64 v[15:16], v[3:4], v[9:10]
	s_delay_alu instid0(VALU_DEP_2) | instskip(NEXT) | instid1(VALU_DEP_2)
	v_fma_f64 v[9:10], v[3:4], v[7:8], -v[11:12]
	v_fma_f64 v[11:12], v[1:2], v[7:8], v[15:16]
	scratch_store_b128 off, v[9:12], off offset:400
.LBB115_115:
	s_or_b32 exec_lo, exec_lo, s2
	s_waitcnt_vscnt null, 0x0
	s_barrier
	buffer_gl0_inv
	scratch_load_b128 v[1:4], v176, off
	s_mov_b32 s2, exec_lo
	s_waitcnt vmcnt(0)
	ds_store_b128 v5, v[1:4]
	s_waitcnt lgkmcnt(0)
	s_barrier
	buffer_gl0_inv
	v_cmpx_gt_u32_e32 26, v150
	s_cbranch_execz .LBB115_119
; %bb.116:
	v_dual_mov_b32 v1, 0 :: v_dual_add_nc_u32 v8, 0x340, v13
	v_dual_mov_b32 v2, 0 :: v_dual_add_nc_u32 v7, -1, v150
	v_or_b32_e32 v9, 8, v14
	s_mov_b32 s3, 0
	s_delay_alu instid0(VALU_DEP_2)
	v_dual_mov_b32 v4, v2 :: v_dual_mov_b32 v3, v1
	.p2align	6
.LBB115_117:                            ; =>This Inner Loop Header: Depth=1
	scratch_load_b128 v[15:18], v9, off offset:-8
	ds_load_b128 v[19:22], v8
	v_add_nc_u32_e32 v7, 1, v7
	v_add_nc_u32_e32 v8, 16, v8
	;; [unrolled: 1-line block ×3, first 2 shown]
	s_delay_alu instid0(VALU_DEP_3) | instskip(SKIP_4) | instid1(VALU_DEP_2)
	v_cmp_lt_u32_e32 vcc_lo, 24, v7
	s_or_b32 s3, vcc_lo, s3
	s_waitcnt vmcnt(0) lgkmcnt(0)
	v_mul_f64 v[10:11], v[21:22], v[17:18]
	v_mul_f64 v[17:18], v[19:20], v[17:18]
	v_fma_f64 v[10:11], v[19:20], v[15:16], -v[10:11]
	s_delay_alu instid0(VALU_DEP_2) | instskip(NEXT) | instid1(VALU_DEP_2)
	v_fma_f64 v[15:16], v[21:22], v[15:16], v[17:18]
	v_add_f64 v[3:4], v[3:4], v[10:11]
	s_delay_alu instid0(VALU_DEP_2)
	v_add_f64 v[1:2], v[1:2], v[15:16]
	s_and_not1_b32 exec_lo, exec_lo, s3
	s_cbranch_execnz .LBB115_117
; %bb.118:
	s_or_b32 exec_lo, exec_lo, s3
	v_mov_b32_e32 v7, 0
	ds_load_b128 v[7:10], v7 offset:416
	s_waitcnt lgkmcnt(0)
	v_mul_f64 v[11:12], v[1:2], v[9:10]
	v_mul_f64 v[15:16], v[3:4], v[9:10]
	s_delay_alu instid0(VALU_DEP_2) | instskip(NEXT) | instid1(VALU_DEP_2)
	v_fma_f64 v[9:10], v[3:4], v[7:8], -v[11:12]
	v_fma_f64 v[11:12], v[1:2], v[7:8], v[15:16]
	scratch_store_b128 off, v[9:12], off offset:416
.LBB115_119:
	s_or_b32 exec_lo, exec_lo, s2
	s_waitcnt_vscnt null, 0x0
	s_barrier
	buffer_gl0_inv
	scratch_load_b128 v[1:4], v175, off
	s_mov_b32 s2, exec_lo
	s_waitcnt vmcnt(0)
	ds_store_b128 v5, v[1:4]
	s_waitcnt lgkmcnt(0)
	s_barrier
	buffer_gl0_inv
	v_cmpx_gt_u32_e32 27, v150
	s_cbranch_execz .LBB115_123
; %bb.120:
	v_dual_mov_b32 v1, 0 :: v_dual_add_nc_u32 v8, 0x340, v13
	v_dual_mov_b32 v2, 0 :: v_dual_add_nc_u32 v7, -1, v150
	v_or_b32_e32 v9, 8, v14
	s_mov_b32 s3, 0
	s_delay_alu instid0(VALU_DEP_2)
	v_dual_mov_b32 v4, v2 :: v_dual_mov_b32 v3, v1
	.p2align	6
.LBB115_121:                            ; =>This Inner Loop Header: Depth=1
	scratch_load_b128 v[15:18], v9, off offset:-8
	ds_load_b128 v[19:22], v8
	v_add_nc_u32_e32 v7, 1, v7
	v_add_nc_u32_e32 v8, 16, v8
	;; [unrolled: 1-line block ×3, first 2 shown]
	s_delay_alu instid0(VALU_DEP_3) | instskip(SKIP_4) | instid1(VALU_DEP_2)
	v_cmp_lt_u32_e32 vcc_lo, 25, v7
	s_or_b32 s3, vcc_lo, s3
	s_waitcnt vmcnt(0) lgkmcnt(0)
	v_mul_f64 v[10:11], v[21:22], v[17:18]
	v_mul_f64 v[17:18], v[19:20], v[17:18]
	v_fma_f64 v[10:11], v[19:20], v[15:16], -v[10:11]
	s_delay_alu instid0(VALU_DEP_2) | instskip(NEXT) | instid1(VALU_DEP_2)
	v_fma_f64 v[15:16], v[21:22], v[15:16], v[17:18]
	v_add_f64 v[3:4], v[3:4], v[10:11]
	s_delay_alu instid0(VALU_DEP_2)
	v_add_f64 v[1:2], v[1:2], v[15:16]
	s_and_not1_b32 exec_lo, exec_lo, s3
	s_cbranch_execnz .LBB115_121
; %bb.122:
	s_or_b32 exec_lo, exec_lo, s3
	v_mov_b32_e32 v7, 0
	ds_load_b128 v[7:10], v7 offset:432
	s_waitcnt lgkmcnt(0)
	v_mul_f64 v[11:12], v[1:2], v[9:10]
	v_mul_f64 v[15:16], v[3:4], v[9:10]
	s_delay_alu instid0(VALU_DEP_2) | instskip(NEXT) | instid1(VALU_DEP_2)
	v_fma_f64 v[9:10], v[3:4], v[7:8], -v[11:12]
	v_fma_f64 v[11:12], v[1:2], v[7:8], v[15:16]
	scratch_store_b128 off, v[9:12], off offset:432
.LBB115_123:
	s_or_b32 exec_lo, exec_lo, s2
	s_waitcnt_vscnt null, 0x0
	s_barrier
	buffer_gl0_inv
	scratch_load_b128 v[1:4], v174, off
	s_mov_b32 s2, exec_lo
	s_waitcnt vmcnt(0)
	ds_store_b128 v5, v[1:4]
	s_waitcnt lgkmcnt(0)
	s_barrier
	buffer_gl0_inv
	v_cmpx_gt_u32_e32 28, v150
	s_cbranch_execz .LBB115_127
; %bb.124:
	v_dual_mov_b32 v1, 0 :: v_dual_add_nc_u32 v8, 0x340, v13
	v_dual_mov_b32 v2, 0 :: v_dual_add_nc_u32 v7, -1, v150
	v_or_b32_e32 v9, 8, v14
	s_mov_b32 s3, 0
	s_delay_alu instid0(VALU_DEP_2)
	v_dual_mov_b32 v4, v2 :: v_dual_mov_b32 v3, v1
	.p2align	6
.LBB115_125:                            ; =>This Inner Loop Header: Depth=1
	scratch_load_b128 v[15:18], v9, off offset:-8
	ds_load_b128 v[19:22], v8
	v_add_nc_u32_e32 v7, 1, v7
	v_add_nc_u32_e32 v8, 16, v8
	;; [unrolled: 1-line block ×3, first 2 shown]
	s_delay_alu instid0(VALU_DEP_3) | instskip(SKIP_4) | instid1(VALU_DEP_2)
	v_cmp_lt_u32_e32 vcc_lo, 26, v7
	s_or_b32 s3, vcc_lo, s3
	s_waitcnt vmcnt(0) lgkmcnt(0)
	v_mul_f64 v[10:11], v[21:22], v[17:18]
	v_mul_f64 v[17:18], v[19:20], v[17:18]
	v_fma_f64 v[10:11], v[19:20], v[15:16], -v[10:11]
	s_delay_alu instid0(VALU_DEP_2) | instskip(NEXT) | instid1(VALU_DEP_2)
	v_fma_f64 v[15:16], v[21:22], v[15:16], v[17:18]
	v_add_f64 v[3:4], v[3:4], v[10:11]
	s_delay_alu instid0(VALU_DEP_2)
	v_add_f64 v[1:2], v[1:2], v[15:16]
	s_and_not1_b32 exec_lo, exec_lo, s3
	s_cbranch_execnz .LBB115_125
; %bb.126:
	s_or_b32 exec_lo, exec_lo, s3
	v_mov_b32_e32 v7, 0
	ds_load_b128 v[7:10], v7 offset:448
	s_waitcnt lgkmcnt(0)
	v_mul_f64 v[11:12], v[1:2], v[9:10]
	v_mul_f64 v[15:16], v[3:4], v[9:10]
	s_delay_alu instid0(VALU_DEP_2) | instskip(NEXT) | instid1(VALU_DEP_2)
	v_fma_f64 v[9:10], v[3:4], v[7:8], -v[11:12]
	v_fma_f64 v[11:12], v[1:2], v[7:8], v[15:16]
	scratch_store_b128 off, v[9:12], off offset:448
.LBB115_127:
	s_or_b32 exec_lo, exec_lo, s2
	s_waitcnt_vscnt null, 0x0
	s_barrier
	buffer_gl0_inv
	scratch_load_b128 v[1:4], v173, off
	s_mov_b32 s2, exec_lo
	s_waitcnt vmcnt(0)
	ds_store_b128 v5, v[1:4]
	s_waitcnt lgkmcnt(0)
	s_barrier
	buffer_gl0_inv
	v_cmpx_gt_u32_e32 29, v150
	s_cbranch_execz .LBB115_131
; %bb.128:
	v_dual_mov_b32 v1, 0 :: v_dual_add_nc_u32 v8, 0x340, v13
	v_dual_mov_b32 v2, 0 :: v_dual_add_nc_u32 v7, -1, v150
	v_or_b32_e32 v9, 8, v14
	s_mov_b32 s3, 0
	s_delay_alu instid0(VALU_DEP_2)
	v_dual_mov_b32 v4, v2 :: v_dual_mov_b32 v3, v1
	.p2align	6
.LBB115_129:                            ; =>This Inner Loop Header: Depth=1
	scratch_load_b128 v[15:18], v9, off offset:-8
	ds_load_b128 v[19:22], v8
	v_add_nc_u32_e32 v7, 1, v7
	v_add_nc_u32_e32 v8, 16, v8
	v_add_nc_u32_e32 v9, 16, v9
	s_delay_alu instid0(VALU_DEP_3) | instskip(SKIP_4) | instid1(VALU_DEP_2)
	v_cmp_lt_u32_e32 vcc_lo, 27, v7
	s_or_b32 s3, vcc_lo, s3
	s_waitcnt vmcnt(0) lgkmcnt(0)
	v_mul_f64 v[10:11], v[21:22], v[17:18]
	v_mul_f64 v[17:18], v[19:20], v[17:18]
	v_fma_f64 v[10:11], v[19:20], v[15:16], -v[10:11]
	s_delay_alu instid0(VALU_DEP_2) | instskip(NEXT) | instid1(VALU_DEP_2)
	v_fma_f64 v[15:16], v[21:22], v[15:16], v[17:18]
	v_add_f64 v[3:4], v[3:4], v[10:11]
	s_delay_alu instid0(VALU_DEP_2)
	v_add_f64 v[1:2], v[1:2], v[15:16]
	s_and_not1_b32 exec_lo, exec_lo, s3
	s_cbranch_execnz .LBB115_129
; %bb.130:
	s_or_b32 exec_lo, exec_lo, s3
	v_mov_b32_e32 v7, 0
	ds_load_b128 v[7:10], v7 offset:464
	s_waitcnt lgkmcnt(0)
	v_mul_f64 v[11:12], v[1:2], v[9:10]
	v_mul_f64 v[15:16], v[3:4], v[9:10]
	s_delay_alu instid0(VALU_DEP_2) | instskip(NEXT) | instid1(VALU_DEP_2)
	v_fma_f64 v[9:10], v[3:4], v[7:8], -v[11:12]
	v_fma_f64 v[11:12], v[1:2], v[7:8], v[15:16]
	scratch_store_b128 off, v[9:12], off offset:464
.LBB115_131:
	s_or_b32 exec_lo, exec_lo, s2
	s_waitcnt_vscnt null, 0x0
	s_barrier
	buffer_gl0_inv
	scratch_load_b128 v[1:4], v171, off
	s_mov_b32 s2, exec_lo
	s_waitcnt vmcnt(0)
	ds_store_b128 v5, v[1:4]
	s_waitcnt lgkmcnt(0)
	s_barrier
	buffer_gl0_inv
	v_cmpx_gt_u32_e32 30, v150
	s_cbranch_execz .LBB115_135
; %bb.132:
	v_dual_mov_b32 v1, 0 :: v_dual_add_nc_u32 v8, 0x340, v13
	v_dual_mov_b32 v2, 0 :: v_dual_add_nc_u32 v7, -1, v150
	v_or_b32_e32 v9, 8, v14
	s_mov_b32 s3, 0
	s_delay_alu instid0(VALU_DEP_2)
	v_dual_mov_b32 v4, v2 :: v_dual_mov_b32 v3, v1
	.p2align	6
.LBB115_133:                            ; =>This Inner Loop Header: Depth=1
	scratch_load_b128 v[15:18], v9, off offset:-8
	ds_load_b128 v[19:22], v8
	v_add_nc_u32_e32 v7, 1, v7
	v_add_nc_u32_e32 v8, 16, v8
	;; [unrolled: 1-line block ×3, first 2 shown]
	s_delay_alu instid0(VALU_DEP_3) | instskip(SKIP_4) | instid1(VALU_DEP_2)
	v_cmp_lt_u32_e32 vcc_lo, 28, v7
	s_or_b32 s3, vcc_lo, s3
	s_waitcnt vmcnt(0) lgkmcnt(0)
	v_mul_f64 v[10:11], v[21:22], v[17:18]
	v_mul_f64 v[17:18], v[19:20], v[17:18]
	v_fma_f64 v[10:11], v[19:20], v[15:16], -v[10:11]
	s_delay_alu instid0(VALU_DEP_2) | instskip(NEXT) | instid1(VALU_DEP_2)
	v_fma_f64 v[15:16], v[21:22], v[15:16], v[17:18]
	v_add_f64 v[3:4], v[3:4], v[10:11]
	s_delay_alu instid0(VALU_DEP_2)
	v_add_f64 v[1:2], v[1:2], v[15:16]
	s_and_not1_b32 exec_lo, exec_lo, s3
	s_cbranch_execnz .LBB115_133
; %bb.134:
	s_or_b32 exec_lo, exec_lo, s3
	v_mov_b32_e32 v7, 0
	ds_load_b128 v[7:10], v7 offset:480
	s_waitcnt lgkmcnt(0)
	v_mul_f64 v[11:12], v[1:2], v[9:10]
	v_mul_f64 v[15:16], v[3:4], v[9:10]
	s_delay_alu instid0(VALU_DEP_2) | instskip(NEXT) | instid1(VALU_DEP_2)
	v_fma_f64 v[9:10], v[3:4], v[7:8], -v[11:12]
	v_fma_f64 v[11:12], v[1:2], v[7:8], v[15:16]
	scratch_store_b128 off, v[9:12], off offset:480
.LBB115_135:
	s_or_b32 exec_lo, exec_lo, s2
	s_waitcnt_vscnt null, 0x0
	s_barrier
	buffer_gl0_inv
	scratch_load_b128 v[1:4], v216, off
	s_mov_b32 s2, exec_lo
	s_waitcnt vmcnt(0)
	ds_store_b128 v5, v[1:4]
	s_waitcnt lgkmcnt(0)
	s_barrier
	buffer_gl0_inv
	v_cmpx_gt_u32_e32 31, v150
	s_cbranch_execz .LBB115_139
; %bb.136:
	v_dual_mov_b32 v1, 0 :: v_dual_add_nc_u32 v8, 0x340, v13
	v_dual_mov_b32 v2, 0 :: v_dual_add_nc_u32 v7, -1, v150
	v_or_b32_e32 v9, 8, v14
	s_mov_b32 s3, 0
	s_delay_alu instid0(VALU_DEP_2)
	v_dual_mov_b32 v4, v2 :: v_dual_mov_b32 v3, v1
	.p2align	6
.LBB115_137:                            ; =>This Inner Loop Header: Depth=1
	scratch_load_b128 v[15:18], v9, off offset:-8
	ds_load_b128 v[19:22], v8
	v_add_nc_u32_e32 v7, 1, v7
	v_add_nc_u32_e32 v8, 16, v8
	;; [unrolled: 1-line block ×3, first 2 shown]
	s_delay_alu instid0(VALU_DEP_3) | instskip(SKIP_4) | instid1(VALU_DEP_2)
	v_cmp_lt_u32_e32 vcc_lo, 29, v7
	s_or_b32 s3, vcc_lo, s3
	s_waitcnt vmcnt(0) lgkmcnt(0)
	v_mul_f64 v[10:11], v[21:22], v[17:18]
	v_mul_f64 v[17:18], v[19:20], v[17:18]
	v_fma_f64 v[10:11], v[19:20], v[15:16], -v[10:11]
	s_delay_alu instid0(VALU_DEP_2) | instskip(NEXT) | instid1(VALU_DEP_2)
	v_fma_f64 v[15:16], v[21:22], v[15:16], v[17:18]
	v_add_f64 v[3:4], v[3:4], v[10:11]
	s_delay_alu instid0(VALU_DEP_2)
	v_add_f64 v[1:2], v[1:2], v[15:16]
	s_and_not1_b32 exec_lo, exec_lo, s3
	s_cbranch_execnz .LBB115_137
; %bb.138:
	s_or_b32 exec_lo, exec_lo, s3
	v_mov_b32_e32 v7, 0
	ds_load_b128 v[7:10], v7 offset:496
	s_waitcnt lgkmcnt(0)
	v_mul_f64 v[11:12], v[1:2], v[9:10]
	v_mul_f64 v[15:16], v[3:4], v[9:10]
	s_delay_alu instid0(VALU_DEP_2) | instskip(NEXT) | instid1(VALU_DEP_2)
	v_fma_f64 v[9:10], v[3:4], v[7:8], -v[11:12]
	v_fma_f64 v[11:12], v[1:2], v[7:8], v[15:16]
	scratch_store_b128 off, v[9:12], off offset:496
.LBB115_139:
	s_or_b32 exec_lo, exec_lo, s2
	s_waitcnt_vscnt null, 0x0
	s_barrier
	buffer_gl0_inv
	scratch_load_b128 v[1:4], v215, off
	s_mov_b32 s2, exec_lo
	s_waitcnt vmcnt(0)
	ds_store_b128 v5, v[1:4]
	s_waitcnt lgkmcnt(0)
	s_barrier
	buffer_gl0_inv
	v_cmpx_gt_u32_e32 32, v150
	s_cbranch_execz .LBB115_143
; %bb.140:
	v_dual_mov_b32 v1, 0 :: v_dual_add_nc_u32 v8, 0x340, v13
	v_dual_mov_b32 v2, 0 :: v_dual_add_nc_u32 v7, -1, v150
	v_or_b32_e32 v9, 8, v14
	s_mov_b32 s3, 0
	s_delay_alu instid0(VALU_DEP_2)
	v_dual_mov_b32 v4, v2 :: v_dual_mov_b32 v3, v1
	.p2align	6
.LBB115_141:                            ; =>This Inner Loop Header: Depth=1
	scratch_load_b128 v[15:18], v9, off offset:-8
	ds_load_b128 v[19:22], v8
	v_add_nc_u32_e32 v7, 1, v7
	v_add_nc_u32_e32 v8, 16, v8
	v_add_nc_u32_e32 v9, 16, v9
	s_delay_alu instid0(VALU_DEP_3) | instskip(SKIP_4) | instid1(VALU_DEP_2)
	v_cmp_lt_u32_e32 vcc_lo, 30, v7
	s_or_b32 s3, vcc_lo, s3
	s_waitcnt vmcnt(0) lgkmcnt(0)
	v_mul_f64 v[10:11], v[21:22], v[17:18]
	v_mul_f64 v[17:18], v[19:20], v[17:18]
	v_fma_f64 v[10:11], v[19:20], v[15:16], -v[10:11]
	s_delay_alu instid0(VALU_DEP_2) | instskip(NEXT) | instid1(VALU_DEP_2)
	v_fma_f64 v[15:16], v[21:22], v[15:16], v[17:18]
	v_add_f64 v[3:4], v[3:4], v[10:11]
	s_delay_alu instid0(VALU_DEP_2)
	v_add_f64 v[1:2], v[1:2], v[15:16]
	s_and_not1_b32 exec_lo, exec_lo, s3
	s_cbranch_execnz .LBB115_141
; %bb.142:
	s_or_b32 exec_lo, exec_lo, s3
	v_mov_b32_e32 v7, 0
	ds_load_b128 v[7:10], v7 offset:512
	s_waitcnt lgkmcnt(0)
	v_mul_f64 v[11:12], v[1:2], v[9:10]
	v_mul_f64 v[15:16], v[3:4], v[9:10]
	s_delay_alu instid0(VALU_DEP_2) | instskip(NEXT) | instid1(VALU_DEP_2)
	v_fma_f64 v[9:10], v[3:4], v[7:8], -v[11:12]
	v_fma_f64 v[11:12], v[1:2], v[7:8], v[15:16]
	scratch_store_b128 off, v[9:12], off offset:512
.LBB115_143:
	s_or_b32 exec_lo, exec_lo, s2
	s_waitcnt_vscnt null, 0x0
	s_barrier
	buffer_gl0_inv
	scratch_load_b128 v[1:4], v214, off
	s_mov_b32 s2, exec_lo
	s_waitcnt vmcnt(0)
	ds_store_b128 v5, v[1:4]
	s_waitcnt lgkmcnt(0)
	s_barrier
	buffer_gl0_inv
	v_cmpx_gt_u32_e32 33, v150
	s_cbranch_execz .LBB115_147
; %bb.144:
	v_dual_mov_b32 v1, 0 :: v_dual_add_nc_u32 v8, 0x340, v13
	v_dual_mov_b32 v2, 0 :: v_dual_add_nc_u32 v7, -1, v150
	v_or_b32_e32 v9, 8, v14
	s_mov_b32 s3, 0
	s_delay_alu instid0(VALU_DEP_2)
	v_dual_mov_b32 v4, v2 :: v_dual_mov_b32 v3, v1
	.p2align	6
.LBB115_145:                            ; =>This Inner Loop Header: Depth=1
	scratch_load_b128 v[15:18], v9, off offset:-8
	ds_load_b128 v[19:22], v8
	v_add_nc_u32_e32 v7, 1, v7
	v_add_nc_u32_e32 v8, 16, v8
	;; [unrolled: 1-line block ×3, first 2 shown]
	s_delay_alu instid0(VALU_DEP_3) | instskip(SKIP_4) | instid1(VALU_DEP_2)
	v_cmp_lt_u32_e32 vcc_lo, 31, v7
	s_or_b32 s3, vcc_lo, s3
	s_waitcnt vmcnt(0) lgkmcnt(0)
	v_mul_f64 v[10:11], v[21:22], v[17:18]
	v_mul_f64 v[17:18], v[19:20], v[17:18]
	v_fma_f64 v[10:11], v[19:20], v[15:16], -v[10:11]
	s_delay_alu instid0(VALU_DEP_2) | instskip(NEXT) | instid1(VALU_DEP_2)
	v_fma_f64 v[15:16], v[21:22], v[15:16], v[17:18]
	v_add_f64 v[3:4], v[3:4], v[10:11]
	s_delay_alu instid0(VALU_DEP_2)
	v_add_f64 v[1:2], v[1:2], v[15:16]
	s_and_not1_b32 exec_lo, exec_lo, s3
	s_cbranch_execnz .LBB115_145
; %bb.146:
	s_or_b32 exec_lo, exec_lo, s3
	v_mov_b32_e32 v7, 0
	ds_load_b128 v[7:10], v7 offset:528
	s_waitcnt lgkmcnt(0)
	v_mul_f64 v[11:12], v[1:2], v[9:10]
	v_mul_f64 v[15:16], v[3:4], v[9:10]
	s_delay_alu instid0(VALU_DEP_2) | instskip(NEXT) | instid1(VALU_DEP_2)
	v_fma_f64 v[9:10], v[3:4], v[7:8], -v[11:12]
	v_fma_f64 v[11:12], v[1:2], v[7:8], v[15:16]
	scratch_store_b128 off, v[9:12], off offset:528
.LBB115_147:
	s_or_b32 exec_lo, exec_lo, s2
	s_waitcnt_vscnt null, 0x0
	s_barrier
	buffer_gl0_inv
	scratch_load_b128 v[1:4], v213, off
	s_mov_b32 s2, exec_lo
	s_waitcnt vmcnt(0)
	ds_store_b128 v5, v[1:4]
	s_waitcnt lgkmcnt(0)
	s_barrier
	buffer_gl0_inv
	v_cmpx_gt_u32_e32 34, v150
	s_cbranch_execz .LBB115_151
; %bb.148:
	v_dual_mov_b32 v1, 0 :: v_dual_add_nc_u32 v8, 0x340, v13
	v_dual_mov_b32 v2, 0 :: v_dual_add_nc_u32 v7, -1, v150
	v_or_b32_e32 v9, 8, v14
	s_mov_b32 s3, 0
	s_delay_alu instid0(VALU_DEP_2)
	v_dual_mov_b32 v4, v2 :: v_dual_mov_b32 v3, v1
	.p2align	6
.LBB115_149:                            ; =>This Inner Loop Header: Depth=1
	scratch_load_b128 v[15:18], v9, off offset:-8
	ds_load_b128 v[19:22], v8
	v_add_nc_u32_e32 v7, 1, v7
	v_add_nc_u32_e32 v8, 16, v8
	v_add_nc_u32_e32 v9, 16, v9
	s_delay_alu instid0(VALU_DEP_3) | instskip(SKIP_4) | instid1(VALU_DEP_2)
	v_cmp_lt_u32_e32 vcc_lo, 32, v7
	s_or_b32 s3, vcc_lo, s3
	s_waitcnt vmcnt(0) lgkmcnt(0)
	v_mul_f64 v[10:11], v[21:22], v[17:18]
	v_mul_f64 v[17:18], v[19:20], v[17:18]
	v_fma_f64 v[10:11], v[19:20], v[15:16], -v[10:11]
	s_delay_alu instid0(VALU_DEP_2) | instskip(NEXT) | instid1(VALU_DEP_2)
	v_fma_f64 v[15:16], v[21:22], v[15:16], v[17:18]
	v_add_f64 v[3:4], v[3:4], v[10:11]
	s_delay_alu instid0(VALU_DEP_2)
	v_add_f64 v[1:2], v[1:2], v[15:16]
	s_and_not1_b32 exec_lo, exec_lo, s3
	s_cbranch_execnz .LBB115_149
; %bb.150:
	s_or_b32 exec_lo, exec_lo, s3
	v_mov_b32_e32 v7, 0
	ds_load_b128 v[7:10], v7 offset:544
	s_waitcnt lgkmcnt(0)
	v_mul_f64 v[11:12], v[1:2], v[9:10]
	v_mul_f64 v[15:16], v[3:4], v[9:10]
	s_delay_alu instid0(VALU_DEP_2) | instskip(NEXT) | instid1(VALU_DEP_2)
	v_fma_f64 v[9:10], v[3:4], v[7:8], -v[11:12]
	v_fma_f64 v[11:12], v[1:2], v[7:8], v[15:16]
	scratch_store_b128 off, v[9:12], off offset:544
.LBB115_151:
	s_or_b32 exec_lo, exec_lo, s2
	s_waitcnt_vscnt null, 0x0
	s_barrier
	buffer_gl0_inv
	scratch_load_b128 v[1:4], v212, off
	s_mov_b32 s2, exec_lo
	s_waitcnt vmcnt(0)
	ds_store_b128 v5, v[1:4]
	s_waitcnt lgkmcnt(0)
	s_barrier
	buffer_gl0_inv
	v_cmpx_gt_u32_e32 35, v150
	s_cbranch_execz .LBB115_155
; %bb.152:
	v_dual_mov_b32 v1, 0 :: v_dual_add_nc_u32 v8, 0x340, v13
	v_dual_mov_b32 v2, 0 :: v_dual_add_nc_u32 v7, -1, v150
	v_or_b32_e32 v9, 8, v14
	s_mov_b32 s3, 0
	s_delay_alu instid0(VALU_DEP_2)
	v_dual_mov_b32 v4, v2 :: v_dual_mov_b32 v3, v1
	.p2align	6
.LBB115_153:                            ; =>This Inner Loop Header: Depth=1
	scratch_load_b128 v[15:18], v9, off offset:-8
	ds_load_b128 v[19:22], v8
	v_add_nc_u32_e32 v7, 1, v7
	v_add_nc_u32_e32 v8, 16, v8
	;; [unrolled: 1-line block ×3, first 2 shown]
	s_delay_alu instid0(VALU_DEP_3) | instskip(SKIP_4) | instid1(VALU_DEP_2)
	v_cmp_lt_u32_e32 vcc_lo, 33, v7
	s_or_b32 s3, vcc_lo, s3
	s_waitcnt vmcnt(0) lgkmcnt(0)
	v_mul_f64 v[10:11], v[21:22], v[17:18]
	v_mul_f64 v[17:18], v[19:20], v[17:18]
	v_fma_f64 v[10:11], v[19:20], v[15:16], -v[10:11]
	s_delay_alu instid0(VALU_DEP_2) | instskip(NEXT) | instid1(VALU_DEP_2)
	v_fma_f64 v[15:16], v[21:22], v[15:16], v[17:18]
	v_add_f64 v[3:4], v[3:4], v[10:11]
	s_delay_alu instid0(VALU_DEP_2)
	v_add_f64 v[1:2], v[1:2], v[15:16]
	s_and_not1_b32 exec_lo, exec_lo, s3
	s_cbranch_execnz .LBB115_153
; %bb.154:
	s_or_b32 exec_lo, exec_lo, s3
	v_mov_b32_e32 v7, 0
	ds_load_b128 v[7:10], v7 offset:560
	s_waitcnt lgkmcnt(0)
	v_mul_f64 v[11:12], v[1:2], v[9:10]
	v_mul_f64 v[15:16], v[3:4], v[9:10]
	s_delay_alu instid0(VALU_DEP_2) | instskip(NEXT) | instid1(VALU_DEP_2)
	v_fma_f64 v[9:10], v[3:4], v[7:8], -v[11:12]
	v_fma_f64 v[11:12], v[1:2], v[7:8], v[15:16]
	scratch_store_b128 off, v[9:12], off offset:560
.LBB115_155:
	s_or_b32 exec_lo, exec_lo, s2
	s_waitcnt_vscnt null, 0x0
	s_barrier
	buffer_gl0_inv
	scratch_load_b128 v[1:4], v211, off
	s_mov_b32 s2, exec_lo
	s_waitcnt vmcnt(0)
	ds_store_b128 v5, v[1:4]
	s_waitcnt lgkmcnt(0)
	s_barrier
	buffer_gl0_inv
	v_cmpx_gt_u32_e32 36, v150
	s_cbranch_execz .LBB115_159
; %bb.156:
	v_dual_mov_b32 v1, 0 :: v_dual_add_nc_u32 v8, 0x340, v13
	v_dual_mov_b32 v2, 0 :: v_dual_add_nc_u32 v7, -1, v150
	v_or_b32_e32 v9, 8, v14
	s_mov_b32 s3, 0
	s_delay_alu instid0(VALU_DEP_2)
	v_dual_mov_b32 v4, v2 :: v_dual_mov_b32 v3, v1
	.p2align	6
.LBB115_157:                            ; =>This Inner Loop Header: Depth=1
	scratch_load_b128 v[15:18], v9, off offset:-8
	ds_load_b128 v[19:22], v8
	v_add_nc_u32_e32 v7, 1, v7
	v_add_nc_u32_e32 v8, 16, v8
	v_add_nc_u32_e32 v9, 16, v9
	s_delay_alu instid0(VALU_DEP_3) | instskip(SKIP_4) | instid1(VALU_DEP_2)
	v_cmp_lt_u32_e32 vcc_lo, 34, v7
	s_or_b32 s3, vcc_lo, s3
	s_waitcnt vmcnt(0) lgkmcnt(0)
	v_mul_f64 v[10:11], v[21:22], v[17:18]
	v_mul_f64 v[17:18], v[19:20], v[17:18]
	v_fma_f64 v[10:11], v[19:20], v[15:16], -v[10:11]
	s_delay_alu instid0(VALU_DEP_2) | instskip(NEXT) | instid1(VALU_DEP_2)
	v_fma_f64 v[15:16], v[21:22], v[15:16], v[17:18]
	v_add_f64 v[3:4], v[3:4], v[10:11]
	s_delay_alu instid0(VALU_DEP_2)
	v_add_f64 v[1:2], v[1:2], v[15:16]
	s_and_not1_b32 exec_lo, exec_lo, s3
	s_cbranch_execnz .LBB115_157
; %bb.158:
	s_or_b32 exec_lo, exec_lo, s3
	v_mov_b32_e32 v7, 0
	ds_load_b128 v[7:10], v7 offset:576
	s_waitcnt lgkmcnt(0)
	v_mul_f64 v[11:12], v[1:2], v[9:10]
	v_mul_f64 v[15:16], v[3:4], v[9:10]
	s_delay_alu instid0(VALU_DEP_2) | instskip(NEXT) | instid1(VALU_DEP_2)
	v_fma_f64 v[9:10], v[3:4], v[7:8], -v[11:12]
	v_fma_f64 v[11:12], v[1:2], v[7:8], v[15:16]
	scratch_store_b128 off, v[9:12], off offset:576
.LBB115_159:
	s_or_b32 exec_lo, exec_lo, s2
	s_waitcnt_vscnt null, 0x0
	s_barrier
	buffer_gl0_inv
	scratch_load_b128 v[1:4], v210, off
	s_mov_b32 s2, exec_lo
	s_waitcnt vmcnt(0)
	ds_store_b128 v5, v[1:4]
	s_waitcnt lgkmcnt(0)
	s_barrier
	buffer_gl0_inv
	v_cmpx_gt_u32_e32 37, v150
	s_cbranch_execz .LBB115_163
; %bb.160:
	v_dual_mov_b32 v1, 0 :: v_dual_add_nc_u32 v8, 0x340, v13
	v_dual_mov_b32 v2, 0 :: v_dual_add_nc_u32 v7, -1, v150
	v_or_b32_e32 v9, 8, v14
	s_mov_b32 s3, 0
	s_delay_alu instid0(VALU_DEP_2)
	v_dual_mov_b32 v4, v2 :: v_dual_mov_b32 v3, v1
	.p2align	6
.LBB115_161:                            ; =>This Inner Loop Header: Depth=1
	scratch_load_b128 v[15:18], v9, off offset:-8
	ds_load_b128 v[19:22], v8
	v_add_nc_u32_e32 v7, 1, v7
	v_add_nc_u32_e32 v8, 16, v8
	;; [unrolled: 1-line block ×3, first 2 shown]
	s_delay_alu instid0(VALU_DEP_3) | instskip(SKIP_4) | instid1(VALU_DEP_2)
	v_cmp_lt_u32_e32 vcc_lo, 35, v7
	s_or_b32 s3, vcc_lo, s3
	s_waitcnt vmcnt(0) lgkmcnt(0)
	v_mul_f64 v[10:11], v[21:22], v[17:18]
	v_mul_f64 v[17:18], v[19:20], v[17:18]
	v_fma_f64 v[10:11], v[19:20], v[15:16], -v[10:11]
	s_delay_alu instid0(VALU_DEP_2) | instskip(NEXT) | instid1(VALU_DEP_2)
	v_fma_f64 v[15:16], v[21:22], v[15:16], v[17:18]
	v_add_f64 v[3:4], v[3:4], v[10:11]
	s_delay_alu instid0(VALU_DEP_2)
	v_add_f64 v[1:2], v[1:2], v[15:16]
	s_and_not1_b32 exec_lo, exec_lo, s3
	s_cbranch_execnz .LBB115_161
; %bb.162:
	s_or_b32 exec_lo, exec_lo, s3
	v_mov_b32_e32 v7, 0
	ds_load_b128 v[7:10], v7 offset:592
	s_waitcnt lgkmcnt(0)
	v_mul_f64 v[11:12], v[1:2], v[9:10]
	v_mul_f64 v[15:16], v[3:4], v[9:10]
	s_delay_alu instid0(VALU_DEP_2) | instskip(NEXT) | instid1(VALU_DEP_2)
	v_fma_f64 v[9:10], v[3:4], v[7:8], -v[11:12]
	v_fma_f64 v[11:12], v[1:2], v[7:8], v[15:16]
	scratch_store_b128 off, v[9:12], off offset:592
.LBB115_163:
	s_or_b32 exec_lo, exec_lo, s2
	s_waitcnt_vscnt null, 0x0
	s_barrier
	buffer_gl0_inv
	scratch_load_b128 v[1:4], v209, off
	s_mov_b32 s2, exec_lo
	s_waitcnt vmcnt(0)
	ds_store_b128 v5, v[1:4]
	s_waitcnt lgkmcnt(0)
	s_barrier
	buffer_gl0_inv
	v_cmpx_gt_u32_e32 38, v150
	s_cbranch_execz .LBB115_167
; %bb.164:
	v_dual_mov_b32 v1, 0 :: v_dual_add_nc_u32 v8, 0x340, v13
	v_dual_mov_b32 v2, 0 :: v_dual_add_nc_u32 v7, -1, v150
	v_or_b32_e32 v9, 8, v14
	s_mov_b32 s3, 0
	s_delay_alu instid0(VALU_DEP_2)
	v_dual_mov_b32 v4, v2 :: v_dual_mov_b32 v3, v1
	.p2align	6
.LBB115_165:                            ; =>This Inner Loop Header: Depth=1
	scratch_load_b128 v[15:18], v9, off offset:-8
	ds_load_b128 v[19:22], v8
	v_add_nc_u32_e32 v7, 1, v7
	v_add_nc_u32_e32 v8, 16, v8
	;; [unrolled: 1-line block ×3, first 2 shown]
	s_delay_alu instid0(VALU_DEP_3) | instskip(SKIP_4) | instid1(VALU_DEP_2)
	v_cmp_lt_u32_e32 vcc_lo, 36, v7
	s_or_b32 s3, vcc_lo, s3
	s_waitcnt vmcnt(0) lgkmcnt(0)
	v_mul_f64 v[10:11], v[21:22], v[17:18]
	v_mul_f64 v[17:18], v[19:20], v[17:18]
	v_fma_f64 v[10:11], v[19:20], v[15:16], -v[10:11]
	s_delay_alu instid0(VALU_DEP_2) | instskip(NEXT) | instid1(VALU_DEP_2)
	v_fma_f64 v[15:16], v[21:22], v[15:16], v[17:18]
	v_add_f64 v[3:4], v[3:4], v[10:11]
	s_delay_alu instid0(VALU_DEP_2)
	v_add_f64 v[1:2], v[1:2], v[15:16]
	s_and_not1_b32 exec_lo, exec_lo, s3
	s_cbranch_execnz .LBB115_165
; %bb.166:
	s_or_b32 exec_lo, exec_lo, s3
	v_mov_b32_e32 v7, 0
	ds_load_b128 v[7:10], v7 offset:608
	s_waitcnt lgkmcnt(0)
	v_mul_f64 v[11:12], v[1:2], v[9:10]
	v_mul_f64 v[15:16], v[3:4], v[9:10]
	s_delay_alu instid0(VALU_DEP_2) | instskip(NEXT) | instid1(VALU_DEP_2)
	v_fma_f64 v[9:10], v[3:4], v[7:8], -v[11:12]
	v_fma_f64 v[11:12], v[1:2], v[7:8], v[15:16]
	scratch_store_b128 off, v[9:12], off offset:608
.LBB115_167:
	s_or_b32 exec_lo, exec_lo, s2
	s_waitcnt_vscnt null, 0x0
	s_barrier
	buffer_gl0_inv
	scratch_load_b128 v[1:4], v208, off
	s_mov_b32 s2, exec_lo
	s_waitcnt vmcnt(0)
	ds_store_b128 v5, v[1:4]
	s_waitcnt lgkmcnt(0)
	s_barrier
	buffer_gl0_inv
	v_cmpx_gt_u32_e32 39, v150
	s_cbranch_execz .LBB115_171
; %bb.168:
	v_dual_mov_b32 v1, 0 :: v_dual_add_nc_u32 v8, 0x340, v13
	v_dual_mov_b32 v2, 0 :: v_dual_add_nc_u32 v7, -1, v150
	v_or_b32_e32 v9, 8, v14
	s_mov_b32 s3, 0
	s_delay_alu instid0(VALU_DEP_2)
	v_dual_mov_b32 v4, v2 :: v_dual_mov_b32 v3, v1
	.p2align	6
.LBB115_169:                            ; =>This Inner Loop Header: Depth=1
	scratch_load_b128 v[15:18], v9, off offset:-8
	ds_load_b128 v[19:22], v8
	v_add_nc_u32_e32 v7, 1, v7
	v_add_nc_u32_e32 v8, 16, v8
	;; [unrolled: 1-line block ×3, first 2 shown]
	s_delay_alu instid0(VALU_DEP_3) | instskip(SKIP_4) | instid1(VALU_DEP_2)
	v_cmp_lt_u32_e32 vcc_lo, 37, v7
	s_or_b32 s3, vcc_lo, s3
	s_waitcnt vmcnt(0) lgkmcnt(0)
	v_mul_f64 v[10:11], v[21:22], v[17:18]
	v_mul_f64 v[17:18], v[19:20], v[17:18]
	v_fma_f64 v[10:11], v[19:20], v[15:16], -v[10:11]
	s_delay_alu instid0(VALU_DEP_2) | instskip(NEXT) | instid1(VALU_DEP_2)
	v_fma_f64 v[15:16], v[21:22], v[15:16], v[17:18]
	v_add_f64 v[3:4], v[3:4], v[10:11]
	s_delay_alu instid0(VALU_DEP_2)
	v_add_f64 v[1:2], v[1:2], v[15:16]
	s_and_not1_b32 exec_lo, exec_lo, s3
	s_cbranch_execnz .LBB115_169
; %bb.170:
	s_or_b32 exec_lo, exec_lo, s3
	v_mov_b32_e32 v7, 0
	ds_load_b128 v[7:10], v7 offset:624
	s_waitcnt lgkmcnt(0)
	v_mul_f64 v[11:12], v[1:2], v[9:10]
	v_mul_f64 v[15:16], v[3:4], v[9:10]
	s_delay_alu instid0(VALU_DEP_2) | instskip(NEXT) | instid1(VALU_DEP_2)
	v_fma_f64 v[9:10], v[3:4], v[7:8], -v[11:12]
	v_fma_f64 v[11:12], v[1:2], v[7:8], v[15:16]
	scratch_store_b128 off, v[9:12], off offset:624
.LBB115_171:
	s_or_b32 exec_lo, exec_lo, s2
	s_waitcnt_vscnt null, 0x0
	s_barrier
	buffer_gl0_inv
	scratch_load_b128 v[1:4], v207, off
	s_mov_b32 s2, exec_lo
	s_waitcnt vmcnt(0)
	ds_store_b128 v5, v[1:4]
	s_waitcnt lgkmcnt(0)
	s_barrier
	buffer_gl0_inv
	v_cmpx_gt_u32_e32 40, v150
	s_cbranch_execz .LBB115_175
; %bb.172:
	v_dual_mov_b32 v1, 0 :: v_dual_add_nc_u32 v8, 0x340, v13
	v_dual_mov_b32 v2, 0 :: v_dual_add_nc_u32 v7, -1, v150
	v_or_b32_e32 v9, 8, v14
	s_mov_b32 s3, 0
	s_delay_alu instid0(VALU_DEP_2)
	v_dual_mov_b32 v4, v2 :: v_dual_mov_b32 v3, v1
	.p2align	6
.LBB115_173:                            ; =>This Inner Loop Header: Depth=1
	scratch_load_b128 v[15:18], v9, off offset:-8
	ds_load_b128 v[19:22], v8
	v_add_nc_u32_e32 v7, 1, v7
	v_add_nc_u32_e32 v8, 16, v8
	;; [unrolled: 1-line block ×3, first 2 shown]
	s_delay_alu instid0(VALU_DEP_3) | instskip(SKIP_4) | instid1(VALU_DEP_2)
	v_cmp_lt_u32_e32 vcc_lo, 38, v7
	s_or_b32 s3, vcc_lo, s3
	s_waitcnt vmcnt(0) lgkmcnt(0)
	v_mul_f64 v[10:11], v[21:22], v[17:18]
	v_mul_f64 v[17:18], v[19:20], v[17:18]
	v_fma_f64 v[10:11], v[19:20], v[15:16], -v[10:11]
	s_delay_alu instid0(VALU_DEP_2) | instskip(NEXT) | instid1(VALU_DEP_2)
	v_fma_f64 v[15:16], v[21:22], v[15:16], v[17:18]
	v_add_f64 v[3:4], v[3:4], v[10:11]
	s_delay_alu instid0(VALU_DEP_2)
	v_add_f64 v[1:2], v[1:2], v[15:16]
	s_and_not1_b32 exec_lo, exec_lo, s3
	s_cbranch_execnz .LBB115_173
; %bb.174:
	s_or_b32 exec_lo, exec_lo, s3
	v_mov_b32_e32 v7, 0
	ds_load_b128 v[7:10], v7 offset:640
	s_waitcnt lgkmcnt(0)
	v_mul_f64 v[11:12], v[1:2], v[9:10]
	v_mul_f64 v[15:16], v[3:4], v[9:10]
	s_delay_alu instid0(VALU_DEP_2) | instskip(NEXT) | instid1(VALU_DEP_2)
	v_fma_f64 v[9:10], v[3:4], v[7:8], -v[11:12]
	v_fma_f64 v[11:12], v[1:2], v[7:8], v[15:16]
	scratch_store_b128 off, v[9:12], off offset:640
.LBB115_175:
	s_or_b32 exec_lo, exec_lo, s2
	s_waitcnt_vscnt null, 0x0
	s_barrier
	buffer_gl0_inv
	scratch_load_b128 v[1:4], v206, off
	s_mov_b32 s2, exec_lo
	s_waitcnt vmcnt(0)
	ds_store_b128 v5, v[1:4]
	s_waitcnt lgkmcnt(0)
	s_barrier
	buffer_gl0_inv
	v_cmpx_gt_u32_e32 41, v150
	s_cbranch_execz .LBB115_179
; %bb.176:
	v_dual_mov_b32 v1, 0 :: v_dual_add_nc_u32 v8, 0x340, v13
	v_dual_mov_b32 v2, 0 :: v_dual_add_nc_u32 v7, -1, v150
	v_or_b32_e32 v9, 8, v14
	s_mov_b32 s3, 0
	s_delay_alu instid0(VALU_DEP_2)
	v_dual_mov_b32 v4, v2 :: v_dual_mov_b32 v3, v1
	.p2align	6
.LBB115_177:                            ; =>This Inner Loop Header: Depth=1
	scratch_load_b128 v[15:18], v9, off offset:-8
	ds_load_b128 v[19:22], v8
	v_add_nc_u32_e32 v7, 1, v7
	v_add_nc_u32_e32 v8, 16, v8
	;; [unrolled: 1-line block ×3, first 2 shown]
	s_delay_alu instid0(VALU_DEP_3) | instskip(SKIP_4) | instid1(VALU_DEP_2)
	v_cmp_lt_u32_e32 vcc_lo, 39, v7
	s_or_b32 s3, vcc_lo, s3
	s_waitcnt vmcnt(0) lgkmcnt(0)
	v_mul_f64 v[10:11], v[21:22], v[17:18]
	v_mul_f64 v[17:18], v[19:20], v[17:18]
	v_fma_f64 v[10:11], v[19:20], v[15:16], -v[10:11]
	s_delay_alu instid0(VALU_DEP_2) | instskip(NEXT) | instid1(VALU_DEP_2)
	v_fma_f64 v[15:16], v[21:22], v[15:16], v[17:18]
	v_add_f64 v[3:4], v[3:4], v[10:11]
	s_delay_alu instid0(VALU_DEP_2)
	v_add_f64 v[1:2], v[1:2], v[15:16]
	s_and_not1_b32 exec_lo, exec_lo, s3
	s_cbranch_execnz .LBB115_177
; %bb.178:
	s_or_b32 exec_lo, exec_lo, s3
	v_mov_b32_e32 v7, 0
	ds_load_b128 v[7:10], v7 offset:656
	s_waitcnt lgkmcnt(0)
	v_mul_f64 v[11:12], v[1:2], v[9:10]
	v_mul_f64 v[15:16], v[3:4], v[9:10]
	s_delay_alu instid0(VALU_DEP_2) | instskip(NEXT) | instid1(VALU_DEP_2)
	v_fma_f64 v[9:10], v[3:4], v[7:8], -v[11:12]
	v_fma_f64 v[11:12], v[1:2], v[7:8], v[15:16]
	scratch_store_b128 off, v[9:12], off offset:656
.LBB115_179:
	s_or_b32 exec_lo, exec_lo, s2
	s_waitcnt_vscnt null, 0x0
	s_barrier
	buffer_gl0_inv
	scratch_load_b128 v[1:4], v205, off
	s_mov_b32 s2, exec_lo
	s_waitcnt vmcnt(0)
	ds_store_b128 v5, v[1:4]
	s_waitcnt lgkmcnt(0)
	s_barrier
	buffer_gl0_inv
	v_cmpx_gt_u32_e32 42, v150
	s_cbranch_execz .LBB115_183
; %bb.180:
	v_dual_mov_b32 v1, 0 :: v_dual_add_nc_u32 v8, 0x340, v13
	v_dual_mov_b32 v2, 0 :: v_dual_add_nc_u32 v7, -1, v150
	v_or_b32_e32 v9, 8, v14
	s_mov_b32 s3, 0
	s_delay_alu instid0(VALU_DEP_2)
	v_dual_mov_b32 v4, v2 :: v_dual_mov_b32 v3, v1
	.p2align	6
.LBB115_181:                            ; =>This Inner Loop Header: Depth=1
	scratch_load_b128 v[15:18], v9, off offset:-8
	ds_load_b128 v[19:22], v8
	v_add_nc_u32_e32 v7, 1, v7
	v_add_nc_u32_e32 v8, 16, v8
	;; [unrolled: 1-line block ×3, first 2 shown]
	s_delay_alu instid0(VALU_DEP_3) | instskip(SKIP_4) | instid1(VALU_DEP_2)
	v_cmp_lt_u32_e32 vcc_lo, 40, v7
	s_or_b32 s3, vcc_lo, s3
	s_waitcnt vmcnt(0) lgkmcnt(0)
	v_mul_f64 v[10:11], v[21:22], v[17:18]
	v_mul_f64 v[17:18], v[19:20], v[17:18]
	v_fma_f64 v[10:11], v[19:20], v[15:16], -v[10:11]
	s_delay_alu instid0(VALU_DEP_2) | instskip(NEXT) | instid1(VALU_DEP_2)
	v_fma_f64 v[15:16], v[21:22], v[15:16], v[17:18]
	v_add_f64 v[3:4], v[3:4], v[10:11]
	s_delay_alu instid0(VALU_DEP_2)
	v_add_f64 v[1:2], v[1:2], v[15:16]
	s_and_not1_b32 exec_lo, exec_lo, s3
	s_cbranch_execnz .LBB115_181
; %bb.182:
	s_or_b32 exec_lo, exec_lo, s3
	v_mov_b32_e32 v7, 0
	ds_load_b128 v[7:10], v7 offset:672
	s_waitcnt lgkmcnt(0)
	v_mul_f64 v[11:12], v[1:2], v[9:10]
	v_mul_f64 v[15:16], v[3:4], v[9:10]
	s_delay_alu instid0(VALU_DEP_2) | instskip(NEXT) | instid1(VALU_DEP_2)
	v_fma_f64 v[9:10], v[3:4], v[7:8], -v[11:12]
	v_fma_f64 v[11:12], v[1:2], v[7:8], v[15:16]
	scratch_store_b128 off, v[9:12], off offset:672
.LBB115_183:
	s_or_b32 exec_lo, exec_lo, s2
	s_waitcnt_vscnt null, 0x0
	s_barrier
	buffer_gl0_inv
	scratch_load_b128 v[1:4], v204, off
	s_mov_b32 s2, exec_lo
	s_waitcnt vmcnt(0)
	ds_store_b128 v5, v[1:4]
	s_waitcnt lgkmcnt(0)
	s_barrier
	buffer_gl0_inv
	v_cmpx_gt_u32_e32 43, v150
	s_cbranch_execz .LBB115_187
; %bb.184:
	v_dual_mov_b32 v1, 0 :: v_dual_add_nc_u32 v8, 0x340, v13
	v_dual_mov_b32 v2, 0 :: v_dual_add_nc_u32 v7, -1, v150
	v_or_b32_e32 v9, 8, v14
	s_mov_b32 s3, 0
	s_delay_alu instid0(VALU_DEP_2)
	v_dual_mov_b32 v4, v2 :: v_dual_mov_b32 v3, v1
	.p2align	6
.LBB115_185:                            ; =>This Inner Loop Header: Depth=1
	scratch_load_b128 v[15:18], v9, off offset:-8
	ds_load_b128 v[19:22], v8
	v_add_nc_u32_e32 v7, 1, v7
	v_add_nc_u32_e32 v8, 16, v8
	;; [unrolled: 1-line block ×3, first 2 shown]
	s_delay_alu instid0(VALU_DEP_3) | instskip(SKIP_4) | instid1(VALU_DEP_2)
	v_cmp_lt_u32_e32 vcc_lo, 41, v7
	s_or_b32 s3, vcc_lo, s3
	s_waitcnt vmcnt(0) lgkmcnt(0)
	v_mul_f64 v[10:11], v[21:22], v[17:18]
	v_mul_f64 v[17:18], v[19:20], v[17:18]
	v_fma_f64 v[10:11], v[19:20], v[15:16], -v[10:11]
	s_delay_alu instid0(VALU_DEP_2) | instskip(NEXT) | instid1(VALU_DEP_2)
	v_fma_f64 v[15:16], v[21:22], v[15:16], v[17:18]
	v_add_f64 v[3:4], v[3:4], v[10:11]
	s_delay_alu instid0(VALU_DEP_2)
	v_add_f64 v[1:2], v[1:2], v[15:16]
	s_and_not1_b32 exec_lo, exec_lo, s3
	s_cbranch_execnz .LBB115_185
; %bb.186:
	s_or_b32 exec_lo, exec_lo, s3
	v_mov_b32_e32 v7, 0
	ds_load_b128 v[7:10], v7 offset:688
	s_waitcnt lgkmcnt(0)
	v_mul_f64 v[11:12], v[1:2], v[9:10]
	v_mul_f64 v[15:16], v[3:4], v[9:10]
	s_delay_alu instid0(VALU_DEP_2) | instskip(NEXT) | instid1(VALU_DEP_2)
	v_fma_f64 v[9:10], v[3:4], v[7:8], -v[11:12]
	v_fma_f64 v[11:12], v[1:2], v[7:8], v[15:16]
	scratch_store_b128 off, v[9:12], off offset:688
.LBB115_187:
	s_or_b32 exec_lo, exec_lo, s2
	s_waitcnt_vscnt null, 0x0
	s_barrier
	buffer_gl0_inv
	scratch_load_b128 v[1:4], v203, off
	s_mov_b32 s2, exec_lo
	s_waitcnt vmcnt(0)
	ds_store_b128 v5, v[1:4]
	s_waitcnt lgkmcnt(0)
	s_barrier
	buffer_gl0_inv
	v_cmpx_gt_u32_e32 44, v150
	s_cbranch_execz .LBB115_191
; %bb.188:
	v_dual_mov_b32 v1, 0 :: v_dual_add_nc_u32 v8, 0x340, v13
	v_dual_mov_b32 v2, 0 :: v_dual_add_nc_u32 v7, -1, v150
	v_or_b32_e32 v9, 8, v14
	s_mov_b32 s3, 0
	s_delay_alu instid0(VALU_DEP_2)
	v_dual_mov_b32 v4, v2 :: v_dual_mov_b32 v3, v1
	.p2align	6
.LBB115_189:                            ; =>This Inner Loop Header: Depth=1
	scratch_load_b128 v[15:18], v9, off offset:-8
	ds_load_b128 v[19:22], v8
	v_add_nc_u32_e32 v7, 1, v7
	v_add_nc_u32_e32 v8, 16, v8
	;; [unrolled: 1-line block ×3, first 2 shown]
	s_delay_alu instid0(VALU_DEP_3) | instskip(SKIP_4) | instid1(VALU_DEP_2)
	v_cmp_lt_u32_e32 vcc_lo, 42, v7
	s_or_b32 s3, vcc_lo, s3
	s_waitcnt vmcnt(0) lgkmcnt(0)
	v_mul_f64 v[10:11], v[21:22], v[17:18]
	v_mul_f64 v[17:18], v[19:20], v[17:18]
	v_fma_f64 v[10:11], v[19:20], v[15:16], -v[10:11]
	s_delay_alu instid0(VALU_DEP_2) | instskip(NEXT) | instid1(VALU_DEP_2)
	v_fma_f64 v[15:16], v[21:22], v[15:16], v[17:18]
	v_add_f64 v[3:4], v[3:4], v[10:11]
	s_delay_alu instid0(VALU_DEP_2)
	v_add_f64 v[1:2], v[1:2], v[15:16]
	s_and_not1_b32 exec_lo, exec_lo, s3
	s_cbranch_execnz .LBB115_189
; %bb.190:
	s_or_b32 exec_lo, exec_lo, s3
	v_mov_b32_e32 v7, 0
	ds_load_b128 v[7:10], v7 offset:704
	s_waitcnt lgkmcnt(0)
	v_mul_f64 v[11:12], v[1:2], v[9:10]
	v_mul_f64 v[15:16], v[3:4], v[9:10]
	s_delay_alu instid0(VALU_DEP_2) | instskip(NEXT) | instid1(VALU_DEP_2)
	v_fma_f64 v[9:10], v[3:4], v[7:8], -v[11:12]
	v_fma_f64 v[11:12], v[1:2], v[7:8], v[15:16]
	scratch_store_b128 off, v[9:12], off offset:704
.LBB115_191:
	s_or_b32 exec_lo, exec_lo, s2
	s_waitcnt_vscnt null, 0x0
	s_barrier
	buffer_gl0_inv
	scratch_load_b128 v[1:4], v172, off
	s_mov_b32 s2, exec_lo
	s_waitcnt vmcnt(0)
	ds_store_b128 v5, v[1:4]
	s_waitcnt lgkmcnt(0)
	s_barrier
	buffer_gl0_inv
	v_cmpx_gt_u32_e32 45, v150
	s_cbranch_execz .LBB115_195
; %bb.192:
	v_dual_mov_b32 v1, 0 :: v_dual_add_nc_u32 v8, 0x340, v13
	v_dual_mov_b32 v2, 0 :: v_dual_add_nc_u32 v7, -1, v150
	v_or_b32_e32 v9, 8, v14
	s_mov_b32 s3, 0
	s_delay_alu instid0(VALU_DEP_2)
	v_dual_mov_b32 v4, v2 :: v_dual_mov_b32 v3, v1
	.p2align	6
.LBB115_193:                            ; =>This Inner Loop Header: Depth=1
	scratch_load_b128 v[15:18], v9, off offset:-8
	ds_load_b128 v[19:22], v8
	v_add_nc_u32_e32 v7, 1, v7
	v_add_nc_u32_e32 v8, 16, v8
	;; [unrolled: 1-line block ×3, first 2 shown]
	s_delay_alu instid0(VALU_DEP_3) | instskip(SKIP_4) | instid1(VALU_DEP_2)
	v_cmp_lt_u32_e32 vcc_lo, 43, v7
	s_or_b32 s3, vcc_lo, s3
	s_waitcnt vmcnt(0) lgkmcnt(0)
	v_mul_f64 v[10:11], v[21:22], v[17:18]
	v_mul_f64 v[17:18], v[19:20], v[17:18]
	v_fma_f64 v[10:11], v[19:20], v[15:16], -v[10:11]
	s_delay_alu instid0(VALU_DEP_2) | instskip(NEXT) | instid1(VALU_DEP_2)
	v_fma_f64 v[15:16], v[21:22], v[15:16], v[17:18]
	v_add_f64 v[3:4], v[3:4], v[10:11]
	s_delay_alu instid0(VALU_DEP_2)
	v_add_f64 v[1:2], v[1:2], v[15:16]
	s_and_not1_b32 exec_lo, exec_lo, s3
	s_cbranch_execnz .LBB115_193
; %bb.194:
	s_or_b32 exec_lo, exec_lo, s3
	v_mov_b32_e32 v7, 0
	ds_load_b128 v[7:10], v7 offset:720
	s_waitcnt lgkmcnt(0)
	v_mul_f64 v[11:12], v[1:2], v[9:10]
	v_mul_f64 v[15:16], v[3:4], v[9:10]
	s_delay_alu instid0(VALU_DEP_2) | instskip(NEXT) | instid1(VALU_DEP_2)
	v_fma_f64 v[9:10], v[3:4], v[7:8], -v[11:12]
	v_fma_f64 v[11:12], v[1:2], v[7:8], v[15:16]
	scratch_store_b128 off, v[9:12], off offset:720
.LBB115_195:
	s_or_b32 exec_lo, exec_lo, s2
	s_waitcnt_vscnt null, 0x0
	s_barrier
	buffer_gl0_inv
	scratch_load_b128 v[1:4], v152, off
	s_mov_b32 s2, exec_lo
	s_waitcnt vmcnt(0)
	ds_store_b128 v5, v[1:4]
	s_waitcnt lgkmcnt(0)
	s_barrier
	buffer_gl0_inv
	v_cmpx_gt_u32_e32 46, v150
	s_cbranch_execz .LBB115_199
; %bb.196:
	v_dual_mov_b32 v1, 0 :: v_dual_add_nc_u32 v8, 0x340, v13
	v_dual_mov_b32 v2, 0 :: v_dual_add_nc_u32 v7, -1, v150
	v_or_b32_e32 v9, 8, v14
	s_mov_b32 s3, 0
	s_delay_alu instid0(VALU_DEP_2)
	v_dual_mov_b32 v4, v2 :: v_dual_mov_b32 v3, v1
	.p2align	6
.LBB115_197:                            ; =>This Inner Loop Header: Depth=1
	scratch_load_b128 v[15:18], v9, off offset:-8
	ds_load_b128 v[19:22], v8
	v_add_nc_u32_e32 v7, 1, v7
	v_add_nc_u32_e32 v8, 16, v8
	;; [unrolled: 1-line block ×3, first 2 shown]
	s_delay_alu instid0(VALU_DEP_3) | instskip(SKIP_4) | instid1(VALU_DEP_2)
	v_cmp_lt_u32_e32 vcc_lo, 44, v7
	s_or_b32 s3, vcc_lo, s3
	s_waitcnt vmcnt(0) lgkmcnt(0)
	v_mul_f64 v[10:11], v[21:22], v[17:18]
	v_mul_f64 v[17:18], v[19:20], v[17:18]
	v_fma_f64 v[10:11], v[19:20], v[15:16], -v[10:11]
	s_delay_alu instid0(VALU_DEP_2) | instskip(NEXT) | instid1(VALU_DEP_2)
	v_fma_f64 v[15:16], v[21:22], v[15:16], v[17:18]
	v_add_f64 v[3:4], v[3:4], v[10:11]
	s_delay_alu instid0(VALU_DEP_2)
	v_add_f64 v[1:2], v[1:2], v[15:16]
	s_and_not1_b32 exec_lo, exec_lo, s3
	s_cbranch_execnz .LBB115_197
; %bb.198:
	s_or_b32 exec_lo, exec_lo, s3
	v_mov_b32_e32 v7, 0
	ds_load_b128 v[7:10], v7 offset:736
	s_waitcnt lgkmcnt(0)
	v_mul_f64 v[11:12], v[1:2], v[9:10]
	v_mul_f64 v[15:16], v[3:4], v[9:10]
	s_delay_alu instid0(VALU_DEP_2) | instskip(NEXT) | instid1(VALU_DEP_2)
	v_fma_f64 v[9:10], v[3:4], v[7:8], -v[11:12]
	v_fma_f64 v[11:12], v[1:2], v[7:8], v[15:16]
	scratch_store_b128 off, v[9:12], off offset:736
.LBB115_199:
	s_or_b32 exec_lo, exec_lo, s2
	s_waitcnt_vscnt null, 0x0
	s_barrier
	buffer_gl0_inv
	scratch_load_b128 v[1:4], v151, off
	s_mov_b32 s2, exec_lo
	s_waitcnt vmcnt(0)
	ds_store_b128 v5, v[1:4]
	s_waitcnt lgkmcnt(0)
	s_barrier
	buffer_gl0_inv
	v_cmpx_gt_u32_e32 47, v150
	s_cbranch_execz .LBB115_203
; %bb.200:
	v_dual_mov_b32 v1, 0 :: v_dual_add_nc_u32 v8, 0x340, v13
	v_dual_mov_b32 v2, 0 :: v_dual_add_nc_u32 v7, -1, v150
	v_or_b32_e32 v9, 8, v14
	s_mov_b32 s3, 0
	s_delay_alu instid0(VALU_DEP_2)
	v_dual_mov_b32 v4, v2 :: v_dual_mov_b32 v3, v1
	.p2align	6
.LBB115_201:                            ; =>This Inner Loop Header: Depth=1
	scratch_load_b128 v[15:18], v9, off offset:-8
	ds_load_b128 v[19:22], v8
	v_add_nc_u32_e32 v7, 1, v7
	v_add_nc_u32_e32 v8, 16, v8
	;; [unrolled: 1-line block ×3, first 2 shown]
	s_delay_alu instid0(VALU_DEP_3) | instskip(SKIP_4) | instid1(VALU_DEP_2)
	v_cmp_lt_u32_e32 vcc_lo, 45, v7
	s_or_b32 s3, vcc_lo, s3
	s_waitcnt vmcnt(0) lgkmcnt(0)
	v_mul_f64 v[10:11], v[21:22], v[17:18]
	v_mul_f64 v[17:18], v[19:20], v[17:18]
	v_fma_f64 v[10:11], v[19:20], v[15:16], -v[10:11]
	s_delay_alu instid0(VALU_DEP_2) | instskip(NEXT) | instid1(VALU_DEP_2)
	v_fma_f64 v[15:16], v[21:22], v[15:16], v[17:18]
	v_add_f64 v[3:4], v[3:4], v[10:11]
	s_delay_alu instid0(VALU_DEP_2)
	v_add_f64 v[1:2], v[1:2], v[15:16]
	s_and_not1_b32 exec_lo, exec_lo, s3
	s_cbranch_execnz .LBB115_201
; %bb.202:
	s_or_b32 exec_lo, exec_lo, s3
	v_mov_b32_e32 v7, 0
	ds_load_b128 v[7:10], v7 offset:752
	s_waitcnt lgkmcnt(0)
	v_mul_f64 v[11:12], v[1:2], v[9:10]
	v_mul_f64 v[15:16], v[3:4], v[9:10]
	s_delay_alu instid0(VALU_DEP_2) | instskip(NEXT) | instid1(VALU_DEP_2)
	v_fma_f64 v[9:10], v[3:4], v[7:8], -v[11:12]
	v_fma_f64 v[11:12], v[1:2], v[7:8], v[15:16]
	scratch_store_b128 off, v[9:12], off offset:752
.LBB115_203:
	s_or_b32 exec_lo, exec_lo, s2
	s_waitcnt_vscnt null, 0x0
	s_barrier
	buffer_gl0_inv
	scratch_load_b128 v[1:4], v165, off
	s_mov_b32 s2, exec_lo
	s_waitcnt vmcnt(0)
	ds_store_b128 v5, v[1:4]
	s_waitcnt lgkmcnt(0)
	s_barrier
	buffer_gl0_inv
	v_cmpx_gt_u32_e32 48, v150
	s_cbranch_execz .LBB115_207
; %bb.204:
	v_dual_mov_b32 v1, 0 :: v_dual_add_nc_u32 v8, 0x340, v13
	v_dual_mov_b32 v2, 0 :: v_dual_add_nc_u32 v7, -1, v150
	v_or_b32_e32 v9, 8, v14
	s_mov_b32 s3, 0
	s_delay_alu instid0(VALU_DEP_2)
	v_dual_mov_b32 v4, v2 :: v_dual_mov_b32 v3, v1
	.p2align	6
.LBB115_205:                            ; =>This Inner Loop Header: Depth=1
	scratch_load_b128 v[15:18], v9, off offset:-8
	ds_load_b128 v[19:22], v8
	v_add_nc_u32_e32 v7, 1, v7
	v_add_nc_u32_e32 v8, 16, v8
	;; [unrolled: 1-line block ×3, first 2 shown]
	s_delay_alu instid0(VALU_DEP_3) | instskip(SKIP_4) | instid1(VALU_DEP_2)
	v_cmp_lt_u32_e32 vcc_lo, 46, v7
	s_or_b32 s3, vcc_lo, s3
	s_waitcnt vmcnt(0) lgkmcnt(0)
	v_mul_f64 v[10:11], v[21:22], v[17:18]
	v_mul_f64 v[17:18], v[19:20], v[17:18]
	v_fma_f64 v[10:11], v[19:20], v[15:16], -v[10:11]
	s_delay_alu instid0(VALU_DEP_2) | instskip(NEXT) | instid1(VALU_DEP_2)
	v_fma_f64 v[15:16], v[21:22], v[15:16], v[17:18]
	v_add_f64 v[3:4], v[3:4], v[10:11]
	s_delay_alu instid0(VALU_DEP_2)
	v_add_f64 v[1:2], v[1:2], v[15:16]
	s_and_not1_b32 exec_lo, exec_lo, s3
	s_cbranch_execnz .LBB115_205
; %bb.206:
	s_or_b32 exec_lo, exec_lo, s3
	v_mov_b32_e32 v7, 0
	ds_load_b128 v[7:10], v7 offset:768
	s_waitcnt lgkmcnt(0)
	v_mul_f64 v[11:12], v[1:2], v[9:10]
	v_mul_f64 v[15:16], v[3:4], v[9:10]
	s_delay_alu instid0(VALU_DEP_2) | instskip(NEXT) | instid1(VALU_DEP_2)
	v_fma_f64 v[9:10], v[3:4], v[7:8], -v[11:12]
	v_fma_f64 v[11:12], v[1:2], v[7:8], v[15:16]
	scratch_store_b128 off, v[9:12], off offset:768
.LBB115_207:
	s_or_b32 exec_lo, exec_lo, s2
	s_waitcnt_vscnt null, 0x0
	s_barrier
	buffer_gl0_inv
	scratch_load_b128 v[1:4], v162, off
	s_mov_b32 s2, exec_lo
	s_waitcnt vmcnt(0)
	ds_store_b128 v5, v[1:4]
	s_waitcnt lgkmcnt(0)
	s_barrier
	buffer_gl0_inv
	v_cmpx_gt_u32_e32 49, v150
	s_cbranch_execz .LBB115_211
; %bb.208:
	v_dual_mov_b32 v1, 0 :: v_dual_add_nc_u32 v8, 0x340, v13
	v_dual_mov_b32 v2, 0 :: v_dual_add_nc_u32 v7, -1, v150
	v_or_b32_e32 v9, 8, v14
	s_mov_b32 s3, 0
	s_delay_alu instid0(VALU_DEP_2)
	v_dual_mov_b32 v4, v2 :: v_dual_mov_b32 v3, v1
	.p2align	6
.LBB115_209:                            ; =>This Inner Loop Header: Depth=1
	scratch_load_b128 v[15:18], v9, off offset:-8
	ds_load_b128 v[19:22], v8
	v_add_nc_u32_e32 v7, 1, v7
	v_add_nc_u32_e32 v8, 16, v8
	;; [unrolled: 1-line block ×3, first 2 shown]
	s_delay_alu instid0(VALU_DEP_3) | instskip(SKIP_4) | instid1(VALU_DEP_2)
	v_cmp_lt_u32_e32 vcc_lo, 47, v7
	s_or_b32 s3, vcc_lo, s3
	s_waitcnt vmcnt(0) lgkmcnt(0)
	v_mul_f64 v[10:11], v[21:22], v[17:18]
	v_mul_f64 v[17:18], v[19:20], v[17:18]
	v_fma_f64 v[10:11], v[19:20], v[15:16], -v[10:11]
	s_delay_alu instid0(VALU_DEP_2) | instskip(NEXT) | instid1(VALU_DEP_2)
	v_fma_f64 v[15:16], v[21:22], v[15:16], v[17:18]
	v_add_f64 v[3:4], v[3:4], v[10:11]
	s_delay_alu instid0(VALU_DEP_2)
	v_add_f64 v[1:2], v[1:2], v[15:16]
	s_and_not1_b32 exec_lo, exec_lo, s3
	s_cbranch_execnz .LBB115_209
; %bb.210:
	s_or_b32 exec_lo, exec_lo, s3
	v_mov_b32_e32 v7, 0
	ds_load_b128 v[7:10], v7 offset:784
	s_waitcnt lgkmcnt(0)
	v_mul_f64 v[11:12], v[1:2], v[9:10]
	v_mul_f64 v[15:16], v[3:4], v[9:10]
	s_delay_alu instid0(VALU_DEP_2) | instskip(NEXT) | instid1(VALU_DEP_2)
	v_fma_f64 v[9:10], v[3:4], v[7:8], -v[11:12]
	v_fma_f64 v[11:12], v[1:2], v[7:8], v[15:16]
	scratch_store_b128 off, v[9:12], off offset:784
.LBB115_211:
	s_or_b32 exec_lo, exec_lo, s2
	s_waitcnt_vscnt null, 0x0
	s_barrier
	buffer_gl0_inv
	scratch_load_b128 v[1:4], v160, off
	s_mov_b32 s2, exec_lo
	s_waitcnt vmcnt(0)
	ds_store_b128 v5, v[1:4]
	s_waitcnt lgkmcnt(0)
	s_barrier
	buffer_gl0_inv
	v_cmpx_gt_u32_e32 50, v150
	s_cbranch_execz .LBB115_215
; %bb.212:
	v_dual_mov_b32 v1, 0 :: v_dual_add_nc_u32 v8, 0x340, v13
	v_dual_mov_b32 v2, 0 :: v_dual_add_nc_u32 v7, -1, v150
	v_or_b32_e32 v9, 8, v14
	s_mov_b32 s3, 0
	s_delay_alu instid0(VALU_DEP_2)
	v_dual_mov_b32 v4, v2 :: v_dual_mov_b32 v3, v1
	.p2align	6
.LBB115_213:                            ; =>This Inner Loop Header: Depth=1
	scratch_load_b128 v[10:13], v9, off offset:-8
	ds_load_b128 v[15:18], v8
	v_add_nc_u32_e32 v7, 1, v7
	v_add_nc_u32_e32 v8, 16, v8
	;; [unrolled: 1-line block ×3, first 2 shown]
	s_delay_alu instid0(VALU_DEP_3) | instskip(SKIP_4) | instid1(VALU_DEP_2)
	v_cmp_lt_u32_e32 vcc_lo, 48, v7
	s_or_b32 s3, vcc_lo, s3
	s_waitcnt vmcnt(0) lgkmcnt(0)
	v_mul_f64 v[19:20], v[17:18], v[12:13]
	v_mul_f64 v[12:13], v[15:16], v[12:13]
	v_fma_f64 v[15:16], v[15:16], v[10:11], -v[19:20]
	s_delay_alu instid0(VALU_DEP_2) | instskip(NEXT) | instid1(VALU_DEP_2)
	v_fma_f64 v[10:11], v[17:18], v[10:11], v[12:13]
	v_add_f64 v[3:4], v[3:4], v[15:16]
	s_delay_alu instid0(VALU_DEP_2)
	v_add_f64 v[1:2], v[1:2], v[10:11]
	s_and_not1_b32 exec_lo, exec_lo, s3
	s_cbranch_execnz .LBB115_213
; %bb.214:
	s_or_b32 exec_lo, exec_lo, s3
	v_mov_b32_e32 v7, 0
	ds_load_b128 v[7:10], v7 offset:800
	s_waitcnt lgkmcnt(0)
	v_mul_f64 v[11:12], v[1:2], v[9:10]
	v_mul_f64 v[15:16], v[3:4], v[9:10]
	s_delay_alu instid0(VALU_DEP_2) | instskip(NEXT) | instid1(VALU_DEP_2)
	v_fma_f64 v[9:10], v[3:4], v[7:8], -v[11:12]
	v_fma_f64 v[11:12], v[1:2], v[7:8], v[15:16]
	scratch_store_b128 off, v[9:12], off offset:800
.LBB115_215:
	s_or_b32 exec_lo, exec_lo, s2
	s_waitcnt_vscnt null, 0x0
	s_barrier
	buffer_gl0_inv
	scratch_load_b128 v[1:4], v158, off
	s_mov_b32 s2, exec_lo
	s_waitcnt vmcnt(0)
	ds_store_b128 v5, v[1:4]
	s_waitcnt lgkmcnt(0)
	s_barrier
	buffer_gl0_inv
	v_cmpx_ne_u32_e32 51, v150
	s_cbranch_execz .LBB115_219
; %bb.216:
	v_mov_b32_e32 v1, 0
	v_mov_b32_e32 v2, 0
	v_or_b32_e32 v7, 8, v14
	s_mov_b32 s3, 0
	s_delay_alu instid0(VALU_DEP_2)
	v_dual_mov_b32 v4, v2 :: v_dual_mov_b32 v3, v1
	.p2align	6
.LBB115_217:                            ; =>This Inner Loop Header: Depth=1
	scratch_load_b128 v[8:11], v7, off offset:-8
	ds_load_b128 v[12:15], v5
	v_add_nc_u32_e32 v6, 1, v6
	v_add_nc_u32_e32 v5, 16, v5
	;; [unrolled: 1-line block ×3, first 2 shown]
	s_delay_alu instid0(VALU_DEP_3) | instskip(SKIP_4) | instid1(VALU_DEP_2)
	v_cmp_lt_u32_e32 vcc_lo, 49, v6
	s_or_b32 s3, vcc_lo, s3
	s_waitcnt vmcnt(0) lgkmcnt(0)
	v_mul_f64 v[16:17], v[14:15], v[10:11]
	v_mul_f64 v[10:11], v[12:13], v[10:11]
	v_fma_f64 v[12:13], v[12:13], v[8:9], -v[16:17]
	s_delay_alu instid0(VALU_DEP_2) | instskip(NEXT) | instid1(VALU_DEP_2)
	v_fma_f64 v[8:9], v[14:15], v[8:9], v[10:11]
	v_add_f64 v[3:4], v[3:4], v[12:13]
	s_delay_alu instid0(VALU_DEP_2)
	v_add_f64 v[1:2], v[1:2], v[8:9]
	s_and_not1_b32 exec_lo, exec_lo, s3
	s_cbranch_execnz .LBB115_217
; %bb.218:
	s_or_b32 exec_lo, exec_lo, s3
	v_mov_b32_e32 v5, 0
	ds_load_b128 v[5:8], v5 offset:816
	s_waitcnt lgkmcnt(0)
	v_mul_f64 v[9:10], v[1:2], v[7:8]
	v_mul_f64 v[7:8], v[3:4], v[7:8]
	s_delay_alu instid0(VALU_DEP_2) | instskip(NEXT) | instid1(VALU_DEP_2)
	v_fma_f64 v[3:4], v[3:4], v[5:6], -v[9:10]
	v_fma_f64 v[5:6], v[1:2], v[5:6], v[7:8]
	scratch_store_b128 off, v[3:6], off offset:816
.LBB115_219:
	s_or_b32 exec_lo, exec_lo, s2
	s_mov_b32 s3, -1
	s_waitcnt_vscnt null, 0x0
	s_barrier
	buffer_gl0_inv
.LBB115_220:
	s_and_b32 vcc_lo, exec_lo, s3
	s_cbranch_vccz .LBB115_222
; %bb.221:
	s_lshl_b64 s[2:3], s[10:11], 2
	v_mov_b32_e32 v1, 0
	s_add_u32 s2, s6, s2
	s_addc_u32 s3, s7, s3
	global_load_b32 v1, v1, s[2:3]
	s_waitcnt vmcnt(0)
	v_cmp_ne_u32_e32 vcc_lo, 0, v1
	s_cbranch_vccz .LBB115_223
.LBB115_222:
	s_endpgm
.LBB115_223:
	v_lshl_add_u32 v202, v150, 4, 0x340
	s_mov_b32 s2, exec_lo
	v_cmpx_eq_u32_e32 51, v150
	s_cbranch_execz .LBB115_225
; %bb.224:
	scratch_load_b128 v[1:4], v160, off
	v_mov_b32_e32 v5, 0
	s_delay_alu instid0(VALU_DEP_1)
	v_mov_b32_e32 v6, v5
	v_mov_b32_e32 v7, v5
	v_mov_b32_e32 v8, v5
	scratch_store_b128 off, v[5:8], off offset:800
	s_waitcnt vmcnt(0)
	ds_store_b128 v202, v[1:4]
.LBB115_225:
	s_or_b32 exec_lo, exec_lo, s2
	s_waitcnt lgkmcnt(0)
	s_waitcnt_vscnt null, 0x0
	s_barrier
	buffer_gl0_inv
	s_clause 0x1
	scratch_load_b128 v[2:5], off, off offset:816
	scratch_load_b128 v[6:9], off, off offset:800
	v_mov_b32_e32 v1, 0
	s_mov_b32 s2, exec_lo
	ds_load_b128 v[10:13], v1 offset:1648
	s_waitcnt vmcnt(1) lgkmcnt(0)
	v_mul_f64 v[14:15], v[12:13], v[4:5]
	v_mul_f64 v[4:5], v[10:11], v[4:5]
	s_delay_alu instid0(VALU_DEP_2) | instskip(NEXT) | instid1(VALU_DEP_2)
	v_fma_f64 v[10:11], v[10:11], v[2:3], -v[14:15]
	v_fma_f64 v[2:3], v[12:13], v[2:3], v[4:5]
	s_delay_alu instid0(VALU_DEP_2) | instskip(NEXT) | instid1(VALU_DEP_2)
	v_add_f64 v[4:5], v[10:11], 0
	v_add_f64 v[10:11], v[2:3], 0
	s_waitcnt vmcnt(0)
	s_delay_alu instid0(VALU_DEP_2) | instskip(NEXT) | instid1(VALU_DEP_2)
	v_add_f64 v[2:3], v[6:7], -v[4:5]
	v_add_f64 v[4:5], v[8:9], -v[10:11]
	scratch_store_b128 off, v[2:5], off offset:800
	v_cmpx_lt_u32_e32 49, v150
	s_cbranch_execz .LBB115_227
; %bb.226:
	scratch_load_b128 v[5:8], v162, off
	v_mov_b32_e32 v2, v1
	v_mov_b32_e32 v3, v1
	;; [unrolled: 1-line block ×3, first 2 shown]
	scratch_store_b128 off, v[1:4], off offset:784
	s_waitcnt vmcnt(0)
	ds_store_b128 v202, v[5:8]
.LBB115_227:
	s_or_b32 exec_lo, exec_lo, s2
	s_waitcnt lgkmcnt(0)
	s_waitcnt_vscnt null, 0x0
	s_barrier
	buffer_gl0_inv
	s_clause 0x2
	scratch_load_b128 v[2:5], off, off offset:800
	scratch_load_b128 v[6:9], off, off offset:816
	;; [unrolled: 1-line block ×3, first 2 shown]
	ds_load_b128 v[14:17], v1 offset:1632
	ds_load_b128 v[18:21], v1 offset:1648
	s_mov_b32 s2, exec_lo
	s_waitcnt vmcnt(2) lgkmcnt(1)
	v_mul_f64 v[22:23], v[16:17], v[4:5]
	v_mul_f64 v[4:5], v[14:15], v[4:5]
	s_waitcnt vmcnt(1) lgkmcnt(0)
	v_mul_f64 v[24:25], v[18:19], v[8:9]
	v_mul_f64 v[8:9], v[20:21], v[8:9]
	s_delay_alu instid0(VALU_DEP_4) | instskip(NEXT) | instid1(VALU_DEP_4)
	v_fma_f64 v[14:15], v[14:15], v[2:3], -v[22:23]
	v_fma_f64 v[1:2], v[16:17], v[2:3], v[4:5]
	s_delay_alu instid0(VALU_DEP_4) | instskip(NEXT) | instid1(VALU_DEP_4)
	v_fma_f64 v[3:4], v[20:21], v[6:7], v[24:25]
	v_fma_f64 v[5:6], v[18:19], v[6:7], -v[8:9]
	s_delay_alu instid0(VALU_DEP_4) | instskip(NEXT) | instid1(VALU_DEP_4)
	v_add_f64 v[7:8], v[14:15], 0
	v_add_f64 v[1:2], v[1:2], 0
	s_delay_alu instid0(VALU_DEP_2) | instskip(NEXT) | instid1(VALU_DEP_2)
	v_add_f64 v[5:6], v[7:8], v[5:6]
	v_add_f64 v[3:4], v[1:2], v[3:4]
	s_waitcnt vmcnt(0)
	s_delay_alu instid0(VALU_DEP_2) | instskip(NEXT) | instid1(VALU_DEP_2)
	v_add_f64 v[1:2], v[10:11], -v[5:6]
	v_add_f64 v[3:4], v[12:13], -v[3:4]
	scratch_store_b128 off, v[1:4], off offset:784
	v_cmpx_lt_u32_e32 48, v150
	s_cbranch_execz .LBB115_229
; %bb.228:
	scratch_load_b128 v[1:4], v165, off
	v_mov_b32_e32 v5, 0
	s_delay_alu instid0(VALU_DEP_1)
	v_mov_b32_e32 v6, v5
	v_mov_b32_e32 v7, v5
	;; [unrolled: 1-line block ×3, first 2 shown]
	scratch_store_b128 off, v[5:8], off offset:768
	s_waitcnt vmcnt(0)
	ds_store_b128 v202, v[1:4]
.LBB115_229:
	s_or_b32 exec_lo, exec_lo, s2
	s_waitcnt lgkmcnt(0)
	s_waitcnt_vscnt null, 0x0
	s_barrier
	buffer_gl0_inv
	s_clause 0x3
	scratch_load_b128 v[2:5], off, off offset:784
	scratch_load_b128 v[6:9], off, off offset:800
	;; [unrolled: 1-line block ×4, first 2 shown]
	v_mov_b32_e32 v1, 0
	ds_load_b128 v[18:21], v1 offset:1616
	ds_load_b128 v[22:25], v1 offset:1632
	s_mov_b32 s2, exec_lo
	s_waitcnt vmcnt(3) lgkmcnt(1)
	v_mul_f64 v[26:27], v[20:21], v[4:5]
	v_mul_f64 v[4:5], v[18:19], v[4:5]
	s_waitcnt vmcnt(2) lgkmcnt(0)
	v_mul_f64 v[28:29], v[22:23], v[8:9]
	v_mul_f64 v[8:9], v[24:25], v[8:9]
	s_delay_alu instid0(VALU_DEP_4) | instskip(NEXT) | instid1(VALU_DEP_4)
	v_fma_f64 v[18:19], v[18:19], v[2:3], -v[26:27]
	v_fma_f64 v[20:21], v[20:21], v[2:3], v[4:5]
	ds_load_b128 v[2:5], v1 offset:1648
	v_fma_f64 v[24:25], v[24:25], v[6:7], v[28:29]
	v_fma_f64 v[6:7], v[22:23], v[6:7], -v[8:9]
	s_waitcnt vmcnt(1) lgkmcnt(0)
	v_mul_f64 v[26:27], v[2:3], v[12:13]
	v_mul_f64 v[12:13], v[4:5], v[12:13]
	v_add_f64 v[8:9], v[18:19], 0
	v_add_f64 v[18:19], v[20:21], 0
	s_delay_alu instid0(VALU_DEP_4) | instskip(NEXT) | instid1(VALU_DEP_4)
	v_fma_f64 v[4:5], v[4:5], v[10:11], v[26:27]
	v_fma_f64 v[2:3], v[2:3], v[10:11], -v[12:13]
	s_delay_alu instid0(VALU_DEP_4) | instskip(NEXT) | instid1(VALU_DEP_4)
	v_add_f64 v[6:7], v[8:9], v[6:7]
	v_add_f64 v[8:9], v[18:19], v[24:25]
	s_delay_alu instid0(VALU_DEP_2) | instskip(NEXT) | instid1(VALU_DEP_2)
	v_add_f64 v[2:3], v[6:7], v[2:3]
	v_add_f64 v[4:5], v[8:9], v[4:5]
	s_waitcnt vmcnt(0)
	s_delay_alu instid0(VALU_DEP_2) | instskip(NEXT) | instid1(VALU_DEP_2)
	v_add_f64 v[2:3], v[14:15], -v[2:3]
	v_add_f64 v[4:5], v[16:17], -v[4:5]
	scratch_store_b128 off, v[2:5], off offset:768
	v_cmpx_lt_u32_e32 47, v150
	s_cbranch_execz .LBB115_231
; %bb.230:
	scratch_load_b128 v[5:8], v151, off
	v_mov_b32_e32 v2, v1
	v_mov_b32_e32 v3, v1
	v_mov_b32_e32 v4, v1
	scratch_store_b128 off, v[1:4], off offset:752
	s_waitcnt vmcnt(0)
	ds_store_b128 v202, v[5:8]
.LBB115_231:
	s_or_b32 exec_lo, exec_lo, s2
	s_waitcnt lgkmcnt(0)
	s_waitcnt_vscnt null, 0x0
	s_barrier
	buffer_gl0_inv
	s_clause 0x4
	scratch_load_b128 v[2:5], off, off offset:768
	scratch_load_b128 v[6:9], off, off offset:784
	;; [unrolled: 1-line block ×5, first 2 shown]
	ds_load_b128 v[22:25], v1 offset:1600
	ds_load_b128 v[26:29], v1 offset:1616
	s_mov_b32 s2, exec_lo
	s_waitcnt vmcnt(4) lgkmcnt(1)
	v_mul_f64 v[30:31], v[24:25], v[4:5]
	v_mul_f64 v[4:5], v[22:23], v[4:5]
	s_waitcnt vmcnt(3) lgkmcnt(0)
	v_mul_f64 v[32:33], v[26:27], v[8:9]
	v_mul_f64 v[8:9], v[28:29], v[8:9]
	s_delay_alu instid0(VALU_DEP_4) | instskip(NEXT) | instid1(VALU_DEP_4)
	v_fma_f64 v[30:31], v[22:23], v[2:3], -v[30:31]
	v_fma_f64 v[34:35], v[24:25], v[2:3], v[4:5]
	ds_load_b128 v[2:5], v1 offset:1632
	ds_load_b128 v[22:25], v1 offset:1648
	v_fma_f64 v[28:29], v[28:29], v[6:7], v[32:33]
	v_fma_f64 v[6:7], v[26:27], v[6:7], -v[8:9]
	s_waitcnt vmcnt(2) lgkmcnt(1)
	v_mul_f64 v[36:37], v[2:3], v[12:13]
	v_mul_f64 v[12:13], v[4:5], v[12:13]
	v_add_f64 v[8:9], v[30:31], 0
	v_add_f64 v[26:27], v[34:35], 0
	s_waitcnt vmcnt(1) lgkmcnt(0)
	v_mul_f64 v[30:31], v[22:23], v[16:17]
	v_mul_f64 v[16:17], v[24:25], v[16:17]
	v_fma_f64 v[4:5], v[4:5], v[10:11], v[36:37]
	v_fma_f64 v[1:2], v[2:3], v[10:11], -v[12:13]
	v_add_f64 v[6:7], v[8:9], v[6:7]
	v_add_f64 v[8:9], v[26:27], v[28:29]
	v_fma_f64 v[10:11], v[24:25], v[14:15], v[30:31]
	v_fma_f64 v[12:13], v[22:23], v[14:15], -v[16:17]
	s_delay_alu instid0(VALU_DEP_4) | instskip(NEXT) | instid1(VALU_DEP_4)
	v_add_f64 v[1:2], v[6:7], v[1:2]
	v_add_f64 v[3:4], v[8:9], v[4:5]
	s_delay_alu instid0(VALU_DEP_2) | instskip(NEXT) | instid1(VALU_DEP_2)
	v_add_f64 v[1:2], v[1:2], v[12:13]
	v_add_f64 v[3:4], v[3:4], v[10:11]
	s_waitcnt vmcnt(0)
	s_delay_alu instid0(VALU_DEP_2) | instskip(NEXT) | instid1(VALU_DEP_2)
	v_add_f64 v[1:2], v[18:19], -v[1:2]
	v_add_f64 v[3:4], v[20:21], -v[3:4]
	scratch_store_b128 off, v[1:4], off offset:752
	v_cmpx_lt_u32_e32 46, v150
	s_cbranch_execz .LBB115_233
; %bb.232:
	scratch_load_b128 v[1:4], v152, off
	v_mov_b32_e32 v5, 0
	s_delay_alu instid0(VALU_DEP_1)
	v_mov_b32_e32 v6, v5
	v_mov_b32_e32 v7, v5
	;; [unrolled: 1-line block ×3, first 2 shown]
	scratch_store_b128 off, v[5:8], off offset:736
	s_waitcnt vmcnt(0)
	ds_store_b128 v202, v[1:4]
.LBB115_233:
	s_or_b32 exec_lo, exec_lo, s2
	s_waitcnt lgkmcnt(0)
	s_waitcnt_vscnt null, 0x0
	s_barrier
	buffer_gl0_inv
	s_clause 0x5
	scratch_load_b128 v[2:5], off, off offset:752
	scratch_load_b128 v[6:9], off, off offset:768
	;; [unrolled: 1-line block ×6, first 2 shown]
	v_mov_b32_e32 v1, 0
	ds_load_b128 v[26:29], v1 offset:1584
	ds_load_b128 v[30:33], v1 offset:1600
	s_mov_b32 s2, exec_lo
	s_waitcnt vmcnt(5) lgkmcnt(1)
	v_mul_f64 v[34:35], v[28:29], v[4:5]
	v_mul_f64 v[4:5], v[26:27], v[4:5]
	s_waitcnt vmcnt(4) lgkmcnt(0)
	v_mul_f64 v[36:37], v[30:31], v[8:9]
	v_mul_f64 v[8:9], v[32:33], v[8:9]
	s_delay_alu instid0(VALU_DEP_4) | instskip(NEXT) | instid1(VALU_DEP_4)
	v_fma_f64 v[34:35], v[26:27], v[2:3], -v[34:35]
	v_fma_f64 v[38:39], v[28:29], v[2:3], v[4:5]
	ds_load_b128 v[2:5], v1 offset:1616
	ds_load_b128 v[26:29], v1 offset:1632
	v_fma_f64 v[32:33], v[32:33], v[6:7], v[36:37]
	v_fma_f64 v[6:7], v[30:31], v[6:7], -v[8:9]
	s_waitcnt vmcnt(3) lgkmcnt(1)
	v_mul_f64 v[40:41], v[2:3], v[12:13]
	v_mul_f64 v[12:13], v[4:5], v[12:13]
	v_add_f64 v[8:9], v[34:35], 0
	v_add_f64 v[30:31], v[38:39], 0
	s_waitcnt vmcnt(2) lgkmcnt(0)
	v_mul_f64 v[34:35], v[26:27], v[16:17]
	v_mul_f64 v[16:17], v[28:29], v[16:17]
	v_fma_f64 v[36:37], v[4:5], v[10:11], v[40:41]
	v_fma_f64 v[10:11], v[2:3], v[10:11], -v[12:13]
	ds_load_b128 v[2:5], v1 offset:1648
	v_add_f64 v[6:7], v[8:9], v[6:7]
	v_add_f64 v[8:9], v[30:31], v[32:33]
	v_fma_f64 v[28:29], v[28:29], v[14:15], v[34:35]
	v_fma_f64 v[14:15], v[26:27], v[14:15], -v[16:17]
	s_waitcnt vmcnt(1) lgkmcnt(0)
	v_mul_f64 v[12:13], v[2:3], v[20:21]
	v_mul_f64 v[20:21], v[4:5], v[20:21]
	v_add_f64 v[6:7], v[6:7], v[10:11]
	v_add_f64 v[8:9], v[8:9], v[36:37]
	s_delay_alu instid0(VALU_DEP_4) | instskip(NEXT) | instid1(VALU_DEP_4)
	v_fma_f64 v[4:5], v[4:5], v[18:19], v[12:13]
	v_fma_f64 v[2:3], v[2:3], v[18:19], -v[20:21]
	s_delay_alu instid0(VALU_DEP_4) | instskip(NEXT) | instid1(VALU_DEP_4)
	v_add_f64 v[6:7], v[6:7], v[14:15]
	v_add_f64 v[8:9], v[8:9], v[28:29]
	s_delay_alu instid0(VALU_DEP_2) | instskip(NEXT) | instid1(VALU_DEP_2)
	v_add_f64 v[2:3], v[6:7], v[2:3]
	v_add_f64 v[4:5], v[8:9], v[4:5]
	s_waitcnt vmcnt(0)
	s_delay_alu instid0(VALU_DEP_2) | instskip(NEXT) | instid1(VALU_DEP_2)
	v_add_f64 v[2:3], v[22:23], -v[2:3]
	v_add_f64 v[4:5], v[24:25], -v[4:5]
	scratch_store_b128 off, v[2:5], off offset:736
	v_cmpx_lt_u32_e32 45, v150
	s_cbranch_execz .LBB115_235
; %bb.234:
	scratch_load_b128 v[5:8], v172, off
	v_mov_b32_e32 v2, v1
	v_mov_b32_e32 v3, v1
	;; [unrolled: 1-line block ×3, first 2 shown]
	scratch_store_b128 off, v[1:4], off offset:720
	s_waitcnt vmcnt(0)
	ds_store_b128 v202, v[5:8]
.LBB115_235:
	s_or_b32 exec_lo, exec_lo, s2
	s_waitcnt lgkmcnt(0)
	s_waitcnt_vscnt null, 0x0
	s_barrier
	buffer_gl0_inv
	s_clause 0x5
	scratch_load_b128 v[2:5], off, off offset:736
	scratch_load_b128 v[6:9], off, off offset:752
	;; [unrolled: 1-line block ×6, first 2 shown]
	ds_load_b128 v[26:29], v1 offset:1568
	ds_load_b128 v[34:37], v1 offset:1584
	scratch_load_b128 v[30:33], off, off offset:720
	s_mov_b32 s2, exec_lo
	s_waitcnt vmcnt(6) lgkmcnt(1)
	v_mul_f64 v[38:39], v[28:29], v[4:5]
	v_mul_f64 v[4:5], v[26:27], v[4:5]
	s_waitcnt vmcnt(5) lgkmcnt(0)
	v_mul_f64 v[40:41], v[34:35], v[8:9]
	v_mul_f64 v[8:9], v[36:37], v[8:9]
	s_delay_alu instid0(VALU_DEP_4) | instskip(NEXT) | instid1(VALU_DEP_4)
	v_fma_f64 v[38:39], v[26:27], v[2:3], -v[38:39]
	v_fma_f64 v[42:43], v[28:29], v[2:3], v[4:5]
	ds_load_b128 v[2:5], v1 offset:1600
	ds_load_b128 v[26:29], v1 offset:1616
	v_fma_f64 v[36:37], v[36:37], v[6:7], v[40:41]
	v_fma_f64 v[6:7], v[34:35], v[6:7], -v[8:9]
	s_waitcnt vmcnt(4) lgkmcnt(1)
	v_mul_f64 v[44:45], v[2:3], v[12:13]
	v_mul_f64 v[12:13], v[4:5], v[12:13]
	v_add_f64 v[8:9], v[38:39], 0
	v_add_f64 v[34:35], v[42:43], 0
	s_waitcnt vmcnt(3) lgkmcnt(0)
	v_mul_f64 v[38:39], v[26:27], v[16:17]
	v_mul_f64 v[16:17], v[28:29], v[16:17]
	v_fma_f64 v[40:41], v[4:5], v[10:11], v[44:45]
	v_fma_f64 v[10:11], v[2:3], v[10:11], -v[12:13]
	v_add_f64 v[12:13], v[8:9], v[6:7]
	v_add_f64 v[34:35], v[34:35], v[36:37]
	ds_load_b128 v[2:5], v1 offset:1632
	ds_load_b128 v[6:9], v1 offset:1648
	v_fma_f64 v[28:29], v[28:29], v[14:15], v[38:39]
	v_fma_f64 v[14:15], v[26:27], v[14:15], -v[16:17]
	s_waitcnt vmcnt(2) lgkmcnt(1)
	v_mul_f64 v[36:37], v[2:3], v[20:21]
	v_mul_f64 v[20:21], v[4:5], v[20:21]
	s_waitcnt vmcnt(1) lgkmcnt(0)
	v_mul_f64 v[16:17], v[6:7], v[24:25]
	v_mul_f64 v[24:25], v[8:9], v[24:25]
	v_add_f64 v[10:11], v[12:13], v[10:11]
	v_add_f64 v[12:13], v[34:35], v[40:41]
	v_fma_f64 v[4:5], v[4:5], v[18:19], v[36:37]
	v_fma_f64 v[1:2], v[2:3], v[18:19], -v[20:21]
	v_fma_f64 v[8:9], v[8:9], v[22:23], v[16:17]
	v_fma_f64 v[6:7], v[6:7], v[22:23], -v[24:25]
	v_add_f64 v[10:11], v[10:11], v[14:15]
	v_add_f64 v[12:13], v[12:13], v[28:29]
	s_delay_alu instid0(VALU_DEP_2) | instskip(NEXT) | instid1(VALU_DEP_2)
	v_add_f64 v[1:2], v[10:11], v[1:2]
	v_add_f64 v[3:4], v[12:13], v[4:5]
	s_delay_alu instid0(VALU_DEP_2) | instskip(NEXT) | instid1(VALU_DEP_2)
	v_add_f64 v[1:2], v[1:2], v[6:7]
	v_add_f64 v[3:4], v[3:4], v[8:9]
	s_waitcnt vmcnt(0)
	s_delay_alu instid0(VALU_DEP_2) | instskip(NEXT) | instid1(VALU_DEP_2)
	v_add_f64 v[1:2], v[30:31], -v[1:2]
	v_add_f64 v[3:4], v[32:33], -v[3:4]
	scratch_store_b128 off, v[1:4], off offset:720
	v_cmpx_lt_u32_e32 44, v150
	s_cbranch_execz .LBB115_237
; %bb.236:
	scratch_load_b128 v[1:4], v203, off
	v_mov_b32_e32 v5, 0
	s_delay_alu instid0(VALU_DEP_1)
	v_mov_b32_e32 v6, v5
	v_mov_b32_e32 v7, v5
	;; [unrolled: 1-line block ×3, first 2 shown]
	scratch_store_b128 off, v[5:8], off offset:704
	s_waitcnt vmcnt(0)
	ds_store_b128 v202, v[1:4]
.LBB115_237:
	s_or_b32 exec_lo, exec_lo, s2
	s_waitcnt lgkmcnt(0)
	s_waitcnt_vscnt null, 0x0
	s_barrier
	buffer_gl0_inv
	s_clause 0x6
	scratch_load_b128 v[2:5], off, off offset:720
	scratch_load_b128 v[6:9], off, off offset:736
	;; [unrolled: 1-line block ×7, first 2 shown]
	v_mov_b32_e32 v1, 0
	scratch_load_b128 v[34:37], off, off offset:704
	s_mov_b32 s2, exec_lo
	ds_load_b128 v[30:33], v1 offset:1552
	ds_load_b128 v[38:41], v1 offset:1568
	s_waitcnt vmcnt(7) lgkmcnt(1)
	v_mul_f64 v[42:43], v[32:33], v[4:5]
	v_mul_f64 v[4:5], v[30:31], v[4:5]
	s_waitcnt vmcnt(6) lgkmcnt(0)
	v_mul_f64 v[44:45], v[38:39], v[8:9]
	v_mul_f64 v[8:9], v[40:41], v[8:9]
	s_delay_alu instid0(VALU_DEP_4) | instskip(NEXT) | instid1(VALU_DEP_4)
	v_fma_f64 v[42:43], v[30:31], v[2:3], -v[42:43]
	v_fma_f64 v[153:154], v[32:33], v[2:3], v[4:5]
	ds_load_b128 v[2:5], v1 offset:1584
	ds_load_b128 v[30:33], v1 offset:1600
	v_fma_f64 v[40:41], v[40:41], v[6:7], v[44:45]
	v_fma_f64 v[6:7], v[38:39], v[6:7], -v[8:9]
	s_waitcnt vmcnt(5) lgkmcnt(1)
	v_mul_f64 v[155:156], v[2:3], v[12:13]
	v_mul_f64 v[12:13], v[4:5], v[12:13]
	v_add_f64 v[8:9], v[42:43], 0
	v_add_f64 v[38:39], v[153:154], 0
	s_waitcnt vmcnt(4) lgkmcnt(0)
	v_mul_f64 v[42:43], v[30:31], v[16:17]
	v_mul_f64 v[16:17], v[32:33], v[16:17]
	v_fma_f64 v[44:45], v[4:5], v[10:11], v[155:156]
	v_fma_f64 v[10:11], v[2:3], v[10:11], -v[12:13]
	v_add_f64 v[12:13], v[8:9], v[6:7]
	v_add_f64 v[38:39], v[38:39], v[40:41]
	ds_load_b128 v[2:5], v1 offset:1616
	ds_load_b128 v[6:9], v1 offset:1632
	v_fma_f64 v[32:33], v[32:33], v[14:15], v[42:43]
	v_fma_f64 v[14:15], v[30:31], v[14:15], -v[16:17]
	s_waitcnt vmcnt(3) lgkmcnt(1)
	v_mul_f64 v[40:41], v[2:3], v[20:21]
	v_mul_f64 v[20:21], v[4:5], v[20:21]
	s_waitcnt vmcnt(2) lgkmcnt(0)
	v_mul_f64 v[16:17], v[6:7], v[24:25]
	v_mul_f64 v[24:25], v[8:9], v[24:25]
	v_add_f64 v[10:11], v[12:13], v[10:11]
	v_add_f64 v[12:13], v[38:39], v[44:45]
	v_fma_f64 v[30:31], v[4:5], v[18:19], v[40:41]
	v_fma_f64 v[18:19], v[2:3], v[18:19], -v[20:21]
	ds_load_b128 v[2:5], v1 offset:1648
	v_fma_f64 v[8:9], v[8:9], v[22:23], v[16:17]
	v_fma_f64 v[6:7], v[6:7], v[22:23], -v[24:25]
	v_add_f64 v[10:11], v[10:11], v[14:15]
	v_add_f64 v[12:13], v[12:13], v[32:33]
	s_waitcnt vmcnt(1) lgkmcnt(0)
	v_mul_f64 v[14:15], v[2:3], v[28:29]
	v_mul_f64 v[20:21], v[4:5], v[28:29]
	s_delay_alu instid0(VALU_DEP_4) | instskip(NEXT) | instid1(VALU_DEP_4)
	v_add_f64 v[10:11], v[10:11], v[18:19]
	v_add_f64 v[12:13], v[12:13], v[30:31]
	s_delay_alu instid0(VALU_DEP_4) | instskip(NEXT) | instid1(VALU_DEP_4)
	v_fma_f64 v[4:5], v[4:5], v[26:27], v[14:15]
	v_fma_f64 v[2:3], v[2:3], v[26:27], -v[20:21]
	s_delay_alu instid0(VALU_DEP_4) | instskip(NEXT) | instid1(VALU_DEP_4)
	v_add_f64 v[6:7], v[10:11], v[6:7]
	v_add_f64 v[8:9], v[12:13], v[8:9]
	s_delay_alu instid0(VALU_DEP_2) | instskip(NEXT) | instid1(VALU_DEP_2)
	v_add_f64 v[2:3], v[6:7], v[2:3]
	v_add_f64 v[4:5], v[8:9], v[4:5]
	s_waitcnt vmcnt(0)
	s_delay_alu instid0(VALU_DEP_2) | instskip(NEXT) | instid1(VALU_DEP_2)
	v_add_f64 v[2:3], v[34:35], -v[2:3]
	v_add_f64 v[4:5], v[36:37], -v[4:5]
	scratch_store_b128 off, v[2:5], off offset:704
	v_cmpx_lt_u32_e32 43, v150
	s_cbranch_execz .LBB115_239
; %bb.238:
	scratch_load_b128 v[5:8], v204, off
	v_mov_b32_e32 v2, v1
	v_mov_b32_e32 v3, v1
	;; [unrolled: 1-line block ×3, first 2 shown]
	scratch_store_b128 off, v[1:4], off offset:688
	s_waitcnt vmcnt(0)
	ds_store_b128 v202, v[5:8]
.LBB115_239:
	s_or_b32 exec_lo, exec_lo, s2
	s_waitcnt lgkmcnt(0)
	s_waitcnt_vscnt null, 0x0
	s_barrier
	buffer_gl0_inv
	s_clause 0x7
	scratch_load_b128 v[2:5], off, off offset:704
	scratch_load_b128 v[6:9], off, off offset:720
	;; [unrolled: 1-line block ×8, first 2 shown]
	ds_load_b128 v[34:37], v1 offset:1536
	ds_load_b128 v[38:41], v1 offset:1552
	scratch_load_b128 v[42:45], off, off offset:688
	s_mov_b32 s2, exec_lo
	s_waitcnt vmcnt(8) lgkmcnt(1)
	v_mul_f64 v[153:154], v[36:37], v[4:5]
	v_mul_f64 v[4:5], v[34:35], v[4:5]
	s_waitcnt vmcnt(7) lgkmcnt(0)
	v_mul_f64 v[155:156], v[38:39], v[8:9]
	v_mul_f64 v[8:9], v[40:41], v[8:9]
	s_delay_alu instid0(VALU_DEP_4) | instskip(NEXT) | instid1(VALU_DEP_4)
	v_fma_f64 v[153:154], v[34:35], v[2:3], -v[153:154]
	v_fma_f64 v[163:164], v[36:37], v[2:3], v[4:5]
	ds_load_b128 v[2:5], v1 offset:1568
	ds_load_b128 v[34:37], v1 offset:1584
	v_fma_f64 v[40:41], v[40:41], v[6:7], v[155:156]
	v_fma_f64 v[6:7], v[38:39], v[6:7], -v[8:9]
	s_waitcnt vmcnt(6) lgkmcnt(1)
	v_mul_f64 v[166:167], v[2:3], v[12:13]
	v_mul_f64 v[12:13], v[4:5], v[12:13]
	v_add_f64 v[8:9], v[153:154], 0
	v_add_f64 v[38:39], v[163:164], 0
	s_waitcnt vmcnt(5) lgkmcnt(0)
	v_mul_f64 v[153:154], v[34:35], v[16:17]
	v_mul_f64 v[16:17], v[36:37], v[16:17]
	v_fma_f64 v[155:156], v[4:5], v[10:11], v[166:167]
	v_fma_f64 v[10:11], v[2:3], v[10:11], -v[12:13]
	v_add_f64 v[12:13], v[8:9], v[6:7]
	v_add_f64 v[38:39], v[38:39], v[40:41]
	ds_load_b128 v[2:5], v1 offset:1600
	ds_load_b128 v[6:9], v1 offset:1616
	v_fma_f64 v[36:37], v[36:37], v[14:15], v[153:154]
	v_fma_f64 v[14:15], v[34:35], v[14:15], -v[16:17]
	s_waitcnt vmcnt(4) lgkmcnt(1)
	v_mul_f64 v[40:41], v[2:3], v[20:21]
	v_mul_f64 v[20:21], v[4:5], v[20:21]
	s_waitcnt vmcnt(3) lgkmcnt(0)
	v_mul_f64 v[16:17], v[6:7], v[24:25]
	v_mul_f64 v[24:25], v[8:9], v[24:25]
	v_add_f64 v[10:11], v[12:13], v[10:11]
	v_add_f64 v[12:13], v[38:39], v[155:156]
	v_fma_f64 v[34:35], v[4:5], v[18:19], v[40:41]
	v_fma_f64 v[18:19], v[2:3], v[18:19], -v[20:21]
	v_fma_f64 v[8:9], v[8:9], v[22:23], v[16:17]
	v_fma_f64 v[6:7], v[6:7], v[22:23], -v[24:25]
	v_add_f64 v[14:15], v[10:11], v[14:15]
	v_add_f64 v[20:21], v[12:13], v[36:37]
	ds_load_b128 v[2:5], v1 offset:1632
	ds_load_b128 v[10:13], v1 offset:1648
	s_waitcnt vmcnt(2) lgkmcnt(1)
	v_mul_f64 v[36:37], v[2:3], v[28:29]
	v_mul_f64 v[28:29], v[4:5], v[28:29]
	v_add_f64 v[14:15], v[14:15], v[18:19]
	v_add_f64 v[16:17], v[20:21], v[34:35]
	s_waitcnt vmcnt(1) lgkmcnt(0)
	v_mul_f64 v[18:19], v[10:11], v[32:33]
	v_mul_f64 v[20:21], v[12:13], v[32:33]
	v_fma_f64 v[4:5], v[4:5], v[26:27], v[36:37]
	v_fma_f64 v[1:2], v[2:3], v[26:27], -v[28:29]
	v_add_f64 v[6:7], v[14:15], v[6:7]
	v_add_f64 v[8:9], v[16:17], v[8:9]
	v_fma_f64 v[12:13], v[12:13], v[30:31], v[18:19]
	v_fma_f64 v[10:11], v[10:11], v[30:31], -v[20:21]
	s_delay_alu instid0(VALU_DEP_4) | instskip(NEXT) | instid1(VALU_DEP_4)
	v_add_f64 v[1:2], v[6:7], v[1:2]
	v_add_f64 v[3:4], v[8:9], v[4:5]
	s_delay_alu instid0(VALU_DEP_2) | instskip(NEXT) | instid1(VALU_DEP_2)
	v_add_f64 v[1:2], v[1:2], v[10:11]
	v_add_f64 v[3:4], v[3:4], v[12:13]
	s_waitcnt vmcnt(0)
	s_delay_alu instid0(VALU_DEP_2) | instskip(NEXT) | instid1(VALU_DEP_2)
	v_add_f64 v[1:2], v[42:43], -v[1:2]
	v_add_f64 v[3:4], v[44:45], -v[3:4]
	scratch_store_b128 off, v[1:4], off offset:688
	v_cmpx_lt_u32_e32 42, v150
	s_cbranch_execz .LBB115_241
; %bb.240:
	scratch_load_b128 v[1:4], v205, off
	v_mov_b32_e32 v5, 0
	s_delay_alu instid0(VALU_DEP_1)
	v_mov_b32_e32 v6, v5
	v_mov_b32_e32 v7, v5
	;; [unrolled: 1-line block ×3, first 2 shown]
	scratch_store_b128 off, v[5:8], off offset:672
	s_waitcnt vmcnt(0)
	ds_store_b128 v202, v[1:4]
.LBB115_241:
	s_or_b32 exec_lo, exec_lo, s2
	s_waitcnt lgkmcnt(0)
	s_waitcnt_vscnt null, 0x0
	s_barrier
	buffer_gl0_inv
	s_clause 0x7
	scratch_load_b128 v[2:5], off, off offset:688
	scratch_load_b128 v[6:9], off, off offset:704
	;; [unrolled: 1-line block ×8, first 2 shown]
	v_mov_b32_e32 v1, 0
	scratch_load_b128 v[38:41], off, off offset:816
	s_mov_b32 s2, exec_lo
	ds_load_b128 v[34:37], v1 offset:1520
	ds_load_b128 v[42:45], v1 offset:1536
	s_waitcnt vmcnt(8) lgkmcnt(1)
	v_mul_f64 v[153:154], v[36:37], v[4:5]
	v_mul_f64 v[4:5], v[34:35], v[4:5]
	s_waitcnt vmcnt(7) lgkmcnt(0)
	v_mul_f64 v[155:156], v[42:43], v[8:9]
	v_mul_f64 v[8:9], v[44:45], v[8:9]
	s_delay_alu instid0(VALU_DEP_4) | instskip(NEXT) | instid1(VALU_DEP_4)
	v_fma_f64 v[34:35], v[34:35], v[2:3], -v[153:154]
	v_fma_f64 v[36:37], v[36:37], v[2:3], v[4:5]
	ds_load_b128 v[2:5], v1 offset:1552
	v_fma_f64 v[44:45], v[44:45], v[6:7], v[155:156]
	v_fma_f64 v[42:43], v[42:43], v[6:7], -v[8:9]
	ds_load_b128 v[6:9], v1 offset:1568
	s_waitcnt vmcnt(6) lgkmcnt(1)
	v_mul_f64 v[153:154], v[2:3], v[12:13]
	v_mul_f64 v[12:13], v[4:5], v[12:13]
	s_waitcnt vmcnt(5) lgkmcnt(0)
	v_mul_f64 v[166:167], v[6:7], v[16:17]
	v_mul_f64 v[16:17], v[8:9], v[16:17]
	v_add_f64 v[155:156], v[34:35], 0
	v_add_f64 v[163:164], v[36:37], 0
	scratch_load_b128 v[34:37], off, off offset:672
	v_fma_f64 v[153:154], v[4:5], v[10:11], v[153:154]
	v_fma_f64 v[10:11], v[2:3], v[10:11], -v[12:13]
	ds_load_b128 v[2:5], v1 offset:1584
	v_add_f64 v[12:13], v[155:156], v[42:43]
	v_add_f64 v[42:43], v[163:164], v[44:45]
	v_fma_f64 v[155:156], v[8:9], v[14:15], v[166:167]
	v_fma_f64 v[14:15], v[6:7], v[14:15], -v[16:17]
	ds_load_b128 v[6:9], v1 offset:1600
	s_waitcnt vmcnt(5) lgkmcnt(1)
	v_mul_f64 v[44:45], v[2:3], v[20:21]
	v_mul_f64 v[20:21], v[4:5], v[20:21]
	s_waitcnt vmcnt(4) lgkmcnt(0)
	v_mul_f64 v[16:17], v[6:7], v[24:25]
	v_mul_f64 v[24:25], v[8:9], v[24:25]
	v_add_f64 v[10:11], v[12:13], v[10:11]
	v_add_f64 v[12:13], v[42:43], v[153:154]
	v_fma_f64 v[42:43], v[4:5], v[18:19], v[44:45]
	v_fma_f64 v[18:19], v[2:3], v[18:19], -v[20:21]
	ds_load_b128 v[2:5], v1 offset:1616
	v_fma_f64 v[16:17], v[8:9], v[22:23], v[16:17]
	v_fma_f64 v[22:23], v[6:7], v[22:23], -v[24:25]
	ds_load_b128 v[6:9], v1 offset:1632
	s_waitcnt vmcnt(3) lgkmcnt(1)
	v_mul_f64 v[20:21], v[4:5], v[28:29]
	v_add_f64 v[10:11], v[10:11], v[14:15]
	v_add_f64 v[12:13], v[12:13], v[155:156]
	v_mul_f64 v[14:15], v[2:3], v[28:29]
	s_waitcnt vmcnt(2) lgkmcnt(0)
	v_mul_f64 v[24:25], v[8:9], v[32:33]
	v_fma_f64 v[20:21], v[2:3], v[26:27], -v[20:21]
	v_add_f64 v[10:11], v[10:11], v[18:19]
	v_add_f64 v[12:13], v[12:13], v[42:43]
	v_mul_f64 v[18:19], v[6:7], v[32:33]
	v_fma_f64 v[14:15], v[4:5], v[26:27], v[14:15]
	ds_load_b128 v[2:5], v1 offset:1648
	v_fma_f64 v[6:7], v[6:7], v[30:31], -v[24:25]
	v_add_f64 v[10:11], v[10:11], v[22:23]
	v_add_f64 v[12:13], v[12:13], v[16:17]
	s_waitcnt vmcnt(1) lgkmcnt(0)
	v_mul_f64 v[16:17], v[2:3], v[40:41]
	v_mul_f64 v[22:23], v[4:5], v[40:41]
	v_fma_f64 v[8:9], v[8:9], v[30:31], v[18:19]
	v_add_f64 v[10:11], v[10:11], v[20:21]
	v_add_f64 v[12:13], v[12:13], v[14:15]
	v_fma_f64 v[4:5], v[4:5], v[38:39], v[16:17]
	v_fma_f64 v[2:3], v[2:3], v[38:39], -v[22:23]
	s_delay_alu instid0(VALU_DEP_4) | instskip(NEXT) | instid1(VALU_DEP_4)
	v_add_f64 v[6:7], v[10:11], v[6:7]
	v_add_f64 v[8:9], v[12:13], v[8:9]
	s_delay_alu instid0(VALU_DEP_2) | instskip(NEXT) | instid1(VALU_DEP_2)
	v_add_f64 v[2:3], v[6:7], v[2:3]
	v_add_f64 v[4:5], v[8:9], v[4:5]
	s_waitcnt vmcnt(0)
	s_delay_alu instid0(VALU_DEP_2) | instskip(NEXT) | instid1(VALU_DEP_2)
	v_add_f64 v[2:3], v[34:35], -v[2:3]
	v_add_f64 v[4:5], v[36:37], -v[4:5]
	scratch_store_b128 off, v[2:5], off offset:672
	v_cmpx_lt_u32_e32 41, v150
	s_cbranch_execz .LBB115_243
; %bb.242:
	scratch_load_b128 v[5:8], v206, off
	v_mov_b32_e32 v2, v1
	v_mov_b32_e32 v3, v1
	;; [unrolled: 1-line block ×3, first 2 shown]
	scratch_store_b128 off, v[1:4], off offset:656
	s_waitcnt vmcnt(0)
	ds_store_b128 v202, v[5:8]
.LBB115_243:
	s_or_b32 exec_lo, exec_lo, s2
	s_waitcnt lgkmcnt(0)
	s_waitcnt_vscnt null, 0x0
	s_barrier
	buffer_gl0_inv
	s_clause 0x7
	scratch_load_b128 v[2:5], off, off offset:672
	scratch_load_b128 v[6:9], off, off offset:688
	scratch_load_b128 v[10:13], off, off offset:704
	scratch_load_b128 v[14:17], off, off offset:720
	scratch_load_b128 v[18:21], off, off offset:736
	scratch_load_b128 v[22:25], off, off offset:752
	scratch_load_b128 v[26:29], off, off offset:768
	scratch_load_b128 v[30:33], off, off offset:784
	ds_load_b128 v[34:37], v1 offset:1504
	ds_load_b128 v[42:45], v1 offset:1520
	s_clause 0x1
	scratch_load_b128 v[38:41], off, off offset:800
	scratch_load_b128 v[153:156], off, off offset:816
	s_mov_b32 s2, exec_lo
	s_waitcnt vmcnt(9) lgkmcnt(1)
	v_mul_f64 v[163:164], v[36:37], v[4:5]
	v_mul_f64 v[4:5], v[34:35], v[4:5]
	s_waitcnt vmcnt(8) lgkmcnt(0)
	v_mul_f64 v[166:167], v[42:43], v[8:9]
	v_mul_f64 v[8:9], v[44:45], v[8:9]
	s_delay_alu instid0(VALU_DEP_4) | instskip(NEXT) | instid1(VALU_DEP_4)
	v_fma_f64 v[34:35], v[34:35], v[2:3], -v[163:164]
	v_fma_f64 v[36:37], v[36:37], v[2:3], v[4:5]
	ds_load_b128 v[2:5], v1 offset:1536
	v_fma_f64 v[44:45], v[44:45], v[6:7], v[166:167]
	v_fma_f64 v[42:43], v[42:43], v[6:7], -v[8:9]
	ds_load_b128 v[6:9], v1 offset:1552
	s_waitcnt vmcnt(7) lgkmcnt(1)
	v_mul_f64 v[163:164], v[2:3], v[12:13]
	v_mul_f64 v[12:13], v[4:5], v[12:13]
	s_waitcnt vmcnt(6) lgkmcnt(0)
	v_mul_f64 v[166:167], v[6:7], v[16:17]
	v_mul_f64 v[16:17], v[8:9], v[16:17]
	v_add_f64 v[34:35], v[34:35], 0
	v_add_f64 v[36:37], v[36:37], 0
	v_fma_f64 v[163:164], v[4:5], v[10:11], v[163:164]
	v_fma_f64 v[168:169], v[2:3], v[10:11], -v[12:13]
	ds_load_b128 v[2:5], v1 offset:1568
	scratch_load_b128 v[10:13], off, off offset:656
	v_add_f64 v[34:35], v[34:35], v[42:43]
	v_add_f64 v[36:37], v[36:37], v[44:45]
	v_fma_f64 v[44:45], v[8:9], v[14:15], v[166:167]
	v_fma_f64 v[14:15], v[6:7], v[14:15], -v[16:17]
	ds_load_b128 v[6:9], v1 offset:1584
	s_waitcnt vmcnt(6) lgkmcnt(1)
	v_mul_f64 v[42:43], v[2:3], v[20:21]
	v_mul_f64 v[20:21], v[4:5], v[20:21]
	v_add_f64 v[16:17], v[34:35], v[168:169]
	v_add_f64 v[34:35], v[36:37], v[163:164]
	s_waitcnt vmcnt(5) lgkmcnt(0)
	v_mul_f64 v[36:37], v[6:7], v[24:25]
	v_mul_f64 v[24:25], v[8:9], v[24:25]
	v_fma_f64 v[42:43], v[4:5], v[18:19], v[42:43]
	v_fma_f64 v[18:19], v[2:3], v[18:19], -v[20:21]
	ds_load_b128 v[2:5], v1 offset:1600
	v_add_f64 v[14:15], v[16:17], v[14:15]
	v_add_f64 v[16:17], v[34:35], v[44:45]
	v_fma_f64 v[34:35], v[8:9], v[22:23], v[36:37]
	v_fma_f64 v[22:23], v[6:7], v[22:23], -v[24:25]
	ds_load_b128 v[6:9], v1 offset:1616
	s_waitcnt vmcnt(4) lgkmcnt(1)
	v_mul_f64 v[20:21], v[2:3], v[28:29]
	v_mul_f64 v[28:29], v[4:5], v[28:29]
	s_waitcnt vmcnt(3) lgkmcnt(0)
	v_mul_f64 v[24:25], v[8:9], v[32:33]
	v_add_f64 v[14:15], v[14:15], v[18:19]
	v_add_f64 v[16:17], v[16:17], v[42:43]
	v_mul_f64 v[18:19], v[6:7], v[32:33]
	v_fma_f64 v[20:21], v[4:5], v[26:27], v[20:21]
	v_fma_f64 v[26:27], v[2:3], v[26:27], -v[28:29]
	ds_load_b128 v[2:5], v1 offset:1632
	v_fma_f64 v[24:25], v[6:7], v[30:31], -v[24:25]
	v_add_f64 v[14:15], v[14:15], v[22:23]
	v_add_f64 v[16:17], v[16:17], v[34:35]
	v_fma_f64 v[18:19], v[8:9], v[30:31], v[18:19]
	ds_load_b128 v[6:9], v1 offset:1648
	s_waitcnt vmcnt(2) lgkmcnt(1)
	v_mul_f64 v[22:23], v[2:3], v[40:41]
	v_mul_f64 v[28:29], v[4:5], v[40:41]
	v_add_f64 v[14:15], v[14:15], v[26:27]
	v_add_f64 v[16:17], v[16:17], v[20:21]
	s_waitcnt vmcnt(1) lgkmcnt(0)
	v_mul_f64 v[20:21], v[6:7], v[155:156]
	v_mul_f64 v[26:27], v[8:9], v[155:156]
	v_fma_f64 v[4:5], v[4:5], v[38:39], v[22:23]
	v_fma_f64 v[1:2], v[2:3], v[38:39], -v[28:29]
	v_add_f64 v[14:15], v[14:15], v[24:25]
	v_add_f64 v[16:17], v[16:17], v[18:19]
	v_fma_f64 v[8:9], v[8:9], v[153:154], v[20:21]
	v_fma_f64 v[6:7], v[6:7], v[153:154], -v[26:27]
	s_delay_alu instid0(VALU_DEP_4) | instskip(NEXT) | instid1(VALU_DEP_4)
	v_add_f64 v[1:2], v[14:15], v[1:2]
	v_add_f64 v[3:4], v[16:17], v[4:5]
	s_delay_alu instid0(VALU_DEP_2) | instskip(NEXT) | instid1(VALU_DEP_2)
	v_add_f64 v[1:2], v[1:2], v[6:7]
	v_add_f64 v[3:4], v[3:4], v[8:9]
	s_waitcnt vmcnt(0)
	s_delay_alu instid0(VALU_DEP_2) | instskip(NEXT) | instid1(VALU_DEP_2)
	v_add_f64 v[1:2], v[10:11], -v[1:2]
	v_add_f64 v[3:4], v[12:13], -v[3:4]
	scratch_store_b128 off, v[1:4], off offset:656
	v_cmpx_lt_u32_e32 40, v150
	s_cbranch_execz .LBB115_245
; %bb.244:
	scratch_load_b128 v[1:4], v207, off
	v_mov_b32_e32 v5, 0
	s_delay_alu instid0(VALU_DEP_1)
	v_mov_b32_e32 v6, v5
	v_mov_b32_e32 v7, v5
	;; [unrolled: 1-line block ×3, first 2 shown]
	scratch_store_b128 off, v[5:8], off offset:640
	s_waitcnt vmcnt(0)
	ds_store_b128 v202, v[1:4]
.LBB115_245:
	s_or_b32 exec_lo, exec_lo, s2
	s_waitcnt lgkmcnt(0)
	s_waitcnt_vscnt null, 0x0
	s_barrier
	buffer_gl0_inv
	s_clause 0x7
	scratch_load_b128 v[2:5], off, off offset:656
	scratch_load_b128 v[6:9], off, off offset:672
	;; [unrolled: 1-line block ×8, first 2 shown]
	v_mov_b32_e32 v1, 0
	s_clause 0x1
	scratch_load_b128 v[38:41], off, off offset:784
	scratch_load_b128 v[153:156], off, off offset:800
	s_mov_b32 s2, exec_lo
	ds_load_b128 v[34:37], v1 offset:1488
	ds_load_b128 v[42:45], v1 offset:1504
	s_waitcnt vmcnt(9) lgkmcnt(1)
	v_mul_f64 v[163:164], v[36:37], v[4:5]
	v_mul_f64 v[4:5], v[34:35], v[4:5]
	s_waitcnt vmcnt(8) lgkmcnt(0)
	v_mul_f64 v[166:167], v[42:43], v[8:9]
	v_mul_f64 v[8:9], v[44:45], v[8:9]
	s_delay_alu instid0(VALU_DEP_4) | instskip(NEXT) | instid1(VALU_DEP_4)
	v_fma_f64 v[163:164], v[34:35], v[2:3], -v[163:164]
	v_fma_f64 v[168:169], v[36:37], v[2:3], v[4:5]
	ds_load_b128 v[2:5], v1 offset:1520
	scratch_load_b128 v[34:37], off, off offset:816
	v_fma_f64 v[44:45], v[44:45], v[6:7], v[166:167]
	v_fma_f64 v[42:43], v[42:43], v[6:7], -v[8:9]
	ds_load_b128 v[6:9], v1 offset:1536
	s_waitcnt vmcnt(8) lgkmcnt(1)
	v_mul_f64 v[217:218], v[2:3], v[12:13]
	v_mul_f64 v[12:13], v[4:5], v[12:13]
	v_add_f64 v[163:164], v[163:164], 0
	v_add_f64 v[166:167], v[168:169], 0
	s_waitcnt vmcnt(7) lgkmcnt(0)
	v_mul_f64 v[168:169], v[6:7], v[16:17]
	v_mul_f64 v[16:17], v[8:9], v[16:17]
	v_fma_f64 v[217:218], v[4:5], v[10:11], v[217:218]
	v_fma_f64 v[10:11], v[2:3], v[10:11], -v[12:13]
	ds_load_b128 v[2:5], v1 offset:1552
	v_add_f64 v[12:13], v[163:164], v[42:43]
	v_add_f64 v[42:43], v[166:167], v[44:45]
	v_fma_f64 v[163:164], v[8:9], v[14:15], v[168:169]
	v_fma_f64 v[14:15], v[6:7], v[14:15], -v[16:17]
	ds_load_b128 v[6:9], v1 offset:1568
	s_waitcnt vmcnt(6) lgkmcnt(1)
	v_mul_f64 v[44:45], v[2:3], v[20:21]
	v_mul_f64 v[20:21], v[4:5], v[20:21]
	s_waitcnt vmcnt(5) lgkmcnt(0)
	v_mul_f64 v[166:167], v[6:7], v[24:25]
	v_mul_f64 v[24:25], v[8:9], v[24:25]
	v_add_f64 v[16:17], v[12:13], v[10:11]
	v_add_f64 v[42:43], v[42:43], v[217:218]
	scratch_load_b128 v[10:13], off, off offset:640
	v_fma_f64 v[44:45], v[4:5], v[18:19], v[44:45]
	v_fma_f64 v[18:19], v[2:3], v[18:19], -v[20:21]
	ds_load_b128 v[2:5], v1 offset:1584
	v_add_f64 v[14:15], v[16:17], v[14:15]
	v_add_f64 v[16:17], v[42:43], v[163:164]
	v_fma_f64 v[42:43], v[8:9], v[22:23], v[166:167]
	v_fma_f64 v[22:23], v[6:7], v[22:23], -v[24:25]
	ds_load_b128 v[6:9], v1 offset:1600
	s_waitcnt vmcnt(5) lgkmcnt(1)
	v_mul_f64 v[20:21], v[2:3], v[28:29]
	v_mul_f64 v[28:29], v[4:5], v[28:29]
	s_waitcnt vmcnt(4) lgkmcnt(0)
	v_mul_f64 v[24:25], v[8:9], v[32:33]
	v_add_f64 v[14:15], v[14:15], v[18:19]
	v_add_f64 v[16:17], v[16:17], v[44:45]
	v_mul_f64 v[18:19], v[6:7], v[32:33]
	v_fma_f64 v[20:21], v[4:5], v[26:27], v[20:21]
	v_fma_f64 v[26:27], v[2:3], v[26:27], -v[28:29]
	ds_load_b128 v[2:5], v1 offset:1616
	v_fma_f64 v[24:25], v[6:7], v[30:31], -v[24:25]
	v_add_f64 v[14:15], v[14:15], v[22:23]
	v_add_f64 v[16:17], v[16:17], v[42:43]
	v_fma_f64 v[18:19], v[8:9], v[30:31], v[18:19]
	ds_load_b128 v[6:9], v1 offset:1632
	s_waitcnt vmcnt(3) lgkmcnt(1)
	v_mul_f64 v[22:23], v[2:3], v[40:41]
	v_mul_f64 v[28:29], v[4:5], v[40:41]
	v_add_f64 v[14:15], v[14:15], v[26:27]
	v_add_f64 v[16:17], v[16:17], v[20:21]
	s_waitcnt vmcnt(2) lgkmcnt(0)
	v_mul_f64 v[20:21], v[6:7], v[155:156]
	v_mul_f64 v[26:27], v[8:9], v[155:156]
	v_fma_f64 v[22:23], v[4:5], v[38:39], v[22:23]
	v_fma_f64 v[28:29], v[2:3], v[38:39], -v[28:29]
	ds_load_b128 v[2:5], v1 offset:1648
	v_add_f64 v[14:15], v[14:15], v[24:25]
	v_add_f64 v[16:17], v[16:17], v[18:19]
	v_fma_f64 v[8:9], v[8:9], v[153:154], v[20:21]
	v_fma_f64 v[6:7], v[6:7], v[153:154], -v[26:27]
	s_waitcnt vmcnt(1) lgkmcnt(0)
	v_mul_f64 v[18:19], v[2:3], v[36:37]
	v_mul_f64 v[24:25], v[4:5], v[36:37]
	v_add_f64 v[14:15], v[14:15], v[28:29]
	v_add_f64 v[16:17], v[16:17], v[22:23]
	s_delay_alu instid0(VALU_DEP_4) | instskip(NEXT) | instid1(VALU_DEP_4)
	v_fma_f64 v[4:5], v[4:5], v[34:35], v[18:19]
	v_fma_f64 v[2:3], v[2:3], v[34:35], -v[24:25]
	s_delay_alu instid0(VALU_DEP_4) | instskip(NEXT) | instid1(VALU_DEP_4)
	v_add_f64 v[6:7], v[14:15], v[6:7]
	v_add_f64 v[8:9], v[16:17], v[8:9]
	s_delay_alu instid0(VALU_DEP_2) | instskip(NEXT) | instid1(VALU_DEP_2)
	v_add_f64 v[2:3], v[6:7], v[2:3]
	v_add_f64 v[4:5], v[8:9], v[4:5]
	s_waitcnt vmcnt(0)
	s_delay_alu instid0(VALU_DEP_2) | instskip(NEXT) | instid1(VALU_DEP_2)
	v_add_f64 v[2:3], v[10:11], -v[2:3]
	v_add_f64 v[4:5], v[12:13], -v[4:5]
	scratch_store_b128 off, v[2:5], off offset:640
	v_cmpx_lt_u32_e32 39, v150
	s_cbranch_execz .LBB115_247
; %bb.246:
	scratch_load_b128 v[5:8], v208, off
	v_mov_b32_e32 v2, v1
	v_mov_b32_e32 v3, v1
	;; [unrolled: 1-line block ×3, first 2 shown]
	scratch_store_b128 off, v[1:4], off offset:624
	s_waitcnt vmcnt(0)
	ds_store_b128 v202, v[5:8]
.LBB115_247:
	s_or_b32 exec_lo, exec_lo, s2
	s_waitcnt lgkmcnt(0)
	s_waitcnt_vscnt null, 0x0
	s_barrier
	buffer_gl0_inv
	s_clause 0x8
	scratch_load_b128 v[2:5], off, off offset:640
	scratch_load_b128 v[6:9], off, off offset:656
	;; [unrolled: 1-line block ×9, first 2 shown]
	ds_load_b128 v[38:41], v1 offset:1472
	ds_load_b128 v[42:45], v1 offset:1488
	s_clause 0x1
	scratch_load_b128 v[153:156], off, off offset:624
	scratch_load_b128 v[166:169], off, off offset:784
	s_mov_b32 s2, exec_lo
	ds_load_b128 v[217:220], v1 offset:1520
	s_waitcnt vmcnt(10) lgkmcnt(2)
	v_mul_f64 v[163:164], v[40:41], v[4:5]
	v_mul_f64 v[4:5], v[38:39], v[4:5]
	s_waitcnt vmcnt(9) lgkmcnt(1)
	v_mul_f64 v[221:222], v[42:43], v[8:9]
	v_mul_f64 v[8:9], v[44:45], v[8:9]
	s_delay_alu instid0(VALU_DEP_4) | instskip(NEXT) | instid1(VALU_DEP_4)
	v_fma_f64 v[163:164], v[38:39], v[2:3], -v[163:164]
	v_fma_f64 v[223:224], v[40:41], v[2:3], v[4:5]
	ds_load_b128 v[2:5], v1 offset:1504
	scratch_load_b128 v[38:41], off, off offset:800
	v_fma_f64 v[44:45], v[44:45], v[6:7], v[221:222]
	v_fma_f64 v[42:43], v[42:43], v[6:7], -v[8:9]
	scratch_load_b128 v[6:9], off, off offset:816
	s_waitcnt vmcnt(10) lgkmcnt(0)
	v_mul_f64 v[225:226], v[2:3], v[12:13]
	v_mul_f64 v[12:13], v[4:5], v[12:13]
	v_add_f64 v[163:164], v[163:164], 0
	v_add_f64 v[221:222], v[223:224], 0
	s_waitcnt vmcnt(9)
	v_mul_f64 v[223:224], v[217:218], v[16:17]
	v_mul_f64 v[16:17], v[219:220], v[16:17]
	v_fma_f64 v[225:226], v[4:5], v[10:11], v[225:226]
	v_fma_f64 v[227:228], v[2:3], v[10:11], -v[12:13]
	ds_load_b128 v[2:5], v1 offset:1536
	ds_load_b128 v[10:13], v1 offset:1552
	v_add_f64 v[42:43], v[163:164], v[42:43]
	v_add_f64 v[44:45], v[221:222], v[44:45]
	v_fma_f64 v[219:220], v[219:220], v[14:15], v[223:224]
	v_fma_f64 v[14:15], v[217:218], v[14:15], -v[16:17]
	s_waitcnt vmcnt(8) lgkmcnt(1)
	v_mul_f64 v[163:164], v[2:3], v[20:21]
	v_mul_f64 v[20:21], v[4:5], v[20:21]
	v_add_f64 v[16:17], v[42:43], v[227:228]
	v_add_f64 v[42:43], v[44:45], v[225:226]
	s_waitcnt vmcnt(7) lgkmcnt(0)
	v_mul_f64 v[44:45], v[10:11], v[24:25]
	v_mul_f64 v[24:25], v[12:13], v[24:25]
	v_fma_f64 v[163:164], v[4:5], v[18:19], v[163:164]
	v_fma_f64 v[18:19], v[2:3], v[18:19], -v[20:21]
	v_add_f64 v[20:21], v[16:17], v[14:15]
	v_add_f64 v[42:43], v[42:43], v[219:220]
	ds_load_b128 v[2:5], v1 offset:1568
	ds_load_b128 v[14:17], v1 offset:1584
	v_fma_f64 v[12:13], v[12:13], v[22:23], v[44:45]
	v_fma_f64 v[10:11], v[10:11], v[22:23], -v[24:25]
	s_waitcnt vmcnt(6) lgkmcnt(1)
	v_mul_f64 v[217:218], v[2:3], v[28:29]
	v_mul_f64 v[28:29], v[4:5], v[28:29]
	s_waitcnt vmcnt(5) lgkmcnt(0)
	v_mul_f64 v[22:23], v[14:15], v[32:33]
	v_mul_f64 v[24:25], v[16:17], v[32:33]
	v_add_f64 v[18:19], v[20:21], v[18:19]
	v_add_f64 v[20:21], v[42:43], v[163:164]
	v_fma_f64 v[32:33], v[4:5], v[26:27], v[217:218]
	v_fma_f64 v[26:27], v[2:3], v[26:27], -v[28:29]
	v_fma_f64 v[16:17], v[16:17], v[30:31], v[22:23]
	v_fma_f64 v[14:15], v[14:15], v[30:31], -v[24:25]
	v_add_f64 v[18:19], v[18:19], v[10:11]
	v_add_f64 v[20:21], v[20:21], v[12:13]
	ds_load_b128 v[2:5], v1 offset:1600
	ds_load_b128 v[10:13], v1 offset:1616
	s_waitcnt vmcnt(4) lgkmcnt(1)
	v_mul_f64 v[28:29], v[2:3], v[36:37]
	v_mul_f64 v[36:37], v[4:5], v[36:37]
	s_waitcnt vmcnt(2) lgkmcnt(0)
	v_mul_f64 v[22:23], v[10:11], v[168:169]
	v_mul_f64 v[24:25], v[12:13], v[168:169]
	v_add_f64 v[18:19], v[18:19], v[26:27]
	v_add_f64 v[20:21], v[20:21], v[32:33]
	v_fma_f64 v[26:27], v[4:5], v[34:35], v[28:29]
	v_fma_f64 v[28:29], v[2:3], v[34:35], -v[36:37]
	v_fma_f64 v[12:13], v[12:13], v[166:167], v[22:23]
	v_fma_f64 v[10:11], v[10:11], v[166:167], -v[24:25]
	v_add_f64 v[18:19], v[18:19], v[14:15]
	v_add_f64 v[20:21], v[20:21], v[16:17]
	ds_load_b128 v[2:5], v1 offset:1632
	ds_load_b128 v[14:17], v1 offset:1648
	s_waitcnt vmcnt(1) lgkmcnt(1)
	v_mul_f64 v[30:31], v[2:3], v[40:41]
	v_mul_f64 v[32:33], v[4:5], v[40:41]
	s_waitcnt vmcnt(0) lgkmcnt(0)
	v_mul_f64 v[22:23], v[14:15], v[8:9]
	v_mul_f64 v[8:9], v[16:17], v[8:9]
	v_add_f64 v[18:19], v[18:19], v[28:29]
	v_add_f64 v[20:21], v[20:21], v[26:27]
	v_fma_f64 v[4:5], v[4:5], v[38:39], v[30:31]
	v_fma_f64 v[1:2], v[2:3], v[38:39], -v[32:33]
	v_fma_f64 v[16:17], v[16:17], v[6:7], v[22:23]
	v_fma_f64 v[6:7], v[14:15], v[6:7], -v[8:9]
	v_add_f64 v[10:11], v[18:19], v[10:11]
	v_add_f64 v[12:13], v[20:21], v[12:13]
	s_delay_alu instid0(VALU_DEP_2) | instskip(NEXT) | instid1(VALU_DEP_2)
	v_add_f64 v[1:2], v[10:11], v[1:2]
	v_add_f64 v[3:4], v[12:13], v[4:5]
	s_delay_alu instid0(VALU_DEP_2) | instskip(NEXT) | instid1(VALU_DEP_2)
	;; [unrolled: 3-line block ×3, first 2 shown]
	v_add_f64 v[1:2], v[153:154], -v[1:2]
	v_add_f64 v[3:4], v[155:156], -v[3:4]
	scratch_store_b128 off, v[1:4], off offset:624
	v_cmpx_lt_u32_e32 38, v150
	s_cbranch_execz .LBB115_249
; %bb.248:
	scratch_load_b128 v[1:4], v209, off
	v_mov_b32_e32 v5, 0
	s_delay_alu instid0(VALU_DEP_1)
	v_mov_b32_e32 v6, v5
	v_mov_b32_e32 v7, v5
	;; [unrolled: 1-line block ×3, first 2 shown]
	scratch_store_b128 off, v[5:8], off offset:608
	s_waitcnt vmcnt(0)
	ds_store_b128 v202, v[1:4]
.LBB115_249:
	s_or_b32 exec_lo, exec_lo, s2
	s_waitcnt lgkmcnt(0)
	s_waitcnt_vscnt null, 0x0
	s_barrier
	buffer_gl0_inv
	s_clause 0x7
	scratch_load_b128 v[2:5], off, off offset:624
	scratch_load_b128 v[6:9], off, off offset:640
	scratch_load_b128 v[10:13], off, off offset:656
	scratch_load_b128 v[14:17], off, off offset:672
	scratch_load_b128 v[18:21], off, off offset:688
	scratch_load_b128 v[22:25], off, off offset:704
	scratch_load_b128 v[26:29], off, off offset:720
	scratch_load_b128 v[30:33], off, off offset:736
	v_mov_b32_e32 v1, 0
	s_mov_b32 s2, exec_lo
	ds_load_b128 v[34:37], v1 offset:1456
	s_clause 0x1
	scratch_load_b128 v[38:41], off, off offset:752
	scratch_load_b128 v[42:45], off, off offset:608
	ds_load_b128 v[153:156], v1 offset:1472
	scratch_load_b128 v[166:169], off, off offset:768
	ds_load_b128 v[217:220], v1 offset:1504
	s_waitcnt vmcnt(10) lgkmcnt(2)
	v_mul_f64 v[163:164], v[36:37], v[4:5]
	v_mul_f64 v[4:5], v[34:35], v[4:5]
	s_delay_alu instid0(VALU_DEP_2) | instskip(NEXT) | instid1(VALU_DEP_2)
	v_fma_f64 v[163:164], v[34:35], v[2:3], -v[163:164]
	v_fma_f64 v[223:224], v[36:37], v[2:3], v[4:5]
	ds_load_b128 v[2:5], v1 offset:1488
	s_waitcnt vmcnt(9) lgkmcnt(2)
	v_mul_f64 v[221:222], v[153:154], v[8:9]
	v_mul_f64 v[8:9], v[155:156], v[8:9]
	scratch_load_b128 v[34:37], off, off offset:784
	s_waitcnt vmcnt(9) lgkmcnt(0)
	v_mul_f64 v[225:226], v[2:3], v[12:13]
	v_mul_f64 v[12:13], v[4:5], v[12:13]
	v_add_f64 v[163:164], v[163:164], 0
	v_fma_f64 v[155:156], v[155:156], v[6:7], v[221:222]
	v_fma_f64 v[153:154], v[153:154], v[6:7], -v[8:9]
	v_add_f64 v[221:222], v[223:224], 0
	scratch_load_b128 v[6:9], off, off offset:800
	v_fma_f64 v[225:226], v[4:5], v[10:11], v[225:226]
	v_fma_f64 v[227:228], v[2:3], v[10:11], -v[12:13]
	scratch_load_b128 v[10:13], off, off offset:816
	ds_load_b128 v[2:5], v1 offset:1520
	s_waitcnt vmcnt(10)
	v_mul_f64 v[223:224], v[217:218], v[16:17]
	v_mul_f64 v[16:17], v[219:220], v[16:17]
	v_add_f64 v[163:164], v[163:164], v[153:154]
	v_add_f64 v[221:222], v[221:222], v[155:156]
	ds_load_b128 v[153:156], v1 offset:1536
	s_waitcnt vmcnt(9) lgkmcnt(1)
	v_mul_f64 v[229:230], v[2:3], v[20:21]
	v_mul_f64 v[20:21], v[4:5], v[20:21]
	v_fma_f64 v[219:220], v[219:220], v[14:15], v[223:224]
	v_fma_f64 v[14:15], v[217:218], v[14:15], -v[16:17]
	s_waitcnt vmcnt(8) lgkmcnt(0)
	v_mul_f64 v[217:218], v[153:154], v[24:25]
	v_mul_f64 v[24:25], v[155:156], v[24:25]
	v_add_f64 v[16:17], v[163:164], v[227:228]
	v_add_f64 v[163:164], v[221:222], v[225:226]
	v_fma_f64 v[221:222], v[4:5], v[18:19], v[229:230]
	v_fma_f64 v[18:19], v[2:3], v[18:19], -v[20:21]
	v_fma_f64 v[155:156], v[155:156], v[22:23], v[217:218]
	v_fma_f64 v[22:23], v[153:154], v[22:23], -v[24:25]
	v_add_f64 v[20:21], v[16:17], v[14:15]
	v_add_f64 v[163:164], v[163:164], v[219:220]
	ds_load_b128 v[2:5], v1 offset:1552
	ds_load_b128 v[14:17], v1 offset:1568
	s_waitcnt vmcnt(7) lgkmcnt(1)
	v_mul_f64 v[219:220], v[2:3], v[28:29]
	v_mul_f64 v[28:29], v[4:5], v[28:29]
	s_waitcnt vmcnt(6) lgkmcnt(0)
	v_mul_f64 v[24:25], v[14:15], v[32:33]
	v_mul_f64 v[32:33], v[16:17], v[32:33]
	v_add_f64 v[18:19], v[20:21], v[18:19]
	v_add_f64 v[20:21], v[163:164], v[221:222]
	v_fma_f64 v[153:154], v[4:5], v[26:27], v[219:220]
	v_fma_f64 v[26:27], v[2:3], v[26:27], -v[28:29]
	v_fma_f64 v[16:17], v[16:17], v[30:31], v[24:25]
	v_fma_f64 v[14:15], v[14:15], v[30:31], -v[32:33]
	v_add_f64 v[22:23], v[18:19], v[22:23]
	v_add_f64 v[28:29], v[20:21], v[155:156]
	ds_load_b128 v[2:5], v1 offset:1584
	ds_load_b128 v[18:21], v1 offset:1600
	s_waitcnt vmcnt(5) lgkmcnt(1)
	v_mul_f64 v[155:156], v[2:3], v[40:41]
	v_mul_f64 v[40:41], v[4:5], v[40:41]
	v_add_f64 v[22:23], v[22:23], v[26:27]
	v_add_f64 v[24:25], v[28:29], v[153:154]
	s_waitcnt vmcnt(3) lgkmcnt(0)
	v_mul_f64 v[26:27], v[18:19], v[168:169]
	v_mul_f64 v[28:29], v[20:21], v[168:169]
	v_fma_f64 v[30:31], v[4:5], v[38:39], v[155:156]
	v_fma_f64 v[32:33], v[2:3], v[38:39], -v[40:41]
	v_add_f64 v[22:23], v[22:23], v[14:15]
	v_add_f64 v[24:25], v[24:25], v[16:17]
	ds_load_b128 v[2:5], v1 offset:1616
	ds_load_b128 v[14:17], v1 offset:1632
	v_fma_f64 v[20:21], v[20:21], v[166:167], v[26:27]
	v_fma_f64 v[18:19], v[18:19], v[166:167], -v[28:29]
	s_waitcnt vmcnt(2) lgkmcnt(1)
	v_mul_f64 v[38:39], v[2:3], v[36:37]
	v_mul_f64 v[36:37], v[4:5], v[36:37]
	v_add_f64 v[22:23], v[22:23], v[32:33]
	v_add_f64 v[24:25], v[24:25], v[30:31]
	s_waitcnt vmcnt(1) lgkmcnt(0)
	v_mul_f64 v[26:27], v[14:15], v[8:9]
	v_mul_f64 v[8:9], v[16:17], v[8:9]
	v_fma_f64 v[28:29], v[4:5], v[34:35], v[38:39]
	v_fma_f64 v[30:31], v[2:3], v[34:35], -v[36:37]
	ds_load_b128 v[2:5], v1 offset:1648
	v_add_f64 v[18:19], v[22:23], v[18:19]
	v_add_f64 v[20:21], v[24:25], v[20:21]
	s_waitcnt vmcnt(0) lgkmcnt(0)
	v_mul_f64 v[22:23], v[2:3], v[12:13]
	v_mul_f64 v[12:13], v[4:5], v[12:13]
	v_fma_f64 v[16:17], v[16:17], v[6:7], v[26:27]
	v_fma_f64 v[6:7], v[14:15], v[6:7], -v[8:9]
	v_add_f64 v[8:9], v[18:19], v[30:31]
	v_add_f64 v[14:15], v[20:21], v[28:29]
	v_fma_f64 v[4:5], v[4:5], v[10:11], v[22:23]
	v_fma_f64 v[2:3], v[2:3], v[10:11], -v[12:13]
	s_delay_alu instid0(VALU_DEP_4) | instskip(NEXT) | instid1(VALU_DEP_4)
	v_add_f64 v[6:7], v[8:9], v[6:7]
	v_add_f64 v[8:9], v[14:15], v[16:17]
	s_delay_alu instid0(VALU_DEP_2) | instskip(NEXT) | instid1(VALU_DEP_2)
	v_add_f64 v[2:3], v[6:7], v[2:3]
	v_add_f64 v[4:5], v[8:9], v[4:5]
	s_delay_alu instid0(VALU_DEP_2) | instskip(NEXT) | instid1(VALU_DEP_2)
	v_add_f64 v[2:3], v[42:43], -v[2:3]
	v_add_f64 v[4:5], v[44:45], -v[4:5]
	scratch_store_b128 off, v[2:5], off offset:608
	v_cmpx_lt_u32_e32 37, v150
	s_cbranch_execz .LBB115_251
; %bb.250:
	scratch_load_b128 v[5:8], v210, off
	v_mov_b32_e32 v2, v1
	v_mov_b32_e32 v3, v1
	;; [unrolled: 1-line block ×3, first 2 shown]
	scratch_store_b128 off, v[1:4], off offset:592
	s_waitcnt vmcnt(0)
	ds_store_b128 v202, v[5:8]
.LBB115_251:
	s_or_b32 exec_lo, exec_lo, s2
	s_waitcnt lgkmcnt(0)
	s_waitcnt_vscnt null, 0x0
	s_barrier
	buffer_gl0_inv
	s_clause 0x8
	scratch_load_b128 v[2:5], off, off offset:608
	scratch_load_b128 v[6:9], off, off offset:624
	;; [unrolled: 1-line block ×9, first 2 shown]
	ds_load_b128 v[38:41], v1 offset:1440
	ds_load_b128 v[42:45], v1 offset:1456
	s_clause 0x1
	scratch_load_b128 v[153:156], off, off offset:592
	scratch_load_b128 v[166:169], off, off offset:752
	s_mov_b32 s2, exec_lo
	ds_load_b128 v[217:220], v1 offset:1488
	s_waitcnt vmcnt(10) lgkmcnt(2)
	v_mul_f64 v[163:164], v[40:41], v[4:5]
	v_mul_f64 v[4:5], v[38:39], v[4:5]
	s_waitcnt vmcnt(9) lgkmcnt(1)
	v_mul_f64 v[221:222], v[42:43], v[8:9]
	v_mul_f64 v[8:9], v[44:45], v[8:9]
	s_delay_alu instid0(VALU_DEP_4) | instskip(NEXT) | instid1(VALU_DEP_4)
	v_fma_f64 v[163:164], v[38:39], v[2:3], -v[163:164]
	v_fma_f64 v[223:224], v[40:41], v[2:3], v[4:5]
	ds_load_b128 v[2:5], v1 offset:1472
	scratch_load_b128 v[38:41], off, off offset:768
	v_fma_f64 v[44:45], v[44:45], v[6:7], v[221:222]
	v_fma_f64 v[42:43], v[42:43], v[6:7], -v[8:9]
	scratch_load_b128 v[6:9], off, off offset:784
	s_waitcnt vmcnt(10) lgkmcnt(0)
	v_mul_f64 v[225:226], v[2:3], v[12:13]
	v_mul_f64 v[12:13], v[4:5], v[12:13]
	v_add_f64 v[163:164], v[163:164], 0
	v_add_f64 v[221:222], v[223:224], 0
	s_waitcnt vmcnt(9)
	v_mul_f64 v[223:224], v[217:218], v[16:17]
	v_mul_f64 v[16:17], v[219:220], v[16:17]
	v_fma_f64 v[225:226], v[4:5], v[10:11], v[225:226]
	v_fma_f64 v[227:228], v[2:3], v[10:11], -v[12:13]
	ds_load_b128 v[2:5], v1 offset:1504
	scratch_load_b128 v[10:13], off, off offset:800
	v_add_f64 v[163:164], v[163:164], v[42:43]
	v_add_f64 v[221:222], v[221:222], v[44:45]
	ds_load_b128 v[42:45], v1 offset:1520
	v_fma_f64 v[219:220], v[219:220], v[14:15], v[223:224]
	v_fma_f64 v[217:218], v[217:218], v[14:15], -v[16:17]
	scratch_load_b128 v[14:17], off, off offset:816
	s_waitcnt vmcnt(10) lgkmcnt(1)
	v_mul_f64 v[229:230], v[2:3], v[20:21]
	v_mul_f64 v[20:21], v[4:5], v[20:21]
	s_waitcnt vmcnt(9) lgkmcnt(0)
	v_mul_f64 v[223:224], v[42:43], v[24:25]
	v_mul_f64 v[24:25], v[44:45], v[24:25]
	v_add_f64 v[163:164], v[163:164], v[227:228]
	v_add_f64 v[221:222], v[221:222], v[225:226]
	v_fma_f64 v[225:226], v[4:5], v[18:19], v[229:230]
	v_fma_f64 v[227:228], v[2:3], v[18:19], -v[20:21]
	ds_load_b128 v[2:5], v1 offset:1536
	ds_load_b128 v[18:21], v1 offset:1552
	v_fma_f64 v[44:45], v[44:45], v[22:23], v[223:224]
	v_fma_f64 v[22:23], v[42:43], v[22:23], -v[24:25]
	v_add_f64 v[163:164], v[163:164], v[217:218]
	v_add_f64 v[217:218], v[221:222], v[219:220]
	s_waitcnt vmcnt(8) lgkmcnt(1)
	v_mul_f64 v[219:220], v[2:3], v[28:29]
	v_mul_f64 v[28:29], v[4:5], v[28:29]
	s_delay_alu instid0(VALU_DEP_4) | instskip(NEXT) | instid1(VALU_DEP_4)
	v_add_f64 v[24:25], v[163:164], v[227:228]
	v_add_f64 v[42:43], v[217:218], v[225:226]
	s_waitcnt vmcnt(7) lgkmcnt(0)
	v_mul_f64 v[163:164], v[18:19], v[32:33]
	v_mul_f64 v[32:33], v[20:21], v[32:33]
	v_fma_f64 v[217:218], v[4:5], v[26:27], v[219:220]
	v_fma_f64 v[26:27], v[2:3], v[26:27], -v[28:29]
	v_add_f64 v[28:29], v[24:25], v[22:23]
	v_add_f64 v[42:43], v[42:43], v[44:45]
	ds_load_b128 v[2:5], v1 offset:1568
	ds_load_b128 v[22:25], v1 offset:1584
	v_fma_f64 v[20:21], v[20:21], v[30:31], v[163:164]
	v_fma_f64 v[18:19], v[18:19], v[30:31], -v[32:33]
	s_waitcnt vmcnt(6) lgkmcnt(1)
	v_mul_f64 v[44:45], v[2:3], v[36:37]
	v_mul_f64 v[36:37], v[4:5], v[36:37]
	s_waitcnt vmcnt(4) lgkmcnt(0)
	v_mul_f64 v[30:31], v[22:23], v[168:169]
	v_mul_f64 v[32:33], v[24:25], v[168:169]
	v_add_f64 v[26:27], v[28:29], v[26:27]
	v_add_f64 v[28:29], v[42:43], v[217:218]
	v_fma_f64 v[42:43], v[4:5], v[34:35], v[44:45]
	v_fma_f64 v[34:35], v[2:3], v[34:35], -v[36:37]
	v_fma_f64 v[24:25], v[24:25], v[166:167], v[30:31]
	v_fma_f64 v[22:23], v[22:23], v[166:167], -v[32:33]
	v_add_f64 v[26:27], v[26:27], v[18:19]
	v_add_f64 v[28:29], v[28:29], v[20:21]
	ds_load_b128 v[2:5], v1 offset:1600
	ds_load_b128 v[18:21], v1 offset:1616
	s_waitcnt vmcnt(3) lgkmcnt(1)
	v_mul_f64 v[36:37], v[2:3], v[40:41]
	v_mul_f64 v[40:41], v[4:5], v[40:41]
	s_waitcnt vmcnt(2) lgkmcnt(0)
	v_mul_f64 v[30:31], v[18:19], v[8:9]
	v_mul_f64 v[8:9], v[20:21], v[8:9]
	v_add_f64 v[26:27], v[26:27], v[34:35]
	v_add_f64 v[28:29], v[28:29], v[42:43]
	v_fma_f64 v[32:33], v[4:5], v[38:39], v[36:37]
	v_fma_f64 v[34:35], v[2:3], v[38:39], -v[40:41]
	v_fma_f64 v[20:21], v[20:21], v[6:7], v[30:31]
	v_fma_f64 v[6:7], v[18:19], v[6:7], -v[8:9]
	v_add_f64 v[26:27], v[26:27], v[22:23]
	v_add_f64 v[28:29], v[28:29], v[24:25]
	ds_load_b128 v[2:5], v1 offset:1632
	ds_load_b128 v[22:25], v1 offset:1648
	s_waitcnt vmcnt(1) lgkmcnt(1)
	v_mul_f64 v[36:37], v[2:3], v[12:13]
	v_mul_f64 v[12:13], v[4:5], v[12:13]
	v_add_f64 v[8:9], v[26:27], v[34:35]
	v_add_f64 v[18:19], v[28:29], v[32:33]
	s_waitcnt vmcnt(0) lgkmcnt(0)
	v_mul_f64 v[26:27], v[22:23], v[16:17]
	v_mul_f64 v[16:17], v[24:25], v[16:17]
	v_fma_f64 v[4:5], v[4:5], v[10:11], v[36:37]
	v_fma_f64 v[1:2], v[2:3], v[10:11], -v[12:13]
	v_add_f64 v[6:7], v[8:9], v[6:7]
	v_add_f64 v[8:9], v[18:19], v[20:21]
	v_fma_f64 v[10:11], v[24:25], v[14:15], v[26:27]
	v_fma_f64 v[12:13], v[22:23], v[14:15], -v[16:17]
	s_delay_alu instid0(VALU_DEP_4) | instskip(NEXT) | instid1(VALU_DEP_4)
	v_add_f64 v[1:2], v[6:7], v[1:2]
	v_add_f64 v[3:4], v[8:9], v[4:5]
	s_delay_alu instid0(VALU_DEP_2) | instskip(NEXT) | instid1(VALU_DEP_2)
	v_add_f64 v[1:2], v[1:2], v[12:13]
	v_add_f64 v[3:4], v[3:4], v[10:11]
	s_delay_alu instid0(VALU_DEP_2) | instskip(NEXT) | instid1(VALU_DEP_2)
	v_add_f64 v[1:2], v[153:154], -v[1:2]
	v_add_f64 v[3:4], v[155:156], -v[3:4]
	scratch_store_b128 off, v[1:4], off offset:592
	v_cmpx_lt_u32_e32 36, v150
	s_cbranch_execz .LBB115_253
; %bb.252:
	scratch_load_b128 v[1:4], v211, off
	v_mov_b32_e32 v5, 0
	s_delay_alu instid0(VALU_DEP_1)
	v_mov_b32_e32 v6, v5
	v_mov_b32_e32 v7, v5
	;; [unrolled: 1-line block ×3, first 2 shown]
	scratch_store_b128 off, v[5:8], off offset:576
	s_waitcnt vmcnt(0)
	ds_store_b128 v202, v[1:4]
.LBB115_253:
	s_or_b32 exec_lo, exec_lo, s2
	s_waitcnt lgkmcnt(0)
	s_waitcnt_vscnt null, 0x0
	s_barrier
	buffer_gl0_inv
	s_clause 0x7
	scratch_load_b128 v[2:5], off, off offset:592
	scratch_load_b128 v[6:9], off, off offset:608
	;; [unrolled: 1-line block ×8, first 2 shown]
	v_mov_b32_e32 v1, 0
	s_mov_b32 s2, exec_lo
	ds_load_b128 v[34:37], v1 offset:1424
	s_clause 0x1
	scratch_load_b128 v[38:41], off, off offset:720
	scratch_load_b128 v[42:45], off, off offset:576
	ds_load_b128 v[153:156], v1 offset:1440
	scratch_load_b128 v[166:169], off, off offset:736
	ds_load_b128 v[217:220], v1 offset:1472
	s_waitcnt vmcnt(10) lgkmcnt(2)
	v_mul_f64 v[163:164], v[36:37], v[4:5]
	v_mul_f64 v[4:5], v[34:35], v[4:5]
	s_delay_alu instid0(VALU_DEP_2) | instskip(NEXT) | instid1(VALU_DEP_2)
	v_fma_f64 v[163:164], v[34:35], v[2:3], -v[163:164]
	v_fma_f64 v[223:224], v[36:37], v[2:3], v[4:5]
	ds_load_b128 v[2:5], v1 offset:1456
	s_waitcnt vmcnt(9) lgkmcnt(2)
	v_mul_f64 v[221:222], v[153:154], v[8:9]
	v_mul_f64 v[8:9], v[155:156], v[8:9]
	scratch_load_b128 v[34:37], off, off offset:752
	s_waitcnt vmcnt(9) lgkmcnt(0)
	v_mul_f64 v[225:226], v[2:3], v[12:13]
	v_mul_f64 v[12:13], v[4:5], v[12:13]
	v_add_f64 v[163:164], v[163:164], 0
	v_fma_f64 v[155:156], v[155:156], v[6:7], v[221:222]
	v_fma_f64 v[153:154], v[153:154], v[6:7], -v[8:9]
	v_add_f64 v[221:222], v[223:224], 0
	scratch_load_b128 v[6:9], off, off offset:768
	v_fma_f64 v[225:226], v[4:5], v[10:11], v[225:226]
	v_fma_f64 v[227:228], v[2:3], v[10:11], -v[12:13]
	scratch_load_b128 v[10:13], off, off offset:784
	ds_load_b128 v[2:5], v1 offset:1488
	s_waitcnt vmcnt(10)
	v_mul_f64 v[223:224], v[217:218], v[16:17]
	v_mul_f64 v[16:17], v[219:220], v[16:17]
	v_add_f64 v[163:164], v[163:164], v[153:154]
	v_add_f64 v[221:222], v[221:222], v[155:156]
	ds_load_b128 v[153:156], v1 offset:1504
	s_waitcnt vmcnt(9) lgkmcnt(1)
	v_mul_f64 v[229:230], v[2:3], v[20:21]
	v_mul_f64 v[20:21], v[4:5], v[20:21]
	v_fma_f64 v[219:220], v[219:220], v[14:15], v[223:224]
	v_fma_f64 v[217:218], v[217:218], v[14:15], -v[16:17]
	scratch_load_b128 v[14:17], off, off offset:800
	v_add_f64 v[163:164], v[163:164], v[227:228]
	v_add_f64 v[221:222], v[221:222], v[225:226]
	v_fma_f64 v[225:226], v[4:5], v[18:19], v[229:230]
	v_fma_f64 v[227:228], v[2:3], v[18:19], -v[20:21]
	scratch_load_b128 v[18:21], off, off offset:816
	ds_load_b128 v[2:5], v1 offset:1520
	s_waitcnt vmcnt(10) lgkmcnt(1)
	v_mul_f64 v[223:224], v[153:154], v[24:25]
	v_mul_f64 v[24:25], v[155:156], v[24:25]
	s_waitcnt vmcnt(9) lgkmcnt(0)
	v_mul_f64 v[229:230], v[2:3], v[28:29]
	v_mul_f64 v[28:29], v[4:5], v[28:29]
	v_add_f64 v[163:164], v[163:164], v[217:218]
	v_add_f64 v[221:222], v[221:222], v[219:220]
	ds_load_b128 v[217:220], v1 offset:1536
	v_fma_f64 v[155:156], v[155:156], v[22:23], v[223:224]
	v_fma_f64 v[22:23], v[153:154], v[22:23], -v[24:25]
	v_add_f64 v[24:25], v[163:164], v[227:228]
	v_add_f64 v[153:154], v[221:222], v[225:226]
	s_waitcnt vmcnt(8) lgkmcnt(0)
	v_mul_f64 v[163:164], v[217:218], v[32:33]
	v_mul_f64 v[32:33], v[219:220], v[32:33]
	v_fma_f64 v[221:222], v[4:5], v[26:27], v[229:230]
	v_fma_f64 v[26:27], v[2:3], v[26:27], -v[28:29]
	v_add_f64 v[28:29], v[24:25], v[22:23]
	v_add_f64 v[153:154], v[153:154], v[155:156]
	ds_load_b128 v[2:5], v1 offset:1552
	ds_load_b128 v[22:25], v1 offset:1568
	v_fma_f64 v[163:164], v[219:220], v[30:31], v[163:164]
	v_fma_f64 v[30:31], v[217:218], v[30:31], -v[32:33]
	s_waitcnt vmcnt(7) lgkmcnt(1)
	v_mul_f64 v[155:156], v[2:3], v[40:41]
	v_mul_f64 v[40:41], v[4:5], v[40:41]
	s_waitcnt vmcnt(5) lgkmcnt(0)
	v_mul_f64 v[32:33], v[22:23], v[168:169]
	v_add_f64 v[26:27], v[28:29], v[26:27]
	v_add_f64 v[28:29], v[153:154], v[221:222]
	v_mul_f64 v[153:154], v[24:25], v[168:169]
	v_fma_f64 v[155:156], v[4:5], v[38:39], v[155:156]
	v_fma_f64 v[38:39], v[2:3], v[38:39], -v[40:41]
	v_fma_f64 v[24:25], v[24:25], v[166:167], v[32:33]
	v_add_f64 v[30:31], v[26:27], v[30:31]
	v_add_f64 v[40:41], v[28:29], v[163:164]
	ds_load_b128 v[2:5], v1 offset:1584
	ds_load_b128 v[26:29], v1 offset:1600
	v_fma_f64 v[22:23], v[22:23], v[166:167], -v[153:154]
	s_waitcnt vmcnt(4) lgkmcnt(1)
	v_mul_f64 v[163:164], v[2:3], v[36:37]
	v_mul_f64 v[36:37], v[4:5], v[36:37]
	v_add_f64 v[30:31], v[30:31], v[38:39]
	v_add_f64 v[32:33], v[40:41], v[155:156]
	s_waitcnt vmcnt(3) lgkmcnt(0)
	v_mul_f64 v[38:39], v[26:27], v[8:9]
	v_mul_f64 v[8:9], v[28:29], v[8:9]
	v_fma_f64 v[40:41], v[4:5], v[34:35], v[163:164]
	v_fma_f64 v[34:35], v[2:3], v[34:35], -v[36:37]
	v_add_f64 v[30:31], v[30:31], v[22:23]
	v_add_f64 v[32:33], v[32:33], v[24:25]
	ds_load_b128 v[2:5], v1 offset:1616
	ds_load_b128 v[22:25], v1 offset:1632
	v_fma_f64 v[28:29], v[28:29], v[6:7], v[38:39]
	v_fma_f64 v[6:7], v[26:27], v[6:7], -v[8:9]
	s_waitcnt vmcnt(2) lgkmcnt(1)
	v_mul_f64 v[36:37], v[2:3], v[12:13]
	v_mul_f64 v[12:13], v[4:5], v[12:13]
	v_add_f64 v[8:9], v[30:31], v[34:35]
	v_add_f64 v[26:27], v[32:33], v[40:41]
	s_waitcnt vmcnt(1) lgkmcnt(0)
	v_mul_f64 v[30:31], v[22:23], v[16:17]
	v_mul_f64 v[16:17], v[24:25], v[16:17]
	v_fma_f64 v[32:33], v[4:5], v[10:11], v[36:37]
	v_fma_f64 v[10:11], v[2:3], v[10:11], -v[12:13]
	ds_load_b128 v[2:5], v1 offset:1648
	v_add_f64 v[6:7], v[8:9], v[6:7]
	v_add_f64 v[8:9], v[26:27], v[28:29]
	v_fma_f64 v[24:25], v[24:25], v[14:15], v[30:31]
	v_fma_f64 v[14:15], v[22:23], v[14:15], -v[16:17]
	s_waitcnt vmcnt(0) lgkmcnt(0)
	v_mul_f64 v[12:13], v[2:3], v[20:21]
	v_mul_f64 v[20:21], v[4:5], v[20:21]
	v_add_f64 v[6:7], v[6:7], v[10:11]
	v_add_f64 v[8:9], v[8:9], v[32:33]
	s_delay_alu instid0(VALU_DEP_4) | instskip(NEXT) | instid1(VALU_DEP_4)
	v_fma_f64 v[4:5], v[4:5], v[18:19], v[12:13]
	v_fma_f64 v[2:3], v[2:3], v[18:19], -v[20:21]
	s_delay_alu instid0(VALU_DEP_4) | instskip(NEXT) | instid1(VALU_DEP_4)
	v_add_f64 v[6:7], v[6:7], v[14:15]
	v_add_f64 v[8:9], v[8:9], v[24:25]
	s_delay_alu instid0(VALU_DEP_2) | instskip(NEXT) | instid1(VALU_DEP_2)
	v_add_f64 v[2:3], v[6:7], v[2:3]
	v_add_f64 v[4:5], v[8:9], v[4:5]
	s_delay_alu instid0(VALU_DEP_2) | instskip(NEXT) | instid1(VALU_DEP_2)
	v_add_f64 v[2:3], v[42:43], -v[2:3]
	v_add_f64 v[4:5], v[44:45], -v[4:5]
	scratch_store_b128 off, v[2:5], off offset:576
	v_cmpx_lt_u32_e32 35, v150
	s_cbranch_execz .LBB115_255
; %bb.254:
	scratch_load_b128 v[5:8], v212, off
	v_mov_b32_e32 v2, v1
	v_mov_b32_e32 v3, v1
	;; [unrolled: 1-line block ×3, first 2 shown]
	scratch_store_b128 off, v[1:4], off offset:560
	s_waitcnt vmcnt(0)
	ds_store_b128 v202, v[5:8]
.LBB115_255:
	s_or_b32 exec_lo, exec_lo, s2
	s_waitcnt lgkmcnt(0)
	s_waitcnt_vscnt null, 0x0
	s_barrier
	buffer_gl0_inv
	s_clause 0x8
	scratch_load_b128 v[2:5], off, off offset:576
	scratch_load_b128 v[6:9], off, off offset:592
	;; [unrolled: 1-line block ×9, first 2 shown]
	ds_load_b128 v[38:41], v1 offset:1408
	ds_load_b128 v[42:45], v1 offset:1424
	s_clause 0x1
	scratch_load_b128 v[153:156], off, off offset:560
	scratch_load_b128 v[166:169], off, off offset:720
	s_mov_b32 s2, exec_lo
	ds_load_b128 v[217:220], v1 offset:1456
	s_waitcnt vmcnt(10) lgkmcnt(2)
	v_mul_f64 v[163:164], v[40:41], v[4:5]
	v_mul_f64 v[4:5], v[38:39], v[4:5]
	s_waitcnt vmcnt(9) lgkmcnt(1)
	v_mul_f64 v[221:222], v[42:43], v[8:9]
	v_mul_f64 v[8:9], v[44:45], v[8:9]
	s_delay_alu instid0(VALU_DEP_4) | instskip(NEXT) | instid1(VALU_DEP_4)
	v_fma_f64 v[163:164], v[38:39], v[2:3], -v[163:164]
	v_fma_f64 v[223:224], v[40:41], v[2:3], v[4:5]
	ds_load_b128 v[2:5], v1 offset:1440
	scratch_load_b128 v[38:41], off, off offset:736
	v_fma_f64 v[44:45], v[44:45], v[6:7], v[221:222]
	v_fma_f64 v[42:43], v[42:43], v[6:7], -v[8:9]
	scratch_load_b128 v[6:9], off, off offset:752
	s_waitcnt vmcnt(10) lgkmcnt(0)
	v_mul_f64 v[225:226], v[2:3], v[12:13]
	v_mul_f64 v[12:13], v[4:5], v[12:13]
	v_add_f64 v[163:164], v[163:164], 0
	v_add_f64 v[221:222], v[223:224], 0
	s_waitcnt vmcnt(9)
	v_mul_f64 v[223:224], v[217:218], v[16:17]
	v_mul_f64 v[16:17], v[219:220], v[16:17]
	v_fma_f64 v[225:226], v[4:5], v[10:11], v[225:226]
	v_fma_f64 v[227:228], v[2:3], v[10:11], -v[12:13]
	ds_load_b128 v[2:5], v1 offset:1472
	scratch_load_b128 v[10:13], off, off offset:768
	v_add_f64 v[163:164], v[163:164], v[42:43]
	v_add_f64 v[221:222], v[221:222], v[44:45]
	ds_load_b128 v[42:45], v1 offset:1488
	v_fma_f64 v[219:220], v[219:220], v[14:15], v[223:224]
	v_fma_f64 v[217:218], v[217:218], v[14:15], -v[16:17]
	scratch_load_b128 v[14:17], off, off offset:784
	s_waitcnt vmcnt(10) lgkmcnt(1)
	v_mul_f64 v[229:230], v[2:3], v[20:21]
	v_mul_f64 v[20:21], v[4:5], v[20:21]
	s_waitcnt vmcnt(9) lgkmcnt(0)
	v_mul_f64 v[223:224], v[42:43], v[24:25]
	v_mul_f64 v[24:25], v[44:45], v[24:25]
	v_add_f64 v[163:164], v[163:164], v[227:228]
	v_add_f64 v[221:222], v[221:222], v[225:226]
	v_fma_f64 v[225:226], v[4:5], v[18:19], v[229:230]
	v_fma_f64 v[227:228], v[2:3], v[18:19], -v[20:21]
	ds_load_b128 v[2:5], v1 offset:1504
	scratch_load_b128 v[18:21], off, off offset:800
	v_fma_f64 v[44:45], v[44:45], v[22:23], v[223:224]
	v_fma_f64 v[42:43], v[42:43], v[22:23], -v[24:25]
	scratch_load_b128 v[22:25], off, off offset:816
	v_add_f64 v[163:164], v[163:164], v[217:218]
	v_add_f64 v[221:222], v[221:222], v[219:220]
	ds_load_b128 v[217:220], v1 offset:1520
	s_waitcnt vmcnt(10) lgkmcnt(1)
	v_mul_f64 v[229:230], v[2:3], v[28:29]
	v_mul_f64 v[28:29], v[4:5], v[28:29]
	s_waitcnt vmcnt(9) lgkmcnt(0)
	v_mul_f64 v[223:224], v[217:218], v[32:33]
	v_mul_f64 v[32:33], v[219:220], v[32:33]
	v_add_f64 v[163:164], v[163:164], v[227:228]
	v_add_f64 v[221:222], v[221:222], v[225:226]
	v_fma_f64 v[225:226], v[4:5], v[26:27], v[229:230]
	v_fma_f64 v[227:228], v[2:3], v[26:27], -v[28:29]
	ds_load_b128 v[2:5], v1 offset:1536
	ds_load_b128 v[26:29], v1 offset:1552
	v_fma_f64 v[219:220], v[219:220], v[30:31], v[223:224]
	v_fma_f64 v[30:31], v[217:218], v[30:31], -v[32:33]
	v_add_f64 v[42:43], v[163:164], v[42:43]
	v_add_f64 v[44:45], v[221:222], v[44:45]
	s_waitcnt vmcnt(8) lgkmcnt(1)
	v_mul_f64 v[163:164], v[2:3], v[36:37]
	v_mul_f64 v[36:37], v[4:5], v[36:37]
	s_delay_alu instid0(VALU_DEP_4) | instskip(NEXT) | instid1(VALU_DEP_4)
	v_add_f64 v[32:33], v[42:43], v[227:228]
	v_add_f64 v[42:43], v[44:45], v[225:226]
	s_waitcnt vmcnt(6) lgkmcnt(0)
	v_mul_f64 v[44:45], v[26:27], v[168:169]
	v_mul_f64 v[168:169], v[28:29], v[168:169]
	v_fma_f64 v[163:164], v[4:5], v[34:35], v[163:164]
	v_fma_f64 v[34:35], v[2:3], v[34:35], -v[36:37]
	v_add_f64 v[36:37], v[32:33], v[30:31]
	v_add_f64 v[42:43], v[42:43], v[219:220]
	ds_load_b128 v[2:5], v1 offset:1568
	ds_load_b128 v[30:33], v1 offset:1584
	v_fma_f64 v[28:29], v[28:29], v[166:167], v[44:45]
	v_fma_f64 v[26:27], v[26:27], v[166:167], -v[168:169]
	s_waitcnt vmcnt(5) lgkmcnt(1)
	v_mul_f64 v[217:218], v[2:3], v[40:41]
	v_mul_f64 v[40:41], v[4:5], v[40:41]
	v_add_f64 v[34:35], v[36:37], v[34:35]
	v_add_f64 v[36:37], v[42:43], v[163:164]
	s_waitcnt vmcnt(4) lgkmcnt(0)
	v_mul_f64 v[42:43], v[30:31], v[8:9]
	v_mul_f64 v[8:9], v[32:33], v[8:9]
	v_fma_f64 v[44:45], v[4:5], v[38:39], v[217:218]
	v_fma_f64 v[38:39], v[2:3], v[38:39], -v[40:41]
	v_add_f64 v[34:35], v[34:35], v[26:27]
	v_add_f64 v[36:37], v[36:37], v[28:29]
	ds_load_b128 v[2:5], v1 offset:1600
	ds_load_b128 v[26:29], v1 offset:1616
	v_fma_f64 v[32:33], v[32:33], v[6:7], v[42:43]
	v_fma_f64 v[6:7], v[30:31], v[6:7], -v[8:9]
	s_waitcnt vmcnt(3) lgkmcnt(1)
	v_mul_f64 v[40:41], v[2:3], v[12:13]
	v_mul_f64 v[12:13], v[4:5], v[12:13]
	;; [unrolled: 16-line block ×3, first 2 shown]
	s_waitcnt vmcnt(0) lgkmcnt(0)
	v_mul_f64 v[16:17], v[6:7], v[24:25]
	v_mul_f64 v[24:25], v[8:9], v[24:25]
	v_add_f64 v[10:11], v[12:13], v[10:11]
	v_add_f64 v[12:13], v[30:31], v[36:37]
	v_fma_f64 v[4:5], v[4:5], v[18:19], v[32:33]
	v_fma_f64 v[1:2], v[2:3], v[18:19], -v[20:21]
	v_fma_f64 v[8:9], v[8:9], v[22:23], v[16:17]
	v_fma_f64 v[6:7], v[6:7], v[22:23], -v[24:25]
	v_add_f64 v[10:11], v[10:11], v[14:15]
	v_add_f64 v[12:13], v[12:13], v[28:29]
	s_delay_alu instid0(VALU_DEP_2) | instskip(NEXT) | instid1(VALU_DEP_2)
	v_add_f64 v[1:2], v[10:11], v[1:2]
	v_add_f64 v[3:4], v[12:13], v[4:5]
	s_delay_alu instid0(VALU_DEP_2) | instskip(NEXT) | instid1(VALU_DEP_2)
	;; [unrolled: 3-line block ×3, first 2 shown]
	v_add_f64 v[1:2], v[153:154], -v[1:2]
	v_add_f64 v[3:4], v[155:156], -v[3:4]
	scratch_store_b128 off, v[1:4], off offset:560
	v_cmpx_lt_u32_e32 34, v150
	s_cbranch_execz .LBB115_257
; %bb.256:
	scratch_load_b128 v[1:4], v213, off
	v_mov_b32_e32 v5, 0
	s_delay_alu instid0(VALU_DEP_1)
	v_mov_b32_e32 v6, v5
	v_mov_b32_e32 v7, v5
	v_mov_b32_e32 v8, v5
	scratch_store_b128 off, v[5:8], off offset:544
	s_waitcnt vmcnt(0)
	ds_store_b128 v202, v[1:4]
.LBB115_257:
	s_or_b32 exec_lo, exec_lo, s2
	s_waitcnt lgkmcnt(0)
	s_waitcnt_vscnt null, 0x0
	s_barrier
	buffer_gl0_inv
	s_clause 0x7
	scratch_load_b128 v[2:5], off, off offset:560
	scratch_load_b128 v[6:9], off, off offset:576
	;; [unrolled: 1-line block ×8, first 2 shown]
	v_mov_b32_e32 v1, 0
	s_mov_b32 s2, exec_lo
	ds_load_b128 v[34:37], v1 offset:1392
	s_clause 0x1
	scratch_load_b128 v[38:41], off, off offset:688
	scratch_load_b128 v[42:45], off, off offset:544
	ds_load_b128 v[153:156], v1 offset:1408
	scratch_load_b128 v[166:169], off, off offset:704
	ds_load_b128 v[217:220], v1 offset:1440
	s_waitcnt vmcnt(10) lgkmcnt(2)
	v_mul_f64 v[163:164], v[36:37], v[4:5]
	v_mul_f64 v[4:5], v[34:35], v[4:5]
	s_delay_alu instid0(VALU_DEP_2) | instskip(NEXT) | instid1(VALU_DEP_2)
	v_fma_f64 v[163:164], v[34:35], v[2:3], -v[163:164]
	v_fma_f64 v[223:224], v[36:37], v[2:3], v[4:5]
	ds_load_b128 v[2:5], v1 offset:1424
	s_waitcnt vmcnt(9) lgkmcnt(2)
	v_mul_f64 v[221:222], v[153:154], v[8:9]
	v_mul_f64 v[8:9], v[155:156], v[8:9]
	scratch_load_b128 v[34:37], off, off offset:720
	s_waitcnt vmcnt(9) lgkmcnt(0)
	v_mul_f64 v[225:226], v[2:3], v[12:13]
	v_mul_f64 v[12:13], v[4:5], v[12:13]
	v_add_f64 v[163:164], v[163:164], 0
	v_fma_f64 v[155:156], v[155:156], v[6:7], v[221:222]
	v_fma_f64 v[153:154], v[153:154], v[6:7], -v[8:9]
	v_add_f64 v[221:222], v[223:224], 0
	scratch_load_b128 v[6:9], off, off offset:736
	v_fma_f64 v[225:226], v[4:5], v[10:11], v[225:226]
	v_fma_f64 v[227:228], v[2:3], v[10:11], -v[12:13]
	scratch_load_b128 v[10:13], off, off offset:752
	ds_load_b128 v[2:5], v1 offset:1456
	s_waitcnt vmcnt(10)
	v_mul_f64 v[223:224], v[217:218], v[16:17]
	v_mul_f64 v[16:17], v[219:220], v[16:17]
	v_add_f64 v[163:164], v[163:164], v[153:154]
	v_add_f64 v[221:222], v[221:222], v[155:156]
	ds_load_b128 v[153:156], v1 offset:1472
	s_waitcnt vmcnt(9) lgkmcnt(1)
	v_mul_f64 v[229:230], v[2:3], v[20:21]
	v_mul_f64 v[20:21], v[4:5], v[20:21]
	v_fma_f64 v[219:220], v[219:220], v[14:15], v[223:224]
	v_fma_f64 v[217:218], v[217:218], v[14:15], -v[16:17]
	scratch_load_b128 v[14:17], off, off offset:768
	v_add_f64 v[163:164], v[163:164], v[227:228]
	v_add_f64 v[221:222], v[221:222], v[225:226]
	v_fma_f64 v[225:226], v[4:5], v[18:19], v[229:230]
	v_fma_f64 v[227:228], v[2:3], v[18:19], -v[20:21]
	scratch_load_b128 v[18:21], off, off offset:784
	ds_load_b128 v[2:5], v1 offset:1488
	s_waitcnt vmcnt(10) lgkmcnt(1)
	v_mul_f64 v[223:224], v[153:154], v[24:25]
	v_mul_f64 v[24:25], v[155:156], v[24:25]
	s_waitcnt vmcnt(9) lgkmcnt(0)
	v_mul_f64 v[229:230], v[2:3], v[28:29]
	v_mul_f64 v[28:29], v[4:5], v[28:29]
	v_add_f64 v[163:164], v[163:164], v[217:218]
	v_add_f64 v[221:222], v[221:222], v[219:220]
	ds_load_b128 v[217:220], v1 offset:1504
	v_fma_f64 v[155:156], v[155:156], v[22:23], v[223:224]
	v_fma_f64 v[153:154], v[153:154], v[22:23], -v[24:25]
	scratch_load_b128 v[22:25], off, off offset:800
	v_add_f64 v[163:164], v[163:164], v[227:228]
	v_add_f64 v[221:222], v[221:222], v[225:226]
	v_fma_f64 v[225:226], v[4:5], v[26:27], v[229:230]
	v_fma_f64 v[227:228], v[2:3], v[26:27], -v[28:29]
	scratch_load_b128 v[26:29], off, off offset:816
	ds_load_b128 v[2:5], v1 offset:1520
	s_waitcnt vmcnt(10) lgkmcnt(1)
	v_mul_f64 v[223:224], v[217:218], v[32:33]
	v_mul_f64 v[32:33], v[219:220], v[32:33]
	s_waitcnt vmcnt(9) lgkmcnt(0)
	v_mul_f64 v[229:230], v[2:3], v[40:41]
	v_mul_f64 v[40:41], v[4:5], v[40:41]
	v_add_f64 v[163:164], v[163:164], v[153:154]
	v_add_f64 v[221:222], v[221:222], v[155:156]
	ds_load_b128 v[153:156], v1 offset:1536
	v_fma_f64 v[219:220], v[219:220], v[30:31], v[223:224]
	v_fma_f64 v[30:31], v[217:218], v[30:31], -v[32:33]
	s_waitcnt vmcnt(7) lgkmcnt(0)
	v_mul_f64 v[217:218], v[153:154], v[168:169]
	v_mul_f64 v[168:169], v[155:156], v[168:169]
	v_add_f64 v[32:33], v[163:164], v[227:228]
	v_add_f64 v[163:164], v[221:222], v[225:226]
	v_fma_f64 v[221:222], v[4:5], v[38:39], v[229:230]
	v_fma_f64 v[38:39], v[2:3], v[38:39], -v[40:41]
	v_fma_f64 v[155:156], v[155:156], v[166:167], v[217:218]
	v_fma_f64 v[153:154], v[153:154], v[166:167], -v[168:169]
	v_add_f64 v[40:41], v[32:33], v[30:31]
	v_add_f64 v[163:164], v[163:164], v[219:220]
	ds_load_b128 v[2:5], v1 offset:1552
	ds_load_b128 v[30:33], v1 offset:1568
	s_waitcnt vmcnt(6) lgkmcnt(1)
	v_mul_f64 v[219:220], v[2:3], v[36:37]
	v_mul_f64 v[36:37], v[4:5], v[36:37]
	v_add_f64 v[38:39], v[40:41], v[38:39]
	v_add_f64 v[40:41], v[163:164], v[221:222]
	s_waitcnt vmcnt(5) lgkmcnt(0)
	v_mul_f64 v[163:164], v[30:31], v[8:9]
	v_mul_f64 v[8:9], v[32:33], v[8:9]
	v_fma_f64 v[166:167], v[4:5], v[34:35], v[219:220]
	v_fma_f64 v[168:169], v[2:3], v[34:35], -v[36:37]
	ds_load_b128 v[2:5], v1 offset:1584
	ds_load_b128 v[34:37], v1 offset:1600
	v_add_f64 v[38:39], v[38:39], v[153:154]
	v_add_f64 v[40:41], v[40:41], v[155:156]
	s_waitcnt vmcnt(4) lgkmcnt(1)
	v_mul_f64 v[153:154], v[2:3], v[12:13]
	v_mul_f64 v[12:13], v[4:5], v[12:13]
	v_fma_f64 v[32:33], v[32:33], v[6:7], v[163:164]
	v_fma_f64 v[6:7], v[30:31], v[6:7], -v[8:9]
	v_add_f64 v[8:9], v[38:39], v[168:169]
	v_add_f64 v[30:31], v[40:41], v[166:167]
	s_waitcnt vmcnt(3) lgkmcnt(0)
	v_mul_f64 v[38:39], v[34:35], v[16:17]
	v_mul_f64 v[16:17], v[36:37], v[16:17]
	v_fma_f64 v[40:41], v[4:5], v[10:11], v[153:154]
	v_fma_f64 v[10:11], v[2:3], v[10:11], -v[12:13]
	v_add_f64 v[12:13], v[8:9], v[6:7]
	v_add_f64 v[30:31], v[30:31], v[32:33]
	ds_load_b128 v[2:5], v1 offset:1616
	ds_load_b128 v[6:9], v1 offset:1632
	v_fma_f64 v[36:37], v[36:37], v[14:15], v[38:39]
	v_fma_f64 v[14:15], v[34:35], v[14:15], -v[16:17]
	s_waitcnt vmcnt(2) lgkmcnt(1)
	v_mul_f64 v[32:33], v[2:3], v[20:21]
	v_mul_f64 v[20:21], v[4:5], v[20:21]
	s_waitcnt vmcnt(1) lgkmcnt(0)
	v_mul_f64 v[16:17], v[6:7], v[24:25]
	v_mul_f64 v[24:25], v[8:9], v[24:25]
	v_add_f64 v[10:11], v[12:13], v[10:11]
	v_add_f64 v[12:13], v[30:31], v[40:41]
	v_fma_f64 v[30:31], v[4:5], v[18:19], v[32:33]
	v_fma_f64 v[18:19], v[2:3], v[18:19], -v[20:21]
	ds_load_b128 v[2:5], v1 offset:1648
	v_fma_f64 v[8:9], v[8:9], v[22:23], v[16:17]
	v_fma_f64 v[6:7], v[6:7], v[22:23], -v[24:25]
	v_add_f64 v[10:11], v[10:11], v[14:15]
	v_add_f64 v[12:13], v[12:13], v[36:37]
	s_waitcnt vmcnt(0) lgkmcnt(0)
	v_mul_f64 v[14:15], v[2:3], v[28:29]
	v_mul_f64 v[20:21], v[4:5], v[28:29]
	s_delay_alu instid0(VALU_DEP_4) | instskip(NEXT) | instid1(VALU_DEP_4)
	v_add_f64 v[10:11], v[10:11], v[18:19]
	v_add_f64 v[12:13], v[12:13], v[30:31]
	s_delay_alu instid0(VALU_DEP_4) | instskip(NEXT) | instid1(VALU_DEP_4)
	v_fma_f64 v[4:5], v[4:5], v[26:27], v[14:15]
	v_fma_f64 v[2:3], v[2:3], v[26:27], -v[20:21]
	s_delay_alu instid0(VALU_DEP_4) | instskip(NEXT) | instid1(VALU_DEP_4)
	v_add_f64 v[6:7], v[10:11], v[6:7]
	v_add_f64 v[8:9], v[12:13], v[8:9]
	s_delay_alu instid0(VALU_DEP_2) | instskip(NEXT) | instid1(VALU_DEP_2)
	v_add_f64 v[2:3], v[6:7], v[2:3]
	v_add_f64 v[4:5], v[8:9], v[4:5]
	s_delay_alu instid0(VALU_DEP_2) | instskip(NEXT) | instid1(VALU_DEP_2)
	v_add_f64 v[2:3], v[42:43], -v[2:3]
	v_add_f64 v[4:5], v[44:45], -v[4:5]
	scratch_store_b128 off, v[2:5], off offset:544
	v_cmpx_lt_u32_e32 33, v150
	s_cbranch_execz .LBB115_259
; %bb.258:
	scratch_load_b128 v[5:8], v214, off
	v_mov_b32_e32 v2, v1
	v_mov_b32_e32 v3, v1
	;; [unrolled: 1-line block ×3, first 2 shown]
	scratch_store_b128 off, v[1:4], off offset:528
	s_waitcnt vmcnt(0)
	ds_store_b128 v202, v[5:8]
.LBB115_259:
	s_or_b32 exec_lo, exec_lo, s2
	s_waitcnt lgkmcnt(0)
	s_waitcnt_vscnt null, 0x0
	s_barrier
	buffer_gl0_inv
	s_clause 0x8
	scratch_load_b128 v[2:5], off, off offset:544
	scratch_load_b128 v[6:9], off, off offset:560
	scratch_load_b128 v[10:13], off, off offset:576
	scratch_load_b128 v[14:17], off, off offset:592
	scratch_load_b128 v[18:21], off, off offset:608
	scratch_load_b128 v[22:25], off, off offset:624
	scratch_load_b128 v[26:29], off, off offset:640
	scratch_load_b128 v[30:33], off, off offset:656
	scratch_load_b128 v[34:37], off, off offset:672
	ds_load_b128 v[38:41], v1 offset:1376
	ds_load_b128 v[42:45], v1 offset:1392
	s_clause 0x1
	scratch_load_b128 v[153:156], off, off offset:528
	scratch_load_b128 v[166:169], off, off offset:688
	s_mov_b32 s2, exec_lo
	ds_load_b128 v[217:220], v1 offset:1424
	s_waitcnt vmcnt(10) lgkmcnt(2)
	v_mul_f64 v[163:164], v[40:41], v[4:5]
	v_mul_f64 v[4:5], v[38:39], v[4:5]
	s_waitcnt vmcnt(9) lgkmcnt(1)
	v_mul_f64 v[221:222], v[42:43], v[8:9]
	v_mul_f64 v[8:9], v[44:45], v[8:9]
	s_delay_alu instid0(VALU_DEP_4) | instskip(NEXT) | instid1(VALU_DEP_4)
	v_fma_f64 v[163:164], v[38:39], v[2:3], -v[163:164]
	v_fma_f64 v[223:224], v[40:41], v[2:3], v[4:5]
	ds_load_b128 v[2:5], v1 offset:1408
	scratch_load_b128 v[38:41], off, off offset:704
	v_fma_f64 v[44:45], v[44:45], v[6:7], v[221:222]
	v_fma_f64 v[42:43], v[42:43], v[6:7], -v[8:9]
	scratch_load_b128 v[6:9], off, off offset:720
	s_waitcnt vmcnt(10) lgkmcnt(0)
	v_mul_f64 v[225:226], v[2:3], v[12:13]
	v_mul_f64 v[12:13], v[4:5], v[12:13]
	v_add_f64 v[163:164], v[163:164], 0
	v_add_f64 v[221:222], v[223:224], 0
	s_waitcnt vmcnt(9)
	v_mul_f64 v[223:224], v[217:218], v[16:17]
	v_mul_f64 v[16:17], v[219:220], v[16:17]
	v_fma_f64 v[225:226], v[4:5], v[10:11], v[225:226]
	v_fma_f64 v[227:228], v[2:3], v[10:11], -v[12:13]
	ds_load_b128 v[2:5], v1 offset:1440
	scratch_load_b128 v[10:13], off, off offset:736
	v_add_f64 v[163:164], v[163:164], v[42:43]
	v_add_f64 v[221:222], v[221:222], v[44:45]
	ds_load_b128 v[42:45], v1 offset:1456
	v_fma_f64 v[219:220], v[219:220], v[14:15], v[223:224]
	v_fma_f64 v[217:218], v[217:218], v[14:15], -v[16:17]
	scratch_load_b128 v[14:17], off, off offset:752
	s_waitcnt vmcnt(10) lgkmcnt(1)
	v_mul_f64 v[229:230], v[2:3], v[20:21]
	v_mul_f64 v[20:21], v[4:5], v[20:21]
	s_waitcnt vmcnt(9) lgkmcnt(0)
	v_mul_f64 v[223:224], v[42:43], v[24:25]
	v_mul_f64 v[24:25], v[44:45], v[24:25]
	v_add_f64 v[163:164], v[163:164], v[227:228]
	v_add_f64 v[221:222], v[221:222], v[225:226]
	v_fma_f64 v[225:226], v[4:5], v[18:19], v[229:230]
	v_fma_f64 v[227:228], v[2:3], v[18:19], -v[20:21]
	ds_load_b128 v[2:5], v1 offset:1472
	scratch_load_b128 v[18:21], off, off offset:768
	v_fma_f64 v[44:45], v[44:45], v[22:23], v[223:224]
	v_fma_f64 v[42:43], v[42:43], v[22:23], -v[24:25]
	scratch_load_b128 v[22:25], off, off offset:784
	v_add_f64 v[163:164], v[163:164], v[217:218]
	v_add_f64 v[221:222], v[221:222], v[219:220]
	ds_load_b128 v[217:220], v1 offset:1488
	s_waitcnt vmcnt(10) lgkmcnt(1)
	v_mul_f64 v[229:230], v[2:3], v[28:29]
	v_mul_f64 v[28:29], v[4:5], v[28:29]
	s_waitcnt vmcnt(9) lgkmcnt(0)
	v_mul_f64 v[223:224], v[217:218], v[32:33]
	v_mul_f64 v[32:33], v[219:220], v[32:33]
	v_add_f64 v[163:164], v[163:164], v[227:228]
	v_add_f64 v[221:222], v[221:222], v[225:226]
	v_fma_f64 v[225:226], v[4:5], v[26:27], v[229:230]
	v_fma_f64 v[227:228], v[2:3], v[26:27], -v[28:29]
	ds_load_b128 v[2:5], v1 offset:1504
	scratch_load_b128 v[26:29], off, off offset:800
	v_fma_f64 v[219:220], v[219:220], v[30:31], v[223:224]
	v_fma_f64 v[217:218], v[217:218], v[30:31], -v[32:33]
	scratch_load_b128 v[30:33], off, off offset:816
	v_add_f64 v[163:164], v[163:164], v[42:43]
	v_add_f64 v[221:222], v[221:222], v[44:45]
	ds_load_b128 v[42:45], v1 offset:1520
	s_waitcnt vmcnt(10) lgkmcnt(1)
	v_mul_f64 v[229:230], v[2:3], v[36:37]
	v_mul_f64 v[36:37], v[4:5], v[36:37]
	s_waitcnt vmcnt(8) lgkmcnt(0)
	v_mul_f64 v[223:224], v[42:43], v[168:169]
	v_mul_f64 v[168:169], v[44:45], v[168:169]
	v_add_f64 v[163:164], v[163:164], v[227:228]
	v_add_f64 v[221:222], v[221:222], v[225:226]
	v_fma_f64 v[225:226], v[4:5], v[34:35], v[229:230]
	v_fma_f64 v[227:228], v[2:3], v[34:35], -v[36:37]
	ds_load_b128 v[2:5], v1 offset:1536
	ds_load_b128 v[34:37], v1 offset:1552
	v_fma_f64 v[44:45], v[44:45], v[166:167], v[223:224]
	v_fma_f64 v[42:43], v[42:43], v[166:167], -v[168:169]
	v_add_f64 v[163:164], v[163:164], v[217:218]
	v_add_f64 v[217:218], v[221:222], v[219:220]
	s_waitcnt vmcnt(7) lgkmcnt(1)
	v_mul_f64 v[219:220], v[2:3], v[40:41]
	v_mul_f64 v[40:41], v[4:5], v[40:41]
	s_waitcnt vmcnt(6) lgkmcnt(0)
	v_mul_f64 v[168:169], v[34:35], v[8:9]
	v_mul_f64 v[8:9], v[36:37], v[8:9]
	v_add_f64 v[163:164], v[163:164], v[227:228]
	v_add_f64 v[166:167], v[217:218], v[225:226]
	v_fma_f64 v[217:218], v[4:5], v[38:39], v[219:220]
	v_fma_f64 v[219:220], v[2:3], v[38:39], -v[40:41]
	ds_load_b128 v[2:5], v1 offset:1568
	ds_load_b128 v[38:41], v1 offset:1584
	v_fma_f64 v[36:37], v[36:37], v[6:7], v[168:169]
	v_fma_f64 v[6:7], v[34:35], v[6:7], -v[8:9]
	v_add_f64 v[42:43], v[163:164], v[42:43]
	v_add_f64 v[44:45], v[166:167], v[44:45]
	s_waitcnt vmcnt(5) lgkmcnt(1)
	v_mul_f64 v[163:164], v[2:3], v[12:13]
	v_mul_f64 v[12:13], v[4:5], v[12:13]
	s_delay_alu instid0(VALU_DEP_4) | instskip(NEXT) | instid1(VALU_DEP_4)
	v_add_f64 v[8:9], v[42:43], v[219:220]
	v_add_f64 v[34:35], v[44:45], v[217:218]
	s_waitcnt vmcnt(4) lgkmcnt(0)
	v_mul_f64 v[42:43], v[38:39], v[16:17]
	v_mul_f64 v[16:17], v[40:41], v[16:17]
	v_fma_f64 v[44:45], v[4:5], v[10:11], v[163:164]
	v_fma_f64 v[10:11], v[2:3], v[10:11], -v[12:13]
	v_add_f64 v[12:13], v[8:9], v[6:7]
	v_add_f64 v[34:35], v[34:35], v[36:37]
	ds_load_b128 v[2:5], v1 offset:1600
	ds_load_b128 v[6:9], v1 offset:1616
	v_fma_f64 v[40:41], v[40:41], v[14:15], v[42:43]
	v_fma_f64 v[14:15], v[38:39], v[14:15], -v[16:17]
	s_waitcnt vmcnt(3) lgkmcnt(1)
	v_mul_f64 v[36:37], v[2:3], v[20:21]
	v_mul_f64 v[20:21], v[4:5], v[20:21]
	s_waitcnt vmcnt(2) lgkmcnt(0)
	v_mul_f64 v[16:17], v[6:7], v[24:25]
	v_mul_f64 v[24:25], v[8:9], v[24:25]
	v_add_f64 v[10:11], v[12:13], v[10:11]
	v_add_f64 v[12:13], v[34:35], v[44:45]
	v_fma_f64 v[34:35], v[4:5], v[18:19], v[36:37]
	v_fma_f64 v[18:19], v[2:3], v[18:19], -v[20:21]
	v_fma_f64 v[8:9], v[8:9], v[22:23], v[16:17]
	v_fma_f64 v[6:7], v[6:7], v[22:23], -v[24:25]
	v_add_f64 v[14:15], v[10:11], v[14:15]
	v_add_f64 v[20:21], v[12:13], v[40:41]
	ds_load_b128 v[2:5], v1 offset:1632
	ds_load_b128 v[10:13], v1 offset:1648
	s_waitcnt vmcnt(1) lgkmcnt(1)
	v_mul_f64 v[36:37], v[2:3], v[28:29]
	v_mul_f64 v[28:29], v[4:5], v[28:29]
	v_add_f64 v[14:15], v[14:15], v[18:19]
	v_add_f64 v[16:17], v[20:21], v[34:35]
	s_waitcnt vmcnt(0) lgkmcnt(0)
	v_mul_f64 v[18:19], v[10:11], v[32:33]
	v_mul_f64 v[20:21], v[12:13], v[32:33]
	v_fma_f64 v[4:5], v[4:5], v[26:27], v[36:37]
	v_fma_f64 v[1:2], v[2:3], v[26:27], -v[28:29]
	v_add_f64 v[6:7], v[14:15], v[6:7]
	v_add_f64 v[8:9], v[16:17], v[8:9]
	v_fma_f64 v[12:13], v[12:13], v[30:31], v[18:19]
	v_fma_f64 v[10:11], v[10:11], v[30:31], -v[20:21]
	s_delay_alu instid0(VALU_DEP_4) | instskip(NEXT) | instid1(VALU_DEP_4)
	v_add_f64 v[1:2], v[6:7], v[1:2]
	v_add_f64 v[3:4], v[8:9], v[4:5]
	s_delay_alu instid0(VALU_DEP_2) | instskip(NEXT) | instid1(VALU_DEP_2)
	v_add_f64 v[1:2], v[1:2], v[10:11]
	v_add_f64 v[3:4], v[3:4], v[12:13]
	s_delay_alu instid0(VALU_DEP_2) | instskip(NEXT) | instid1(VALU_DEP_2)
	v_add_f64 v[1:2], v[153:154], -v[1:2]
	v_add_f64 v[3:4], v[155:156], -v[3:4]
	scratch_store_b128 off, v[1:4], off offset:528
	v_cmpx_lt_u32_e32 32, v150
	s_cbranch_execz .LBB115_261
; %bb.260:
	scratch_load_b128 v[1:4], v215, off
	v_mov_b32_e32 v5, 0
	s_delay_alu instid0(VALU_DEP_1)
	v_mov_b32_e32 v6, v5
	v_mov_b32_e32 v7, v5
	;; [unrolled: 1-line block ×3, first 2 shown]
	scratch_store_b128 off, v[5:8], off offset:512
	s_waitcnt vmcnt(0)
	ds_store_b128 v202, v[1:4]
.LBB115_261:
	s_or_b32 exec_lo, exec_lo, s2
	s_waitcnt lgkmcnt(0)
	s_waitcnt_vscnt null, 0x0
	s_barrier
	buffer_gl0_inv
	s_clause 0x7
	scratch_load_b128 v[2:5], off, off offset:528
	scratch_load_b128 v[6:9], off, off offset:544
	;; [unrolled: 1-line block ×8, first 2 shown]
	v_mov_b32_e32 v1, 0
	s_mov_b32 s2, exec_lo
	ds_load_b128 v[34:37], v1 offset:1360
	s_clause 0x1
	scratch_load_b128 v[38:41], off, off offset:656
	scratch_load_b128 v[42:45], off, off offset:512
	ds_load_b128 v[153:156], v1 offset:1376
	scratch_load_b128 v[166:169], off, off offset:672
	ds_load_b128 v[217:220], v1 offset:1408
	s_waitcnt vmcnt(10) lgkmcnt(2)
	v_mul_f64 v[163:164], v[36:37], v[4:5]
	v_mul_f64 v[4:5], v[34:35], v[4:5]
	s_delay_alu instid0(VALU_DEP_2) | instskip(NEXT) | instid1(VALU_DEP_2)
	v_fma_f64 v[163:164], v[34:35], v[2:3], -v[163:164]
	v_fma_f64 v[223:224], v[36:37], v[2:3], v[4:5]
	ds_load_b128 v[2:5], v1 offset:1392
	s_waitcnt vmcnt(9) lgkmcnt(2)
	v_mul_f64 v[221:222], v[153:154], v[8:9]
	v_mul_f64 v[8:9], v[155:156], v[8:9]
	scratch_load_b128 v[34:37], off, off offset:688
	s_waitcnt vmcnt(9) lgkmcnt(0)
	v_mul_f64 v[225:226], v[2:3], v[12:13]
	v_mul_f64 v[12:13], v[4:5], v[12:13]
	v_add_f64 v[163:164], v[163:164], 0
	v_fma_f64 v[155:156], v[155:156], v[6:7], v[221:222]
	v_fma_f64 v[153:154], v[153:154], v[6:7], -v[8:9]
	v_add_f64 v[221:222], v[223:224], 0
	scratch_load_b128 v[6:9], off, off offset:704
	v_fma_f64 v[225:226], v[4:5], v[10:11], v[225:226]
	v_fma_f64 v[227:228], v[2:3], v[10:11], -v[12:13]
	scratch_load_b128 v[10:13], off, off offset:720
	ds_load_b128 v[2:5], v1 offset:1424
	s_waitcnt vmcnt(10)
	v_mul_f64 v[223:224], v[217:218], v[16:17]
	v_mul_f64 v[16:17], v[219:220], v[16:17]
	v_add_f64 v[163:164], v[163:164], v[153:154]
	v_add_f64 v[221:222], v[221:222], v[155:156]
	ds_load_b128 v[153:156], v1 offset:1440
	s_waitcnt vmcnt(9) lgkmcnt(1)
	v_mul_f64 v[229:230], v[2:3], v[20:21]
	v_mul_f64 v[20:21], v[4:5], v[20:21]
	v_fma_f64 v[219:220], v[219:220], v[14:15], v[223:224]
	v_fma_f64 v[217:218], v[217:218], v[14:15], -v[16:17]
	scratch_load_b128 v[14:17], off, off offset:736
	v_add_f64 v[163:164], v[163:164], v[227:228]
	v_add_f64 v[221:222], v[221:222], v[225:226]
	v_fma_f64 v[225:226], v[4:5], v[18:19], v[229:230]
	v_fma_f64 v[227:228], v[2:3], v[18:19], -v[20:21]
	scratch_load_b128 v[18:21], off, off offset:752
	ds_load_b128 v[2:5], v1 offset:1456
	s_waitcnt vmcnt(10) lgkmcnt(1)
	v_mul_f64 v[223:224], v[153:154], v[24:25]
	v_mul_f64 v[24:25], v[155:156], v[24:25]
	s_waitcnt vmcnt(9) lgkmcnt(0)
	v_mul_f64 v[229:230], v[2:3], v[28:29]
	v_mul_f64 v[28:29], v[4:5], v[28:29]
	v_add_f64 v[163:164], v[163:164], v[217:218]
	v_add_f64 v[221:222], v[221:222], v[219:220]
	ds_load_b128 v[217:220], v1 offset:1472
	v_fma_f64 v[155:156], v[155:156], v[22:23], v[223:224]
	v_fma_f64 v[153:154], v[153:154], v[22:23], -v[24:25]
	scratch_load_b128 v[22:25], off, off offset:768
	v_add_f64 v[163:164], v[163:164], v[227:228]
	v_add_f64 v[221:222], v[221:222], v[225:226]
	v_fma_f64 v[225:226], v[4:5], v[26:27], v[229:230]
	v_fma_f64 v[227:228], v[2:3], v[26:27], -v[28:29]
	scratch_load_b128 v[26:29], off, off offset:784
	ds_load_b128 v[2:5], v1 offset:1488
	s_waitcnt vmcnt(10) lgkmcnt(1)
	v_mul_f64 v[223:224], v[217:218], v[32:33]
	v_mul_f64 v[32:33], v[219:220], v[32:33]
	s_waitcnt vmcnt(9) lgkmcnt(0)
	v_mul_f64 v[229:230], v[2:3], v[40:41]
	v_mul_f64 v[40:41], v[4:5], v[40:41]
	v_add_f64 v[163:164], v[163:164], v[153:154]
	v_add_f64 v[221:222], v[221:222], v[155:156]
	ds_load_b128 v[153:156], v1 offset:1504
	v_fma_f64 v[219:220], v[219:220], v[30:31], v[223:224]
	v_fma_f64 v[217:218], v[217:218], v[30:31], -v[32:33]
	scratch_load_b128 v[30:33], off, off offset:800
	v_add_f64 v[163:164], v[163:164], v[227:228]
	v_add_f64 v[221:222], v[221:222], v[225:226]
	v_fma_f64 v[225:226], v[4:5], v[38:39], v[229:230]
	v_fma_f64 v[227:228], v[2:3], v[38:39], -v[40:41]
	scratch_load_b128 v[38:41], off, off offset:816
	ds_load_b128 v[2:5], v1 offset:1520
	s_waitcnt vmcnt(9) lgkmcnt(1)
	v_mul_f64 v[223:224], v[153:154], v[168:169]
	v_mul_f64 v[168:169], v[155:156], v[168:169]
	v_add_f64 v[163:164], v[163:164], v[217:218]
	v_add_f64 v[221:222], v[221:222], v[219:220]
	ds_load_b128 v[217:220], v1 offset:1536
	v_fma_f64 v[155:156], v[155:156], v[166:167], v[223:224]
	v_fma_f64 v[153:154], v[153:154], v[166:167], -v[168:169]
	s_waitcnt vmcnt(8) lgkmcnt(1)
	v_mul_f64 v[229:230], v[2:3], v[36:37]
	v_mul_f64 v[36:37], v[4:5], v[36:37]
	v_add_f64 v[163:164], v[163:164], v[227:228]
	v_add_f64 v[166:167], v[221:222], v[225:226]
	s_delay_alu instid0(VALU_DEP_4)
	v_fma_f64 v[221:222], v[4:5], v[34:35], v[229:230]
	s_waitcnt vmcnt(7) lgkmcnt(0)
	v_mul_f64 v[168:169], v[217:218], v[8:9]
	v_mul_f64 v[8:9], v[219:220], v[8:9]
	v_fma_f64 v[223:224], v[2:3], v[34:35], -v[36:37]
	ds_load_b128 v[2:5], v1 offset:1552
	ds_load_b128 v[34:37], v1 offset:1568
	v_add_f64 v[153:154], v[163:164], v[153:154]
	v_add_f64 v[155:156], v[166:167], v[155:156]
	s_waitcnt vmcnt(6) lgkmcnt(1)
	v_mul_f64 v[163:164], v[2:3], v[12:13]
	v_mul_f64 v[12:13], v[4:5], v[12:13]
	v_fma_f64 v[166:167], v[219:220], v[6:7], v[168:169]
	v_fma_f64 v[6:7], v[217:218], v[6:7], -v[8:9]
	v_add_f64 v[8:9], v[153:154], v[223:224]
	v_add_f64 v[153:154], v[155:156], v[221:222]
	s_waitcnt vmcnt(5) lgkmcnt(0)
	v_mul_f64 v[155:156], v[34:35], v[16:17]
	v_mul_f64 v[16:17], v[36:37], v[16:17]
	v_fma_f64 v[163:164], v[4:5], v[10:11], v[163:164]
	v_fma_f64 v[10:11], v[2:3], v[10:11], -v[12:13]
	v_add_f64 v[12:13], v[8:9], v[6:7]
	v_add_f64 v[153:154], v[153:154], v[166:167]
	ds_load_b128 v[2:5], v1 offset:1584
	ds_load_b128 v[6:9], v1 offset:1600
	v_fma_f64 v[36:37], v[36:37], v[14:15], v[155:156]
	v_fma_f64 v[14:15], v[34:35], v[14:15], -v[16:17]
	s_waitcnt vmcnt(4) lgkmcnt(1)
	v_mul_f64 v[166:167], v[2:3], v[20:21]
	v_mul_f64 v[20:21], v[4:5], v[20:21]
	s_waitcnt vmcnt(3) lgkmcnt(0)
	v_mul_f64 v[16:17], v[6:7], v[24:25]
	v_mul_f64 v[24:25], v[8:9], v[24:25]
	v_add_f64 v[10:11], v[12:13], v[10:11]
	v_add_f64 v[12:13], v[153:154], v[163:164]
	v_fma_f64 v[34:35], v[4:5], v[18:19], v[166:167]
	v_fma_f64 v[18:19], v[2:3], v[18:19], -v[20:21]
	v_fma_f64 v[8:9], v[8:9], v[22:23], v[16:17]
	v_fma_f64 v[6:7], v[6:7], v[22:23], -v[24:25]
	v_add_f64 v[14:15], v[10:11], v[14:15]
	v_add_f64 v[20:21], v[12:13], v[36:37]
	ds_load_b128 v[2:5], v1 offset:1616
	ds_load_b128 v[10:13], v1 offset:1632
	s_waitcnt vmcnt(2) lgkmcnt(1)
	v_mul_f64 v[36:37], v[2:3], v[28:29]
	v_mul_f64 v[28:29], v[4:5], v[28:29]
	v_add_f64 v[14:15], v[14:15], v[18:19]
	v_add_f64 v[16:17], v[20:21], v[34:35]
	s_waitcnt vmcnt(1) lgkmcnt(0)
	v_mul_f64 v[18:19], v[10:11], v[32:33]
	v_mul_f64 v[20:21], v[12:13], v[32:33]
	v_fma_f64 v[22:23], v[4:5], v[26:27], v[36:37]
	v_fma_f64 v[24:25], v[2:3], v[26:27], -v[28:29]
	ds_load_b128 v[2:5], v1 offset:1648
	v_add_f64 v[6:7], v[14:15], v[6:7]
	v_add_f64 v[8:9], v[16:17], v[8:9]
	v_fma_f64 v[12:13], v[12:13], v[30:31], v[18:19]
	v_fma_f64 v[10:11], v[10:11], v[30:31], -v[20:21]
	s_waitcnt vmcnt(0) lgkmcnt(0)
	v_mul_f64 v[14:15], v[2:3], v[40:41]
	v_mul_f64 v[16:17], v[4:5], v[40:41]
	v_add_f64 v[6:7], v[6:7], v[24:25]
	v_add_f64 v[8:9], v[8:9], v[22:23]
	s_delay_alu instid0(VALU_DEP_4) | instskip(NEXT) | instid1(VALU_DEP_4)
	v_fma_f64 v[4:5], v[4:5], v[38:39], v[14:15]
	v_fma_f64 v[2:3], v[2:3], v[38:39], -v[16:17]
	s_delay_alu instid0(VALU_DEP_4) | instskip(NEXT) | instid1(VALU_DEP_4)
	v_add_f64 v[6:7], v[6:7], v[10:11]
	v_add_f64 v[8:9], v[8:9], v[12:13]
	s_delay_alu instid0(VALU_DEP_2) | instskip(NEXT) | instid1(VALU_DEP_2)
	v_add_f64 v[2:3], v[6:7], v[2:3]
	v_add_f64 v[4:5], v[8:9], v[4:5]
	s_delay_alu instid0(VALU_DEP_2) | instskip(NEXT) | instid1(VALU_DEP_2)
	v_add_f64 v[2:3], v[42:43], -v[2:3]
	v_add_f64 v[4:5], v[44:45], -v[4:5]
	scratch_store_b128 off, v[2:5], off offset:512
	v_cmpx_lt_u32_e32 31, v150
	s_cbranch_execz .LBB115_263
; %bb.262:
	scratch_load_b128 v[5:8], v216, off
	v_mov_b32_e32 v2, v1
	v_mov_b32_e32 v3, v1
	;; [unrolled: 1-line block ×3, first 2 shown]
	scratch_store_b128 off, v[1:4], off offset:496
	s_waitcnt vmcnt(0)
	ds_store_b128 v202, v[5:8]
.LBB115_263:
	s_or_b32 exec_lo, exec_lo, s2
	s_waitcnt lgkmcnt(0)
	s_waitcnt_vscnt null, 0x0
	s_barrier
	buffer_gl0_inv
	s_clause 0x8
	scratch_load_b128 v[2:5], off, off offset:512
	scratch_load_b128 v[6:9], off, off offset:528
	;; [unrolled: 1-line block ×9, first 2 shown]
	ds_load_b128 v[38:41], v1 offset:1344
	ds_load_b128 v[42:45], v1 offset:1360
	s_clause 0x1
	scratch_load_b128 v[153:156], off, off offset:496
	scratch_load_b128 v[166:169], off, off offset:656
	s_mov_b32 s2, exec_lo
	ds_load_b128 v[217:220], v1 offset:1392
	s_waitcnt vmcnt(10) lgkmcnt(2)
	v_mul_f64 v[163:164], v[40:41], v[4:5]
	v_mul_f64 v[4:5], v[38:39], v[4:5]
	s_waitcnt vmcnt(9) lgkmcnt(1)
	v_mul_f64 v[221:222], v[42:43], v[8:9]
	v_mul_f64 v[8:9], v[44:45], v[8:9]
	s_delay_alu instid0(VALU_DEP_4) | instskip(NEXT) | instid1(VALU_DEP_4)
	v_fma_f64 v[163:164], v[38:39], v[2:3], -v[163:164]
	v_fma_f64 v[223:224], v[40:41], v[2:3], v[4:5]
	ds_load_b128 v[2:5], v1 offset:1376
	scratch_load_b128 v[38:41], off, off offset:672
	v_fma_f64 v[44:45], v[44:45], v[6:7], v[221:222]
	v_fma_f64 v[42:43], v[42:43], v[6:7], -v[8:9]
	scratch_load_b128 v[6:9], off, off offset:688
	s_waitcnt vmcnt(10) lgkmcnt(0)
	v_mul_f64 v[225:226], v[2:3], v[12:13]
	v_mul_f64 v[12:13], v[4:5], v[12:13]
	v_add_f64 v[163:164], v[163:164], 0
	v_add_f64 v[221:222], v[223:224], 0
	s_waitcnt vmcnt(9)
	v_mul_f64 v[223:224], v[217:218], v[16:17]
	v_mul_f64 v[16:17], v[219:220], v[16:17]
	v_fma_f64 v[225:226], v[4:5], v[10:11], v[225:226]
	v_fma_f64 v[227:228], v[2:3], v[10:11], -v[12:13]
	ds_load_b128 v[2:5], v1 offset:1408
	scratch_load_b128 v[10:13], off, off offset:704
	v_add_f64 v[163:164], v[163:164], v[42:43]
	v_add_f64 v[221:222], v[221:222], v[44:45]
	ds_load_b128 v[42:45], v1 offset:1424
	v_fma_f64 v[219:220], v[219:220], v[14:15], v[223:224]
	v_fma_f64 v[217:218], v[217:218], v[14:15], -v[16:17]
	scratch_load_b128 v[14:17], off, off offset:720
	s_waitcnt vmcnt(10) lgkmcnt(1)
	v_mul_f64 v[229:230], v[2:3], v[20:21]
	v_mul_f64 v[20:21], v[4:5], v[20:21]
	s_waitcnt vmcnt(9) lgkmcnt(0)
	v_mul_f64 v[223:224], v[42:43], v[24:25]
	v_mul_f64 v[24:25], v[44:45], v[24:25]
	v_add_f64 v[163:164], v[163:164], v[227:228]
	v_add_f64 v[221:222], v[221:222], v[225:226]
	v_fma_f64 v[225:226], v[4:5], v[18:19], v[229:230]
	v_fma_f64 v[227:228], v[2:3], v[18:19], -v[20:21]
	ds_load_b128 v[2:5], v1 offset:1440
	scratch_load_b128 v[18:21], off, off offset:736
	v_fma_f64 v[44:45], v[44:45], v[22:23], v[223:224]
	v_fma_f64 v[42:43], v[42:43], v[22:23], -v[24:25]
	scratch_load_b128 v[22:25], off, off offset:752
	v_add_f64 v[163:164], v[163:164], v[217:218]
	v_add_f64 v[221:222], v[221:222], v[219:220]
	ds_load_b128 v[217:220], v1 offset:1456
	s_waitcnt vmcnt(10) lgkmcnt(1)
	v_mul_f64 v[229:230], v[2:3], v[28:29]
	v_mul_f64 v[28:29], v[4:5], v[28:29]
	s_waitcnt vmcnt(9) lgkmcnt(0)
	v_mul_f64 v[223:224], v[217:218], v[32:33]
	v_mul_f64 v[32:33], v[219:220], v[32:33]
	v_add_f64 v[163:164], v[163:164], v[227:228]
	v_add_f64 v[221:222], v[221:222], v[225:226]
	v_fma_f64 v[225:226], v[4:5], v[26:27], v[229:230]
	v_fma_f64 v[227:228], v[2:3], v[26:27], -v[28:29]
	ds_load_b128 v[2:5], v1 offset:1472
	scratch_load_b128 v[26:29], off, off offset:768
	v_fma_f64 v[219:220], v[219:220], v[30:31], v[223:224]
	v_fma_f64 v[217:218], v[217:218], v[30:31], -v[32:33]
	scratch_load_b128 v[30:33], off, off offset:784
	v_add_f64 v[163:164], v[163:164], v[42:43]
	v_add_f64 v[221:222], v[221:222], v[44:45]
	ds_load_b128 v[42:45], v1 offset:1488
	s_waitcnt vmcnt(10) lgkmcnt(1)
	v_mul_f64 v[229:230], v[2:3], v[36:37]
	v_mul_f64 v[36:37], v[4:5], v[36:37]
	s_waitcnt vmcnt(8) lgkmcnt(0)
	v_mul_f64 v[223:224], v[42:43], v[168:169]
	v_mul_f64 v[168:169], v[44:45], v[168:169]
	v_add_f64 v[163:164], v[163:164], v[227:228]
	v_add_f64 v[221:222], v[221:222], v[225:226]
	v_fma_f64 v[225:226], v[4:5], v[34:35], v[229:230]
	v_fma_f64 v[227:228], v[2:3], v[34:35], -v[36:37]
	ds_load_b128 v[2:5], v1 offset:1504
	scratch_load_b128 v[34:37], off, off offset:800
	v_fma_f64 v[44:45], v[44:45], v[166:167], v[223:224]
	v_fma_f64 v[166:167], v[42:43], v[166:167], -v[168:169]
	v_add_f64 v[163:164], v[163:164], v[217:218]
	v_add_f64 v[221:222], v[221:222], v[219:220]
	ds_load_b128 v[217:220], v1 offset:1520
	s_waitcnt vmcnt(8) lgkmcnt(1)
	v_mul_f64 v[229:230], v[2:3], v[40:41]
	v_mul_f64 v[231:232], v[4:5], v[40:41]
	scratch_load_b128 v[40:43], off, off offset:816
	v_add_f64 v[163:164], v[163:164], v[227:228]
	v_add_f64 v[168:169], v[221:222], v[225:226]
	s_waitcnt vmcnt(8) lgkmcnt(0)
	v_mul_f64 v[221:222], v[217:218], v[8:9]
	v_mul_f64 v[8:9], v[219:220], v[8:9]
	v_fma_f64 v[223:224], v[4:5], v[38:39], v[229:230]
	v_fma_f64 v[38:39], v[2:3], v[38:39], -v[231:232]
	v_add_f64 v[163:164], v[163:164], v[166:167]
	v_add_f64 v[44:45], v[168:169], v[44:45]
	ds_load_b128 v[2:5], v1 offset:1536
	ds_load_b128 v[166:169], v1 offset:1552
	v_fma_f64 v[219:220], v[219:220], v[6:7], v[221:222]
	v_fma_f64 v[6:7], v[217:218], v[6:7], -v[8:9]
	s_waitcnt vmcnt(7) lgkmcnt(1)
	v_mul_f64 v[225:226], v[2:3], v[12:13]
	v_mul_f64 v[12:13], v[4:5], v[12:13]
	v_add_f64 v[8:9], v[163:164], v[38:39]
	v_add_f64 v[38:39], v[44:45], v[223:224]
	s_waitcnt vmcnt(6) lgkmcnt(0)
	v_mul_f64 v[44:45], v[166:167], v[16:17]
	v_mul_f64 v[16:17], v[168:169], v[16:17]
	v_fma_f64 v[163:164], v[4:5], v[10:11], v[225:226]
	v_fma_f64 v[10:11], v[2:3], v[10:11], -v[12:13]
	v_add_f64 v[12:13], v[8:9], v[6:7]
	v_add_f64 v[38:39], v[38:39], v[219:220]
	ds_load_b128 v[2:5], v1 offset:1568
	ds_load_b128 v[6:9], v1 offset:1584
	v_fma_f64 v[44:45], v[168:169], v[14:15], v[44:45]
	v_fma_f64 v[14:15], v[166:167], v[14:15], -v[16:17]
	s_waitcnt vmcnt(5) lgkmcnt(1)
	v_mul_f64 v[217:218], v[2:3], v[20:21]
	v_mul_f64 v[20:21], v[4:5], v[20:21]
	s_waitcnt vmcnt(4) lgkmcnt(0)
	v_mul_f64 v[16:17], v[6:7], v[24:25]
	v_mul_f64 v[24:25], v[8:9], v[24:25]
	v_add_f64 v[10:11], v[12:13], v[10:11]
	v_add_f64 v[12:13], v[38:39], v[163:164]
	v_fma_f64 v[38:39], v[4:5], v[18:19], v[217:218]
	v_fma_f64 v[18:19], v[2:3], v[18:19], -v[20:21]
	v_fma_f64 v[8:9], v[8:9], v[22:23], v[16:17]
	v_fma_f64 v[6:7], v[6:7], v[22:23], -v[24:25]
	v_add_f64 v[14:15], v[10:11], v[14:15]
	v_add_f64 v[20:21], v[12:13], v[44:45]
	ds_load_b128 v[2:5], v1 offset:1600
	ds_load_b128 v[10:13], v1 offset:1616
	s_waitcnt vmcnt(3) lgkmcnt(1)
	v_mul_f64 v[44:45], v[2:3], v[28:29]
	v_mul_f64 v[28:29], v[4:5], v[28:29]
	v_add_f64 v[14:15], v[14:15], v[18:19]
	v_add_f64 v[16:17], v[20:21], v[38:39]
	s_waitcnt vmcnt(2) lgkmcnt(0)
	v_mul_f64 v[18:19], v[10:11], v[32:33]
	v_mul_f64 v[20:21], v[12:13], v[32:33]
	v_fma_f64 v[22:23], v[4:5], v[26:27], v[44:45]
	v_fma_f64 v[24:25], v[2:3], v[26:27], -v[28:29]
	v_add_f64 v[14:15], v[14:15], v[6:7]
	v_add_f64 v[16:17], v[16:17], v[8:9]
	ds_load_b128 v[2:5], v1 offset:1632
	ds_load_b128 v[6:9], v1 offset:1648
	v_fma_f64 v[12:13], v[12:13], v[30:31], v[18:19]
	v_fma_f64 v[10:11], v[10:11], v[30:31], -v[20:21]
	s_waitcnt vmcnt(1) lgkmcnt(1)
	v_mul_f64 v[26:27], v[2:3], v[36:37]
	v_mul_f64 v[28:29], v[4:5], v[36:37]
	s_waitcnt vmcnt(0) lgkmcnt(0)
	v_mul_f64 v[18:19], v[6:7], v[42:43]
	v_add_f64 v[14:15], v[14:15], v[24:25]
	v_add_f64 v[16:17], v[16:17], v[22:23]
	v_mul_f64 v[20:21], v[8:9], v[42:43]
	v_fma_f64 v[4:5], v[4:5], v[34:35], v[26:27]
	v_fma_f64 v[1:2], v[2:3], v[34:35], -v[28:29]
	v_fma_f64 v[8:9], v[8:9], v[40:41], v[18:19]
	v_add_f64 v[10:11], v[14:15], v[10:11]
	v_add_f64 v[12:13], v[16:17], v[12:13]
	v_fma_f64 v[6:7], v[6:7], v[40:41], -v[20:21]
	s_delay_alu instid0(VALU_DEP_3) | instskip(NEXT) | instid1(VALU_DEP_3)
	v_add_f64 v[1:2], v[10:11], v[1:2]
	v_add_f64 v[3:4], v[12:13], v[4:5]
	s_delay_alu instid0(VALU_DEP_2) | instskip(NEXT) | instid1(VALU_DEP_2)
	v_add_f64 v[1:2], v[1:2], v[6:7]
	v_add_f64 v[3:4], v[3:4], v[8:9]
	s_delay_alu instid0(VALU_DEP_2) | instskip(NEXT) | instid1(VALU_DEP_2)
	v_add_f64 v[1:2], v[153:154], -v[1:2]
	v_add_f64 v[3:4], v[155:156], -v[3:4]
	scratch_store_b128 off, v[1:4], off offset:496
	v_cmpx_lt_u32_e32 30, v150
	s_cbranch_execz .LBB115_265
; %bb.264:
	scratch_load_b128 v[1:4], v171, off
	v_mov_b32_e32 v5, 0
	s_delay_alu instid0(VALU_DEP_1)
	v_mov_b32_e32 v6, v5
	v_mov_b32_e32 v7, v5
	;; [unrolled: 1-line block ×3, first 2 shown]
	scratch_store_b128 off, v[5:8], off offset:480
	s_waitcnt vmcnt(0)
	ds_store_b128 v202, v[1:4]
.LBB115_265:
	s_or_b32 exec_lo, exec_lo, s2
	s_waitcnt lgkmcnt(0)
	s_waitcnt_vscnt null, 0x0
	s_barrier
	buffer_gl0_inv
	s_clause 0x7
	scratch_load_b128 v[2:5], off, off offset:496
	scratch_load_b128 v[6:9], off, off offset:512
	;; [unrolled: 1-line block ×8, first 2 shown]
	v_mov_b32_e32 v1, 0
	s_mov_b32 s2, exec_lo
	ds_load_b128 v[34:37], v1 offset:1328
	s_clause 0x1
	scratch_load_b128 v[38:41], off, off offset:624
	scratch_load_b128 v[42:45], off, off offset:480
	ds_load_b128 v[153:156], v1 offset:1344
	scratch_load_b128 v[166:169], off, off offset:640
	ds_load_b128 v[217:220], v1 offset:1376
	s_waitcnt vmcnt(10) lgkmcnt(2)
	v_mul_f64 v[163:164], v[36:37], v[4:5]
	v_mul_f64 v[4:5], v[34:35], v[4:5]
	s_delay_alu instid0(VALU_DEP_2) | instskip(NEXT) | instid1(VALU_DEP_2)
	v_fma_f64 v[163:164], v[34:35], v[2:3], -v[163:164]
	v_fma_f64 v[223:224], v[36:37], v[2:3], v[4:5]
	ds_load_b128 v[2:5], v1 offset:1360
	s_waitcnt vmcnt(9) lgkmcnt(2)
	v_mul_f64 v[221:222], v[153:154], v[8:9]
	v_mul_f64 v[8:9], v[155:156], v[8:9]
	scratch_load_b128 v[34:37], off, off offset:656
	s_waitcnt vmcnt(9) lgkmcnt(0)
	v_mul_f64 v[225:226], v[2:3], v[12:13]
	v_mul_f64 v[12:13], v[4:5], v[12:13]
	v_add_f64 v[163:164], v[163:164], 0
	v_fma_f64 v[155:156], v[155:156], v[6:7], v[221:222]
	v_fma_f64 v[153:154], v[153:154], v[6:7], -v[8:9]
	v_add_f64 v[221:222], v[223:224], 0
	scratch_load_b128 v[6:9], off, off offset:672
	v_fma_f64 v[225:226], v[4:5], v[10:11], v[225:226]
	v_fma_f64 v[227:228], v[2:3], v[10:11], -v[12:13]
	scratch_load_b128 v[10:13], off, off offset:688
	ds_load_b128 v[2:5], v1 offset:1392
	s_waitcnt vmcnt(10)
	v_mul_f64 v[223:224], v[217:218], v[16:17]
	v_mul_f64 v[16:17], v[219:220], v[16:17]
	v_add_f64 v[163:164], v[163:164], v[153:154]
	v_add_f64 v[221:222], v[221:222], v[155:156]
	ds_load_b128 v[153:156], v1 offset:1408
	s_waitcnt vmcnt(9) lgkmcnt(1)
	v_mul_f64 v[229:230], v[2:3], v[20:21]
	v_mul_f64 v[20:21], v[4:5], v[20:21]
	v_fma_f64 v[219:220], v[219:220], v[14:15], v[223:224]
	v_fma_f64 v[217:218], v[217:218], v[14:15], -v[16:17]
	scratch_load_b128 v[14:17], off, off offset:704
	v_add_f64 v[163:164], v[163:164], v[227:228]
	v_add_f64 v[221:222], v[221:222], v[225:226]
	v_fma_f64 v[225:226], v[4:5], v[18:19], v[229:230]
	v_fma_f64 v[227:228], v[2:3], v[18:19], -v[20:21]
	scratch_load_b128 v[18:21], off, off offset:720
	ds_load_b128 v[2:5], v1 offset:1424
	s_waitcnt vmcnt(10) lgkmcnt(1)
	v_mul_f64 v[223:224], v[153:154], v[24:25]
	v_mul_f64 v[24:25], v[155:156], v[24:25]
	s_waitcnt vmcnt(9) lgkmcnt(0)
	v_mul_f64 v[229:230], v[2:3], v[28:29]
	v_mul_f64 v[28:29], v[4:5], v[28:29]
	v_add_f64 v[163:164], v[163:164], v[217:218]
	v_add_f64 v[221:222], v[221:222], v[219:220]
	ds_load_b128 v[217:220], v1 offset:1440
	v_fma_f64 v[155:156], v[155:156], v[22:23], v[223:224]
	v_fma_f64 v[153:154], v[153:154], v[22:23], -v[24:25]
	scratch_load_b128 v[22:25], off, off offset:736
	v_add_f64 v[163:164], v[163:164], v[227:228]
	v_add_f64 v[221:222], v[221:222], v[225:226]
	v_fma_f64 v[225:226], v[4:5], v[26:27], v[229:230]
	v_fma_f64 v[227:228], v[2:3], v[26:27], -v[28:29]
	scratch_load_b128 v[26:29], off, off offset:752
	ds_load_b128 v[2:5], v1 offset:1456
	s_waitcnt vmcnt(10) lgkmcnt(1)
	v_mul_f64 v[223:224], v[217:218], v[32:33]
	v_mul_f64 v[32:33], v[219:220], v[32:33]
	s_waitcnt vmcnt(9) lgkmcnt(0)
	v_mul_f64 v[229:230], v[2:3], v[40:41]
	v_mul_f64 v[40:41], v[4:5], v[40:41]
	v_add_f64 v[163:164], v[163:164], v[153:154]
	v_add_f64 v[221:222], v[221:222], v[155:156]
	ds_load_b128 v[153:156], v1 offset:1472
	v_fma_f64 v[219:220], v[219:220], v[30:31], v[223:224]
	v_fma_f64 v[217:218], v[217:218], v[30:31], -v[32:33]
	scratch_load_b128 v[30:33], off, off offset:768
	v_add_f64 v[163:164], v[163:164], v[227:228]
	v_add_f64 v[221:222], v[221:222], v[225:226]
	v_fma_f64 v[225:226], v[4:5], v[38:39], v[229:230]
	v_fma_f64 v[227:228], v[2:3], v[38:39], -v[40:41]
	scratch_load_b128 v[38:41], off, off offset:784
	ds_load_b128 v[2:5], v1 offset:1488
	s_waitcnt vmcnt(9) lgkmcnt(1)
	v_mul_f64 v[223:224], v[153:154], v[168:169]
	v_mul_f64 v[168:169], v[155:156], v[168:169]
	v_add_f64 v[163:164], v[163:164], v[217:218]
	v_add_f64 v[221:222], v[221:222], v[219:220]
	ds_load_b128 v[217:220], v1 offset:1504
	v_fma_f64 v[223:224], v[155:156], v[166:167], v[223:224]
	v_fma_f64 v[166:167], v[153:154], v[166:167], -v[168:169]
	scratch_load_b128 v[153:156], off, off offset:800
	s_waitcnt vmcnt(9) lgkmcnt(1)
	v_mul_f64 v[229:230], v[2:3], v[36:37]
	v_mul_f64 v[36:37], v[4:5], v[36:37]
	v_add_f64 v[163:164], v[163:164], v[227:228]
	v_add_f64 v[168:169], v[221:222], v[225:226]
	s_delay_alu instid0(VALU_DEP_4) | instskip(NEXT) | instid1(VALU_DEP_4)
	v_fma_f64 v[225:226], v[4:5], v[34:35], v[229:230]
	v_fma_f64 v[227:228], v[2:3], v[34:35], -v[36:37]
	scratch_load_b128 v[34:37], off, off offset:816
	ds_load_b128 v[2:5], v1 offset:1520
	s_waitcnt vmcnt(9) lgkmcnt(1)
	v_mul_f64 v[221:222], v[217:218], v[8:9]
	v_mul_f64 v[8:9], v[219:220], v[8:9]
	v_add_f64 v[163:164], v[163:164], v[166:167]
	v_add_f64 v[223:224], v[168:169], v[223:224]
	s_waitcnt vmcnt(8) lgkmcnt(0)
	v_mul_f64 v[229:230], v[2:3], v[12:13]
	v_mul_f64 v[12:13], v[4:5], v[12:13]
	ds_load_b128 v[166:169], v1 offset:1536
	v_fma_f64 v[219:220], v[219:220], v[6:7], v[221:222]
	v_fma_f64 v[6:7], v[217:218], v[6:7], -v[8:9]
	v_add_f64 v[8:9], v[163:164], v[227:228]
	v_add_f64 v[163:164], v[223:224], v[225:226]
	s_waitcnt vmcnt(7) lgkmcnt(0)
	v_mul_f64 v[217:218], v[166:167], v[16:17]
	v_mul_f64 v[16:17], v[168:169], v[16:17]
	v_fma_f64 v[221:222], v[4:5], v[10:11], v[229:230]
	v_fma_f64 v[10:11], v[2:3], v[10:11], -v[12:13]
	v_add_f64 v[12:13], v[8:9], v[6:7]
	v_add_f64 v[163:164], v[163:164], v[219:220]
	ds_load_b128 v[2:5], v1 offset:1552
	ds_load_b128 v[6:9], v1 offset:1568
	v_fma_f64 v[168:169], v[168:169], v[14:15], v[217:218]
	v_fma_f64 v[14:15], v[166:167], v[14:15], -v[16:17]
	s_waitcnt vmcnt(6) lgkmcnt(1)
	v_mul_f64 v[219:220], v[2:3], v[20:21]
	v_mul_f64 v[20:21], v[4:5], v[20:21]
	s_waitcnt vmcnt(5) lgkmcnt(0)
	v_mul_f64 v[16:17], v[6:7], v[24:25]
	v_mul_f64 v[24:25], v[8:9], v[24:25]
	v_add_f64 v[10:11], v[12:13], v[10:11]
	v_add_f64 v[12:13], v[163:164], v[221:222]
	v_fma_f64 v[163:164], v[4:5], v[18:19], v[219:220]
	v_fma_f64 v[18:19], v[2:3], v[18:19], -v[20:21]
	v_fma_f64 v[8:9], v[8:9], v[22:23], v[16:17]
	v_fma_f64 v[6:7], v[6:7], v[22:23], -v[24:25]
	v_add_f64 v[14:15], v[10:11], v[14:15]
	v_add_f64 v[20:21], v[12:13], v[168:169]
	ds_load_b128 v[2:5], v1 offset:1584
	ds_load_b128 v[10:13], v1 offset:1600
	s_waitcnt vmcnt(4) lgkmcnt(1)
	v_mul_f64 v[166:167], v[2:3], v[28:29]
	v_mul_f64 v[28:29], v[4:5], v[28:29]
	v_add_f64 v[14:15], v[14:15], v[18:19]
	v_add_f64 v[16:17], v[20:21], v[163:164]
	s_waitcnt vmcnt(3) lgkmcnt(0)
	v_mul_f64 v[18:19], v[10:11], v[32:33]
	v_mul_f64 v[20:21], v[12:13], v[32:33]
	v_fma_f64 v[22:23], v[4:5], v[26:27], v[166:167]
	v_fma_f64 v[24:25], v[2:3], v[26:27], -v[28:29]
	v_add_f64 v[14:15], v[14:15], v[6:7]
	v_add_f64 v[16:17], v[16:17], v[8:9]
	ds_load_b128 v[2:5], v1 offset:1616
	ds_load_b128 v[6:9], v1 offset:1632
	v_fma_f64 v[12:13], v[12:13], v[30:31], v[18:19]
	v_fma_f64 v[10:11], v[10:11], v[30:31], -v[20:21]
	s_waitcnt vmcnt(2) lgkmcnt(1)
	v_mul_f64 v[26:27], v[2:3], v[40:41]
	v_mul_f64 v[28:29], v[4:5], v[40:41]
	s_waitcnt vmcnt(1) lgkmcnt(0)
	v_mul_f64 v[18:19], v[6:7], v[155:156]
	v_mul_f64 v[20:21], v[8:9], v[155:156]
	v_add_f64 v[14:15], v[14:15], v[24:25]
	v_add_f64 v[16:17], v[16:17], v[22:23]
	v_fma_f64 v[22:23], v[4:5], v[38:39], v[26:27]
	v_fma_f64 v[24:25], v[2:3], v[38:39], -v[28:29]
	ds_load_b128 v[2:5], v1 offset:1648
	v_fma_f64 v[8:9], v[8:9], v[153:154], v[18:19]
	v_fma_f64 v[6:7], v[6:7], v[153:154], -v[20:21]
	v_add_f64 v[10:11], v[14:15], v[10:11]
	v_add_f64 v[12:13], v[16:17], v[12:13]
	s_waitcnt vmcnt(0) lgkmcnt(0)
	v_mul_f64 v[14:15], v[2:3], v[36:37]
	v_mul_f64 v[16:17], v[4:5], v[36:37]
	s_delay_alu instid0(VALU_DEP_4) | instskip(NEXT) | instid1(VALU_DEP_4)
	v_add_f64 v[10:11], v[10:11], v[24:25]
	v_add_f64 v[12:13], v[12:13], v[22:23]
	s_delay_alu instid0(VALU_DEP_4) | instskip(NEXT) | instid1(VALU_DEP_4)
	v_fma_f64 v[4:5], v[4:5], v[34:35], v[14:15]
	v_fma_f64 v[2:3], v[2:3], v[34:35], -v[16:17]
	s_delay_alu instid0(VALU_DEP_4) | instskip(NEXT) | instid1(VALU_DEP_4)
	v_add_f64 v[6:7], v[10:11], v[6:7]
	v_add_f64 v[8:9], v[12:13], v[8:9]
	s_delay_alu instid0(VALU_DEP_2) | instskip(NEXT) | instid1(VALU_DEP_2)
	v_add_f64 v[2:3], v[6:7], v[2:3]
	v_add_f64 v[4:5], v[8:9], v[4:5]
	s_delay_alu instid0(VALU_DEP_2) | instskip(NEXT) | instid1(VALU_DEP_2)
	v_add_f64 v[2:3], v[42:43], -v[2:3]
	v_add_f64 v[4:5], v[44:45], -v[4:5]
	scratch_store_b128 off, v[2:5], off offset:480
	v_cmpx_lt_u32_e32 29, v150
	s_cbranch_execz .LBB115_267
; %bb.266:
	scratch_load_b128 v[5:8], v173, off
	v_mov_b32_e32 v2, v1
	v_mov_b32_e32 v3, v1
	;; [unrolled: 1-line block ×3, first 2 shown]
	scratch_store_b128 off, v[1:4], off offset:464
	s_waitcnt vmcnt(0)
	ds_store_b128 v202, v[5:8]
.LBB115_267:
	s_or_b32 exec_lo, exec_lo, s2
	s_waitcnt lgkmcnt(0)
	s_waitcnt_vscnt null, 0x0
	s_barrier
	buffer_gl0_inv
	s_clause 0x8
	scratch_load_b128 v[2:5], off, off offset:480
	scratch_load_b128 v[6:9], off, off offset:496
	;; [unrolled: 1-line block ×9, first 2 shown]
	ds_load_b128 v[38:41], v1 offset:1312
	ds_load_b128 v[42:45], v1 offset:1328
	s_clause 0x1
	scratch_load_b128 v[153:156], off, off offset:464
	scratch_load_b128 v[166:169], off, off offset:624
	s_mov_b32 s2, exec_lo
	ds_load_b128 v[217:220], v1 offset:1360
	s_waitcnt vmcnt(10) lgkmcnt(2)
	v_mul_f64 v[163:164], v[40:41], v[4:5]
	v_mul_f64 v[4:5], v[38:39], v[4:5]
	s_waitcnt vmcnt(9) lgkmcnt(1)
	v_mul_f64 v[221:222], v[42:43], v[8:9]
	v_mul_f64 v[8:9], v[44:45], v[8:9]
	s_delay_alu instid0(VALU_DEP_4) | instskip(NEXT) | instid1(VALU_DEP_4)
	v_fma_f64 v[163:164], v[38:39], v[2:3], -v[163:164]
	v_fma_f64 v[223:224], v[40:41], v[2:3], v[4:5]
	ds_load_b128 v[2:5], v1 offset:1344
	scratch_load_b128 v[38:41], off, off offset:640
	v_fma_f64 v[44:45], v[44:45], v[6:7], v[221:222]
	v_fma_f64 v[42:43], v[42:43], v[6:7], -v[8:9]
	scratch_load_b128 v[6:9], off, off offset:656
	s_waitcnt vmcnt(10) lgkmcnt(0)
	v_mul_f64 v[225:226], v[2:3], v[12:13]
	v_mul_f64 v[12:13], v[4:5], v[12:13]
	v_add_f64 v[163:164], v[163:164], 0
	v_add_f64 v[221:222], v[223:224], 0
	s_waitcnt vmcnt(9)
	v_mul_f64 v[223:224], v[217:218], v[16:17]
	v_mul_f64 v[16:17], v[219:220], v[16:17]
	v_fma_f64 v[225:226], v[4:5], v[10:11], v[225:226]
	v_fma_f64 v[227:228], v[2:3], v[10:11], -v[12:13]
	ds_load_b128 v[2:5], v1 offset:1376
	scratch_load_b128 v[10:13], off, off offset:672
	v_add_f64 v[163:164], v[163:164], v[42:43]
	v_add_f64 v[221:222], v[221:222], v[44:45]
	ds_load_b128 v[42:45], v1 offset:1392
	v_fma_f64 v[219:220], v[219:220], v[14:15], v[223:224]
	v_fma_f64 v[217:218], v[217:218], v[14:15], -v[16:17]
	scratch_load_b128 v[14:17], off, off offset:688
	s_waitcnt vmcnt(10) lgkmcnt(1)
	v_mul_f64 v[229:230], v[2:3], v[20:21]
	v_mul_f64 v[20:21], v[4:5], v[20:21]
	s_waitcnt vmcnt(9) lgkmcnt(0)
	v_mul_f64 v[223:224], v[42:43], v[24:25]
	v_mul_f64 v[24:25], v[44:45], v[24:25]
	v_add_f64 v[163:164], v[163:164], v[227:228]
	v_add_f64 v[221:222], v[221:222], v[225:226]
	v_fma_f64 v[225:226], v[4:5], v[18:19], v[229:230]
	v_fma_f64 v[227:228], v[2:3], v[18:19], -v[20:21]
	ds_load_b128 v[2:5], v1 offset:1408
	scratch_load_b128 v[18:21], off, off offset:704
	v_fma_f64 v[44:45], v[44:45], v[22:23], v[223:224]
	v_fma_f64 v[42:43], v[42:43], v[22:23], -v[24:25]
	scratch_load_b128 v[22:25], off, off offset:720
	v_add_f64 v[163:164], v[163:164], v[217:218]
	v_add_f64 v[221:222], v[221:222], v[219:220]
	ds_load_b128 v[217:220], v1 offset:1424
	s_waitcnt vmcnt(10) lgkmcnt(1)
	v_mul_f64 v[229:230], v[2:3], v[28:29]
	v_mul_f64 v[28:29], v[4:5], v[28:29]
	s_waitcnt vmcnt(9) lgkmcnt(0)
	v_mul_f64 v[223:224], v[217:218], v[32:33]
	v_mul_f64 v[32:33], v[219:220], v[32:33]
	v_add_f64 v[163:164], v[163:164], v[227:228]
	v_add_f64 v[221:222], v[221:222], v[225:226]
	v_fma_f64 v[225:226], v[4:5], v[26:27], v[229:230]
	v_fma_f64 v[227:228], v[2:3], v[26:27], -v[28:29]
	ds_load_b128 v[2:5], v1 offset:1440
	scratch_load_b128 v[26:29], off, off offset:736
	v_fma_f64 v[219:220], v[219:220], v[30:31], v[223:224]
	v_fma_f64 v[217:218], v[217:218], v[30:31], -v[32:33]
	scratch_load_b128 v[30:33], off, off offset:752
	v_add_f64 v[163:164], v[163:164], v[42:43]
	v_add_f64 v[221:222], v[221:222], v[44:45]
	ds_load_b128 v[42:45], v1 offset:1456
	s_waitcnt vmcnt(10) lgkmcnt(1)
	v_mul_f64 v[229:230], v[2:3], v[36:37]
	v_mul_f64 v[36:37], v[4:5], v[36:37]
	s_waitcnt vmcnt(8) lgkmcnt(0)
	v_mul_f64 v[223:224], v[42:43], v[168:169]
	v_mul_f64 v[168:169], v[44:45], v[168:169]
	v_add_f64 v[163:164], v[163:164], v[227:228]
	v_add_f64 v[221:222], v[221:222], v[225:226]
	v_fma_f64 v[225:226], v[4:5], v[34:35], v[229:230]
	v_fma_f64 v[227:228], v[2:3], v[34:35], -v[36:37]
	ds_load_b128 v[2:5], v1 offset:1472
	scratch_load_b128 v[34:37], off, off offset:768
	v_fma_f64 v[44:45], v[44:45], v[166:167], v[223:224]
	v_fma_f64 v[166:167], v[42:43], v[166:167], -v[168:169]
	v_add_f64 v[163:164], v[163:164], v[217:218]
	v_add_f64 v[221:222], v[221:222], v[219:220]
	ds_load_b128 v[217:220], v1 offset:1488
	s_waitcnt vmcnt(8) lgkmcnt(1)
	v_mul_f64 v[229:230], v[2:3], v[40:41]
	v_mul_f64 v[231:232], v[4:5], v[40:41]
	scratch_load_b128 v[40:43], off, off offset:784
	v_add_f64 v[163:164], v[163:164], v[227:228]
	v_add_f64 v[168:169], v[221:222], v[225:226]
	s_waitcnt vmcnt(8) lgkmcnt(0)
	v_mul_f64 v[225:226], v[217:218], v[8:9]
	v_mul_f64 v[8:9], v[219:220], v[8:9]
	ds_load_b128 v[221:224], v1 offset:1520
	v_fma_f64 v[227:228], v[4:5], v[38:39], v[229:230]
	v_fma_f64 v[38:39], v[2:3], v[38:39], -v[231:232]
	ds_load_b128 v[2:5], v1 offset:1504
	v_add_f64 v[163:164], v[163:164], v[166:167]
	v_add_f64 v[44:45], v[168:169], v[44:45]
	scratch_load_b128 v[166:169], off, off offset:800
	s_waitcnt vmcnt(8) lgkmcnt(0)
	v_mul_f64 v[229:230], v[2:3], v[12:13]
	v_mul_f64 v[12:13], v[4:5], v[12:13]
	v_fma_f64 v[219:220], v[219:220], v[6:7], v[225:226]
	v_fma_f64 v[217:218], v[217:218], v[6:7], -v[8:9]
	scratch_load_b128 v[6:9], off, off offset:816
	v_add_f64 v[38:39], v[163:164], v[38:39]
	v_add_f64 v[44:45], v[44:45], v[227:228]
	s_waitcnt vmcnt(8)
	v_mul_f64 v[163:164], v[221:222], v[16:17]
	v_mul_f64 v[16:17], v[223:224], v[16:17]
	v_fma_f64 v[225:226], v[4:5], v[10:11], v[229:230]
	v_fma_f64 v[227:228], v[2:3], v[10:11], -v[12:13]
	ds_load_b128 v[2:5], v1 offset:1536
	ds_load_b128 v[10:13], v1 offset:1552
	v_add_f64 v[38:39], v[38:39], v[217:218]
	v_add_f64 v[44:45], v[44:45], v[219:220]
	s_waitcnt vmcnt(7) lgkmcnt(1)
	v_mul_f64 v[217:218], v[2:3], v[20:21]
	v_mul_f64 v[20:21], v[4:5], v[20:21]
	v_fma_f64 v[163:164], v[223:224], v[14:15], v[163:164]
	v_fma_f64 v[14:15], v[221:222], v[14:15], -v[16:17]
	v_add_f64 v[16:17], v[38:39], v[227:228]
	v_add_f64 v[38:39], v[44:45], v[225:226]
	s_waitcnt vmcnt(6) lgkmcnt(0)
	v_mul_f64 v[44:45], v[10:11], v[24:25]
	v_mul_f64 v[24:25], v[12:13], v[24:25]
	v_fma_f64 v[217:218], v[4:5], v[18:19], v[217:218]
	v_fma_f64 v[18:19], v[2:3], v[18:19], -v[20:21]
	v_add_f64 v[20:21], v[16:17], v[14:15]
	v_add_f64 v[38:39], v[38:39], v[163:164]
	ds_load_b128 v[2:5], v1 offset:1568
	ds_load_b128 v[14:17], v1 offset:1584
	v_fma_f64 v[12:13], v[12:13], v[22:23], v[44:45]
	v_fma_f64 v[10:11], v[10:11], v[22:23], -v[24:25]
	s_waitcnt vmcnt(5) lgkmcnt(1)
	v_mul_f64 v[163:164], v[2:3], v[28:29]
	v_mul_f64 v[28:29], v[4:5], v[28:29]
	s_waitcnt vmcnt(4) lgkmcnt(0)
	v_mul_f64 v[22:23], v[14:15], v[32:33]
	v_mul_f64 v[24:25], v[16:17], v[32:33]
	v_add_f64 v[18:19], v[20:21], v[18:19]
	v_add_f64 v[20:21], v[38:39], v[217:218]
	v_fma_f64 v[32:33], v[4:5], v[26:27], v[163:164]
	v_fma_f64 v[26:27], v[2:3], v[26:27], -v[28:29]
	v_fma_f64 v[16:17], v[16:17], v[30:31], v[22:23]
	v_fma_f64 v[14:15], v[14:15], v[30:31], -v[24:25]
	v_add_f64 v[18:19], v[18:19], v[10:11]
	v_add_f64 v[20:21], v[20:21], v[12:13]
	ds_load_b128 v[2:5], v1 offset:1600
	ds_load_b128 v[10:13], v1 offset:1616
	s_waitcnt vmcnt(3) lgkmcnt(1)
	v_mul_f64 v[28:29], v[2:3], v[36:37]
	v_mul_f64 v[36:37], v[4:5], v[36:37]
	s_waitcnt vmcnt(2) lgkmcnt(0)
	v_mul_f64 v[22:23], v[10:11], v[42:43]
	v_add_f64 v[18:19], v[18:19], v[26:27]
	v_add_f64 v[20:21], v[20:21], v[32:33]
	v_mul_f64 v[24:25], v[12:13], v[42:43]
	v_fma_f64 v[26:27], v[4:5], v[34:35], v[28:29]
	v_fma_f64 v[28:29], v[2:3], v[34:35], -v[36:37]
	v_fma_f64 v[12:13], v[12:13], v[40:41], v[22:23]
	v_add_f64 v[18:19], v[18:19], v[14:15]
	v_add_f64 v[20:21], v[20:21], v[16:17]
	ds_load_b128 v[2:5], v1 offset:1632
	ds_load_b128 v[14:17], v1 offset:1648
	v_fma_f64 v[10:11], v[10:11], v[40:41], -v[24:25]
	s_waitcnt vmcnt(1) lgkmcnt(1)
	v_mul_f64 v[30:31], v[2:3], v[168:169]
	v_mul_f64 v[32:33], v[4:5], v[168:169]
	s_waitcnt vmcnt(0) lgkmcnt(0)
	v_mul_f64 v[22:23], v[14:15], v[8:9]
	v_mul_f64 v[8:9], v[16:17], v[8:9]
	v_add_f64 v[18:19], v[18:19], v[28:29]
	v_add_f64 v[20:21], v[20:21], v[26:27]
	v_fma_f64 v[4:5], v[4:5], v[166:167], v[30:31]
	v_fma_f64 v[1:2], v[2:3], v[166:167], -v[32:33]
	v_fma_f64 v[16:17], v[16:17], v[6:7], v[22:23]
	v_fma_f64 v[6:7], v[14:15], v[6:7], -v[8:9]
	v_add_f64 v[10:11], v[18:19], v[10:11]
	v_add_f64 v[12:13], v[20:21], v[12:13]
	s_delay_alu instid0(VALU_DEP_2) | instskip(NEXT) | instid1(VALU_DEP_2)
	v_add_f64 v[1:2], v[10:11], v[1:2]
	v_add_f64 v[3:4], v[12:13], v[4:5]
	s_delay_alu instid0(VALU_DEP_2) | instskip(NEXT) | instid1(VALU_DEP_2)
	;; [unrolled: 3-line block ×3, first 2 shown]
	v_add_f64 v[1:2], v[153:154], -v[1:2]
	v_add_f64 v[3:4], v[155:156], -v[3:4]
	scratch_store_b128 off, v[1:4], off offset:464
	v_cmpx_lt_u32_e32 28, v150
	s_cbranch_execz .LBB115_269
; %bb.268:
	scratch_load_b128 v[1:4], v174, off
	v_mov_b32_e32 v5, 0
	s_delay_alu instid0(VALU_DEP_1)
	v_mov_b32_e32 v6, v5
	v_mov_b32_e32 v7, v5
	;; [unrolled: 1-line block ×3, first 2 shown]
	scratch_store_b128 off, v[5:8], off offset:448
	s_waitcnt vmcnt(0)
	ds_store_b128 v202, v[1:4]
.LBB115_269:
	s_or_b32 exec_lo, exec_lo, s2
	s_waitcnt lgkmcnt(0)
	s_waitcnt_vscnt null, 0x0
	s_barrier
	buffer_gl0_inv
	s_clause 0x7
	scratch_load_b128 v[2:5], off, off offset:464
	scratch_load_b128 v[6:9], off, off offset:480
	;; [unrolled: 1-line block ×8, first 2 shown]
	v_mov_b32_e32 v1, 0
	s_mov_b32 s2, exec_lo
	ds_load_b128 v[34:37], v1 offset:1296
	s_clause 0x1
	scratch_load_b128 v[38:41], off, off offset:592
	scratch_load_b128 v[42:45], off, off offset:448
	ds_load_b128 v[153:156], v1 offset:1312
	scratch_load_b128 v[166:169], off, off offset:608
	ds_load_b128 v[217:220], v1 offset:1344
	s_waitcnt vmcnt(10) lgkmcnt(2)
	v_mul_f64 v[163:164], v[36:37], v[4:5]
	v_mul_f64 v[4:5], v[34:35], v[4:5]
	s_delay_alu instid0(VALU_DEP_2) | instskip(NEXT) | instid1(VALU_DEP_2)
	v_fma_f64 v[163:164], v[34:35], v[2:3], -v[163:164]
	v_fma_f64 v[223:224], v[36:37], v[2:3], v[4:5]
	ds_load_b128 v[2:5], v1 offset:1328
	s_waitcnt vmcnt(9) lgkmcnt(2)
	v_mul_f64 v[221:222], v[153:154], v[8:9]
	v_mul_f64 v[8:9], v[155:156], v[8:9]
	scratch_load_b128 v[34:37], off, off offset:624
	s_waitcnt vmcnt(9) lgkmcnt(0)
	v_mul_f64 v[225:226], v[2:3], v[12:13]
	v_mul_f64 v[12:13], v[4:5], v[12:13]
	v_add_f64 v[163:164], v[163:164], 0
	v_fma_f64 v[155:156], v[155:156], v[6:7], v[221:222]
	v_fma_f64 v[153:154], v[153:154], v[6:7], -v[8:9]
	v_add_f64 v[221:222], v[223:224], 0
	scratch_load_b128 v[6:9], off, off offset:640
	v_fma_f64 v[225:226], v[4:5], v[10:11], v[225:226]
	v_fma_f64 v[227:228], v[2:3], v[10:11], -v[12:13]
	scratch_load_b128 v[10:13], off, off offset:656
	ds_load_b128 v[2:5], v1 offset:1360
	s_waitcnt vmcnt(10)
	v_mul_f64 v[223:224], v[217:218], v[16:17]
	v_mul_f64 v[16:17], v[219:220], v[16:17]
	v_add_f64 v[163:164], v[163:164], v[153:154]
	v_add_f64 v[221:222], v[221:222], v[155:156]
	ds_load_b128 v[153:156], v1 offset:1376
	s_waitcnt vmcnt(9) lgkmcnt(1)
	v_mul_f64 v[229:230], v[2:3], v[20:21]
	v_mul_f64 v[20:21], v[4:5], v[20:21]
	v_fma_f64 v[219:220], v[219:220], v[14:15], v[223:224]
	v_fma_f64 v[217:218], v[217:218], v[14:15], -v[16:17]
	scratch_load_b128 v[14:17], off, off offset:672
	v_add_f64 v[163:164], v[163:164], v[227:228]
	v_add_f64 v[221:222], v[221:222], v[225:226]
	v_fma_f64 v[225:226], v[4:5], v[18:19], v[229:230]
	v_fma_f64 v[227:228], v[2:3], v[18:19], -v[20:21]
	scratch_load_b128 v[18:21], off, off offset:688
	ds_load_b128 v[2:5], v1 offset:1392
	s_waitcnt vmcnt(10) lgkmcnt(1)
	v_mul_f64 v[223:224], v[153:154], v[24:25]
	v_mul_f64 v[24:25], v[155:156], v[24:25]
	s_waitcnt vmcnt(9) lgkmcnt(0)
	v_mul_f64 v[229:230], v[2:3], v[28:29]
	v_mul_f64 v[28:29], v[4:5], v[28:29]
	v_add_f64 v[163:164], v[163:164], v[217:218]
	v_add_f64 v[221:222], v[221:222], v[219:220]
	ds_load_b128 v[217:220], v1 offset:1408
	v_fma_f64 v[155:156], v[155:156], v[22:23], v[223:224]
	v_fma_f64 v[153:154], v[153:154], v[22:23], -v[24:25]
	scratch_load_b128 v[22:25], off, off offset:704
	v_add_f64 v[163:164], v[163:164], v[227:228]
	v_add_f64 v[221:222], v[221:222], v[225:226]
	v_fma_f64 v[225:226], v[4:5], v[26:27], v[229:230]
	v_fma_f64 v[227:228], v[2:3], v[26:27], -v[28:29]
	scratch_load_b128 v[26:29], off, off offset:720
	ds_load_b128 v[2:5], v1 offset:1424
	s_waitcnt vmcnt(10) lgkmcnt(1)
	v_mul_f64 v[223:224], v[217:218], v[32:33]
	v_mul_f64 v[32:33], v[219:220], v[32:33]
	s_waitcnt vmcnt(9) lgkmcnt(0)
	v_mul_f64 v[229:230], v[2:3], v[40:41]
	v_mul_f64 v[40:41], v[4:5], v[40:41]
	v_add_f64 v[163:164], v[163:164], v[153:154]
	v_add_f64 v[221:222], v[221:222], v[155:156]
	ds_load_b128 v[153:156], v1 offset:1440
	v_fma_f64 v[219:220], v[219:220], v[30:31], v[223:224]
	v_fma_f64 v[217:218], v[217:218], v[30:31], -v[32:33]
	scratch_load_b128 v[30:33], off, off offset:736
	v_add_f64 v[163:164], v[163:164], v[227:228]
	v_add_f64 v[221:222], v[221:222], v[225:226]
	v_fma_f64 v[225:226], v[4:5], v[38:39], v[229:230]
	v_fma_f64 v[227:228], v[2:3], v[38:39], -v[40:41]
	scratch_load_b128 v[38:41], off, off offset:752
	ds_load_b128 v[2:5], v1 offset:1456
	s_waitcnt vmcnt(9) lgkmcnt(1)
	v_mul_f64 v[223:224], v[153:154], v[168:169]
	v_mul_f64 v[168:169], v[155:156], v[168:169]
	v_add_f64 v[163:164], v[163:164], v[217:218]
	v_add_f64 v[221:222], v[221:222], v[219:220]
	ds_load_b128 v[217:220], v1 offset:1472
	v_fma_f64 v[223:224], v[155:156], v[166:167], v[223:224]
	v_fma_f64 v[166:167], v[153:154], v[166:167], -v[168:169]
	scratch_load_b128 v[153:156], off, off offset:768
	s_waitcnt vmcnt(9) lgkmcnt(1)
	v_mul_f64 v[229:230], v[2:3], v[36:37]
	v_mul_f64 v[36:37], v[4:5], v[36:37]
	v_add_f64 v[163:164], v[163:164], v[227:228]
	v_add_f64 v[168:169], v[221:222], v[225:226]
	s_delay_alu instid0(VALU_DEP_4) | instskip(NEXT) | instid1(VALU_DEP_4)
	v_fma_f64 v[225:226], v[4:5], v[34:35], v[229:230]
	v_fma_f64 v[227:228], v[2:3], v[34:35], -v[36:37]
	scratch_load_b128 v[34:37], off, off offset:784
	ds_load_b128 v[2:5], v1 offset:1488
	s_waitcnt vmcnt(9) lgkmcnt(1)
	v_mul_f64 v[221:222], v[217:218], v[8:9]
	v_mul_f64 v[8:9], v[219:220], v[8:9]
	v_add_f64 v[163:164], v[163:164], v[166:167]
	v_add_f64 v[223:224], v[168:169], v[223:224]
	s_waitcnt vmcnt(8) lgkmcnt(0)
	v_mul_f64 v[229:230], v[2:3], v[12:13]
	v_mul_f64 v[12:13], v[4:5], v[12:13]
	ds_load_b128 v[166:169], v1 offset:1504
	v_fma_f64 v[219:220], v[219:220], v[6:7], v[221:222]
	v_fma_f64 v[217:218], v[217:218], v[6:7], -v[8:9]
	scratch_load_b128 v[6:9], off, off offset:800
	v_add_f64 v[163:164], v[163:164], v[227:228]
	v_add_f64 v[221:222], v[223:224], v[225:226]
	v_fma_f64 v[225:226], v[4:5], v[10:11], v[229:230]
	v_fma_f64 v[227:228], v[2:3], v[10:11], -v[12:13]
	scratch_load_b128 v[10:13], off, off offset:816
	ds_load_b128 v[2:5], v1 offset:1520
	s_waitcnt vmcnt(9) lgkmcnt(1)
	v_mul_f64 v[223:224], v[166:167], v[16:17]
	v_mul_f64 v[16:17], v[168:169], v[16:17]
	s_waitcnt vmcnt(8) lgkmcnt(0)
	v_mul_f64 v[229:230], v[2:3], v[20:21]
	v_mul_f64 v[20:21], v[4:5], v[20:21]
	v_add_f64 v[163:164], v[163:164], v[217:218]
	v_add_f64 v[221:222], v[221:222], v[219:220]
	ds_load_b128 v[217:220], v1 offset:1536
	v_fma_f64 v[168:169], v[168:169], v[14:15], v[223:224]
	v_fma_f64 v[14:15], v[166:167], v[14:15], -v[16:17]
	s_waitcnt vmcnt(7) lgkmcnt(0)
	v_mul_f64 v[166:167], v[217:218], v[24:25]
	v_mul_f64 v[24:25], v[219:220], v[24:25]
	v_add_f64 v[16:17], v[163:164], v[227:228]
	v_add_f64 v[163:164], v[221:222], v[225:226]
	v_fma_f64 v[221:222], v[4:5], v[18:19], v[229:230]
	v_fma_f64 v[18:19], v[2:3], v[18:19], -v[20:21]
	v_fma_f64 v[166:167], v[219:220], v[22:23], v[166:167]
	v_fma_f64 v[22:23], v[217:218], v[22:23], -v[24:25]
	v_add_f64 v[20:21], v[16:17], v[14:15]
	v_add_f64 v[163:164], v[163:164], v[168:169]
	ds_load_b128 v[2:5], v1 offset:1552
	ds_load_b128 v[14:17], v1 offset:1568
	s_waitcnt vmcnt(6) lgkmcnt(1)
	v_mul_f64 v[168:169], v[2:3], v[28:29]
	v_mul_f64 v[28:29], v[4:5], v[28:29]
	s_waitcnt vmcnt(5) lgkmcnt(0)
	v_mul_f64 v[24:25], v[14:15], v[32:33]
	v_mul_f64 v[32:33], v[16:17], v[32:33]
	v_add_f64 v[18:19], v[20:21], v[18:19]
	v_add_f64 v[20:21], v[163:164], v[221:222]
	v_fma_f64 v[163:164], v[4:5], v[26:27], v[168:169]
	v_fma_f64 v[26:27], v[2:3], v[26:27], -v[28:29]
	v_fma_f64 v[16:17], v[16:17], v[30:31], v[24:25]
	v_fma_f64 v[14:15], v[14:15], v[30:31], -v[32:33]
	v_add_f64 v[22:23], v[18:19], v[22:23]
	v_add_f64 v[28:29], v[20:21], v[166:167]
	ds_load_b128 v[2:5], v1 offset:1584
	ds_load_b128 v[18:21], v1 offset:1600
	s_waitcnt vmcnt(4) lgkmcnt(1)
	v_mul_f64 v[166:167], v[2:3], v[40:41]
	v_mul_f64 v[40:41], v[4:5], v[40:41]
	v_add_f64 v[22:23], v[22:23], v[26:27]
	v_add_f64 v[24:25], v[28:29], v[163:164]
	s_waitcnt vmcnt(3) lgkmcnt(0)
	v_mul_f64 v[26:27], v[18:19], v[155:156]
	v_mul_f64 v[28:29], v[20:21], v[155:156]
	v_fma_f64 v[30:31], v[4:5], v[38:39], v[166:167]
	v_fma_f64 v[32:33], v[2:3], v[38:39], -v[40:41]
	v_add_f64 v[22:23], v[22:23], v[14:15]
	v_add_f64 v[24:25], v[24:25], v[16:17]
	ds_load_b128 v[2:5], v1 offset:1616
	ds_load_b128 v[14:17], v1 offset:1632
	v_fma_f64 v[20:21], v[20:21], v[153:154], v[26:27]
	v_fma_f64 v[18:19], v[18:19], v[153:154], -v[28:29]
	s_waitcnt vmcnt(2) lgkmcnt(1)
	v_mul_f64 v[38:39], v[2:3], v[36:37]
	v_mul_f64 v[36:37], v[4:5], v[36:37]
	v_add_f64 v[22:23], v[22:23], v[32:33]
	v_add_f64 v[24:25], v[24:25], v[30:31]
	s_waitcnt vmcnt(1) lgkmcnt(0)
	v_mul_f64 v[26:27], v[14:15], v[8:9]
	v_mul_f64 v[8:9], v[16:17], v[8:9]
	v_fma_f64 v[28:29], v[4:5], v[34:35], v[38:39]
	v_fma_f64 v[30:31], v[2:3], v[34:35], -v[36:37]
	ds_load_b128 v[2:5], v1 offset:1648
	v_add_f64 v[18:19], v[22:23], v[18:19]
	v_add_f64 v[20:21], v[24:25], v[20:21]
	v_fma_f64 v[16:17], v[16:17], v[6:7], v[26:27]
	v_fma_f64 v[6:7], v[14:15], v[6:7], -v[8:9]
	s_waitcnt vmcnt(0) lgkmcnt(0)
	v_mul_f64 v[22:23], v[2:3], v[12:13]
	v_mul_f64 v[12:13], v[4:5], v[12:13]
	v_add_f64 v[8:9], v[18:19], v[30:31]
	v_add_f64 v[14:15], v[20:21], v[28:29]
	s_delay_alu instid0(VALU_DEP_4) | instskip(NEXT) | instid1(VALU_DEP_4)
	v_fma_f64 v[4:5], v[4:5], v[10:11], v[22:23]
	v_fma_f64 v[2:3], v[2:3], v[10:11], -v[12:13]
	s_delay_alu instid0(VALU_DEP_4) | instskip(NEXT) | instid1(VALU_DEP_4)
	v_add_f64 v[6:7], v[8:9], v[6:7]
	v_add_f64 v[8:9], v[14:15], v[16:17]
	s_delay_alu instid0(VALU_DEP_2) | instskip(NEXT) | instid1(VALU_DEP_2)
	v_add_f64 v[2:3], v[6:7], v[2:3]
	v_add_f64 v[4:5], v[8:9], v[4:5]
	s_delay_alu instid0(VALU_DEP_2) | instskip(NEXT) | instid1(VALU_DEP_2)
	v_add_f64 v[2:3], v[42:43], -v[2:3]
	v_add_f64 v[4:5], v[44:45], -v[4:5]
	scratch_store_b128 off, v[2:5], off offset:448
	v_cmpx_lt_u32_e32 27, v150
	s_cbranch_execz .LBB115_271
; %bb.270:
	scratch_load_b128 v[5:8], v175, off
	v_mov_b32_e32 v2, v1
	v_mov_b32_e32 v3, v1
	;; [unrolled: 1-line block ×3, first 2 shown]
	scratch_store_b128 off, v[1:4], off offset:432
	s_waitcnt vmcnt(0)
	ds_store_b128 v202, v[5:8]
.LBB115_271:
	s_or_b32 exec_lo, exec_lo, s2
	s_waitcnt lgkmcnt(0)
	s_waitcnt_vscnt null, 0x0
	s_barrier
	buffer_gl0_inv
	s_clause 0x8
	scratch_load_b128 v[2:5], off, off offset:448
	scratch_load_b128 v[6:9], off, off offset:464
	;; [unrolled: 1-line block ×9, first 2 shown]
	ds_load_b128 v[38:41], v1 offset:1280
	ds_load_b128 v[42:45], v1 offset:1296
	s_clause 0x1
	scratch_load_b128 v[153:156], off, off offset:432
	scratch_load_b128 v[166:169], off, off offset:592
	s_mov_b32 s2, exec_lo
	ds_load_b128 v[217:220], v1 offset:1328
	s_waitcnt vmcnt(10) lgkmcnt(2)
	v_mul_f64 v[163:164], v[40:41], v[4:5]
	v_mul_f64 v[4:5], v[38:39], v[4:5]
	s_waitcnt vmcnt(9) lgkmcnt(1)
	v_mul_f64 v[221:222], v[42:43], v[8:9]
	v_mul_f64 v[8:9], v[44:45], v[8:9]
	s_delay_alu instid0(VALU_DEP_4) | instskip(NEXT) | instid1(VALU_DEP_4)
	v_fma_f64 v[163:164], v[38:39], v[2:3], -v[163:164]
	v_fma_f64 v[223:224], v[40:41], v[2:3], v[4:5]
	ds_load_b128 v[2:5], v1 offset:1312
	scratch_load_b128 v[38:41], off, off offset:608
	v_fma_f64 v[44:45], v[44:45], v[6:7], v[221:222]
	v_fma_f64 v[42:43], v[42:43], v[6:7], -v[8:9]
	scratch_load_b128 v[6:9], off, off offset:624
	s_waitcnt vmcnt(10) lgkmcnt(0)
	v_mul_f64 v[225:226], v[2:3], v[12:13]
	v_mul_f64 v[12:13], v[4:5], v[12:13]
	v_add_f64 v[163:164], v[163:164], 0
	v_add_f64 v[221:222], v[223:224], 0
	s_waitcnt vmcnt(9)
	v_mul_f64 v[223:224], v[217:218], v[16:17]
	v_mul_f64 v[16:17], v[219:220], v[16:17]
	v_fma_f64 v[225:226], v[4:5], v[10:11], v[225:226]
	v_fma_f64 v[227:228], v[2:3], v[10:11], -v[12:13]
	ds_load_b128 v[2:5], v1 offset:1344
	scratch_load_b128 v[10:13], off, off offset:640
	v_add_f64 v[163:164], v[163:164], v[42:43]
	v_add_f64 v[221:222], v[221:222], v[44:45]
	ds_load_b128 v[42:45], v1 offset:1360
	v_fma_f64 v[219:220], v[219:220], v[14:15], v[223:224]
	v_fma_f64 v[217:218], v[217:218], v[14:15], -v[16:17]
	scratch_load_b128 v[14:17], off, off offset:656
	s_waitcnt vmcnt(10) lgkmcnt(1)
	v_mul_f64 v[229:230], v[2:3], v[20:21]
	v_mul_f64 v[20:21], v[4:5], v[20:21]
	s_waitcnt vmcnt(9) lgkmcnt(0)
	v_mul_f64 v[223:224], v[42:43], v[24:25]
	v_mul_f64 v[24:25], v[44:45], v[24:25]
	v_add_f64 v[163:164], v[163:164], v[227:228]
	v_add_f64 v[221:222], v[221:222], v[225:226]
	v_fma_f64 v[225:226], v[4:5], v[18:19], v[229:230]
	v_fma_f64 v[227:228], v[2:3], v[18:19], -v[20:21]
	ds_load_b128 v[2:5], v1 offset:1376
	scratch_load_b128 v[18:21], off, off offset:672
	v_fma_f64 v[44:45], v[44:45], v[22:23], v[223:224]
	v_fma_f64 v[42:43], v[42:43], v[22:23], -v[24:25]
	scratch_load_b128 v[22:25], off, off offset:688
	v_add_f64 v[163:164], v[163:164], v[217:218]
	v_add_f64 v[221:222], v[221:222], v[219:220]
	ds_load_b128 v[217:220], v1 offset:1392
	s_waitcnt vmcnt(10) lgkmcnt(1)
	v_mul_f64 v[229:230], v[2:3], v[28:29]
	v_mul_f64 v[28:29], v[4:5], v[28:29]
	s_waitcnt vmcnt(9) lgkmcnt(0)
	v_mul_f64 v[223:224], v[217:218], v[32:33]
	v_mul_f64 v[32:33], v[219:220], v[32:33]
	v_add_f64 v[163:164], v[163:164], v[227:228]
	v_add_f64 v[221:222], v[221:222], v[225:226]
	v_fma_f64 v[225:226], v[4:5], v[26:27], v[229:230]
	v_fma_f64 v[227:228], v[2:3], v[26:27], -v[28:29]
	ds_load_b128 v[2:5], v1 offset:1408
	scratch_load_b128 v[26:29], off, off offset:704
	v_fma_f64 v[219:220], v[219:220], v[30:31], v[223:224]
	v_fma_f64 v[217:218], v[217:218], v[30:31], -v[32:33]
	scratch_load_b128 v[30:33], off, off offset:720
	v_add_f64 v[163:164], v[163:164], v[42:43]
	v_add_f64 v[221:222], v[221:222], v[44:45]
	ds_load_b128 v[42:45], v1 offset:1424
	s_waitcnt vmcnt(10) lgkmcnt(1)
	v_mul_f64 v[229:230], v[2:3], v[36:37]
	v_mul_f64 v[36:37], v[4:5], v[36:37]
	s_waitcnt vmcnt(8) lgkmcnt(0)
	v_mul_f64 v[223:224], v[42:43], v[168:169]
	v_mul_f64 v[168:169], v[44:45], v[168:169]
	v_add_f64 v[163:164], v[163:164], v[227:228]
	v_add_f64 v[221:222], v[221:222], v[225:226]
	v_fma_f64 v[225:226], v[4:5], v[34:35], v[229:230]
	v_fma_f64 v[227:228], v[2:3], v[34:35], -v[36:37]
	ds_load_b128 v[2:5], v1 offset:1440
	scratch_load_b128 v[34:37], off, off offset:736
	v_fma_f64 v[44:45], v[44:45], v[166:167], v[223:224]
	v_fma_f64 v[166:167], v[42:43], v[166:167], -v[168:169]
	v_add_f64 v[163:164], v[163:164], v[217:218]
	v_add_f64 v[221:222], v[221:222], v[219:220]
	ds_load_b128 v[217:220], v1 offset:1456
	s_waitcnt vmcnt(8) lgkmcnt(1)
	v_mul_f64 v[229:230], v[2:3], v[40:41]
	v_mul_f64 v[231:232], v[4:5], v[40:41]
	scratch_load_b128 v[40:43], off, off offset:752
	v_add_f64 v[163:164], v[163:164], v[227:228]
	v_add_f64 v[168:169], v[221:222], v[225:226]
	s_waitcnt vmcnt(8) lgkmcnt(0)
	v_mul_f64 v[225:226], v[217:218], v[8:9]
	v_mul_f64 v[8:9], v[219:220], v[8:9]
	ds_load_b128 v[221:224], v1 offset:1488
	v_fma_f64 v[227:228], v[4:5], v[38:39], v[229:230]
	v_fma_f64 v[38:39], v[2:3], v[38:39], -v[231:232]
	ds_load_b128 v[2:5], v1 offset:1472
	v_add_f64 v[163:164], v[163:164], v[166:167]
	v_add_f64 v[44:45], v[168:169], v[44:45]
	scratch_load_b128 v[166:169], off, off offset:768
	s_waitcnt vmcnt(8) lgkmcnt(0)
	v_mul_f64 v[229:230], v[2:3], v[12:13]
	v_mul_f64 v[12:13], v[4:5], v[12:13]
	v_fma_f64 v[219:220], v[219:220], v[6:7], v[225:226]
	v_fma_f64 v[217:218], v[217:218], v[6:7], -v[8:9]
	scratch_load_b128 v[6:9], off, off offset:784
	v_add_f64 v[38:39], v[163:164], v[38:39]
	v_add_f64 v[44:45], v[44:45], v[227:228]
	s_waitcnt vmcnt(8)
	v_mul_f64 v[163:164], v[221:222], v[16:17]
	v_mul_f64 v[16:17], v[223:224], v[16:17]
	v_fma_f64 v[225:226], v[4:5], v[10:11], v[229:230]
	v_fma_f64 v[227:228], v[2:3], v[10:11], -v[12:13]
	ds_load_b128 v[2:5], v1 offset:1504
	scratch_load_b128 v[10:13], off, off offset:800
	v_add_f64 v[38:39], v[38:39], v[217:218]
	v_add_f64 v[44:45], v[44:45], v[219:220]
	ds_load_b128 v[217:220], v1 offset:1520
	s_waitcnt vmcnt(8) lgkmcnt(1)
	v_mul_f64 v[229:230], v[2:3], v[20:21]
	v_mul_f64 v[20:21], v[4:5], v[20:21]
	v_fma_f64 v[163:164], v[223:224], v[14:15], v[163:164]
	v_fma_f64 v[221:222], v[221:222], v[14:15], -v[16:17]
	scratch_load_b128 v[14:17], off, off offset:816
	s_waitcnt vmcnt(8) lgkmcnt(0)
	v_mul_f64 v[223:224], v[217:218], v[24:25]
	v_mul_f64 v[24:25], v[219:220], v[24:25]
	v_add_f64 v[38:39], v[38:39], v[227:228]
	v_add_f64 v[44:45], v[44:45], v[225:226]
	v_fma_f64 v[225:226], v[4:5], v[18:19], v[229:230]
	v_fma_f64 v[227:228], v[2:3], v[18:19], -v[20:21]
	ds_load_b128 v[2:5], v1 offset:1536
	ds_load_b128 v[18:21], v1 offset:1552
	v_fma_f64 v[219:220], v[219:220], v[22:23], v[223:224]
	v_fma_f64 v[22:23], v[217:218], v[22:23], -v[24:25]
	v_add_f64 v[38:39], v[38:39], v[221:222]
	v_add_f64 v[44:45], v[44:45], v[163:164]
	s_waitcnt vmcnt(7) lgkmcnt(1)
	v_mul_f64 v[163:164], v[2:3], v[28:29]
	v_mul_f64 v[28:29], v[4:5], v[28:29]
	s_delay_alu instid0(VALU_DEP_4) | instskip(NEXT) | instid1(VALU_DEP_4)
	v_add_f64 v[24:25], v[38:39], v[227:228]
	v_add_f64 v[38:39], v[44:45], v[225:226]
	s_waitcnt vmcnt(6) lgkmcnt(0)
	v_mul_f64 v[44:45], v[18:19], v[32:33]
	v_mul_f64 v[32:33], v[20:21], v[32:33]
	v_fma_f64 v[163:164], v[4:5], v[26:27], v[163:164]
	v_fma_f64 v[26:27], v[2:3], v[26:27], -v[28:29]
	v_add_f64 v[28:29], v[24:25], v[22:23]
	v_add_f64 v[38:39], v[38:39], v[219:220]
	ds_load_b128 v[2:5], v1 offset:1568
	ds_load_b128 v[22:25], v1 offset:1584
	v_fma_f64 v[20:21], v[20:21], v[30:31], v[44:45]
	v_fma_f64 v[18:19], v[18:19], v[30:31], -v[32:33]
	s_waitcnt vmcnt(5) lgkmcnt(1)
	v_mul_f64 v[217:218], v[2:3], v[36:37]
	v_mul_f64 v[36:37], v[4:5], v[36:37]
	s_waitcnt vmcnt(4) lgkmcnt(0)
	v_mul_f64 v[30:31], v[22:23], v[42:43]
	v_add_f64 v[26:27], v[28:29], v[26:27]
	v_add_f64 v[28:29], v[38:39], v[163:164]
	v_mul_f64 v[32:33], v[24:25], v[42:43]
	v_fma_f64 v[38:39], v[4:5], v[34:35], v[217:218]
	v_fma_f64 v[34:35], v[2:3], v[34:35], -v[36:37]
	v_fma_f64 v[24:25], v[24:25], v[40:41], v[30:31]
	v_add_f64 v[26:27], v[26:27], v[18:19]
	v_add_f64 v[28:29], v[28:29], v[20:21]
	ds_load_b128 v[2:5], v1 offset:1600
	ds_load_b128 v[18:21], v1 offset:1616
	v_fma_f64 v[22:23], v[22:23], v[40:41], -v[32:33]
	s_waitcnt vmcnt(3) lgkmcnt(1)
	v_mul_f64 v[36:37], v[2:3], v[168:169]
	v_mul_f64 v[42:43], v[4:5], v[168:169]
	s_waitcnt vmcnt(2) lgkmcnt(0)
	v_mul_f64 v[30:31], v[18:19], v[8:9]
	v_mul_f64 v[8:9], v[20:21], v[8:9]
	v_add_f64 v[26:27], v[26:27], v[34:35]
	v_add_f64 v[28:29], v[28:29], v[38:39]
	v_fma_f64 v[32:33], v[4:5], v[166:167], v[36:37]
	v_fma_f64 v[34:35], v[2:3], v[166:167], -v[42:43]
	v_fma_f64 v[20:21], v[20:21], v[6:7], v[30:31]
	v_fma_f64 v[6:7], v[18:19], v[6:7], -v[8:9]
	v_add_f64 v[26:27], v[26:27], v[22:23]
	v_add_f64 v[28:29], v[28:29], v[24:25]
	ds_load_b128 v[2:5], v1 offset:1632
	ds_load_b128 v[22:25], v1 offset:1648
	s_waitcnt vmcnt(1) lgkmcnt(1)
	v_mul_f64 v[36:37], v[2:3], v[12:13]
	v_mul_f64 v[12:13], v[4:5], v[12:13]
	v_add_f64 v[8:9], v[26:27], v[34:35]
	v_add_f64 v[18:19], v[28:29], v[32:33]
	s_waitcnt vmcnt(0) lgkmcnt(0)
	v_mul_f64 v[26:27], v[22:23], v[16:17]
	v_mul_f64 v[16:17], v[24:25], v[16:17]
	v_fma_f64 v[4:5], v[4:5], v[10:11], v[36:37]
	v_fma_f64 v[1:2], v[2:3], v[10:11], -v[12:13]
	v_add_f64 v[6:7], v[8:9], v[6:7]
	v_add_f64 v[8:9], v[18:19], v[20:21]
	v_fma_f64 v[10:11], v[24:25], v[14:15], v[26:27]
	v_fma_f64 v[12:13], v[22:23], v[14:15], -v[16:17]
	s_delay_alu instid0(VALU_DEP_4) | instskip(NEXT) | instid1(VALU_DEP_4)
	v_add_f64 v[1:2], v[6:7], v[1:2]
	v_add_f64 v[3:4], v[8:9], v[4:5]
	s_delay_alu instid0(VALU_DEP_2) | instskip(NEXT) | instid1(VALU_DEP_2)
	v_add_f64 v[1:2], v[1:2], v[12:13]
	v_add_f64 v[3:4], v[3:4], v[10:11]
	s_delay_alu instid0(VALU_DEP_2) | instskip(NEXT) | instid1(VALU_DEP_2)
	v_add_f64 v[1:2], v[153:154], -v[1:2]
	v_add_f64 v[3:4], v[155:156], -v[3:4]
	scratch_store_b128 off, v[1:4], off offset:432
	v_cmpx_lt_u32_e32 26, v150
	s_cbranch_execz .LBB115_273
; %bb.272:
	scratch_load_b128 v[1:4], v176, off
	v_mov_b32_e32 v5, 0
	s_delay_alu instid0(VALU_DEP_1)
	v_mov_b32_e32 v6, v5
	v_mov_b32_e32 v7, v5
	;; [unrolled: 1-line block ×3, first 2 shown]
	scratch_store_b128 off, v[5:8], off offset:416
	s_waitcnt vmcnt(0)
	ds_store_b128 v202, v[1:4]
.LBB115_273:
	s_or_b32 exec_lo, exec_lo, s2
	s_waitcnt lgkmcnt(0)
	s_waitcnt_vscnt null, 0x0
	s_barrier
	buffer_gl0_inv
	s_clause 0x7
	scratch_load_b128 v[2:5], off, off offset:432
	scratch_load_b128 v[6:9], off, off offset:448
	;; [unrolled: 1-line block ×8, first 2 shown]
	v_mov_b32_e32 v1, 0
	s_mov_b32 s2, exec_lo
	ds_load_b128 v[34:37], v1 offset:1264
	s_clause 0x1
	scratch_load_b128 v[38:41], off, off offset:560
	scratch_load_b128 v[42:45], off, off offset:416
	ds_load_b128 v[153:156], v1 offset:1280
	scratch_load_b128 v[166:169], off, off offset:576
	ds_load_b128 v[217:220], v1 offset:1312
	s_waitcnt vmcnt(10) lgkmcnt(2)
	v_mul_f64 v[163:164], v[36:37], v[4:5]
	v_mul_f64 v[4:5], v[34:35], v[4:5]
	s_delay_alu instid0(VALU_DEP_2) | instskip(NEXT) | instid1(VALU_DEP_2)
	v_fma_f64 v[163:164], v[34:35], v[2:3], -v[163:164]
	v_fma_f64 v[223:224], v[36:37], v[2:3], v[4:5]
	ds_load_b128 v[2:5], v1 offset:1296
	s_waitcnt vmcnt(9) lgkmcnt(2)
	v_mul_f64 v[221:222], v[153:154], v[8:9]
	v_mul_f64 v[8:9], v[155:156], v[8:9]
	scratch_load_b128 v[34:37], off, off offset:592
	s_waitcnt vmcnt(9) lgkmcnt(0)
	v_mul_f64 v[225:226], v[2:3], v[12:13]
	v_mul_f64 v[12:13], v[4:5], v[12:13]
	v_add_f64 v[163:164], v[163:164], 0
	v_fma_f64 v[155:156], v[155:156], v[6:7], v[221:222]
	v_fma_f64 v[153:154], v[153:154], v[6:7], -v[8:9]
	v_add_f64 v[221:222], v[223:224], 0
	scratch_load_b128 v[6:9], off, off offset:608
	v_fma_f64 v[225:226], v[4:5], v[10:11], v[225:226]
	v_fma_f64 v[227:228], v[2:3], v[10:11], -v[12:13]
	scratch_load_b128 v[10:13], off, off offset:624
	ds_load_b128 v[2:5], v1 offset:1328
	s_waitcnt vmcnt(10)
	v_mul_f64 v[223:224], v[217:218], v[16:17]
	v_mul_f64 v[16:17], v[219:220], v[16:17]
	v_add_f64 v[163:164], v[163:164], v[153:154]
	v_add_f64 v[221:222], v[221:222], v[155:156]
	ds_load_b128 v[153:156], v1 offset:1344
	s_waitcnt vmcnt(9) lgkmcnt(1)
	v_mul_f64 v[229:230], v[2:3], v[20:21]
	v_mul_f64 v[20:21], v[4:5], v[20:21]
	v_fma_f64 v[219:220], v[219:220], v[14:15], v[223:224]
	v_fma_f64 v[217:218], v[217:218], v[14:15], -v[16:17]
	scratch_load_b128 v[14:17], off, off offset:640
	v_add_f64 v[163:164], v[163:164], v[227:228]
	v_add_f64 v[221:222], v[221:222], v[225:226]
	v_fma_f64 v[225:226], v[4:5], v[18:19], v[229:230]
	v_fma_f64 v[227:228], v[2:3], v[18:19], -v[20:21]
	scratch_load_b128 v[18:21], off, off offset:656
	ds_load_b128 v[2:5], v1 offset:1360
	s_waitcnt vmcnt(10) lgkmcnt(1)
	v_mul_f64 v[223:224], v[153:154], v[24:25]
	v_mul_f64 v[24:25], v[155:156], v[24:25]
	s_waitcnt vmcnt(9) lgkmcnt(0)
	v_mul_f64 v[229:230], v[2:3], v[28:29]
	v_mul_f64 v[28:29], v[4:5], v[28:29]
	v_add_f64 v[163:164], v[163:164], v[217:218]
	v_add_f64 v[221:222], v[221:222], v[219:220]
	ds_load_b128 v[217:220], v1 offset:1376
	v_fma_f64 v[155:156], v[155:156], v[22:23], v[223:224]
	v_fma_f64 v[153:154], v[153:154], v[22:23], -v[24:25]
	scratch_load_b128 v[22:25], off, off offset:672
	v_add_f64 v[163:164], v[163:164], v[227:228]
	v_add_f64 v[221:222], v[221:222], v[225:226]
	v_fma_f64 v[225:226], v[4:5], v[26:27], v[229:230]
	v_fma_f64 v[227:228], v[2:3], v[26:27], -v[28:29]
	scratch_load_b128 v[26:29], off, off offset:688
	ds_load_b128 v[2:5], v1 offset:1392
	s_waitcnt vmcnt(10) lgkmcnt(1)
	v_mul_f64 v[223:224], v[217:218], v[32:33]
	v_mul_f64 v[32:33], v[219:220], v[32:33]
	s_waitcnt vmcnt(9) lgkmcnt(0)
	v_mul_f64 v[229:230], v[2:3], v[40:41]
	v_mul_f64 v[40:41], v[4:5], v[40:41]
	v_add_f64 v[163:164], v[163:164], v[153:154]
	v_add_f64 v[221:222], v[221:222], v[155:156]
	ds_load_b128 v[153:156], v1 offset:1408
	v_fma_f64 v[219:220], v[219:220], v[30:31], v[223:224]
	v_fma_f64 v[217:218], v[217:218], v[30:31], -v[32:33]
	scratch_load_b128 v[30:33], off, off offset:704
	v_add_f64 v[163:164], v[163:164], v[227:228]
	v_add_f64 v[221:222], v[221:222], v[225:226]
	v_fma_f64 v[225:226], v[4:5], v[38:39], v[229:230]
	v_fma_f64 v[227:228], v[2:3], v[38:39], -v[40:41]
	scratch_load_b128 v[38:41], off, off offset:720
	ds_load_b128 v[2:5], v1 offset:1424
	s_waitcnt vmcnt(9) lgkmcnt(1)
	v_mul_f64 v[223:224], v[153:154], v[168:169]
	v_mul_f64 v[168:169], v[155:156], v[168:169]
	v_add_f64 v[163:164], v[163:164], v[217:218]
	v_add_f64 v[221:222], v[221:222], v[219:220]
	ds_load_b128 v[217:220], v1 offset:1440
	v_fma_f64 v[223:224], v[155:156], v[166:167], v[223:224]
	v_fma_f64 v[166:167], v[153:154], v[166:167], -v[168:169]
	scratch_load_b128 v[153:156], off, off offset:736
	s_waitcnt vmcnt(9) lgkmcnt(1)
	v_mul_f64 v[229:230], v[2:3], v[36:37]
	v_mul_f64 v[36:37], v[4:5], v[36:37]
	v_add_f64 v[163:164], v[163:164], v[227:228]
	v_add_f64 v[168:169], v[221:222], v[225:226]
	s_delay_alu instid0(VALU_DEP_4) | instskip(NEXT) | instid1(VALU_DEP_4)
	v_fma_f64 v[225:226], v[4:5], v[34:35], v[229:230]
	v_fma_f64 v[227:228], v[2:3], v[34:35], -v[36:37]
	scratch_load_b128 v[34:37], off, off offset:752
	ds_load_b128 v[2:5], v1 offset:1456
	s_waitcnt vmcnt(9) lgkmcnt(1)
	v_mul_f64 v[221:222], v[217:218], v[8:9]
	v_mul_f64 v[8:9], v[219:220], v[8:9]
	v_add_f64 v[163:164], v[163:164], v[166:167]
	v_add_f64 v[223:224], v[168:169], v[223:224]
	s_waitcnt vmcnt(8) lgkmcnt(0)
	v_mul_f64 v[229:230], v[2:3], v[12:13]
	v_mul_f64 v[12:13], v[4:5], v[12:13]
	ds_load_b128 v[166:169], v1 offset:1472
	v_fma_f64 v[219:220], v[219:220], v[6:7], v[221:222]
	v_fma_f64 v[217:218], v[217:218], v[6:7], -v[8:9]
	scratch_load_b128 v[6:9], off, off offset:768
	v_add_f64 v[163:164], v[163:164], v[227:228]
	v_add_f64 v[221:222], v[223:224], v[225:226]
	v_fma_f64 v[225:226], v[4:5], v[10:11], v[229:230]
	v_fma_f64 v[227:228], v[2:3], v[10:11], -v[12:13]
	scratch_load_b128 v[10:13], off, off offset:784
	ds_load_b128 v[2:5], v1 offset:1488
	s_waitcnt vmcnt(9) lgkmcnt(1)
	v_mul_f64 v[223:224], v[166:167], v[16:17]
	v_mul_f64 v[16:17], v[168:169], v[16:17]
	s_waitcnt vmcnt(8) lgkmcnt(0)
	v_mul_f64 v[229:230], v[2:3], v[20:21]
	v_mul_f64 v[20:21], v[4:5], v[20:21]
	v_add_f64 v[163:164], v[163:164], v[217:218]
	v_add_f64 v[221:222], v[221:222], v[219:220]
	ds_load_b128 v[217:220], v1 offset:1504
	v_fma_f64 v[168:169], v[168:169], v[14:15], v[223:224]
	v_fma_f64 v[166:167], v[166:167], v[14:15], -v[16:17]
	scratch_load_b128 v[14:17], off, off offset:800
	v_add_f64 v[163:164], v[163:164], v[227:228]
	v_add_f64 v[221:222], v[221:222], v[225:226]
	v_fma_f64 v[225:226], v[4:5], v[18:19], v[229:230]
	v_fma_f64 v[227:228], v[2:3], v[18:19], -v[20:21]
	scratch_load_b128 v[18:21], off, off offset:816
	ds_load_b128 v[2:5], v1 offset:1520
	s_waitcnt vmcnt(9) lgkmcnt(1)
	v_mul_f64 v[223:224], v[217:218], v[24:25]
	v_mul_f64 v[24:25], v[219:220], v[24:25]
	s_waitcnt vmcnt(8) lgkmcnt(0)
	v_mul_f64 v[229:230], v[2:3], v[28:29]
	v_mul_f64 v[28:29], v[4:5], v[28:29]
	v_add_f64 v[163:164], v[163:164], v[166:167]
	v_add_f64 v[221:222], v[221:222], v[168:169]
	ds_load_b128 v[166:169], v1 offset:1536
	v_fma_f64 v[219:220], v[219:220], v[22:23], v[223:224]
	v_fma_f64 v[22:23], v[217:218], v[22:23], -v[24:25]
	s_waitcnt vmcnt(7) lgkmcnt(0)
	v_mul_f64 v[217:218], v[166:167], v[32:33]
	v_mul_f64 v[32:33], v[168:169], v[32:33]
	v_add_f64 v[24:25], v[163:164], v[227:228]
	v_add_f64 v[163:164], v[221:222], v[225:226]
	v_fma_f64 v[221:222], v[4:5], v[26:27], v[229:230]
	v_fma_f64 v[26:27], v[2:3], v[26:27], -v[28:29]
	v_fma_f64 v[168:169], v[168:169], v[30:31], v[217:218]
	v_fma_f64 v[30:31], v[166:167], v[30:31], -v[32:33]
	v_add_f64 v[28:29], v[24:25], v[22:23]
	v_add_f64 v[163:164], v[163:164], v[219:220]
	ds_load_b128 v[2:5], v1 offset:1552
	ds_load_b128 v[22:25], v1 offset:1568
	s_waitcnt vmcnt(6) lgkmcnt(1)
	v_mul_f64 v[219:220], v[2:3], v[40:41]
	v_mul_f64 v[40:41], v[4:5], v[40:41]
	s_waitcnt vmcnt(5) lgkmcnt(0)
	v_mul_f64 v[32:33], v[22:23], v[155:156]
	v_mul_f64 v[155:156], v[24:25], v[155:156]
	v_add_f64 v[26:27], v[28:29], v[26:27]
	v_add_f64 v[28:29], v[163:164], v[221:222]
	v_fma_f64 v[163:164], v[4:5], v[38:39], v[219:220]
	v_fma_f64 v[38:39], v[2:3], v[38:39], -v[40:41]
	v_fma_f64 v[24:25], v[24:25], v[153:154], v[32:33]
	v_fma_f64 v[22:23], v[22:23], v[153:154], -v[155:156]
	v_add_f64 v[30:31], v[26:27], v[30:31]
	v_add_f64 v[40:41], v[28:29], v[168:169]
	ds_load_b128 v[2:5], v1 offset:1584
	ds_load_b128 v[26:29], v1 offset:1600
	s_waitcnt vmcnt(4) lgkmcnt(1)
	v_mul_f64 v[166:167], v[2:3], v[36:37]
	v_mul_f64 v[36:37], v[4:5], v[36:37]
	v_add_f64 v[30:31], v[30:31], v[38:39]
	v_add_f64 v[32:33], v[40:41], v[163:164]
	s_waitcnt vmcnt(3) lgkmcnt(0)
	v_mul_f64 v[38:39], v[26:27], v[8:9]
	v_mul_f64 v[8:9], v[28:29], v[8:9]
	v_fma_f64 v[40:41], v[4:5], v[34:35], v[166:167]
	v_fma_f64 v[34:35], v[2:3], v[34:35], -v[36:37]
	v_add_f64 v[30:31], v[30:31], v[22:23]
	v_add_f64 v[32:33], v[32:33], v[24:25]
	ds_load_b128 v[2:5], v1 offset:1616
	ds_load_b128 v[22:25], v1 offset:1632
	v_fma_f64 v[28:29], v[28:29], v[6:7], v[38:39]
	v_fma_f64 v[6:7], v[26:27], v[6:7], -v[8:9]
	s_waitcnt vmcnt(2) lgkmcnt(1)
	v_mul_f64 v[36:37], v[2:3], v[12:13]
	v_mul_f64 v[12:13], v[4:5], v[12:13]
	v_add_f64 v[8:9], v[30:31], v[34:35]
	v_add_f64 v[26:27], v[32:33], v[40:41]
	s_waitcnt vmcnt(1) lgkmcnt(0)
	v_mul_f64 v[30:31], v[22:23], v[16:17]
	v_mul_f64 v[16:17], v[24:25], v[16:17]
	v_fma_f64 v[32:33], v[4:5], v[10:11], v[36:37]
	v_fma_f64 v[10:11], v[2:3], v[10:11], -v[12:13]
	ds_load_b128 v[2:5], v1 offset:1648
	v_add_f64 v[6:7], v[8:9], v[6:7]
	v_add_f64 v[8:9], v[26:27], v[28:29]
	v_fma_f64 v[24:25], v[24:25], v[14:15], v[30:31]
	v_fma_f64 v[14:15], v[22:23], v[14:15], -v[16:17]
	s_waitcnt vmcnt(0) lgkmcnt(0)
	v_mul_f64 v[12:13], v[2:3], v[20:21]
	v_mul_f64 v[20:21], v[4:5], v[20:21]
	v_add_f64 v[6:7], v[6:7], v[10:11]
	v_add_f64 v[8:9], v[8:9], v[32:33]
	s_delay_alu instid0(VALU_DEP_4) | instskip(NEXT) | instid1(VALU_DEP_4)
	v_fma_f64 v[4:5], v[4:5], v[18:19], v[12:13]
	v_fma_f64 v[2:3], v[2:3], v[18:19], -v[20:21]
	s_delay_alu instid0(VALU_DEP_4) | instskip(NEXT) | instid1(VALU_DEP_4)
	v_add_f64 v[6:7], v[6:7], v[14:15]
	v_add_f64 v[8:9], v[8:9], v[24:25]
	s_delay_alu instid0(VALU_DEP_2) | instskip(NEXT) | instid1(VALU_DEP_2)
	v_add_f64 v[2:3], v[6:7], v[2:3]
	v_add_f64 v[4:5], v[8:9], v[4:5]
	s_delay_alu instid0(VALU_DEP_2) | instskip(NEXT) | instid1(VALU_DEP_2)
	v_add_f64 v[2:3], v[42:43], -v[2:3]
	v_add_f64 v[4:5], v[44:45], -v[4:5]
	scratch_store_b128 off, v[2:5], off offset:416
	v_cmpx_lt_u32_e32 25, v150
	s_cbranch_execz .LBB115_275
; %bb.274:
	scratch_load_b128 v[5:8], v177, off
	v_mov_b32_e32 v2, v1
	v_mov_b32_e32 v3, v1
	v_mov_b32_e32 v4, v1
	scratch_store_b128 off, v[1:4], off offset:400
	s_waitcnt vmcnt(0)
	ds_store_b128 v202, v[5:8]
.LBB115_275:
	s_or_b32 exec_lo, exec_lo, s2
	s_waitcnt lgkmcnt(0)
	s_waitcnt_vscnt null, 0x0
	s_barrier
	buffer_gl0_inv
	s_clause 0x8
	scratch_load_b128 v[2:5], off, off offset:416
	scratch_load_b128 v[6:9], off, off offset:432
	;; [unrolled: 1-line block ×9, first 2 shown]
	ds_load_b128 v[38:41], v1 offset:1248
	ds_load_b128 v[42:45], v1 offset:1264
	s_clause 0x1
	scratch_load_b128 v[153:156], off, off offset:400
	scratch_load_b128 v[166:169], off, off offset:560
	s_mov_b32 s2, exec_lo
	ds_load_b128 v[217:220], v1 offset:1296
	s_waitcnt vmcnt(10) lgkmcnt(2)
	v_mul_f64 v[163:164], v[40:41], v[4:5]
	v_mul_f64 v[4:5], v[38:39], v[4:5]
	s_waitcnt vmcnt(9) lgkmcnt(1)
	v_mul_f64 v[221:222], v[42:43], v[8:9]
	v_mul_f64 v[8:9], v[44:45], v[8:9]
	s_delay_alu instid0(VALU_DEP_4) | instskip(NEXT) | instid1(VALU_DEP_4)
	v_fma_f64 v[163:164], v[38:39], v[2:3], -v[163:164]
	v_fma_f64 v[223:224], v[40:41], v[2:3], v[4:5]
	ds_load_b128 v[2:5], v1 offset:1280
	scratch_load_b128 v[38:41], off, off offset:576
	v_fma_f64 v[44:45], v[44:45], v[6:7], v[221:222]
	v_fma_f64 v[42:43], v[42:43], v[6:7], -v[8:9]
	scratch_load_b128 v[6:9], off, off offset:592
	s_waitcnt vmcnt(10) lgkmcnt(0)
	v_mul_f64 v[225:226], v[2:3], v[12:13]
	v_mul_f64 v[12:13], v[4:5], v[12:13]
	v_add_f64 v[163:164], v[163:164], 0
	v_add_f64 v[221:222], v[223:224], 0
	s_waitcnt vmcnt(9)
	v_mul_f64 v[223:224], v[217:218], v[16:17]
	v_mul_f64 v[16:17], v[219:220], v[16:17]
	v_fma_f64 v[225:226], v[4:5], v[10:11], v[225:226]
	v_fma_f64 v[227:228], v[2:3], v[10:11], -v[12:13]
	ds_load_b128 v[2:5], v1 offset:1312
	scratch_load_b128 v[10:13], off, off offset:608
	v_add_f64 v[163:164], v[163:164], v[42:43]
	v_add_f64 v[221:222], v[221:222], v[44:45]
	ds_load_b128 v[42:45], v1 offset:1328
	v_fma_f64 v[219:220], v[219:220], v[14:15], v[223:224]
	v_fma_f64 v[217:218], v[217:218], v[14:15], -v[16:17]
	scratch_load_b128 v[14:17], off, off offset:624
	s_waitcnt vmcnt(10) lgkmcnt(1)
	v_mul_f64 v[229:230], v[2:3], v[20:21]
	v_mul_f64 v[20:21], v[4:5], v[20:21]
	s_waitcnt vmcnt(9) lgkmcnt(0)
	v_mul_f64 v[223:224], v[42:43], v[24:25]
	v_mul_f64 v[24:25], v[44:45], v[24:25]
	v_add_f64 v[163:164], v[163:164], v[227:228]
	v_add_f64 v[221:222], v[221:222], v[225:226]
	v_fma_f64 v[225:226], v[4:5], v[18:19], v[229:230]
	v_fma_f64 v[227:228], v[2:3], v[18:19], -v[20:21]
	ds_load_b128 v[2:5], v1 offset:1344
	scratch_load_b128 v[18:21], off, off offset:640
	v_fma_f64 v[44:45], v[44:45], v[22:23], v[223:224]
	v_fma_f64 v[42:43], v[42:43], v[22:23], -v[24:25]
	scratch_load_b128 v[22:25], off, off offset:656
	v_add_f64 v[163:164], v[163:164], v[217:218]
	v_add_f64 v[221:222], v[221:222], v[219:220]
	ds_load_b128 v[217:220], v1 offset:1360
	s_waitcnt vmcnt(10) lgkmcnt(1)
	v_mul_f64 v[229:230], v[2:3], v[28:29]
	v_mul_f64 v[28:29], v[4:5], v[28:29]
	s_waitcnt vmcnt(9) lgkmcnt(0)
	v_mul_f64 v[223:224], v[217:218], v[32:33]
	v_mul_f64 v[32:33], v[219:220], v[32:33]
	v_add_f64 v[163:164], v[163:164], v[227:228]
	v_add_f64 v[221:222], v[221:222], v[225:226]
	v_fma_f64 v[225:226], v[4:5], v[26:27], v[229:230]
	v_fma_f64 v[227:228], v[2:3], v[26:27], -v[28:29]
	ds_load_b128 v[2:5], v1 offset:1376
	scratch_load_b128 v[26:29], off, off offset:672
	v_fma_f64 v[219:220], v[219:220], v[30:31], v[223:224]
	v_fma_f64 v[217:218], v[217:218], v[30:31], -v[32:33]
	scratch_load_b128 v[30:33], off, off offset:688
	v_add_f64 v[163:164], v[163:164], v[42:43]
	v_add_f64 v[221:222], v[221:222], v[44:45]
	ds_load_b128 v[42:45], v1 offset:1392
	s_waitcnt vmcnt(10) lgkmcnt(1)
	v_mul_f64 v[229:230], v[2:3], v[36:37]
	v_mul_f64 v[36:37], v[4:5], v[36:37]
	s_waitcnt vmcnt(8) lgkmcnt(0)
	v_mul_f64 v[223:224], v[42:43], v[168:169]
	v_mul_f64 v[168:169], v[44:45], v[168:169]
	v_add_f64 v[163:164], v[163:164], v[227:228]
	v_add_f64 v[221:222], v[221:222], v[225:226]
	v_fma_f64 v[225:226], v[4:5], v[34:35], v[229:230]
	v_fma_f64 v[227:228], v[2:3], v[34:35], -v[36:37]
	ds_load_b128 v[2:5], v1 offset:1408
	scratch_load_b128 v[34:37], off, off offset:704
	v_fma_f64 v[44:45], v[44:45], v[166:167], v[223:224]
	v_fma_f64 v[166:167], v[42:43], v[166:167], -v[168:169]
	v_add_f64 v[163:164], v[163:164], v[217:218]
	v_add_f64 v[221:222], v[221:222], v[219:220]
	ds_load_b128 v[217:220], v1 offset:1424
	s_waitcnt vmcnt(8) lgkmcnt(1)
	v_mul_f64 v[229:230], v[2:3], v[40:41]
	v_mul_f64 v[231:232], v[4:5], v[40:41]
	scratch_load_b128 v[40:43], off, off offset:720
	v_add_f64 v[163:164], v[163:164], v[227:228]
	v_add_f64 v[168:169], v[221:222], v[225:226]
	s_waitcnt vmcnt(8) lgkmcnt(0)
	v_mul_f64 v[225:226], v[217:218], v[8:9]
	v_mul_f64 v[8:9], v[219:220], v[8:9]
	ds_load_b128 v[221:224], v1 offset:1456
	v_fma_f64 v[227:228], v[4:5], v[38:39], v[229:230]
	v_fma_f64 v[38:39], v[2:3], v[38:39], -v[231:232]
	ds_load_b128 v[2:5], v1 offset:1440
	v_add_f64 v[163:164], v[163:164], v[166:167]
	v_add_f64 v[44:45], v[168:169], v[44:45]
	scratch_load_b128 v[166:169], off, off offset:736
	s_waitcnt vmcnt(8) lgkmcnt(0)
	v_mul_f64 v[229:230], v[2:3], v[12:13]
	v_mul_f64 v[12:13], v[4:5], v[12:13]
	v_fma_f64 v[219:220], v[219:220], v[6:7], v[225:226]
	v_fma_f64 v[217:218], v[217:218], v[6:7], -v[8:9]
	scratch_load_b128 v[6:9], off, off offset:752
	v_add_f64 v[38:39], v[163:164], v[38:39]
	v_add_f64 v[44:45], v[44:45], v[227:228]
	s_waitcnt vmcnt(8)
	v_mul_f64 v[163:164], v[221:222], v[16:17]
	v_mul_f64 v[16:17], v[223:224], v[16:17]
	v_fma_f64 v[225:226], v[4:5], v[10:11], v[229:230]
	v_fma_f64 v[227:228], v[2:3], v[10:11], -v[12:13]
	ds_load_b128 v[2:5], v1 offset:1472
	scratch_load_b128 v[10:13], off, off offset:768
	v_add_f64 v[38:39], v[38:39], v[217:218]
	v_add_f64 v[44:45], v[44:45], v[219:220]
	ds_load_b128 v[217:220], v1 offset:1488
	s_waitcnt vmcnt(8) lgkmcnt(1)
	v_mul_f64 v[229:230], v[2:3], v[20:21]
	v_mul_f64 v[20:21], v[4:5], v[20:21]
	v_fma_f64 v[163:164], v[223:224], v[14:15], v[163:164]
	v_fma_f64 v[221:222], v[221:222], v[14:15], -v[16:17]
	scratch_load_b128 v[14:17], off, off offset:784
	v_add_f64 v[38:39], v[38:39], v[227:228]
	v_add_f64 v[44:45], v[44:45], v[225:226]
	s_waitcnt vmcnt(8) lgkmcnt(0)
	v_mul_f64 v[225:226], v[217:218], v[24:25]
	v_mul_f64 v[24:25], v[219:220], v[24:25]
	v_fma_f64 v[227:228], v[4:5], v[18:19], v[229:230]
	v_fma_f64 v[229:230], v[2:3], v[18:19], -v[20:21]
	ds_load_b128 v[2:5], v1 offset:1504
	scratch_load_b128 v[18:21], off, off offset:800
	v_add_f64 v[38:39], v[38:39], v[221:222]
	v_add_f64 v[44:45], v[44:45], v[163:164]
	ds_load_b128 v[221:224], v1 offset:1520
	s_waitcnt vmcnt(8) lgkmcnt(1)
	v_mul_f64 v[163:164], v[2:3], v[28:29]
	v_mul_f64 v[28:29], v[4:5], v[28:29]
	v_fma_f64 v[219:220], v[219:220], v[22:23], v[225:226]
	v_fma_f64 v[217:218], v[217:218], v[22:23], -v[24:25]
	scratch_load_b128 v[22:25], off, off offset:816
	s_waitcnt vmcnt(8) lgkmcnt(0)
	v_mul_f64 v[225:226], v[221:222], v[32:33]
	v_mul_f64 v[32:33], v[223:224], v[32:33]
	v_add_f64 v[38:39], v[38:39], v[229:230]
	v_add_f64 v[44:45], v[44:45], v[227:228]
	v_fma_f64 v[163:164], v[4:5], v[26:27], v[163:164]
	v_fma_f64 v[227:228], v[2:3], v[26:27], -v[28:29]
	ds_load_b128 v[2:5], v1 offset:1536
	ds_load_b128 v[26:29], v1 offset:1552
	v_add_f64 v[38:39], v[38:39], v[217:218]
	v_add_f64 v[44:45], v[44:45], v[219:220]
	s_waitcnt vmcnt(7) lgkmcnt(1)
	v_mul_f64 v[217:218], v[2:3], v[36:37]
	v_mul_f64 v[36:37], v[4:5], v[36:37]
	v_fma_f64 v[219:220], v[223:224], v[30:31], v[225:226]
	v_fma_f64 v[30:31], v[221:222], v[30:31], -v[32:33]
	v_add_f64 v[32:33], v[38:39], v[227:228]
	v_add_f64 v[38:39], v[44:45], v[163:164]
	s_waitcnt vmcnt(6) lgkmcnt(0)
	v_mul_f64 v[44:45], v[26:27], v[42:43]
	v_mul_f64 v[42:43], v[28:29], v[42:43]
	v_fma_f64 v[163:164], v[4:5], v[34:35], v[217:218]
	v_fma_f64 v[34:35], v[2:3], v[34:35], -v[36:37]
	v_add_f64 v[36:37], v[32:33], v[30:31]
	v_add_f64 v[38:39], v[38:39], v[219:220]
	ds_load_b128 v[2:5], v1 offset:1568
	ds_load_b128 v[30:33], v1 offset:1584
	v_fma_f64 v[28:29], v[28:29], v[40:41], v[44:45]
	v_fma_f64 v[26:27], v[26:27], v[40:41], -v[42:43]
	s_waitcnt vmcnt(5) lgkmcnt(1)
	v_mul_f64 v[217:218], v[2:3], v[168:169]
	v_mul_f64 v[168:169], v[4:5], v[168:169]
	v_add_f64 v[34:35], v[36:37], v[34:35]
	v_add_f64 v[36:37], v[38:39], v[163:164]
	s_waitcnt vmcnt(4) lgkmcnt(0)
	v_mul_f64 v[38:39], v[30:31], v[8:9]
	v_mul_f64 v[8:9], v[32:33], v[8:9]
	v_fma_f64 v[40:41], v[4:5], v[166:167], v[217:218]
	v_fma_f64 v[42:43], v[2:3], v[166:167], -v[168:169]
	v_add_f64 v[34:35], v[34:35], v[26:27]
	v_add_f64 v[36:37], v[36:37], v[28:29]
	ds_load_b128 v[2:5], v1 offset:1600
	ds_load_b128 v[26:29], v1 offset:1616
	v_fma_f64 v[32:33], v[32:33], v[6:7], v[38:39]
	v_fma_f64 v[6:7], v[30:31], v[6:7], -v[8:9]
	s_waitcnt vmcnt(3) lgkmcnt(1)
	v_mul_f64 v[44:45], v[2:3], v[12:13]
	v_mul_f64 v[12:13], v[4:5], v[12:13]
	;; [unrolled: 16-line block ×3, first 2 shown]
	s_waitcnt vmcnt(0) lgkmcnt(0)
	v_mul_f64 v[16:17], v[6:7], v[24:25]
	v_mul_f64 v[24:25], v[8:9], v[24:25]
	v_add_f64 v[10:11], v[12:13], v[10:11]
	v_add_f64 v[12:13], v[30:31], v[36:37]
	v_fma_f64 v[4:5], v[4:5], v[18:19], v[32:33]
	v_fma_f64 v[1:2], v[2:3], v[18:19], -v[20:21]
	v_fma_f64 v[8:9], v[8:9], v[22:23], v[16:17]
	v_fma_f64 v[6:7], v[6:7], v[22:23], -v[24:25]
	v_add_f64 v[10:11], v[10:11], v[14:15]
	v_add_f64 v[12:13], v[12:13], v[28:29]
	s_delay_alu instid0(VALU_DEP_2) | instskip(NEXT) | instid1(VALU_DEP_2)
	v_add_f64 v[1:2], v[10:11], v[1:2]
	v_add_f64 v[3:4], v[12:13], v[4:5]
	s_delay_alu instid0(VALU_DEP_2) | instskip(NEXT) | instid1(VALU_DEP_2)
	;; [unrolled: 3-line block ×3, first 2 shown]
	v_add_f64 v[1:2], v[153:154], -v[1:2]
	v_add_f64 v[3:4], v[155:156], -v[3:4]
	scratch_store_b128 off, v[1:4], off offset:400
	v_cmpx_lt_u32_e32 24, v150
	s_cbranch_execz .LBB115_277
; %bb.276:
	scratch_load_b128 v[1:4], v178, off
	v_mov_b32_e32 v5, 0
	s_delay_alu instid0(VALU_DEP_1)
	v_mov_b32_e32 v6, v5
	v_mov_b32_e32 v7, v5
	;; [unrolled: 1-line block ×3, first 2 shown]
	scratch_store_b128 off, v[5:8], off offset:384
	s_waitcnt vmcnt(0)
	ds_store_b128 v202, v[1:4]
.LBB115_277:
	s_or_b32 exec_lo, exec_lo, s2
	s_waitcnt lgkmcnt(0)
	s_waitcnt_vscnt null, 0x0
	s_barrier
	buffer_gl0_inv
	s_clause 0x7
	scratch_load_b128 v[2:5], off, off offset:400
	scratch_load_b128 v[6:9], off, off offset:416
	;; [unrolled: 1-line block ×8, first 2 shown]
	v_mov_b32_e32 v1, 0
	s_mov_b32 s2, exec_lo
	ds_load_b128 v[38:41], v1 offset:1232
	s_clause 0x1
	scratch_load_b128 v[34:37], off, off offset:528
	scratch_load_b128 v[42:45], off, off offset:384
	ds_load_b128 v[153:156], v1 offset:1248
	scratch_load_b128 v[166:169], off, off offset:544
	ds_load_b128 v[217:220], v1 offset:1280
	s_waitcnt vmcnt(10) lgkmcnt(2)
	v_mul_f64 v[163:164], v[40:41], v[4:5]
	v_mul_f64 v[4:5], v[38:39], v[4:5]
	s_delay_alu instid0(VALU_DEP_2) | instskip(NEXT) | instid1(VALU_DEP_2)
	v_fma_f64 v[163:164], v[38:39], v[2:3], -v[163:164]
	v_fma_f64 v[223:224], v[40:41], v[2:3], v[4:5]
	ds_load_b128 v[2:5], v1 offset:1264
	s_waitcnt vmcnt(9) lgkmcnt(2)
	v_mul_f64 v[221:222], v[153:154], v[8:9]
	v_mul_f64 v[8:9], v[155:156], v[8:9]
	scratch_load_b128 v[38:41], off, off offset:560
	s_waitcnt vmcnt(9) lgkmcnt(0)
	v_mul_f64 v[225:226], v[2:3], v[12:13]
	v_mul_f64 v[12:13], v[4:5], v[12:13]
	v_add_f64 v[163:164], v[163:164], 0
	v_fma_f64 v[155:156], v[155:156], v[6:7], v[221:222]
	v_fma_f64 v[153:154], v[153:154], v[6:7], -v[8:9]
	v_add_f64 v[221:222], v[223:224], 0
	scratch_load_b128 v[6:9], off, off offset:576
	v_fma_f64 v[225:226], v[4:5], v[10:11], v[225:226]
	v_fma_f64 v[227:228], v[2:3], v[10:11], -v[12:13]
	scratch_load_b128 v[10:13], off, off offset:592
	ds_load_b128 v[2:5], v1 offset:1296
	s_waitcnt vmcnt(10)
	v_mul_f64 v[223:224], v[217:218], v[16:17]
	v_mul_f64 v[16:17], v[219:220], v[16:17]
	v_add_f64 v[163:164], v[163:164], v[153:154]
	v_add_f64 v[221:222], v[221:222], v[155:156]
	ds_load_b128 v[153:156], v1 offset:1312
	s_waitcnt vmcnt(9) lgkmcnt(1)
	v_mul_f64 v[229:230], v[2:3], v[20:21]
	v_mul_f64 v[20:21], v[4:5], v[20:21]
	v_fma_f64 v[219:220], v[219:220], v[14:15], v[223:224]
	v_fma_f64 v[217:218], v[217:218], v[14:15], -v[16:17]
	scratch_load_b128 v[14:17], off, off offset:608
	v_add_f64 v[163:164], v[163:164], v[227:228]
	v_add_f64 v[221:222], v[221:222], v[225:226]
	v_fma_f64 v[225:226], v[4:5], v[18:19], v[229:230]
	v_fma_f64 v[227:228], v[2:3], v[18:19], -v[20:21]
	scratch_load_b128 v[18:21], off, off offset:624
	ds_load_b128 v[2:5], v1 offset:1328
	s_waitcnt vmcnt(10) lgkmcnt(1)
	v_mul_f64 v[223:224], v[153:154], v[24:25]
	v_mul_f64 v[24:25], v[155:156], v[24:25]
	s_waitcnt vmcnt(9) lgkmcnt(0)
	v_mul_f64 v[229:230], v[2:3], v[28:29]
	v_mul_f64 v[28:29], v[4:5], v[28:29]
	v_add_f64 v[163:164], v[163:164], v[217:218]
	v_add_f64 v[221:222], v[221:222], v[219:220]
	ds_load_b128 v[217:220], v1 offset:1344
	v_fma_f64 v[155:156], v[155:156], v[22:23], v[223:224]
	v_fma_f64 v[153:154], v[153:154], v[22:23], -v[24:25]
	scratch_load_b128 v[22:25], off, off offset:640
	v_add_f64 v[163:164], v[163:164], v[227:228]
	v_add_f64 v[221:222], v[221:222], v[225:226]
	v_fma_f64 v[225:226], v[4:5], v[26:27], v[229:230]
	v_fma_f64 v[227:228], v[2:3], v[26:27], -v[28:29]
	scratch_load_b128 v[26:29], off, off offset:656
	ds_load_b128 v[2:5], v1 offset:1360
	s_waitcnt vmcnt(10) lgkmcnt(1)
	v_mul_f64 v[223:224], v[217:218], v[32:33]
	v_mul_f64 v[32:33], v[219:220], v[32:33]
	s_waitcnt vmcnt(9) lgkmcnt(0)
	v_mul_f64 v[229:230], v[2:3], v[36:37]
	v_mul_f64 v[36:37], v[4:5], v[36:37]
	v_add_f64 v[163:164], v[163:164], v[153:154]
	v_add_f64 v[221:222], v[221:222], v[155:156]
	ds_load_b128 v[153:156], v1 offset:1376
	v_fma_f64 v[219:220], v[219:220], v[30:31], v[223:224]
	v_fma_f64 v[217:218], v[217:218], v[30:31], -v[32:33]
	scratch_load_b128 v[30:33], off, off offset:672
	v_add_f64 v[163:164], v[163:164], v[227:228]
	v_add_f64 v[221:222], v[221:222], v[225:226]
	v_fma_f64 v[225:226], v[4:5], v[34:35], v[229:230]
	v_fma_f64 v[227:228], v[2:3], v[34:35], -v[36:37]
	scratch_load_b128 v[34:37], off, off offset:688
	ds_load_b128 v[2:5], v1 offset:1392
	s_waitcnt vmcnt(9) lgkmcnt(1)
	v_mul_f64 v[223:224], v[153:154], v[168:169]
	v_mul_f64 v[168:169], v[155:156], v[168:169]
	v_add_f64 v[163:164], v[163:164], v[217:218]
	v_add_f64 v[221:222], v[221:222], v[219:220]
	ds_load_b128 v[217:220], v1 offset:1408
	v_fma_f64 v[223:224], v[155:156], v[166:167], v[223:224]
	v_fma_f64 v[166:167], v[153:154], v[166:167], -v[168:169]
	scratch_load_b128 v[153:156], off, off offset:704
	s_waitcnt vmcnt(9) lgkmcnt(1)
	v_mul_f64 v[229:230], v[2:3], v[40:41]
	v_mul_f64 v[40:41], v[4:5], v[40:41]
	v_add_f64 v[163:164], v[163:164], v[227:228]
	v_add_f64 v[168:169], v[221:222], v[225:226]
	s_delay_alu instid0(VALU_DEP_4) | instskip(NEXT) | instid1(VALU_DEP_4)
	v_fma_f64 v[225:226], v[4:5], v[38:39], v[229:230]
	v_fma_f64 v[227:228], v[2:3], v[38:39], -v[40:41]
	scratch_load_b128 v[38:41], off, off offset:720
	ds_load_b128 v[2:5], v1 offset:1424
	s_waitcnt vmcnt(9) lgkmcnt(1)
	v_mul_f64 v[221:222], v[217:218], v[8:9]
	v_mul_f64 v[8:9], v[219:220], v[8:9]
	v_add_f64 v[163:164], v[163:164], v[166:167]
	v_add_f64 v[223:224], v[168:169], v[223:224]
	s_waitcnt vmcnt(8) lgkmcnt(0)
	v_mul_f64 v[229:230], v[2:3], v[12:13]
	v_mul_f64 v[12:13], v[4:5], v[12:13]
	ds_load_b128 v[166:169], v1 offset:1440
	v_fma_f64 v[219:220], v[219:220], v[6:7], v[221:222]
	v_fma_f64 v[217:218], v[217:218], v[6:7], -v[8:9]
	scratch_load_b128 v[6:9], off, off offset:736
	v_add_f64 v[163:164], v[163:164], v[227:228]
	v_add_f64 v[221:222], v[223:224], v[225:226]
	v_fma_f64 v[225:226], v[4:5], v[10:11], v[229:230]
	v_fma_f64 v[227:228], v[2:3], v[10:11], -v[12:13]
	scratch_load_b128 v[10:13], off, off offset:752
	ds_load_b128 v[2:5], v1 offset:1456
	s_waitcnt vmcnt(9) lgkmcnt(1)
	v_mul_f64 v[223:224], v[166:167], v[16:17]
	v_mul_f64 v[16:17], v[168:169], v[16:17]
	s_waitcnt vmcnt(8) lgkmcnt(0)
	v_mul_f64 v[229:230], v[2:3], v[20:21]
	v_mul_f64 v[20:21], v[4:5], v[20:21]
	v_add_f64 v[163:164], v[163:164], v[217:218]
	v_add_f64 v[221:222], v[221:222], v[219:220]
	ds_load_b128 v[217:220], v1 offset:1472
	v_fma_f64 v[168:169], v[168:169], v[14:15], v[223:224]
	v_fma_f64 v[166:167], v[166:167], v[14:15], -v[16:17]
	scratch_load_b128 v[14:17], off, off offset:768
	v_add_f64 v[163:164], v[163:164], v[227:228]
	v_add_f64 v[221:222], v[221:222], v[225:226]
	v_fma_f64 v[225:226], v[4:5], v[18:19], v[229:230]
	v_fma_f64 v[227:228], v[2:3], v[18:19], -v[20:21]
	scratch_load_b128 v[18:21], off, off offset:784
	ds_load_b128 v[2:5], v1 offset:1488
	s_waitcnt vmcnt(9) lgkmcnt(1)
	v_mul_f64 v[223:224], v[217:218], v[24:25]
	v_mul_f64 v[24:25], v[219:220], v[24:25]
	s_waitcnt vmcnt(8) lgkmcnt(0)
	v_mul_f64 v[229:230], v[2:3], v[28:29]
	v_mul_f64 v[28:29], v[4:5], v[28:29]
	v_add_f64 v[163:164], v[163:164], v[166:167]
	v_add_f64 v[221:222], v[221:222], v[168:169]
	;; [unrolled: 18-line block ×3, first 2 shown]
	ds_load_b128 v[217:220], v1 offset:1536
	v_fma_f64 v[168:169], v[168:169], v[30:31], v[223:224]
	v_fma_f64 v[30:31], v[166:167], v[30:31], -v[32:33]
	s_waitcnt vmcnt(7) lgkmcnt(0)
	v_mul_f64 v[166:167], v[217:218], v[155:156]
	v_mul_f64 v[155:156], v[219:220], v[155:156]
	v_add_f64 v[32:33], v[163:164], v[227:228]
	v_add_f64 v[163:164], v[221:222], v[225:226]
	v_fma_f64 v[221:222], v[4:5], v[34:35], v[229:230]
	v_fma_f64 v[34:35], v[2:3], v[34:35], -v[36:37]
	v_fma_f64 v[166:167], v[219:220], v[153:154], v[166:167]
	v_fma_f64 v[153:154], v[217:218], v[153:154], -v[155:156]
	v_add_f64 v[36:37], v[32:33], v[30:31]
	v_add_f64 v[163:164], v[163:164], v[168:169]
	ds_load_b128 v[2:5], v1 offset:1552
	ds_load_b128 v[30:33], v1 offset:1568
	s_waitcnt vmcnt(6) lgkmcnt(1)
	v_mul_f64 v[168:169], v[2:3], v[40:41]
	v_mul_f64 v[40:41], v[4:5], v[40:41]
	v_add_f64 v[34:35], v[36:37], v[34:35]
	v_add_f64 v[36:37], v[163:164], v[221:222]
	s_waitcnt vmcnt(5) lgkmcnt(0)
	v_mul_f64 v[155:156], v[30:31], v[8:9]
	v_mul_f64 v[8:9], v[32:33], v[8:9]
	v_fma_f64 v[163:164], v[4:5], v[38:39], v[168:169]
	v_fma_f64 v[38:39], v[2:3], v[38:39], -v[40:41]
	v_add_f64 v[40:41], v[34:35], v[153:154]
	v_add_f64 v[153:154], v[36:37], v[166:167]
	ds_load_b128 v[2:5], v1 offset:1584
	ds_load_b128 v[34:37], v1 offset:1600
	v_fma_f64 v[32:33], v[32:33], v[6:7], v[155:156]
	v_fma_f64 v[6:7], v[30:31], v[6:7], -v[8:9]
	s_waitcnt vmcnt(4) lgkmcnt(1)
	v_mul_f64 v[166:167], v[2:3], v[12:13]
	v_mul_f64 v[12:13], v[4:5], v[12:13]
	v_add_f64 v[8:9], v[40:41], v[38:39]
	v_add_f64 v[30:31], v[153:154], v[163:164]
	s_waitcnt vmcnt(3) lgkmcnt(0)
	v_mul_f64 v[38:39], v[34:35], v[16:17]
	v_mul_f64 v[16:17], v[36:37], v[16:17]
	v_fma_f64 v[40:41], v[4:5], v[10:11], v[166:167]
	v_fma_f64 v[10:11], v[2:3], v[10:11], -v[12:13]
	v_add_f64 v[12:13], v[8:9], v[6:7]
	v_add_f64 v[30:31], v[30:31], v[32:33]
	ds_load_b128 v[2:5], v1 offset:1616
	ds_load_b128 v[6:9], v1 offset:1632
	v_fma_f64 v[36:37], v[36:37], v[14:15], v[38:39]
	v_fma_f64 v[14:15], v[34:35], v[14:15], -v[16:17]
	s_waitcnt vmcnt(2) lgkmcnt(1)
	v_mul_f64 v[32:33], v[2:3], v[20:21]
	v_mul_f64 v[20:21], v[4:5], v[20:21]
	s_waitcnt vmcnt(1) lgkmcnt(0)
	v_mul_f64 v[16:17], v[6:7], v[24:25]
	v_mul_f64 v[24:25], v[8:9], v[24:25]
	v_add_f64 v[10:11], v[12:13], v[10:11]
	v_add_f64 v[12:13], v[30:31], v[40:41]
	v_fma_f64 v[30:31], v[4:5], v[18:19], v[32:33]
	v_fma_f64 v[18:19], v[2:3], v[18:19], -v[20:21]
	ds_load_b128 v[2:5], v1 offset:1648
	v_fma_f64 v[8:9], v[8:9], v[22:23], v[16:17]
	v_fma_f64 v[6:7], v[6:7], v[22:23], -v[24:25]
	v_add_f64 v[10:11], v[10:11], v[14:15]
	v_add_f64 v[12:13], v[12:13], v[36:37]
	s_waitcnt vmcnt(0) lgkmcnt(0)
	v_mul_f64 v[14:15], v[2:3], v[28:29]
	v_mul_f64 v[20:21], v[4:5], v[28:29]
	s_delay_alu instid0(VALU_DEP_4) | instskip(NEXT) | instid1(VALU_DEP_4)
	v_add_f64 v[10:11], v[10:11], v[18:19]
	v_add_f64 v[12:13], v[12:13], v[30:31]
	s_delay_alu instid0(VALU_DEP_4) | instskip(NEXT) | instid1(VALU_DEP_4)
	v_fma_f64 v[4:5], v[4:5], v[26:27], v[14:15]
	v_fma_f64 v[2:3], v[2:3], v[26:27], -v[20:21]
	s_delay_alu instid0(VALU_DEP_4) | instskip(NEXT) | instid1(VALU_DEP_4)
	v_add_f64 v[6:7], v[10:11], v[6:7]
	v_add_f64 v[8:9], v[12:13], v[8:9]
	s_delay_alu instid0(VALU_DEP_2) | instskip(NEXT) | instid1(VALU_DEP_2)
	v_add_f64 v[2:3], v[6:7], v[2:3]
	v_add_f64 v[4:5], v[8:9], v[4:5]
	s_delay_alu instid0(VALU_DEP_2) | instskip(NEXT) | instid1(VALU_DEP_2)
	v_add_f64 v[2:3], v[42:43], -v[2:3]
	v_add_f64 v[4:5], v[44:45], -v[4:5]
	scratch_store_b128 off, v[2:5], off offset:384
	v_cmpx_lt_u32_e32 23, v150
	s_cbranch_execz .LBB115_279
; %bb.278:
	scratch_load_b128 v[5:8], v179, off
	v_mov_b32_e32 v2, v1
	v_mov_b32_e32 v3, v1
	;; [unrolled: 1-line block ×3, first 2 shown]
	scratch_store_b128 off, v[1:4], off offset:368
	s_waitcnt vmcnt(0)
	ds_store_b128 v202, v[5:8]
.LBB115_279:
	s_or_b32 exec_lo, exec_lo, s2
	s_waitcnt lgkmcnt(0)
	s_waitcnt_vscnt null, 0x0
	s_barrier
	buffer_gl0_inv
	s_clause 0x8
	scratch_load_b128 v[2:5], off, off offset:384
	scratch_load_b128 v[6:9], off, off offset:400
	;; [unrolled: 1-line block ×9, first 2 shown]
	ds_load_b128 v[42:45], v1 offset:1216
	ds_load_b128 v[38:41], v1 offset:1232
	s_clause 0x1
	scratch_load_b128 v[153:156], off, off offset:368
	scratch_load_b128 v[166:169], off, off offset:528
	s_mov_b32 s2, exec_lo
	ds_load_b128 v[217:220], v1 offset:1264
	s_waitcnt vmcnt(10) lgkmcnt(2)
	v_mul_f64 v[163:164], v[44:45], v[4:5]
	v_mul_f64 v[4:5], v[42:43], v[4:5]
	s_waitcnt vmcnt(9) lgkmcnt(1)
	v_mul_f64 v[221:222], v[38:39], v[8:9]
	v_mul_f64 v[8:9], v[40:41], v[8:9]
	s_delay_alu instid0(VALU_DEP_4) | instskip(NEXT) | instid1(VALU_DEP_4)
	v_fma_f64 v[163:164], v[42:43], v[2:3], -v[163:164]
	v_fma_f64 v[223:224], v[44:45], v[2:3], v[4:5]
	ds_load_b128 v[2:5], v1 offset:1248
	scratch_load_b128 v[42:45], off, off offset:544
	v_fma_f64 v[40:41], v[40:41], v[6:7], v[221:222]
	v_fma_f64 v[38:39], v[38:39], v[6:7], -v[8:9]
	scratch_load_b128 v[6:9], off, off offset:560
	s_waitcnt vmcnt(10) lgkmcnt(0)
	v_mul_f64 v[225:226], v[2:3], v[12:13]
	v_mul_f64 v[12:13], v[4:5], v[12:13]
	v_add_f64 v[163:164], v[163:164], 0
	v_add_f64 v[221:222], v[223:224], 0
	s_waitcnt vmcnt(9)
	v_mul_f64 v[223:224], v[217:218], v[16:17]
	v_mul_f64 v[16:17], v[219:220], v[16:17]
	v_fma_f64 v[225:226], v[4:5], v[10:11], v[225:226]
	v_fma_f64 v[227:228], v[2:3], v[10:11], -v[12:13]
	ds_load_b128 v[2:5], v1 offset:1280
	scratch_load_b128 v[10:13], off, off offset:576
	v_add_f64 v[163:164], v[163:164], v[38:39]
	v_add_f64 v[221:222], v[221:222], v[40:41]
	ds_load_b128 v[38:41], v1 offset:1296
	v_fma_f64 v[219:220], v[219:220], v[14:15], v[223:224]
	v_fma_f64 v[217:218], v[217:218], v[14:15], -v[16:17]
	scratch_load_b128 v[14:17], off, off offset:592
	s_waitcnt vmcnt(10) lgkmcnt(1)
	v_mul_f64 v[229:230], v[2:3], v[20:21]
	v_mul_f64 v[20:21], v[4:5], v[20:21]
	s_waitcnt vmcnt(9) lgkmcnt(0)
	v_mul_f64 v[223:224], v[38:39], v[24:25]
	v_mul_f64 v[24:25], v[40:41], v[24:25]
	v_add_f64 v[163:164], v[163:164], v[227:228]
	v_add_f64 v[221:222], v[221:222], v[225:226]
	v_fma_f64 v[225:226], v[4:5], v[18:19], v[229:230]
	v_fma_f64 v[227:228], v[2:3], v[18:19], -v[20:21]
	ds_load_b128 v[2:5], v1 offset:1312
	scratch_load_b128 v[18:21], off, off offset:608
	v_fma_f64 v[40:41], v[40:41], v[22:23], v[223:224]
	v_fma_f64 v[38:39], v[38:39], v[22:23], -v[24:25]
	scratch_load_b128 v[22:25], off, off offset:624
	v_add_f64 v[163:164], v[163:164], v[217:218]
	v_add_f64 v[221:222], v[221:222], v[219:220]
	ds_load_b128 v[217:220], v1 offset:1328
	s_waitcnt vmcnt(10) lgkmcnt(1)
	v_mul_f64 v[229:230], v[2:3], v[28:29]
	v_mul_f64 v[28:29], v[4:5], v[28:29]
	s_waitcnt vmcnt(9) lgkmcnt(0)
	v_mul_f64 v[223:224], v[217:218], v[32:33]
	v_mul_f64 v[32:33], v[219:220], v[32:33]
	v_add_f64 v[163:164], v[163:164], v[227:228]
	v_add_f64 v[221:222], v[221:222], v[225:226]
	v_fma_f64 v[225:226], v[4:5], v[26:27], v[229:230]
	v_fma_f64 v[227:228], v[2:3], v[26:27], -v[28:29]
	ds_load_b128 v[2:5], v1 offset:1344
	scratch_load_b128 v[26:29], off, off offset:640
	v_fma_f64 v[219:220], v[219:220], v[30:31], v[223:224]
	v_fma_f64 v[217:218], v[217:218], v[30:31], -v[32:33]
	scratch_load_b128 v[30:33], off, off offset:656
	v_add_f64 v[163:164], v[163:164], v[38:39]
	v_add_f64 v[221:222], v[221:222], v[40:41]
	ds_load_b128 v[38:41], v1 offset:1360
	;; [unrolled: 18-line block ×3, first 2 shown]
	s_waitcnt vmcnt(9) lgkmcnt(1)
	v_mul_f64 v[229:230], v[2:3], v[44:45]
	v_mul_f64 v[44:45], v[4:5], v[44:45]
	v_add_f64 v[163:164], v[163:164], v[227:228]
	v_add_f64 v[168:169], v[221:222], v[225:226]
	s_waitcnt vmcnt(8) lgkmcnt(0)
	v_mul_f64 v[221:222], v[217:218], v[8:9]
	v_mul_f64 v[8:9], v[219:220], v[8:9]
	v_fma_f64 v[225:226], v[4:5], v[42:43], v[229:230]
	v_fma_f64 v[227:228], v[2:3], v[42:43], -v[44:45]
	ds_load_b128 v[2:5], v1 offset:1408
	scratch_load_b128 v[42:45], off, off offset:704
	v_add_f64 v[163:164], v[163:164], v[166:167]
	v_add_f64 v[223:224], v[168:169], v[223:224]
	ds_load_b128 v[166:169], v1 offset:1424
	s_waitcnt vmcnt(8) lgkmcnt(1)
	v_mul_f64 v[229:230], v[2:3], v[12:13]
	v_mul_f64 v[12:13], v[4:5], v[12:13]
	v_fma_f64 v[219:220], v[219:220], v[6:7], v[221:222]
	v_fma_f64 v[217:218], v[217:218], v[6:7], -v[8:9]
	scratch_load_b128 v[6:9], off, off offset:720
	v_add_f64 v[163:164], v[163:164], v[227:228]
	v_add_f64 v[221:222], v[223:224], v[225:226]
	s_waitcnt vmcnt(8) lgkmcnt(0)
	v_mul_f64 v[223:224], v[166:167], v[16:17]
	v_mul_f64 v[16:17], v[168:169], v[16:17]
	v_fma_f64 v[225:226], v[4:5], v[10:11], v[229:230]
	v_fma_f64 v[227:228], v[2:3], v[10:11], -v[12:13]
	ds_load_b128 v[2:5], v1 offset:1440
	scratch_load_b128 v[10:13], off, off offset:736
	v_add_f64 v[163:164], v[163:164], v[217:218]
	v_add_f64 v[221:222], v[221:222], v[219:220]
	ds_load_b128 v[217:220], v1 offset:1456
	s_waitcnt vmcnt(8) lgkmcnt(1)
	v_mul_f64 v[229:230], v[2:3], v[20:21]
	v_mul_f64 v[20:21], v[4:5], v[20:21]
	v_fma_f64 v[168:169], v[168:169], v[14:15], v[223:224]
	v_fma_f64 v[166:167], v[166:167], v[14:15], -v[16:17]
	scratch_load_b128 v[14:17], off, off offset:752
	s_waitcnt vmcnt(8) lgkmcnt(0)
	v_mul_f64 v[223:224], v[217:218], v[24:25]
	v_mul_f64 v[24:25], v[219:220], v[24:25]
	v_add_f64 v[163:164], v[163:164], v[227:228]
	v_add_f64 v[221:222], v[221:222], v[225:226]
	v_fma_f64 v[225:226], v[4:5], v[18:19], v[229:230]
	v_fma_f64 v[227:228], v[2:3], v[18:19], -v[20:21]
	ds_load_b128 v[2:5], v1 offset:1472
	scratch_load_b128 v[18:21], off, off offset:768
	v_fma_f64 v[219:220], v[219:220], v[22:23], v[223:224]
	v_fma_f64 v[217:218], v[217:218], v[22:23], -v[24:25]
	scratch_load_b128 v[22:25], off, off offset:784
	v_add_f64 v[163:164], v[163:164], v[166:167]
	v_add_f64 v[221:222], v[221:222], v[168:169]
	ds_load_b128 v[166:169], v1 offset:1488
	s_waitcnt vmcnt(9) lgkmcnt(1)
	v_mul_f64 v[229:230], v[2:3], v[28:29]
	v_mul_f64 v[28:29], v[4:5], v[28:29]
	s_waitcnt vmcnt(8) lgkmcnt(0)
	v_mul_f64 v[223:224], v[166:167], v[32:33]
	v_mul_f64 v[32:33], v[168:169], v[32:33]
	v_add_f64 v[163:164], v[163:164], v[227:228]
	v_add_f64 v[221:222], v[221:222], v[225:226]
	v_fma_f64 v[225:226], v[4:5], v[26:27], v[229:230]
	v_fma_f64 v[227:228], v[2:3], v[26:27], -v[28:29]
	ds_load_b128 v[2:5], v1 offset:1504
	scratch_load_b128 v[26:29], off, off offset:800
	v_fma_f64 v[168:169], v[168:169], v[30:31], v[223:224]
	v_fma_f64 v[166:167], v[166:167], v[30:31], -v[32:33]
	scratch_load_b128 v[30:33], off, off offset:816
	v_add_f64 v[163:164], v[163:164], v[217:218]
	v_add_f64 v[221:222], v[221:222], v[219:220]
	ds_load_b128 v[217:220], v1 offset:1520
	s_waitcnt vmcnt(9) lgkmcnt(1)
	v_mul_f64 v[229:230], v[2:3], v[36:37]
	v_mul_f64 v[36:37], v[4:5], v[36:37]
	s_waitcnt vmcnt(8) lgkmcnt(0)
	v_mul_f64 v[223:224], v[217:218], v[40:41]
	v_mul_f64 v[40:41], v[219:220], v[40:41]
	v_add_f64 v[163:164], v[163:164], v[227:228]
	v_add_f64 v[221:222], v[221:222], v[225:226]
	v_fma_f64 v[225:226], v[4:5], v[34:35], v[229:230]
	v_fma_f64 v[227:228], v[2:3], v[34:35], -v[36:37]
	ds_load_b128 v[2:5], v1 offset:1536
	ds_load_b128 v[34:37], v1 offset:1552
	v_fma_f64 v[219:220], v[219:220], v[38:39], v[223:224]
	v_fma_f64 v[38:39], v[217:218], v[38:39], -v[40:41]
	v_add_f64 v[163:164], v[163:164], v[166:167]
	v_add_f64 v[166:167], v[221:222], v[168:169]
	s_waitcnt vmcnt(7) lgkmcnt(1)
	v_mul_f64 v[168:169], v[2:3], v[44:45]
	v_mul_f64 v[44:45], v[4:5], v[44:45]
	s_delay_alu instid0(VALU_DEP_4) | instskip(NEXT) | instid1(VALU_DEP_4)
	v_add_f64 v[40:41], v[163:164], v[227:228]
	v_add_f64 v[163:164], v[166:167], v[225:226]
	s_waitcnt vmcnt(6) lgkmcnt(0)
	v_mul_f64 v[166:167], v[34:35], v[8:9]
	v_mul_f64 v[8:9], v[36:37], v[8:9]
	v_fma_f64 v[168:169], v[4:5], v[42:43], v[168:169]
	v_fma_f64 v[42:43], v[2:3], v[42:43], -v[44:45]
	v_add_f64 v[44:45], v[40:41], v[38:39]
	v_add_f64 v[163:164], v[163:164], v[219:220]
	ds_load_b128 v[2:5], v1 offset:1568
	ds_load_b128 v[38:41], v1 offset:1584
	v_fma_f64 v[36:37], v[36:37], v[6:7], v[166:167]
	v_fma_f64 v[6:7], v[34:35], v[6:7], -v[8:9]
	s_waitcnt vmcnt(5) lgkmcnt(1)
	v_mul_f64 v[217:218], v[2:3], v[12:13]
	v_mul_f64 v[12:13], v[4:5], v[12:13]
	v_add_f64 v[8:9], v[44:45], v[42:43]
	v_add_f64 v[34:35], v[163:164], v[168:169]
	s_waitcnt vmcnt(4) lgkmcnt(0)
	v_mul_f64 v[42:43], v[38:39], v[16:17]
	v_mul_f64 v[16:17], v[40:41], v[16:17]
	v_fma_f64 v[44:45], v[4:5], v[10:11], v[217:218]
	v_fma_f64 v[10:11], v[2:3], v[10:11], -v[12:13]
	v_add_f64 v[12:13], v[8:9], v[6:7]
	v_add_f64 v[34:35], v[34:35], v[36:37]
	ds_load_b128 v[2:5], v1 offset:1600
	ds_load_b128 v[6:9], v1 offset:1616
	v_fma_f64 v[40:41], v[40:41], v[14:15], v[42:43]
	v_fma_f64 v[14:15], v[38:39], v[14:15], -v[16:17]
	s_waitcnt vmcnt(3) lgkmcnt(1)
	v_mul_f64 v[36:37], v[2:3], v[20:21]
	v_mul_f64 v[20:21], v[4:5], v[20:21]
	s_waitcnt vmcnt(2) lgkmcnt(0)
	v_mul_f64 v[16:17], v[6:7], v[24:25]
	v_mul_f64 v[24:25], v[8:9], v[24:25]
	v_add_f64 v[10:11], v[12:13], v[10:11]
	v_add_f64 v[12:13], v[34:35], v[44:45]
	v_fma_f64 v[34:35], v[4:5], v[18:19], v[36:37]
	v_fma_f64 v[18:19], v[2:3], v[18:19], -v[20:21]
	v_fma_f64 v[8:9], v[8:9], v[22:23], v[16:17]
	v_fma_f64 v[6:7], v[6:7], v[22:23], -v[24:25]
	v_add_f64 v[14:15], v[10:11], v[14:15]
	v_add_f64 v[20:21], v[12:13], v[40:41]
	ds_load_b128 v[2:5], v1 offset:1632
	ds_load_b128 v[10:13], v1 offset:1648
	s_waitcnt vmcnt(1) lgkmcnt(1)
	v_mul_f64 v[36:37], v[2:3], v[28:29]
	v_mul_f64 v[28:29], v[4:5], v[28:29]
	v_add_f64 v[14:15], v[14:15], v[18:19]
	v_add_f64 v[16:17], v[20:21], v[34:35]
	s_waitcnt vmcnt(0) lgkmcnt(0)
	v_mul_f64 v[18:19], v[10:11], v[32:33]
	v_mul_f64 v[20:21], v[12:13], v[32:33]
	v_fma_f64 v[4:5], v[4:5], v[26:27], v[36:37]
	v_fma_f64 v[1:2], v[2:3], v[26:27], -v[28:29]
	v_add_f64 v[6:7], v[14:15], v[6:7]
	v_add_f64 v[8:9], v[16:17], v[8:9]
	v_fma_f64 v[12:13], v[12:13], v[30:31], v[18:19]
	v_fma_f64 v[10:11], v[10:11], v[30:31], -v[20:21]
	s_delay_alu instid0(VALU_DEP_4) | instskip(NEXT) | instid1(VALU_DEP_4)
	v_add_f64 v[1:2], v[6:7], v[1:2]
	v_add_f64 v[3:4], v[8:9], v[4:5]
	s_delay_alu instid0(VALU_DEP_2) | instskip(NEXT) | instid1(VALU_DEP_2)
	v_add_f64 v[1:2], v[1:2], v[10:11]
	v_add_f64 v[3:4], v[3:4], v[12:13]
	s_delay_alu instid0(VALU_DEP_2) | instskip(NEXT) | instid1(VALU_DEP_2)
	v_add_f64 v[1:2], v[153:154], -v[1:2]
	v_add_f64 v[3:4], v[155:156], -v[3:4]
	scratch_store_b128 off, v[1:4], off offset:368
	v_cmpx_lt_u32_e32 22, v150
	s_cbranch_execz .LBB115_281
; %bb.280:
	scratch_load_b128 v[1:4], v180, off
	v_mov_b32_e32 v5, 0
	s_delay_alu instid0(VALU_DEP_1)
	v_mov_b32_e32 v6, v5
	v_mov_b32_e32 v7, v5
	;; [unrolled: 1-line block ×3, first 2 shown]
	scratch_store_b128 off, v[5:8], off offset:352
	s_waitcnt vmcnt(0)
	ds_store_b128 v202, v[1:4]
.LBB115_281:
	s_or_b32 exec_lo, exec_lo, s2
	s_waitcnt lgkmcnt(0)
	s_waitcnt_vscnt null, 0x0
	s_barrier
	buffer_gl0_inv
	s_clause 0x7
	scratch_load_b128 v[2:5], off, off offset:368
	scratch_load_b128 v[6:9], off, off offset:384
	;; [unrolled: 1-line block ×8, first 2 shown]
	v_mov_b32_e32 v1, 0
	s_mov_b32 s2, exec_lo
	ds_load_b128 v[38:41], v1 offset:1200
	s_clause 0x1
	scratch_load_b128 v[34:37], off, off offset:496
	scratch_load_b128 v[42:45], off, off offset:352
	ds_load_b128 v[153:156], v1 offset:1216
	scratch_load_b128 v[166:169], off, off offset:512
	ds_load_b128 v[217:220], v1 offset:1248
	s_waitcnt vmcnt(10) lgkmcnt(2)
	v_mul_f64 v[163:164], v[40:41], v[4:5]
	v_mul_f64 v[4:5], v[38:39], v[4:5]
	s_delay_alu instid0(VALU_DEP_2) | instskip(NEXT) | instid1(VALU_DEP_2)
	v_fma_f64 v[163:164], v[38:39], v[2:3], -v[163:164]
	v_fma_f64 v[223:224], v[40:41], v[2:3], v[4:5]
	ds_load_b128 v[2:5], v1 offset:1232
	s_waitcnt vmcnt(9) lgkmcnt(2)
	v_mul_f64 v[221:222], v[153:154], v[8:9]
	v_mul_f64 v[8:9], v[155:156], v[8:9]
	scratch_load_b128 v[38:41], off, off offset:528
	s_waitcnt vmcnt(9) lgkmcnt(0)
	v_mul_f64 v[225:226], v[2:3], v[12:13]
	v_mul_f64 v[12:13], v[4:5], v[12:13]
	v_add_f64 v[163:164], v[163:164], 0
	v_fma_f64 v[155:156], v[155:156], v[6:7], v[221:222]
	v_fma_f64 v[153:154], v[153:154], v[6:7], -v[8:9]
	v_add_f64 v[221:222], v[223:224], 0
	scratch_load_b128 v[6:9], off, off offset:544
	v_fma_f64 v[225:226], v[4:5], v[10:11], v[225:226]
	v_fma_f64 v[227:228], v[2:3], v[10:11], -v[12:13]
	scratch_load_b128 v[10:13], off, off offset:560
	ds_load_b128 v[2:5], v1 offset:1264
	s_waitcnt vmcnt(10)
	v_mul_f64 v[223:224], v[217:218], v[16:17]
	v_mul_f64 v[16:17], v[219:220], v[16:17]
	v_add_f64 v[163:164], v[163:164], v[153:154]
	v_add_f64 v[221:222], v[221:222], v[155:156]
	ds_load_b128 v[153:156], v1 offset:1280
	s_waitcnt vmcnt(9) lgkmcnt(1)
	v_mul_f64 v[229:230], v[2:3], v[20:21]
	v_mul_f64 v[20:21], v[4:5], v[20:21]
	v_fma_f64 v[219:220], v[219:220], v[14:15], v[223:224]
	v_fma_f64 v[217:218], v[217:218], v[14:15], -v[16:17]
	scratch_load_b128 v[14:17], off, off offset:576
	v_add_f64 v[163:164], v[163:164], v[227:228]
	v_add_f64 v[221:222], v[221:222], v[225:226]
	v_fma_f64 v[225:226], v[4:5], v[18:19], v[229:230]
	v_fma_f64 v[227:228], v[2:3], v[18:19], -v[20:21]
	scratch_load_b128 v[18:21], off, off offset:592
	ds_load_b128 v[2:5], v1 offset:1296
	s_waitcnt vmcnt(10) lgkmcnt(1)
	v_mul_f64 v[223:224], v[153:154], v[24:25]
	v_mul_f64 v[24:25], v[155:156], v[24:25]
	s_waitcnt vmcnt(9) lgkmcnt(0)
	v_mul_f64 v[229:230], v[2:3], v[28:29]
	v_mul_f64 v[28:29], v[4:5], v[28:29]
	v_add_f64 v[163:164], v[163:164], v[217:218]
	v_add_f64 v[221:222], v[221:222], v[219:220]
	ds_load_b128 v[217:220], v1 offset:1312
	v_fma_f64 v[155:156], v[155:156], v[22:23], v[223:224]
	v_fma_f64 v[153:154], v[153:154], v[22:23], -v[24:25]
	scratch_load_b128 v[22:25], off, off offset:608
	v_add_f64 v[163:164], v[163:164], v[227:228]
	v_add_f64 v[221:222], v[221:222], v[225:226]
	v_fma_f64 v[225:226], v[4:5], v[26:27], v[229:230]
	v_fma_f64 v[227:228], v[2:3], v[26:27], -v[28:29]
	scratch_load_b128 v[26:29], off, off offset:624
	ds_load_b128 v[2:5], v1 offset:1328
	s_waitcnt vmcnt(10) lgkmcnt(1)
	v_mul_f64 v[223:224], v[217:218], v[32:33]
	v_mul_f64 v[32:33], v[219:220], v[32:33]
	s_waitcnt vmcnt(9) lgkmcnt(0)
	v_mul_f64 v[229:230], v[2:3], v[36:37]
	v_mul_f64 v[36:37], v[4:5], v[36:37]
	v_add_f64 v[163:164], v[163:164], v[153:154]
	v_add_f64 v[221:222], v[221:222], v[155:156]
	ds_load_b128 v[153:156], v1 offset:1344
	v_fma_f64 v[219:220], v[219:220], v[30:31], v[223:224]
	v_fma_f64 v[217:218], v[217:218], v[30:31], -v[32:33]
	scratch_load_b128 v[30:33], off, off offset:640
	v_add_f64 v[163:164], v[163:164], v[227:228]
	v_add_f64 v[221:222], v[221:222], v[225:226]
	v_fma_f64 v[225:226], v[4:5], v[34:35], v[229:230]
	v_fma_f64 v[227:228], v[2:3], v[34:35], -v[36:37]
	scratch_load_b128 v[34:37], off, off offset:656
	ds_load_b128 v[2:5], v1 offset:1360
	s_waitcnt vmcnt(9) lgkmcnt(1)
	v_mul_f64 v[223:224], v[153:154], v[168:169]
	v_mul_f64 v[168:169], v[155:156], v[168:169]
	v_add_f64 v[163:164], v[163:164], v[217:218]
	v_add_f64 v[221:222], v[221:222], v[219:220]
	ds_load_b128 v[217:220], v1 offset:1376
	v_fma_f64 v[223:224], v[155:156], v[166:167], v[223:224]
	v_fma_f64 v[166:167], v[153:154], v[166:167], -v[168:169]
	scratch_load_b128 v[153:156], off, off offset:672
	s_waitcnt vmcnt(9) lgkmcnt(1)
	v_mul_f64 v[229:230], v[2:3], v[40:41]
	v_mul_f64 v[40:41], v[4:5], v[40:41]
	v_add_f64 v[163:164], v[163:164], v[227:228]
	v_add_f64 v[168:169], v[221:222], v[225:226]
	s_delay_alu instid0(VALU_DEP_4) | instskip(NEXT) | instid1(VALU_DEP_4)
	v_fma_f64 v[225:226], v[4:5], v[38:39], v[229:230]
	v_fma_f64 v[227:228], v[2:3], v[38:39], -v[40:41]
	scratch_load_b128 v[38:41], off, off offset:688
	ds_load_b128 v[2:5], v1 offset:1392
	s_waitcnt vmcnt(9) lgkmcnt(1)
	v_mul_f64 v[221:222], v[217:218], v[8:9]
	v_mul_f64 v[8:9], v[219:220], v[8:9]
	v_add_f64 v[163:164], v[163:164], v[166:167]
	v_add_f64 v[223:224], v[168:169], v[223:224]
	s_waitcnt vmcnt(8) lgkmcnt(0)
	v_mul_f64 v[229:230], v[2:3], v[12:13]
	v_mul_f64 v[12:13], v[4:5], v[12:13]
	ds_load_b128 v[166:169], v1 offset:1408
	v_fma_f64 v[219:220], v[219:220], v[6:7], v[221:222]
	v_fma_f64 v[217:218], v[217:218], v[6:7], -v[8:9]
	scratch_load_b128 v[6:9], off, off offset:704
	v_add_f64 v[163:164], v[163:164], v[227:228]
	v_add_f64 v[221:222], v[223:224], v[225:226]
	v_fma_f64 v[225:226], v[4:5], v[10:11], v[229:230]
	v_fma_f64 v[227:228], v[2:3], v[10:11], -v[12:13]
	scratch_load_b128 v[10:13], off, off offset:720
	ds_load_b128 v[2:5], v1 offset:1424
	s_waitcnt vmcnt(9) lgkmcnt(1)
	v_mul_f64 v[223:224], v[166:167], v[16:17]
	v_mul_f64 v[16:17], v[168:169], v[16:17]
	s_waitcnt vmcnt(8) lgkmcnt(0)
	v_mul_f64 v[229:230], v[2:3], v[20:21]
	v_mul_f64 v[20:21], v[4:5], v[20:21]
	v_add_f64 v[163:164], v[163:164], v[217:218]
	v_add_f64 v[221:222], v[221:222], v[219:220]
	ds_load_b128 v[217:220], v1 offset:1440
	v_fma_f64 v[168:169], v[168:169], v[14:15], v[223:224]
	v_fma_f64 v[166:167], v[166:167], v[14:15], -v[16:17]
	scratch_load_b128 v[14:17], off, off offset:736
	v_add_f64 v[163:164], v[163:164], v[227:228]
	v_add_f64 v[221:222], v[221:222], v[225:226]
	v_fma_f64 v[225:226], v[4:5], v[18:19], v[229:230]
	v_fma_f64 v[227:228], v[2:3], v[18:19], -v[20:21]
	scratch_load_b128 v[18:21], off, off offset:752
	ds_load_b128 v[2:5], v1 offset:1456
	s_waitcnt vmcnt(9) lgkmcnt(1)
	v_mul_f64 v[223:224], v[217:218], v[24:25]
	v_mul_f64 v[24:25], v[219:220], v[24:25]
	s_waitcnt vmcnt(8) lgkmcnt(0)
	v_mul_f64 v[229:230], v[2:3], v[28:29]
	v_mul_f64 v[28:29], v[4:5], v[28:29]
	v_add_f64 v[163:164], v[163:164], v[166:167]
	v_add_f64 v[221:222], v[221:222], v[168:169]
	;; [unrolled: 18-line block ×4, first 2 shown]
	ds_load_b128 v[166:169], v1 offset:1536
	v_fma_f64 v[219:220], v[219:220], v[153:154], v[223:224]
	v_fma_f64 v[153:154], v[217:218], v[153:154], -v[155:156]
	v_fma_f64 v[223:224], v[2:3], v[38:39], -v[40:41]
	v_add_f64 v[155:156], v[163:164], v[227:228]
	v_add_f64 v[163:164], v[221:222], v[225:226]
	s_waitcnt vmcnt(7) lgkmcnt(0)
	v_mul_f64 v[217:218], v[166:167], v[8:9]
	v_mul_f64 v[8:9], v[168:169], v[8:9]
	v_fma_f64 v[221:222], v[4:5], v[38:39], v[229:230]
	ds_load_b128 v[2:5], v1 offset:1552
	ds_load_b128 v[38:41], v1 offset:1568
	v_add_f64 v[153:154], v[155:156], v[153:154]
	v_add_f64 v[155:156], v[163:164], v[219:220]
	s_waitcnt vmcnt(6) lgkmcnt(1)
	v_mul_f64 v[163:164], v[2:3], v[12:13]
	v_mul_f64 v[12:13], v[4:5], v[12:13]
	v_fma_f64 v[168:169], v[168:169], v[6:7], v[217:218]
	v_fma_f64 v[6:7], v[166:167], v[6:7], -v[8:9]
	v_add_f64 v[8:9], v[153:154], v[223:224]
	v_add_f64 v[153:154], v[155:156], v[221:222]
	s_waitcnt vmcnt(5) lgkmcnt(0)
	v_mul_f64 v[155:156], v[38:39], v[16:17]
	v_mul_f64 v[16:17], v[40:41], v[16:17]
	v_fma_f64 v[163:164], v[4:5], v[10:11], v[163:164]
	v_fma_f64 v[10:11], v[2:3], v[10:11], -v[12:13]
	v_add_f64 v[12:13], v[8:9], v[6:7]
	v_add_f64 v[153:154], v[153:154], v[168:169]
	ds_load_b128 v[2:5], v1 offset:1584
	ds_load_b128 v[6:9], v1 offset:1600
	v_fma_f64 v[40:41], v[40:41], v[14:15], v[155:156]
	v_fma_f64 v[14:15], v[38:39], v[14:15], -v[16:17]
	s_waitcnt vmcnt(4) lgkmcnt(1)
	v_mul_f64 v[166:167], v[2:3], v[20:21]
	v_mul_f64 v[20:21], v[4:5], v[20:21]
	s_waitcnt vmcnt(3) lgkmcnt(0)
	v_mul_f64 v[16:17], v[6:7], v[24:25]
	v_mul_f64 v[24:25], v[8:9], v[24:25]
	v_add_f64 v[10:11], v[12:13], v[10:11]
	v_add_f64 v[12:13], v[153:154], v[163:164]
	v_fma_f64 v[38:39], v[4:5], v[18:19], v[166:167]
	v_fma_f64 v[18:19], v[2:3], v[18:19], -v[20:21]
	v_fma_f64 v[8:9], v[8:9], v[22:23], v[16:17]
	v_fma_f64 v[6:7], v[6:7], v[22:23], -v[24:25]
	v_add_f64 v[14:15], v[10:11], v[14:15]
	v_add_f64 v[20:21], v[12:13], v[40:41]
	ds_load_b128 v[2:5], v1 offset:1616
	ds_load_b128 v[10:13], v1 offset:1632
	s_waitcnt vmcnt(2) lgkmcnt(1)
	v_mul_f64 v[40:41], v[2:3], v[28:29]
	v_mul_f64 v[28:29], v[4:5], v[28:29]
	v_add_f64 v[14:15], v[14:15], v[18:19]
	v_add_f64 v[16:17], v[20:21], v[38:39]
	s_waitcnt vmcnt(1) lgkmcnt(0)
	v_mul_f64 v[18:19], v[10:11], v[32:33]
	v_mul_f64 v[20:21], v[12:13], v[32:33]
	v_fma_f64 v[22:23], v[4:5], v[26:27], v[40:41]
	v_fma_f64 v[24:25], v[2:3], v[26:27], -v[28:29]
	ds_load_b128 v[2:5], v1 offset:1648
	v_add_f64 v[6:7], v[14:15], v[6:7]
	v_add_f64 v[8:9], v[16:17], v[8:9]
	v_fma_f64 v[12:13], v[12:13], v[30:31], v[18:19]
	v_fma_f64 v[10:11], v[10:11], v[30:31], -v[20:21]
	s_waitcnt vmcnt(0) lgkmcnt(0)
	v_mul_f64 v[14:15], v[2:3], v[36:37]
	v_mul_f64 v[16:17], v[4:5], v[36:37]
	v_add_f64 v[6:7], v[6:7], v[24:25]
	v_add_f64 v[8:9], v[8:9], v[22:23]
	s_delay_alu instid0(VALU_DEP_4) | instskip(NEXT) | instid1(VALU_DEP_4)
	v_fma_f64 v[4:5], v[4:5], v[34:35], v[14:15]
	v_fma_f64 v[2:3], v[2:3], v[34:35], -v[16:17]
	s_delay_alu instid0(VALU_DEP_4) | instskip(NEXT) | instid1(VALU_DEP_4)
	v_add_f64 v[6:7], v[6:7], v[10:11]
	v_add_f64 v[8:9], v[8:9], v[12:13]
	s_delay_alu instid0(VALU_DEP_2) | instskip(NEXT) | instid1(VALU_DEP_2)
	v_add_f64 v[2:3], v[6:7], v[2:3]
	v_add_f64 v[4:5], v[8:9], v[4:5]
	s_delay_alu instid0(VALU_DEP_2) | instskip(NEXT) | instid1(VALU_DEP_2)
	v_add_f64 v[2:3], v[42:43], -v[2:3]
	v_add_f64 v[4:5], v[44:45], -v[4:5]
	scratch_store_b128 off, v[2:5], off offset:352
	v_cmpx_lt_u32_e32 21, v150
	s_cbranch_execz .LBB115_283
; %bb.282:
	scratch_load_b128 v[5:8], v181, off
	v_mov_b32_e32 v2, v1
	v_mov_b32_e32 v3, v1
	;; [unrolled: 1-line block ×3, first 2 shown]
	scratch_store_b128 off, v[1:4], off offset:336
	s_waitcnt vmcnt(0)
	ds_store_b128 v202, v[5:8]
.LBB115_283:
	s_or_b32 exec_lo, exec_lo, s2
	s_waitcnt lgkmcnt(0)
	s_waitcnt_vscnt null, 0x0
	s_barrier
	buffer_gl0_inv
	s_clause 0x8
	scratch_load_b128 v[2:5], off, off offset:352
	scratch_load_b128 v[6:9], off, off offset:368
	;; [unrolled: 1-line block ×9, first 2 shown]
	ds_load_b128 v[42:45], v1 offset:1184
	ds_load_b128 v[38:41], v1 offset:1200
	s_clause 0x1
	scratch_load_b128 v[153:156], off, off offset:336
	scratch_load_b128 v[166:169], off, off offset:496
	s_mov_b32 s2, exec_lo
	ds_load_b128 v[217:220], v1 offset:1232
	s_waitcnt vmcnt(10) lgkmcnt(2)
	v_mul_f64 v[163:164], v[44:45], v[4:5]
	v_mul_f64 v[4:5], v[42:43], v[4:5]
	s_waitcnt vmcnt(9) lgkmcnt(1)
	v_mul_f64 v[221:222], v[38:39], v[8:9]
	v_mul_f64 v[8:9], v[40:41], v[8:9]
	s_delay_alu instid0(VALU_DEP_4) | instskip(NEXT) | instid1(VALU_DEP_4)
	v_fma_f64 v[163:164], v[42:43], v[2:3], -v[163:164]
	v_fma_f64 v[223:224], v[44:45], v[2:3], v[4:5]
	ds_load_b128 v[2:5], v1 offset:1216
	scratch_load_b128 v[42:45], off, off offset:512
	v_fma_f64 v[40:41], v[40:41], v[6:7], v[221:222]
	v_fma_f64 v[38:39], v[38:39], v[6:7], -v[8:9]
	scratch_load_b128 v[6:9], off, off offset:528
	s_waitcnt vmcnt(10) lgkmcnt(0)
	v_mul_f64 v[225:226], v[2:3], v[12:13]
	v_mul_f64 v[12:13], v[4:5], v[12:13]
	v_add_f64 v[163:164], v[163:164], 0
	v_add_f64 v[221:222], v[223:224], 0
	s_waitcnt vmcnt(9)
	v_mul_f64 v[223:224], v[217:218], v[16:17]
	v_mul_f64 v[16:17], v[219:220], v[16:17]
	v_fma_f64 v[225:226], v[4:5], v[10:11], v[225:226]
	v_fma_f64 v[227:228], v[2:3], v[10:11], -v[12:13]
	ds_load_b128 v[2:5], v1 offset:1248
	scratch_load_b128 v[10:13], off, off offset:544
	v_add_f64 v[163:164], v[163:164], v[38:39]
	v_add_f64 v[221:222], v[221:222], v[40:41]
	ds_load_b128 v[38:41], v1 offset:1264
	v_fma_f64 v[219:220], v[219:220], v[14:15], v[223:224]
	v_fma_f64 v[217:218], v[217:218], v[14:15], -v[16:17]
	scratch_load_b128 v[14:17], off, off offset:560
	s_waitcnt vmcnt(10) lgkmcnt(1)
	v_mul_f64 v[229:230], v[2:3], v[20:21]
	v_mul_f64 v[20:21], v[4:5], v[20:21]
	s_waitcnt vmcnt(9) lgkmcnt(0)
	v_mul_f64 v[223:224], v[38:39], v[24:25]
	v_mul_f64 v[24:25], v[40:41], v[24:25]
	v_add_f64 v[163:164], v[163:164], v[227:228]
	v_add_f64 v[221:222], v[221:222], v[225:226]
	v_fma_f64 v[225:226], v[4:5], v[18:19], v[229:230]
	v_fma_f64 v[227:228], v[2:3], v[18:19], -v[20:21]
	ds_load_b128 v[2:5], v1 offset:1280
	scratch_load_b128 v[18:21], off, off offset:576
	v_fma_f64 v[40:41], v[40:41], v[22:23], v[223:224]
	v_fma_f64 v[38:39], v[38:39], v[22:23], -v[24:25]
	scratch_load_b128 v[22:25], off, off offset:592
	v_add_f64 v[163:164], v[163:164], v[217:218]
	v_add_f64 v[221:222], v[221:222], v[219:220]
	ds_load_b128 v[217:220], v1 offset:1296
	s_waitcnt vmcnt(10) lgkmcnt(1)
	v_mul_f64 v[229:230], v[2:3], v[28:29]
	v_mul_f64 v[28:29], v[4:5], v[28:29]
	s_waitcnt vmcnt(9) lgkmcnt(0)
	v_mul_f64 v[223:224], v[217:218], v[32:33]
	v_mul_f64 v[32:33], v[219:220], v[32:33]
	v_add_f64 v[163:164], v[163:164], v[227:228]
	v_add_f64 v[221:222], v[221:222], v[225:226]
	v_fma_f64 v[225:226], v[4:5], v[26:27], v[229:230]
	v_fma_f64 v[227:228], v[2:3], v[26:27], -v[28:29]
	ds_load_b128 v[2:5], v1 offset:1312
	scratch_load_b128 v[26:29], off, off offset:608
	v_fma_f64 v[219:220], v[219:220], v[30:31], v[223:224]
	v_fma_f64 v[217:218], v[217:218], v[30:31], -v[32:33]
	scratch_load_b128 v[30:33], off, off offset:624
	v_add_f64 v[163:164], v[163:164], v[38:39]
	v_add_f64 v[221:222], v[221:222], v[40:41]
	ds_load_b128 v[38:41], v1 offset:1328
	;; [unrolled: 18-line block ×3, first 2 shown]
	s_waitcnt vmcnt(9) lgkmcnt(1)
	v_mul_f64 v[229:230], v[2:3], v[44:45]
	v_mul_f64 v[44:45], v[4:5], v[44:45]
	v_add_f64 v[163:164], v[163:164], v[227:228]
	v_add_f64 v[168:169], v[221:222], v[225:226]
	s_waitcnt vmcnt(8) lgkmcnt(0)
	v_mul_f64 v[221:222], v[217:218], v[8:9]
	v_mul_f64 v[8:9], v[219:220], v[8:9]
	v_fma_f64 v[225:226], v[4:5], v[42:43], v[229:230]
	v_fma_f64 v[227:228], v[2:3], v[42:43], -v[44:45]
	ds_load_b128 v[2:5], v1 offset:1376
	scratch_load_b128 v[42:45], off, off offset:672
	v_add_f64 v[163:164], v[163:164], v[166:167]
	v_add_f64 v[223:224], v[168:169], v[223:224]
	ds_load_b128 v[166:169], v1 offset:1392
	s_waitcnt vmcnt(8) lgkmcnt(1)
	v_mul_f64 v[229:230], v[2:3], v[12:13]
	v_mul_f64 v[12:13], v[4:5], v[12:13]
	v_fma_f64 v[219:220], v[219:220], v[6:7], v[221:222]
	v_fma_f64 v[217:218], v[217:218], v[6:7], -v[8:9]
	scratch_load_b128 v[6:9], off, off offset:688
	v_add_f64 v[163:164], v[163:164], v[227:228]
	v_add_f64 v[221:222], v[223:224], v[225:226]
	s_waitcnt vmcnt(8) lgkmcnt(0)
	v_mul_f64 v[223:224], v[166:167], v[16:17]
	v_mul_f64 v[16:17], v[168:169], v[16:17]
	v_fma_f64 v[225:226], v[4:5], v[10:11], v[229:230]
	v_fma_f64 v[227:228], v[2:3], v[10:11], -v[12:13]
	ds_load_b128 v[2:5], v1 offset:1408
	scratch_load_b128 v[10:13], off, off offset:704
	v_add_f64 v[163:164], v[163:164], v[217:218]
	v_add_f64 v[221:222], v[221:222], v[219:220]
	ds_load_b128 v[217:220], v1 offset:1424
	s_waitcnt vmcnt(8) lgkmcnt(1)
	v_mul_f64 v[229:230], v[2:3], v[20:21]
	v_mul_f64 v[20:21], v[4:5], v[20:21]
	v_fma_f64 v[168:169], v[168:169], v[14:15], v[223:224]
	v_fma_f64 v[166:167], v[166:167], v[14:15], -v[16:17]
	scratch_load_b128 v[14:17], off, off offset:720
	s_waitcnt vmcnt(8) lgkmcnt(0)
	v_mul_f64 v[223:224], v[217:218], v[24:25]
	v_mul_f64 v[24:25], v[219:220], v[24:25]
	v_add_f64 v[163:164], v[163:164], v[227:228]
	v_add_f64 v[221:222], v[221:222], v[225:226]
	v_fma_f64 v[225:226], v[4:5], v[18:19], v[229:230]
	v_fma_f64 v[227:228], v[2:3], v[18:19], -v[20:21]
	ds_load_b128 v[2:5], v1 offset:1440
	scratch_load_b128 v[18:21], off, off offset:736
	v_fma_f64 v[219:220], v[219:220], v[22:23], v[223:224]
	v_fma_f64 v[217:218], v[217:218], v[22:23], -v[24:25]
	scratch_load_b128 v[22:25], off, off offset:752
	v_add_f64 v[163:164], v[163:164], v[166:167]
	v_add_f64 v[221:222], v[221:222], v[168:169]
	ds_load_b128 v[166:169], v1 offset:1456
	s_waitcnt vmcnt(9) lgkmcnt(1)
	v_mul_f64 v[229:230], v[2:3], v[28:29]
	v_mul_f64 v[28:29], v[4:5], v[28:29]
	s_waitcnt vmcnt(8) lgkmcnt(0)
	v_mul_f64 v[223:224], v[166:167], v[32:33]
	v_mul_f64 v[32:33], v[168:169], v[32:33]
	v_add_f64 v[163:164], v[163:164], v[227:228]
	v_add_f64 v[221:222], v[221:222], v[225:226]
	v_fma_f64 v[225:226], v[4:5], v[26:27], v[229:230]
	v_fma_f64 v[227:228], v[2:3], v[26:27], -v[28:29]
	ds_load_b128 v[2:5], v1 offset:1472
	scratch_load_b128 v[26:29], off, off offset:768
	v_fma_f64 v[168:169], v[168:169], v[30:31], v[223:224]
	v_fma_f64 v[166:167], v[166:167], v[30:31], -v[32:33]
	scratch_load_b128 v[30:33], off, off offset:784
	v_add_f64 v[163:164], v[163:164], v[217:218]
	v_add_f64 v[221:222], v[221:222], v[219:220]
	ds_load_b128 v[217:220], v1 offset:1488
	s_waitcnt vmcnt(9) lgkmcnt(1)
	v_mul_f64 v[229:230], v[2:3], v[36:37]
	v_mul_f64 v[36:37], v[4:5], v[36:37]
	s_waitcnt vmcnt(8) lgkmcnt(0)
	v_mul_f64 v[223:224], v[217:218], v[40:41]
	v_mul_f64 v[40:41], v[219:220], v[40:41]
	v_add_f64 v[163:164], v[163:164], v[227:228]
	v_add_f64 v[221:222], v[221:222], v[225:226]
	v_fma_f64 v[225:226], v[4:5], v[34:35], v[229:230]
	v_fma_f64 v[227:228], v[2:3], v[34:35], -v[36:37]
	ds_load_b128 v[2:5], v1 offset:1504
	scratch_load_b128 v[34:37], off, off offset:800
	v_fma_f64 v[219:220], v[219:220], v[38:39], v[223:224]
	v_fma_f64 v[217:218], v[217:218], v[38:39], -v[40:41]
	scratch_load_b128 v[38:41], off, off offset:816
	v_add_f64 v[163:164], v[163:164], v[166:167]
	v_add_f64 v[221:222], v[221:222], v[168:169]
	ds_load_b128 v[166:169], v1 offset:1520
	s_waitcnt vmcnt(9) lgkmcnt(1)
	v_mul_f64 v[229:230], v[2:3], v[44:45]
	v_mul_f64 v[44:45], v[4:5], v[44:45]
	s_waitcnt vmcnt(8) lgkmcnt(0)
	v_mul_f64 v[223:224], v[166:167], v[8:9]
	v_mul_f64 v[8:9], v[168:169], v[8:9]
	v_add_f64 v[163:164], v[163:164], v[227:228]
	v_add_f64 v[221:222], v[221:222], v[225:226]
	v_fma_f64 v[225:226], v[4:5], v[42:43], v[229:230]
	v_fma_f64 v[227:228], v[2:3], v[42:43], -v[44:45]
	ds_load_b128 v[2:5], v1 offset:1536
	ds_load_b128 v[42:45], v1 offset:1552
	v_fma_f64 v[168:169], v[168:169], v[6:7], v[223:224]
	v_fma_f64 v[6:7], v[166:167], v[6:7], -v[8:9]
	v_add_f64 v[163:164], v[163:164], v[217:218]
	v_add_f64 v[217:218], v[221:222], v[219:220]
	s_waitcnt vmcnt(7) lgkmcnt(1)
	v_mul_f64 v[219:220], v[2:3], v[12:13]
	v_mul_f64 v[12:13], v[4:5], v[12:13]
	s_waitcnt vmcnt(6) lgkmcnt(0)
	v_mul_f64 v[166:167], v[42:43], v[16:17]
	v_mul_f64 v[16:17], v[44:45], v[16:17]
	v_add_f64 v[8:9], v[163:164], v[227:228]
	v_add_f64 v[163:164], v[217:218], v[225:226]
	v_fma_f64 v[217:218], v[4:5], v[10:11], v[219:220]
	v_fma_f64 v[10:11], v[2:3], v[10:11], -v[12:13]
	v_fma_f64 v[44:45], v[44:45], v[14:15], v[166:167]
	v_fma_f64 v[14:15], v[42:43], v[14:15], -v[16:17]
	v_add_f64 v[12:13], v[8:9], v[6:7]
	v_add_f64 v[163:164], v[163:164], v[168:169]
	ds_load_b128 v[2:5], v1 offset:1568
	ds_load_b128 v[6:9], v1 offset:1584
	s_waitcnt vmcnt(5) lgkmcnt(1)
	v_mul_f64 v[168:169], v[2:3], v[20:21]
	v_mul_f64 v[20:21], v[4:5], v[20:21]
	s_waitcnt vmcnt(4) lgkmcnt(0)
	v_mul_f64 v[16:17], v[6:7], v[24:25]
	v_mul_f64 v[24:25], v[8:9], v[24:25]
	v_add_f64 v[10:11], v[12:13], v[10:11]
	v_add_f64 v[12:13], v[163:164], v[217:218]
	v_fma_f64 v[42:43], v[4:5], v[18:19], v[168:169]
	v_fma_f64 v[18:19], v[2:3], v[18:19], -v[20:21]
	v_fma_f64 v[8:9], v[8:9], v[22:23], v[16:17]
	v_fma_f64 v[6:7], v[6:7], v[22:23], -v[24:25]
	v_add_f64 v[14:15], v[10:11], v[14:15]
	v_add_f64 v[20:21], v[12:13], v[44:45]
	ds_load_b128 v[2:5], v1 offset:1600
	ds_load_b128 v[10:13], v1 offset:1616
	s_waitcnt vmcnt(3) lgkmcnt(1)
	v_mul_f64 v[44:45], v[2:3], v[28:29]
	v_mul_f64 v[28:29], v[4:5], v[28:29]
	v_add_f64 v[14:15], v[14:15], v[18:19]
	v_add_f64 v[16:17], v[20:21], v[42:43]
	s_waitcnt vmcnt(2) lgkmcnt(0)
	v_mul_f64 v[18:19], v[10:11], v[32:33]
	v_mul_f64 v[20:21], v[12:13], v[32:33]
	v_fma_f64 v[22:23], v[4:5], v[26:27], v[44:45]
	v_fma_f64 v[24:25], v[2:3], v[26:27], -v[28:29]
	v_add_f64 v[14:15], v[14:15], v[6:7]
	v_add_f64 v[16:17], v[16:17], v[8:9]
	ds_load_b128 v[2:5], v1 offset:1632
	ds_load_b128 v[6:9], v1 offset:1648
	v_fma_f64 v[12:13], v[12:13], v[30:31], v[18:19]
	v_fma_f64 v[10:11], v[10:11], v[30:31], -v[20:21]
	s_waitcnt vmcnt(1) lgkmcnt(1)
	v_mul_f64 v[26:27], v[2:3], v[36:37]
	v_mul_f64 v[28:29], v[4:5], v[36:37]
	s_waitcnt vmcnt(0) lgkmcnt(0)
	v_mul_f64 v[18:19], v[6:7], v[40:41]
	v_mul_f64 v[20:21], v[8:9], v[40:41]
	v_add_f64 v[14:15], v[14:15], v[24:25]
	v_add_f64 v[16:17], v[16:17], v[22:23]
	v_fma_f64 v[4:5], v[4:5], v[34:35], v[26:27]
	v_fma_f64 v[1:2], v[2:3], v[34:35], -v[28:29]
	v_fma_f64 v[8:9], v[8:9], v[38:39], v[18:19]
	v_fma_f64 v[6:7], v[6:7], v[38:39], -v[20:21]
	v_add_f64 v[10:11], v[14:15], v[10:11]
	v_add_f64 v[12:13], v[16:17], v[12:13]
	s_delay_alu instid0(VALU_DEP_2) | instskip(NEXT) | instid1(VALU_DEP_2)
	v_add_f64 v[1:2], v[10:11], v[1:2]
	v_add_f64 v[3:4], v[12:13], v[4:5]
	s_delay_alu instid0(VALU_DEP_2) | instskip(NEXT) | instid1(VALU_DEP_2)
	;; [unrolled: 3-line block ×3, first 2 shown]
	v_add_f64 v[1:2], v[153:154], -v[1:2]
	v_add_f64 v[3:4], v[155:156], -v[3:4]
	scratch_store_b128 off, v[1:4], off offset:336
	v_cmpx_lt_u32_e32 20, v150
	s_cbranch_execz .LBB115_285
; %bb.284:
	scratch_load_b128 v[1:4], v182, off
	v_mov_b32_e32 v5, 0
	s_delay_alu instid0(VALU_DEP_1)
	v_mov_b32_e32 v6, v5
	v_mov_b32_e32 v7, v5
	v_mov_b32_e32 v8, v5
	scratch_store_b128 off, v[5:8], off offset:320
	s_waitcnt vmcnt(0)
	ds_store_b128 v202, v[1:4]
.LBB115_285:
	s_or_b32 exec_lo, exec_lo, s2
	s_waitcnt lgkmcnt(0)
	s_waitcnt_vscnt null, 0x0
	s_barrier
	buffer_gl0_inv
	s_clause 0x7
	scratch_load_b128 v[2:5], off, off offset:336
	scratch_load_b128 v[6:9], off, off offset:352
	;; [unrolled: 1-line block ×8, first 2 shown]
	v_mov_b32_e32 v1, 0
	s_mov_b32 s2, exec_lo
	ds_load_b128 v[38:41], v1 offset:1168
	s_clause 0x1
	scratch_load_b128 v[34:37], off, off offset:464
	scratch_load_b128 v[42:45], off, off offset:320
	ds_load_b128 v[153:156], v1 offset:1184
	scratch_load_b128 v[166:169], off, off offset:480
	ds_load_b128 v[217:220], v1 offset:1216
	s_waitcnt vmcnt(10) lgkmcnt(2)
	v_mul_f64 v[163:164], v[40:41], v[4:5]
	v_mul_f64 v[4:5], v[38:39], v[4:5]
	s_delay_alu instid0(VALU_DEP_2) | instskip(NEXT) | instid1(VALU_DEP_2)
	v_fma_f64 v[163:164], v[38:39], v[2:3], -v[163:164]
	v_fma_f64 v[223:224], v[40:41], v[2:3], v[4:5]
	ds_load_b128 v[2:5], v1 offset:1200
	s_waitcnt vmcnt(9) lgkmcnt(2)
	v_mul_f64 v[221:222], v[153:154], v[8:9]
	v_mul_f64 v[8:9], v[155:156], v[8:9]
	scratch_load_b128 v[38:41], off, off offset:496
	s_waitcnt vmcnt(9) lgkmcnt(0)
	v_mul_f64 v[225:226], v[2:3], v[12:13]
	v_mul_f64 v[12:13], v[4:5], v[12:13]
	v_add_f64 v[163:164], v[163:164], 0
	v_fma_f64 v[155:156], v[155:156], v[6:7], v[221:222]
	v_fma_f64 v[153:154], v[153:154], v[6:7], -v[8:9]
	v_add_f64 v[221:222], v[223:224], 0
	scratch_load_b128 v[6:9], off, off offset:512
	v_fma_f64 v[225:226], v[4:5], v[10:11], v[225:226]
	v_fma_f64 v[227:228], v[2:3], v[10:11], -v[12:13]
	scratch_load_b128 v[10:13], off, off offset:528
	ds_load_b128 v[2:5], v1 offset:1232
	s_waitcnt vmcnt(10)
	v_mul_f64 v[223:224], v[217:218], v[16:17]
	v_mul_f64 v[16:17], v[219:220], v[16:17]
	v_add_f64 v[163:164], v[163:164], v[153:154]
	v_add_f64 v[221:222], v[221:222], v[155:156]
	ds_load_b128 v[153:156], v1 offset:1248
	s_waitcnt vmcnt(9) lgkmcnt(1)
	v_mul_f64 v[229:230], v[2:3], v[20:21]
	v_mul_f64 v[20:21], v[4:5], v[20:21]
	v_fma_f64 v[219:220], v[219:220], v[14:15], v[223:224]
	v_fma_f64 v[217:218], v[217:218], v[14:15], -v[16:17]
	scratch_load_b128 v[14:17], off, off offset:544
	v_add_f64 v[163:164], v[163:164], v[227:228]
	v_add_f64 v[221:222], v[221:222], v[225:226]
	v_fma_f64 v[225:226], v[4:5], v[18:19], v[229:230]
	v_fma_f64 v[227:228], v[2:3], v[18:19], -v[20:21]
	scratch_load_b128 v[18:21], off, off offset:560
	ds_load_b128 v[2:5], v1 offset:1264
	s_waitcnt vmcnt(10) lgkmcnt(1)
	v_mul_f64 v[223:224], v[153:154], v[24:25]
	v_mul_f64 v[24:25], v[155:156], v[24:25]
	s_waitcnt vmcnt(9) lgkmcnt(0)
	v_mul_f64 v[229:230], v[2:3], v[28:29]
	v_mul_f64 v[28:29], v[4:5], v[28:29]
	v_add_f64 v[163:164], v[163:164], v[217:218]
	v_add_f64 v[221:222], v[221:222], v[219:220]
	ds_load_b128 v[217:220], v1 offset:1280
	v_fma_f64 v[155:156], v[155:156], v[22:23], v[223:224]
	v_fma_f64 v[153:154], v[153:154], v[22:23], -v[24:25]
	scratch_load_b128 v[22:25], off, off offset:576
	v_add_f64 v[163:164], v[163:164], v[227:228]
	v_add_f64 v[221:222], v[221:222], v[225:226]
	v_fma_f64 v[225:226], v[4:5], v[26:27], v[229:230]
	v_fma_f64 v[227:228], v[2:3], v[26:27], -v[28:29]
	scratch_load_b128 v[26:29], off, off offset:592
	ds_load_b128 v[2:5], v1 offset:1296
	s_waitcnt vmcnt(10) lgkmcnt(1)
	v_mul_f64 v[223:224], v[217:218], v[32:33]
	v_mul_f64 v[32:33], v[219:220], v[32:33]
	s_waitcnt vmcnt(9) lgkmcnt(0)
	v_mul_f64 v[229:230], v[2:3], v[36:37]
	v_mul_f64 v[36:37], v[4:5], v[36:37]
	v_add_f64 v[163:164], v[163:164], v[153:154]
	v_add_f64 v[221:222], v[221:222], v[155:156]
	ds_load_b128 v[153:156], v1 offset:1312
	v_fma_f64 v[219:220], v[219:220], v[30:31], v[223:224]
	v_fma_f64 v[217:218], v[217:218], v[30:31], -v[32:33]
	scratch_load_b128 v[30:33], off, off offset:608
	v_add_f64 v[163:164], v[163:164], v[227:228]
	v_add_f64 v[221:222], v[221:222], v[225:226]
	v_fma_f64 v[225:226], v[4:5], v[34:35], v[229:230]
	v_fma_f64 v[227:228], v[2:3], v[34:35], -v[36:37]
	scratch_load_b128 v[34:37], off, off offset:624
	ds_load_b128 v[2:5], v1 offset:1328
	s_waitcnt vmcnt(9) lgkmcnt(1)
	v_mul_f64 v[223:224], v[153:154], v[168:169]
	v_mul_f64 v[168:169], v[155:156], v[168:169]
	v_add_f64 v[163:164], v[163:164], v[217:218]
	v_add_f64 v[221:222], v[221:222], v[219:220]
	ds_load_b128 v[217:220], v1 offset:1344
	v_fma_f64 v[223:224], v[155:156], v[166:167], v[223:224]
	v_fma_f64 v[166:167], v[153:154], v[166:167], -v[168:169]
	scratch_load_b128 v[153:156], off, off offset:640
	s_waitcnt vmcnt(9) lgkmcnt(1)
	v_mul_f64 v[229:230], v[2:3], v[40:41]
	v_mul_f64 v[40:41], v[4:5], v[40:41]
	v_add_f64 v[163:164], v[163:164], v[227:228]
	v_add_f64 v[168:169], v[221:222], v[225:226]
	s_delay_alu instid0(VALU_DEP_4) | instskip(NEXT) | instid1(VALU_DEP_4)
	v_fma_f64 v[225:226], v[4:5], v[38:39], v[229:230]
	v_fma_f64 v[227:228], v[2:3], v[38:39], -v[40:41]
	scratch_load_b128 v[38:41], off, off offset:656
	ds_load_b128 v[2:5], v1 offset:1360
	s_waitcnt vmcnt(9) lgkmcnt(1)
	v_mul_f64 v[221:222], v[217:218], v[8:9]
	v_mul_f64 v[8:9], v[219:220], v[8:9]
	v_add_f64 v[163:164], v[163:164], v[166:167]
	v_add_f64 v[223:224], v[168:169], v[223:224]
	s_waitcnt vmcnt(8) lgkmcnt(0)
	v_mul_f64 v[229:230], v[2:3], v[12:13]
	v_mul_f64 v[12:13], v[4:5], v[12:13]
	ds_load_b128 v[166:169], v1 offset:1376
	v_fma_f64 v[219:220], v[219:220], v[6:7], v[221:222]
	v_fma_f64 v[217:218], v[217:218], v[6:7], -v[8:9]
	scratch_load_b128 v[6:9], off, off offset:672
	v_add_f64 v[163:164], v[163:164], v[227:228]
	v_add_f64 v[221:222], v[223:224], v[225:226]
	v_fma_f64 v[225:226], v[4:5], v[10:11], v[229:230]
	v_fma_f64 v[227:228], v[2:3], v[10:11], -v[12:13]
	scratch_load_b128 v[10:13], off, off offset:688
	ds_load_b128 v[2:5], v1 offset:1392
	s_waitcnt vmcnt(9) lgkmcnt(1)
	v_mul_f64 v[223:224], v[166:167], v[16:17]
	v_mul_f64 v[16:17], v[168:169], v[16:17]
	s_waitcnt vmcnt(8) lgkmcnt(0)
	v_mul_f64 v[229:230], v[2:3], v[20:21]
	v_mul_f64 v[20:21], v[4:5], v[20:21]
	v_add_f64 v[163:164], v[163:164], v[217:218]
	v_add_f64 v[221:222], v[221:222], v[219:220]
	ds_load_b128 v[217:220], v1 offset:1408
	v_fma_f64 v[168:169], v[168:169], v[14:15], v[223:224]
	v_fma_f64 v[166:167], v[166:167], v[14:15], -v[16:17]
	scratch_load_b128 v[14:17], off, off offset:704
	v_add_f64 v[163:164], v[163:164], v[227:228]
	v_add_f64 v[221:222], v[221:222], v[225:226]
	v_fma_f64 v[225:226], v[4:5], v[18:19], v[229:230]
	v_fma_f64 v[227:228], v[2:3], v[18:19], -v[20:21]
	scratch_load_b128 v[18:21], off, off offset:720
	ds_load_b128 v[2:5], v1 offset:1424
	s_waitcnt vmcnt(9) lgkmcnt(1)
	v_mul_f64 v[223:224], v[217:218], v[24:25]
	v_mul_f64 v[24:25], v[219:220], v[24:25]
	s_waitcnt vmcnt(8) lgkmcnt(0)
	v_mul_f64 v[229:230], v[2:3], v[28:29]
	v_mul_f64 v[28:29], v[4:5], v[28:29]
	v_add_f64 v[163:164], v[163:164], v[166:167]
	v_add_f64 v[221:222], v[221:222], v[168:169]
	;; [unrolled: 18-line block ×5, first 2 shown]
	ds_load_b128 v[217:220], v1 offset:1536
	v_fma_f64 v[168:169], v[168:169], v[6:7], v[223:224]
	v_fma_f64 v[6:7], v[166:167], v[6:7], -v[8:9]
	s_waitcnt vmcnt(7) lgkmcnt(0)
	v_mul_f64 v[166:167], v[217:218], v[16:17]
	v_mul_f64 v[16:17], v[219:220], v[16:17]
	v_add_f64 v[8:9], v[163:164], v[227:228]
	v_add_f64 v[163:164], v[221:222], v[225:226]
	v_fma_f64 v[221:222], v[4:5], v[10:11], v[229:230]
	v_fma_f64 v[10:11], v[2:3], v[10:11], -v[12:13]
	v_fma_f64 v[166:167], v[219:220], v[14:15], v[166:167]
	v_fma_f64 v[14:15], v[217:218], v[14:15], -v[16:17]
	v_add_f64 v[12:13], v[8:9], v[6:7]
	v_add_f64 v[163:164], v[163:164], v[168:169]
	ds_load_b128 v[2:5], v1 offset:1552
	ds_load_b128 v[6:9], v1 offset:1568
	s_waitcnt vmcnt(6) lgkmcnt(1)
	v_mul_f64 v[168:169], v[2:3], v[20:21]
	v_mul_f64 v[20:21], v[4:5], v[20:21]
	s_waitcnt vmcnt(5) lgkmcnt(0)
	v_mul_f64 v[16:17], v[6:7], v[24:25]
	v_mul_f64 v[24:25], v[8:9], v[24:25]
	v_add_f64 v[10:11], v[12:13], v[10:11]
	v_add_f64 v[12:13], v[163:164], v[221:222]
	v_fma_f64 v[163:164], v[4:5], v[18:19], v[168:169]
	v_fma_f64 v[18:19], v[2:3], v[18:19], -v[20:21]
	v_fma_f64 v[8:9], v[8:9], v[22:23], v[16:17]
	v_fma_f64 v[6:7], v[6:7], v[22:23], -v[24:25]
	v_add_f64 v[14:15], v[10:11], v[14:15]
	v_add_f64 v[20:21], v[12:13], v[166:167]
	ds_load_b128 v[2:5], v1 offset:1584
	ds_load_b128 v[10:13], v1 offset:1600
	s_waitcnt vmcnt(4) lgkmcnt(1)
	v_mul_f64 v[166:167], v[2:3], v[28:29]
	v_mul_f64 v[28:29], v[4:5], v[28:29]
	v_add_f64 v[14:15], v[14:15], v[18:19]
	v_add_f64 v[16:17], v[20:21], v[163:164]
	s_waitcnt vmcnt(3) lgkmcnt(0)
	v_mul_f64 v[18:19], v[10:11], v[32:33]
	v_mul_f64 v[20:21], v[12:13], v[32:33]
	v_fma_f64 v[22:23], v[4:5], v[26:27], v[166:167]
	v_fma_f64 v[24:25], v[2:3], v[26:27], -v[28:29]
	v_add_f64 v[14:15], v[14:15], v[6:7]
	v_add_f64 v[16:17], v[16:17], v[8:9]
	ds_load_b128 v[2:5], v1 offset:1616
	ds_load_b128 v[6:9], v1 offset:1632
	v_fma_f64 v[12:13], v[12:13], v[30:31], v[18:19]
	v_fma_f64 v[10:11], v[10:11], v[30:31], -v[20:21]
	s_waitcnt vmcnt(2) lgkmcnt(1)
	v_mul_f64 v[26:27], v[2:3], v[36:37]
	v_mul_f64 v[28:29], v[4:5], v[36:37]
	s_waitcnt vmcnt(1) lgkmcnt(0)
	v_mul_f64 v[18:19], v[6:7], v[155:156]
	v_mul_f64 v[20:21], v[8:9], v[155:156]
	v_add_f64 v[14:15], v[14:15], v[24:25]
	v_add_f64 v[16:17], v[16:17], v[22:23]
	v_fma_f64 v[22:23], v[4:5], v[34:35], v[26:27]
	v_fma_f64 v[24:25], v[2:3], v[34:35], -v[28:29]
	ds_load_b128 v[2:5], v1 offset:1648
	v_fma_f64 v[8:9], v[8:9], v[153:154], v[18:19]
	v_fma_f64 v[6:7], v[6:7], v[153:154], -v[20:21]
	v_add_f64 v[10:11], v[14:15], v[10:11]
	v_add_f64 v[12:13], v[16:17], v[12:13]
	s_waitcnt vmcnt(0) lgkmcnt(0)
	v_mul_f64 v[14:15], v[2:3], v[40:41]
	v_mul_f64 v[16:17], v[4:5], v[40:41]
	s_delay_alu instid0(VALU_DEP_4) | instskip(NEXT) | instid1(VALU_DEP_4)
	v_add_f64 v[10:11], v[10:11], v[24:25]
	v_add_f64 v[12:13], v[12:13], v[22:23]
	s_delay_alu instid0(VALU_DEP_4) | instskip(NEXT) | instid1(VALU_DEP_4)
	v_fma_f64 v[4:5], v[4:5], v[38:39], v[14:15]
	v_fma_f64 v[2:3], v[2:3], v[38:39], -v[16:17]
	s_delay_alu instid0(VALU_DEP_4) | instskip(NEXT) | instid1(VALU_DEP_4)
	v_add_f64 v[6:7], v[10:11], v[6:7]
	v_add_f64 v[8:9], v[12:13], v[8:9]
	s_delay_alu instid0(VALU_DEP_2) | instskip(NEXT) | instid1(VALU_DEP_2)
	v_add_f64 v[2:3], v[6:7], v[2:3]
	v_add_f64 v[4:5], v[8:9], v[4:5]
	s_delay_alu instid0(VALU_DEP_2) | instskip(NEXT) | instid1(VALU_DEP_2)
	v_add_f64 v[2:3], v[42:43], -v[2:3]
	v_add_f64 v[4:5], v[44:45], -v[4:5]
	scratch_store_b128 off, v[2:5], off offset:320
	v_cmpx_lt_u32_e32 19, v150
	s_cbranch_execz .LBB115_287
; %bb.286:
	scratch_load_b128 v[5:8], v183, off
	v_mov_b32_e32 v2, v1
	v_mov_b32_e32 v3, v1
	;; [unrolled: 1-line block ×3, first 2 shown]
	scratch_store_b128 off, v[1:4], off offset:304
	s_waitcnt vmcnt(0)
	ds_store_b128 v202, v[5:8]
.LBB115_287:
	s_or_b32 exec_lo, exec_lo, s2
	s_waitcnt lgkmcnt(0)
	s_waitcnt_vscnt null, 0x0
	s_barrier
	buffer_gl0_inv
	s_clause 0x8
	scratch_load_b128 v[2:5], off, off offset:320
	scratch_load_b128 v[6:9], off, off offset:336
	scratch_load_b128 v[10:13], off, off offset:352
	scratch_load_b128 v[14:17], off, off offset:368
	scratch_load_b128 v[18:21], off, off offset:384
	scratch_load_b128 v[22:25], off, off offset:400
	scratch_load_b128 v[26:29], off, off offset:416
	scratch_load_b128 v[30:33], off, off offset:432
	scratch_load_b128 v[34:37], off, off offset:448
	ds_load_b128 v[42:45], v1 offset:1152
	ds_load_b128 v[38:41], v1 offset:1168
	s_clause 0x1
	scratch_load_b128 v[153:156], off, off offset:304
	scratch_load_b128 v[166:169], off, off offset:464
	s_mov_b32 s2, exec_lo
	ds_load_b128 v[217:220], v1 offset:1200
	s_waitcnt vmcnt(10) lgkmcnt(2)
	v_mul_f64 v[163:164], v[44:45], v[4:5]
	v_mul_f64 v[4:5], v[42:43], v[4:5]
	s_waitcnt vmcnt(9) lgkmcnt(1)
	v_mul_f64 v[221:222], v[38:39], v[8:9]
	v_mul_f64 v[8:9], v[40:41], v[8:9]
	s_delay_alu instid0(VALU_DEP_4) | instskip(NEXT) | instid1(VALU_DEP_4)
	v_fma_f64 v[163:164], v[42:43], v[2:3], -v[163:164]
	v_fma_f64 v[223:224], v[44:45], v[2:3], v[4:5]
	ds_load_b128 v[2:5], v1 offset:1184
	scratch_load_b128 v[42:45], off, off offset:480
	v_fma_f64 v[40:41], v[40:41], v[6:7], v[221:222]
	v_fma_f64 v[38:39], v[38:39], v[6:7], -v[8:9]
	scratch_load_b128 v[6:9], off, off offset:496
	s_waitcnt vmcnt(10) lgkmcnt(0)
	v_mul_f64 v[225:226], v[2:3], v[12:13]
	v_mul_f64 v[12:13], v[4:5], v[12:13]
	v_add_f64 v[163:164], v[163:164], 0
	v_add_f64 v[221:222], v[223:224], 0
	s_waitcnt vmcnt(9)
	v_mul_f64 v[223:224], v[217:218], v[16:17]
	v_mul_f64 v[16:17], v[219:220], v[16:17]
	v_fma_f64 v[225:226], v[4:5], v[10:11], v[225:226]
	v_fma_f64 v[227:228], v[2:3], v[10:11], -v[12:13]
	ds_load_b128 v[2:5], v1 offset:1216
	scratch_load_b128 v[10:13], off, off offset:512
	v_add_f64 v[163:164], v[163:164], v[38:39]
	v_add_f64 v[221:222], v[221:222], v[40:41]
	ds_load_b128 v[38:41], v1 offset:1232
	v_fma_f64 v[219:220], v[219:220], v[14:15], v[223:224]
	v_fma_f64 v[217:218], v[217:218], v[14:15], -v[16:17]
	scratch_load_b128 v[14:17], off, off offset:528
	s_waitcnt vmcnt(10) lgkmcnt(1)
	v_mul_f64 v[229:230], v[2:3], v[20:21]
	v_mul_f64 v[20:21], v[4:5], v[20:21]
	s_waitcnt vmcnt(9) lgkmcnt(0)
	v_mul_f64 v[223:224], v[38:39], v[24:25]
	v_mul_f64 v[24:25], v[40:41], v[24:25]
	v_add_f64 v[163:164], v[163:164], v[227:228]
	v_add_f64 v[221:222], v[221:222], v[225:226]
	v_fma_f64 v[225:226], v[4:5], v[18:19], v[229:230]
	v_fma_f64 v[227:228], v[2:3], v[18:19], -v[20:21]
	ds_load_b128 v[2:5], v1 offset:1248
	scratch_load_b128 v[18:21], off, off offset:544
	v_fma_f64 v[40:41], v[40:41], v[22:23], v[223:224]
	v_fma_f64 v[38:39], v[38:39], v[22:23], -v[24:25]
	scratch_load_b128 v[22:25], off, off offset:560
	v_add_f64 v[163:164], v[163:164], v[217:218]
	v_add_f64 v[221:222], v[221:222], v[219:220]
	ds_load_b128 v[217:220], v1 offset:1264
	s_waitcnt vmcnt(10) lgkmcnt(1)
	v_mul_f64 v[229:230], v[2:3], v[28:29]
	v_mul_f64 v[28:29], v[4:5], v[28:29]
	s_waitcnt vmcnt(9) lgkmcnt(0)
	v_mul_f64 v[223:224], v[217:218], v[32:33]
	v_mul_f64 v[32:33], v[219:220], v[32:33]
	v_add_f64 v[163:164], v[163:164], v[227:228]
	v_add_f64 v[221:222], v[221:222], v[225:226]
	v_fma_f64 v[225:226], v[4:5], v[26:27], v[229:230]
	v_fma_f64 v[227:228], v[2:3], v[26:27], -v[28:29]
	ds_load_b128 v[2:5], v1 offset:1280
	scratch_load_b128 v[26:29], off, off offset:576
	v_fma_f64 v[219:220], v[219:220], v[30:31], v[223:224]
	v_fma_f64 v[217:218], v[217:218], v[30:31], -v[32:33]
	scratch_load_b128 v[30:33], off, off offset:592
	v_add_f64 v[163:164], v[163:164], v[38:39]
	v_add_f64 v[221:222], v[221:222], v[40:41]
	ds_load_b128 v[38:41], v1 offset:1296
	;; [unrolled: 18-line block ×3, first 2 shown]
	s_waitcnt vmcnt(9) lgkmcnt(1)
	v_mul_f64 v[229:230], v[2:3], v[44:45]
	v_mul_f64 v[44:45], v[4:5], v[44:45]
	v_add_f64 v[163:164], v[163:164], v[227:228]
	v_add_f64 v[168:169], v[221:222], v[225:226]
	s_waitcnt vmcnt(8) lgkmcnt(0)
	v_mul_f64 v[221:222], v[217:218], v[8:9]
	v_mul_f64 v[8:9], v[219:220], v[8:9]
	v_fma_f64 v[225:226], v[4:5], v[42:43], v[229:230]
	v_fma_f64 v[227:228], v[2:3], v[42:43], -v[44:45]
	ds_load_b128 v[2:5], v1 offset:1344
	scratch_load_b128 v[42:45], off, off offset:640
	v_add_f64 v[163:164], v[163:164], v[166:167]
	v_add_f64 v[223:224], v[168:169], v[223:224]
	ds_load_b128 v[166:169], v1 offset:1360
	s_waitcnt vmcnt(8) lgkmcnt(1)
	v_mul_f64 v[229:230], v[2:3], v[12:13]
	v_mul_f64 v[12:13], v[4:5], v[12:13]
	v_fma_f64 v[219:220], v[219:220], v[6:7], v[221:222]
	v_fma_f64 v[217:218], v[217:218], v[6:7], -v[8:9]
	scratch_load_b128 v[6:9], off, off offset:656
	v_add_f64 v[163:164], v[163:164], v[227:228]
	v_add_f64 v[221:222], v[223:224], v[225:226]
	s_waitcnt vmcnt(8) lgkmcnt(0)
	v_mul_f64 v[223:224], v[166:167], v[16:17]
	v_mul_f64 v[16:17], v[168:169], v[16:17]
	v_fma_f64 v[225:226], v[4:5], v[10:11], v[229:230]
	v_fma_f64 v[227:228], v[2:3], v[10:11], -v[12:13]
	ds_load_b128 v[2:5], v1 offset:1376
	scratch_load_b128 v[10:13], off, off offset:672
	v_add_f64 v[163:164], v[163:164], v[217:218]
	v_add_f64 v[221:222], v[221:222], v[219:220]
	ds_load_b128 v[217:220], v1 offset:1392
	s_waitcnt vmcnt(8) lgkmcnt(1)
	v_mul_f64 v[229:230], v[2:3], v[20:21]
	v_mul_f64 v[20:21], v[4:5], v[20:21]
	v_fma_f64 v[168:169], v[168:169], v[14:15], v[223:224]
	v_fma_f64 v[166:167], v[166:167], v[14:15], -v[16:17]
	scratch_load_b128 v[14:17], off, off offset:688
	s_waitcnt vmcnt(8) lgkmcnt(0)
	v_mul_f64 v[223:224], v[217:218], v[24:25]
	v_mul_f64 v[24:25], v[219:220], v[24:25]
	v_add_f64 v[163:164], v[163:164], v[227:228]
	v_add_f64 v[221:222], v[221:222], v[225:226]
	v_fma_f64 v[225:226], v[4:5], v[18:19], v[229:230]
	v_fma_f64 v[227:228], v[2:3], v[18:19], -v[20:21]
	ds_load_b128 v[2:5], v1 offset:1408
	scratch_load_b128 v[18:21], off, off offset:704
	v_fma_f64 v[219:220], v[219:220], v[22:23], v[223:224]
	v_fma_f64 v[217:218], v[217:218], v[22:23], -v[24:25]
	scratch_load_b128 v[22:25], off, off offset:720
	v_add_f64 v[163:164], v[163:164], v[166:167]
	v_add_f64 v[221:222], v[221:222], v[168:169]
	ds_load_b128 v[166:169], v1 offset:1424
	s_waitcnt vmcnt(9) lgkmcnt(1)
	v_mul_f64 v[229:230], v[2:3], v[28:29]
	v_mul_f64 v[28:29], v[4:5], v[28:29]
	s_waitcnt vmcnt(8) lgkmcnt(0)
	v_mul_f64 v[223:224], v[166:167], v[32:33]
	v_mul_f64 v[32:33], v[168:169], v[32:33]
	v_add_f64 v[163:164], v[163:164], v[227:228]
	v_add_f64 v[221:222], v[221:222], v[225:226]
	v_fma_f64 v[225:226], v[4:5], v[26:27], v[229:230]
	v_fma_f64 v[227:228], v[2:3], v[26:27], -v[28:29]
	ds_load_b128 v[2:5], v1 offset:1440
	scratch_load_b128 v[26:29], off, off offset:736
	v_fma_f64 v[168:169], v[168:169], v[30:31], v[223:224]
	v_fma_f64 v[166:167], v[166:167], v[30:31], -v[32:33]
	scratch_load_b128 v[30:33], off, off offset:752
	v_add_f64 v[163:164], v[163:164], v[217:218]
	v_add_f64 v[221:222], v[221:222], v[219:220]
	ds_load_b128 v[217:220], v1 offset:1456
	s_waitcnt vmcnt(9) lgkmcnt(1)
	v_mul_f64 v[229:230], v[2:3], v[36:37]
	v_mul_f64 v[36:37], v[4:5], v[36:37]
	;; [unrolled: 18-line block ×4, first 2 shown]
	s_waitcnt vmcnt(8) lgkmcnt(0)
	v_mul_f64 v[223:224], v[217:218], v[16:17]
	v_mul_f64 v[16:17], v[219:220], v[16:17]
	v_add_f64 v[163:164], v[163:164], v[227:228]
	v_add_f64 v[221:222], v[221:222], v[225:226]
	v_fma_f64 v[225:226], v[4:5], v[10:11], v[229:230]
	v_fma_f64 v[227:228], v[2:3], v[10:11], -v[12:13]
	ds_load_b128 v[2:5], v1 offset:1536
	ds_load_b128 v[10:13], v1 offset:1552
	v_fma_f64 v[219:220], v[219:220], v[14:15], v[223:224]
	v_fma_f64 v[14:15], v[217:218], v[14:15], -v[16:17]
	v_add_f64 v[163:164], v[163:164], v[166:167]
	v_add_f64 v[166:167], v[221:222], v[168:169]
	s_waitcnt vmcnt(7) lgkmcnt(1)
	v_mul_f64 v[168:169], v[2:3], v[20:21]
	v_mul_f64 v[20:21], v[4:5], v[20:21]
	s_delay_alu instid0(VALU_DEP_4) | instskip(NEXT) | instid1(VALU_DEP_4)
	v_add_f64 v[16:17], v[163:164], v[227:228]
	v_add_f64 v[163:164], v[166:167], v[225:226]
	s_waitcnt vmcnt(6) lgkmcnt(0)
	v_mul_f64 v[166:167], v[10:11], v[24:25]
	v_mul_f64 v[24:25], v[12:13], v[24:25]
	v_fma_f64 v[168:169], v[4:5], v[18:19], v[168:169]
	v_fma_f64 v[18:19], v[2:3], v[18:19], -v[20:21]
	v_add_f64 v[20:21], v[16:17], v[14:15]
	v_add_f64 v[163:164], v[163:164], v[219:220]
	ds_load_b128 v[2:5], v1 offset:1568
	ds_load_b128 v[14:17], v1 offset:1584
	v_fma_f64 v[12:13], v[12:13], v[22:23], v[166:167]
	v_fma_f64 v[10:11], v[10:11], v[22:23], -v[24:25]
	s_waitcnt vmcnt(5) lgkmcnt(1)
	v_mul_f64 v[217:218], v[2:3], v[28:29]
	v_mul_f64 v[28:29], v[4:5], v[28:29]
	s_waitcnt vmcnt(4) lgkmcnt(0)
	v_mul_f64 v[22:23], v[14:15], v[32:33]
	v_mul_f64 v[24:25], v[16:17], v[32:33]
	v_add_f64 v[18:19], v[20:21], v[18:19]
	v_add_f64 v[20:21], v[163:164], v[168:169]
	v_fma_f64 v[32:33], v[4:5], v[26:27], v[217:218]
	v_fma_f64 v[26:27], v[2:3], v[26:27], -v[28:29]
	v_fma_f64 v[16:17], v[16:17], v[30:31], v[22:23]
	v_fma_f64 v[14:15], v[14:15], v[30:31], -v[24:25]
	v_add_f64 v[18:19], v[18:19], v[10:11]
	v_add_f64 v[20:21], v[20:21], v[12:13]
	ds_load_b128 v[2:5], v1 offset:1600
	ds_load_b128 v[10:13], v1 offset:1616
	s_waitcnt vmcnt(3) lgkmcnt(1)
	v_mul_f64 v[28:29], v[2:3], v[36:37]
	v_mul_f64 v[36:37], v[4:5], v[36:37]
	s_waitcnt vmcnt(2) lgkmcnt(0)
	v_mul_f64 v[22:23], v[10:11], v[40:41]
	v_mul_f64 v[24:25], v[12:13], v[40:41]
	v_add_f64 v[18:19], v[18:19], v[26:27]
	v_add_f64 v[20:21], v[20:21], v[32:33]
	v_fma_f64 v[26:27], v[4:5], v[34:35], v[28:29]
	v_fma_f64 v[28:29], v[2:3], v[34:35], -v[36:37]
	v_fma_f64 v[12:13], v[12:13], v[38:39], v[22:23]
	v_fma_f64 v[10:11], v[10:11], v[38:39], -v[24:25]
	v_add_f64 v[18:19], v[18:19], v[14:15]
	v_add_f64 v[20:21], v[20:21], v[16:17]
	ds_load_b128 v[2:5], v1 offset:1632
	ds_load_b128 v[14:17], v1 offset:1648
	s_waitcnt vmcnt(1) lgkmcnt(1)
	v_mul_f64 v[30:31], v[2:3], v[44:45]
	v_mul_f64 v[32:33], v[4:5], v[44:45]
	s_waitcnt vmcnt(0) lgkmcnt(0)
	v_mul_f64 v[22:23], v[14:15], v[8:9]
	v_mul_f64 v[8:9], v[16:17], v[8:9]
	v_add_f64 v[18:19], v[18:19], v[28:29]
	v_add_f64 v[20:21], v[20:21], v[26:27]
	v_fma_f64 v[4:5], v[4:5], v[42:43], v[30:31]
	v_fma_f64 v[1:2], v[2:3], v[42:43], -v[32:33]
	v_fma_f64 v[16:17], v[16:17], v[6:7], v[22:23]
	v_fma_f64 v[6:7], v[14:15], v[6:7], -v[8:9]
	v_add_f64 v[10:11], v[18:19], v[10:11]
	v_add_f64 v[12:13], v[20:21], v[12:13]
	s_delay_alu instid0(VALU_DEP_2) | instskip(NEXT) | instid1(VALU_DEP_2)
	v_add_f64 v[1:2], v[10:11], v[1:2]
	v_add_f64 v[3:4], v[12:13], v[4:5]
	s_delay_alu instid0(VALU_DEP_2) | instskip(NEXT) | instid1(VALU_DEP_2)
	v_add_f64 v[1:2], v[1:2], v[6:7]
	v_add_f64 v[3:4], v[3:4], v[16:17]
	s_delay_alu instid0(VALU_DEP_2) | instskip(NEXT) | instid1(VALU_DEP_2)
	v_add_f64 v[1:2], v[153:154], -v[1:2]
	v_add_f64 v[3:4], v[155:156], -v[3:4]
	scratch_store_b128 off, v[1:4], off offset:304
	v_cmpx_lt_u32_e32 18, v150
	s_cbranch_execz .LBB115_289
; %bb.288:
	scratch_load_b128 v[1:4], v184, off
	v_mov_b32_e32 v5, 0
	s_delay_alu instid0(VALU_DEP_1)
	v_mov_b32_e32 v6, v5
	v_mov_b32_e32 v7, v5
	;; [unrolled: 1-line block ×3, first 2 shown]
	scratch_store_b128 off, v[5:8], off offset:288
	s_waitcnt vmcnt(0)
	ds_store_b128 v202, v[1:4]
.LBB115_289:
	s_or_b32 exec_lo, exec_lo, s2
	s_waitcnt lgkmcnt(0)
	s_waitcnt_vscnt null, 0x0
	s_barrier
	buffer_gl0_inv
	s_clause 0x7
	scratch_load_b128 v[2:5], off, off offset:304
	scratch_load_b128 v[6:9], off, off offset:320
	;; [unrolled: 1-line block ×8, first 2 shown]
	v_mov_b32_e32 v1, 0
	s_mov_b32 s2, exec_lo
	ds_load_b128 v[38:41], v1 offset:1136
	s_clause 0x1
	scratch_load_b128 v[34:37], off, off offset:432
	scratch_load_b128 v[42:45], off, off offset:288
	ds_load_b128 v[153:156], v1 offset:1152
	scratch_load_b128 v[166:169], off, off offset:448
	ds_load_b128 v[217:220], v1 offset:1184
	s_waitcnt vmcnt(10) lgkmcnt(2)
	v_mul_f64 v[163:164], v[40:41], v[4:5]
	v_mul_f64 v[4:5], v[38:39], v[4:5]
	s_delay_alu instid0(VALU_DEP_2) | instskip(NEXT) | instid1(VALU_DEP_2)
	v_fma_f64 v[163:164], v[38:39], v[2:3], -v[163:164]
	v_fma_f64 v[223:224], v[40:41], v[2:3], v[4:5]
	ds_load_b128 v[2:5], v1 offset:1168
	s_waitcnt vmcnt(9) lgkmcnt(2)
	v_mul_f64 v[221:222], v[153:154], v[8:9]
	v_mul_f64 v[8:9], v[155:156], v[8:9]
	scratch_load_b128 v[38:41], off, off offset:464
	s_waitcnt vmcnt(9) lgkmcnt(0)
	v_mul_f64 v[225:226], v[2:3], v[12:13]
	v_mul_f64 v[12:13], v[4:5], v[12:13]
	v_add_f64 v[163:164], v[163:164], 0
	v_fma_f64 v[155:156], v[155:156], v[6:7], v[221:222]
	v_fma_f64 v[153:154], v[153:154], v[6:7], -v[8:9]
	v_add_f64 v[221:222], v[223:224], 0
	scratch_load_b128 v[6:9], off, off offset:480
	v_fma_f64 v[225:226], v[4:5], v[10:11], v[225:226]
	v_fma_f64 v[227:228], v[2:3], v[10:11], -v[12:13]
	scratch_load_b128 v[10:13], off, off offset:496
	ds_load_b128 v[2:5], v1 offset:1200
	s_waitcnt vmcnt(10)
	v_mul_f64 v[223:224], v[217:218], v[16:17]
	v_mul_f64 v[16:17], v[219:220], v[16:17]
	v_add_f64 v[163:164], v[163:164], v[153:154]
	v_add_f64 v[221:222], v[221:222], v[155:156]
	ds_load_b128 v[153:156], v1 offset:1216
	s_waitcnt vmcnt(9) lgkmcnt(1)
	v_mul_f64 v[229:230], v[2:3], v[20:21]
	v_mul_f64 v[20:21], v[4:5], v[20:21]
	v_fma_f64 v[219:220], v[219:220], v[14:15], v[223:224]
	v_fma_f64 v[217:218], v[217:218], v[14:15], -v[16:17]
	scratch_load_b128 v[14:17], off, off offset:512
	v_add_f64 v[163:164], v[163:164], v[227:228]
	v_add_f64 v[221:222], v[221:222], v[225:226]
	v_fma_f64 v[225:226], v[4:5], v[18:19], v[229:230]
	v_fma_f64 v[227:228], v[2:3], v[18:19], -v[20:21]
	scratch_load_b128 v[18:21], off, off offset:528
	ds_load_b128 v[2:5], v1 offset:1232
	s_waitcnt vmcnt(10) lgkmcnt(1)
	v_mul_f64 v[223:224], v[153:154], v[24:25]
	v_mul_f64 v[24:25], v[155:156], v[24:25]
	s_waitcnt vmcnt(9) lgkmcnt(0)
	v_mul_f64 v[229:230], v[2:3], v[28:29]
	v_mul_f64 v[28:29], v[4:5], v[28:29]
	v_add_f64 v[163:164], v[163:164], v[217:218]
	v_add_f64 v[221:222], v[221:222], v[219:220]
	ds_load_b128 v[217:220], v1 offset:1248
	v_fma_f64 v[155:156], v[155:156], v[22:23], v[223:224]
	v_fma_f64 v[153:154], v[153:154], v[22:23], -v[24:25]
	scratch_load_b128 v[22:25], off, off offset:544
	v_add_f64 v[163:164], v[163:164], v[227:228]
	v_add_f64 v[221:222], v[221:222], v[225:226]
	v_fma_f64 v[225:226], v[4:5], v[26:27], v[229:230]
	v_fma_f64 v[227:228], v[2:3], v[26:27], -v[28:29]
	scratch_load_b128 v[26:29], off, off offset:560
	ds_load_b128 v[2:5], v1 offset:1264
	s_waitcnt vmcnt(10) lgkmcnt(1)
	v_mul_f64 v[223:224], v[217:218], v[32:33]
	v_mul_f64 v[32:33], v[219:220], v[32:33]
	s_waitcnt vmcnt(9) lgkmcnt(0)
	v_mul_f64 v[229:230], v[2:3], v[36:37]
	v_mul_f64 v[36:37], v[4:5], v[36:37]
	v_add_f64 v[163:164], v[163:164], v[153:154]
	v_add_f64 v[221:222], v[221:222], v[155:156]
	ds_load_b128 v[153:156], v1 offset:1280
	v_fma_f64 v[219:220], v[219:220], v[30:31], v[223:224]
	v_fma_f64 v[217:218], v[217:218], v[30:31], -v[32:33]
	scratch_load_b128 v[30:33], off, off offset:576
	v_add_f64 v[163:164], v[163:164], v[227:228]
	v_add_f64 v[221:222], v[221:222], v[225:226]
	v_fma_f64 v[225:226], v[4:5], v[34:35], v[229:230]
	v_fma_f64 v[227:228], v[2:3], v[34:35], -v[36:37]
	scratch_load_b128 v[34:37], off, off offset:592
	ds_load_b128 v[2:5], v1 offset:1296
	s_waitcnt vmcnt(9) lgkmcnt(1)
	v_mul_f64 v[223:224], v[153:154], v[168:169]
	v_mul_f64 v[168:169], v[155:156], v[168:169]
	v_add_f64 v[163:164], v[163:164], v[217:218]
	v_add_f64 v[221:222], v[221:222], v[219:220]
	ds_load_b128 v[217:220], v1 offset:1312
	v_fma_f64 v[223:224], v[155:156], v[166:167], v[223:224]
	v_fma_f64 v[166:167], v[153:154], v[166:167], -v[168:169]
	scratch_load_b128 v[153:156], off, off offset:608
	s_waitcnt vmcnt(9) lgkmcnt(1)
	v_mul_f64 v[229:230], v[2:3], v[40:41]
	v_mul_f64 v[40:41], v[4:5], v[40:41]
	v_add_f64 v[163:164], v[163:164], v[227:228]
	v_add_f64 v[168:169], v[221:222], v[225:226]
	s_delay_alu instid0(VALU_DEP_4) | instskip(NEXT) | instid1(VALU_DEP_4)
	v_fma_f64 v[225:226], v[4:5], v[38:39], v[229:230]
	v_fma_f64 v[227:228], v[2:3], v[38:39], -v[40:41]
	scratch_load_b128 v[38:41], off, off offset:624
	ds_load_b128 v[2:5], v1 offset:1328
	s_waitcnt vmcnt(9) lgkmcnt(1)
	v_mul_f64 v[221:222], v[217:218], v[8:9]
	v_mul_f64 v[8:9], v[219:220], v[8:9]
	v_add_f64 v[163:164], v[163:164], v[166:167]
	v_add_f64 v[223:224], v[168:169], v[223:224]
	s_waitcnt vmcnt(8) lgkmcnt(0)
	v_mul_f64 v[229:230], v[2:3], v[12:13]
	v_mul_f64 v[12:13], v[4:5], v[12:13]
	ds_load_b128 v[166:169], v1 offset:1344
	v_fma_f64 v[219:220], v[219:220], v[6:7], v[221:222]
	v_fma_f64 v[217:218], v[217:218], v[6:7], -v[8:9]
	scratch_load_b128 v[6:9], off, off offset:640
	v_add_f64 v[163:164], v[163:164], v[227:228]
	v_add_f64 v[221:222], v[223:224], v[225:226]
	v_fma_f64 v[225:226], v[4:5], v[10:11], v[229:230]
	v_fma_f64 v[227:228], v[2:3], v[10:11], -v[12:13]
	scratch_load_b128 v[10:13], off, off offset:656
	ds_load_b128 v[2:5], v1 offset:1360
	s_waitcnt vmcnt(9) lgkmcnt(1)
	v_mul_f64 v[223:224], v[166:167], v[16:17]
	v_mul_f64 v[16:17], v[168:169], v[16:17]
	s_waitcnt vmcnt(8) lgkmcnt(0)
	v_mul_f64 v[229:230], v[2:3], v[20:21]
	v_mul_f64 v[20:21], v[4:5], v[20:21]
	v_add_f64 v[163:164], v[163:164], v[217:218]
	v_add_f64 v[221:222], v[221:222], v[219:220]
	ds_load_b128 v[217:220], v1 offset:1376
	v_fma_f64 v[168:169], v[168:169], v[14:15], v[223:224]
	v_fma_f64 v[166:167], v[166:167], v[14:15], -v[16:17]
	scratch_load_b128 v[14:17], off, off offset:672
	v_add_f64 v[163:164], v[163:164], v[227:228]
	v_add_f64 v[221:222], v[221:222], v[225:226]
	v_fma_f64 v[225:226], v[4:5], v[18:19], v[229:230]
	v_fma_f64 v[227:228], v[2:3], v[18:19], -v[20:21]
	scratch_load_b128 v[18:21], off, off offset:688
	ds_load_b128 v[2:5], v1 offset:1392
	s_waitcnt vmcnt(9) lgkmcnt(1)
	v_mul_f64 v[223:224], v[217:218], v[24:25]
	v_mul_f64 v[24:25], v[219:220], v[24:25]
	s_waitcnt vmcnt(8) lgkmcnt(0)
	v_mul_f64 v[229:230], v[2:3], v[28:29]
	v_mul_f64 v[28:29], v[4:5], v[28:29]
	v_add_f64 v[163:164], v[163:164], v[166:167]
	v_add_f64 v[221:222], v[221:222], v[168:169]
	;; [unrolled: 18-line block ×6, first 2 shown]
	ds_load_b128 v[166:169], v1 offset:1536
	v_fma_f64 v[219:220], v[219:220], v[14:15], v[223:224]
	v_fma_f64 v[14:15], v[217:218], v[14:15], -v[16:17]
	s_waitcnt vmcnt(7) lgkmcnt(0)
	v_mul_f64 v[217:218], v[166:167], v[24:25]
	v_mul_f64 v[24:25], v[168:169], v[24:25]
	v_add_f64 v[16:17], v[163:164], v[227:228]
	v_add_f64 v[163:164], v[221:222], v[225:226]
	v_fma_f64 v[221:222], v[4:5], v[18:19], v[229:230]
	v_fma_f64 v[18:19], v[2:3], v[18:19], -v[20:21]
	v_fma_f64 v[168:169], v[168:169], v[22:23], v[217:218]
	v_fma_f64 v[22:23], v[166:167], v[22:23], -v[24:25]
	v_add_f64 v[20:21], v[16:17], v[14:15]
	v_add_f64 v[163:164], v[163:164], v[219:220]
	ds_load_b128 v[2:5], v1 offset:1552
	ds_load_b128 v[14:17], v1 offset:1568
	s_waitcnt vmcnt(6) lgkmcnt(1)
	v_mul_f64 v[219:220], v[2:3], v[28:29]
	v_mul_f64 v[28:29], v[4:5], v[28:29]
	s_waitcnt vmcnt(5) lgkmcnt(0)
	v_mul_f64 v[24:25], v[14:15], v[32:33]
	v_mul_f64 v[32:33], v[16:17], v[32:33]
	v_add_f64 v[18:19], v[20:21], v[18:19]
	v_add_f64 v[20:21], v[163:164], v[221:222]
	v_fma_f64 v[163:164], v[4:5], v[26:27], v[219:220]
	v_fma_f64 v[26:27], v[2:3], v[26:27], -v[28:29]
	v_fma_f64 v[16:17], v[16:17], v[30:31], v[24:25]
	v_fma_f64 v[14:15], v[14:15], v[30:31], -v[32:33]
	v_add_f64 v[22:23], v[18:19], v[22:23]
	v_add_f64 v[28:29], v[20:21], v[168:169]
	ds_load_b128 v[2:5], v1 offset:1584
	ds_load_b128 v[18:21], v1 offset:1600
	s_waitcnt vmcnt(4) lgkmcnt(1)
	v_mul_f64 v[166:167], v[2:3], v[36:37]
	v_mul_f64 v[36:37], v[4:5], v[36:37]
	v_add_f64 v[22:23], v[22:23], v[26:27]
	v_add_f64 v[24:25], v[28:29], v[163:164]
	s_waitcnt vmcnt(3) lgkmcnt(0)
	v_mul_f64 v[26:27], v[18:19], v[155:156]
	v_mul_f64 v[28:29], v[20:21], v[155:156]
	v_fma_f64 v[30:31], v[4:5], v[34:35], v[166:167]
	v_fma_f64 v[32:33], v[2:3], v[34:35], -v[36:37]
	v_add_f64 v[22:23], v[22:23], v[14:15]
	v_add_f64 v[24:25], v[24:25], v[16:17]
	ds_load_b128 v[2:5], v1 offset:1616
	ds_load_b128 v[14:17], v1 offset:1632
	v_fma_f64 v[20:21], v[20:21], v[153:154], v[26:27]
	v_fma_f64 v[18:19], v[18:19], v[153:154], -v[28:29]
	s_waitcnt vmcnt(2) lgkmcnt(1)
	v_mul_f64 v[34:35], v[2:3], v[40:41]
	v_mul_f64 v[36:37], v[4:5], v[40:41]
	s_waitcnt vmcnt(1) lgkmcnt(0)
	v_mul_f64 v[26:27], v[14:15], v[8:9]
	v_mul_f64 v[8:9], v[16:17], v[8:9]
	v_add_f64 v[22:23], v[22:23], v[32:33]
	v_add_f64 v[24:25], v[24:25], v[30:31]
	v_fma_f64 v[28:29], v[4:5], v[38:39], v[34:35]
	v_fma_f64 v[30:31], v[2:3], v[38:39], -v[36:37]
	ds_load_b128 v[2:5], v1 offset:1648
	v_fma_f64 v[16:17], v[16:17], v[6:7], v[26:27]
	v_fma_f64 v[6:7], v[14:15], v[6:7], -v[8:9]
	v_add_f64 v[18:19], v[22:23], v[18:19]
	v_add_f64 v[20:21], v[24:25], v[20:21]
	s_waitcnt vmcnt(0) lgkmcnt(0)
	v_mul_f64 v[22:23], v[2:3], v[12:13]
	v_mul_f64 v[12:13], v[4:5], v[12:13]
	s_delay_alu instid0(VALU_DEP_4) | instskip(NEXT) | instid1(VALU_DEP_4)
	v_add_f64 v[8:9], v[18:19], v[30:31]
	v_add_f64 v[14:15], v[20:21], v[28:29]
	s_delay_alu instid0(VALU_DEP_4) | instskip(NEXT) | instid1(VALU_DEP_4)
	v_fma_f64 v[4:5], v[4:5], v[10:11], v[22:23]
	v_fma_f64 v[2:3], v[2:3], v[10:11], -v[12:13]
	s_delay_alu instid0(VALU_DEP_4) | instskip(NEXT) | instid1(VALU_DEP_4)
	v_add_f64 v[6:7], v[8:9], v[6:7]
	v_add_f64 v[8:9], v[14:15], v[16:17]
	s_delay_alu instid0(VALU_DEP_2) | instskip(NEXT) | instid1(VALU_DEP_2)
	v_add_f64 v[2:3], v[6:7], v[2:3]
	v_add_f64 v[4:5], v[8:9], v[4:5]
	s_delay_alu instid0(VALU_DEP_2) | instskip(NEXT) | instid1(VALU_DEP_2)
	v_add_f64 v[2:3], v[42:43], -v[2:3]
	v_add_f64 v[4:5], v[44:45], -v[4:5]
	scratch_store_b128 off, v[2:5], off offset:288
	v_cmpx_lt_u32_e32 17, v150
	s_cbranch_execz .LBB115_291
; %bb.290:
	scratch_load_b128 v[5:8], v185, off
	v_mov_b32_e32 v2, v1
	v_mov_b32_e32 v3, v1
	;; [unrolled: 1-line block ×3, first 2 shown]
	scratch_store_b128 off, v[1:4], off offset:272
	s_waitcnt vmcnt(0)
	ds_store_b128 v202, v[5:8]
.LBB115_291:
	s_or_b32 exec_lo, exec_lo, s2
	s_waitcnt lgkmcnt(0)
	s_waitcnt_vscnt null, 0x0
	s_barrier
	buffer_gl0_inv
	s_clause 0x8
	scratch_load_b128 v[2:5], off, off offset:288
	scratch_load_b128 v[6:9], off, off offset:304
	;; [unrolled: 1-line block ×9, first 2 shown]
	ds_load_b128 v[42:45], v1 offset:1120
	ds_load_b128 v[38:41], v1 offset:1136
	s_clause 0x1
	scratch_load_b128 v[153:156], off, off offset:272
	scratch_load_b128 v[166:169], off, off offset:432
	s_mov_b32 s2, exec_lo
	ds_load_b128 v[217:220], v1 offset:1168
	s_waitcnt vmcnt(10) lgkmcnt(2)
	v_mul_f64 v[163:164], v[44:45], v[4:5]
	v_mul_f64 v[4:5], v[42:43], v[4:5]
	s_waitcnt vmcnt(9) lgkmcnt(1)
	v_mul_f64 v[221:222], v[38:39], v[8:9]
	v_mul_f64 v[8:9], v[40:41], v[8:9]
	s_delay_alu instid0(VALU_DEP_4) | instskip(NEXT) | instid1(VALU_DEP_4)
	v_fma_f64 v[163:164], v[42:43], v[2:3], -v[163:164]
	v_fma_f64 v[223:224], v[44:45], v[2:3], v[4:5]
	ds_load_b128 v[2:5], v1 offset:1152
	scratch_load_b128 v[42:45], off, off offset:448
	v_fma_f64 v[40:41], v[40:41], v[6:7], v[221:222]
	v_fma_f64 v[38:39], v[38:39], v[6:7], -v[8:9]
	scratch_load_b128 v[6:9], off, off offset:464
	s_waitcnt vmcnt(10) lgkmcnt(0)
	v_mul_f64 v[225:226], v[2:3], v[12:13]
	v_mul_f64 v[12:13], v[4:5], v[12:13]
	v_add_f64 v[163:164], v[163:164], 0
	v_add_f64 v[221:222], v[223:224], 0
	s_waitcnt vmcnt(9)
	v_mul_f64 v[223:224], v[217:218], v[16:17]
	v_mul_f64 v[16:17], v[219:220], v[16:17]
	v_fma_f64 v[225:226], v[4:5], v[10:11], v[225:226]
	v_fma_f64 v[227:228], v[2:3], v[10:11], -v[12:13]
	ds_load_b128 v[2:5], v1 offset:1184
	scratch_load_b128 v[10:13], off, off offset:480
	v_add_f64 v[163:164], v[163:164], v[38:39]
	v_add_f64 v[221:222], v[221:222], v[40:41]
	ds_load_b128 v[38:41], v1 offset:1200
	v_fma_f64 v[219:220], v[219:220], v[14:15], v[223:224]
	v_fma_f64 v[217:218], v[217:218], v[14:15], -v[16:17]
	scratch_load_b128 v[14:17], off, off offset:496
	s_waitcnt vmcnt(10) lgkmcnt(1)
	v_mul_f64 v[229:230], v[2:3], v[20:21]
	v_mul_f64 v[20:21], v[4:5], v[20:21]
	s_waitcnt vmcnt(9) lgkmcnt(0)
	v_mul_f64 v[223:224], v[38:39], v[24:25]
	v_mul_f64 v[24:25], v[40:41], v[24:25]
	v_add_f64 v[163:164], v[163:164], v[227:228]
	v_add_f64 v[221:222], v[221:222], v[225:226]
	v_fma_f64 v[225:226], v[4:5], v[18:19], v[229:230]
	v_fma_f64 v[227:228], v[2:3], v[18:19], -v[20:21]
	ds_load_b128 v[2:5], v1 offset:1216
	scratch_load_b128 v[18:21], off, off offset:512
	v_fma_f64 v[40:41], v[40:41], v[22:23], v[223:224]
	v_fma_f64 v[38:39], v[38:39], v[22:23], -v[24:25]
	scratch_load_b128 v[22:25], off, off offset:528
	v_add_f64 v[163:164], v[163:164], v[217:218]
	v_add_f64 v[221:222], v[221:222], v[219:220]
	ds_load_b128 v[217:220], v1 offset:1232
	s_waitcnt vmcnt(10) lgkmcnt(1)
	v_mul_f64 v[229:230], v[2:3], v[28:29]
	v_mul_f64 v[28:29], v[4:5], v[28:29]
	s_waitcnt vmcnt(9) lgkmcnt(0)
	v_mul_f64 v[223:224], v[217:218], v[32:33]
	v_mul_f64 v[32:33], v[219:220], v[32:33]
	v_add_f64 v[163:164], v[163:164], v[227:228]
	v_add_f64 v[221:222], v[221:222], v[225:226]
	v_fma_f64 v[225:226], v[4:5], v[26:27], v[229:230]
	v_fma_f64 v[227:228], v[2:3], v[26:27], -v[28:29]
	ds_load_b128 v[2:5], v1 offset:1248
	scratch_load_b128 v[26:29], off, off offset:544
	v_fma_f64 v[219:220], v[219:220], v[30:31], v[223:224]
	v_fma_f64 v[217:218], v[217:218], v[30:31], -v[32:33]
	scratch_load_b128 v[30:33], off, off offset:560
	v_add_f64 v[163:164], v[163:164], v[38:39]
	v_add_f64 v[221:222], v[221:222], v[40:41]
	ds_load_b128 v[38:41], v1 offset:1264
	;; [unrolled: 18-line block ×3, first 2 shown]
	s_waitcnt vmcnt(9) lgkmcnt(1)
	v_mul_f64 v[229:230], v[2:3], v[44:45]
	v_mul_f64 v[44:45], v[4:5], v[44:45]
	v_add_f64 v[163:164], v[163:164], v[227:228]
	v_add_f64 v[168:169], v[221:222], v[225:226]
	s_waitcnt vmcnt(8) lgkmcnt(0)
	v_mul_f64 v[221:222], v[217:218], v[8:9]
	v_mul_f64 v[8:9], v[219:220], v[8:9]
	v_fma_f64 v[225:226], v[4:5], v[42:43], v[229:230]
	v_fma_f64 v[227:228], v[2:3], v[42:43], -v[44:45]
	ds_load_b128 v[2:5], v1 offset:1312
	scratch_load_b128 v[42:45], off, off offset:608
	v_add_f64 v[163:164], v[163:164], v[166:167]
	v_add_f64 v[223:224], v[168:169], v[223:224]
	ds_load_b128 v[166:169], v1 offset:1328
	s_waitcnt vmcnt(8) lgkmcnt(1)
	v_mul_f64 v[229:230], v[2:3], v[12:13]
	v_mul_f64 v[12:13], v[4:5], v[12:13]
	v_fma_f64 v[219:220], v[219:220], v[6:7], v[221:222]
	v_fma_f64 v[217:218], v[217:218], v[6:7], -v[8:9]
	scratch_load_b128 v[6:9], off, off offset:624
	v_add_f64 v[163:164], v[163:164], v[227:228]
	v_add_f64 v[221:222], v[223:224], v[225:226]
	s_waitcnt vmcnt(8) lgkmcnt(0)
	v_mul_f64 v[223:224], v[166:167], v[16:17]
	v_mul_f64 v[16:17], v[168:169], v[16:17]
	v_fma_f64 v[225:226], v[4:5], v[10:11], v[229:230]
	v_fma_f64 v[227:228], v[2:3], v[10:11], -v[12:13]
	ds_load_b128 v[2:5], v1 offset:1344
	scratch_load_b128 v[10:13], off, off offset:640
	v_add_f64 v[163:164], v[163:164], v[217:218]
	v_add_f64 v[221:222], v[221:222], v[219:220]
	ds_load_b128 v[217:220], v1 offset:1360
	s_waitcnt vmcnt(8) lgkmcnt(1)
	v_mul_f64 v[229:230], v[2:3], v[20:21]
	v_mul_f64 v[20:21], v[4:5], v[20:21]
	v_fma_f64 v[168:169], v[168:169], v[14:15], v[223:224]
	v_fma_f64 v[166:167], v[166:167], v[14:15], -v[16:17]
	scratch_load_b128 v[14:17], off, off offset:656
	s_waitcnt vmcnt(8) lgkmcnt(0)
	v_mul_f64 v[223:224], v[217:218], v[24:25]
	v_mul_f64 v[24:25], v[219:220], v[24:25]
	v_add_f64 v[163:164], v[163:164], v[227:228]
	v_add_f64 v[221:222], v[221:222], v[225:226]
	v_fma_f64 v[225:226], v[4:5], v[18:19], v[229:230]
	v_fma_f64 v[227:228], v[2:3], v[18:19], -v[20:21]
	ds_load_b128 v[2:5], v1 offset:1376
	scratch_load_b128 v[18:21], off, off offset:672
	v_fma_f64 v[219:220], v[219:220], v[22:23], v[223:224]
	v_fma_f64 v[217:218], v[217:218], v[22:23], -v[24:25]
	scratch_load_b128 v[22:25], off, off offset:688
	v_add_f64 v[163:164], v[163:164], v[166:167]
	v_add_f64 v[221:222], v[221:222], v[168:169]
	ds_load_b128 v[166:169], v1 offset:1392
	s_waitcnt vmcnt(9) lgkmcnt(1)
	v_mul_f64 v[229:230], v[2:3], v[28:29]
	v_mul_f64 v[28:29], v[4:5], v[28:29]
	s_waitcnt vmcnt(8) lgkmcnt(0)
	v_mul_f64 v[223:224], v[166:167], v[32:33]
	v_mul_f64 v[32:33], v[168:169], v[32:33]
	v_add_f64 v[163:164], v[163:164], v[227:228]
	v_add_f64 v[221:222], v[221:222], v[225:226]
	v_fma_f64 v[225:226], v[4:5], v[26:27], v[229:230]
	v_fma_f64 v[227:228], v[2:3], v[26:27], -v[28:29]
	ds_load_b128 v[2:5], v1 offset:1408
	scratch_load_b128 v[26:29], off, off offset:704
	v_fma_f64 v[168:169], v[168:169], v[30:31], v[223:224]
	v_fma_f64 v[166:167], v[166:167], v[30:31], -v[32:33]
	scratch_load_b128 v[30:33], off, off offset:720
	v_add_f64 v[163:164], v[163:164], v[217:218]
	v_add_f64 v[221:222], v[221:222], v[219:220]
	ds_load_b128 v[217:220], v1 offset:1424
	s_waitcnt vmcnt(9) lgkmcnt(1)
	v_mul_f64 v[229:230], v[2:3], v[36:37]
	v_mul_f64 v[36:37], v[4:5], v[36:37]
	;; [unrolled: 18-line block ×5, first 2 shown]
	s_waitcnt vmcnt(8) lgkmcnt(0)
	v_mul_f64 v[223:224], v[166:167], v[24:25]
	v_mul_f64 v[24:25], v[168:169], v[24:25]
	v_add_f64 v[163:164], v[163:164], v[227:228]
	v_add_f64 v[221:222], v[221:222], v[225:226]
	v_fma_f64 v[225:226], v[4:5], v[18:19], v[229:230]
	v_fma_f64 v[227:228], v[2:3], v[18:19], -v[20:21]
	ds_load_b128 v[2:5], v1 offset:1536
	ds_load_b128 v[18:21], v1 offset:1552
	v_fma_f64 v[168:169], v[168:169], v[22:23], v[223:224]
	v_fma_f64 v[22:23], v[166:167], v[22:23], -v[24:25]
	v_add_f64 v[163:164], v[163:164], v[217:218]
	v_add_f64 v[217:218], v[221:222], v[219:220]
	s_waitcnt vmcnt(7) lgkmcnt(1)
	v_mul_f64 v[219:220], v[2:3], v[28:29]
	v_mul_f64 v[28:29], v[4:5], v[28:29]
	s_waitcnt vmcnt(6) lgkmcnt(0)
	v_mul_f64 v[166:167], v[18:19], v[32:33]
	v_mul_f64 v[32:33], v[20:21], v[32:33]
	v_add_f64 v[24:25], v[163:164], v[227:228]
	v_add_f64 v[163:164], v[217:218], v[225:226]
	v_fma_f64 v[217:218], v[4:5], v[26:27], v[219:220]
	v_fma_f64 v[26:27], v[2:3], v[26:27], -v[28:29]
	v_fma_f64 v[20:21], v[20:21], v[30:31], v[166:167]
	v_fma_f64 v[18:19], v[18:19], v[30:31], -v[32:33]
	v_add_f64 v[28:29], v[24:25], v[22:23]
	v_add_f64 v[163:164], v[163:164], v[168:169]
	ds_load_b128 v[2:5], v1 offset:1568
	ds_load_b128 v[22:25], v1 offset:1584
	s_waitcnt vmcnt(5) lgkmcnt(1)
	v_mul_f64 v[168:169], v[2:3], v[36:37]
	v_mul_f64 v[36:37], v[4:5], v[36:37]
	s_waitcnt vmcnt(4) lgkmcnt(0)
	v_mul_f64 v[30:31], v[22:23], v[40:41]
	v_mul_f64 v[32:33], v[24:25], v[40:41]
	v_add_f64 v[26:27], v[28:29], v[26:27]
	v_add_f64 v[28:29], v[163:164], v[217:218]
	v_fma_f64 v[40:41], v[4:5], v[34:35], v[168:169]
	v_fma_f64 v[34:35], v[2:3], v[34:35], -v[36:37]
	v_fma_f64 v[24:25], v[24:25], v[38:39], v[30:31]
	v_fma_f64 v[22:23], v[22:23], v[38:39], -v[32:33]
	v_add_f64 v[26:27], v[26:27], v[18:19]
	v_add_f64 v[28:29], v[28:29], v[20:21]
	ds_load_b128 v[2:5], v1 offset:1600
	ds_load_b128 v[18:21], v1 offset:1616
	;; [unrolled: 16-line block ×3, first 2 shown]
	s_waitcnt vmcnt(1) lgkmcnt(1)
	v_mul_f64 v[36:37], v[2:3], v[12:13]
	v_mul_f64 v[12:13], v[4:5], v[12:13]
	v_add_f64 v[8:9], v[26:27], v[34:35]
	v_add_f64 v[18:19], v[28:29], v[32:33]
	s_waitcnt vmcnt(0) lgkmcnt(0)
	v_mul_f64 v[26:27], v[22:23], v[16:17]
	v_mul_f64 v[16:17], v[24:25], v[16:17]
	v_fma_f64 v[4:5], v[4:5], v[10:11], v[36:37]
	v_fma_f64 v[1:2], v[2:3], v[10:11], -v[12:13]
	v_add_f64 v[6:7], v[8:9], v[6:7]
	v_add_f64 v[8:9], v[18:19], v[20:21]
	v_fma_f64 v[10:11], v[24:25], v[14:15], v[26:27]
	v_fma_f64 v[12:13], v[22:23], v[14:15], -v[16:17]
	s_delay_alu instid0(VALU_DEP_4) | instskip(NEXT) | instid1(VALU_DEP_4)
	v_add_f64 v[1:2], v[6:7], v[1:2]
	v_add_f64 v[3:4], v[8:9], v[4:5]
	s_delay_alu instid0(VALU_DEP_2) | instskip(NEXT) | instid1(VALU_DEP_2)
	v_add_f64 v[1:2], v[1:2], v[12:13]
	v_add_f64 v[3:4], v[3:4], v[10:11]
	s_delay_alu instid0(VALU_DEP_2) | instskip(NEXT) | instid1(VALU_DEP_2)
	v_add_f64 v[1:2], v[153:154], -v[1:2]
	v_add_f64 v[3:4], v[155:156], -v[3:4]
	scratch_store_b128 off, v[1:4], off offset:272
	v_cmpx_lt_u32_e32 16, v150
	s_cbranch_execz .LBB115_293
; %bb.292:
	scratch_load_b128 v[1:4], v186, off
	v_mov_b32_e32 v5, 0
	s_delay_alu instid0(VALU_DEP_1)
	v_mov_b32_e32 v6, v5
	v_mov_b32_e32 v7, v5
	;; [unrolled: 1-line block ×3, first 2 shown]
	scratch_store_b128 off, v[5:8], off offset:256
	s_waitcnt vmcnt(0)
	ds_store_b128 v202, v[1:4]
.LBB115_293:
	s_or_b32 exec_lo, exec_lo, s2
	s_waitcnt lgkmcnt(0)
	s_waitcnt_vscnt null, 0x0
	s_barrier
	buffer_gl0_inv
	s_clause 0x7
	scratch_load_b128 v[2:5], off, off offset:272
	scratch_load_b128 v[6:9], off, off offset:288
	scratch_load_b128 v[10:13], off, off offset:304
	scratch_load_b128 v[14:17], off, off offset:320
	scratch_load_b128 v[18:21], off, off offset:336
	scratch_load_b128 v[22:25], off, off offset:352
	scratch_load_b128 v[26:29], off, off offset:368
	scratch_load_b128 v[30:33], off, off offset:384
	v_mov_b32_e32 v1, 0
	s_mov_b32 s2, exec_lo
	ds_load_b128 v[38:41], v1 offset:1104
	s_clause 0x1
	scratch_load_b128 v[34:37], off, off offset:400
	scratch_load_b128 v[42:45], off, off offset:256
	ds_load_b128 v[153:156], v1 offset:1120
	scratch_load_b128 v[166:169], off, off offset:416
	ds_load_b128 v[217:220], v1 offset:1152
	s_waitcnt vmcnt(10) lgkmcnt(2)
	v_mul_f64 v[163:164], v[40:41], v[4:5]
	v_mul_f64 v[4:5], v[38:39], v[4:5]
	s_delay_alu instid0(VALU_DEP_2) | instskip(NEXT) | instid1(VALU_DEP_2)
	v_fma_f64 v[163:164], v[38:39], v[2:3], -v[163:164]
	v_fma_f64 v[223:224], v[40:41], v[2:3], v[4:5]
	ds_load_b128 v[2:5], v1 offset:1136
	s_waitcnt vmcnt(9) lgkmcnt(2)
	v_mul_f64 v[221:222], v[153:154], v[8:9]
	v_mul_f64 v[8:9], v[155:156], v[8:9]
	scratch_load_b128 v[38:41], off, off offset:432
	s_waitcnt vmcnt(9) lgkmcnt(0)
	v_mul_f64 v[225:226], v[2:3], v[12:13]
	v_mul_f64 v[12:13], v[4:5], v[12:13]
	v_add_f64 v[163:164], v[163:164], 0
	v_fma_f64 v[155:156], v[155:156], v[6:7], v[221:222]
	v_fma_f64 v[153:154], v[153:154], v[6:7], -v[8:9]
	v_add_f64 v[221:222], v[223:224], 0
	scratch_load_b128 v[6:9], off, off offset:448
	v_fma_f64 v[225:226], v[4:5], v[10:11], v[225:226]
	v_fma_f64 v[227:228], v[2:3], v[10:11], -v[12:13]
	scratch_load_b128 v[10:13], off, off offset:464
	ds_load_b128 v[2:5], v1 offset:1168
	s_waitcnt vmcnt(10)
	v_mul_f64 v[223:224], v[217:218], v[16:17]
	v_mul_f64 v[16:17], v[219:220], v[16:17]
	v_add_f64 v[163:164], v[163:164], v[153:154]
	v_add_f64 v[221:222], v[221:222], v[155:156]
	ds_load_b128 v[153:156], v1 offset:1184
	s_waitcnt vmcnt(9) lgkmcnt(1)
	v_mul_f64 v[229:230], v[2:3], v[20:21]
	v_mul_f64 v[20:21], v[4:5], v[20:21]
	v_fma_f64 v[219:220], v[219:220], v[14:15], v[223:224]
	v_fma_f64 v[217:218], v[217:218], v[14:15], -v[16:17]
	scratch_load_b128 v[14:17], off, off offset:480
	v_add_f64 v[163:164], v[163:164], v[227:228]
	v_add_f64 v[221:222], v[221:222], v[225:226]
	v_fma_f64 v[225:226], v[4:5], v[18:19], v[229:230]
	v_fma_f64 v[227:228], v[2:3], v[18:19], -v[20:21]
	scratch_load_b128 v[18:21], off, off offset:496
	ds_load_b128 v[2:5], v1 offset:1200
	s_waitcnt vmcnt(10) lgkmcnt(1)
	v_mul_f64 v[223:224], v[153:154], v[24:25]
	v_mul_f64 v[24:25], v[155:156], v[24:25]
	s_waitcnt vmcnt(9) lgkmcnt(0)
	v_mul_f64 v[229:230], v[2:3], v[28:29]
	v_mul_f64 v[28:29], v[4:5], v[28:29]
	v_add_f64 v[163:164], v[163:164], v[217:218]
	v_add_f64 v[221:222], v[221:222], v[219:220]
	ds_load_b128 v[217:220], v1 offset:1216
	v_fma_f64 v[155:156], v[155:156], v[22:23], v[223:224]
	v_fma_f64 v[153:154], v[153:154], v[22:23], -v[24:25]
	scratch_load_b128 v[22:25], off, off offset:512
	v_add_f64 v[163:164], v[163:164], v[227:228]
	v_add_f64 v[221:222], v[221:222], v[225:226]
	v_fma_f64 v[225:226], v[4:5], v[26:27], v[229:230]
	v_fma_f64 v[227:228], v[2:3], v[26:27], -v[28:29]
	scratch_load_b128 v[26:29], off, off offset:528
	ds_load_b128 v[2:5], v1 offset:1232
	s_waitcnt vmcnt(10) lgkmcnt(1)
	v_mul_f64 v[223:224], v[217:218], v[32:33]
	v_mul_f64 v[32:33], v[219:220], v[32:33]
	s_waitcnt vmcnt(9) lgkmcnt(0)
	v_mul_f64 v[229:230], v[2:3], v[36:37]
	v_mul_f64 v[36:37], v[4:5], v[36:37]
	v_add_f64 v[163:164], v[163:164], v[153:154]
	v_add_f64 v[221:222], v[221:222], v[155:156]
	ds_load_b128 v[153:156], v1 offset:1248
	v_fma_f64 v[219:220], v[219:220], v[30:31], v[223:224]
	v_fma_f64 v[217:218], v[217:218], v[30:31], -v[32:33]
	scratch_load_b128 v[30:33], off, off offset:544
	v_add_f64 v[163:164], v[163:164], v[227:228]
	v_add_f64 v[221:222], v[221:222], v[225:226]
	v_fma_f64 v[225:226], v[4:5], v[34:35], v[229:230]
	v_fma_f64 v[227:228], v[2:3], v[34:35], -v[36:37]
	scratch_load_b128 v[34:37], off, off offset:560
	ds_load_b128 v[2:5], v1 offset:1264
	s_waitcnt vmcnt(9) lgkmcnt(1)
	v_mul_f64 v[223:224], v[153:154], v[168:169]
	v_mul_f64 v[168:169], v[155:156], v[168:169]
	v_add_f64 v[163:164], v[163:164], v[217:218]
	v_add_f64 v[221:222], v[221:222], v[219:220]
	ds_load_b128 v[217:220], v1 offset:1280
	v_fma_f64 v[223:224], v[155:156], v[166:167], v[223:224]
	v_fma_f64 v[166:167], v[153:154], v[166:167], -v[168:169]
	scratch_load_b128 v[153:156], off, off offset:576
	s_waitcnt vmcnt(9) lgkmcnt(1)
	v_mul_f64 v[229:230], v[2:3], v[40:41]
	v_mul_f64 v[40:41], v[4:5], v[40:41]
	v_add_f64 v[163:164], v[163:164], v[227:228]
	v_add_f64 v[168:169], v[221:222], v[225:226]
	s_delay_alu instid0(VALU_DEP_4) | instskip(NEXT) | instid1(VALU_DEP_4)
	v_fma_f64 v[225:226], v[4:5], v[38:39], v[229:230]
	v_fma_f64 v[227:228], v[2:3], v[38:39], -v[40:41]
	scratch_load_b128 v[38:41], off, off offset:592
	ds_load_b128 v[2:5], v1 offset:1296
	s_waitcnt vmcnt(9) lgkmcnt(1)
	v_mul_f64 v[221:222], v[217:218], v[8:9]
	v_mul_f64 v[8:9], v[219:220], v[8:9]
	v_add_f64 v[163:164], v[163:164], v[166:167]
	v_add_f64 v[223:224], v[168:169], v[223:224]
	s_waitcnt vmcnt(8) lgkmcnt(0)
	v_mul_f64 v[229:230], v[2:3], v[12:13]
	v_mul_f64 v[12:13], v[4:5], v[12:13]
	ds_load_b128 v[166:169], v1 offset:1312
	v_fma_f64 v[219:220], v[219:220], v[6:7], v[221:222]
	v_fma_f64 v[217:218], v[217:218], v[6:7], -v[8:9]
	scratch_load_b128 v[6:9], off, off offset:608
	v_add_f64 v[163:164], v[163:164], v[227:228]
	v_add_f64 v[221:222], v[223:224], v[225:226]
	v_fma_f64 v[225:226], v[4:5], v[10:11], v[229:230]
	v_fma_f64 v[227:228], v[2:3], v[10:11], -v[12:13]
	scratch_load_b128 v[10:13], off, off offset:624
	ds_load_b128 v[2:5], v1 offset:1328
	s_waitcnt vmcnt(9) lgkmcnt(1)
	v_mul_f64 v[223:224], v[166:167], v[16:17]
	v_mul_f64 v[16:17], v[168:169], v[16:17]
	s_waitcnt vmcnt(8) lgkmcnt(0)
	v_mul_f64 v[229:230], v[2:3], v[20:21]
	v_mul_f64 v[20:21], v[4:5], v[20:21]
	v_add_f64 v[163:164], v[163:164], v[217:218]
	v_add_f64 v[221:222], v[221:222], v[219:220]
	ds_load_b128 v[217:220], v1 offset:1344
	v_fma_f64 v[168:169], v[168:169], v[14:15], v[223:224]
	v_fma_f64 v[166:167], v[166:167], v[14:15], -v[16:17]
	scratch_load_b128 v[14:17], off, off offset:640
	v_add_f64 v[163:164], v[163:164], v[227:228]
	v_add_f64 v[221:222], v[221:222], v[225:226]
	v_fma_f64 v[225:226], v[4:5], v[18:19], v[229:230]
	v_fma_f64 v[227:228], v[2:3], v[18:19], -v[20:21]
	scratch_load_b128 v[18:21], off, off offset:656
	ds_load_b128 v[2:5], v1 offset:1360
	s_waitcnt vmcnt(9) lgkmcnt(1)
	v_mul_f64 v[223:224], v[217:218], v[24:25]
	v_mul_f64 v[24:25], v[219:220], v[24:25]
	s_waitcnt vmcnt(8) lgkmcnt(0)
	v_mul_f64 v[229:230], v[2:3], v[28:29]
	v_mul_f64 v[28:29], v[4:5], v[28:29]
	v_add_f64 v[163:164], v[163:164], v[166:167]
	v_add_f64 v[221:222], v[221:222], v[168:169]
	ds_load_b128 v[166:169], v1 offset:1376
	v_fma_f64 v[219:220], v[219:220], v[22:23], v[223:224]
	v_fma_f64 v[217:218], v[217:218], v[22:23], -v[24:25]
	scratch_load_b128 v[22:25], off, off offset:672
	v_add_f64 v[163:164], v[163:164], v[227:228]
	v_add_f64 v[221:222], v[221:222], v[225:226]
	v_fma_f64 v[225:226], v[4:5], v[26:27], v[229:230]
	v_fma_f64 v[227:228], v[2:3], v[26:27], -v[28:29]
	scratch_load_b128 v[26:29], off, off offset:688
	ds_load_b128 v[2:5], v1 offset:1392
	s_waitcnt vmcnt(9) lgkmcnt(1)
	v_mul_f64 v[223:224], v[166:167], v[32:33]
	v_mul_f64 v[32:33], v[168:169], v[32:33]
	s_waitcnt vmcnt(8) lgkmcnt(0)
	v_mul_f64 v[229:230], v[2:3], v[36:37]
	v_mul_f64 v[36:37], v[4:5], v[36:37]
	v_add_f64 v[163:164], v[163:164], v[217:218]
	v_add_f64 v[221:222], v[221:222], v[219:220]
	ds_load_b128 v[217:220], v1 offset:1408
	v_fma_f64 v[168:169], v[168:169], v[30:31], v[223:224]
	v_fma_f64 v[166:167], v[166:167], v[30:31], -v[32:33]
	scratch_load_b128 v[30:33], off, off offset:704
	v_add_f64 v[163:164], v[163:164], v[227:228]
	v_add_f64 v[221:222], v[221:222], v[225:226]
	v_fma_f64 v[225:226], v[4:5], v[34:35], v[229:230]
	v_fma_f64 v[227:228], v[2:3], v[34:35], -v[36:37]
	scratch_load_b128 v[34:37], off, off offset:720
	ds_load_b128 v[2:5], v1 offset:1424
	s_waitcnt vmcnt(9) lgkmcnt(1)
	v_mul_f64 v[223:224], v[217:218], v[155:156]
	v_mul_f64 v[155:156], v[219:220], v[155:156]
	s_waitcnt vmcnt(8) lgkmcnt(0)
	v_mul_f64 v[229:230], v[2:3], v[40:41]
	v_mul_f64 v[40:41], v[4:5], v[40:41]
	v_add_f64 v[163:164], v[163:164], v[166:167]
	v_add_f64 v[221:222], v[221:222], v[168:169]
	ds_load_b128 v[166:169], v1 offset:1440
	v_fma_f64 v[219:220], v[219:220], v[153:154], v[223:224]
	v_fma_f64 v[217:218], v[217:218], v[153:154], -v[155:156]
	scratch_load_b128 v[153:156], off, off offset:736
	v_add_f64 v[163:164], v[163:164], v[227:228]
	v_add_f64 v[221:222], v[221:222], v[225:226]
	v_fma_f64 v[225:226], v[4:5], v[38:39], v[229:230]
	v_fma_f64 v[227:228], v[2:3], v[38:39], -v[40:41]
	scratch_load_b128 v[38:41], off, off offset:752
	ds_load_b128 v[2:5], v1 offset:1456
	s_waitcnt vmcnt(9) lgkmcnt(1)
	v_mul_f64 v[223:224], v[166:167], v[8:9]
	v_mul_f64 v[8:9], v[168:169], v[8:9]
	s_waitcnt vmcnt(8) lgkmcnt(0)
	v_mul_f64 v[229:230], v[2:3], v[12:13]
	v_mul_f64 v[12:13], v[4:5], v[12:13]
	v_add_f64 v[163:164], v[163:164], v[217:218]
	v_add_f64 v[221:222], v[221:222], v[219:220]
	ds_load_b128 v[217:220], v1 offset:1472
	v_fma_f64 v[168:169], v[168:169], v[6:7], v[223:224]
	v_fma_f64 v[166:167], v[166:167], v[6:7], -v[8:9]
	scratch_load_b128 v[6:9], off, off offset:768
	v_add_f64 v[163:164], v[163:164], v[227:228]
	v_add_f64 v[221:222], v[221:222], v[225:226]
	v_fma_f64 v[225:226], v[4:5], v[10:11], v[229:230]
	v_fma_f64 v[227:228], v[2:3], v[10:11], -v[12:13]
	scratch_load_b128 v[10:13], off, off offset:784
	ds_load_b128 v[2:5], v1 offset:1488
	s_waitcnt vmcnt(9) lgkmcnt(1)
	v_mul_f64 v[223:224], v[217:218], v[16:17]
	v_mul_f64 v[16:17], v[219:220], v[16:17]
	s_waitcnt vmcnt(8) lgkmcnt(0)
	v_mul_f64 v[229:230], v[2:3], v[20:21]
	v_mul_f64 v[20:21], v[4:5], v[20:21]
	v_add_f64 v[163:164], v[163:164], v[166:167]
	v_add_f64 v[221:222], v[221:222], v[168:169]
	ds_load_b128 v[166:169], v1 offset:1504
	v_fma_f64 v[219:220], v[219:220], v[14:15], v[223:224]
	v_fma_f64 v[217:218], v[217:218], v[14:15], -v[16:17]
	scratch_load_b128 v[14:17], off, off offset:800
	v_add_f64 v[163:164], v[163:164], v[227:228]
	v_add_f64 v[221:222], v[221:222], v[225:226]
	v_fma_f64 v[225:226], v[4:5], v[18:19], v[229:230]
	v_fma_f64 v[227:228], v[2:3], v[18:19], -v[20:21]
	scratch_load_b128 v[18:21], off, off offset:816
	ds_load_b128 v[2:5], v1 offset:1520
	s_waitcnt vmcnt(9) lgkmcnt(1)
	v_mul_f64 v[223:224], v[166:167], v[24:25]
	v_mul_f64 v[24:25], v[168:169], v[24:25]
	s_waitcnt vmcnt(8) lgkmcnt(0)
	v_mul_f64 v[229:230], v[2:3], v[28:29]
	v_mul_f64 v[28:29], v[4:5], v[28:29]
	v_add_f64 v[163:164], v[163:164], v[217:218]
	v_add_f64 v[221:222], v[221:222], v[219:220]
	ds_load_b128 v[217:220], v1 offset:1536
	v_fma_f64 v[168:169], v[168:169], v[22:23], v[223:224]
	v_fma_f64 v[22:23], v[166:167], v[22:23], -v[24:25]
	s_waitcnt vmcnt(7) lgkmcnt(0)
	v_mul_f64 v[166:167], v[217:218], v[32:33]
	v_mul_f64 v[32:33], v[219:220], v[32:33]
	v_add_f64 v[24:25], v[163:164], v[227:228]
	v_add_f64 v[163:164], v[221:222], v[225:226]
	v_fma_f64 v[221:222], v[4:5], v[26:27], v[229:230]
	v_fma_f64 v[26:27], v[2:3], v[26:27], -v[28:29]
	v_fma_f64 v[166:167], v[219:220], v[30:31], v[166:167]
	v_fma_f64 v[30:31], v[217:218], v[30:31], -v[32:33]
	v_add_f64 v[28:29], v[24:25], v[22:23]
	v_add_f64 v[163:164], v[163:164], v[168:169]
	ds_load_b128 v[2:5], v1 offset:1552
	ds_load_b128 v[22:25], v1 offset:1568
	s_waitcnt vmcnt(6) lgkmcnt(1)
	v_mul_f64 v[168:169], v[2:3], v[36:37]
	v_mul_f64 v[36:37], v[4:5], v[36:37]
	s_waitcnt vmcnt(5) lgkmcnt(0)
	v_mul_f64 v[32:33], v[22:23], v[155:156]
	v_mul_f64 v[155:156], v[24:25], v[155:156]
	v_add_f64 v[26:27], v[28:29], v[26:27]
	v_add_f64 v[28:29], v[163:164], v[221:222]
	v_fma_f64 v[163:164], v[4:5], v[34:35], v[168:169]
	v_fma_f64 v[34:35], v[2:3], v[34:35], -v[36:37]
	v_fma_f64 v[24:25], v[24:25], v[153:154], v[32:33]
	v_fma_f64 v[22:23], v[22:23], v[153:154], -v[155:156]
	v_add_f64 v[30:31], v[26:27], v[30:31]
	v_add_f64 v[36:37], v[28:29], v[166:167]
	ds_load_b128 v[2:5], v1 offset:1584
	ds_load_b128 v[26:29], v1 offset:1600
	s_waitcnt vmcnt(4) lgkmcnt(1)
	v_mul_f64 v[166:167], v[2:3], v[40:41]
	v_mul_f64 v[40:41], v[4:5], v[40:41]
	v_add_f64 v[30:31], v[30:31], v[34:35]
	v_add_f64 v[32:33], v[36:37], v[163:164]
	s_waitcnt vmcnt(3) lgkmcnt(0)
	v_mul_f64 v[34:35], v[26:27], v[8:9]
	v_mul_f64 v[8:9], v[28:29], v[8:9]
	v_fma_f64 v[36:37], v[4:5], v[38:39], v[166:167]
	v_fma_f64 v[38:39], v[2:3], v[38:39], -v[40:41]
	v_add_f64 v[30:31], v[30:31], v[22:23]
	v_add_f64 v[32:33], v[32:33], v[24:25]
	ds_load_b128 v[2:5], v1 offset:1616
	ds_load_b128 v[22:25], v1 offset:1632
	v_fma_f64 v[28:29], v[28:29], v[6:7], v[34:35]
	v_fma_f64 v[6:7], v[26:27], v[6:7], -v[8:9]
	s_waitcnt vmcnt(2) lgkmcnt(1)
	v_mul_f64 v[40:41], v[2:3], v[12:13]
	v_mul_f64 v[12:13], v[4:5], v[12:13]
	v_add_f64 v[8:9], v[30:31], v[38:39]
	v_add_f64 v[26:27], v[32:33], v[36:37]
	s_waitcnt vmcnt(1) lgkmcnt(0)
	v_mul_f64 v[30:31], v[22:23], v[16:17]
	v_mul_f64 v[16:17], v[24:25], v[16:17]
	v_fma_f64 v[32:33], v[4:5], v[10:11], v[40:41]
	v_fma_f64 v[10:11], v[2:3], v[10:11], -v[12:13]
	ds_load_b128 v[2:5], v1 offset:1648
	v_add_f64 v[6:7], v[8:9], v[6:7]
	v_add_f64 v[8:9], v[26:27], v[28:29]
	v_fma_f64 v[24:25], v[24:25], v[14:15], v[30:31]
	v_fma_f64 v[14:15], v[22:23], v[14:15], -v[16:17]
	s_waitcnt vmcnt(0) lgkmcnt(0)
	v_mul_f64 v[12:13], v[2:3], v[20:21]
	v_mul_f64 v[20:21], v[4:5], v[20:21]
	v_add_f64 v[6:7], v[6:7], v[10:11]
	v_add_f64 v[8:9], v[8:9], v[32:33]
	s_delay_alu instid0(VALU_DEP_4) | instskip(NEXT) | instid1(VALU_DEP_4)
	v_fma_f64 v[4:5], v[4:5], v[18:19], v[12:13]
	v_fma_f64 v[2:3], v[2:3], v[18:19], -v[20:21]
	s_delay_alu instid0(VALU_DEP_4) | instskip(NEXT) | instid1(VALU_DEP_4)
	v_add_f64 v[6:7], v[6:7], v[14:15]
	v_add_f64 v[8:9], v[8:9], v[24:25]
	s_delay_alu instid0(VALU_DEP_2) | instskip(NEXT) | instid1(VALU_DEP_2)
	v_add_f64 v[2:3], v[6:7], v[2:3]
	v_add_f64 v[4:5], v[8:9], v[4:5]
	s_delay_alu instid0(VALU_DEP_2) | instskip(NEXT) | instid1(VALU_DEP_2)
	v_add_f64 v[2:3], v[42:43], -v[2:3]
	v_add_f64 v[4:5], v[44:45], -v[4:5]
	scratch_store_b128 off, v[2:5], off offset:256
	v_cmpx_lt_u32_e32 15, v150
	s_cbranch_execz .LBB115_295
; %bb.294:
	scratch_load_b128 v[5:8], v187, off
	v_mov_b32_e32 v2, v1
	v_mov_b32_e32 v3, v1
	v_mov_b32_e32 v4, v1
	scratch_store_b128 off, v[1:4], off offset:240
	s_waitcnt vmcnt(0)
	ds_store_b128 v202, v[5:8]
.LBB115_295:
	s_or_b32 exec_lo, exec_lo, s2
	s_waitcnt lgkmcnt(0)
	s_waitcnt_vscnt null, 0x0
	s_barrier
	buffer_gl0_inv
	s_clause 0x8
	scratch_load_b128 v[2:5], off, off offset:256
	scratch_load_b128 v[6:9], off, off offset:272
	;; [unrolled: 1-line block ×9, first 2 shown]
	ds_load_b128 v[42:45], v1 offset:1088
	ds_load_b128 v[38:41], v1 offset:1104
	s_clause 0x1
	scratch_load_b128 v[153:156], off, off offset:240
	scratch_load_b128 v[166:169], off, off offset:400
	s_mov_b32 s2, exec_lo
	ds_load_b128 v[217:220], v1 offset:1136
	s_waitcnt vmcnt(10) lgkmcnt(2)
	v_mul_f64 v[163:164], v[44:45], v[4:5]
	v_mul_f64 v[4:5], v[42:43], v[4:5]
	s_waitcnt vmcnt(9) lgkmcnt(1)
	v_mul_f64 v[221:222], v[38:39], v[8:9]
	v_mul_f64 v[8:9], v[40:41], v[8:9]
	s_delay_alu instid0(VALU_DEP_4) | instskip(NEXT) | instid1(VALU_DEP_4)
	v_fma_f64 v[163:164], v[42:43], v[2:3], -v[163:164]
	v_fma_f64 v[223:224], v[44:45], v[2:3], v[4:5]
	ds_load_b128 v[2:5], v1 offset:1120
	scratch_load_b128 v[42:45], off, off offset:416
	v_fma_f64 v[40:41], v[40:41], v[6:7], v[221:222]
	v_fma_f64 v[38:39], v[38:39], v[6:7], -v[8:9]
	scratch_load_b128 v[6:9], off, off offset:432
	s_waitcnt vmcnt(10) lgkmcnt(0)
	v_mul_f64 v[225:226], v[2:3], v[12:13]
	v_mul_f64 v[12:13], v[4:5], v[12:13]
	v_add_f64 v[163:164], v[163:164], 0
	v_add_f64 v[221:222], v[223:224], 0
	s_waitcnt vmcnt(9)
	v_mul_f64 v[223:224], v[217:218], v[16:17]
	v_mul_f64 v[16:17], v[219:220], v[16:17]
	v_fma_f64 v[225:226], v[4:5], v[10:11], v[225:226]
	v_fma_f64 v[227:228], v[2:3], v[10:11], -v[12:13]
	ds_load_b128 v[2:5], v1 offset:1152
	scratch_load_b128 v[10:13], off, off offset:448
	v_add_f64 v[163:164], v[163:164], v[38:39]
	v_add_f64 v[221:222], v[221:222], v[40:41]
	ds_load_b128 v[38:41], v1 offset:1168
	v_fma_f64 v[219:220], v[219:220], v[14:15], v[223:224]
	v_fma_f64 v[217:218], v[217:218], v[14:15], -v[16:17]
	scratch_load_b128 v[14:17], off, off offset:464
	s_waitcnt vmcnt(10) lgkmcnt(1)
	v_mul_f64 v[229:230], v[2:3], v[20:21]
	v_mul_f64 v[20:21], v[4:5], v[20:21]
	s_waitcnt vmcnt(9) lgkmcnt(0)
	v_mul_f64 v[223:224], v[38:39], v[24:25]
	v_mul_f64 v[24:25], v[40:41], v[24:25]
	v_add_f64 v[163:164], v[163:164], v[227:228]
	v_add_f64 v[221:222], v[221:222], v[225:226]
	v_fma_f64 v[225:226], v[4:5], v[18:19], v[229:230]
	v_fma_f64 v[227:228], v[2:3], v[18:19], -v[20:21]
	ds_load_b128 v[2:5], v1 offset:1184
	scratch_load_b128 v[18:21], off, off offset:480
	v_fma_f64 v[40:41], v[40:41], v[22:23], v[223:224]
	v_fma_f64 v[38:39], v[38:39], v[22:23], -v[24:25]
	scratch_load_b128 v[22:25], off, off offset:496
	v_add_f64 v[163:164], v[163:164], v[217:218]
	v_add_f64 v[221:222], v[221:222], v[219:220]
	ds_load_b128 v[217:220], v1 offset:1200
	s_waitcnt vmcnt(10) lgkmcnt(1)
	v_mul_f64 v[229:230], v[2:3], v[28:29]
	v_mul_f64 v[28:29], v[4:5], v[28:29]
	s_waitcnt vmcnt(9) lgkmcnt(0)
	v_mul_f64 v[223:224], v[217:218], v[32:33]
	v_mul_f64 v[32:33], v[219:220], v[32:33]
	v_add_f64 v[163:164], v[163:164], v[227:228]
	v_add_f64 v[221:222], v[221:222], v[225:226]
	v_fma_f64 v[225:226], v[4:5], v[26:27], v[229:230]
	v_fma_f64 v[227:228], v[2:3], v[26:27], -v[28:29]
	ds_load_b128 v[2:5], v1 offset:1216
	scratch_load_b128 v[26:29], off, off offset:512
	v_fma_f64 v[219:220], v[219:220], v[30:31], v[223:224]
	v_fma_f64 v[217:218], v[217:218], v[30:31], -v[32:33]
	scratch_load_b128 v[30:33], off, off offset:528
	v_add_f64 v[163:164], v[163:164], v[38:39]
	v_add_f64 v[221:222], v[221:222], v[40:41]
	ds_load_b128 v[38:41], v1 offset:1232
	;; [unrolled: 18-line block ×3, first 2 shown]
	s_waitcnt vmcnt(9) lgkmcnt(1)
	v_mul_f64 v[229:230], v[2:3], v[44:45]
	v_mul_f64 v[44:45], v[4:5], v[44:45]
	v_add_f64 v[163:164], v[163:164], v[227:228]
	v_add_f64 v[168:169], v[221:222], v[225:226]
	s_waitcnt vmcnt(8) lgkmcnt(0)
	v_mul_f64 v[221:222], v[217:218], v[8:9]
	v_mul_f64 v[8:9], v[219:220], v[8:9]
	v_fma_f64 v[225:226], v[4:5], v[42:43], v[229:230]
	v_fma_f64 v[227:228], v[2:3], v[42:43], -v[44:45]
	ds_load_b128 v[2:5], v1 offset:1280
	scratch_load_b128 v[42:45], off, off offset:576
	v_add_f64 v[163:164], v[163:164], v[166:167]
	v_add_f64 v[223:224], v[168:169], v[223:224]
	ds_load_b128 v[166:169], v1 offset:1296
	s_waitcnt vmcnt(8) lgkmcnt(1)
	v_mul_f64 v[229:230], v[2:3], v[12:13]
	v_mul_f64 v[12:13], v[4:5], v[12:13]
	v_fma_f64 v[219:220], v[219:220], v[6:7], v[221:222]
	v_fma_f64 v[217:218], v[217:218], v[6:7], -v[8:9]
	scratch_load_b128 v[6:9], off, off offset:592
	v_add_f64 v[163:164], v[163:164], v[227:228]
	v_add_f64 v[221:222], v[223:224], v[225:226]
	s_waitcnt vmcnt(8) lgkmcnt(0)
	v_mul_f64 v[223:224], v[166:167], v[16:17]
	v_mul_f64 v[16:17], v[168:169], v[16:17]
	v_fma_f64 v[225:226], v[4:5], v[10:11], v[229:230]
	v_fma_f64 v[227:228], v[2:3], v[10:11], -v[12:13]
	ds_load_b128 v[2:5], v1 offset:1312
	scratch_load_b128 v[10:13], off, off offset:608
	v_add_f64 v[163:164], v[163:164], v[217:218]
	v_add_f64 v[221:222], v[221:222], v[219:220]
	ds_load_b128 v[217:220], v1 offset:1328
	s_waitcnt vmcnt(8) lgkmcnt(1)
	v_mul_f64 v[229:230], v[2:3], v[20:21]
	v_mul_f64 v[20:21], v[4:5], v[20:21]
	v_fma_f64 v[168:169], v[168:169], v[14:15], v[223:224]
	v_fma_f64 v[166:167], v[166:167], v[14:15], -v[16:17]
	scratch_load_b128 v[14:17], off, off offset:624
	s_waitcnt vmcnt(8) lgkmcnt(0)
	v_mul_f64 v[223:224], v[217:218], v[24:25]
	v_mul_f64 v[24:25], v[219:220], v[24:25]
	v_add_f64 v[163:164], v[163:164], v[227:228]
	v_add_f64 v[221:222], v[221:222], v[225:226]
	v_fma_f64 v[225:226], v[4:5], v[18:19], v[229:230]
	v_fma_f64 v[227:228], v[2:3], v[18:19], -v[20:21]
	ds_load_b128 v[2:5], v1 offset:1344
	scratch_load_b128 v[18:21], off, off offset:640
	v_fma_f64 v[219:220], v[219:220], v[22:23], v[223:224]
	v_fma_f64 v[217:218], v[217:218], v[22:23], -v[24:25]
	scratch_load_b128 v[22:25], off, off offset:656
	v_add_f64 v[163:164], v[163:164], v[166:167]
	v_add_f64 v[221:222], v[221:222], v[168:169]
	ds_load_b128 v[166:169], v1 offset:1360
	s_waitcnt vmcnt(9) lgkmcnt(1)
	v_mul_f64 v[229:230], v[2:3], v[28:29]
	v_mul_f64 v[28:29], v[4:5], v[28:29]
	s_waitcnt vmcnt(8) lgkmcnt(0)
	v_mul_f64 v[223:224], v[166:167], v[32:33]
	v_mul_f64 v[32:33], v[168:169], v[32:33]
	v_add_f64 v[163:164], v[163:164], v[227:228]
	v_add_f64 v[221:222], v[221:222], v[225:226]
	v_fma_f64 v[225:226], v[4:5], v[26:27], v[229:230]
	v_fma_f64 v[227:228], v[2:3], v[26:27], -v[28:29]
	ds_load_b128 v[2:5], v1 offset:1376
	scratch_load_b128 v[26:29], off, off offset:672
	v_fma_f64 v[168:169], v[168:169], v[30:31], v[223:224]
	v_fma_f64 v[166:167], v[166:167], v[30:31], -v[32:33]
	scratch_load_b128 v[30:33], off, off offset:688
	v_add_f64 v[163:164], v[163:164], v[217:218]
	v_add_f64 v[221:222], v[221:222], v[219:220]
	ds_load_b128 v[217:220], v1 offset:1392
	s_waitcnt vmcnt(9) lgkmcnt(1)
	v_mul_f64 v[229:230], v[2:3], v[36:37]
	v_mul_f64 v[36:37], v[4:5], v[36:37]
	;; [unrolled: 18-line block ×6, first 2 shown]
	s_waitcnt vmcnt(8) lgkmcnt(0)
	v_mul_f64 v[223:224], v[217:218], v[32:33]
	v_mul_f64 v[32:33], v[219:220], v[32:33]
	v_add_f64 v[163:164], v[163:164], v[227:228]
	v_add_f64 v[221:222], v[221:222], v[225:226]
	v_fma_f64 v[225:226], v[4:5], v[26:27], v[229:230]
	v_fma_f64 v[227:228], v[2:3], v[26:27], -v[28:29]
	ds_load_b128 v[2:5], v1 offset:1536
	ds_load_b128 v[26:29], v1 offset:1552
	v_fma_f64 v[219:220], v[219:220], v[30:31], v[223:224]
	v_fma_f64 v[30:31], v[217:218], v[30:31], -v[32:33]
	v_add_f64 v[163:164], v[163:164], v[166:167]
	v_add_f64 v[166:167], v[221:222], v[168:169]
	s_waitcnt vmcnt(7) lgkmcnt(1)
	v_mul_f64 v[168:169], v[2:3], v[36:37]
	v_mul_f64 v[36:37], v[4:5], v[36:37]
	s_delay_alu instid0(VALU_DEP_4) | instskip(NEXT) | instid1(VALU_DEP_4)
	v_add_f64 v[32:33], v[163:164], v[227:228]
	v_add_f64 v[163:164], v[166:167], v[225:226]
	s_waitcnt vmcnt(6) lgkmcnt(0)
	v_mul_f64 v[166:167], v[26:27], v[40:41]
	v_mul_f64 v[40:41], v[28:29], v[40:41]
	v_fma_f64 v[168:169], v[4:5], v[34:35], v[168:169]
	v_fma_f64 v[34:35], v[2:3], v[34:35], -v[36:37]
	v_add_f64 v[36:37], v[32:33], v[30:31]
	v_add_f64 v[163:164], v[163:164], v[219:220]
	ds_load_b128 v[2:5], v1 offset:1568
	ds_load_b128 v[30:33], v1 offset:1584
	v_fma_f64 v[28:29], v[28:29], v[38:39], v[166:167]
	v_fma_f64 v[26:27], v[26:27], v[38:39], -v[40:41]
	s_waitcnt vmcnt(5) lgkmcnt(1)
	v_mul_f64 v[217:218], v[2:3], v[44:45]
	v_mul_f64 v[44:45], v[4:5], v[44:45]
	s_waitcnt vmcnt(4) lgkmcnt(0)
	v_mul_f64 v[38:39], v[30:31], v[8:9]
	v_mul_f64 v[8:9], v[32:33], v[8:9]
	v_add_f64 v[34:35], v[36:37], v[34:35]
	v_add_f64 v[36:37], v[163:164], v[168:169]
	v_fma_f64 v[40:41], v[4:5], v[42:43], v[217:218]
	v_fma_f64 v[42:43], v[2:3], v[42:43], -v[44:45]
	v_fma_f64 v[32:33], v[32:33], v[6:7], v[38:39]
	v_fma_f64 v[6:7], v[30:31], v[6:7], -v[8:9]
	v_add_f64 v[34:35], v[34:35], v[26:27]
	v_add_f64 v[36:37], v[36:37], v[28:29]
	ds_load_b128 v[2:5], v1 offset:1600
	ds_load_b128 v[26:29], v1 offset:1616
	s_waitcnt vmcnt(3) lgkmcnt(1)
	v_mul_f64 v[44:45], v[2:3], v[12:13]
	v_mul_f64 v[12:13], v[4:5], v[12:13]
	v_add_f64 v[8:9], v[34:35], v[42:43]
	v_add_f64 v[30:31], v[36:37], v[40:41]
	s_waitcnt vmcnt(2) lgkmcnt(0)
	v_mul_f64 v[34:35], v[26:27], v[16:17]
	v_mul_f64 v[16:17], v[28:29], v[16:17]
	v_fma_f64 v[36:37], v[4:5], v[10:11], v[44:45]
	v_fma_f64 v[10:11], v[2:3], v[10:11], -v[12:13]
	v_add_f64 v[12:13], v[8:9], v[6:7]
	v_add_f64 v[30:31], v[30:31], v[32:33]
	ds_load_b128 v[2:5], v1 offset:1632
	ds_load_b128 v[6:9], v1 offset:1648
	v_fma_f64 v[28:29], v[28:29], v[14:15], v[34:35]
	v_fma_f64 v[14:15], v[26:27], v[14:15], -v[16:17]
	s_waitcnt vmcnt(1) lgkmcnt(1)
	v_mul_f64 v[32:33], v[2:3], v[20:21]
	v_mul_f64 v[20:21], v[4:5], v[20:21]
	s_waitcnt vmcnt(0) lgkmcnt(0)
	v_mul_f64 v[16:17], v[6:7], v[24:25]
	v_mul_f64 v[24:25], v[8:9], v[24:25]
	v_add_f64 v[10:11], v[12:13], v[10:11]
	v_add_f64 v[12:13], v[30:31], v[36:37]
	v_fma_f64 v[4:5], v[4:5], v[18:19], v[32:33]
	v_fma_f64 v[1:2], v[2:3], v[18:19], -v[20:21]
	v_fma_f64 v[8:9], v[8:9], v[22:23], v[16:17]
	v_fma_f64 v[6:7], v[6:7], v[22:23], -v[24:25]
	v_add_f64 v[10:11], v[10:11], v[14:15]
	v_add_f64 v[12:13], v[12:13], v[28:29]
	s_delay_alu instid0(VALU_DEP_2) | instskip(NEXT) | instid1(VALU_DEP_2)
	v_add_f64 v[1:2], v[10:11], v[1:2]
	v_add_f64 v[3:4], v[12:13], v[4:5]
	s_delay_alu instid0(VALU_DEP_2) | instskip(NEXT) | instid1(VALU_DEP_2)
	;; [unrolled: 3-line block ×3, first 2 shown]
	v_add_f64 v[1:2], v[153:154], -v[1:2]
	v_add_f64 v[3:4], v[155:156], -v[3:4]
	scratch_store_b128 off, v[1:4], off offset:240
	v_cmpx_lt_u32_e32 14, v150
	s_cbranch_execz .LBB115_297
; %bb.296:
	scratch_load_b128 v[1:4], v188, off
	v_mov_b32_e32 v5, 0
	s_delay_alu instid0(VALU_DEP_1)
	v_mov_b32_e32 v6, v5
	v_mov_b32_e32 v7, v5
	;; [unrolled: 1-line block ×3, first 2 shown]
	scratch_store_b128 off, v[5:8], off offset:224
	s_waitcnt vmcnt(0)
	ds_store_b128 v202, v[1:4]
.LBB115_297:
	s_or_b32 exec_lo, exec_lo, s2
	s_waitcnt lgkmcnt(0)
	s_waitcnt_vscnt null, 0x0
	s_barrier
	buffer_gl0_inv
	s_clause 0x7
	scratch_load_b128 v[2:5], off, off offset:240
	scratch_load_b128 v[6:9], off, off offset:256
	;; [unrolled: 1-line block ×8, first 2 shown]
	v_mov_b32_e32 v1, 0
	s_mov_b32 s2, exec_lo
	ds_load_b128 v[38:41], v1 offset:1072
	s_clause 0x1
	scratch_load_b128 v[34:37], off, off offset:368
	scratch_load_b128 v[42:45], off, off offset:224
	ds_load_b128 v[153:156], v1 offset:1088
	scratch_load_b128 v[166:169], off, off offset:384
	ds_load_b128 v[217:220], v1 offset:1120
	s_waitcnt vmcnt(10) lgkmcnt(2)
	v_mul_f64 v[163:164], v[40:41], v[4:5]
	v_mul_f64 v[4:5], v[38:39], v[4:5]
	s_delay_alu instid0(VALU_DEP_2) | instskip(NEXT) | instid1(VALU_DEP_2)
	v_fma_f64 v[163:164], v[38:39], v[2:3], -v[163:164]
	v_fma_f64 v[223:224], v[40:41], v[2:3], v[4:5]
	ds_load_b128 v[2:5], v1 offset:1104
	s_waitcnt vmcnt(9) lgkmcnt(2)
	v_mul_f64 v[221:222], v[153:154], v[8:9]
	v_mul_f64 v[8:9], v[155:156], v[8:9]
	scratch_load_b128 v[38:41], off, off offset:400
	s_waitcnt vmcnt(9) lgkmcnt(0)
	v_mul_f64 v[225:226], v[2:3], v[12:13]
	v_mul_f64 v[12:13], v[4:5], v[12:13]
	v_add_f64 v[163:164], v[163:164], 0
	v_fma_f64 v[155:156], v[155:156], v[6:7], v[221:222]
	v_fma_f64 v[153:154], v[153:154], v[6:7], -v[8:9]
	v_add_f64 v[221:222], v[223:224], 0
	scratch_load_b128 v[6:9], off, off offset:416
	v_fma_f64 v[225:226], v[4:5], v[10:11], v[225:226]
	v_fma_f64 v[227:228], v[2:3], v[10:11], -v[12:13]
	scratch_load_b128 v[10:13], off, off offset:432
	ds_load_b128 v[2:5], v1 offset:1136
	s_waitcnt vmcnt(10)
	v_mul_f64 v[223:224], v[217:218], v[16:17]
	v_mul_f64 v[16:17], v[219:220], v[16:17]
	v_add_f64 v[163:164], v[163:164], v[153:154]
	v_add_f64 v[221:222], v[221:222], v[155:156]
	ds_load_b128 v[153:156], v1 offset:1152
	s_waitcnt vmcnt(9) lgkmcnt(1)
	v_mul_f64 v[229:230], v[2:3], v[20:21]
	v_mul_f64 v[20:21], v[4:5], v[20:21]
	v_fma_f64 v[219:220], v[219:220], v[14:15], v[223:224]
	v_fma_f64 v[217:218], v[217:218], v[14:15], -v[16:17]
	scratch_load_b128 v[14:17], off, off offset:448
	v_add_f64 v[163:164], v[163:164], v[227:228]
	v_add_f64 v[221:222], v[221:222], v[225:226]
	v_fma_f64 v[225:226], v[4:5], v[18:19], v[229:230]
	v_fma_f64 v[227:228], v[2:3], v[18:19], -v[20:21]
	scratch_load_b128 v[18:21], off, off offset:464
	ds_load_b128 v[2:5], v1 offset:1168
	s_waitcnt vmcnt(10) lgkmcnt(1)
	v_mul_f64 v[223:224], v[153:154], v[24:25]
	v_mul_f64 v[24:25], v[155:156], v[24:25]
	s_waitcnt vmcnt(9) lgkmcnt(0)
	v_mul_f64 v[229:230], v[2:3], v[28:29]
	v_mul_f64 v[28:29], v[4:5], v[28:29]
	v_add_f64 v[163:164], v[163:164], v[217:218]
	v_add_f64 v[221:222], v[221:222], v[219:220]
	ds_load_b128 v[217:220], v1 offset:1184
	v_fma_f64 v[155:156], v[155:156], v[22:23], v[223:224]
	v_fma_f64 v[153:154], v[153:154], v[22:23], -v[24:25]
	scratch_load_b128 v[22:25], off, off offset:480
	v_add_f64 v[163:164], v[163:164], v[227:228]
	v_add_f64 v[221:222], v[221:222], v[225:226]
	v_fma_f64 v[225:226], v[4:5], v[26:27], v[229:230]
	v_fma_f64 v[227:228], v[2:3], v[26:27], -v[28:29]
	scratch_load_b128 v[26:29], off, off offset:496
	ds_load_b128 v[2:5], v1 offset:1200
	s_waitcnt vmcnt(10) lgkmcnt(1)
	v_mul_f64 v[223:224], v[217:218], v[32:33]
	v_mul_f64 v[32:33], v[219:220], v[32:33]
	s_waitcnt vmcnt(9) lgkmcnt(0)
	v_mul_f64 v[229:230], v[2:3], v[36:37]
	v_mul_f64 v[36:37], v[4:5], v[36:37]
	v_add_f64 v[163:164], v[163:164], v[153:154]
	v_add_f64 v[221:222], v[221:222], v[155:156]
	ds_load_b128 v[153:156], v1 offset:1216
	v_fma_f64 v[219:220], v[219:220], v[30:31], v[223:224]
	v_fma_f64 v[217:218], v[217:218], v[30:31], -v[32:33]
	scratch_load_b128 v[30:33], off, off offset:512
	v_add_f64 v[163:164], v[163:164], v[227:228]
	v_add_f64 v[221:222], v[221:222], v[225:226]
	v_fma_f64 v[225:226], v[4:5], v[34:35], v[229:230]
	v_fma_f64 v[227:228], v[2:3], v[34:35], -v[36:37]
	scratch_load_b128 v[34:37], off, off offset:528
	ds_load_b128 v[2:5], v1 offset:1232
	s_waitcnt vmcnt(9) lgkmcnt(1)
	v_mul_f64 v[223:224], v[153:154], v[168:169]
	v_mul_f64 v[168:169], v[155:156], v[168:169]
	v_add_f64 v[163:164], v[163:164], v[217:218]
	v_add_f64 v[221:222], v[221:222], v[219:220]
	ds_load_b128 v[217:220], v1 offset:1248
	v_fma_f64 v[223:224], v[155:156], v[166:167], v[223:224]
	v_fma_f64 v[166:167], v[153:154], v[166:167], -v[168:169]
	scratch_load_b128 v[153:156], off, off offset:544
	s_waitcnt vmcnt(9) lgkmcnt(1)
	v_mul_f64 v[229:230], v[2:3], v[40:41]
	v_mul_f64 v[40:41], v[4:5], v[40:41]
	v_add_f64 v[163:164], v[163:164], v[227:228]
	v_add_f64 v[168:169], v[221:222], v[225:226]
	s_delay_alu instid0(VALU_DEP_4) | instskip(NEXT) | instid1(VALU_DEP_4)
	v_fma_f64 v[225:226], v[4:5], v[38:39], v[229:230]
	v_fma_f64 v[227:228], v[2:3], v[38:39], -v[40:41]
	scratch_load_b128 v[38:41], off, off offset:560
	ds_load_b128 v[2:5], v1 offset:1264
	s_waitcnt vmcnt(9) lgkmcnt(1)
	v_mul_f64 v[221:222], v[217:218], v[8:9]
	v_mul_f64 v[8:9], v[219:220], v[8:9]
	v_add_f64 v[163:164], v[163:164], v[166:167]
	v_add_f64 v[223:224], v[168:169], v[223:224]
	s_waitcnt vmcnt(8) lgkmcnt(0)
	v_mul_f64 v[229:230], v[2:3], v[12:13]
	v_mul_f64 v[12:13], v[4:5], v[12:13]
	ds_load_b128 v[166:169], v1 offset:1280
	v_fma_f64 v[219:220], v[219:220], v[6:7], v[221:222]
	v_fma_f64 v[217:218], v[217:218], v[6:7], -v[8:9]
	scratch_load_b128 v[6:9], off, off offset:576
	v_add_f64 v[163:164], v[163:164], v[227:228]
	v_add_f64 v[221:222], v[223:224], v[225:226]
	v_fma_f64 v[225:226], v[4:5], v[10:11], v[229:230]
	v_fma_f64 v[227:228], v[2:3], v[10:11], -v[12:13]
	scratch_load_b128 v[10:13], off, off offset:592
	ds_load_b128 v[2:5], v1 offset:1296
	s_waitcnt vmcnt(9) lgkmcnt(1)
	v_mul_f64 v[223:224], v[166:167], v[16:17]
	v_mul_f64 v[16:17], v[168:169], v[16:17]
	s_waitcnt vmcnt(8) lgkmcnt(0)
	v_mul_f64 v[229:230], v[2:3], v[20:21]
	v_mul_f64 v[20:21], v[4:5], v[20:21]
	v_add_f64 v[163:164], v[163:164], v[217:218]
	v_add_f64 v[221:222], v[221:222], v[219:220]
	ds_load_b128 v[217:220], v1 offset:1312
	v_fma_f64 v[168:169], v[168:169], v[14:15], v[223:224]
	v_fma_f64 v[166:167], v[166:167], v[14:15], -v[16:17]
	scratch_load_b128 v[14:17], off, off offset:608
	v_add_f64 v[163:164], v[163:164], v[227:228]
	v_add_f64 v[221:222], v[221:222], v[225:226]
	v_fma_f64 v[225:226], v[4:5], v[18:19], v[229:230]
	v_fma_f64 v[227:228], v[2:3], v[18:19], -v[20:21]
	scratch_load_b128 v[18:21], off, off offset:624
	ds_load_b128 v[2:5], v1 offset:1328
	s_waitcnt vmcnt(9) lgkmcnt(1)
	v_mul_f64 v[223:224], v[217:218], v[24:25]
	v_mul_f64 v[24:25], v[219:220], v[24:25]
	s_waitcnt vmcnt(8) lgkmcnt(0)
	v_mul_f64 v[229:230], v[2:3], v[28:29]
	v_mul_f64 v[28:29], v[4:5], v[28:29]
	v_add_f64 v[163:164], v[163:164], v[166:167]
	v_add_f64 v[221:222], v[221:222], v[168:169]
	;; [unrolled: 18-line block ×8, first 2 shown]
	ds_load_b128 v[166:169], v1 offset:1536
	v_fma_f64 v[219:220], v[219:220], v[30:31], v[223:224]
	v_fma_f64 v[30:31], v[217:218], v[30:31], -v[32:33]
	s_waitcnt vmcnt(7) lgkmcnt(0)
	v_mul_f64 v[217:218], v[166:167], v[155:156]
	v_mul_f64 v[155:156], v[168:169], v[155:156]
	v_add_f64 v[32:33], v[163:164], v[227:228]
	v_add_f64 v[163:164], v[221:222], v[225:226]
	v_fma_f64 v[221:222], v[4:5], v[34:35], v[229:230]
	v_fma_f64 v[34:35], v[2:3], v[34:35], -v[36:37]
	v_fma_f64 v[168:169], v[168:169], v[153:154], v[217:218]
	v_fma_f64 v[153:154], v[166:167], v[153:154], -v[155:156]
	v_add_f64 v[36:37], v[32:33], v[30:31]
	v_add_f64 v[163:164], v[163:164], v[219:220]
	ds_load_b128 v[2:5], v1 offset:1552
	ds_load_b128 v[30:33], v1 offset:1568
	s_waitcnt vmcnt(6) lgkmcnt(1)
	v_mul_f64 v[219:220], v[2:3], v[40:41]
	v_mul_f64 v[40:41], v[4:5], v[40:41]
	s_waitcnt vmcnt(5) lgkmcnt(0)
	v_mul_f64 v[155:156], v[30:31], v[8:9]
	v_mul_f64 v[8:9], v[32:33], v[8:9]
	v_add_f64 v[34:35], v[36:37], v[34:35]
	v_add_f64 v[36:37], v[163:164], v[221:222]
	v_fma_f64 v[163:164], v[4:5], v[38:39], v[219:220]
	v_fma_f64 v[38:39], v[2:3], v[38:39], -v[40:41]
	v_fma_f64 v[32:33], v[32:33], v[6:7], v[155:156]
	v_fma_f64 v[6:7], v[30:31], v[6:7], -v[8:9]
	v_add_f64 v[40:41], v[34:35], v[153:154]
	v_add_f64 v[153:154], v[36:37], v[168:169]
	ds_load_b128 v[2:5], v1 offset:1584
	ds_load_b128 v[34:37], v1 offset:1600
	s_waitcnt vmcnt(4) lgkmcnt(1)
	v_mul_f64 v[166:167], v[2:3], v[12:13]
	v_mul_f64 v[12:13], v[4:5], v[12:13]
	v_add_f64 v[8:9], v[40:41], v[38:39]
	v_add_f64 v[30:31], v[153:154], v[163:164]
	s_waitcnt vmcnt(3) lgkmcnt(0)
	v_mul_f64 v[38:39], v[34:35], v[16:17]
	v_mul_f64 v[16:17], v[36:37], v[16:17]
	v_fma_f64 v[40:41], v[4:5], v[10:11], v[166:167]
	v_fma_f64 v[10:11], v[2:3], v[10:11], -v[12:13]
	v_add_f64 v[12:13], v[8:9], v[6:7]
	v_add_f64 v[30:31], v[30:31], v[32:33]
	ds_load_b128 v[2:5], v1 offset:1616
	ds_load_b128 v[6:9], v1 offset:1632
	v_fma_f64 v[36:37], v[36:37], v[14:15], v[38:39]
	v_fma_f64 v[14:15], v[34:35], v[14:15], -v[16:17]
	s_waitcnt vmcnt(2) lgkmcnt(1)
	v_mul_f64 v[32:33], v[2:3], v[20:21]
	v_mul_f64 v[20:21], v[4:5], v[20:21]
	s_waitcnt vmcnt(1) lgkmcnt(0)
	v_mul_f64 v[16:17], v[6:7], v[24:25]
	v_mul_f64 v[24:25], v[8:9], v[24:25]
	v_add_f64 v[10:11], v[12:13], v[10:11]
	v_add_f64 v[12:13], v[30:31], v[40:41]
	v_fma_f64 v[30:31], v[4:5], v[18:19], v[32:33]
	v_fma_f64 v[18:19], v[2:3], v[18:19], -v[20:21]
	ds_load_b128 v[2:5], v1 offset:1648
	v_fma_f64 v[8:9], v[8:9], v[22:23], v[16:17]
	v_fma_f64 v[6:7], v[6:7], v[22:23], -v[24:25]
	v_add_f64 v[10:11], v[10:11], v[14:15]
	v_add_f64 v[12:13], v[12:13], v[36:37]
	s_waitcnt vmcnt(0) lgkmcnt(0)
	v_mul_f64 v[14:15], v[2:3], v[28:29]
	v_mul_f64 v[20:21], v[4:5], v[28:29]
	s_delay_alu instid0(VALU_DEP_4) | instskip(NEXT) | instid1(VALU_DEP_4)
	v_add_f64 v[10:11], v[10:11], v[18:19]
	v_add_f64 v[12:13], v[12:13], v[30:31]
	s_delay_alu instid0(VALU_DEP_4) | instskip(NEXT) | instid1(VALU_DEP_4)
	v_fma_f64 v[4:5], v[4:5], v[26:27], v[14:15]
	v_fma_f64 v[2:3], v[2:3], v[26:27], -v[20:21]
	s_delay_alu instid0(VALU_DEP_4) | instskip(NEXT) | instid1(VALU_DEP_4)
	v_add_f64 v[6:7], v[10:11], v[6:7]
	v_add_f64 v[8:9], v[12:13], v[8:9]
	s_delay_alu instid0(VALU_DEP_2) | instskip(NEXT) | instid1(VALU_DEP_2)
	v_add_f64 v[2:3], v[6:7], v[2:3]
	v_add_f64 v[4:5], v[8:9], v[4:5]
	s_delay_alu instid0(VALU_DEP_2) | instskip(NEXT) | instid1(VALU_DEP_2)
	v_add_f64 v[2:3], v[42:43], -v[2:3]
	v_add_f64 v[4:5], v[44:45], -v[4:5]
	scratch_store_b128 off, v[2:5], off offset:224
	v_cmpx_lt_u32_e32 13, v150
	s_cbranch_execz .LBB115_299
; %bb.298:
	scratch_load_b128 v[5:8], v189, off
	v_mov_b32_e32 v2, v1
	v_mov_b32_e32 v3, v1
	;; [unrolled: 1-line block ×3, first 2 shown]
	scratch_store_b128 off, v[1:4], off offset:208
	s_waitcnt vmcnt(0)
	ds_store_b128 v202, v[5:8]
.LBB115_299:
	s_or_b32 exec_lo, exec_lo, s2
	s_waitcnt lgkmcnt(0)
	s_waitcnt_vscnt null, 0x0
	s_barrier
	buffer_gl0_inv
	s_clause 0x8
	scratch_load_b128 v[2:5], off, off offset:224
	scratch_load_b128 v[6:9], off, off offset:240
	;; [unrolled: 1-line block ×9, first 2 shown]
	ds_load_b128 v[42:45], v1 offset:1056
	ds_load_b128 v[38:41], v1 offset:1072
	s_clause 0x1
	scratch_load_b128 v[153:156], off, off offset:208
	scratch_load_b128 v[166:169], off, off offset:368
	s_mov_b32 s2, exec_lo
	ds_load_b128 v[217:220], v1 offset:1104
	s_waitcnt vmcnt(10) lgkmcnt(2)
	v_mul_f64 v[163:164], v[44:45], v[4:5]
	v_mul_f64 v[4:5], v[42:43], v[4:5]
	s_waitcnt vmcnt(9) lgkmcnt(1)
	v_mul_f64 v[221:222], v[38:39], v[8:9]
	v_mul_f64 v[8:9], v[40:41], v[8:9]
	s_delay_alu instid0(VALU_DEP_4) | instskip(NEXT) | instid1(VALU_DEP_4)
	v_fma_f64 v[163:164], v[42:43], v[2:3], -v[163:164]
	v_fma_f64 v[223:224], v[44:45], v[2:3], v[4:5]
	ds_load_b128 v[2:5], v1 offset:1088
	scratch_load_b128 v[42:45], off, off offset:384
	v_fma_f64 v[40:41], v[40:41], v[6:7], v[221:222]
	v_fma_f64 v[38:39], v[38:39], v[6:7], -v[8:9]
	scratch_load_b128 v[6:9], off, off offset:400
	s_waitcnt vmcnt(10) lgkmcnt(0)
	v_mul_f64 v[225:226], v[2:3], v[12:13]
	v_mul_f64 v[12:13], v[4:5], v[12:13]
	v_add_f64 v[163:164], v[163:164], 0
	v_add_f64 v[221:222], v[223:224], 0
	s_waitcnt vmcnt(9)
	v_mul_f64 v[223:224], v[217:218], v[16:17]
	v_mul_f64 v[16:17], v[219:220], v[16:17]
	v_fma_f64 v[225:226], v[4:5], v[10:11], v[225:226]
	v_fma_f64 v[227:228], v[2:3], v[10:11], -v[12:13]
	ds_load_b128 v[2:5], v1 offset:1120
	scratch_load_b128 v[10:13], off, off offset:416
	v_add_f64 v[163:164], v[163:164], v[38:39]
	v_add_f64 v[221:222], v[221:222], v[40:41]
	ds_load_b128 v[38:41], v1 offset:1136
	v_fma_f64 v[219:220], v[219:220], v[14:15], v[223:224]
	v_fma_f64 v[217:218], v[217:218], v[14:15], -v[16:17]
	scratch_load_b128 v[14:17], off, off offset:432
	s_waitcnt vmcnt(10) lgkmcnt(1)
	v_mul_f64 v[229:230], v[2:3], v[20:21]
	v_mul_f64 v[20:21], v[4:5], v[20:21]
	s_waitcnt vmcnt(9) lgkmcnt(0)
	v_mul_f64 v[223:224], v[38:39], v[24:25]
	v_mul_f64 v[24:25], v[40:41], v[24:25]
	v_add_f64 v[163:164], v[163:164], v[227:228]
	v_add_f64 v[221:222], v[221:222], v[225:226]
	v_fma_f64 v[225:226], v[4:5], v[18:19], v[229:230]
	v_fma_f64 v[227:228], v[2:3], v[18:19], -v[20:21]
	ds_load_b128 v[2:5], v1 offset:1152
	scratch_load_b128 v[18:21], off, off offset:448
	v_fma_f64 v[40:41], v[40:41], v[22:23], v[223:224]
	v_fma_f64 v[38:39], v[38:39], v[22:23], -v[24:25]
	scratch_load_b128 v[22:25], off, off offset:464
	v_add_f64 v[163:164], v[163:164], v[217:218]
	v_add_f64 v[221:222], v[221:222], v[219:220]
	ds_load_b128 v[217:220], v1 offset:1168
	s_waitcnt vmcnt(10) lgkmcnt(1)
	v_mul_f64 v[229:230], v[2:3], v[28:29]
	v_mul_f64 v[28:29], v[4:5], v[28:29]
	s_waitcnt vmcnt(9) lgkmcnt(0)
	v_mul_f64 v[223:224], v[217:218], v[32:33]
	v_mul_f64 v[32:33], v[219:220], v[32:33]
	v_add_f64 v[163:164], v[163:164], v[227:228]
	v_add_f64 v[221:222], v[221:222], v[225:226]
	v_fma_f64 v[225:226], v[4:5], v[26:27], v[229:230]
	v_fma_f64 v[227:228], v[2:3], v[26:27], -v[28:29]
	ds_load_b128 v[2:5], v1 offset:1184
	scratch_load_b128 v[26:29], off, off offset:480
	v_fma_f64 v[219:220], v[219:220], v[30:31], v[223:224]
	v_fma_f64 v[217:218], v[217:218], v[30:31], -v[32:33]
	scratch_load_b128 v[30:33], off, off offset:496
	v_add_f64 v[163:164], v[163:164], v[38:39]
	v_add_f64 v[221:222], v[221:222], v[40:41]
	ds_load_b128 v[38:41], v1 offset:1200
	;; [unrolled: 18-line block ×3, first 2 shown]
	s_waitcnt vmcnt(9) lgkmcnt(1)
	v_mul_f64 v[229:230], v[2:3], v[44:45]
	v_mul_f64 v[44:45], v[4:5], v[44:45]
	v_add_f64 v[163:164], v[163:164], v[227:228]
	v_add_f64 v[168:169], v[221:222], v[225:226]
	s_waitcnt vmcnt(8) lgkmcnt(0)
	v_mul_f64 v[221:222], v[217:218], v[8:9]
	v_mul_f64 v[8:9], v[219:220], v[8:9]
	v_fma_f64 v[225:226], v[4:5], v[42:43], v[229:230]
	v_fma_f64 v[227:228], v[2:3], v[42:43], -v[44:45]
	ds_load_b128 v[2:5], v1 offset:1248
	scratch_load_b128 v[42:45], off, off offset:544
	v_add_f64 v[163:164], v[163:164], v[166:167]
	v_add_f64 v[223:224], v[168:169], v[223:224]
	ds_load_b128 v[166:169], v1 offset:1264
	s_waitcnt vmcnt(8) lgkmcnt(1)
	v_mul_f64 v[229:230], v[2:3], v[12:13]
	v_mul_f64 v[12:13], v[4:5], v[12:13]
	v_fma_f64 v[219:220], v[219:220], v[6:7], v[221:222]
	v_fma_f64 v[217:218], v[217:218], v[6:7], -v[8:9]
	scratch_load_b128 v[6:9], off, off offset:560
	v_add_f64 v[163:164], v[163:164], v[227:228]
	v_add_f64 v[221:222], v[223:224], v[225:226]
	s_waitcnt vmcnt(8) lgkmcnt(0)
	v_mul_f64 v[223:224], v[166:167], v[16:17]
	v_mul_f64 v[16:17], v[168:169], v[16:17]
	v_fma_f64 v[225:226], v[4:5], v[10:11], v[229:230]
	v_fma_f64 v[227:228], v[2:3], v[10:11], -v[12:13]
	ds_load_b128 v[2:5], v1 offset:1280
	scratch_load_b128 v[10:13], off, off offset:576
	v_add_f64 v[163:164], v[163:164], v[217:218]
	v_add_f64 v[221:222], v[221:222], v[219:220]
	ds_load_b128 v[217:220], v1 offset:1296
	s_waitcnt vmcnt(8) lgkmcnt(1)
	v_mul_f64 v[229:230], v[2:3], v[20:21]
	v_mul_f64 v[20:21], v[4:5], v[20:21]
	v_fma_f64 v[168:169], v[168:169], v[14:15], v[223:224]
	v_fma_f64 v[166:167], v[166:167], v[14:15], -v[16:17]
	scratch_load_b128 v[14:17], off, off offset:592
	s_waitcnt vmcnt(8) lgkmcnt(0)
	v_mul_f64 v[223:224], v[217:218], v[24:25]
	v_mul_f64 v[24:25], v[219:220], v[24:25]
	v_add_f64 v[163:164], v[163:164], v[227:228]
	v_add_f64 v[221:222], v[221:222], v[225:226]
	v_fma_f64 v[225:226], v[4:5], v[18:19], v[229:230]
	v_fma_f64 v[227:228], v[2:3], v[18:19], -v[20:21]
	ds_load_b128 v[2:5], v1 offset:1312
	scratch_load_b128 v[18:21], off, off offset:608
	v_fma_f64 v[219:220], v[219:220], v[22:23], v[223:224]
	v_fma_f64 v[217:218], v[217:218], v[22:23], -v[24:25]
	scratch_load_b128 v[22:25], off, off offset:624
	v_add_f64 v[163:164], v[163:164], v[166:167]
	v_add_f64 v[221:222], v[221:222], v[168:169]
	ds_load_b128 v[166:169], v1 offset:1328
	s_waitcnt vmcnt(9) lgkmcnt(1)
	v_mul_f64 v[229:230], v[2:3], v[28:29]
	v_mul_f64 v[28:29], v[4:5], v[28:29]
	s_waitcnt vmcnt(8) lgkmcnt(0)
	v_mul_f64 v[223:224], v[166:167], v[32:33]
	v_mul_f64 v[32:33], v[168:169], v[32:33]
	v_add_f64 v[163:164], v[163:164], v[227:228]
	v_add_f64 v[221:222], v[221:222], v[225:226]
	v_fma_f64 v[225:226], v[4:5], v[26:27], v[229:230]
	v_fma_f64 v[227:228], v[2:3], v[26:27], -v[28:29]
	ds_load_b128 v[2:5], v1 offset:1344
	scratch_load_b128 v[26:29], off, off offset:640
	v_fma_f64 v[168:169], v[168:169], v[30:31], v[223:224]
	v_fma_f64 v[166:167], v[166:167], v[30:31], -v[32:33]
	scratch_load_b128 v[30:33], off, off offset:656
	v_add_f64 v[163:164], v[163:164], v[217:218]
	v_add_f64 v[221:222], v[221:222], v[219:220]
	ds_load_b128 v[217:220], v1 offset:1360
	s_waitcnt vmcnt(9) lgkmcnt(1)
	v_mul_f64 v[229:230], v[2:3], v[36:37]
	v_mul_f64 v[36:37], v[4:5], v[36:37]
	;; [unrolled: 18-line block ×7, first 2 shown]
	s_waitcnt vmcnt(8) lgkmcnt(0)
	v_mul_f64 v[223:224], v[166:167], v[40:41]
	v_mul_f64 v[40:41], v[168:169], v[40:41]
	v_add_f64 v[163:164], v[163:164], v[227:228]
	v_add_f64 v[221:222], v[221:222], v[225:226]
	v_fma_f64 v[225:226], v[4:5], v[34:35], v[229:230]
	v_fma_f64 v[227:228], v[2:3], v[34:35], -v[36:37]
	ds_load_b128 v[2:5], v1 offset:1536
	ds_load_b128 v[34:37], v1 offset:1552
	v_fma_f64 v[168:169], v[168:169], v[38:39], v[223:224]
	v_fma_f64 v[38:39], v[166:167], v[38:39], -v[40:41]
	v_add_f64 v[163:164], v[163:164], v[217:218]
	v_add_f64 v[217:218], v[221:222], v[219:220]
	s_waitcnt vmcnt(7) lgkmcnt(1)
	v_mul_f64 v[219:220], v[2:3], v[44:45]
	v_mul_f64 v[44:45], v[4:5], v[44:45]
	s_waitcnt vmcnt(6) lgkmcnt(0)
	v_mul_f64 v[166:167], v[34:35], v[8:9]
	v_mul_f64 v[8:9], v[36:37], v[8:9]
	v_add_f64 v[40:41], v[163:164], v[227:228]
	v_add_f64 v[163:164], v[217:218], v[225:226]
	v_fma_f64 v[217:218], v[4:5], v[42:43], v[219:220]
	v_fma_f64 v[42:43], v[2:3], v[42:43], -v[44:45]
	v_fma_f64 v[36:37], v[36:37], v[6:7], v[166:167]
	v_fma_f64 v[6:7], v[34:35], v[6:7], -v[8:9]
	v_add_f64 v[44:45], v[40:41], v[38:39]
	v_add_f64 v[163:164], v[163:164], v[168:169]
	ds_load_b128 v[2:5], v1 offset:1568
	ds_load_b128 v[38:41], v1 offset:1584
	s_waitcnt vmcnt(5) lgkmcnt(1)
	v_mul_f64 v[168:169], v[2:3], v[12:13]
	v_mul_f64 v[12:13], v[4:5], v[12:13]
	v_add_f64 v[8:9], v[44:45], v[42:43]
	v_add_f64 v[34:35], v[163:164], v[217:218]
	s_waitcnt vmcnt(4) lgkmcnt(0)
	v_mul_f64 v[42:43], v[38:39], v[16:17]
	v_mul_f64 v[16:17], v[40:41], v[16:17]
	v_fma_f64 v[44:45], v[4:5], v[10:11], v[168:169]
	v_fma_f64 v[10:11], v[2:3], v[10:11], -v[12:13]
	v_add_f64 v[12:13], v[8:9], v[6:7]
	v_add_f64 v[34:35], v[34:35], v[36:37]
	ds_load_b128 v[2:5], v1 offset:1600
	ds_load_b128 v[6:9], v1 offset:1616
	v_fma_f64 v[40:41], v[40:41], v[14:15], v[42:43]
	v_fma_f64 v[14:15], v[38:39], v[14:15], -v[16:17]
	s_waitcnt vmcnt(3) lgkmcnt(1)
	v_mul_f64 v[36:37], v[2:3], v[20:21]
	v_mul_f64 v[20:21], v[4:5], v[20:21]
	s_waitcnt vmcnt(2) lgkmcnt(0)
	v_mul_f64 v[16:17], v[6:7], v[24:25]
	v_mul_f64 v[24:25], v[8:9], v[24:25]
	v_add_f64 v[10:11], v[12:13], v[10:11]
	v_add_f64 v[12:13], v[34:35], v[44:45]
	v_fma_f64 v[34:35], v[4:5], v[18:19], v[36:37]
	v_fma_f64 v[18:19], v[2:3], v[18:19], -v[20:21]
	v_fma_f64 v[8:9], v[8:9], v[22:23], v[16:17]
	v_fma_f64 v[6:7], v[6:7], v[22:23], -v[24:25]
	v_add_f64 v[14:15], v[10:11], v[14:15]
	v_add_f64 v[20:21], v[12:13], v[40:41]
	ds_load_b128 v[2:5], v1 offset:1632
	ds_load_b128 v[10:13], v1 offset:1648
	s_waitcnt vmcnt(1) lgkmcnt(1)
	v_mul_f64 v[36:37], v[2:3], v[28:29]
	v_mul_f64 v[28:29], v[4:5], v[28:29]
	v_add_f64 v[14:15], v[14:15], v[18:19]
	v_add_f64 v[16:17], v[20:21], v[34:35]
	s_waitcnt vmcnt(0) lgkmcnt(0)
	v_mul_f64 v[18:19], v[10:11], v[32:33]
	v_mul_f64 v[20:21], v[12:13], v[32:33]
	v_fma_f64 v[4:5], v[4:5], v[26:27], v[36:37]
	v_fma_f64 v[1:2], v[2:3], v[26:27], -v[28:29]
	v_add_f64 v[6:7], v[14:15], v[6:7]
	v_add_f64 v[8:9], v[16:17], v[8:9]
	v_fma_f64 v[12:13], v[12:13], v[30:31], v[18:19]
	v_fma_f64 v[10:11], v[10:11], v[30:31], -v[20:21]
	s_delay_alu instid0(VALU_DEP_4) | instskip(NEXT) | instid1(VALU_DEP_4)
	v_add_f64 v[1:2], v[6:7], v[1:2]
	v_add_f64 v[3:4], v[8:9], v[4:5]
	s_delay_alu instid0(VALU_DEP_2) | instskip(NEXT) | instid1(VALU_DEP_2)
	v_add_f64 v[1:2], v[1:2], v[10:11]
	v_add_f64 v[3:4], v[3:4], v[12:13]
	s_delay_alu instid0(VALU_DEP_2) | instskip(NEXT) | instid1(VALU_DEP_2)
	v_add_f64 v[1:2], v[153:154], -v[1:2]
	v_add_f64 v[3:4], v[155:156], -v[3:4]
	scratch_store_b128 off, v[1:4], off offset:208
	v_cmpx_lt_u32_e32 12, v150
	s_cbranch_execz .LBB115_301
; %bb.300:
	scratch_load_b128 v[1:4], v190, off
	v_mov_b32_e32 v5, 0
	s_delay_alu instid0(VALU_DEP_1)
	v_mov_b32_e32 v6, v5
	v_mov_b32_e32 v7, v5
	;; [unrolled: 1-line block ×3, first 2 shown]
	scratch_store_b128 off, v[5:8], off offset:192
	s_waitcnt vmcnt(0)
	ds_store_b128 v202, v[1:4]
.LBB115_301:
	s_or_b32 exec_lo, exec_lo, s2
	s_waitcnt lgkmcnt(0)
	s_waitcnt_vscnt null, 0x0
	s_barrier
	buffer_gl0_inv
	s_clause 0x7
	scratch_load_b128 v[2:5], off, off offset:208
	scratch_load_b128 v[6:9], off, off offset:224
	;; [unrolled: 1-line block ×8, first 2 shown]
	v_mov_b32_e32 v1, 0
	s_mov_b32 s2, exec_lo
	ds_load_b128 v[38:41], v1 offset:1040
	s_clause 0x1
	scratch_load_b128 v[34:37], off, off offset:336
	scratch_load_b128 v[42:45], off, off offset:192
	ds_load_b128 v[153:156], v1 offset:1056
	scratch_load_b128 v[166:169], off, off offset:352
	ds_load_b128 v[217:220], v1 offset:1088
	s_waitcnt vmcnt(10) lgkmcnt(2)
	v_mul_f64 v[163:164], v[40:41], v[4:5]
	v_mul_f64 v[4:5], v[38:39], v[4:5]
	s_delay_alu instid0(VALU_DEP_2) | instskip(NEXT) | instid1(VALU_DEP_2)
	v_fma_f64 v[163:164], v[38:39], v[2:3], -v[163:164]
	v_fma_f64 v[223:224], v[40:41], v[2:3], v[4:5]
	ds_load_b128 v[2:5], v1 offset:1072
	s_waitcnt vmcnt(9) lgkmcnt(2)
	v_mul_f64 v[221:222], v[153:154], v[8:9]
	v_mul_f64 v[8:9], v[155:156], v[8:9]
	scratch_load_b128 v[38:41], off, off offset:368
	s_waitcnt vmcnt(9) lgkmcnt(0)
	v_mul_f64 v[225:226], v[2:3], v[12:13]
	v_mul_f64 v[12:13], v[4:5], v[12:13]
	v_add_f64 v[163:164], v[163:164], 0
	v_fma_f64 v[155:156], v[155:156], v[6:7], v[221:222]
	v_fma_f64 v[153:154], v[153:154], v[6:7], -v[8:9]
	v_add_f64 v[221:222], v[223:224], 0
	scratch_load_b128 v[6:9], off, off offset:384
	v_fma_f64 v[225:226], v[4:5], v[10:11], v[225:226]
	v_fma_f64 v[227:228], v[2:3], v[10:11], -v[12:13]
	scratch_load_b128 v[10:13], off, off offset:400
	ds_load_b128 v[2:5], v1 offset:1104
	s_waitcnt vmcnt(10)
	v_mul_f64 v[223:224], v[217:218], v[16:17]
	v_mul_f64 v[16:17], v[219:220], v[16:17]
	v_add_f64 v[163:164], v[163:164], v[153:154]
	v_add_f64 v[221:222], v[221:222], v[155:156]
	ds_load_b128 v[153:156], v1 offset:1120
	s_waitcnt vmcnt(9) lgkmcnt(1)
	v_mul_f64 v[229:230], v[2:3], v[20:21]
	v_mul_f64 v[20:21], v[4:5], v[20:21]
	v_fma_f64 v[219:220], v[219:220], v[14:15], v[223:224]
	v_fma_f64 v[217:218], v[217:218], v[14:15], -v[16:17]
	scratch_load_b128 v[14:17], off, off offset:416
	v_add_f64 v[163:164], v[163:164], v[227:228]
	v_add_f64 v[221:222], v[221:222], v[225:226]
	v_fma_f64 v[225:226], v[4:5], v[18:19], v[229:230]
	v_fma_f64 v[227:228], v[2:3], v[18:19], -v[20:21]
	scratch_load_b128 v[18:21], off, off offset:432
	ds_load_b128 v[2:5], v1 offset:1136
	s_waitcnt vmcnt(10) lgkmcnt(1)
	v_mul_f64 v[223:224], v[153:154], v[24:25]
	v_mul_f64 v[24:25], v[155:156], v[24:25]
	s_waitcnt vmcnt(9) lgkmcnt(0)
	v_mul_f64 v[229:230], v[2:3], v[28:29]
	v_mul_f64 v[28:29], v[4:5], v[28:29]
	v_add_f64 v[163:164], v[163:164], v[217:218]
	v_add_f64 v[221:222], v[221:222], v[219:220]
	ds_load_b128 v[217:220], v1 offset:1152
	v_fma_f64 v[155:156], v[155:156], v[22:23], v[223:224]
	v_fma_f64 v[153:154], v[153:154], v[22:23], -v[24:25]
	scratch_load_b128 v[22:25], off, off offset:448
	v_add_f64 v[163:164], v[163:164], v[227:228]
	v_add_f64 v[221:222], v[221:222], v[225:226]
	v_fma_f64 v[225:226], v[4:5], v[26:27], v[229:230]
	v_fma_f64 v[227:228], v[2:3], v[26:27], -v[28:29]
	scratch_load_b128 v[26:29], off, off offset:464
	ds_load_b128 v[2:5], v1 offset:1168
	s_waitcnt vmcnt(10) lgkmcnt(1)
	v_mul_f64 v[223:224], v[217:218], v[32:33]
	v_mul_f64 v[32:33], v[219:220], v[32:33]
	s_waitcnt vmcnt(9) lgkmcnt(0)
	v_mul_f64 v[229:230], v[2:3], v[36:37]
	v_mul_f64 v[36:37], v[4:5], v[36:37]
	v_add_f64 v[163:164], v[163:164], v[153:154]
	v_add_f64 v[221:222], v[221:222], v[155:156]
	ds_load_b128 v[153:156], v1 offset:1184
	v_fma_f64 v[219:220], v[219:220], v[30:31], v[223:224]
	v_fma_f64 v[217:218], v[217:218], v[30:31], -v[32:33]
	scratch_load_b128 v[30:33], off, off offset:480
	v_add_f64 v[163:164], v[163:164], v[227:228]
	v_add_f64 v[221:222], v[221:222], v[225:226]
	v_fma_f64 v[225:226], v[4:5], v[34:35], v[229:230]
	v_fma_f64 v[227:228], v[2:3], v[34:35], -v[36:37]
	scratch_load_b128 v[34:37], off, off offset:496
	ds_load_b128 v[2:5], v1 offset:1200
	s_waitcnt vmcnt(9) lgkmcnt(1)
	v_mul_f64 v[223:224], v[153:154], v[168:169]
	v_mul_f64 v[168:169], v[155:156], v[168:169]
	v_add_f64 v[163:164], v[163:164], v[217:218]
	v_add_f64 v[221:222], v[221:222], v[219:220]
	ds_load_b128 v[217:220], v1 offset:1216
	v_fma_f64 v[223:224], v[155:156], v[166:167], v[223:224]
	v_fma_f64 v[166:167], v[153:154], v[166:167], -v[168:169]
	scratch_load_b128 v[153:156], off, off offset:512
	s_waitcnt vmcnt(9) lgkmcnt(1)
	v_mul_f64 v[229:230], v[2:3], v[40:41]
	v_mul_f64 v[40:41], v[4:5], v[40:41]
	v_add_f64 v[163:164], v[163:164], v[227:228]
	v_add_f64 v[168:169], v[221:222], v[225:226]
	s_delay_alu instid0(VALU_DEP_4) | instskip(NEXT) | instid1(VALU_DEP_4)
	v_fma_f64 v[225:226], v[4:5], v[38:39], v[229:230]
	v_fma_f64 v[227:228], v[2:3], v[38:39], -v[40:41]
	scratch_load_b128 v[38:41], off, off offset:528
	ds_load_b128 v[2:5], v1 offset:1232
	s_waitcnt vmcnt(9) lgkmcnt(1)
	v_mul_f64 v[221:222], v[217:218], v[8:9]
	v_mul_f64 v[8:9], v[219:220], v[8:9]
	v_add_f64 v[163:164], v[163:164], v[166:167]
	v_add_f64 v[223:224], v[168:169], v[223:224]
	s_waitcnt vmcnt(8) lgkmcnt(0)
	v_mul_f64 v[229:230], v[2:3], v[12:13]
	v_mul_f64 v[12:13], v[4:5], v[12:13]
	ds_load_b128 v[166:169], v1 offset:1248
	v_fma_f64 v[219:220], v[219:220], v[6:7], v[221:222]
	v_fma_f64 v[217:218], v[217:218], v[6:7], -v[8:9]
	scratch_load_b128 v[6:9], off, off offset:544
	v_add_f64 v[163:164], v[163:164], v[227:228]
	v_add_f64 v[221:222], v[223:224], v[225:226]
	v_fma_f64 v[225:226], v[4:5], v[10:11], v[229:230]
	v_fma_f64 v[227:228], v[2:3], v[10:11], -v[12:13]
	scratch_load_b128 v[10:13], off, off offset:560
	ds_load_b128 v[2:5], v1 offset:1264
	s_waitcnt vmcnt(9) lgkmcnt(1)
	v_mul_f64 v[223:224], v[166:167], v[16:17]
	v_mul_f64 v[16:17], v[168:169], v[16:17]
	s_waitcnt vmcnt(8) lgkmcnt(0)
	v_mul_f64 v[229:230], v[2:3], v[20:21]
	v_mul_f64 v[20:21], v[4:5], v[20:21]
	v_add_f64 v[163:164], v[163:164], v[217:218]
	v_add_f64 v[221:222], v[221:222], v[219:220]
	ds_load_b128 v[217:220], v1 offset:1280
	v_fma_f64 v[168:169], v[168:169], v[14:15], v[223:224]
	v_fma_f64 v[166:167], v[166:167], v[14:15], -v[16:17]
	scratch_load_b128 v[14:17], off, off offset:576
	v_add_f64 v[163:164], v[163:164], v[227:228]
	v_add_f64 v[221:222], v[221:222], v[225:226]
	v_fma_f64 v[225:226], v[4:5], v[18:19], v[229:230]
	v_fma_f64 v[227:228], v[2:3], v[18:19], -v[20:21]
	scratch_load_b128 v[18:21], off, off offset:592
	ds_load_b128 v[2:5], v1 offset:1296
	s_waitcnt vmcnt(9) lgkmcnt(1)
	v_mul_f64 v[223:224], v[217:218], v[24:25]
	v_mul_f64 v[24:25], v[219:220], v[24:25]
	s_waitcnt vmcnt(8) lgkmcnt(0)
	v_mul_f64 v[229:230], v[2:3], v[28:29]
	v_mul_f64 v[28:29], v[4:5], v[28:29]
	v_add_f64 v[163:164], v[163:164], v[166:167]
	v_add_f64 v[221:222], v[221:222], v[168:169]
	;; [unrolled: 18-line block ×9, first 2 shown]
	ds_load_b128 v[217:220], v1 offset:1536
	v_fma_f64 v[168:169], v[168:169], v[153:154], v[223:224]
	v_fma_f64 v[153:154], v[166:167], v[153:154], -v[155:156]
	s_waitcnt vmcnt(7) lgkmcnt(0)
	v_mul_f64 v[166:167], v[217:218], v[8:9]
	v_mul_f64 v[8:9], v[219:220], v[8:9]
	v_fma_f64 v[223:224], v[2:3], v[38:39], -v[40:41]
	v_add_f64 v[155:156], v[163:164], v[227:228]
	v_add_f64 v[163:164], v[221:222], v[225:226]
	v_fma_f64 v[221:222], v[4:5], v[38:39], v[229:230]
	ds_load_b128 v[2:5], v1 offset:1552
	ds_load_b128 v[38:41], v1 offset:1568
	v_fma_f64 v[166:167], v[219:220], v[6:7], v[166:167]
	v_fma_f64 v[6:7], v[217:218], v[6:7], -v[8:9]
	v_add_f64 v[153:154], v[155:156], v[153:154]
	v_add_f64 v[155:156], v[163:164], v[168:169]
	s_waitcnt vmcnt(6) lgkmcnt(1)
	v_mul_f64 v[163:164], v[2:3], v[12:13]
	v_mul_f64 v[12:13], v[4:5], v[12:13]
	s_delay_alu instid0(VALU_DEP_4) | instskip(NEXT) | instid1(VALU_DEP_4)
	v_add_f64 v[8:9], v[153:154], v[223:224]
	v_add_f64 v[153:154], v[155:156], v[221:222]
	s_waitcnt vmcnt(5) lgkmcnt(0)
	v_mul_f64 v[155:156], v[38:39], v[16:17]
	v_mul_f64 v[16:17], v[40:41], v[16:17]
	v_fma_f64 v[163:164], v[4:5], v[10:11], v[163:164]
	v_fma_f64 v[10:11], v[2:3], v[10:11], -v[12:13]
	v_add_f64 v[12:13], v[8:9], v[6:7]
	v_add_f64 v[153:154], v[153:154], v[166:167]
	ds_load_b128 v[2:5], v1 offset:1584
	ds_load_b128 v[6:9], v1 offset:1600
	v_fma_f64 v[40:41], v[40:41], v[14:15], v[155:156]
	v_fma_f64 v[14:15], v[38:39], v[14:15], -v[16:17]
	s_waitcnt vmcnt(4) lgkmcnt(1)
	v_mul_f64 v[166:167], v[2:3], v[20:21]
	v_mul_f64 v[20:21], v[4:5], v[20:21]
	s_waitcnt vmcnt(3) lgkmcnt(0)
	v_mul_f64 v[16:17], v[6:7], v[24:25]
	v_mul_f64 v[24:25], v[8:9], v[24:25]
	v_add_f64 v[10:11], v[12:13], v[10:11]
	v_add_f64 v[12:13], v[153:154], v[163:164]
	v_fma_f64 v[38:39], v[4:5], v[18:19], v[166:167]
	v_fma_f64 v[18:19], v[2:3], v[18:19], -v[20:21]
	v_fma_f64 v[8:9], v[8:9], v[22:23], v[16:17]
	v_fma_f64 v[6:7], v[6:7], v[22:23], -v[24:25]
	v_add_f64 v[14:15], v[10:11], v[14:15]
	v_add_f64 v[20:21], v[12:13], v[40:41]
	ds_load_b128 v[2:5], v1 offset:1616
	ds_load_b128 v[10:13], v1 offset:1632
	s_waitcnt vmcnt(2) lgkmcnt(1)
	v_mul_f64 v[40:41], v[2:3], v[28:29]
	v_mul_f64 v[28:29], v[4:5], v[28:29]
	v_add_f64 v[14:15], v[14:15], v[18:19]
	v_add_f64 v[16:17], v[20:21], v[38:39]
	s_waitcnt vmcnt(1) lgkmcnt(0)
	v_mul_f64 v[18:19], v[10:11], v[32:33]
	v_mul_f64 v[20:21], v[12:13], v[32:33]
	v_fma_f64 v[22:23], v[4:5], v[26:27], v[40:41]
	v_fma_f64 v[24:25], v[2:3], v[26:27], -v[28:29]
	ds_load_b128 v[2:5], v1 offset:1648
	v_add_f64 v[6:7], v[14:15], v[6:7]
	v_add_f64 v[8:9], v[16:17], v[8:9]
	v_fma_f64 v[12:13], v[12:13], v[30:31], v[18:19]
	v_fma_f64 v[10:11], v[10:11], v[30:31], -v[20:21]
	s_waitcnt vmcnt(0) lgkmcnt(0)
	v_mul_f64 v[14:15], v[2:3], v[36:37]
	v_mul_f64 v[16:17], v[4:5], v[36:37]
	v_add_f64 v[6:7], v[6:7], v[24:25]
	v_add_f64 v[8:9], v[8:9], v[22:23]
	s_delay_alu instid0(VALU_DEP_4) | instskip(NEXT) | instid1(VALU_DEP_4)
	v_fma_f64 v[4:5], v[4:5], v[34:35], v[14:15]
	v_fma_f64 v[2:3], v[2:3], v[34:35], -v[16:17]
	s_delay_alu instid0(VALU_DEP_4) | instskip(NEXT) | instid1(VALU_DEP_4)
	v_add_f64 v[6:7], v[6:7], v[10:11]
	v_add_f64 v[8:9], v[8:9], v[12:13]
	s_delay_alu instid0(VALU_DEP_2) | instskip(NEXT) | instid1(VALU_DEP_2)
	v_add_f64 v[2:3], v[6:7], v[2:3]
	v_add_f64 v[4:5], v[8:9], v[4:5]
	s_delay_alu instid0(VALU_DEP_2) | instskip(NEXT) | instid1(VALU_DEP_2)
	v_add_f64 v[2:3], v[42:43], -v[2:3]
	v_add_f64 v[4:5], v[44:45], -v[4:5]
	scratch_store_b128 off, v[2:5], off offset:192
	v_cmpx_lt_u32_e32 11, v150
	s_cbranch_execz .LBB115_303
; %bb.302:
	scratch_load_b128 v[5:8], v191, off
	v_mov_b32_e32 v2, v1
	v_mov_b32_e32 v3, v1
	;; [unrolled: 1-line block ×3, first 2 shown]
	scratch_store_b128 off, v[1:4], off offset:176
	s_waitcnt vmcnt(0)
	ds_store_b128 v202, v[5:8]
.LBB115_303:
	s_or_b32 exec_lo, exec_lo, s2
	s_waitcnt lgkmcnt(0)
	s_waitcnt_vscnt null, 0x0
	s_barrier
	buffer_gl0_inv
	s_clause 0x8
	scratch_load_b128 v[2:5], off, off offset:192
	scratch_load_b128 v[6:9], off, off offset:208
	;; [unrolled: 1-line block ×9, first 2 shown]
	ds_load_b128 v[42:45], v1 offset:1024
	ds_load_b128 v[38:41], v1 offset:1040
	s_clause 0x1
	scratch_load_b128 v[153:156], off, off offset:176
	scratch_load_b128 v[166:169], off, off offset:336
	s_mov_b32 s2, exec_lo
	ds_load_b128 v[217:220], v1 offset:1072
	s_waitcnt vmcnt(10) lgkmcnt(2)
	v_mul_f64 v[163:164], v[44:45], v[4:5]
	v_mul_f64 v[4:5], v[42:43], v[4:5]
	s_waitcnt vmcnt(9) lgkmcnt(1)
	v_mul_f64 v[221:222], v[38:39], v[8:9]
	v_mul_f64 v[8:9], v[40:41], v[8:9]
	s_delay_alu instid0(VALU_DEP_4) | instskip(NEXT) | instid1(VALU_DEP_4)
	v_fma_f64 v[163:164], v[42:43], v[2:3], -v[163:164]
	v_fma_f64 v[223:224], v[44:45], v[2:3], v[4:5]
	ds_load_b128 v[2:5], v1 offset:1056
	scratch_load_b128 v[42:45], off, off offset:352
	v_fma_f64 v[40:41], v[40:41], v[6:7], v[221:222]
	v_fma_f64 v[38:39], v[38:39], v[6:7], -v[8:9]
	scratch_load_b128 v[6:9], off, off offset:368
	s_waitcnt vmcnt(10) lgkmcnt(0)
	v_mul_f64 v[225:226], v[2:3], v[12:13]
	v_mul_f64 v[12:13], v[4:5], v[12:13]
	v_add_f64 v[163:164], v[163:164], 0
	v_add_f64 v[221:222], v[223:224], 0
	s_waitcnt vmcnt(9)
	v_mul_f64 v[223:224], v[217:218], v[16:17]
	v_mul_f64 v[16:17], v[219:220], v[16:17]
	v_fma_f64 v[225:226], v[4:5], v[10:11], v[225:226]
	v_fma_f64 v[227:228], v[2:3], v[10:11], -v[12:13]
	ds_load_b128 v[2:5], v1 offset:1088
	scratch_load_b128 v[10:13], off, off offset:384
	v_add_f64 v[163:164], v[163:164], v[38:39]
	v_add_f64 v[221:222], v[221:222], v[40:41]
	ds_load_b128 v[38:41], v1 offset:1104
	v_fma_f64 v[219:220], v[219:220], v[14:15], v[223:224]
	v_fma_f64 v[217:218], v[217:218], v[14:15], -v[16:17]
	scratch_load_b128 v[14:17], off, off offset:400
	s_waitcnt vmcnt(10) lgkmcnt(1)
	v_mul_f64 v[229:230], v[2:3], v[20:21]
	v_mul_f64 v[20:21], v[4:5], v[20:21]
	s_waitcnt vmcnt(9) lgkmcnt(0)
	v_mul_f64 v[223:224], v[38:39], v[24:25]
	v_mul_f64 v[24:25], v[40:41], v[24:25]
	v_add_f64 v[163:164], v[163:164], v[227:228]
	v_add_f64 v[221:222], v[221:222], v[225:226]
	v_fma_f64 v[225:226], v[4:5], v[18:19], v[229:230]
	v_fma_f64 v[227:228], v[2:3], v[18:19], -v[20:21]
	ds_load_b128 v[2:5], v1 offset:1120
	scratch_load_b128 v[18:21], off, off offset:416
	v_fma_f64 v[40:41], v[40:41], v[22:23], v[223:224]
	v_fma_f64 v[38:39], v[38:39], v[22:23], -v[24:25]
	scratch_load_b128 v[22:25], off, off offset:432
	v_add_f64 v[163:164], v[163:164], v[217:218]
	v_add_f64 v[221:222], v[221:222], v[219:220]
	ds_load_b128 v[217:220], v1 offset:1136
	s_waitcnt vmcnt(10) lgkmcnt(1)
	v_mul_f64 v[229:230], v[2:3], v[28:29]
	v_mul_f64 v[28:29], v[4:5], v[28:29]
	s_waitcnt vmcnt(9) lgkmcnt(0)
	v_mul_f64 v[223:224], v[217:218], v[32:33]
	v_mul_f64 v[32:33], v[219:220], v[32:33]
	v_add_f64 v[163:164], v[163:164], v[227:228]
	v_add_f64 v[221:222], v[221:222], v[225:226]
	v_fma_f64 v[225:226], v[4:5], v[26:27], v[229:230]
	v_fma_f64 v[227:228], v[2:3], v[26:27], -v[28:29]
	ds_load_b128 v[2:5], v1 offset:1152
	scratch_load_b128 v[26:29], off, off offset:448
	v_fma_f64 v[219:220], v[219:220], v[30:31], v[223:224]
	v_fma_f64 v[217:218], v[217:218], v[30:31], -v[32:33]
	scratch_load_b128 v[30:33], off, off offset:464
	v_add_f64 v[163:164], v[163:164], v[38:39]
	v_add_f64 v[221:222], v[221:222], v[40:41]
	ds_load_b128 v[38:41], v1 offset:1168
	;; [unrolled: 18-line block ×3, first 2 shown]
	s_waitcnt vmcnt(9) lgkmcnt(1)
	v_mul_f64 v[229:230], v[2:3], v[44:45]
	v_mul_f64 v[44:45], v[4:5], v[44:45]
	v_add_f64 v[163:164], v[163:164], v[227:228]
	v_add_f64 v[168:169], v[221:222], v[225:226]
	s_waitcnt vmcnt(8) lgkmcnt(0)
	v_mul_f64 v[221:222], v[217:218], v[8:9]
	v_mul_f64 v[8:9], v[219:220], v[8:9]
	v_fma_f64 v[225:226], v[4:5], v[42:43], v[229:230]
	v_fma_f64 v[227:228], v[2:3], v[42:43], -v[44:45]
	ds_load_b128 v[2:5], v1 offset:1216
	scratch_load_b128 v[42:45], off, off offset:512
	v_add_f64 v[163:164], v[163:164], v[166:167]
	v_add_f64 v[223:224], v[168:169], v[223:224]
	ds_load_b128 v[166:169], v1 offset:1232
	s_waitcnt vmcnt(8) lgkmcnt(1)
	v_mul_f64 v[229:230], v[2:3], v[12:13]
	v_mul_f64 v[12:13], v[4:5], v[12:13]
	v_fma_f64 v[219:220], v[219:220], v[6:7], v[221:222]
	v_fma_f64 v[217:218], v[217:218], v[6:7], -v[8:9]
	scratch_load_b128 v[6:9], off, off offset:528
	v_add_f64 v[163:164], v[163:164], v[227:228]
	v_add_f64 v[221:222], v[223:224], v[225:226]
	s_waitcnt vmcnt(8) lgkmcnt(0)
	v_mul_f64 v[223:224], v[166:167], v[16:17]
	v_mul_f64 v[16:17], v[168:169], v[16:17]
	v_fma_f64 v[225:226], v[4:5], v[10:11], v[229:230]
	v_fma_f64 v[227:228], v[2:3], v[10:11], -v[12:13]
	ds_load_b128 v[2:5], v1 offset:1248
	scratch_load_b128 v[10:13], off, off offset:544
	v_add_f64 v[163:164], v[163:164], v[217:218]
	v_add_f64 v[221:222], v[221:222], v[219:220]
	ds_load_b128 v[217:220], v1 offset:1264
	s_waitcnt vmcnt(8) lgkmcnt(1)
	v_mul_f64 v[229:230], v[2:3], v[20:21]
	v_mul_f64 v[20:21], v[4:5], v[20:21]
	v_fma_f64 v[168:169], v[168:169], v[14:15], v[223:224]
	v_fma_f64 v[166:167], v[166:167], v[14:15], -v[16:17]
	scratch_load_b128 v[14:17], off, off offset:560
	s_waitcnt vmcnt(8) lgkmcnt(0)
	v_mul_f64 v[223:224], v[217:218], v[24:25]
	v_mul_f64 v[24:25], v[219:220], v[24:25]
	v_add_f64 v[163:164], v[163:164], v[227:228]
	v_add_f64 v[221:222], v[221:222], v[225:226]
	v_fma_f64 v[225:226], v[4:5], v[18:19], v[229:230]
	v_fma_f64 v[227:228], v[2:3], v[18:19], -v[20:21]
	ds_load_b128 v[2:5], v1 offset:1280
	scratch_load_b128 v[18:21], off, off offset:576
	v_fma_f64 v[219:220], v[219:220], v[22:23], v[223:224]
	v_fma_f64 v[217:218], v[217:218], v[22:23], -v[24:25]
	scratch_load_b128 v[22:25], off, off offset:592
	v_add_f64 v[163:164], v[163:164], v[166:167]
	v_add_f64 v[221:222], v[221:222], v[168:169]
	ds_load_b128 v[166:169], v1 offset:1296
	s_waitcnt vmcnt(9) lgkmcnt(1)
	v_mul_f64 v[229:230], v[2:3], v[28:29]
	v_mul_f64 v[28:29], v[4:5], v[28:29]
	s_waitcnt vmcnt(8) lgkmcnt(0)
	v_mul_f64 v[223:224], v[166:167], v[32:33]
	v_mul_f64 v[32:33], v[168:169], v[32:33]
	v_add_f64 v[163:164], v[163:164], v[227:228]
	v_add_f64 v[221:222], v[221:222], v[225:226]
	v_fma_f64 v[225:226], v[4:5], v[26:27], v[229:230]
	v_fma_f64 v[227:228], v[2:3], v[26:27], -v[28:29]
	ds_load_b128 v[2:5], v1 offset:1312
	scratch_load_b128 v[26:29], off, off offset:608
	v_fma_f64 v[168:169], v[168:169], v[30:31], v[223:224]
	v_fma_f64 v[166:167], v[166:167], v[30:31], -v[32:33]
	scratch_load_b128 v[30:33], off, off offset:624
	v_add_f64 v[163:164], v[163:164], v[217:218]
	v_add_f64 v[221:222], v[221:222], v[219:220]
	ds_load_b128 v[217:220], v1 offset:1328
	s_waitcnt vmcnt(9) lgkmcnt(1)
	v_mul_f64 v[229:230], v[2:3], v[36:37]
	v_mul_f64 v[36:37], v[4:5], v[36:37]
	;; [unrolled: 18-line block ×8, first 2 shown]
	s_waitcnt vmcnt(8) lgkmcnt(0)
	v_mul_f64 v[223:224], v[217:218], v[8:9]
	v_mul_f64 v[8:9], v[219:220], v[8:9]
	v_add_f64 v[163:164], v[163:164], v[227:228]
	v_add_f64 v[221:222], v[221:222], v[225:226]
	v_fma_f64 v[225:226], v[4:5], v[42:43], v[229:230]
	v_fma_f64 v[227:228], v[2:3], v[42:43], -v[44:45]
	ds_load_b128 v[2:5], v1 offset:1536
	ds_load_b128 v[42:45], v1 offset:1552
	v_fma_f64 v[219:220], v[219:220], v[6:7], v[223:224]
	v_fma_f64 v[6:7], v[217:218], v[6:7], -v[8:9]
	v_add_f64 v[163:164], v[163:164], v[166:167]
	v_add_f64 v[166:167], v[221:222], v[168:169]
	s_waitcnt vmcnt(7) lgkmcnt(1)
	v_mul_f64 v[168:169], v[2:3], v[12:13]
	v_mul_f64 v[12:13], v[4:5], v[12:13]
	s_delay_alu instid0(VALU_DEP_4) | instskip(NEXT) | instid1(VALU_DEP_4)
	v_add_f64 v[8:9], v[163:164], v[227:228]
	v_add_f64 v[163:164], v[166:167], v[225:226]
	s_waitcnt vmcnt(6) lgkmcnt(0)
	v_mul_f64 v[166:167], v[42:43], v[16:17]
	v_mul_f64 v[16:17], v[44:45], v[16:17]
	v_fma_f64 v[168:169], v[4:5], v[10:11], v[168:169]
	v_fma_f64 v[10:11], v[2:3], v[10:11], -v[12:13]
	v_add_f64 v[12:13], v[8:9], v[6:7]
	v_add_f64 v[163:164], v[163:164], v[219:220]
	ds_load_b128 v[2:5], v1 offset:1568
	ds_load_b128 v[6:9], v1 offset:1584
	v_fma_f64 v[44:45], v[44:45], v[14:15], v[166:167]
	v_fma_f64 v[14:15], v[42:43], v[14:15], -v[16:17]
	s_waitcnt vmcnt(5) lgkmcnt(1)
	v_mul_f64 v[217:218], v[2:3], v[20:21]
	v_mul_f64 v[20:21], v[4:5], v[20:21]
	s_waitcnt vmcnt(4) lgkmcnt(0)
	v_mul_f64 v[16:17], v[6:7], v[24:25]
	v_mul_f64 v[24:25], v[8:9], v[24:25]
	v_add_f64 v[10:11], v[12:13], v[10:11]
	v_add_f64 v[12:13], v[163:164], v[168:169]
	v_fma_f64 v[42:43], v[4:5], v[18:19], v[217:218]
	v_fma_f64 v[18:19], v[2:3], v[18:19], -v[20:21]
	v_fma_f64 v[8:9], v[8:9], v[22:23], v[16:17]
	v_fma_f64 v[6:7], v[6:7], v[22:23], -v[24:25]
	v_add_f64 v[14:15], v[10:11], v[14:15]
	v_add_f64 v[20:21], v[12:13], v[44:45]
	ds_load_b128 v[2:5], v1 offset:1600
	ds_load_b128 v[10:13], v1 offset:1616
	s_waitcnt vmcnt(3) lgkmcnt(1)
	v_mul_f64 v[44:45], v[2:3], v[28:29]
	v_mul_f64 v[28:29], v[4:5], v[28:29]
	v_add_f64 v[14:15], v[14:15], v[18:19]
	v_add_f64 v[16:17], v[20:21], v[42:43]
	s_waitcnt vmcnt(2) lgkmcnt(0)
	v_mul_f64 v[18:19], v[10:11], v[32:33]
	v_mul_f64 v[20:21], v[12:13], v[32:33]
	v_fma_f64 v[22:23], v[4:5], v[26:27], v[44:45]
	v_fma_f64 v[24:25], v[2:3], v[26:27], -v[28:29]
	v_add_f64 v[14:15], v[14:15], v[6:7]
	v_add_f64 v[16:17], v[16:17], v[8:9]
	ds_load_b128 v[2:5], v1 offset:1632
	ds_load_b128 v[6:9], v1 offset:1648
	v_fma_f64 v[12:13], v[12:13], v[30:31], v[18:19]
	v_fma_f64 v[10:11], v[10:11], v[30:31], -v[20:21]
	s_waitcnt vmcnt(1) lgkmcnt(1)
	v_mul_f64 v[26:27], v[2:3], v[36:37]
	v_mul_f64 v[28:29], v[4:5], v[36:37]
	s_waitcnt vmcnt(0) lgkmcnt(0)
	v_mul_f64 v[18:19], v[6:7], v[40:41]
	v_mul_f64 v[20:21], v[8:9], v[40:41]
	v_add_f64 v[14:15], v[14:15], v[24:25]
	v_add_f64 v[16:17], v[16:17], v[22:23]
	v_fma_f64 v[4:5], v[4:5], v[34:35], v[26:27]
	v_fma_f64 v[1:2], v[2:3], v[34:35], -v[28:29]
	v_fma_f64 v[8:9], v[8:9], v[38:39], v[18:19]
	v_fma_f64 v[6:7], v[6:7], v[38:39], -v[20:21]
	v_add_f64 v[10:11], v[14:15], v[10:11]
	v_add_f64 v[12:13], v[16:17], v[12:13]
	s_delay_alu instid0(VALU_DEP_2) | instskip(NEXT) | instid1(VALU_DEP_2)
	v_add_f64 v[1:2], v[10:11], v[1:2]
	v_add_f64 v[3:4], v[12:13], v[4:5]
	s_delay_alu instid0(VALU_DEP_2) | instskip(NEXT) | instid1(VALU_DEP_2)
	;; [unrolled: 3-line block ×3, first 2 shown]
	v_add_f64 v[1:2], v[153:154], -v[1:2]
	v_add_f64 v[3:4], v[155:156], -v[3:4]
	scratch_store_b128 off, v[1:4], off offset:176
	v_cmpx_lt_u32_e32 10, v150
	s_cbranch_execz .LBB115_305
; %bb.304:
	scratch_load_b128 v[1:4], v192, off
	v_mov_b32_e32 v5, 0
	s_delay_alu instid0(VALU_DEP_1)
	v_mov_b32_e32 v6, v5
	v_mov_b32_e32 v7, v5
	;; [unrolled: 1-line block ×3, first 2 shown]
	scratch_store_b128 off, v[5:8], off offset:160
	s_waitcnt vmcnt(0)
	ds_store_b128 v202, v[1:4]
.LBB115_305:
	s_or_b32 exec_lo, exec_lo, s2
	s_waitcnt lgkmcnt(0)
	s_waitcnt_vscnt null, 0x0
	s_barrier
	buffer_gl0_inv
	s_clause 0x7
	scratch_load_b128 v[2:5], off, off offset:176
	scratch_load_b128 v[6:9], off, off offset:192
	;; [unrolled: 1-line block ×8, first 2 shown]
	v_mov_b32_e32 v1, 0
	s_mov_b32 s2, exec_lo
	ds_load_b128 v[38:41], v1 offset:1008
	s_clause 0x1
	scratch_load_b128 v[34:37], off, off offset:304
	scratch_load_b128 v[42:45], off, off offset:160
	ds_load_b128 v[153:156], v1 offset:1024
	scratch_load_b128 v[166:169], off, off offset:320
	ds_load_b128 v[217:220], v1 offset:1056
	s_waitcnt vmcnt(10) lgkmcnt(2)
	v_mul_f64 v[163:164], v[40:41], v[4:5]
	v_mul_f64 v[4:5], v[38:39], v[4:5]
	s_delay_alu instid0(VALU_DEP_2) | instskip(NEXT) | instid1(VALU_DEP_2)
	v_fma_f64 v[163:164], v[38:39], v[2:3], -v[163:164]
	v_fma_f64 v[223:224], v[40:41], v[2:3], v[4:5]
	ds_load_b128 v[2:5], v1 offset:1040
	s_waitcnt vmcnt(9) lgkmcnt(2)
	v_mul_f64 v[221:222], v[153:154], v[8:9]
	v_mul_f64 v[8:9], v[155:156], v[8:9]
	scratch_load_b128 v[38:41], off, off offset:336
	s_waitcnt vmcnt(9) lgkmcnt(0)
	v_mul_f64 v[225:226], v[2:3], v[12:13]
	v_mul_f64 v[12:13], v[4:5], v[12:13]
	v_add_f64 v[163:164], v[163:164], 0
	v_fma_f64 v[155:156], v[155:156], v[6:7], v[221:222]
	v_fma_f64 v[153:154], v[153:154], v[6:7], -v[8:9]
	v_add_f64 v[221:222], v[223:224], 0
	scratch_load_b128 v[6:9], off, off offset:352
	v_fma_f64 v[225:226], v[4:5], v[10:11], v[225:226]
	v_fma_f64 v[227:228], v[2:3], v[10:11], -v[12:13]
	scratch_load_b128 v[10:13], off, off offset:368
	ds_load_b128 v[2:5], v1 offset:1072
	s_waitcnt vmcnt(10)
	v_mul_f64 v[223:224], v[217:218], v[16:17]
	v_mul_f64 v[16:17], v[219:220], v[16:17]
	v_add_f64 v[163:164], v[163:164], v[153:154]
	v_add_f64 v[221:222], v[221:222], v[155:156]
	ds_load_b128 v[153:156], v1 offset:1088
	s_waitcnt vmcnt(9) lgkmcnt(1)
	v_mul_f64 v[229:230], v[2:3], v[20:21]
	v_mul_f64 v[20:21], v[4:5], v[20:21]
	v_fma_f64 v[219:220], v[219:220], v[14:15], v[223:224]
	v_fma_f64 v[217:218], v[217:218], v[14:15], -v[16:17]
	scratch_load_b128 v[14:17], off, off offset:384
	v_add_f64 v[163:164], v[163:164], v[227:228]
	v_add_f64 v[221:222], v[221:222], v[225:226]
	v_fma_f64 v[225:226], v[4:5], v[18:19], v[229:230]
	v_fma_f64 v[227:228], v[2:3], v[18:19], -v[20:21]
	scratch_load_b128 v[18:21], off, off offset:400
	ds_load_b128 v[2:5], v1 offset:1104
	s_waitcnt vmcnt(10) lgkmcnt(1)
	v_mul_f64 v[223:224], v[153:154], v[24:25]
	v_mul_f64 v[24:25], v[155:156], v[24:25]
	s_waitcnt vmcnt(9) lgkmcnt(0)
	v_mul_f64 v[229:230], v[2:3], v[28:29]
	v_mul_f64 v[28:29], v[4:5], v[28:29]
	v_add_f64 v[163:164], v[163:164], v[217:218]
	v_add_f64 v[221:222], v[221:222], v[219:220]
	ds_load_b128 v[217:220], v1 offset:1120
	v_fma_f64 v[155:156], v[155:156], v[22:23], v[223:224]
	v_fma_f64 v[153:154], v[153:154], v[22:23], -v[24:25]
	scratch_load_b128 v[22:25], off, off offset:416
	v_add_f64 v[163:164], v[163:164], v[227:228]
	v_add_f64 v[221:222], v[221:222], v[225:226]
	v_fma_f64 v[225:226], v[4:5], v[26:27], v[229:230]
	v_fma_f64 v[227:228], v[2:3], v[26:27], -v[28:29]
	scratch_load_b128 v[26:29], off, off offset:432
	ds_load_b128 v[2:5], v1 offset:1136
	s_waitcnt vmcnt(10) lgkmcnt(1)
	v_mul_f64 v[223:224], v[217:218], v[32:33]
	v_mul_f64 v[32:33], v[219:220], v[32:33]
	s_waitcnt vmcnt(9) lgkmcnt(0)
	v_mul_f64 v[229:230], v[2:3], v[36:37]
	v_mul_f64 v[36:37], v[4:5], v[36:37]
	v_add_f64 v[163:164], v[163:164], v[153:154]
	v_add_f64 v[221:222], v[221:222], v[155:156]
	ds_load_b128 v[153:156], v1 offset:1152
	v_fma_f64 v[219:220], v[219:220], v[30:31], v[223:224]
	v_fma_f64 v[217:218], v[217:218], v[30:31], -v[32:33]
	scratch_load_b128 v[30:33], off, off offset:448
	v_add_f64 v[163:164], v[163:164], v[227:228]
	v_add_f64 v[221:222], v[221:222], v[225:226]
	v_fma_f64 v[225:226], v[4:5], v[34:35], v[229:230]
	v_fma_f64 v[227:228], v[2:3], v[34:35], -v[36:37]
	scratch_load_b128 v[34:37], off, off offset:464
	ds_load_b128 v[2:5], v1 offset:1168
	s_waitcnt vmcnt(9) lgkmcnt(1)
	v_mul_f64 v[223:224], v[153:154], v[168:169]
	v_mul_f64 v[168:169], v[155:156], v[168:169]
	v_add_f64 v[163:164], v[163:164], v[217:218]
	v_add_f64 v[221:222], v[221:222], v[219:220]
	ds_load_b128 v[217:220], v1 offset:1184
	v_fma_f64 v[223:224], v[155:156], v[166:167], v[223:224]
	v_fma_f64 v[166:167], v[153:154], v[166:167], -v[168:169]
	scratch_load_b128 v[153:156], off, off offset:480
	s_waitcnt vmcnt(9) lgkmcnt(1)
	v_mul_f64 v[229:230], v[2:3], v[40:41]
	v_mul_f64 v[40:41], v[4:5], v[40:41]
	v_add_f64 v[163:164], v[163:164], v[227:228]
	v_add_f64 v[168:169], v[221:222], v[225:226]
	s_delay_alu instid0(VALU_DEP_4) | instskip(NEXT) | instid1(VALU_DEP_4)
	v_fma_f64 v[225:226], v[4:5], v[38:39], v[229:230]
	v_fma_f64 v[227:228], v[2:3], v[38:39], -v[40:41]
	scratch_load_b128 v[38:41], off, off offset:496
	ds_load_b128 v[2:5], v1 offset:1200
	s_waitcnt vmcnt(9) lgkmcnt(1)
	v_mul_f64 v[221:222], v[217:218], v[8:9]
	v_mul_f64 v[8:9], v[219:220], v[8:9]
	v_add_f64 v[163:164], v[163:164], v[166:167]
	v_add_f64 v[223:224], v[168:169], v[223:224]
	s_waitcnt vmcnt(8) lgkmcnt(0)
	v_mul_f64 v[229:230], v[2:3], v[12:13]
	v_mul_f64 v[12:13], v[4:5], v[12:13]
	ds_load_b128 v[166:169], v1 offset:1216
	v_fma_f64 v[219:220], v[219:220], v[6:7], v[221:222]
	v_fma_f64 v[217:218], v[217:218], v[6:7], -v[8:9]
	scratch_load_b128 v[6:9], off, off offset:512
	v_add_f64 v[163:164], v[163:164], v[227:228]
	v_add_f64 v[221:222], v[223:224], v[225:226]
	v_fma_f64 v[225:226], v[4:5], v[10:11], v[229:230]
	v_fma_f64 v[227:228], v[2:3], v[10:11], -v[12:13]
	scratch_load_b128 v[10:13], off, off offset:528
	ds_load_b128 v[2:5], v1 offset:1232
	s_waitcnt vmcnt(9) lgkmcnt(1)
	v_mul_f64 v[223:224], v[166:167], v[16:17]
	v_mul_f64 v[16:17], v[168:169], v[16:17]
	s_waitcnt vmcnt(8) lgkmcnt(0)
	v_mul_f64 v[229:230], v[2:3], v[20:21]
	v_mul_f64 v[20:21], v[4:5], v[20:21]
	v_add_f64 v[163:164], v[163:164], v[217:218]
	v_add_f64 v[221:222], v[221:222], v[219:220]
	ds_load_b128 v[217:220], v1 offset:1248
	v_fma_f64 v[168:169], v[168:169], v[14:15], v[223:224]
	v_fma_f64 v[166:167], v[166:167], v[14:15], -v[16:17]
	scratch_load_b128 v[14:17], off, off offset:544
	v_add_f64 v[163:164], v[163:164], v[227:228]
	v_add_f64 v[221:222], v[221:222], v[225:226]
	v_fma_f64 v[225:226], v[4:5], v[18:19], v[229:230]
	v_fma_f64 v[227:228], v[2:3], v[18:19], -v[20:21]
	scratch_load_b128 v[18:21], off, off offset:560
	ds_load_b128 v[2:5], v1 offset:1264
	s_waitcnt vmcnt(9) lgkmcnt(1)
	v_mul_f64 v[223:224], v[217:218], v[24:25]
	v_mul_f64 v[24:25], v[219:220], v[24:25]
	s_waitcnt vmcnt(8) lgkmcnt(0)
	v_mul_f64 v[229:230], v[2:3], v[28:29]
	v_mul_f64 v[28:29], v[4:5], v[28:29]
	v_add_f64 v[163:164], v[163:164], v[166:167]
	v_add_f64 v[221:222], v[221:222], v[168:169]
	;; [unrolled: 18-line block ×10, first 2 shown]
	ds_load_b128 v[166:169], v1 offset:1536
	v_fma_f64 v[219:220], v[219:220], v[6:7], v[223:224]
	v_fma_f64 v[6:7], v[217:218], v[6:7], -v[8:9]
	s_waitcnt vmcnt(7) lgkmcnt(0)
	v_mul_f64 v[217:218], v[166:167], v[16:17]
	v_mul_f64 v[16:17], v[168:169], v[16:17]
	v_add_f64 v[8:9], v[163:164], v[227:228]
	v_add_f64 v[163:164], v[221:222], v[225:226]
	v_fma_f64 v[221:222], v[4:5], v[10:11], v[229:230]
	v_fma_f64 v[10:11], v[2:3], v[10:11], -v[12:13]
	v_fma_f64 v[168:169], v[168:169], v[14:15], v[217:218]
	v_fma_f64 v[14:15], v[166:167], v[14:15], -v[16:17]
	v_add_f64 v[12:13], v[8:9], v[6:7]
	v_add_f64 v[163:164], v[163:164], v[219:220]
	ds_load_b128 v[2:5], v1 offset:1552
	ds_load_b128 v[6:9], v1 offset:1568
	s_waitcnt vmcnt(6) lgkmcnt(1)
	v_mul_f64 v[219:220], v[2:3], v[20:21]
	v_mul_f64 v[20:21], v[4:5], v[20:21]
	s_waitcnt vmcnt(5) lgkmcnt(0)
	v_mul_f64 v[16:17], v[6:7], v[24:25]
	v_mul_f64 v[24:25], v[8:9], v[24:25]
	v_add_f64 v[10:11], v[12:13], v[10:11]
	v_add_f64 v[12:13], v[163:164], v[221:222]
	v_fma_f64 v[163:164], v[4:5], v[18:19], v[219:220]
	v_fma_f64 v[18:19], v[2:3], v[18:19], -v[20:21]
	v_fma_f64 v[8:9], v[8:9], v[22:23], v[16:17]
	v_fma_f64 v[6:7], v[6:7], v[22:23], -v[24:25]
	v_add_f64 v[14:15], v[10:11], v[14:15]
	v_add_f64 v[20:21], v[12:13], v[168:169]
	ds_load_b128 v[2:5], v1 offset:1584
	ds_load_b128 v[10:13], v1 offset:1600
	s_waitcnt vmcnt(4) lgkmcnt(1)
	v_mul_f64 v[166:167], v[2:3], v[28:29]
	v_mul_f64 v[28:29], v[4:5], v[28:29]
	v_add_f64 v[14:15], v[14:15], v[18:19]
	v_add_f64 v[16:17], v[20:21], v[163:164]
	s_waitcnt vmcnt(3) lgkmcnt(0)
	v_mul_f64 v[18:19], v[10:11], v[32:33]
	v_mul_f64 v[20:21], v[12:13], v[32:33]
	v_fma_f64 v[22:23], v[4:5], v[26:27], v[166:167]
	v_fma_f64 v[24:25], v[2:3], v[26:27], -v[28:29]
	v_add_f64 v[14:15], v[14:15], v[6:7]
	v_add_f64 v[16:17], v[16:17], v[8:9]
	ds_load_b128 v[2:5], v1 offset:1616
	ds_load_b128 v[6:9], v1 offset:1632
	v_fma_f64 v[12:13], v[12:13], v[30:31], v[18:19]
	v_fma_f64 v[10:11], v[10:11], v[30:31], -v[20:21]
	s_waitcnt vmcnt(2) lgkmcnt(1)
	v_mul_f64 v[26:27], v[2:3], v[36:37]
	v_mul_f64 v[28:29], v[4:5], v[36:37]
	s_waitcnt vmcnt(1) lgkmcnt(0)
	v_mul_f64 v[18:19], v[6:7], v[155:156]
	v_mul_f64 v[20:21], v[8:9], v[155:156]
	v_add_f64 v[14:15], v[14:15], v[24:25]
	v_add_f64 v[16:17], v[16:17], v[22:23]
	v_fma_f64 v[22:23], v[4:5], v[34:35], v[26:27]
	v_fma_f64 v[24:25], v[2:3], v[34:35], -v[28:29]
	ds_load_b128 v[2:5], v1 offset:1648
	v_fma_f64 v[8:9], v[8:9], v[153:154], v[18:19]
	v_fma_f64 v[6:7], v[6:7], v[153:154], -v[20:21]
	v_add_f64 v[10:11], v[14:15], v[10:11]
	v_add_f64 v[12:13], v[16:17], v[12:13]
	s_waitcnt vmcnt(0) lgkmcnt(0)
	v_mul_f64 v[14:15], v[2:3], v[40:41]
	v_mul_f64 v[16:17], v[4:5], v[40:41]
	s_delay_alu instid0(VALU_DEP_4) | instskip(NEXT) | instid1(VALU_DEP_4)
	v_add_f64 v[10:11], v[10:11], v[24:25]
	v_add_f64 v[12:13], v[12:13], v[22:23]
	s_delay_alu instid0(VALU_DEP_4) | instskip(NEXT) | instid1(VALU_DEP_4)
	v_fma_f64 v[4:5], v[4:5], v[38:39], v[14:15]
	v_fma_f64 v[2:3], v[2:3], v[38:39], -v[16:17]
	s_delay_alu instid0(VALU_DEP_4) | instskip(NEXT) | instid1(VALU_DEP_4)
	v_add_f64 v[6:7], v[10:11], v[6:7]
	v_add_f64 v[8:9], v[12:13], v[8:9]
	s_delay_alu instid0(VALU_DEP_2) | instskip(NEXT) | instid1(VALU_DEP_2)
	v_add_f64 v[2:3], v[6:7], v[2:3]
	v_add_f64 v[4:5], v[8:9], v[4:5]
	s_delay_alu instid0(VALU_DEP_2) | instskip(NEXT) | instid1(VALU_DEP_2)
	v_add_f64 v[2:3], v[42:43], -v[2:3]
	v_add_f64 v[4:5], v[44:45], -v[4:5]
	scratch_store_b128 off, v[2:5], off offset:160
	v_cmpx_lt_u32_e32 9, v150
	s_cbranch_execz .LBB115_307
; %bb.306:
	scratch_load_b128 v[5:8], v193, off
	v_mov_b32_e32 v2, v1
	v_mov_b32_e32 v3, v1
	;; [unrolled: 1-line block ×3, first 2 shown]
	scratch_store_b128 off, v[1:4], off offset:144
	s_waitcnt vmcnt(0)
	ds_store_b128 v202, v[5:8]
.LBB115_307:
	s_or_b32 exec_lo, exec_lo, s2
	s_waitcnt lgkmcnt(0)
	s_waitcnt_vscnt null, 0x0
	s_barrier
	buffer_gl0_inv
	s_clause 0x8
	scratch_load_b128 v[2:5], off, off offset:160
	scratch_load_b128 v[6:9], off, off offset:176
	;; [unrolled: 1-line block ×9, first 2 shown]
	ds_load_b128 v[42:45], v1 offset:992
	ds_load_b128 v[38:41], v1 offset:1008
	s_clause 0x1
	scratch_load_b128 v[153:156], off, off offset:144
	scratch_load_b128 v[166:169], off, off offset:304
	s_mov_b32 s2, exec_lo
	ds_load_b128 v[217:220], v1 offset:1040
	s_waitcnt vmcnt(10) lgkmcnt(2)
	v_mul_f64 v[163:164], v[44:45], v[4:5]
	v_mul_f64 v[4:5], v[42:43], v[4:5]
	s_waitcnt vmcnt(9) lgkmcnt(1)
	v_mul_f64 v[221:222], v[38:39], v[8:9]
	v_mul_f64 v[8:9], v[40:41], v[8:9]
	s_delay_alu instid0(VALU_DEP_4) | instskip(NEXT) | instid1(VALU_DEP_4)
	v_fma_f64 v[163:164], v[42:43], v[2:3], -v[163:164]
	v_fma_f64 v[223:224], v[44:45], v[2:3], v[4:5]
	ds_load_b128 v[2:5], v1 offset:1024
	scratch_load_b128 v[42:45], off, off offset:320
	v_fma_f64 v[40:41], v[40:41], v[6:7], v[221:222]
	v_fma_f64 v[38:39], v[38:39], v[6:7], -v[8:9]
	scratch_load_b128 v[6:9], off, off offset:336
	s_waitcnt vmcnt(10) lgkmcnt(0)
	v_mul_f64 v[225:226], v[2:3], v[12:13]
	v_mul_f64 v[12:13], v[4:5], v[12:13]
	v_add_f64 v[163:164], v[163:164], 0
	v_add_f64 v[221:222], v[223:224], 0
	s_waitcnt vmcnt(9)
	v_mul_f64 v[223:224], v[217:218], v[16:17]
	v_mul_f64 v[16:17], v[219:220], v[16:17]
	v_fma_f64 v[225:226], v[4:5], v[10:11], v[225:226]
	v_fma_f64 v[227:228], v[2:3], v[10:11], -v[12:13]
	ds_load_b128 v[2:5], v1 offset:1056
	scratch_load_b128 v[10:13], off, off offset:352
	v_add_f64 v[163:164], v[163:164], v[38:39]
	v_add_f64 v[221:222], v[221:222], v[40:41]
	ds_load_b128 v[38:41], v1 offset:1072
	v_fma_f64 v[219:220], v[219:220], v[14:15], v[223:224]
	v_fma_f64 v[217:218], v[217:218], v[14:15], -v[16:17]
	scratch_load_b128 v[14:17], off, off offset:368
	s_waitcnt vmcnt(10) lgkmcnt(1)
	v_mul_f64 v[229:230], v[2:3], v[20:21]
	v_mul_f64 v[20:21], v[4:5], v[20:21]
	s_waitcnt vmcnt(9) lgkmcnt(0)
	v_mul_f64 v[223:224], v[38:39], v[24:25]
	v_mul_f64 v[24:25], v[40:41], v[24:25]
	v_add_f64 v[163:164], v[163:164], v[227:228]
	v_add_f64 v[221:222], v[221:222], v[225:226]
	v_fma_f64 v[225:226], v[4:5], v[18:19], v[229:230]
	v_fma_f64 v[227:228], v[2:3], v[18:19], -v[20:21]
	ds_load_b128 v[2:5], v1 offset:1088
	scratch_load_b128 v[18:21], off, off offset:384
	v_fma_f64 v[40:41], v[40:41], v[22:23], v[223:224]
	v_fma_f64 v[38:39], v[38:39], v[22:23], -v[24:25]
	scratch_load_b128 v[22:25], off, off offset:400
	v_add_f64 v[163:164], v[163:164], v[217:218]
	v_add_f64 v[221:222], v[221:222], v[219:220]
	ds_load_b128 v[217:220], v1 offset:1104
	s_waitcnt vmcnt(10) lgkmcnt(1)
	v_mul_f64 v[229:230], v[2:3], v[28:29]
	v_mul_f64 v[28:29], v[4:5], v[28:29]
	s_waitcnt vmcnt(9) lgkmcnt(0)
	v_mul_f64 v[223:224], v[217:218], v[32:33]
	v_mul_f64 v[32:33], v[219:220], v[32:33]
	v_add_f64 v[163:164], v[163:164], v[227:228]
	v_add_f64 v[221:222], v[221:222], v[225:226]
	v_fma_f64 v[225:226], v[4:5], v[26:27], v[229:230]
	v_fma_f64 v[227:228], v[2:3], v[26:27], -v[28:29]
	ds_load_b128 v[2:5], v1 offset:1120
	scratch_load_b128 v[26:29], off, off offset:416
	v_fma_f64 v[219:220], v[219:220], v[30:31], v[223:224]
	v_fma_f64 v[217:218], v[217:218], v[30:31], -v[32:33]
	scratch_load_b128 v[30:33], off, off offset:432
	v_add_f64 v[163:164], v[163:164], v[38:39]
	v_add_f64 v[221:222], v[221:222], v[40:41]
	ds_load_b128 v[38:41], v1 offset:1136
	;; [unrolled: 18-line block ×3, first 2 shown]
	s_waitcnt vmcnt(9) lgkmcnt(1)
	v_mul_f64 v[229:230], v[2:3], v[44:45]
	v_mul_f64 v[44:45], v[4:5], v[44:45]
	v_add_f64 v[163:164], v[163:164], v[227:228]
	v_add_f64 v[168:169], v[221:222], v[225:226]
	s_waitcnt vmcnt(8) lgkmcnt(0)
	v_mul_f64 v[221:222], v[217:218], v[8:9]
	v_mul_f64 v[8:9], v[219:220], v[8:9]
	v_fma_f64 v[225:226], v[4:5], v[42:43], v[229:230]
	v_fma_f64 v[227:228], v[2:3], v[42:43], -v[44:45]
	ds_load_b128 v[2:5], v1 offset:1184
	scratch_load_b128 v[42:45], off, off offset:480
	v_add_f64 v[163:164], v[163:164], v[166:167]
	v_add_f64 v[223:224], v[168:169], v[223:224]
	ds_load_b128 v[166:169], v1 offset:1200
	s_waitcnt vmcnt(8) lgkmcnt(1)
	v_mul_f64 v[229:230], v[2:3], v[12:13]
	v_mul_f64 v[12:13], v[4:5], v[12:13]
	v_fma_f64 v[219:220], v[219:220], v[6:7], v[221:222]
	v_fma_f64 v[217:218], v[217:218], v[6:7], -v[8:9]
	scratch_load_b128 v[6:9], off, off offset:496
	v_add_f64 v[163:164], v[163:164], v[227:228]
	v_add_f64 v[221:222], v[223:224], v[225:226]
	s_waitcnt vmcnt(8) lgkmcnt(0)
	v_mul_f64 v[223:224], v[166:167], v[16:17]
	v_mul_f64 v[16:17], v[168:169], v[16:17]
	v_fma_f64 v[225:226], v[4:5], v[10:11], v[229:230]
	v_fma_f64 v[227:228], v[2:3], v[10:11], -v[12:13]
	ds_load_b128 v[2:5], v1 offset:1216
	scratch_load_b128 v[10:13], off, off offset:512
	v_add_f64 v[163:164], v[163:164], v[217:218]
	v_add_f64 v[221:222], v[221:222], v[219:220]
	ds_load_b128 v[217:220], v1 offset:1232
	s_waitcnt vmcnt(8) lgkmcnt(1)
	v_mul_f64 v[229:230], v[2:3], v[20:21]
	v_mul_f64 v[20:21], v[4:5], v[20:21]
	v_fma_f64 v[168:169], v[168:169], v[14:15], v[223:224]
	v_fma_f64 v[166:167], v[166:167], v[14:15], -v[16:17]
	scratch_load_b128 v[14:17], off, off offset:528
	s_waitcnt vmcnt(8) lgkmcnt(0)
	v_mul_f64 v[223:224], v[217:218], v[24:25]
	v_mul_f64 v[24:25], v[219:220], v[24:25]
	v_add_f64 v[163:164], v[163:164], v[227:228]
	v_add_f64 v[221:222], v[221:222], v[225:226]
	v_fma_f64 v[225:226], v[4:5], v[18:19], v[229:230]
	v_fma_f64 v[227:228], v[2:3], v[18:19], -v[20:21]
	ds_load_b128 v[2:5], v1 offset:1248
	scratch_load_b128 v[18:21], off, off offset:544
	v_fma_f64 v[219:220], v[219:220], v[22:23], v[223:224]
	v_fma_f64 v[217:218], v[217:218], v[22:23], -v[24:25]
	scratch_load_b128 v[22:25], off, off offset:560
	v_add_f64 v[163:164], v[163:164], v[166:167]
	v_add_f64 v[221:222], v[221:222], v[168:169]
	ds_load_b128 v[166:169], v1 offset:1264
	s_waitcnt vmcnt(9) lgkmcnt(1)
	v_mul_f64 v[229:230], v[2:3], v[28:29]
	v_mul_f64 v[28:29], v[4:5], v[28:29]
	s_waitcnt vmcnt(8) lgkmcnt(0)
	v_mul_f64 v[223:224], v[166:167], v[32:33]
	v_mul_f64 v[32:33], v[168:169], v[32:33]
	v_add_f64 v[163:164], v[163:164], v[227:228]
	v_add_f64 v[221:222], v[221:222], v[225:226]
	v_fma_f64 v[225:226], v[4:5], v[26:27], v[229:230]
	v_fma_f64 v[227:228], v[2:3], v[26:27], -v[28:29]
	ds_load_b128 v[2:5], v1 offset:1280
	scratch_load_b128 v[26:29], off, off offset:576
	v_fma_f64 v[168:169], v[168:169], v[30:31], v[223:224]
	v_fma_f64 v[166:167], v[166:167], v[30:31], -v[32:33]
	scratch_load_b128 v[30:33], off, off offset:592
	v_add_f64 v[163:164], v[163:164], v[217:218]
	v_add_f64 v[221:222], v[221:222], v[219:220]
	ds_load_b128 v[217:220], v1 offset:1296
	s_waitcnt vmcnt(9) lgkmcnt(1)
	v_mul_f64 v[229:230], v[2:3], v[36:37]
	v_mul_f64 v[36:37], v[4:5], v[36:37]
	;; [unrolled: 18-line block ×9, first 2 shown]
	s_waitcnt vmcnt(8) lgkmcnt(0)
	v_mul_f64 v[223:224], v[166:167], v[16:17]
	v_mul_f64 v[16:17], v[168:169], v[16:17]
	v_add_f64 v[163:164], v[163:164], v[227:228]
	v_add_f64 v[221:222], v[221:222], v[225:226]
	v_fma_f64 v[225:226], v[4:5], v[10:11], v[229:230]
	v_fma_f64 v[227:228], v[2:3], v[10:11], -v[12:13]
	ds_load_b128 v[2:5], v1 offset:1536
	ds_load_b128 v[10:13], v1 offset:1552
	v_fma_f64 v[168:169], v[168:169], v[14:15], v[223:224]
	v_fma_f64 v[14:15], v[166:167], v[14:15], -v[16:17]
	v_add_f64 v[163:164], v[163:164], v[217:218]
	v_add_f64 v[217:218], v[221:222], v[219:220]
	s_waitcnt vmcnt(7) lgkmcnt(1)
	v_mul_f64 v[219:220], v[2:3], v[20:21]
	v_mul_f64 v[20:21], v[4:5], v[20:21]
	s_waitcnt vmcnt(6) lgkmcnt(0)
	v_mul_f64 v[166:167], v[10:11], v[24:25]
	v_mul_f64 v[24:25], v[12:13], v[24:25]
	v_add_f64 v[16:17], v[163:164], v[227:228]
	v_add_f64 v[163:164], v[217:218], v[225:226]
	v_fma_f64 v[217:218], v[4:5], v[18:19], v[219:220]
	v_fma_f64 v[18:19], v[2:3], v[18:19], -v[20:21]
	v_fma_f64 v[12:13], v[12:13], v[22:23], v[166:167]
	v_fma_f64 v[10:11], v[10:11], v[22:23], -v[24:25]
	v_add_f64 v[20:21], v[16:17], v[14:15]
	v_add_f64 v[163:164], v[163:164], v[168:169]
	ds_load_b128 v[2:5], v1 offset:1568
	ds_load_b128 v[14:17], v1 offset:1584
	s_waitcnt vmcnt(5) lgkmcnt(1)
	v_mul_f64 v[168:169], v[2:3], v[28:29]
	v_mul_f64 v[28:29], v[4:5], v[28:29]
	s_waitcnt vmcnt(4) lgkmcnt(0)
	v_mul_f64 v[22:23], v[14:15], v[32:33]
	v_mul_f64 v[24:25], v[16:17], v[32:33]
	v_add_f64 v[18:19], v[20:21], v[18:19]
	v_add_f64 v[20:21], v[163:164], v[217:218]
	v_fma_f64 v[32:33], v[4:5], v[26:27], v[168:169]
	v_fma_f64 v[26:27], v[2:3], v[26:27], -v[28:29]
	v_fma_f64 v[16:17], v[16:17], v[30:31], v[22:23]
	v_fma_f64 v[14:15], v[14:15], v[30:31], -v[24:25]
	v_add_f64 v[18:19], v[18:19], v[10:11]
	v_add_f64 v[20:21], v[20:21], v[12:13]
	ds_load_b128 v[2:5], v1 offset:1600
	ds_load_b128 v[10:13], v1 offset:1616
	s_waitcnt vmcnt(3) lgkmcnt(1)
	v_mul_f64 v[28:29], v[2:3], v[36:37]
	v_mul_f64 v[36:37], v[4:5], v[36:37]
	s_waitcnt vmcnt(2) lgkmcnt(0)
	v_mul_f64 v[22:23], v[10:11], v[40:41]
	v_mul_f64 v[24:25], v[12:13], v[40:41]
	v_add_f64 v[18:19], v[18:19], v[26:27]
	v_add_f64 v[20:21], v[20:21], v[32:33]
	v_fma_f64 v[26:27], v[4:5], v[34:35], v[28:29]
	v_fma_f64 v[28:29], v[2:3], v[34:35], -v[36:37]
	v_fma_f64 v[12:13], v[12:13], v[38:39], v[22:23]
	v_fma_f64 v[10:11], v[10:11], v[38:39], -v[24:25]
	v_add_f64 v[18:19], v[18:19], v[14:15]
	v_add_f64 v[20:21], v[20:21], v[16:17]
	ds_load_b128 v[2:5], v1 offset:1632
	ds_load_b128 v[14:17], v1 offset:1648
	s_waitcnt vmcnt(1) lgkmcnt(1)
	v_mul_f64 v[30:31], v[2:3], v[44:45]
	v_mul_f64 v[32:33], v[4:5], v[44:45]
	s_waitcnt vmcnt(0) lgkmcnt(0)
	v_mul_f64 v[22:23], v[14:15], v[8:9]
	v_mul_f64 v[8:9], v[16:17], v[8:9]
	v_add_f64 v[18:19], v[18:19], v[28:29]
	v_add_f64 v[20:21], v[20:21], v[26:27]
	v_fma_f64 v[4:5], v[4:5], v[42:43], v[30:31]
	v_fma_f64 v[1:2], v[2:3], v[42:43], -v[32:33]
	v_fma_f64 v[16:17], v[16:17], v[6:7], v[22:23]
	v_fma_f64 v[6:7], v[14:15], v[6:7], -v[8:9]
	v_add_f64 v[10:11], v[18:19], v[10:11]
	v_add_f64 v[12:13], v[20:21], v[12:13]
	s_delay_alu instid0(VALU_DEP_2) | instskip(NEXT) | instid1(VALU_DEP_2)
	v_add_f64 v[1:2], v[10:11], v[1:2]
	v_add_f64 v[3:4], v[12:13], v[4:5]
	s_delay_alu instid0(VALU_DEP_2) | instskip(NEXT) | instid1(VALU_DEP_2)
	v_add_f64 v[1:2], v[1:2], v[6:7]
	v_add_f64 v[3:4], v[3:4], v[16:17]
	s_delay_alu instid0(VALU_DEP_2) | instskip(NEXT) | instid1(VALU_DEP_2)
	v_add_f64 v[1:2], v[153:154], -v[1:2]
	v_add_f64 v[3:4], v[155:156], -v[3:4]
	scratch_store_b128 off, v[1:4], off offset:144
	v_cmpx_lt_u32_e32 8, v150
	s_cbranch_execz .LBB115_309
; %bb.308:
	scratch_load_b128 v[1:4], v194, off
	v_mov_b32_e32 v5, 0
	s_delay_alu instid0(VALU_DEP_1)
	v_mov_b32_e32 v6, v5
	v_mov_b32_e32 v7, v5
	;; [unrolled: 1-line block ×3, first 2 shown]
	scratch_store_b128 off, v[5:8], off offset:128
	s_waitcnt vmcnt(0)
	ds_store_b128 v202, v[1:4]
.LBB115_309:
	s_or_b32 exec_lo, exec_lo, s2
	s_waitcnt lgkmcnt(0)
	s_waitcnt_vscnt null, 0x0
	s_barrier
	buffer_gl0_inv
	s_clause 0x7
	scratch_load_b128 v[2:5], off, off offset:144
	scratch_load_b128 v[6:9], off, off offset:160
	;; [unrolled: 1-line block ×8, first 2 shown]
	v_mov_b32_e32 v1, 0
	s_mov_b32 s2, exec_lo
	ds_load_b128 v[38:41], v1 offset:976
	s_clause 0x1
	scratch_load_b128 v[34:37], off, off offset:272
	scratch_load_b128 v[42:45], off, off offset:128
	ds_load_b128 v[153:156], v1 offset:992
	scratch_load_b128 v[166:169], off, off offset:288
	ds_load_b128 v[217:220], v1 offset:1024
	s_waitcnt vmcnt(10) lgkmcnt(2)
	v_mul_f64 v[163:164], v[40:41], v[4:5]
	v_mul_f64 v[4:5], v[38:39], v[4:5]
	s_delay_alu instid0(VALU_DEP_2) | instskip(NEXT) | instid1(VALU_DEP_2)
	v_fma_f64 v[163:164], v[38:39], v[2:3], -v[163:164]
	v_fma_f64 v[223:224], v[40:41], v[2:3], v[4:5]
	ds_load_b128 v[2:5], v1 offset:1008
	s_waitcnt vmcnt(9) lgkmcnt(2)
	v_mul_f64 v[221:222], v[153:154], v[8:9]
	v_mul_f64 v[8:9], v[155:156], v[8:9]
	scratch_load_b128 v[38:41], off, off offset:304
	s_waitcnt vmcnt(9) lgkmcnt(0)
	v_mul_f64 v[225:226], v[2:3], v[12:13]
	v_mul_f64 v[12:13], v[4:5], v[12:13]
	v_add_f64 v[163:164], v[163:164], 0
	v_fma_f64 v[155:156], v[155:156], v[6:7], v[221:222]
	v_fma_f64 v[153:154], v[153:154], v[6:7], -v[8:9]
	v_add_f64 v[221:222], v[223:224], 0
	scratch_load_b128 v[6:9], off, off offset:320
	v_fma_f64 v[225:226], v[4:5], v[10:11], v[225:226]
	v_fma_f64 v[227:228], v[2:3], v[10:11], -v[12:13]
	scratch_load_b128 v[10:13], off, off offset:336
	ds_load_b128 v[2:5], v1 offset:1040
	s_waitcnt vmcnt(10)
	v_mul_f64 v[223:224], v[217:218], v[16:17]
	v_mul_f64 v[16:17], v[219:220], v[16:17]
	v_add_f64 v[163:164], v[163:164], v[153:154]
	v_add_f64 v[221:222], v[221:222], v[155:156]
	ds_load_b128 v[153:156], v1 offset:1056
	s_waitcnt vmcnt(9) lgkmcnt(1)
	v_mul_f64 v[229:230], v[2:3], v[20:21]
	v_mul_f64 v[20:21], v[4:5], v[20:21]
	v_fma_f64 v[219:220], v[219:220], v[14:15], v[223:224]
	v_fma_f64 v[217:218], v[217:218], v[14:15], -v[16:17]
	scratch_load_b128 v[14:17], off, off offset:352
	v_add_f64 v[163:164], v[163:164], v[227:228]
	v_add_f64 v[221:222], v[221:222], v[225:226]
	v_fma_f64 v[225:226], v[4:5], v[18:19], v[229:230]
	v_fma_f64 v[227:228], v[2:3], v[18:19], -v[20:21]
	scratch_load_b128 v[18:21], off, off offset:368
	ds_load_b128 v[2:5], v1 offset:1072
	s_waitcnt vmcnt(10) lgkmcnt(1)
	v_mul_f64 v[223:224], v[153:154], v[24:25]
	v_mul_f64 v[24:25], v[155:156], v[24:25]
	s_waitcnt vmcnt(9) lgkmcnt(0)
	v_mul_f64 v[229:230], v[2:3], v[28:29]
	v_mul_f64 v[28:29], v[4:5], v[28:29]
	v_add_f64 v[163:164], v[163:164], v[217:218]
	v_add_f64 v[221:222], v[221:222], v[219:220]
	ds_load_b128 v[217:220], v1 offset:1088
	v_fma_f64 v[155:156], v[155:156], v[22:23], v[223:224]
	v_fma_f64 v[153:154], v[153:154], v[22:23], -v[24:25]
	scratch_load_b128 v[22:25], off, off offset:384
	v_add_f64 v[163:164], v[163:164], v[227:228]
	v_add_f64 v[221:222], v[221:222], v[225:226]
	v_fma_f64 v[225:226], v[4:5], v[26:27], v[229:230]
	v_fma_f64 v[227:228], v[2:3], v[26:27], -v[28:29]
	scratch_load_b128 v[26:29], off, off offset:400
	ds_load_b128 v[2:5], v1 offset:1104
	s_waitcnt vmcnt(10) lgkmcnt(1)
	v_mul_f64 v[223:224], v[217:218], v[32:33]
	v_mul_f64 v[32:33], v[219:220], v[32:33]
	s_waitcnt vmcnt(9) lgkmcnt(0)
	v_mul_f64 v[229:230], v[2:3], v[36:37]
	v_mul_f64 v[36:37], v[4:5], v[36:37]
	v_add_f64 v[163:164], v[163:164], v[153:154]
	v_add_f64 v[221:222], v[221:222], v[155:156]
	ds_load_b128 v[153:156], v1 offset:1120
	v_fma_f64 v[219:220], v[219:220], v[30:31], v[223:224]
	v_fma_f64 v[217:218], v[217:218], v[30:31], -v[32:33]
	scratch_load_b128 v[30:33], off, off offset:416
	v_add_f64 v[163:164], v[163:164], v[227:228]
	v_add_f64 v[221:222], v[221:222], v[225:226]
	v_fma_f64 v[225:226], v[4:5], v[34:35], v[229:230]
	v_fma_f64 v[227:228], v[2:3], v[34:35], -v[36:37]
	scratch_load_b128 v[34:37], off, off offset:432
	ds_load_b128 v[2:5], v1 offset:1136
	s_waitcnt vmcnt(9) lgkmcnt(1)
	v_mul_f64 v[223:224], v[153:154], v[168:169]
	v_mul_f64 v[168:169], v[155:156], v[168:169]
	v_add_f64 v[163:164], v[163:164], v[217:218]
	v_add_f64 v[221:222], v[221:222], v[219:220]
	ds_load_b128 v[217:220], v1 offset:1152
	v_fma_f64 v[223:224], v[155:156], v[166:167], v[223:224]
	v_fma_f64 v[166:167], v[153:154], v[166:167], -v[168:169]
	scratch_load_b128 v[153:156], off, off offset:448
	s_waitcnt vmcnt(9) lgkmcnt(1)
	v_mul_f64 v[229:230], v[2:3], v[40:41]
	v_mul_f64 v[40:41], v[4:5], v[40:41]
	v_add_f64 v[163:164], v[163:164], v[227:228]
	v_add_f64 v[168:169], v[221:222], v[225:226]
	s_delay_alu instid0(VALU_DEP_4) | instskip(NEXT) | instid1(VALU_DEP_4)
	v_fma_f64 v[225:226], v[4:5], v[38:39], v[229:230]
	v_fma_f64 v[227:228], v[2:3], v[38:39], -v[40:41]
	scratch_load_b128 v[38:41], off, off offset:464
	ds_load_b128 v[2:5], v1 offset:1168
	s_waitcnt vmcnt(9) lgkmcnt(1)
	v_mul_f64 v[221:222], v[217:218], v[8:9]
	v_mul_f64 v[8:9], v[219:220], v[8:9]
	v_add_f64 v[163:164], v[163:164], v[166:167]
	v_add_f64 v[223:224], v[168:169], v[223:224]
	s_waitcnt vmcnt(8) lgkmcnt(0)
	v_mul_f64 v[229:230], v[2:3], v[12:13]
	v_mul_f64 v[12:13], v[4:5], v[12:13]
	ds_load_b128 v[166:169], v1 offset:1184
	v_fma_f64 v[219:220], v[219:220], v[6:7], v[221:222]
	v_fma_f64 v[217:218], v[217:218], v[6:7], -v[8:9]
	scratch_load_b128 v[6:9], off, off offset:480
	v_add_f64 v[163:164], v[163:164], v[227:228]
	v_add_f64 v[221:222], v[223:224], v[225:226]
	v_fma_f64 v[225:226], v[4:5], v[10:11], v[229:230]
	v_fma_f64 v[227:228], v[2:3], v[10:11], -v[12:13]
	scratch_load_b128 v[10:13], off, off offset:496
	ds_load_b128 v[2:5], v1 offset:1200
	s_waitcnt vmcnt(9) lgkmcnt(1)
	v_mul_f64 v[223:224], v[166:167], v[16:17]
	v_mul_f64 v[16:17], v[168:169], v[16:17]
	s_waitcnt vmcnt(8) lgkmcnt(0)
	v_mul_f64 v[229:230], v[2:3], v[20:21]
	v_mul_f64 v[20:21], v[4:5], v[20:21]
	v_add_f64 v[163:164], v[163:164], v[217:218]
	v_add_f64 v[221:222], v[221:222], v[219:220]
	ds_load_b128 v[217:220], v1 offset:1216
	v_fma_f64 v[168:169], v[168:169], v[14:15], v[223:224]
	v_fma_f64 v[166:167], v[166:167], v[14:15], -v[16:17]
	scratch_load_b128 v[14:17], off, off offset:512
	v_add_f64 v[163:164], v[163:164], v[227:228]
	v_add_f64 v[221:222], v[221:222], v[225:226]
	v_fma_f64 v[225:226], v[4:5], v[18:19], v[229:230]
	v_fma_f64 v[227:228], v[2:3], v[18:19], -v[20:21]
	scratch_load_b128 v[18:21], off, off offset:528
	ds_load_b128 v[2:5], v1 offset:1232
	s_waitcnt vmcnt(9) lgkmcnt(1)
	v_mul_f64 v[223:224], v[217:218], v[24:25]
	v_mul_f64 v[24:25], v[219:220], v[24:25]
	s_waitcnt vmcnt(8) lgkmcnt(0)
	v_mul_f64 v[229:230], v[2:3], v[28:29]
	v_mul_f64 v[28:29], v[4:5], v[28:29]
	v_add_f64 v[163:164], v[163:164], v[166:167]
	v_add_f64 v[221:222], v[221:222], v[168:169]
	;; [unrolled: 18-line block ×11, first 2 shown]
	ds_load_b128 v[217:220], v1 offset:1536
	v_fma_f64 v[168:169], v[168:169], v[14:15], v[223:224]
	v_fma_f64 v[14:15], v[166:167], v[14:15], -v[16:17]
	s_waitcnt vmcnt(7) lgkmcnt(0)
	v_mul_f64 v[166:167], v[217:218], v[24:25]
	v_mul_f64 v[24:25], v[219:220], v[24:25]
	v_add_f64 v[16:17], v[163:164], v[227:228]
	v_add_f64 v[163:164], v[221:222], v[225:226]
	v_fma_f64 v[221:222], v[4:5], v[18:19], v[229:230]
	v_fma_f64 v[18:19], v[2:3], v[18:19], -v[20:21]
	v_fma_f64 v[166:167], v[219:220], v[22:23], v[166:167]
	v_fma_f64 v[22:23], v[217:218], v[22:23], -v[24:25]
	v_add_f64 v[20:21], v[16:17], v[14:15]
	v_add_f64 v[163:164], v[163:164], v[168:169]
	ds_load_b128 v[2:5], v1 offset:1552
	ds_load_b128 v[14:17], v1 offset:1568
	s_waitcnt vmcnt(6) lgkmcnt(1)
	v_mul_f64 v[168:169], v[2:3], v[28:29]
	v_mul_f64 v[28:29], v[4:5], v[28:29]
	s_waitcnt vmcnt(5) lgkmcnt(0)
	v_mul_f64 v[24:25], v[14:15], v[32:33]
	v_mul_f64 v[32:33], v[16:17], v[32:33]
	v_add_f64 v[18:19], v[20:21], v[18:19]
	v_add_f64 v[20:21], v[163:164], v[221:222]
	v_fma_f64 v[163:164], v[4:5], v[26:27], v[168:169]
	v_fma_f64 v[26:27], v[2:3], v[26:27], -v[28:29]
	v_fma_f64 v[16:17], v[16:17], v[30:31], v[24:25]
	v_fma_f64 v[14:15], v[14:15], v[30:31], -v[32:33]
	v_add_f64 v[22:23], v[18:19], v[22:23]
	v_add_f64 v[28:29], v[20:21], v[166:167]
	ds_load_b128 v[2:5], v1 offset:1584
	ds_load_b128 v[18:21], v1 offset:1600
	s_waitcnt vmcnt(4) lgkmcnt(1)
	v_mul_f64 v[166:167], v[2:3], v[36:37]
	v_mul_f64 v[36:37], v[4:5], v[36:37]
	v_add_f64 v[22:23], v[22:23], v[26:27]
	v_add_f64 v[24:25], v[28:29], v[163:164]
	s_waitcnt vmcnt(3) lgkmcnt(0)
	v_mul_f64 v[26:27], v[18:19], v[155:156]
	v_mul_f64 v[28:29], v[20:21], v[155:156]
	v_fma_f64 v[30:31], v[4:5], v[34:35], v[166:167]
	v_fma_f64 v[32:33], v[2:3], v[34:35], -v[36:37]
	v_add_f64 v[22:23], v[22:23], v[14:15]
	v_add_f64 v[24:25], v[24:25], v[16:17]
	ds_load_b128 v[2:5], v1 offset:1616
	ds_load_b128 v[14:17], v1 offset:1632
	v_fma_f64 v[20:21], v[20:21], v[153:154], v[26:27]
	v_fma_f64 v[18:19], v[18:19], v[153:154], -v[28:29]
	s_waitcnt vmcnt(2) lgkmcnt(1)
	v_mul_f64 v[34:35], v[2:3], v[40:41]
	v_mul_f64 v[36:37], v[4:5], v[40:41]
	s_waitcnt vmcnt(1) lgkmcnt(0)
	v_mul_f64 v[26:27], v[14:15], v[8:9]
	v_mul_f64 v[8:9], v[16:17], v[8:9]
	v_add_f64 v[22:23], v[22:23], v[32:33]
	v_add_f64 v[24:25], v[24:25], v[30:31]
	v_fma_f64 v[28:29], v[4:5], v[38:39], v[34:35]
	v_fma_f64 v[30:31], v[2:3], v[38:39], -v[36:37]
	ds_load_b128 v[2:5], v1 offset:1648
	v_fma_f64 v[16:17], v[16:17], v[6:7], v[26:27]
	v_fma_f64 v[6:7], v[14:15], v[6:7], -v[8:9]
	v_add_f64 v[18:19], v[22:23], v[18:19]
	v_add_f64 v[20:21], v[24:25], v[20:21]
	s_waitcnt vmcnt(0) lgkmcnt(0)
	v_mul_f64 v[22:23], v[2:3], v[12:13]
	v_mul_f64 v[12:13], v[4:5], v[12:13]
	s_delay_alu instid0(VALU_DEP_4) | instskip(NEXT) | instid1(VALU_DEP_4)
	v_add_f64 v[8:9], v[18:19], v[30:31]
	v_add_f64 v[14:15], v[20:21], v[28:29]
	s_delay_alu instid0(VALU_DEP_4) | instskip(NEXT) | instid1(VALU_DEP_4)
	v_fma_f64 v[4:5], v[4:5], v[10:11], v[22:23]
	v_fma_f64 v[2:3], v[2:3], v[10:11], -v[12:13]
	s_delay_alu instid0(VALU_DEP_4) | instskip(NEXT) | instid1(VALU_DEP_4)
	v_add_f64 v[6:7], v[8:9], v[6:7]
	v_add_f64 v[8:9], v[14:15], v[16:17]
	s_delay_alu instid0(VALU_DEP_2) | instskip(NEXT) | instid1(VALU_DEP_2)
	v_add_f64 v[2:3], v[6:7], v[2:3]
	v_add_f64 v[4:5], v[8:9], v[4:5]
	s_delay_alu instid0(VALU_DEP_2) | instskip(NEXT) | instid1(VALU_DEP_2)
	v_add_f64 v[2:3], v[42:43], -v[2:3]
	v_add_f64 v[4:5], v[44:45], -v[4:5]
	scratch_store_b128 off, v[2:5], off offset:128
	v_cmpx_lt_u32_e32 7, v150
	s_cbranch_execz .LBB115_311
; %bb.310:
	scratch_load_b128 v[5:8], v195, off
	v_mov_b32_e32 v2, v1
	v_mov_b32_e32 v3, v1
	;; [unrolled: 1-line block ×3, first 2 shown]
	scratch_store_b128 off, v[1:4], off offset:112
	s_waitcnt vmcnt(0)
	ds_store_b128 v202, v[5:8]
.LBB115_311:
	s_or_b32 exec_lo, exec_lo, s2
	s_waitcnt lgkmcnt(0)
	s_waitcnt_vscnt null, 0x0
	s_barrier
	buffer_gl0_inv
	s_clause 0x8
	scratch_load_b128 v[2:5], off, off offset:128
	scratch_load_b128 v[6:9], off, off offset:144
	;; [unrolled: 1-line block ×9, first 2 shown]
	ds_load_b128 v[42:45], v1 offset:960
	ds_load_b128 v[38:41], v1 offset:976
	s_clause 0x1
	scratch_load_b128 v[153:156], off, off offset:112
	scratch_load_b128 v[166:169], off, off offset:272
	s_mov_b32 s2, exec_lo
	ds_load_b128 v[217:220], v1 offset:1008
	s_waitcnt vmcnt(10) lgkmcnt(2)
	v_mul_f64 v[163:164], v[44:45], v[4:5]
	v_mul_f64 v[4:5], v[42:43], v[4:5]
	s_waitcnt vmcnt(9) lgkmcnt(1)
	v_mul_f64 v[221:222], v[38:39], v[8:9]
	v_mul_f64 v[8:9], v[40:41], v[8:9]
	s_delay_alu instid0(VALU_DEP_4) | instskip(NEXT) | instid1(VALU_DEP_4)
	v_fma_f64 v[163:164], v[42:43], v[2:3], -v[163:164]
	v_fma_f64 v[223:224], v[44:45], v[2:3], v[4:5]
	ds_load_b128 v[2:5], v1 offset:992
	scratch_load_b128 v[42:45], off, off offset:288
	v_fma_f64 v[40:41], v[40:41], v[6:7], v[221:222]
	v_fma_f64 v[38:39], v[38:39], v[6:7], -v[8:9]
	scratch_load_b128 v[6:9], off, off offset:304
	s_waitcnt vmcnt(10) lgkmcnt(0)
	v_mul_f64 v[225:226], v[2:3], v[12:13]
	v_mul_f64 v[12:13], v[4:5], v[12:13]
	v_add_f64 v[163:164], v[163:164], 0
	v_add_f64 v[221:222], v[223:224], 0
	s_waitcnt vmcnt(9)
	v_mul_f64 v[223:224], v[217:218], v[16:17]
	v_mul_f64 v[16:17], v[219:220], v[16:17]
	v_fma_f64 v[225:226], v[4:5], v[10:11], v[225:226]
	v_fma_f64 v[227:228], v[2:3], v[10:11], -v[12:13]
	ds_load_b128 v[2:5], v1 offset:1024
	scratch_load_b128 v[10:13], off, off offset:320
	v_add_f64 v[163:164], v[163:164], v[38:39]
	v_add_f64 v[221:222], v[221:222], v[40:41]
	ds_load_b128 v[38:41], v1 offset:1040
	v_fma_f64 v[219:220], v[219:220], v[14:15], v[223:224]
	v_fma_f64 v[217:218], v[217:218], v[14:15], -v[16:17]
	scratch_load_b128 v[14:17], off, off offset:336
	s_waitcnt vmcnt(10) lgkmcnt(1)
	v_mul_f64 v[229:230], v[2:3], v[20:21]
	v_mul_f64 v[20:21], v[4:5], v[20:21]
	s_waitcnt vmcnt(9) lgkmcnt(0)
	v_mul_f64 v[223:224], v[38:39], v[24:25]
	v_mul_f64 v[24:25], v[40:41], v[24:25]
	v_add_f64 v[163:164], v[163:164], v[227:228]
	v_add_f64 v[221:222], v[221:222], v[225:226]
	v_fma_f64 v[225:226], v[4:5], v[18:19], v[229:230]
	v_fma_f64 v[227:228], v[2:3], v[18:19], -v[20:21]
	ds_load_b128 v[2:5], v1 offset:1056
	scratch_load_b128 v[18:21], off, off offset:352
	v_fma_f64 v[40:41], v[40:41], v[22:23], v[223:224]
	v_fma_f64 v[38:39], v[38:39], v[22:23], -v[24:25]
	scratch_load_b128 v[22:25], off, off offset:368
	v_add_f64 v[163:164], v[163:164], v[217:218]
	v_add_f64 v[221:222], v[221:222], v[219:220]
	ds_load_b128 v[217:220], v1 offset:1072
	s_waitcnt vmcnt(10) lgkmcnt(1)
	v_mul_f64 v[229:230], v[2:3], v[28:29]
	v_mul_f64 v[28:29], v[4:5], v[28:29]
	s_waitcnt vmcnt(9) lgkmcnt(0)
	v_mul_f64 v[223:224], v[217:218], v[32:33]
	v_mul_f64 v[32:33], v[219:220], v[32:33]
	v_add_f64 v[163:164], v[163:164], v[227:228]
	v_add_f64 v[221:222], v[221:222], v[225:226]
	v_fma_f64 v[225:226], v[4:5], v[26:27], v[229:230]
	v_fma_f64 v[227:228], v[2:3], v[26:27], -v[28:29]
	ds_load_b128 v[2:5], v1 offset:1088
	scratch_load_b128 v[26:29], off, off offset:384
	v_fma_f64 v[219:220], v[219:220], v[30:31], v[223:224]
	v_fma_f64 v[217:218], v[217:218], v[30:31], -v[32:33]
	scratch_load_b128 v[30:33], off, off offset:400
	v_add_f64 v[163:164], v[163:164], v[38:39]
	v_add_f64 v[221:222], v[221:222], v[40:41]
	ds_load_b128 v[38:41], v1 offset:1104
	;; [unrolled: 18-line block ×3, first 2 shown]
	s_waitcnt vmcnt(9) lgkmcnt(1)
	v_mul_f64 v[229:230], v[2:3], v[44:45]
	v_mul_f64 v[44:45], v[4:5], v[44:45]
	v_add_f64 v[163:164], v[163:164], v[227:228]
	v_add_f64 v[168:169], v[221:222], v[225:226]
	s_waitcnt vmcnt(8) lgkmcnt(0)
	v_mul_f64 v[221:222], v[217:218], v[8:9]
	v_mul_f64 v[8:9], v[219:220], v[8:9]
	v_fma_f64 v[225:226], v[4:5], v[42:43], v[229:230]
	v_fma_f64 v[227:228], v[2:3], v[42:43], -v[44:45]
	ds_load_b128 v[2:5], v1 offset:1152
	scratch_load_b128 v[42:45], off, off offset:448
	v_add_f64 v[163:164], v[163:164], v[166:167]
	v_add_f64 v[223:224], v[168:169], v[223:224]
	ds_load_b128 v[166:169], v1 offset:1168
	s_waitcnt vmcnt(8) lgkmcnt(1)
	v_mul_f64 v[229:230], v[2:3], v[12:13]
	v_mul_f64 v[12:13], v[4:5], v[12:13]
	v_fma_f64 v[219:220], v[219:220], v[6:7], v[221:222]
	v_fma_f64 v[217:218], v[217:218], v[6:7], -v[8:9]
	scratch_load_b128 v[6:9], off, off offset:464
	v_add_f64 v[163:164], v[163:164], v[227:228]
	v_add_f64 v[221:222], v[223:224], v[225:226]
	s_waitcnt vmcnt(8) lgkmcnt(0)
	v_mul_f64 v[223:224], v[166:167], v[16:17]
	v_mul_f64 v[16:17], v[168:169], v[16:17]
	v_fma_f64 v[225:226], v[4:5], v[10:11], v[229:230]
	v_fma_f64 v[227:228], v[2:3], v[10:11], -v[12:13]
	ds_load_b128 v[2:5], v1 offset:1184
	scratch_load_b128 v[10:13], off, off offset:480
	v_add_f64 v[163:164], v[163:164], v[217:218]
	v_add_f64 v[221:222], v[221:222], v[219:220]
	ds_load_b128 v[217:220], v1 offset:1200
	s_waitcnt vmcnt(8) lgkmcnt(1)
	v_mul_f64 v[229:230], v[2:3], v[20:21]
	v_mul_f64 v[20:21], v[4:5], v[20:21]
	v_fma_f64 v[168:169], v[168:169], v[14:15], v[223:224]
	v_fma_f64 v[166:167], v[166:167], v[14:15], -v[16:17]
	scratch_load_b128 v[14:17], off, off offset:496
	s_waitcnt vmcnt(8) lgkmcnt(0)
	v_mul_f64 v[223:224], v[217:218], v[24:25]
	v_mul_f64 v[24:25], v[219:220], v[24:25]
	v_add_f64 v[163:164], v[163:164], v[227:228]
	v_add_f64 v[221:222], v[221:222], v[225:226]
	v_fma_f64 v[225:226], v[4:5], v[18:19], v[229:230]
	v_fma_f64 v[227:228], v[2:3], v[18:19], -v[20:21]
	ds_load_b128 v[2:5], v1 offset:1216
	scratch_load_b128 v[18:21], off, off offset:512
	v_fma_f64 v[219:220], v[219:220], v[22:23], v[223:224]
	v_fma_f64 v[217:218], v[217:218], v[22:23], -v[24:25]
	scratch_load_b128 v[22:25], off, off offset:528
	v_add_f64 v[163:164], v[163:164], v[166:167]
	v_add_f64 v[221:222], v[221:222], v[168:169]
	ds_load_b128 v[166:169], v1 offset:1232
	s_waitcnt vmcnt(9) lgkmcnt(1)
	v_mul_f64 v[229:230], v[2:3], v[28:29]
	v_mul_f64 v[28:29], v[4:5], v[28:29]
	s_waitcnt vmcnt(8) lgkmcnt(0)
	v_mul_f64 v[223:224], v[166:167], v[32:33]
	v_mul_f64 v[32:33], v[168:169], v[32:33]
	v_add_f64 v[163:164], v[163:164], v[227:228]
	v_add_f64 v[221:222], v[221:222], v[225:226]
	v_fma_f64 v[225:226], v[4:5], v[26:27], v[229:230]
	v_fma_f64 v[227:228], v[2:3], v[26:27], -v[28:29]
	ds_load_b128 v[2:5], v1 offset:1248
	scratch_load_b128 v[26:29], off, off offset:544
	v_fma_f64 v[168:169], v[168:169], v[30:31], v[223:224]
	v_fma_f64 v[166:167], v[166:167], v[30:31], -v[32:33]
	scratch_load_b128 v[30:33], off, off offset:560
	v_add_f64 v[163:164], v[163:164], v[217:218]
	v_add_f64 v[221:222], v[221:222], v[219:220]
	ds_load_b128 v[217:220], v1 offset:1264
	s_waitcnt vmcnt(9) lgkmcnt(1)
	v_mul_f64 v[229:230], v[2:3], v[36:37]
	v_mul_f64 v[36:37], v[4:5], v[36:37]
	s_waitcnt vmcnt(8) lgkmcnt(0)
	v_mul_f64 v[223:224], v[217:218], v[40:41]
	v_mul_f64 v[40:41], v[219:220], v[40:41]
	v_add_f64 v[163:164], v[163:164], v[227:228]
	v_add_f64 v[221:222], v[221:222], v[225:226]
	v_fma_f64 v[225:226], v[4:5], v[34:35], v[229:230]
	v_fma_f64 v[227:228], v[2:3], v[34:35], -v[36:37]
	ds_load_b128 v[2:5], v1 offset:1280
	scratch_load_b128 v[34:37], off, off offset:576
	v_fma_f64 v[219:220], v[219:220], v[38:39], v[223:224]
	v_fma_f64 v[217:218], v[217:218], v[38:39], -v[40:41]
	scratch_load_b128 v[38:41], off, off offset:592
	v_add_f64 v[163:164], v[163:164], v[166:167]
	v_add_f64 v[221:222], v[221:222], v[168:169]
	ds_load_b128 v[166:169], v1 offset:1296
	s_waitcnt vmcnt(9) lgkmcnt(1)
	v_mul_f64 v[229:230], v[2:3], v[44:45]
	v_mul_f64 v[44:45], v[4:5], v[44:45]
	s_waitcnt vmcnt(8) lgkmcnt(0)
	v_mul_f64 v[223:224], v[166:167], v[8:9]
	v_mul_f64 v[8:9], v[168:169], v[8:9]
	v_add_f64 v[163:164], v[163:164], v[227:228]
	v_add_f64 v[221:222], v[221:222], v[225:226]
	v_fma_f64 v[225:226], v[4:5], v[42:43], v[229:230]
	v_fma_f64 v[227:228], v[2:3], v[42:43], -v[44:45]
	ds_load_b128 v[2:5], v1 offset:1312
	scratch_load_b128 v[42:45], off, off offset:608
	v_fma_f64 v[168:169], v[168:169], v[6:7], v[223:224]
	v_fma_f64 v[166:167], v[166:167], v[6:7], -v[8:9]
	scratch_load_b128 v[6:9], off, off offset:624
	v_add_f64 v[163:164], v[163:164], v[217:218]
	v_add_f64 v[221:222], v[221:222], v[219:220]
	ds_load_b128 v[217:220], v1 offset:1328
	s_waitcnt vmcnt(9) lgkmcnt(1)
	v_mul_f64 v[229:230], v[2:3], v[12:13]
	v_mul_f64 v[12:13], v[4:5], v[12:13]
	s_waitcnt vmcnt(8) lgkmcnt(0)
	v_mul_f64 v[223:224], v[217:218], v[16:17]
	v_mul_f64 v[16:17], v[219:220], v[16:17]
	v_add_f64 v[163:164], v[163:164], v[227:228]
	v_add_f64 v[221:222], v[221:222], v[225:226]
	v_fma_f64 v[225:226], v[4:5], v[10:11], v[229:230]
	v_fma_f64 v[227:228], v[2:3], v[10:11], -v[12:13]
	ds_load_b128 v[2:5], v1 offset:1344
	scratch_load_b128 v[10:13], off, off offset:640
	v_fma_f64 v[219:220], v[219:220], v[14:15], v[223:224]
	v_fma_f64 v[217:218], v[217:218], v[14:15], -v[16:17]
	scratch_load_b128 v[14:17], off, off offset:656
	v_add_f64 v[163:164], v[163:164], v[166:167]
	v_add_f64 v[221:222], v[221:222], v[168:169]
	ds_load_b128 v[166:169], v1 offset:1360
	s_waitcnt vmcnt(9) lgkmcnt(1)
	v_mul_f64 v[229:230], v[2:3], v[20:21]
	v_mul_f64 v[20:21], v[4:5], v[20:21]
	s_waitcnt vmcnt(8) lgkmcnt(0)
	v_mul_f64 v[223:224], v[166:167], v[24:25]
	v_mul_f64 v[24:25], v[168:169], v[24:25]
	v_add_f64 v[163:164], v[163:164], v[227:228]
	v_add_f64 v[221:222], v[221:222], v[225:226]
	v_fma_f64 v[225:226], v[4:5], v[18:19], v[229:230]
	v_fma_f64 v[227:228], v[2:3], v[18:19], -v[20:21]
	ds_load_b128 v[2:5], v1 offset:1376
	scratch_load_b128 v[18:21], off, off offset:672
	v_fma_f64 v[168:169], v[168:169], v[22:23], v[223:224]
	v_fma_f64 v[166:167], v[166:167], v[22:23], -v[24:25]
	scratch_load_b128 v[22:25], off, off offset:688
	v_add_f64 v[163:164], v[163:164], v[217:218]
	v_add_f64 v[221:222], v[221:222], v[219:220]
	ds_load_b128 v[217:220], v1 offset:1392
	s_waitcnt vmcnt(9) lgkmcnt(1)
	v_mul_f64 v[229:230], v[2:3], v[28:29]
	v_mul_f64 v[28:29], v[4:5], v[28:29]
	s_waitcnt vmcnt(8) lgkmcnt(0)
	v_mul_f64 v[223:224], v[217:218], v[32:33]
	v_mul_f64 v[32:33], v[219:220], v[32:33]
	v_add_f64 v[163:164], v[163:164], v[227:228]
	v_add_f64 v[221:222], v[221:222], v[225:226]
	v_fma_f64 v[225:226], v[4:5], v[26:27], v[229:230]
	v_fma_f64 v[227:228], v[2:3], v[26:27], -v[28:29]
	ds_load_b128 v[2:5], v1 offset:1408
	scratch_load_b128 v[26:29], off, off offset:704
	v_fma_f64 v[219:220], v[219:220], v[30:31], v[223:224]
	v_fma_f64 v[217:218], v[217:218], v[30:31], -v[32:33]
	scratch_load_b128 v[30:33], off, off offset:720
	v_add_f64 v[163:164], v[163:164], v[166:167]
	v_add_f64 v[221:222], v[221:222], v[168:169]
	ds_load_b128 v[166:169], v1 offset:1424
	s_waitcnt vmcnt(9) lgkmcnt(1)
	v_mul_f64 v[229:230], v[2:3], v[36:37]
	v_mul_f64 v[36:37], v[4:5], v[36:37]
	s_waitcnt vmcnt(8) lgkmcnt(0)
	v_mul_f64 v[223:224], v[166:167], v[40:41]
	v_mul_f64 v[40:41], v[168:169], v[40:41]
	v_add_f64 v[163:164], v[163:164], v[227:228]
	v_add_f64 v[221:222], v[221:222], v[225:226]
	v_fma_f64 v[225:226], v[4:5], v[34:35], v[229:230]
	v_fma_f64 v[227:228], v[2:3], v[34:35], -v[36:37]
	ds_load_b128 v[2:5], v1 offset:1440
	scratch_load_b128 v[34:37], off, off offset:736
	v_fma_f64 v[168:169], v[168:169], v[38:39], v[223:224]
	v_fma_f64 v[166:167], v[166:167], v[38:39], -v[40:41]
	scratch_load_b128 v[38:41], off, off offset:752
	v_add_f64 v[163:164], v[163:164], v[217:218]
	v_add_f64 v[221:222], v[221:222], v[219:220]
	ds_load_b128 v[217:220], v1 offset:1456
	s_waitcnt vmcnt(9) lgkmcnt(1)
	v_mul_f64 v[229:230], v[2:3], v[44:45]
	v_mul_f64 v[44:45], v[4:5], v[44:45]
	s_waitcnt vmcnt(8) lgkmcnt(0)
	v_mul_f64 v[223:224], v[217:218], v[8:9]
	v_mul_f64 v[8:9], v[219:220], v[8:9]
	v_add_f64 v[163:164], v[163:164], v[227:228]
	v_add_f64 v[221:222], v[221:222], v[225:226]
	v_fma_f64 v[225:226], v[4:5], v[42:43], v[229:230]
	v_fma_f64 v[227:228], v[2:3], v[42:43], -v[44:45]
	ds_load_b128 v[2:5], v1 offset:1472
	scratch_load_b128 v[42:45], off, off offset:768
	v_fma_f64 v[219:220], v[219:220], v[6:7], v[223:224]
	v_fma_f64 v[217:218], v[217:218], v[6:7], -v[8:9]
	scratch_load_b128 v[6:9], off, off offset:784
	v_add_f64 v[163:164], v[163:164], v[166:167]
	v_add_f64 v[221:222], v[221:222], v[168:169]
	ds_load_b128 v[166:169], v1 offset:1488
	s_waitcnt vmcnt(9) lgkmcnt(1)
	v_mul_f64 v[229:230], v[2:3], v[12:13]
	v_mul_f64 v[12:13], v[4:5], v[12:13]
	s_waitcnt vmcnt(8) lgkmcnt(0)
	v_mul_f64 v[223:224], v[166:167], v[16:17]
	v_mul_f64 v[16:17], v[168:169], v[16:17]
	v_add_f64 v[163:164], v[163:164], v[227:228]
	v_add_f64 v[221:222], v[221:222], v[225:226]
	v_fma_f64 v[225:226], v[4:5], v[10:11], v[229:230]
	v_fma_f64 v[227:228], v[2:3], v[10:11], -v[12:13]
	ds_load_b128 v[2:5], v1 offset:1504
	scratch_load_b128 v[10:13], off, off offset:800
	v_fma_f64 v[168:169], v[168:169], v[14:15], v[223:224]
	v_fma_f64 v[166:167], v[166:167], v[14:15], -v[16:17]
	scratch_load_b128 v[14:17], off, off offset:816
	v_add_f64 v[163:164], v[163:164], v[217:218]
	v_add_f64 v[221:222], v[221:222], v[219:220]
	ds_load_b128 v[217:220], v1 offset:1520
	s_waitcnt vmcnt(9) lgkmcnt(1)
	v_mul_f64 v[229:230], v[2:3], v[20:21]
	v_mul_f64 v[20:21], v[4:5], v[20:21]
	s_waitcnt vmcnt(8) lgkmcnt(0)
	v_mul_f64 v[223:224], v[217:218], v[24:25]
	v_mul_f64 v[24:25], v[219:220], v[24:25]
	v_add_f64 v[163:164], v[163:164], v[227:228]
	v_add_f64 v[221:222], v[221:222], v[225:226]
	v_fma_f64 v[225:226], v[4:5], v[18:19], v[229:230]
	v_fma_f64 v[227:228], v[2:3], v[18:19], -v[20:21]
	ds_load_b128 v[2:5], v1 offset:1536
	ds_load_b128 v[18:21], v1 offset:1552
	v_fma_f64 v[219:220], v[219:220], v[22:23], v[223:224]
	v_fma_f64 v[22:23], v[217:218], v[22:23], -v[24:25]
	v_add_f64 v[163:164], v[163:164], v[166:167]
	v_add_f64 v[166:167], v[221:222], v[168:169]
	s_waitcnt vmcnt(7) lgkmcnt(1)
	v_mul_f64 v[168:169], v[2:3], v[28:29]
	v_mul_f64 v[28:29], v[4:5], v[28:29]
	s_delay_alu instid0(VALU_DEP_4) | instskip(NEXT) | instid1(VALU_DEP_4)
	v_add_f64 v[24:25], v[163:164], v[227:228]
	v_add_f64 v[163:164], v[166:167], v[225:226]
	s_waitcnt vmcnt(6) lgkmcnt(0)
	v_mul_f64 v[166:167], v[18:19], v[32:33]
	v_mul_f64 v[32:33], v[20:21], v[32:33]
	v_fma_f64 v[168:169], v[4:5], v[26:27], v[168:169]
	v_fma_f64 v[26:27], v[2:3], v[26:27], -v[28:29]
	v_add_f64 v[28:29], v[24:25], v[22:23]
	v_add_f64 v[163:164], v[163:164], v[219:220]
	ds_load_b128 v[2:5], v1 offset:1568
	ds_load_b128 v[22:25], v1 offset:1584
	v_fma_f64 v[20:21], v[20:21], v[30:31], v[166:167]
	v_fma_f64 v[18:19], v[18:19], v[30:31], -v[32:33]
	s_waitcnt vmcnt(5) lgkmcnt(1)
	v_mul_f64 v[217:218], v[2:3], v[36:37]
	v_mul_f64 v[36:37], v[4:5], v[36:37]
	s_waitcnt vmcnt(4) lgkmcnt(0)
	v_mul_f64 v[30:31], v[22:23], v[40:41]
	v_mul_f64 v[32:33], v[24:25], v[40:41]
	v_add_f64 v[26:27], v[28:29], v[26:27]
	v_add_f64 v[28:29], v[163:164], v[168:169]
	v_fma_f64 v[40:41], v[4:5], v[34:35], v[217:218]
	v_fma_f64 v[34:35], v[2:3], v[34:35], -v[36:37]
	v_fma_f64 v[24:25], v[24:25], v[38:39], v[30:31]
	v_fma_f64 v[22:23], v[22:23], v[38:39], -v[32:33]
	v_add_f64 v[26:27], v[26:27], v[18:19]
	v_add_f64 v[28:29], v[28:29], v[20:21]
	ds_load_b128 v[2:5], v1 offset:1600
	ds_load_b128 v[18:21], v1 offset:1616
	s_waitcnt vmcnt(3) lgkmcnt(1)
	v_mul_f64 v[36:37], v[2:3], v[44:45]
	v_mul_f64 v[44:45], v[4:5], v[44:45]
	s_waitcnt vmcnt(2) lgkmcnt(0)
	v_mul_f64 v[30:31], v[18:19], v[8:9]
	v_mul_f64 v[8:9], v[20:21], v[8:9]
	v_add_f64 v[26:27], v[26:27], v[34:35]
	v_add_f64 v[28:29], v[28:29], v[40:41]
	v_fma_f64 v[32:33], v[4:5], v[42:43], v[36:37]
	v_fma_f64 v[34:35], v[2:3], v[42:43], -v[44:45]
	v_fma_f64 v[20:21], v[20:21], v[6:7], v[30:31]
	v_fma_f64 v[6:7], v[18:19], v[6:7], -v[8:9]
	v_add_f64 v[26:27], v[26:27], v[22:23]
	v_add_f64 v[28:29], v[28:29], v[24:25]
	ds_load_b128 v[2:5], v1 offset:1632
	ds_load_b128 v[22:25], v1 offset:1648
	s_waitcnt vmcnt(1) lgkmcnt(1)
	v_mul_f64 v[36:37], v[2:3], v[12:13]
	v_mul_f64 v[12:13], v[4:5], v[12:13]
	v_add_f64 v[8:9], v[26:27], v[34:35]
	v_add_f64 v[18:19], v[28:29], v[32:33]
	s_waitcnt vmcnt(0) lgkmcnt(0)
	v_mul_f64 v[26:27], v[22:23], v[16:17]
	v_mul_f64 v[16:17], v[24:25], v[16:17]
	v_fma_f64 v[4:5], v[4:5], v[10:11], v[36:37]
	v_fma_f64 v[1:2], v[2:3], v[10:11], -v[12:13]
	v_add_f64 v[6:7], v[8:9], v[6:7]
	v_add_f64 v[8:9], v[18:19], v[20:21]
	v_fma_f64 v[10:11], v[24:25], v[14:15], v[26:27]
	v_fma_f64 v[12:13], v[22:23], v[14:15], -v[16:17]
	s_delay_alu instid0(VALU_DEP_4) | instskip(NEXT) | instid1(VALU_DEP_4)
	v_add_f64 v[1:2], v[6:7], v[1:2]
	v_add_f64 v[3:4], v[8:9], v[4:5]
	s_delay_alu instid0(VALU_DEP_2) | instskip(NEXT) | instid1(VALU_DEP_2)
	v_add_f64 v[1:2], v[1:2], v[12:13]
	v_add_f64 v[3:4], v[3:4], v[10:11]
	s_delay_alu instid0(VALU_DEP_2) | instskip(NEXT) | instid1(VALU_DEP_2)
	v_add_f64 v[1:2], v[153:154], -v[1:2]
	v_add_f64 v[3:4], v[155:156], -v[3:4]
	scratch_store_b128 off, v[1:4], off offset:112
	v_cmpx_lt_u32_e32 6, v150
	s_cbranch_execz .LBB115_313
; %bb.312:
	scratch_load_b128 v[1:4], v196, off
	v_mov_b32_e32 v5, 0
	s_delay_alu instid0(VALU_DEP_1)
	v_mov_b32_e32 v6, v5
	v_mov_b32_e32 v7, v5
	;; [unrolled: 1-line block ×3, first 2 shown]
	scratch_store_b128 off, v[5:8], off offset:96
	s_waitcnt vmcnt(0)
	ds_store_b128 v202, v[1:4]
.LBB115_313:
	s_or_b32 exec_lo, exec_lo, s2
	s_waitcnt lgkmcnt(0)
	s_waitcnt_vscnt null, 0x0
	s_barrier
	buffer_gl0_inv
	s_clause 0x7
	scratch_load_b128 v[2:5], off, off offset:112
	scratch_load_b128 v[6:9], off, off offset:128
	;; [unrolled: 1-line block ×8, first 2 shown]
	v_mov_b32_e32 v1, 0
	s_mov_b32 s2, exec_lo
	ds_load_b128 v[38:41], v1 offset:944
	s_clause 0x1
	scratch_load_b128 v[34:37], off, off offset:240
	scratch_load_b128 v[42:45], off, off offset:96
	ds_load_b128 v[153:156], v1 offset:960
	scratch_load_b128 v[166:169], off, off offset:256
	ds_load_b128 v[217:220], v1 offset:992
	s_waitcnt vmcnt(10) lgkmcnt(2)
	v_mul_f64 v[163:164], v[40:41], v[4:5]
	v_mul_f64 v[4:5], v[38:39], v[4:5]
	s_delay_alu instid0(VALU_DEP_2) | instskip(NEXT) | instid1(VALU_DEP_2)
	v_fma_f64 v[163:164], v[38:39], v[2:3], -v[163:164]
	v_fma_f64 v[223:224], v[40:41], v[2:3], v[4:5]
	ds_load_b128 v[2:5], v1 offset:976
	s_waitcnt vmcnt(9) lgkmcnt(2)
	v_mul_f64 v[221:222], v[153:154], v[8:9]
	v_mul_f64 v[8:9], v[155:156], v[8:9]
	scratch_load_b128 v[38:41], off, off offset:272
	s_waitcnt vmcnt(9) lgkmcnt(0)
	v_mul_f64 v[225:226], v[2:3], v[12:13]
	v_mul_f64 v[12:13], v[4:5], v[12:13]
	v_add_f64 v[163:164], v[163:164], 0
	v_fma_f64 v[155:156], v[155:156], v[6:7], v[221:222]
	v_fma_f64 v[153:154], v[153:154], v[6:7], -v[8:9]
	v_add_f64 v[221:222], v[223:224], 0
	scratch_load_b128 v[6:9], off, off offset:288
	v_fma_f64 v[225:226], v[4:5], v[10:11], v[225:226]
	v_fma_f64 v[227:228], v[2:3], v[10:11], -v[12:13]
	scratch_load_b128 v[10:13], off, off offset:304
	ds_load_b128 v[2:5], v1 offset:1008
	s_waitcnt vmcnt(10)
	v_mul_f64 v[223:224], v[217:218], v[16:17]
	v_mul_f64 v[16:17], v[219:220], v[16:17]
	v_add_f64 v[163:164], v[163:164], v[153:154]
	v_add_f64 v[221:222], v[221:222], v[155:156]
	ds_load_b128 v[153:156], v1 offset:1024
	s_waitcnt vmcnt(9) lgkmcnt(1)
	v_mul_f64 v[229:230], v[2:3], v[20:21]
	v_mul_f64 v[20:21], v[4:5], v[20:21]
	v_fma_f64 v[219:220], v[219:220], v[14:15], v[223:224]
	v_fma_f64 v[217:218], v[217:218], v[14:15], -v[16:17]
	scratch_load_b128 v[14:17], off, off offset:320
	v_add_f64 v[163:164], v[163:164], v[227:228]
	v_add_f64 v[221:222], v[221:222], v[225:226]
	v_fma_f64 v[225:226], v[4:5], v[18:19], v[229:230]
	v_fma_f64 v[227:228], v[2:3], v[18:19], -v[20:21]
	scratch_load_b128 v[18:21], off, off offset:336
	ds_load_b128 v[2:5], v1 offset:1040
	s_waitcnt vmcnt(10) lgkmcnt(1)
	v_mul_f64 v[223:224], v[153:154], v[24:25]
	v_mul_f64 v[24:25], v[155:156], v[24:25]
	s_waitcnt vmcnt(9) lgkmcnt(0)
	v_mul_f64 v[229:230], v[2:3], v[28:29]
	v_mul_f64 v[28:29], v[4:5], v[28:29]
	v_add_f64 v[163:164], v[163:164], v[217:218]
	v_add_f64 v[221:222], v[221:222], v[219:220]
	ds_load_b128 v[217:220], v1 offset:1056
	v_fma_f64 v[155:156], v[155:156], v[22:23], v[223:224]
	v_fma_f64 v[153:154], v[153:154], v[22:23], -v[24:25]
	scratch_load_b128 v[22:25], off, off offset:352
	v_add_f64 v[163:164], v[163:164], v[227:228]
	v_add_f64 v[221:222], v[221:222], v[225:226]
	v_fma_f64 v[225:226], v[4:5], v[26:27], v[229:230]
	v_fma_f64 v[227:228], v[2:3], v[26:27], -v[28:29]
	scratch_load_b128 v[26:29], off, off offset:368
	ds_load_b128 v[2:5], v1 offset:1072
	s_waitcnt vmcnt(10) lgkmcnt(1)
	v_mul_f64 v[223:224], v[217:218], v[32:33]
	v_mul_f64 v[32:33], v[219:220], v[32:33]
	s_waitcnt vmcnt(9) lgkmcnt(0)
	v_mul_f64 v[229:230], v[2:3], v[36:37]
	v_mul_f64 v[36:37], v[4:5], v[36:37]
	v_add_f64 v[163:164], v[163:164], v[153:154]
	v_add_f64 v[221:222], v[221:222], v[155:156]
	ds_load_b128 v[153:156], v1 offset:1088
	v_fma_f64 v[219:220], v[219:220], v[30:31], v[223:224]
	v_fma_f64 v[217:218], v[217:218], v[30:31], -v[32:33]
	scratch_load_b128 v[30:33], off, off offset:384
	v_add_f64 v[163:164], v[163:164], v[227:228]
	v_add_f64 v[221:222], v[221:222], v[225:226]
	v_fma_f64 v[225:226], v[4:5], v[34:35], v[229:230]
	v_fma_f64 v[227:228], v[2:3], v[34:35], -v[36:37]
	scratch_load_b128 v[34:37], off, off offset:400
	ds_load_b128 v[2:5], v1 offset:1104
	s_waitcnt vmcnt(9) lgkmcnt(1)
	v_mul_f64 v[223:224], v[153:154], v[168:169]
	v_mul_f64 v[168:169], v[155:156], v[168:169]
	v_add_f64 v[163:164], v[163:164], v[217:218]
	v_add_f64 v[221:222], v[221:222], v[219:220]
	ds_load_b128 v[217:220], v1 offset:1120
	v_fma_f64 v[223:224], v[155:156], v[166:167], v[223:224]
	v_fma_f64 v[166:167], v[153:154], v[166:167], -v[168:169]
	scratch_load_b128 v[153:156], off, off offset:416
	s_waitcnt vmcnt(9) lgkmcnt(1)
	v_mul_f64 v[229:230], v[2:3], v[40:41]
	v_mul_f64 v[40:41], v[4:5], v[40:41]
	v_add_f64 v[163:164], v[163:164], v[227:228]
	v_add_f64 v[168:169], v[221:222], v[225:226]
	s_delay_alu instid0(VALU_DEP_4) | instskip(NEXT) | instid1(VALU_DEP_4)
	v_fma_f64 v[225:226], v[4:5], v[38:39], v[229:230]
	v_fma_f64 v[227:228], v[2:3], v[38:39], -v[40:41]
	scratch_load_b128 v[38:41], off, off offset:432
	ds_load_b128 v[2:5], v1 offset:1136
	s_waitcnt vmcnt(9) lgkmcnt(1)
	v_mul_f64 v[221:222], v[217:218], v[8:9]
	v_mul_f64 v[8:9], v[219:220], v[8:9]
	v_add_f64 v[163:164], v[163:164], v[166:167]
	v_add_f64 v[223:224], v[168:169], v[223:224]
	s_waitcnt vmcnt(8) lgkmcnt(0)
	v_mul_f64 v[229:230], v[2:3], v[12:13]
	v_mul_f64 v[12:13], v[4:5], v[12:13]
	ds_load_b128 v[166:169], v1 offset:1152
	v_fma_f64 v[219:220], v[219:220], v[6:7], v[221:222]
	v_fma_f64 v[217:218], v[217:218], v[6:7], -v[8:9]
	scratch_load_b128 v[6:9], off, off offset:448
	v_add_f64 v[163:164], v[163:164], v[227:228]
	v_add_f64 v[221:222], v[223:224], v[225:226]
	v_fma_f64 v[225:226], v[4:5], v[10:11], v[229:230]
	v_fma_f64 v[227:228], v[2:3], v[10:11], -v[12:13]
	scratch_load_b128 v[10:13], off, off offset:464
	ds_load_b128 v[2:5], v1 offset:1168
	s_waitcnt vmcnt(9) lgkmcnt(1)
	v_mul_f64 v[223:224], v[166:167], v[16:17]
	v_mul_f64 v[16:17], v[168:169], v[16:17]
	s_waitcnt vmcnt(8) lgkmcnt(0)
	v_mul_f64 v[229:230], v[2:3], v[20:21]
	v_mul_f64 v[20:21], v[4:5], v[20:21]
	v_add_f64 v[163:164], v[163:164], v[217:218]
	v_add_f64 v[221:222], v[221:222], v[219:220]
	ds_load_b128 v[217:220], v1 offset:1184
	v_fma_f64 v[168:169], v[168:169], v[14:15], v[223:224]
	v_fma_f64 v[166:167], v[166:167], v[14:15], -v[16:17]
	scratch_load_b128 v[14:17], off, off offset:480
	v_add_f64 v[163:164], v[163:164], v[227:228]
	v_add_f64 v[221:222], v[221:222], v[225:226]
	v_fma_f64 v[225:226], v[4:5], v[18:19], v[229:230]
	v_fma_f64 v[227:228], v[2:3], v[18:19], -v[20:21]
	scratch_load_b128 v[18:21], off, off offset:496
	ds_load_b128 v[2:5], v1 offset:1200
	s_waitcnt vmcnt(9) lgkmcnt(1)
	v_mul_f64 v[223:224], v[217:218], v[24:25]
	v_mul_f64 v[24:25], v[219:220], v[24:25]
	s_waitcnt vmcnt(8) lgkmcnt(0)
	v_mul_f64 v[229:230], v[2:3], v[28:29]
	v_mul_f64 v[28:29], v[4:5], v[28:29]
	v_add_f64 v[163:164], v[163:164], v[166:167]
	v_add_f64 v[221:222], v[221:222], v[168:169]
	;; [unrolled: 18-line block ×12, first 2 shown]
	ds_load_b128 v[166:169], v1 offset:1536
	v_fma_f64 v[219:220], v[219:220], v[22:23], v[223:224]
	v_fma_f64 v[22:23], v[217:218], v[22:23], -v[24:25]
	s_waitcnt vmcnt(7) lgkmcnt(0)
	v_mul_f64 v[217:218], v[166:167], v[32:33]
	v_mul_f64 v[32:33], v[168:169], v[32:33]
	v_add_f64 v[24:25], v[163:164], v[227:228]
	v_add_f64 v[163:164], v[221:222], v[225:226]
	v_fma_f64 v[221:222], v[4:5], v[26:27], v[229:230]
	v_fma_f64 v[26:27], v[2:3], v[26:27], -v[28:29]
	v_fma_f64 v[168:169], v[168:169], v[30:31], v[217:218]
	v_fma_f64 v[30:31], v[166:167], v[30:31], -v[32:33]
	v_add_f64 v[28:29], v[24:25], v[22:23]
	v_add_f64 v[163:164], v[163:164], v[219:220]
	ds_load_b128 v[2:5], v1 offset:1552
	ds_load_b128 v[22:25], v1 offset:1568
	s_waitcnt vmcnt(6) lgkmcnt(1)
	v_mul_f64 v[219:220], v[2:3], v[36:37]
	v_mul_f64 v[36:37], v[4:5], v[36:37]
	s_waitcnt vmcnt(5) lgkmcnt(0)
	v_mul_f64 v[32:33], v[22:23], v[155:156]
	v_mul_f64 v[155:156], v[24:25], v[155:156]
	v_add_f64 v[26:27], v[28:29], v[26:27]
	v_add_f64 v[28:29], v[163:164], v[221:222]
	v_fma_f64 v[163:164], v[4:5], v[34:35], v[219:220]
	v_fma_f64 v[34:35], v[2:3], v[34:35], -v[36:37]
	v_fma_f64 v[24:25], v[24:25], v[153:154], v[32:33]
	v_fma_f64 v[22:23], v[22:23], v[153:154], -v[155:156]
	v_add_f64 v[30:31], v[26:27], v[30:31]
	v_add_f64 v[36:37], v[28:29], v[168:169]
	ds_load_b128 v[2:5], v1 offset:1584
	ds_load_b128 v[26:29], v1 offset:1600
	s_waitcnt vmcnt(4) lgkmcnt(1)
	v_mul_f64 v[166:167], v[2:3], v[40:41]
	v_mul_f64 v[40:41], v[4:5], v[40:41]
	v_add_f64 v[30:31], v[30:31], v[34:35]
	v_add_f64 v[32:33], v[36:37], v[163:164]
	s_waitcnt vmcnt(3) lgkmcnt(0)
	v_mul_f64 v[34:35], v[26:27], v[8:9]
	v_mul_f64 v[8:9], v[28:29], v[8:9]
	v_fma_f64 v[36:37], v[4:5], v[38:39], v[166:167]
	v_fma_f64 v[38:39], v[2:3], v[38:39], -v[40:41]
	v_add_f64 v[30:31], v[30:31], v[22:23]
	v_add_f64 v[32:33], v[32:33], v[24:25]
	ds_load_b128 v[2:5], v1 offset:1616
	ds_load_b128 v[22:25], v1 offset:1632
	v_fma_f64 v[28:29], v[28:29], v[6:7], v[34:35]
	v_fma_f64 v[6:7], v[26:27], v[6:7], -v[8:9]
	s_waitcnt vmcnt(2) lgkmcnt(1)
	v_mul_f64 v[40:41], v[2:3], v[12:13]
	v_mul_f64 v[12:13], v[4:5], v[12:13]
	v_add_f64 v[8:9], v[30:31], v[38:39]
	v_add_f64 v[26:27], v[32:33], v[36:37]
	s_waitcnt vmcnt(1) lgkmcnt(0)
	v_mul_f64 v[30:31], v[22:23], v[16:17]
	v_mul_f64 v[16:17], v[24:25], v[16:17]
	v_fma_f64 v[32:33], v[4:5], v[10:11], v[40:41]
	v_fma_f64 v[10:11], v[2:3], v[10:11], -v[12:13]
	ds_load_b128 v[2:5], v1 offset:1648
	v_add_f64 v[6:7], v[8:9], v[6:7]
	v_add_f64 v[8:9], v[26:27], v[28:29]
	v_fma_f64 v[24:25], v[24:25], v[14:15], v[30:31]
	v_fma_f64 v[14:15], v[22:23], v[14:15], -v[16:17]
	s_waitcnt vmcnt(0) lgkmcnt(0)
	v_mul_f64 v[12:13], v[2:3], v[20:21]
	v_mul_f64 v[20:21], v[4:5], v[20:21]
	v_add_f64 v[6:7], v[6:7], v[10:11]
	v_add_f64 v[8:9], v[8:9], v[32:33]
	s_delay_alu instid0(VALU_DEP_4) | instskip(NEXT) | instid1(VALU_DEP_4)
	v_fma_f64 v[4:5], v[4:5], v[18:19], v[12:13]
	v_fma_f64 v[2:3], v[2:3], v[18:19], -v[20:21]
	s_delay_alu instid0(VALU_DEP_4) | instskip(NEXT) | instid1(VALU_DEP_4)
	v_add_f64 v[6:7], v[6:7], v[14:15]
	v_add_f64 v[8:9], v[8:9], v[24:25]
	s_delay_alu instid0(VALU_DEP_2) | instskip(NEXT) | instid1(VALU_DEP_2)
	v_add_f64 v[2:3], v[6:7], v[2:3]
	v_add_f64 v[4:5], v[8:9], v[4:5]
	s_delay_alu instid0(VALU_DEP_2) | instskip(NEXT) | instid1(VALU_DEP_2)
	v_add_f64 v[2:3], v[42:43], -v[2:3]
	v_add_f64 v[4:5], v[44:45], -v[4:5]
	scratch_store_b128 off, v[2:5], off offset:96
	v_cmpx_lt_u32_e32 5, v150
	s_cbranch_execz .LBB115_315
; %bb.314:
	scratch_load_b128 v[5:8], v197, off
	v_mov_b32_e32 v2, v1
	v_mov_b32_e32 v3, v1
	;; [unrolled: 1-line block ×3, first 2 shown]
	scratch_store_b128 off, v[1:4], off offset:80
	s_waitcnt vmcnt(0)
	ds_store_b128 v202, v[5:8]
.LBB115_315:
	s_or_b32 exec_lo, exec_lo, s2
	s_waitcnt lgkmcnt(0)
	s_waitcnt_vscnt null, 0x0
	s_barrier
	buffer_gl0_inv
	s_clause 0x8
	scratch_load_b128 v[2:5], off, off offset:96
	scratch_load_b128 v[6:9], off, off offset:112
	;; [unrolled: 1-line block ×9, first 2 shown]
	ds_load_b128 v[42:45], v1 offset:928
	ds_load_b128 v[38:41], v1 offset:944
	s_clause 0x1
	scratch_load_b128 v[153:156], off, off offset:80
	scratch_load_b128 v[166:169], off, off offset:240
	s_mov_b32 s2, exec_lo
	ds_load_b128 v[217:220], v1 offset:976
	s_waitcnt vmcnt(10) lgkmcnt(2)
	v_mul_f64 v[163:164], v[44:45], v[4:5]
	v_mul_f64 v[4:5], v[42:43], v[4:5]
	s_waitcnt vmcnt(9) lgkmcnt(1)
	v_mul_f64 v[221:222], v[38:39], v[8:9]
	v_mul_f64 v[8:9], v[40:41], v[8:9]
	s_delay_alu instid0(VALU_DEP_4) | instskip(NEXT) | instid1(VALU_DEP_4)
	v_fma_f64 v[163:164], v[42:43], v[2:3], -v[163:164]
	v_fma_f64 v[223:224], v[44:45], v[2:3], v[4:5]
	ds_load_b128 v[2:5], v1 offset:960
	scratch_load_b128 v[42:45], off, off offset:256
	v_fma_f64 v[40:41], v[40:41], v[6:7], v[221:222]
	v_fma_f64 v[38:39], v[38:39], v[6:7], -v[8:9]
	scratch_load_b128 v[6:9], off, off offset:272
	s_waitcnt vmcnt(10) lgkmcnt(0)
	v_mul_f64 v[225:226], v[2:3], v[12:13]
	v_mul_f64 v[12:13], v[4:5], v[12:13]
	v_add_f64 v[163:164], v[163:164], 0
	v_add_f64 v[221:222], v[223:224], 0
	s_waitcnt vmcnt(9)
	v_mul_f64 v[223:224], v[217:218], v[16:17]
	v_mul_f64 v[16:17], v[219:220], v[16:17]
	v_fma_f64 v[225:226], v[4:5], v[10:11], v[225:226]
	v_fma_f64 v[227:228], v[2:3], v[10:11], -v[12:13]
	ds_load_b128 v[2:5], v1 offset:992
	scratch_load_b128 v[10:13], off, off offset:288
	v_add_f64 v[163:164], v[163:164], v[38:39]
	v_add_f64 v[221:222], v[221:222], v[40:41]
	ds_load_b128 v[38:41], v1 offset:1008
	v_fma_f64 v[219:220], v[219:220], v[14:15], v[223:224]
	v_fma_f64 v[217:218], v[217:218], v[14:15], -v[16:17]
	scratch_load_b128 v[14:17], off, off offset:304
	s_waitcnt vmcnt(10) lgkmcnt(1)
	v_mul_f64 v[229:230], v[2:3], v[20:21]
	v_mul_f64 v[20:21], v[4:5], v[20:21]
	s_waitcnt vmcnt(9) lgkmcnt(0)
	v_mul_f64 v[223:224], v[38:39], v[24:25]
	v_mul_f64 v[24:25], v[40:41], v[24:25]
	v_add_f64 v[163:164], v[163:164], v[227:228]
	v_add_f64 v[221:222], v[221:222], v[225:226]
	v_fma_f64 v[225:226], v[4:5], v[18:19], v[229:230]
	v_fma_f64 v[227:228], v[2:3], v[18:19], -v[20:21]
	ds_load_b128 v[2:5], v1 offset:1024
	scratch_load_b128 v[18:21], off, off offset:320
	v_fma_f64 v[40:41], v[40:41], v[22:23], v[223:224]
	v_fma_f64 v[38:39], v[38:39], v[22:23], -v[24:25]
	scratch_load_b128 v[22:25], off, off offset:336
	v_add_f64 v[163:164], v[163:164], v[217:218]
	v_add_f64 v[221:222], v[221:222], v[219:220]
	ds_load_b128 v[217:220], v1 offset:1040
	s_waitcnt vmcnt(10) lgkmcnt(1)
	v_mul_f64 v[229:230], v[2:3], v[28:29]
	v_mul_f64 v[28:29], v[4:5], v[28:29]
	s_waitcnt vmcnt(9) lgkmcnt(0)
	v_mul_f64 v[223:224], v[217:218], v[32:33]
	v_mul_f64 v[32:33], v[219:220], v[32:33]
	v_add_f64 v[163:164], v[163:164], v[227:228]
	v_add_f64 v[221:222], v[221:222], v[225:226]
	v_fma_f64 v[225:226], v[4:5], v[26:27], v[229:230]
	v_fma_f64 v[227:228], v[2:3], v[26:27], -v[28:29]
	ds_load_b128 v[2:5], v1 offset:1056
	scratch_load_b128 v[26:29], off, off offset:352
	v_fma_f64 v[219:220], v[219:220], v[30:31], v[223:224]
	v_fma_f64 v[217:218], v[217:218], v[30:31], -v[32:33]
	scratch_load_b128 v[30:33], off, off offset:368
	v_add_f64 v[163:164], v[163:164], v[38:39]
	v_add_f64 v[221:222], v[221:222], v[40:41]
	ds_load_b128 v[38:41], v1 offset:1072
	;; [unrolled: 18-line block ×3, first 2 shown]
	s_waitcnt vmcnt(9) lgkmcnt(1)
	v_mul_f64 v[229:230], v[2:3], v[44:45]
	v_mul_f64 v[44:45], v[4:5], v[44:45]
	v_add_f64 v[163:164], v[163:164], v[227:228]
	v_add_f64 v[168:169], v[221:222], v[225:226]
	s_waitcnt vmcnt(8) lgkmcnt(0)
	v_mul_f64 v[221:222], v[217:218], v[8:9]
	v_mul_f64 v[8:9], v[219:220], v[8:9]
	v_fma_f64 v[225:226], v[4:5], v[42:43], v[229:230]
	v_fma_f64 v[227:228], v[2:3], v[42:43], -v[44:45]
	ds_load_b128 v[2:5], v1 offset:1120
	scratch_load_b128 v[42:45], off, off offset:416
	v_add_f64 v[163:164], v[163:164], v[166:167]
	v_add_f64 v[223:224], v[168:169], v[223:224]
	ds_load_b128 v[166:169], v1 offset:1136
	s_waitcnt vmcnt(8) lgkmcnt(1)
	v_mul_f64 v[229:230], v[2:3], v[12:13]
	v_mul_f64 v[12:13], v[4:5], v[12:13]
	v_fma_f64 v[219:220], v[219:220], v[6:7], v[221:222]
	v_fma_f64 v[217:218], v[217:218], v[6:7], -v[8:9]
	scratch_load_b128 v[6:9], off, off offset:432
	v_add_f64 v[163:164], v[163:164], v[227:228]
	v_add_f64 v[221:222], v[223:224], v[225:226]
	s_waitcnt vmcnt(8) lgkmcnt(0)
	v_mul_f64 v[223:224], v[166:167], v[16:17]
	v_mul_f64 v[16:17], v[168:169], v[16:17]
	v_fma_f64 v[225:226], v[4:5], v[10:11], v[229:230]
	v_fma_f64 v[227:228], v[2:3], v[10:11], -v[12:13]
	ds_load_b128 v[2:5], v1 offset:1152
	scratch_load_b128 v[10:13], off, off offset:448
	v_add_f64 v[163:164], v[163:164], v[217:218]
	v_add_f64 v[221:222], v[221:222], v[219:220]
	ds_load_b128 v[217:220], v1 offset:1168
	s_waitcnt vmcnt(8) lgkmcnt(1)
	v_mul_f64 v[229:230], v[2:3], v[20:21]
	v_mul_f64 v[20:21], v[4:5], v[20:21]
	v_fma_f64 v[168:169], v[168:169], v[14:15], v[223:224]
	v_fma_f64 v[166:167], v[166:167], v[14:15], -v[16:17]
	scratch_load_b128 v[14:17], off, off offset:464
	s_waitcnt vmcnt(8) lgkmcnt(0)
	v_mul_f64 v[223:224], v[217:218], v[24:25]
	v_mul_f64 v[24:25], v[219:220], v[24:25]
	v_add_f64 v[163:164], v[163:164], v[227:228]
	v_add_f64 v[221:222], v[221:222], v[225:226]
	v_fma_f64 v[225:226], v[4:5], v[18:19], v[229:230]
	v_fma_f64 v[227:228], v[2:3], v[18:19], -v[20:21]
	ds_load_b128 v[2:5], v1 offset:1184
	scratch_load_b128 v[18:21], off, off offset:480
	v_fma_f64 v[219:220], v[219:220], v[22:23], v[223:224]
	v_fma_f64 v[217:218], v[217:218], v[22:23], -v[24:25]
	scratch_load_b128 v[22:25], off, off offset:496
	v_add_f64 v[163:164], v[163:164], v[166:167]
	v_add_f64 v[221:222], v[221:222], v[168:169]
	ds_load_b128 v[166:169], v1 offset:1200
	s_waitcnt vmcnt(9) lgkmcnt(1)
	v_mul_f64 v[229:230], v[2:3], v[28:29]
	v_mul_f64 v[28:29], v[4:5], v[28:29]
	s_waitcnt vmcnt(8) lgkmcnt(0)
	v_mul_f64 v[223:224], v[166:167], v[32:33]
	v_mul_f64 v[32:33], v[168:169], v[32:33]
	v_add_f64 v[163:164], v[163:164], v[227:228]
	v_add_f64 v[221:222], v[221:222], v[225:226]
	v_fma_f64 v[225:226], v[4:5], v[26:27], v[229:230]
	v_fma_f64 v[227:228], v[2:3], v[26:27], -v[28:29]
	ds_load_b128 v[2:5], v1 offset:1216
	scratch_load_b128 v[26:29], off, off offset:512
	v_fma_f64 v[168:169], v[168:169], v[30:31], v[223:224]
	v_fma_f64 v[166:167], v[166:167], v[30:31], -v[32:33]
	scratch_load_b128 v[30:33], off, off offset:528
	v_add_f64 v[163:164], v[163:164], v[217:218]
	v_add_f64 v[221:222], v[221:222], v[219:220]
	ds_load_b128 v[217:220], v1 offset:1232
	s_waitcnt vmcnt(9) lgkmcnt(1)
	v_mul_f64 v[229:230], v[2:3], v[36:37]
	v_mul_f64 v[36:37], v[4:5], v[36:37]
	;; [unrolled: 18-line block ×11, first 2 shown]
	s_waitcnt vmcnt(8) lgkmcnt(0)
	v_mul_f64 v[223:224], v[166:167], v[32:33]
	v_mul_f64 v[32:33], v[168:169], v[32:33]
	v_add_f64 v[163:164], v[163:164], v[227:228]
	v_add_f64 v[221:222], v[221:222], v[225:226]
	v_fma_f64 v[225:226], v[4:5], v[26:27], v[229:230]
	v_fma_f64 v[227:228], v[2:3], v[26:27], -v[28:29]
	ds_load_b128 v[2:5], v1 offset:1536
	ds_load_b128 v[26:29], v1 offset:1552
	v_fma_f64 v[168:169], v[168:169], v[30:31], v[223:224]
	v_fma_f64 v[30:31], v[166:167], v[30:31], -v[32:33]
	v_add_f64 v[163:164], v[163:164], v[217:218]
	v_add_f64 v[217:218], v[221:222], v[219:220]
	s_waitcnt vmcnt(7) lgkmcnt(1)
	v_mul_f64 v[219:220], v[2:3], v[36:37]
	v_mul_f64 v[36:37], v[4:5], v[36:37]
	s_waitcnt vmcnt(6) lgkmcnt(0)
	v_mul_f64 v[166:167], v[26:27], v[40:41]
	v_mul_f64 v[40:41], v[28:29], v[40:41]
	v_add_f64 v[32:33], v[163:164], v[227:228]
	v_add_f64 v[163:164], v[217:218], v[225:226]
	v_fma_f64 v[217:218], v[4:5], v[34:35], v[219:220]
	v_fma_f64 v[34:35], v[2:3], v[34:35], -v[36:37]
	v_fma_f64 v[28:29], v[28:29], v[38:39], v[166:167]
	v_fma_f64 v[26:27], v[26:27], v[38:39], -v[40:41]
	v_add_f64 v[36:37], v[32:33], v[30:31]
	v_add_f64 v[163:164], v[163:164], v[168:169]
	ds_load_b128 v[2:5], v1 offset:1568
	ds_load_b128 v[30:33], v1 offset:1584
	s_waitcnt vmcnt(5) lgkmcnt(1)
	v_mul_f64 v[168:169], v[2:3], v[44:45]
	v_mul_f64 v[44:45], v[4:5], v[44:45]
	s_waitcnt vmcnt(4) lgkmcnt(0)
	v_mul_f64 v[38:39], v[30:31], v[8:9]
	v_mul_f64 v[8:9], v[32:33], v[8:9]
	v_add_f64 v[34:35], v[36:37], v[34:35]
	v_add_f64 v[36:37], v[163:164], v[217:218]
	v_fma_f64 v[40:41], v[4:5], v[42:43], v[168:169]
	v_fma_f64 v[42:43], v[2:3], v[42:43], -v[44:45]
	v_fma_f64 v[32:33], v[32:33], v[6:7], v[38:39]
	v_fma_f64 v[6:7], v[30:31], v[6:7], -v[8:9]
	v_add_f64 v[34:35], v[34:35], v[26:27]
	v_add_f64 v[36:37], v[36:37], v[28:29]
	ds_load_b128 v[2:5], v1 offset:1600
	ds_load_b128 v[26:29], v1 offset:1616
	s_waitcnt vmcnt(3) lgkmcnt(1)
	v_mul_f64 v[44:45], v[2:3], v[12:13]
	v_mul_f64 v[12:13], v[4:5], v[12:13]
	v_add_f64 v[8:9], v[34:35], v[42:43]
	v_add_f64 v[30:31], v[36:37], v[40:41]
	s_waitcnt vmcnt(2) lgkmcnt(0)
	v_mul_f64 v[34:35], v[26:27], v[16:17]
	v_mul_f64 v[16:17], v[28:29], v[16:17]
	v_fma_f64 v[36:37], v[4:5], v[10:11], v[44:45]
	v_fma_f64 v[10:11], v[2:3], v[10:11], -v[12:13]
	v_add_f64 v[12:13], v[8:9], v[6:7]
	v_add_f64 v[30:31], v[30:31], v[32:33]
	ds_load_b128 v[2:5], v1 offset:1632
	ds_load_b128 v[6:9], v1 offset:1648
	v_fma_f64 v[28:29], v[28:29], v[14:15], v[34:35]
	v_fma_f64 v[14:15], v[26:27], v[14:15], -v[16:17]
	s_waitcnt vmcnt(1) lgkmcnt(1)
	v_mul_f64 v[32:33], v[2:3], v[20:21]
	v_mul_f64 v[20:21], v[4:5], v[20:21]
	s_waitcnt vmcnt(0) lgkmcnt(0)
	v_mul_f64 v[16:17], v[6:7], v[24:25]
	v_mul_f64 v[24:25], v[8:9], v[24:25]
	v_add_f64 v[10:11], v[12:13], v[10:11]
	v_add_f64 v[12:13], v[30:31], v[36:37]
	v_fma_f64 v[4:5], v[4:5], v[18:19], v[32:33]
	v_fma_f64 v[1:2], v[2:3], v[18:19], -v[20:21]
	v_fma_f64 v[8:9], v[8:9], v[22:23], v[16:17]
	v_fma_f64 v[6:7], v[6:7], v[22:23], -v[24:25]
	v_add_f64 v[10:11], v[10:11], v[14:15]
	v_add_f64 v[12:13], v[12:13], v[28:29]
	s_delay_alu instid0(VALU_DEP_2) | instskip(NEXT) | instid1(VALU_DEP_2)
	v_add_f64 v[1:2], v[10:11], v[1:2]
	v_add_f64 v[3:4], v[12:13], v[4:5]
	s_delay_alu instid0(VALU_DEP_2) | instskip(NEXT) | instid1(VALU_DEP_2)
	;; [unrolled: 3-line block ×3, first 2 shown]
	v_add_f64 v[1:2], v[153:154], -v[1:2]
	v_add_f64 v[3:4], v[155:156], -v[3:4]
	scratch_store_b128 off, v[1:4], off offset:80
	v_cmpx_lt_u32_e32 4, v150
	s_cbranch_execz .LBB115_317
; %bb.316:
	scratch_load_b128 v[1:4], v198, off
	v_mov_b32_e32 v5, 0
	s_delay_alu instid0(VALU_DEP_1)
	v_mov_b32_e32 v6, v5
	v_mov_b32_e32 v7, v5
	;; [unrolled: 1-line block ×3, first 2 shown]
	scratch_store_b128 off, v[5:8], off offset:64
	s_waitcnt vmcnt(0)
	ds_store_b128 v202, v[1:4]
.LBB115_317:
	s_or_b32 exec_lo, exec_lo, s2
	s_waitcnt lgkmcnt(0)
	s_waitcnt_vscnt null, 0x0
	s_barrier
	buffer_gl0_inv
	s_clause 0x7
	scratch_load_b128 v[2:5], off, off offset:80
	scratch_load_b128 v[6:9], off, off offset:96
	;; [unrolled: 1-line block ×8, first 2 shown]
	v_mov_b32_e32 v1, 0
	s_mov_b32 s2, exec_lo
	ds_load_b128 v[38:41], v1 offset:912
	s_clause 0x1
	scratch_load_b128 v[34:37], off, off offset:208
	scratch_load_b128 v[42:45], off, off offset:64
	ds_load_b128 v[153:156], v1 offset:928
	scratch_load_b128 v[166:169], off, off offset:224
	ds_load_b128 v[217:220], v1 offset:960
	s_waitcnt vmcnt(10) lgkmcnt(2)
	v_mul_f64 v[163:164], v[40:41], v[4:5]
	v_mul_f64 v[4:5], v[38:39], v[4:5]
	s_delay_alu instid0(VALU_DEP_2) | instskip(NEXT) | instid1(VALU_DEP_2)
	v_fma_f64 v[163:164], v[38:39], v[2:3], -v[163:164]
	v_fma_f64 v[223:224], v[40:41], v[2:3], v[4:5]
	ds_load_b128 v[2:5], v1 offset:944
	s_waitcnt vmcnt(9) lgkmcnt(2)
	v_mul_f64 v[221:222], v[153:154], v[8:9]
	v_mul_f64 v[8:9], v[155:156], v[8:9]
	scratch_load_b128 v[38:41], off, off offset:240
	s_waitcnt vmcnt(9) lgkmcnt(0)
	v_mul_f64 v[225:226], v[2:3], v[12:13]
	v_mul_f64 v[12:13], v[4:5], v[12:13]
	v_add_f64 v[163:164], v[163:164], 0
	v_fma_f64 v[155:156], v[155:156], v[6:7], v[221:222]
	v_fma_f64 v[153:154], v[153:154], v[6:7], -v[8:9]
	v_add_f64 v[221:222], v[223:224], 0
	scratch_load_b128 v[6:9], off, off offset:256
	v_fma_f64 v[225:226], v[4:5], v[10:11], v[225:226]
	v_fma_f64 v[227:228], v[2:3], v[10:11], -v[12:13]
	scratch_load_b128 v[10:13], off, off offset:272
	ds_load_b128 v[2:5], v1 offset:976
	s_waitcnt vmcnt(10)
	v_mul_f64 v[223:224], v[217:218], v[16:17]
	v_mul_f64 v[16:17], v[219:220], v[16:17]
	v_add_f64 v[163:164], v[163:164], v[153:154]
	v_add_f64 v[221:222], v[221:222], v[155:156]
	ds_load_b128 v[153:156], v1 offset:992
	s_waitcnt vmcnt(9) lgkmcnt(1)
	v_mul_f64 v[229:230], v[2:3], v[20:21]
	v_mul_f64 v[20:21], v[4:5], v[20:21]
	v_fma_f64 v[219:220], v[219:220], v[14:15], v[223:224]
	v_fma_f64 v[217:218], v[217:218], v[14:15], -v[16:17]
	scratch_load_b128 v[14:17], off, off offset:288
	v_add_f64 v[163:164], v[163:164], v[227:228]
	v_add_f64 v[221:222], v[221:222], v[225:226]
	v_fma_f64 v[225:226], v[4:5], v[18:19], v[229:230]
	v_fma_f64 v[227:228], v[2:3], v[18:19], -v[20:21]
	scratch_load_b128 v[18:21], off, off offset:304
	ds_load_b128 v[2:5], v1 offset:1008
	s_waitcnt vmcnt(10) lgkmcnt(1)
	v_mul_f64 v[223:224], v[153:154], v[24:25]
	v_mul_f64 v[24:25], v[155:156], v[24:25]
	s_waitcnt vmcnt(9) lgkmcnt(0)
	v_mul_f64 v[229:230], v[2:3], v[28:29]
	v_mul_f64 v[28:29], v[4:5], v[28:29]
	v_add_f64 v[163:164], v[163:164], v[217:218]
	v_add_f64 v[221:222], v[221:222], v[219:220]
	ds_load_b128 v[217:220], v1 offset:1024
	v_fma_f64 v[155:156], v[155:156], v[22:23], v[223:224]
	v_fma_f64 v[153:154], v[153:154], v[22:23], -v[24:25]
	scratch_load_b128 v[22:25], off, off offset:320
	v_add_f64 v[163:164], v[163:164], v[227:228]
	v_add_f64 v[221:222], v[221:222], v[225:226]
	v_fma_f64 v[225:226], v[4:5], v[26:27], v[229:230]
	v_fma_f64 v[227:228], v[2:3], v[26:27], -v[28:29]
	scratch_load_b128 v[26:29], off, off offset:336
	ds_load_b128 v[2:5], v1 offset:1040
	s_waitcnt vmcnt(10) lgkmcnt(1)
	v_mul_f64 v[223:224], v[217:218], v[32:33]
	v_mul_f64 v[32:33], v[219:220], v[32:33]
	s_waitcnt vmcnt(9) lgkmcnt(0)
	v_mul_f64 v[229:230], v[2:3], v[36:37]
	v_mul_f64 v[36:37], v[4:5], v[36:37]
	v_add_f64 v[163:164], v[163:164], v[153:154]
	v_add_f64 v[221:222], v[221:222], v[155:156]
	ds_load_b128 v[153:156], v1 offset:1056
	v_fma_f64 v[219:220], v[219:220], v[30:31], v[223:224]
	v_fma_f64 v[217:218], v[217:218], v[30:31], -v[32:33]
	scratch_load_b128 v[30:33], off, off offset:352
	v_add_f64 v[163:164], v[163:164], v[227:228]
	v_add_f64 v[221:222], v[221:222], v[225:226]
	v_fma_f64 v[225:226], v[4:5], v[34:35], v[229:230]
	v_fma_f64 v[227:228], v[2:3], v[34:35], -v[36:37]
	scratch_load_b128 v[34:37], off, off offset:368
	ds_load_b128 v[2:5], v1 offset:1072
	s_waitcnt vmcnt(9) lgkmcnt(1)
	v_mul_f64 v[223:224], v[153:154], v[168:169]
	v_mul_f64 v[168:169], v[155:156], v[168:169]
	v_add_f64 v[163:164], v[163:164], v[217:218]
	v_add_f64 v[221:222], v[221:222], v[219:220]
	ds_load_b128 v[217:220], v1 offset:1088
	v_fma_f64 v[223:224], v[155:156], v[166:167], v[223:224]
	v_fma_f64 v[166:167], v[153:154], v[166:167], -v[168:169]
	scratch_load_b128 v[153:156], off, off offset:384
	s_waitcnt vmcnt(9) lgkmcnt(1)
	v_mul_f64 v[229:230], v[2:3], v[40:41]
	v_mul_f64 v[40:41], v[4:5], v[40:41]
	v_add_f64 v[163:164], v[163:164], v[227:228]
	v_add_f64 v[168:169], v[221:222], v[225:226]
	s_delay_alu instid0(VALU_DEP_4) | instskip(NEXT) | instid1(VALU_DEP_4)
	v_fma_f64 v[225:226], v[4:5], v[38:39], v[229:230]
	v_fma_f64 v[227:228], v[2:3], v[38:39], -v[40:41]
	scratch_load_b128 v[38:41], off, off offset:400
	ds_load_b128 v[2:5], v1 offset:1104
	s_waitcnt vmcnt(9) lgkmcnt(1)
	v_mul_f64 v[221:222], v[217:218], v[8:9]
	v_mul_f64 v[8:9], v[219:220], v[8:9]
	v_add_f64 v[163:164], v[163:164], v[166:167]
	v_add_f64 v[223:224], v[168:169], v[223:224]
	s_waitcnt vmcnt(8) lgkmcnt(0)
	v_mul_f64 v[229:230], v[2:3], v[12:13]
	v_mul_f64 v[12:13], v[4:5], v[12:13]
	ds_load_b128 v[166:169], v1 offset:1120
	v_fma_f64 v[219:220], v[219:220], v[6:7], v[221:222]
	v_fma_f64 v[217:218], v[217:218], v[6:7], -v[8:9]
	scratch_load_b128 v[6:9], off, off offset:416
	v_add_f64 v[163:164], v[163:164], v[227:228]
	v_add_f64 v[221:222], v[223:224], v[225:226]
	v_fma_f64 v[225:226], v[4:5], v[10:11], v[229:230]
	v_fma_f64 v[227:228], v[2:3], v[10:11], -v[12:13]
	scratch_load_b128 v[10:13], off, off offset:432
	ds_load_b128 v[2:5], v1 offset:1136
	s_waitcnt vmcnt(9) lgkmcnt(1)
	v_mul_f64 v[223:224], v[166:167], v[16:17]
	v_mul_f64 v[16:17], v[168:169], v[16:17]
	s_waitcnt vmcnt(8) lgkmcnt(0)
	v_mul_f64 v[229:230], v[2:3], v[20:21]
	v_mul_f64 v[20:21], v[4:5], v[20:21]
	v_add_f64 v[163:164], v[163:164], v[217:218]
	v_add_f64 v[221:222], v[221:222], v[219:220]
	ds_load_b128 v[217:220], v1 offset:1152
	v_fma_f64 v[168:169], v[168:169], v[14:15], v[223:224]
	v_fma_f64 v[166:167], v[166:167], v[14:15], -v[16:17]
	scratch_load_b128 v[14:17], off, off offset:448
	v_add_f64 v[163:164], v[163:164], v[227:228]
	v_add_f64 v[221:222], v[221:222], v[225:226]
	v_fma_f64 v[225:226], v[4:5], v[18:19], v[229:230]
	v_fma_f64 v[227:228], v[2:3], v[18:19], -v[20:21]
	scratch_load_b128 v[18:21], off, off offset:464
	ds_load_b128 v[2:5], v1 offset:1168
	s_waitcnt vmcnt(9) lgkmcnt(1)
	v_mul_f64 v[223:224], v[217:218], v[24:25]
	v_mul_f64 v[24:25], v[219:220], v[24:25]
	s_waitcnt vmcnt(8) lgkmcnt(0)
	v_mul_f64 v[229:230], v[2:3], v[28:29]
	v_mul_f64 v[28:29], v[4:5], v[28:29]
	v_add_f64 v[163:164], v[163:164], v[166:167]
	v_add_f64 v[221:222], v[221:222], v[168:169]
	;; [unrolled: 18-line block ×13, first 2 shown]
	ds_load_b128 v[217:220], v1 offset:1536
	v_fma_f64 v[168:169], v[168:169], v[30:31], v[223:224]
	v_fma_f64 v[30:31], v[166:167], v[30:31], -v[32:33]
	s_waitcnt vmcnt(7) lgkmcnt(0)
	v_mul_f64 v[166:167], v[217:218], v[155:156]
	v_mul_f64 v[155:156], v[219:220], v[155:156]
	v_add_f64 v[32:33], v[163:164], v[227:228]
	v_add_f64 v[163:164], v[221:222], v[225:226]
	v_fma_f64 v[221:222], v[4:5], v[34:35], v[229:230]
	v_fma_f64 v[34:35], v[2:3], v[34:35], -v[36:37]
	v_fma_f64 v[166:167], v[219:220], v[153:154], v[166:167]
	v_fma_f64 v[153:154], v[217:218], v[153:154], -v[155:156]
	v_add_f64 v[36:37], v[32:33], v[30:31]
	v_add_f64 v[163:164], v[163:164], v[168:169]
	ds_load_b128 v[2:5], v1 offset:1552
	ds_load_b128 v[30:33], v1 offset:1568
	s_waitcnt vmcnt(6) lgkmcnt(1)
	v_mul_f64 v[168:169], v[2:3], v[40:41]
	v_mul_f64 v[40:41], v[4:5], v[40:41]
	s_waitcnt vmcnt(5) lgkmcnt(0)
	v_mul_f64 v[155:156], v[30:31], v[8:9]
	v_mul_f64 v[8:9], v[32:33], v[8:9]
	v_add_f64 v[34:35], v[36:37], v[34:35]
	v_add_f64 v[36:37], v[163:164], v[221:222]
	v_fma_f64 v[163:164], v[4:5], v[38:39], v[168:169]
	v_fma_f64 v[38:39], v[2:3], v[38:39], -v[40:41]
	v_fma_f64 v[32:33], v[32:33], v[6:7], v[155:156]
	v_fma_f64 v[6:7], v[30:31], v[6:7], -v[8:9]
	v_add_f64 v[40:41], v[34:35], v[153:154]
	v_add_f64 v[153:154], v[36:37], v[166:167]
	ds_load_b128 v[2:5], v1 offset:1584
	ds_load_b128 v[34:37], v1 offset:1600
	s_waitcnt vmcnt(4) lgkmcnt(1)
	v_mul_f64 v[166:167], v[2:3], v[12:13]
	v_mul_f64 v[12:13], v[4:5], v[12:13]
	v_add_f64 v[8:9], v[40:41], v[38:39]
	v_add_f64 v[30:31], v[153:154], v[163:164]
	s_waitcnt vmcnt(3) lgkmcnt(0)
	v_mul_f64 v[38:39], v[34:35], v[16:17]
	v_mul_f64 v[16:17], v[36:37], v[16:17]
	v_fma_f64 v[40:41], v[4:5], v[10:11], v[166:167]
	v_fma_f64 v[10:11], v[2:3], v[10:11], -v[12:13]
	v_add_f64 v[12:13], v[8:9], v[6:7]
	v_add_f64 v[30:31], v[30:31], v[32:33]
	ds_load_b128 v[2:5], v1 offset:1616
	ds_load_b128 v[6:9], v1 offset:1632
	v_fma_f64 v[36:37], v[36:37], v[14:15], v[38:39]
	v_fma_f64 v[14:15], v[34:35], v[14:15], -v[16:17]
	s_waitcnt vmcnt(2) lgkmcnt(1)
	v_mul_f64 v[32:33], v[2:3], v[20:21]
	v_mul_f64 v[20:21], v[4:5], v[20:21]
	s_waitcnt vmcnt(1) lgkmcnt(0)
	v_mul_f64 v[16:17], v[6:7], v[24:25]
	v_mul_f64 v[24:25], v[8:9], v[24:25]
	v_add_f64 v[10:11], v[12:13], v[10:11]
	v_add_f64 v[12:13], v[30:31], v[40:41]
	v_fma_f64 v[30:31], v[4:5], v[18:19], v[32:33]
	v_fma_f64 v[18:19], v[2:3], v[18:19], -v[20:21]
	ds_load_b128 v[2:5], v1 offset:1648
	v_fma_f64 v[8:9], v[8:9], v[22:23], v[16:17]
	v_fma_f64 v[6:7], v[6:7], v[22:23], -v[24:25]
	v_add_f64 v[10:11], v[10:11], v[14:15]
	v_add_f64 v[12:13], v[12:13], v[36:37]
	s_waitcnt vmcnt(0) lgkmcnt(0)
	v_mul_f64 v[14:15], v[2:3], v[28:29]
	v_mul_f64 v[20:21], v[4:5], v[28:29]
	s_delay_alu instid0(VALU_DEP_4) | instskip(NEXT) | instid1(VALU_DEP_4)
	v_add_f64 v[10:11], v[10:11], v[18:19]
	v_add_f64 v[12:13], v[12:13], v[30:31]
	s_delay_alu instid0(VALU_DEP_4) | instskip(NEXT) | instid1(VALU_DEP_4)
	v_fma_f64 v[4:5], v[4:5], v[26:27], v[14:15]
	v_fma_f64 v[2:3], v[2:3], v[26:27], -v[20:21]
	s_delay_alu instid0(VALU_DEP_4) | instskip(NEXT) | instid1(VALU_DEP_4)
	v_add_f64 v[6:7], v[10:11], v[6:7]
	v_add_f64 v[8:9], v[12:13], v[8:9]
	s_delay_alu instid0(VALU_DEP_2) | instskip(NEXT) | instid1(VALU_DEP_2)
	v_add_f64 v[2:3], v[6:7], v[2:3]
	v_add_f64 v[4:5], v[8:9], v[4:5]
	s_delay_alu instid0(VALU_DEP_2) | instskip(NEXT) | instid1(VALU_DEP_2)
	v_add_f64 v[2:3], v[42:43], -v[2:3]
	v_add_f64 v[4:5], v[44:45], -v[4:5]
	scratch_store_b128 off, v[2:5], off offset:64
	v_cmpx_lt_u32_e32 3, v150
	s_cbranch_execz .LBB115_319
; %bb.318:
	scratch_load_b128 v[5:8], v199, off
	v_mov_b32_e32 v2, v1
	v_mov_b32_e32 v3, v1
	;; [unrolled: 1-line block ×3, first 2 shown]
	scratch_store_b128 off, v[1:4], off offset:48
	s_waitcnt vmcnt(0)
	ds_store_b128 v202, v[5:8]
.LBB115_319:
	s_or_b32 exec_lo, exec_lo, s2
	s_waitcnt lgkmcnt(0)
	s_waitcnt_vscnt null, 0x0
	s_barrier
	buffer_gl0_inv
	s_clause 0x8
	scratch_load_b128 v[2:5], off, off offset:64
	scratch_load_b128 v[6:9], off, off offset:80
	;; [unrolled: 1-line block ×9, first 2 shown]
	ds_load_b128 v[42:45], v1 offset:896
	ds_load_b128 v[38:41], v1 offset:912
	s_clause 0x1
	scratch_load_b128 v[153:156], off, off offset:48
	scratch_load_b128 v[166:169], off, off offset:208
	s_mov_b32 s2, exec_lo
	ds_load_b128 v[217:220], v1 offset:944
	s_waitcnt vmcnt(10) lgkmcnt(2)
	v_mul_f64 v[163:164], v[44:45], v[4:5]
	v_mul_f64 v[4:5], v[42:43], v[4:5]
	s_waitcnt vmcnt(9) lgkmcnt(1)
	v_mul_f64 v[221:222], v[38:39], v[8:9]
	v_mul_f64 v[8:9], v[40:41], v[8:9]
	s_delay_alu instid0(VALU_DEP_4) | instskip(NEXT) | instid1(VALU_DEP_4)
	v_fma_f64 v[163:164], v[42:43], v[2:3], -v[163:164]
	v_fma_f64 v[223:224], v[44:45], v[2:3], v[4:5]
	ds_load_b128 v[2:5], v1 offset:928
	scratch_load_b128 v[42:45], off, off offset:224
	v_fma_f64 v[40:41], v[40:41], v[6:7], v[221:222]
	v_fma_f64 v[38:39], v[38:39], v[6:7], -v[8:9]
	scratch_load_b128 v[6:9], off, off offset:240
	s_waitcnt vmcnt(10) lgkmcnt(0)
	v_mul_f64 v[225:226], v[2:3], v[12:13]
	v_mul_f64 v[12:13], v[4:5], v[12:13]
	v_add_f64 v[163:164], v[163:164], 0
	v_add_f64 v[221:222], v[223:224], 0
	s_waitcnt vmcnt(9)
	v_mul_f64 v[223:224], v[217:218], v[16:17]
	v_mul_f64 v[16:17], v[219:220], v[16:17]
	v_fma_f64 v[225:226], v[4:5], v[10:11], v[225:226]
	v_fma_f64 v[227:228], v[2:3], v[10:11], -v[12:13]
	ds_load_b128 v[2:5], v1 offset:960
	scratch_load_b128 v[10:13], off, off offset:256
	v_add_f64 v[163:164], v[163:164], v[38:39]
	v_add_f64 v[221:222], v[221:222], v[40:41]
	ds_load_b128 v[38:41], v1 offset:976
	v_fma_f64 v[219:220], v[219:220], v[14:15], v[223:224]
	v_fma_f64 v[217:218], v[217:218], v[14:15], -v[16:17]
	scratch_load_b128 v[14:17], off, off offset:272
	s_waitcnt vmcnt(10) lgkmcnt(1)
	v_mul_f64 v[229:230], v[2:3], v[20:21]
	v_mul_f64 v[20:21], v[4:5], v[20:21]
	s_waitcnt vmcnt(9) lgkmcnt(0)
	v_mul_f64 v[223:224], v[38:39], v[24:25]
	v_mul_f64 v[24:25], v[40:41], v[24:25]
	v_add_f64 v[163:164], v[163:164], v[227:228]
	v_add_f64 v[221:222], v[221:222], v[225:226]
	v_fma_f64 v[225:226], v[4:5], v[18:19], v[229:230]
	v_fma_f64 v[227:228], v[2:3], v[18:19], -v[20:21]
	ds_load_b128 v[2:5], v1 offset:992
	scratch_load_b128 v[18:21], off, off offset:288
	v_fma_f64 v[40:41], v[40:41], v[22:23], v[223:224]
	v_fma_f64 v[38:39], v[38:39], v[22:23], -v[24:25]
	scratch_load_b128 v[22:25], off, off offset:304
	v_add_f64 v[163:164], v[163:164], v[217:218]
	v_add_f64 v[221:222], v[221:222], v[219:220]
	ds_load_b128 v[217:220], v1 offset:1008
	s_waitcnt vmcnt(10) lgkmcnt(1)
	v_mul_f64 v[229:230], v[2:3], v[28:29]
	v_mul_f64 v[28:29], v[4:5], v[28:29]
	s_waitcnt vmcnt(9) lgkmcnt(0)
	v_mul_f64 v[223:224], v[217:218], v[32:33]
	v_mul_f64 v[32:33], v[219:220], v[32:33]
	v_add_f64 v[163:164], v[163:164], v[227:228]
	v_add_f64 v[221:222], v[221:222], v[225:226]
	v_fma_f64 v[225:226], v[4:5], v[26:27], v[229:230]
	v_fma_f64 v[227:228], v[2:3], v[26:27], -v[28:29]
	ds_load_b128 v[2:5], v1 offset:1024
	scratch_load_b128 v[26:29], off, off offset:320
	v_fma_f64 v[219:220], v[219:220], v[30:31], v[223:224]
	v_fma_f64 v[217:218], v[217:218], v[30:31], -v[32:33]
	scratch_load_b128 v[30:33], off, off offset:336
	v_add_f64 v[163:164], v[163:164], v[38:39]
	v_add_f64 v[221:222], v[221:222], v[40:41]
	ds_load_b128 v[38:41], v1 offset:1040
	;; [unrolled: 18-line block ×3, first 2 shown]
	s_waitcnt vmcnt(9) lgkmcnt(1)
	v_mul_f64 v[229:230], v[2:3], v[44:45]
	v_mul_f64 v[44:45], v[4:5], v[44:45]
	v_add_f64 v[163:164], v[163:164], v[227:228]
	v_add_f64 v[168:169], v[221:222], v[225:226]
	s_waitcnt vmcnt(8) lgkmcnt(0)
	v_mul_f64 v[221:222], v[217:218], v[8:9]
	v_mul_f64 v[8:9], v[219:220], v[8:9]
	v_fma_f64 v[225:226], v[4:5], v[42:43], v[229:230]
	v_fma_f64 v[227:228], v[2:3], v[42:43], -v[44:45]
	ds_load_b128 v[2:5], v1 offset:1088
	scratch_load_b128 v[42:45], off, off offset:384
	v_add_f64 v[163:164], v[163:164], v[166:167]
	v_add_f64 v[223:224], v[168:169], v[223:224]
	ds_load_b128 v[166:169], v1 offset:1104
	s_waitcnt vmcnt(8) lgkmcnt(1)
	v_mul_f64 v[229:230], v[2:3], v[12:13]
	v_mul_f64 v[12:13], v[4:5], v[12:13]
	v_fma_f64 v[219:220], v[219:220], v[6:7], v[221:222]
	v_fma_f64 v[217:218], v[217:218], v[6:7], -v[8:9]
	scratch_load_b128 v[6:9], off, off offset:400
	v_add_f64 v[163:164], v[163:164], v[227:228]
	v_add_f64 v[221:222], v[223:224], v[225:226]
	s_waitcnt vmcnt(8) lgkmcnt(0)
	v_mul_f64 v[223:224], v[166:167], v[16:17]
	v_mul_f64 v[16:17], v[168:169], v[16:17]
	v_fma_f64 v[225:226], v[4:5], v[10:11], v[229:230]
	v_fma_f64 v[227:228], v[2:3], v[10:11], -v[12:13]
	ds_load_b128 v[2:5], v1 offset:1120
	scratch_load_b128 v[10:13], off, off offset:416
	v_add_f64 v[163:164], v[163:164], v[217:218]
	v_add_f64 v[221:222], v[221:222], v[219:220]
	ds_load_b128 v[217:220], v1 offset:1136
	s_waitcnt vmcnt(8) lgkmcnt(1)
	v_mul_f64 v[229:230], v[2:3], v[20:21]
	v_mul_f64 v[20:21], v[4:5], v[20:21]
	v_fma_f64 v[168:169], v[168:169], v[14:15], v[223:224]
	v_fma_f64 v[166:167], v[166:167], v[14:15], -v[16:17]
	scratch_load_b128 v[14:17], off, off offset:432
	s_waitcnt vmcnt(8) lgkmcnt(0)
	v_mul_f64 v[223:224], v[217:218], v[24:25]
	v_mul_f64 v[24:25], v[219:220], v[24:25]
	v_add_f64 v[163:164], v[163:164], v[227:228]
	v_add_f64 v[221:222], v[221:222], v[225:226]
	v_fma_f64 v[225:226], v[4:5], v[18:19], v[229:230]
	v_fma_f64 v[227:228], v[2:3], v[18:19], -v[20:21]
	ds_load_b128 v[2:5], v1 offset:1152
	scratch_load_b128 v[18:21], off, off offset:448
	v_fma_f64 v[219:220], v[219:220], v[22:23], v[223:224]
	v_fma_f64 v[217:218], v[217:218], v[22:23], -v[24:25]
	scratch_load_b128 v[22:25], off, off offset:464
	v_add_f64 v[163:164], v[163:164], v[166:167]
	v_add_f64 v[221:222], v[221:222], v[168:169]
	ds_load_b128 v[166:169], v1 offset:1168
	s_waitcnt vmcnt(9) lgkmcnt(1)
	v_mul_f64 v[229:230], v[2:3], v[28:29]
	v_mul_f64 v[28:29], v[4:5], v[28:29]
	s_waitcnt vmcnt(8) lgkmcnt(0)
	v_mul_f64 v[223:224], v[166:167], v[32:33]
	v_mul_f64 v[32:33], v[168:169], v[32:33]
	v_add_f64 v[163:164], v[163:164], v[227:228]
	v_add_f64 v[221:222], v[221:222], v[225:226]
	v_fma_f64 v[225:226], v[4:5], v[26:27], v[229:230]
	v_fma_f64 v[227:228], v[2:3], v[26:27], -v[28:29]
	ds_load_b128 v[2:5], v1 offset:1184
	scratch_load_b128 v[26:29], off, off offset:480
	v_fma_f64 v[168:169], v[168:169], v[30:31], v[223:224]
	v_fma_f64 v[166:167], v[166:167], v[30:31], -v[32:33]
	scratch_load_b128 v[30:33], off, off offset:496
	v_add_f64 v[163:164], v[163:164], v[217:218]
	v_add_f64 v[221:222], v[221:222], v[219:220]
	ds_load_b128 v[217:220], v1 offset:1200
	s_waitcnt vmcnt(9) lgkmcnt(1)
	v_mul_f64 v[229:230], v[2:3], v[36:37]
	v_mul_f64 v[36:37], v[4:5], v[36:37]
	;; [unrolled: 18-line block ×12, first 2 shown]
	s_waitcnt vmcnt(8) lgkmcnt(0)
	v_mul_f64 v[223:224], v[217:218], v[40:41]
	v_mul_f64 v[40:41], v[219:220], v[40:41]
	v_add_f64 v[163:164], v[163:164], v[227:228]
	v_add_f64 v[221:222], v[221:222], v[225:226]
	v_fma_f64 v[225:226], v[4:5], v[34:35], v[229:230]
	v_fma_f64 v[227:228], v[2:3], v[34:35], -v[36:37]
	ds_load_b128 v[2:5], v1 offset:1536
	ds_load_b128 v[34:37], v1 offset:1552
	v_fma_f64 v[219:220], v[219:220], v[38:39], v[223:224]
	v_fma_f64 v[38:39], v[217:218], v[38:39], -v[40:41]
	v_add_f64 v[163:164], v[163:164], v[166:167]
	v_add_f64 v[166:167], v[221:222], v[168:169]
	s_waitcnt vmcnt(7) lgkmcnt(1)
	v_mul_f64 v[168:169], v[2:3], v[44:45]
	v_mul_f64 v[44:45], v[4:5], v[44:45]
	s_delay_alu instid0(VALU_DEP_4) | instskip(NEXT) | instid1(VALU_DEP_4)
	v_add_f64 v[40:41], v[163:164], v[227:228]
	v_add_f64 v[163:164], v[166:167], v[225:226]
	s_waitcnt vmcnt(6) lgkmcnt(0)
	v_mul_f64 v[166:167], v[34:35], v[8:9]
	v_mul_f64 v[8:9], v[36:37], v[8:9]
	v_fma_f64 v[168:169], v[4:5], v[42:43], v[168:169]
	v_fma_f64 v[42:43], v[2:3], v[42:43], -v[44:45]
	v_add_f64 v[44:45], v[40:41], v[38:39]
	v_add_f64 v[163:164], v[163:164], v[219:220]
	ds_load_b128 v[2:5], v1 offset:1568
	ds_load_b128 v[38:41], v1 offset:1584
	v_fma_f64 v[36:37], v[36:37], v[6:7], v[166:167]
	v_fma_f64 v[6:7], v[34:35], v[6:7], -v[8:9]
	s_waitcnt vmcnt(5) lgkmcnt(1)
	v_mul_f64 v[217:218], v[2:3], v[12:13]
	v_mul_f64 v[12:13], v[4:5], v[12:13]
	v_add_f64 v[8:9], v[44:45], v[42:43]
	v_add_f64 v[34:35], v[163:164], v[168:169]
	s_waitcnt vmcnt(4) lgkmcnt(0)
	v_mul_f64 v[42:43], v[38:39], v[16:17]
	v_mul_f64 v[16:17], v[40:41], v[16:17]
	v_fma_f64 v[44:45], v[4:5], v[10:11], v[217:218]
	v_fma_f64 v[10:11], v[2:3], v[10:11], -v[12:13]
	v_add_f64 v[12:13], v[8:9], v[6:7]
	v_add_f64 v[34:35], v[34:35], v[36:37]
	ds_load_b128 v[2:5], v1 offset:1600
	ds_load_b128 v[6:9], v1 offset:1616
	v_fma_f64 v[40:41], v[40:41], v[14:15], v[42:43]
	v_fma_f64 v[14:15], v[38:39], v[14:15], -v[16:17]
	s_waitcnt vmcnt(3) lgkmcnt(1)
	v_mul_f64 v[36:37], v[2:3], v[20:21]
	v_mul_f64 v[20:21], v[4:5], v[20:21]
	s_waitcnt vmcnt(2) lgkmcnt(0)
	v_mul_f64 v[16:17], v[6:7], v[24:25]
	v_mul_f64 v[24:25], v[8:9], v[24:25]
	v_add_f64 v[10:11], v[12:13], v[10:11]
	v_add_f64 v[12:13], v[34:35], v[44:45]
	v_fma_f64 v[34:35], v[4:5], v[18:19], v[36:37]
	v_fma_f64 v[18:19], v[2:3], v[18:19], -v[20:21]
	v_fma_f64 v[8:9], v[8:9], v[22:23], v[16:17]
	v_fma_f64 v[6:7], v[6:7], v[22:23], -v[24:25]
	v_add_f64 v[14:15], v[10:11], v[14:15]
	v_add_f64 v[20:21], v[12:13], v[40:41]
	ds_load_b128 v[2:5], v1 offset:1632
	ds_load_b128 v[10:13], v1 offset:1648
	s_waitcnt vmcnt(1) lgkmcnt(1)
	v_mul_f64 v[36:37], v[2:3], v[28:29]
	v_mul_f64 v[28:29], v[4:5], v[28:29]
	v_add_f64 v[14:15], v[14:15], v[18:19]
	v_add_f64 v[16:17], v[20:21], v[34:35]
	s_waitcnt vmcnt(0) lgkmcnt(0)
	v_mul_f64 v[18:19], v[10:11], v[32:33]
	v_mul_f64 v[20:21], v[12:13], v[32:33]
	v_fma_f64 v[4:5], v[4:5], v[26:27], v[36:37]
	v_fma_f64 v[1:2], v[2:3], v[26:27], -v[28:29]
	v_add_f64 v[6:7], v[14:15], v[6:7]
	v_add_f64 v[8:9], v[16:17], v[8:9]
	v_fma_f64 v[12:13], v[12:13], v[30:31], v[18:19]
	v_fma_f64 v[10:11], v[10:11], v[30:31], -v[20:21]
	s_delay_alu instid0(VALU_DEP_4) | instskip(NEXT) | instid1(VALU_DEP_4)
	v_add_f64 v[1:2], v[6:7], v[1:2]
	v_add_f64 v[3:4], v[8:9], v[4:5]
	s_delay_alu instid0(VALU_DEP_2) | instskip(NEXT) | instid1(VALU_DEP_2)
	v_add_f64 v[1:2], v[1:2], v[10:11]
	v_add_f64 v[3:4], v[3:4], v[12:13]
	s_delay_alu instid0(VALU_DEP_2) | instskip(NEXT) | instid1(VALU_DEP_2)
	v_add_f64 v[1:2], v[153:154], -v[1:2]
	v_add_f64 v[3:4], v[155:156], -v[3:4]
	scratch_store_b128 off, v[1:4], off offset:48
	v_cmpx_lt_u32_e32 2, v150
	s_cbranch_execz .LBB115_321
; %bb.320:
	scratch_load_b128 v[1:4], v200, off
	v_mov_b32_e32 v5, 0
	s_delay_alu instid0(VALU_DEP_1)
	v_mov_b32_e32 v6, v5
	v_mov_b32_e32 v7, v5
	v_mov_b32_e32 v8, v5
	scratch_store_b128 off, v[5:8], off offset:32
	s_waitcnt vmcnt(0)
	ds_store_b128 v202, v[1:4]
.LBB115_321:
	s_or_b32 exec_lo, exec_lo, s2
	s_waitcnt lgkmcnt(0)
	s_waitcnt_vscnt null, 0x0
	s_barrier
	buffer_gl0_inv
	s_clause 0x7
	scratch_load_b128 v[2:5], off, off offset:48
	scratch_load_b128 v[6:9], off, off offset:64
	scratch_load_b128 v[10:13], off, off offset:80
	scratch_load_b128 v[14:17], off, off offset:96
	scratch_load_b128 v[18:21], off, off offset:112
	scratch_load_b128 v[22:25], off, off offset:128
	scratch_load_b128 v[26:29], off, off offset:144
	scratch_load_b128 v[30:33], off, off offset:160
	v_mov_b32_e32 v1, 0
	s_mov_b32 s2, exec_lo
	ds_load_b128 v[38:41], v1 offset:880
	s_clause 0x1
	scratch_load_b128 v[34:37], off, off offset:176
	scratch_load_b128 v[42:45], off, off offset:32
	ds_load_b128 v[153:156], v1 offset:896
	scratch_load_b128 v[166:169], off, off offset:192
	ds_load_b128 v[217:220], v1 offset:928
	s_waitcnt vmcnt(10) lgkmcnt(2)
	v_mul_f64 v[163:164], v[40:41], v[4:5]
	v_mul_f64 v[4:5], v[38:39], v[4:5]
	s_delay_alu instid0(VALU_DEP_2) | instskip(NEXT) | instid1(VALU_DEP_2)
	v_fma_f64 v[163:164], v[38:39], v[2:3], -v[163:164]
	v_fma_f64 v[223:224], v[40:41], v[2:3], v[4:5]
	ds_load_b128 v[2:5], v1 offset:912
	s_waitcnt vmcnt(9) lgkmcnt(2)
	v_mul_f64 v[221:222], v[153:154], v[8:9]
	v_mul_f64 v[8:9], v[155:156], v[8:9]
	scratch_load_b128 v[38:41], off, off offset:208
	s_waitcnt vmcnt(9) lgkmcnt(0)
	v_mul_f64 v[225:226], v[2:3], v[12:13]
	v_mul_f64 v[12:13], v[4:5], v[12:13]
	v_add_f64 v[163:164], v[163:164], 0
	v_fma_f64 v[155:156], v[155:156], v[6:7], v[221:222]
	v_fma_f64 v[153:154], v[153:154], v[6:7], -v[8:9]
	v_add_f64 v[221:222], v[223:224], 0
	scratch_load_b128 v[6:9], off, off offset:224
	v_fma_f64 v[225:226], v[4:5], v[10:11], v[225:226]
	v_fma_f64 v[227:228], v[2:3], v[10:11], -v[12:13]
	scratch_load_b128 v[10:13], off, off offset:240
	ds_load_b128 v[2:5], v1 offset:944
	s_waitcnt vmcnt(10)
	v_mul_f64 v[223:224], v[217:218], v[16:17]
	v_mul_f64 v[16:17], v[219:220], v[16:17]
	v_add_f64 v[163:164], v[163:164], v[153:154]
	v_add_f64 v[221:222], v[221:222], v[155:156]
	ds_load_b128 v[153:156], v1 offset:960
	s_waitcnt vmcnt(9) lgkmcnt(1)
	v_mul_f64 v[229:230], v[2:3], v[20:21]
	v_mul_f64 v[20:21], v[4:5], v[20:21]
	v_fma_f64 v[219:220], v[219:220], v[14:15], v[223:224]
	v_fma_f64 v[217:218], v[217:218], v[14:15], -v[16:17]
	scratch_load_b128 v[14:17], off, off offset:256
	v_add_f64 v[163:164], v[163:164], v[227:228]
	v_add_f64 v[221:222], v[221:222], v[225:226]
	v_fma_f64 v[225:226], v[4:5], v[18:19], v[229:230]
	v_fma_f64 v[227:228], v[2:3], v[18:19], -v[20:21]
	scratch_load_b128 v[18:21], off, off offset:272
	ds_load_b128 v[2:5], v1 offset:976
	s_waitcnt vmcnt(10) lgkmcnt(1)
	v_mul_f64 v[223:224], v[153:154], v[24:25]
	v_mul_f64 v[24:25], v[155:156], v[24:25]
	s_waitcnt vmcnt(9) lgkmcnt(0)
	v_mul_f64 v[229:230], v[2:3], v[28:29]
	v_mul_f64 v[28:29], v[4:5], v[28:29]
	v_add_f64 v[163:164], v[163:164], v[217:218]
	v_add_f64 v[221:222], v[221:222], v[219:220]
	ds_load_b128 v[217:220], v1 offset:992
	v_fma_f64 v[155:156], v[155:156], v[22:23], v[223:224]
	v_fma_f64 v[153:154], v[153:154], v[22:23], -v[24:25]
	scratch_load_b128 v[22:25], off, off offset:288
	v_add_f64 v[163:164], v[163:164], v[227:228]
	v_add_f64 v[221:222], v[221:222], v[225:226]
	v_fma_f64 v[225:226], v[4:5], v[26:27], v[229:230]
	v_fma_f64 v[227:228], v[2:3], v[26:27], -v[28:29]
	scratch_load_b128 v[26:29], off, off offset:304
	ds_load_b128 v[2:5], v1 offset:1008
	s_waitcnt vmcnt(10) lgkmcnt(1)
	v_mul_f64 v[223:224], v[217:218], v[32:33]
	v_mul_f64 v[32:33], v[219:220], v[32:33]
	s_waitcnt vmcnt(9) lgkmcnt(0)
	v_mul_f64 v[229:230], v[2:3], v[36:37]
	v_mul_f64 v[36:37], v[4:5], v[36:37]
	v_add_f64 v[163:164], v[163:164], v[153:154]
	v_add_f64 v[221:222], v[221:222], v[155:156]
	ds_load_b128 v[153:156], v1 offset:1024
	v_fma_f64 v[219:220], v[219:220], v[30:31], v[223:224]
	v_fma_f64 v[217:218], v[217:218], v[30:31], -v[32:33]
	scratch_load_b128 v[30:33], off, off offset:320
	v_add_f64 v[163:164], v[163:164], v[227:228]
	v_add_f64 v[221:222], v[221:222], v[225:226]
	v_fma_f64 v[225:226], v[4:5], v[34:35], v[229:230]
	v_fma_f64 v[227:228], v[2:3], v[34:35], -v[36:37]
	scratch_load_b128 v[34:37], off, off offset:336
	ds_load_b128 v[2:5], v1 offset:1040
	s_waitcnt vmcnt(9) lgkmcnt(1)
	v_mul_f64 v[223:224], v[153:154], v[168:169]
	v_mul_f64 v[168:169], v[155:156], v[168:169]
	v_add_f64 v[163:164], v[163:164], v[217:218]
	v_add_f64 v[221:222], v[221:222], v[219:220]
	ds_load_b128 v[217:220], v1 offset:1056
	v_fma_f64 v[223:224], v[155:156], v[166:167], v[223:224]
	v_fma_f64 v[166:167], v[153:154], v[166:167], -v[168:169]
	scratch_load_b128 v[153:156], off, off offset:352
	s_waitcnt vmcnt(9) lgkmcnt(1)
	v_mul_f64 v[229:230], v[2:3], v[40:41]
	v_mul_f64 v[40:41], v[4:5], v[40:41]
	v_add_f64 v[163:164], v[163:164], v[227:228]
	v_add_f64 v[168:169], v[221:222], v[225:226]
	s_delay_alu instid0(VALU_DEP_4) | instskip(NEXT) | instid1(VALU_DEP_4)
	v_fma_f64 v[225:226], v[4:5], v[38:39], v[229:230]
	v_fma_f64 v[227:228], v[2:3], v[38:39], -v[40:41]
	scratch_load_b128 v[38:41], off, off offset:368
	ds_load_b128 v[2:5], v1 offset:1072
	s_waitcnt vmcnt(9) lgkmcnt(1)
	v_mul_f64 v[221:222], v[217:218], v[8:9]
	v_mul_f64 v[8:9], v[219:220], v[8:9]
	v_add_f64 v[163:164], v[163:164], v[166:167]
	v_add_f64 v[223:224], v[168:169], v[223:224]
	s_waitcnt vmcnt(8) lgkmcnt(0)
	v_mul_f64 v[229:230], v[2:3], v[12:13]
	v_mul_f64 v[12:13], v[4:5], v[12:13]
	ds_load_b128 v[166:169], v1 offset:1088
	v_fma_f64 v[219:220], v[219:220], v[6:7], v[221:222]
	v_fma_f64 v[217:218], v[217:218], v[6:7], -v[8:9]
	scratch_load_b128 v[6:9], off, off offset:384
	v_add_f64 v[163:164], v[163:164], v[227:228]
	v_add_f64 v[221:222], v[223:224], v[225:226]
	v_fma_f64 v[225:226], v[4:5], v[10:11], v[229:230]
	v_fma_f64 v[227:228], v[2:3], v[10:11], -v[12:13]
	scratch_load_b128 v[10:13], off, off offset:400
	ds_load_b128 v[2:5], v1 offset:1104
	s_waitcnt vmcnt(9) lgkmcnt(1)
	v_mul_f64 v[223:224], v[166:167], v[16:17]
	v_mul_f64 v[16:17], v[168:169], v[16:17]
	s_waitcnt vmcnt(8) lgkmcnt(0)
	v_mul_f64 v[229:230], v[2:3], v[20:21]
	v_mul_f64 v[20:21], v[4:5], v[20:21]
	v_add_f64 v[163:164], v[163:164], v[217:218]
	v_add_f64 v[221:222], v[221:222], v[219:220]
	ds_load_b128 v[217:220], v1 offset:1120
	v_fma_f64 v[168:169], v[168:169], v[14:15], v[223:224]
	v_fma_f64 v[166:167], v[166:167], v[14:15], -v[16:17]
	scratch_load_b128 v[14:17], off, off offset:416
	v_add_f64 v[163:164], v[163:164], v[227:228]
	v_add_f64 v[221:222], v[221:222], v[225:226]
	v_fma_f64 v[225:226], v[4:5], v[18:19], v[229:230]
	v_fma_f64 v[227:228], v[2:3], v[18:19], -v[20:21]
	scratch_load_b128 v[18:21], off, off offset:432
	ds_load_b128 v[2:5], v1 offset:1136
	s_waitcnt vmcnt(9) lgkmcnt(1)
	v_mul_f64 v[223:224], v[217:218], v[24:25]
	v_mul_f64 v[24:25], v[219:220], v[24:25]
	s_waitcnt vmcnt(8) lgkmcnt(0)
	v_mul_f64 v[229:230], v[2:3], v[28:29]
	v_mul_f64 v[28:29], v[4:5], v[28:29]
	v_add_f64 v[163:164], v[163:164], v[166:167]
	v_add_f64 v[221:222], v[221:222], v[168:169]
	;; [unrolled: 18-line block ×14, first 2 shown]
	ds_load_b128 v[166:169], v1 offset:1536
	v_fma_f64 v[219:220], v[219:220], v[153:154], v[223:224]
	v_fma_f64 v[153:154], v[217:218], v[153:154], -v[155:156]
	s_waitcnt vmcnt(7) lgkmcnt(0)
	v_mul_f64 v[217:218], v[166:167], v[8:9]
	v_mul_f64 v[8:9], v[168:169], v[8:9]
	v_fma_f64 v[223:224], v[2:3], v[38:39], -v[40:41]
	v_add_f64 v[155:156], v[163:164], v[227:228]
	v_add_f64 v[163:164], v[221:222], v[225:226]
	v_fma_f64 v[221:222], v[4:5], v[38:39], v[229:230]
	ds_load_b128 v[2:5], v1 offset:1552
	ds_load_b128 v[38:41], v1 offset:1568
	v_fma_f64 v[168:169], v[168:169], v[6:7], v[217:218]
	v_fma_f64 v[6:7], v[166:167], v[6:7], -v[8:9]
	v_add_f64 v[153:154], v[155:156], v[153:154]
	v_add_f64 v[155:156], v[163:164], v[219:220]
	s_waitcnt vmcnt(6) lgkmcnt(1)
	v_mul_f64 v[163:164], v[2:3], v[12:13]
	v_mul_f64 v[12:13], v[4:5], v[12:13]
	s_delay_alu instid0(VALU_DEP_4) | instskip(NEXT) | instid1(VALU_DEP_4)
	v_add_f64 v[8:9], v[153:154], v[223:224]
	v_add_f64 v[153:154], v[155:156], v[221:222]
	s_waitcnt vmcnt(5) lgkmcnt(0)
	v_mul_f64 v[155:156], v[38:39], v[16:17]
	v_mul_f64 v[16:17], v[40:41], v[16:17]
	v_fma_f64 v[163:164], v[4:5], v[10:11], v[163:164]
	v_fma_f64 v[10:11], v[2:3], v[10:11], -v[12:13]
	v_add_f64 v[12:13], v[8:9], v[6:7]
	v_add_f64 v[153:154], v[153:154], v[168:169]
	ds_load_b128 v[2:5], v1 offset:1584
	ds_load_b128 v[6:9], v1 offset:1600
	v_fma_f64 v[40:41], v[40:41], v[14:15], v[155:156]
	v_fma_f64 v[14:15], v[38:39], v[14:15], -v[16:17]
	s_waitcnt vmcnt(4) lgkmcnt(1)
	v_mul_f64 v[166:167], v[2:3], v[20:21]
	v_mul_f64 v[20:21], v[4:5], v[20:21]
	s_waitcnt vmcnt(3) lgkmcnt(0)
	v_mul_f64 v[16:17], v[6:7], v[24:25]
	v_mul_f64 v[24:25], v[8:9], v[24:25]
	v_add_f64 v[10:11], v[12:13], v[10:11]
	v_add_f64 v[12:13], v[153:154], v[163:164]
	v_fma_f64 v[38:39], v[4:5], v[18:19], v[166:167]
	v_fma_f64 v[18:19], v[2:3], v[18:19], -v[20:21]
	v_fma_f64 v[8:9], v[8:9], v[22:23], v[16:17]
	v_fma_f64 v[6:7], v[6:7], v[22:23], -v[24:25]
	v_add_f64 v[14:15], v[10:11], v[14:15]
	v_add_f64 v[20:21], v[12:13], v[40:41]
	ds_load_b128 v[2:5], v1 offset:1616
	ds_load_b128 v[10:13], v1 offset:1632
	s_waitcnt vmcnt(2) lgkmcnt(1)
	v_mul_f64 v[40:41], v[2:3], v[28:29]
	v_mul_f64 v[28:29], v[4:5], v[28:29]
	v_add_f64 v[14:15], v[14:15], v[18:19]
	v_add_f64 v[16:17], v[20:21], v[38:39]
	s_waitcnt vmcnt(1) lgkmcnt(0)
	v_mul_f64 v[18:19], v[10:11], v[32:33]
	v_mul_f64 v[20:21], v[12:13], v[32:33]
	v_fma_f64 v[22:23], v[4:5], v[26:27], v[40:41]
	v_fma_f64 v[24:25], v[2:3], v[26:27], -v[28:29]
	ds_load_b128 v[2:5], v1 offset:1648
	v_add_f64 v[6:7], v[14:15], v[6:7]
	v_add_f64 v[8:9], v[16:17], v[8:9]
	v_fma_f64 v[12:13], v[12:13], v[30:31], v[18:19]
	v_fma_f64 v[10:11], v[10:11], v[30:31], -v[20:21]
	s_waitcnt vmcnt(0) lgkmcnt(0)
	v_mul_f64 v[14:15], v[2:3], v[36:37]
	v_mul_f64 v[16:17], v[4:5], v[36:37]
	v_add_f64 v[6:7], v[6:7], v[24:25]
	v_add_f64 v[8:9], v[8:9], v[22:23]
	s_delay_alu instid0(VALU_DEP_4) | instskip(NEXT) | instid1(VALU_DEP_4)
	v_fma_f64 v[4:5], v[4:5], v[34:35], v[14:15]
	v_fma_f64 v[2:3], v[2:3], v[34:35], -v[16:17]
	s_delay_alu instid0(VALU_DEP_4) | instskip(NEXT) | instid1(VALU_DEP_4)
	v_add_f64 v[6:7], v[6:7], v[10:11]
	v_add_f64 v[8:9], v[8:9], v[12:13]
	s_delay_alu instid0(VALU_DEP_2) | instskip(NEXT) | instid1(VALU_DEP_2)
	v_add_f64 v[2:3], v[6:7], v[2:3]
	v_add_f64 v[4:5], v[8:9], v[4:5]
	s_delay_alu instid0(VALU_DEP_2) | instskip(NEXT) | instid1(VALU_DEP_2)
	v_add_f64 v[2:3], v[42:43], -v[2:3]
	v_add_f64 v[4:5], v[44:45], -v[4:5]
	scratch_store_b128 off, v[2:5], off offset:32
	v_cmpx_lt_u32_e32 1, v150
	s_cbranch_execz .LBB115_323
; %bb.322:
	scratch_load_b128 v[5:8], v201, off
	v_mov_b32_e32 v2, v1
	v_mov_b32_e32 v3, v1
	;; [unrolled: 1-line block ×3, first 2 shown]
	scratch_store_b128 off, v[1:4], off offset:16
	s_waitcnt vmcnt(0)
	ds_store_b128 v202, v[5:8]
.LBB115_323:
	s_or_b32 exec_lo, exec_lo, s2
	s_waitcnt lgkmcnt(0)
	s_waitcnt_vscnt null, 0x0
	s_barrier
	buffer_gl0_inv
	s_clause 0x8
	scratch_load_b128 v[2:5], off, off offset:32
	scratch_load_b128 v[6:9], off, off offset:48
	;; [unrolled: 1-line block ×9, first 2 shown]
	ds_load_b128 v[42:45], v1 offset:864
	ds_load_b128 v[38:41], v1 offset:880
	s_clause 0x1
	scratch_load_b128 v[153:156], off, off offset:16
	scratch_load_b128 v[166:169], off, off offset:176
	s_mov_b32 s2, exec_lo
	ds_load_b128 v[217:220], v1 offset:912
	s_waitcnt vmcnt(10) lgkmcnt(2)
	v_mul_f64 v[163:164], v[44:45], v[4:5]
	v_mul_f64 v[4:5], v[42:43], v[4:5]
	s_waitcnt vmcnt(9) lgkmcnt(1)
	v_mul_f64 v[221:222], v[38:39], v[8:9]
	v_mul_f64 v[8:9], v[40:41], v[8:9]
	s_delay_alu instid0(VALU_DEP_4) | instskip(NEXT) | instid1(VALU_DEP_4)
	v_fma_f64 v[163:164], v[42:43], v[2:3], -v[163:164]
	v_fma_f64 v[223:224], v[44:45], v[2:3], v[4:5]
	ds_load_b128 v[2:5], v1 offset:896
	scratch_load_b128 v[42:45], off, off offset:192
	v_fma_f64 v[40:41], v[40:41], v[6:7], v[221:222]
	v_fma_f64 v[38:39], v[38:39], v[6:7], -v[8:9]
	scratch_load_b128 v[6:9], off, off offset:208
	s_waitcnt vmcnt(10) lgkmcnt(0)
	v_mul_f64 v[225:226], v[2:3], v[12:13]
	v_mul_f64 v[12:13], v[4:5], v[12:13]
	v_add_f64 v[163:164], v[163:164], 0
	v_add_f64 v[221:222], v[223:224], 0
	s_waitcnt vmcnt(9)
	v_mul_f64 v[223:224], v[217:218], v[16:17]
	v_mul_f64 v[16:17], v[219:220], v[16:17]
	v_fma_f64 v[225:226], v[4:5], v[10:11], v[225:226]
	v_fma_f64 v[227:228], v[2:3], v[10:11], -v[12:13]
	ds_load_b128 v[2:5], v1 offset:928
	scratch_load_b128 v[10:13], off, off offset:224
	v_add_f64 v[163:164], v[163:164], v[38:39]
	v_add_f64 v[221:222], v[221:222], v[40:41]
	ds_load_b128 v[38:41], v1 offset:944
	v_fma_f64 v[219:220], v[219:220], v[14:15], v[223:224]
	v_fma_f64 v[217:218], v[217:218], v[14:15], -v[16:17]
	scratch_load_b128 v[14:17], off, off offset:240
	s_waitcnt vmcnt(10) lgkmcnt(1)
	v_mul_f64 v[229:230], v[2:3], v[20:21]
	v_mul_f64 v[20:21], v[4:5], v[20:21]
	s_waitcnt vmcnt(9) lgkmcnt(0)
	v_mul_f64 v[223:224], v[38:39], v[24:25]
	v_mul_f64 v[24:25], v[40:41], v[24:25]
	v_add_f64 v[163:164], v[163:164], v[227:228]
	v_add_f64 v[221:222], v[221:222], v[225:226]
	v_fma_f64 v[225:226], v[4:5], v[18:19], v[229:230]
	v_fma_f64 v[227:228], v[2:3], v[18:19], -v[20:21]
	ds_load_b128 v[2:5], v1 offset:960
	scratch_load_b128 v[18:21], off, off offset:256
	v_fma_f64 v[40:41], v[40:41], v[22:23], v[223:224]
	v_fma_f64 v[38:39], v[38:39], v[22:23], -v[24:25]
	scratch_load_b128 v[22:25], off, off offset:272
	v_add_f64 v[163:164], v[163:164], v[217:218]
	v_add_f64 v[221:222], v[221:222], v[219:220]
	ds_load_b128 v[217:220], v1 offset:976
	s_waitcnt vmcnt(10) lgkmcnt(1)
	v_mul_f64 v[229:230], v[2:3], v[28:29]
	v_mul_f64 v[28:29], v[4:5], v[28:29]
	s_waitcnt vmcnt(9) lgkmcnt(0)
	v_mul_f64 v[223:224], v[217:218], v[32:33]
	v_mul_f64 v[32:33], v[219:220], v[32:33]
	v_add_f64 v[163:164], v[163:164], v[227:228]
	v_add_f64 v[221:222], v[221:222], v[225:226]
	v_fma_f64 v[225:226], v[4:5], v[26:27], v[229:230]
	v_fma_f64 v[227:228], v[2:3], v[26:27], -v[28:29]
	ds_load_b128 v[2:5], v1 offset:992
	scratch_load_b128 v[26:29], off, off offset:288
	v_fma_f64 v[219:220], v[219:220], v[30:31], v[223:224]
	v_fma_f64 v[217:218], v[217:218], v[30:31], -v[32:33]
	scratch_load_b128 v[30:33], off, off offset:304
	v_add_f64 v[163:164], v[163:164], v[38:39]
	v_add_f64 v[221:222], v[221:222], v[40:41]
	ds_load_b128 v[38:41], v1 offset:1008
	;; [unrolled: 18-line block ×3, first 2 shown]
	s_waitcnt vmcnt(9) lgkmcnt(1)
	v_mul_f64 v[229:230], v[2:3], v[44:45]
	v_mul_f64 v[44:45], v[4:5], v[44:45]
	v_add_f64 v[163:164], v[163:164], v[227:228]
	v_add_f64 v[168:169], v[221:222], v[225:226]
	s_waitcnt vmcnt(8) lgkmcnt(0)
	v_mul_f64 v[221:222], v[217:218], v[8:9]
	v_mul_f64 v[8:9], v[219:220], v[8:9]
	v_fma_f64 v[225:226], v[4:5], v[42:43], v[229:230]
	v_fma_f64 v[227:228], v[2:3], v[42:43], -v[44:45]
	ds_load_b128 v[2:5], v1 offset:1056
	scratch_load_b128 v[42:45], off, off offset:352
	v_add_f64 v[163:164], v[163:164], v[166:167]
	v_add_f64 v[223:224], v[168:169], v[223:224]
	ds_load_b128 v[166:169], v1 offset:1072
	s_waitcnt vmcnt(8) lgkmcnt(1)
	v_mul_f64 v[229:230], v[2:3], v[12:13]
	v_mul_f64 v[12:13], v[4:5], v[12:13]
	v_fma_f64 v[219:220], v[219:220], v[6:7], v[221:222]
	v_fma_f64 v[217:218], v[217:218], v[6:7], -v[8:9]
	scratch_load_b128 v[6:9], off, off offset:368
	v_add_f64 v[163:164], v[163:164], v[227:228]
	v_add_f64 v[221:222], v[223:224], v[225:226]
	s_waitcnt vmcnt(8) lgkmcnt(0)
	v_mul_f64 v[223:224], v[166:167], v[16:17]
	v_mul_f64 v[16:17], v[168:169], v[16:17]
	v_fma_f64 v[225:226], v[4:5], v[10:11], v[229:230]
	v_fma_f64 v[227:228], v[2:3], v[10:11], -v[12:13]
	ds_load_b128 v[2:5], v1 offset:1088
	scratch_load_b128 v[10:13], off, off offset:384
	v_add_f64 v[163:164], v[163:164], v[217:218]
	v_add_f64 v[221:222], v[221:222], v[219:220]
	ds_load_b128 v[217:220], v1 offset:1104
	s_waitcnt vmcnt(8) lgkmcnt(1)
	v_mul_f64 v[229:230], v[2:3], v[20:21]
	v_mul_f64 v[20:21], v[4:5], v[20:21]
	v_fma_f64 v[168:169], v[168:169], v[14:15], v[223:224]
	v_fma_f64 v[166:167], v[166:167], v[14:15], -v[16:17]
	scratch_load_b128 v[14:17], off, off offset:400
	s_waitcnt vmcnt(8) lgkmcnt(0)
	v_mul_f64 v[223:224], v[217:218], v[24:25]
	v_mul_f64 v[24:25], v[219:220], v[24:25]
	v_add_f64 v[163:164], v[163:164], v[227:228]
	v_add_f64 v[221:222], v[221:222], v[225:226]
	v_fma_f64 v[225:226], v[4:5], v[18:19], v[229:230]
	v_fma_f64 v[227:228], v[2:3], v[18:19], -v[20:21]
	ds_load_b128 v[2:5], v1 offset:1120
	scratch_load_b128 v[18:21], off, off offset:416
	v_fma_f64 v[219:220], v[219:220], v[22:23], v[223:224]
	v_fma_f64 v[217:218], v[217:218], v[22:23], -v[24:25]
	scratch_load_b128 v[22:25], off, off offset:432
	v_add_f64 v[163:164], v[163:164], v[166:167]
	v_add_f64 v[221:222], v[221:222], v[168:169]
	ds_load_b128 v[166:169], v1 offset:1136
	s_waitcnt vmcnt(9) lgkmcnt(1)
	v_mul_f64 v[229:230], v[2:3], v[28:29]
	v_mul_f64 v[28:29], v[4:5], v[28:29]
	s_waitcnt vmcnt(8) lgkmcnt(0)
	v_mul_f64 v[223:224], v[166:167], v[32:33]
	v_mul_f64 v[32:33], v[168:169], v[32:33]
	v_add_f64 v[163:164], v[163:164], v[227:228]
	v_add_f64 v[221:222], v[221:222], v[225:226]
	v_fma_f64 v[225:226], v[4:5], v[26:27], v[229:230]
	v_fma_f64 v[227:228], v[2:3], v[26:27], -v[28:29]
	ds_load_b128 v[2:5], v1 offset:1152
	scratch_load_b128 v[26:29], off, off offset:448
	v_fma_f64 v[168:169], v[168:169], v[30:31], v[223:224]
	v_fma_f64 v[166:167], v[166:167], v[30:31], -v[32:33]
	scratch_load_b128 v[30:33], off, off offset:464
	v_add_f64 v[163:164], v[163:164], v[217:218]
	v_add_f64 v[221:222], v[221:222], v[219:220]
	ds_load_b128 v[217:220], v1 offset:1168
	s_waitcnt vmcnt(9) lgkmcnt(1)
	v_mul_f64 v[229:230], v[2:3], v[36:37]
	v_mul_f64 v[36:37], v[4:5], v[36:37]
	;; [unrolled: 18-line block ×13, first 2 shown]
	s_waitcnt vmcnt(8) lgkmcnt(0)
	v_mul_f64 v[223:224], v[166:167], v[8:9]
	v_mul_f64 v[8:9], v[168:169], v[8:9]
	v_add_f64 v[163:164], v[163:164], v[227:228]
	v_add_f64 v[221:222], v[221:222], v[225:226]
	v_fma_f64 v[225:226], v[4:5], v[42:43], v[229:230]
	v_fma_f64 v[227:228], v[2:3], v[42:43], -v[44:45]
	ds_load_b128 v[2:5], v1 offset:1536
	ds_load_b128 v[42:45], v1 offset:1552
	v_fma_f64 v[168:169], v[168:169], v[6:7], v[223:224]
	v_fma_f64 v[6:7], v[166:167], v[6:7], -v[8:9]
	v_add_f64 v[163:164], v[163:164], v[217:218]
	v_add_f64 v[217:218], v[221:222], v[219:220]
	s_waitcnt vmcnt(7) lgkmcnt(1)
	v_mul_f64 v[219:220], v[2:3], v[12:13]
	v_mul_f64 v[12:13], v[4:5], v[12:13]
	s_waitcnt vmcnt(6) lgkmcnt(0)
	v_mul_f64 v[166:167], v[42:43], v[16:17]
	v_mul_f64 v[16:17], v[44:45], v[16:17]
	v_add_f64 v[8:9], v[163:164], v[227:228]
	v_add_f64 v[163:164], v[217:218], v[225:226]
	v_fma_f64 v[217:218], v[4:5], v[10:11], v[219:220]
	v_fma_f64 v[10:11], v[2:3], v[10:11], -v[12:13]
	v_fma_f64 v[44:45], v[44:45], v[14:15], v[166:167]
	v_fma_f64 v[14:15], v[42:43], v[14:15], -v[16:17]
	v_add_f64 v[12:13], v[8:9], v[6:7]
	v_add_f64 v[163:164], v[163:164], v[168:169]
	ds_load_b128 v[2:5], v1 offset:1568
	ds_load_b128 v[6:9], v1 offset:1584
	s_waitcnt vmcnt(5) lgkmcnt(1)
	v_mul_f64 v[168:169], v[2:3], v[20:21]
	v_mul_f64 v[20:21], v[4:5], v[20:21]
	s_waitcnt vmcnt(4) lgkmcnt(0)
	v_mul_f64 v[16:17], v[6:7], v[24:25]
	v_mul_f64 v[24:25], v[8:9], v[24:25]
	v_add_f64 v[10:11], v[12:13], v[10:11]
	v_add_f64 v[12:13], v[163:164], v[217:218]
	v_fma_f64 v[42:43], v[4:5], v[18:19], v[168:169]
	v_fma_f64 v[18:19], v[2:3], v[18:19], -v[20:21]
	v_fma_f64 v[8:9], v[8:9], v[22:23], v[16:17]
	v_fma_f64 v[6:7], v[6:7], v[22:23], -v[24:25]
	v_add_f64 v[14:15], v[10:11], v[14:15]
	v_add_f64 v[20:21], v[12:13], v[44:45]
	ds_load_b128 v[2:5], v1 offset:1600
	ds_load_b128 v[10:13], v1 offset:1616
	s_waitcnt vmcnt(3) lgkmcnt(1)
	v_mul_f64 v[44:45], v[2:3], v[28:29]
	v_mul_f64 v[28:29], v[4:5], v[28:29]
	v_add_f64 v[14:15], v[14:15], v[18:19]
	v_add_f64 v[16:17], v[20:21], v[42:43]
	s_waitcnt vmcnt(2) lgkmcnt(0)
	v_mul_f64 v[18:19], v[10:11], v[32:33]
	v_mul_f64 v[20:21], v[12:13], v[32:33]
	v_fma_f64 v[22:23], v[4:5], v[26:27], v[44:45]
	v_fma_f64 v[24:25], v[2:3], v[26:27], -v[28:29]
	v_add_f64 v[14:15], v[14:15], v[6:7]
	v_add_f64 v[16:17], v[16:17], v[8:9]
	ds_load_b128 v[2:5], v1 offset:1632
	ds_load_b128 v[6:9], v1 offset:1648
	v_fma_f64 v[12:13], v[12:13], v[30:31], v[18:19]
	v_fma_f64 v[10:11], v[10:11], v[30:31], -v[20:21]
	s_waitcnt vmcnt(1) lgkmcnt(1)
	v_mul_f64 v[26:27], v[2:3], v[36:37]
	v_mul_f64 v[28:29], v[4:5], v[36:37]
	s_waitcnt vmcnt(0) lgkmcnt(0)
	v_mul_f64 v[18:19], v[6:7], v[40:41]
	v_mul_f64 v[20:21], v[8:9], v[40:41]
	v_add_f64 v[14:15], v[14:15], v[24:25]
	v_add_f64 v[16:17], v[16:17], v[22:23]
	v_fma_f64 v[4:5], v[4:5], v[34:35], v[26:27]
	v_fma_f64 v[1:2], v[2:3], v[34:35], -v[28:29]
	v_fma_f64 v[8:9], v[8:9], v[38:39], v[18:19]
	v_fma_f64 v[6:7], v[6:7], v[38:39], -v[20:21]
	v_add_f64 v[10:11], v[14:15], v[10:11]
	v_add_f64 v[12:13], v[16:17], v[12:13]
	s_delay_alu instid0(VALU_DEP_2) | instskip(NEXT) | instid1(VALU_DEP_2)
	v_add_f64 v[1:2], v[10:11], v[1:2]
	v_add_f64 v[3:4], v[12:13], v[4:5]
	s_delay_alu instid0(VALU_DEP_2) | instskip(NEXT) | instid1(VALU_DEP_2)
	;; [unrolled: 3-line block ×3, first 2 shown]
	v_add_f64 v[1:2], v[153:154], -v[1:2]
	v_add_f64 v[3:4], v[155:156], -v[3:4]
	scratch_store_b128 off, v[1:4], off offset:16
	v_cmpx_ne_u32_e32 0, v150
	s_cbranch_execz .LBB115_325
; %bb.324:
	scratch_load_b128 v[1:4], off, off
	v_mov_b32_e32 v5, 0
	s_delay_alu instid0(VALU_DEP_1)
	v_mov_b32_e32 v6, v5
	v_mov_b32_e32 v7, v5
	v_mov_b32_e32 v8, v5
	scratch_store_b128 off, v[5:8], off
	s_waitcnt vmcnt(0)
	ds_store_b128 v202, v[1:4]
.LBB115_325:
	s_or_b32 exec_lo, exec_lo, s2
	s_waitcnt lgkmcnt(0)
	s_waitcnt_vscnt null, 0x0
	s_barrier
	buffer_gl0_inv
	s_clause 0x7
	scratch_load_b128 v[1:4], off, off offset:16
	scratch_load_b128 v[5:8], off, off offset:32
	;; [unrolled: 1-line block ×8, first 2 shown]
	v_mov_b32_e32 v41, 0
	s_and_b32 vcc_lo, exec_lo, s14
	ds_load_b128 v[37:40], v41 offset:848
	s_clause 0x1
	scratch_load_b128 v[33:36], off, off offset:144
	scratch_load_b128 v[42:45], off, off
	ds_load_b128 v[153:156], v41 offset:864
	scratch_load_b128 v[166:169], off, off offset:160
	ds_load_b128 v[217:220], v41 offset:896
	s_waitcnt vmcnt(10) lgkmcnt(2)
	v_mul_f64 v[163:164], v[39:40], v[3:4]
	v_mul_f64 v[3:4], v[37:38], v[3:4]
	s_delay_alu instid0(VALU_DEP_2) | instskip(NEXT) | instid1(VALU_DEP_2)
	v_fma_f64 v[163:164], v[37:38], v[1:2], -v[163:164]
	v_fma_f64 v[223:224], v[39:40], v[1:2], v[3:4]
	ds_load_b128 v[1:4], v41 offset:880
	s_waitcnt vmcnt(9) lgkmcnt(2)
	v_mul_f64 v[221:222], v[153:154], v[7:8]
	v_mul_f64 v[7:8], v[155:156], v[7:8]
	scratch_load_b128 v[37:40], off, off offset:176
	s_waitcnt vmcnt(9) lgkmcnt(0)
	v_mul_f64 v[225:226], v[1:2], v[11:12]
	v_mul_f64 v[11:12], v[3:4], v[11:12]
	v_add_f64 v[163:164], v[163:164], 0
	v_fma_f64 v[155:156], v[155:156], v[5:6], v[221:222]
	v_fma_f64 v[153:154], v[153:154], v[5:6], -v[7:8]
	v_add_f64 v[221:222], v[223:224], 0
	scratch_load_b128 v[5:8], off, off offset:192
	v_fma_f64 v[225:226], v[3:4], v[9:10], v[225:226]
	v_fma_f64 v[227:228], v[1:2], v[9:10], -v[11:12]
	scratch_load_b128 v[9:12], off, off offset:208
	ds_load_b128 v[1:4], v41 offset:912
	s_waitcnt vmcnt(10)
	v_mul_f64 v[223:224], v[217:218], v[15:16]
	v_mul_f64 v[15:16], v[219:220], v[15:16]
	v_add_f64 v[163:164], v[163:164], v[153:154]
	v_add_f64 v[221:222], v[221:222], v[155:156]
	ds_load_b128 v[153:156], v41 offset:928
	s_waitcnt vmcnt(9) lgkmcnt(1)
	v_mul_f64 v[229:230], v[1:2], v[19:20]
	v_mul_f64 v[19:20], v[3:4], v[19:20]
	v_fma_f64 v[219:220], v[219:220], v[13:14], v[223:224]
	v_fma_f64 v[217:218], v[217:218], v[13:14], -v[15:16]
	scratch_load_b128 v[13:16], off, off offset:224
	v_add_f64 v[163:164], v[163:164], v[227:228]
	v_add_f64 v[221:222], v[221:222], v[225:226]
	v_fma_f64 v[225:226], v[3:4], v[17:18], v[229:230]
	v_fma_f64 v[227:228], v[1:2], v[17:18], -v[19:20]
	scratch_load_b128 v[17:20], off, off offset:240
	ds_load_b128 v[1:4], v41 offset:944
	s_waitcnt vmcnt(10) lgkmcnt(1)
	v_mul_f64 v[223:224], v[153:154], v[23:24]
	v_mul_f64 v[23:24], v[155:156], v[23:24]
	s_waitcnt vmcnt(9) lgkmcnt(0)
	v_mul_f64 v[229:230], v[1:2], v[27:28]
	v_mul_f64 v[27:28], v[3:4], v[27:28]
	v_add_f64 v[163:164], v[163:164], v[217:218]
	v_add_f64 v[221:222], v[221:222], v[219:220]
	ds_load_b128 v[217:220], v41 offset:960
	v_fma_f64 v[155:156], v[155:156], v[21:22], v[223:224]
	v_fma_f64 v[153:154], v[153:154], v[21:22], -v[23:24]
	scratch_load_b128 v[21:24], off, off offset:256
	v_add_f64 v[163:164], v[163:164], v[227:228]
	v_add_f64 v[221:222], v[221:222], v[225:226]
	v_fma_f64 v[225:226], v[3:4], v[25:26], v[229:230]
	v_fma_f64 v[227:228], v[1:2], v[25:26], -v[27:28]
	scratch_load_b128 v[25:28], off, off offset:272
	ds_load_b128 v[1:4], v41 offset:976
	s_waitcnt vmcnt(10) lgkmcnt(1)
	v_mul_f64 v[223:224], v[217:218], v[31:32]
	v_mul_f64 v[31:32], v[219:220], v[31:32]
	s_waitcnt vmcnt(9) lgkmcnt(0)
	v_mul_f64 v[229:230], v[1:2], v[35:36]
	v_mul_f64 v[35:36], v[3:4], v[35:36]
	v_add_f64 v[163:164], v[163:164], v[153:154]
	v_add_f64 v[221:222], v[221:222], v[155:156]
	ds_load_b128 v[153:156], v41 offset:992
	v_fma_f64 v[219:220], v[219:220], v[29:30], v[223:224]
	v_fma_f64 v[217:218], v[217:218], v[29:30], -v[31:32]
	scratch_load_b128 v[29:32], off, off offset:288
	v_add_f64 v[163:164], v[163:164], v[227:228]
	v_add_f64 v[221:222], v[221:222], v[225:226]
	v_fma_f64 v[225:226], v[3:4], v[33:34], v[229:230]
	v_fma_f64 v[227:228], v[1:2], v[33:34], -v[35:36]
	scratch_load_b128 v[33:36], off, off offset:304
	ds_load_b128 v[1:4], v41 offset:1008
	s_waitcnt vmcnt(9) lgkmcnt(1)
	v_mul_f64 v[223:224], v[153:154], v[168:169]
	v_mul_f64 v[168:169], v[155:156], v[168:169]
	v_add_f64 v[163:164], v[163:164], v[217:218]
	v_add_f64 v[221:222], v[221:222], v[219:220]
	ds_load_b128 v[217:220], v41 offset:1024
	v_fma_f64 v[223:224], v[155:156], v[166:167], v[223:224]
	v_fma_f64 v[166:167], v[153:154], v[166:167], -v[168:169]
	scratch_load_b128 v[153:156], off, off offset:320
	s_waitcnt vmcnt(9) lgkmcnt(1)
	v_mul_f64 v[229:230], v[1:2], v[39:40]
	v_mul_f64 v[39:40], v[3:4], v[39:40]
	v_add_f64 v[163:164], v[163:164], v[227:228]
	v_add_f64 v[168:169], v[221:222], v[225:226]
	s_delay_alu instid0(VALU_DEP_4) | instskip(NEXT) | instid1(VALU_DEP_4)
	v_fma_f64 v[225:226], v[3:4], v[37:38], v[229:230]
	v_fma_f64 v[227:228], v[1:2], v[37:38], -v[39:40]
	scratch_load_b128 v[37:40], off, off offset:336
	ds_load_b128 v[1:4], v41 offset:1040
	s_waitcnt vmcnt(9) lgkmcnt(1)
	v_mul_f64 v[221:222], v[217:218], v[7:8]
	v_mul_f64 v[7:8], v[219:220], v[7:8]
	v_add_f64 v[163:164], v[163:164], v[166:167]
	v_add_f64 v[223:224], v[168:169], v[223:224]
	s_waitcnt vmcnt(8) lgkmcnt(0)
	v_mul_f64 v[229:230], v[1:2], v[11:12]
	v_mul_f64 v[11:12], v[3:4], v[11:12]
	ds_load_b128 v[166:169], v41 offset:1056
	v_fma_f64 v[219:220], v[219:220], v[5:6], v[221:222]
	v_fma_f64 v[217:218], v[217:218], v[5:6], -v[7:8]
	scratch_load_b128 v[5:8], off, off offset:352
	v_add_f64 v[163:164], v[163:164], v[227:228]
	v_add_f64 v[221:222], v[223:224], v[225:226]
	v_fma_f64 v[225:226], v[3:4], v[9:10], v[229:230]
	v_fma_f64 v[227:228], v[1:2], v[9:10], -v[11:12]
	scratch_load_b128 v[9:12], off, off offset:368
	ds_load_b128 v[1:4], v41 offset:1072
	s_waitcnt vmcnt(9) lgkmcnt(1)
	v_mul_f64 v[223:224], v[166:167], v[15:16]
	v_mul_f64 v[15:16], v[168:169], v[15:16]
	s_waitcnt vmcnt(8) lgkmcnt(0)
	v_mul_f64 v[229:230], v[1:2], v[19:20]
	v_mul_f64 v[19:20], v[3:4], v[19:20]
	v_add_f64 v[163:164], v[163:164], v[217:218]
	v_add_f64 v[221:222], v[221:222], v[219:220]
	ds_load_b128 v[217:220], v41 offset:1088
	v_fma_f64 v[168:169], v[168:169], v[13:14], v[223:224]
	v_fma_f64 v[166:167], v[166:167], v[13:14], -v[15:16]
	scratch_load_b128 v[13:16], off, off offset:384
	v_add_f64 v[163:164], v[163:164], v[227:228]
	v_add_f64 v[221:222], v[221:222], v[225:226]
	v_fma_f64 v[225:226], v[3:4], v[17:18], v[229:230]
	v_fma_f64 v[227:228], v[1:2], v[17:18], -v[19:20]
	scratch_load_b128 v[17:20], off, off offset:400
	ds_load_b128 v[1:4], v41 offset:1104
	s_waitcnt vmcnt(9) lgkmcnt(1)
	v_mul_f64 v[223:224], v[217:218], v[23:24]
	v_mul_f64 v[23:24], v[219:220], v[23:24]
	s_waitcnt vmcnt(8) lgkmcnt(0)
	v_mul_f64 v[229:230], v[1:2], v[27:28]
	v_mul_f64 v[27:28], v[3:4], v[27:28]
	v_add_f64 v[163:164], v[163:164], v[166:167]
	v_add_f64 v[221:222], v[221:222], v[168:169]
	;; [unrolled: 18-line block ×15, first 2 shown]
	ds_load_b128 v[217:220], v41 offset:1536
	v_fma_f64 v[168:169], v[168:169], v[5:6], v[223:224]
	v_fma_f64 v[5:6], v[166:167], v[5:6], -v[7:8]
	s_waitcnt vmcnt(7) lgkmcnt(0)
	v_mul_f64 v[166:167], v[217:218], v[15:16]
	v_mul_f64 v[15:16], v[219:220], v[15:16]
	v_add_f64 v[7:8], v[163:164], v[227:228]
	v_add_f64 v[163:164], v[221:222], v[225:226]
	v_fma_f64 v[221:222], v[3:4], v[9:10], v[229:230]
	v_fma_f64 v[9:10], v[1:2], v[9:10], -v[11:12]
	v_fma_f64 v[166:167], v[219:220], v[13:14], v[166:167]
	v_fma_f64 v[13:14], v[217:218], v[13:14], -v[15:16]
	v_add_f64 v[11:12], v[7:8], v[5:6]
	v_add_f64 v[163:164], v[163:164], v[168:169]
	ds_load_b128 v[1:4], v41 offset:1552
	ds_load_b128 v[5:8], v41 offset:1568
	s_waitcnt vmcnt(6) lgkmcnt(1)
	v_mul_f64 v[168:169], v[1:2], v[19:20]
	v_mul_f64 v[19:20], v[3:4], v[19:20]
	s_waitcnt vmcnt(5) lgkmcnt(0)
	v_mul_f64 v[15:16], v[5:6], v[23:24]
	v_mul_f64 v[23:24], v[7:8], v[23:24]
	v_add_f64 v[9:10], v[11:12], v[9:10]
	v_add_f64 v[11:12], v[163:164], v[221:222]
	v_fma_f64 v[163:164], v[3:4], v[17:18], v[168:169]
	v_fma_f64 v[17:18], v[1:2], v[17:18], -v[19:20]
	v_fma_f64 v[7:8], v[7:8], v[21:22], v[15:16]
	v_fma_f64 v[5:6], v[5:6], v[21:22], -v[23:24]
	v_add_f64 v[13:14], v[9:10], v[13:14]
	v_add_f64 v[19:20], v[11:12], v[166:167]
	ds_load_b128 v[1:4], v41 offset:1584
	ds_load_b128 v[9:12], v41 offset:1600
	s_waitcnt vmcnt(4) lgkmcnt(1)
	v_mul_f64 v[166:167], v[1:2], v[27:28]
	v_mul_f64 v[27:28], v[3:4], v[27:28]
	v_add_f64 v[13:14], v[13:14], v[17:18]
	v_add_f64 v[15:16], v[19:20], v[163:164]
	s_waitcnt vmcnt(3) lgkmcnt(0)
	v_mul_f64 v[17:18], v[9:10], v[31:32]
	v_mul_f64 v[19:20], v[11:12], v[31:32]
	v_fma_f64 v[21:22], v[3:4], v[25:26], v[166:167]
	v_fma_f64 v[23:24], v[1:2], v[25:26], -v[27:28]
	v_add_f64 v[13:14], v[13:14], v[5:6]
	v_add_f64 v[15:16], v[15:16], v[7:8]
	ds_load_b128 v[1:4], v41 offset:1616
	ds_load_b128 v[5:8], v41 offset:1632
	v_fma_f64 v[11:12], v[11:12], v[29:30], v[17:18]
	v_fma_f64 v[9:10], v[9:10], v[29:30], -v[19:20]
	s_waitcnt vmcnt(2) lgkmcnt(1)
	v_mul_f64 v[25:26], v[1:2], v[35:36]
	v_mul_f64 v[27:28], v[3:4], v[35:36]
	s_waitcnt vmcnt(1) lgkmcnt(0)
	v_mul_f64 v[17:18], v[5:6], v[155:156]
	v_mul_f64 v[19:20], v[7:8], v[155:156]
	v_add_f64 v[13:14], v[13:14], v[23:24]
	v_add_f64 v[15:16], v[15:16], v[21:22]
	v_fma_f64 v[21:22], v[3:4], v[33:34], v[25:26]
	v_fma_f64 v[23:24], v[1:2], v[33:34], -v[27:28]
	ds_load_b128 v[1:4], v41 offset:1648
	v_fma_f64 v[7:8], v[7:8], v[153:154], v[17:18]
	v_fma_f64 v[5:6], v[5:6], v[153:154], -v[19:20]
	v_add_f64 v[9:10], v[13:14], v[9:10]
	v_add_f64 v[11:12], v[15:16], v[11:12]
	s_waitcnt vmcnt(0) lgkmcnt(0)
	v_mul_f64 v[13:14], v[1:2], v[39:40]
	v_mul_f64 v[15:16], v[3:4], v[39:40]
	s_delay_alu instid0(VALU_DEP_4) | instskip(NEXT) | instid1(VALU_DEP_4)
	v_add_f64 v[9:10], v[9:10], v[23:24]
	v_add_f64 v[11:12], v[11:12], v[21:22]
	s_delay_alu instid0(VALU_DEP_4) | instskip(NEXT) | instid1(VALU_DEP_4)
	v_fma_f64 v[3:4], v[3:4], v[37:38], v[13:14]
	v_fma_f64 v[1:2], v[1:2], v[37:38], -v[15:16]
	s_delay_alu instid0(VALU_DEP_4) | instskip(NEXT) | instid1(VALU_DEP_4)
	v_add_f64 v[5:6], v[9:10], v[5:6]
	v_add_f64 v[7:8], v[11:12], v[7:8]
	s_delay_alu instid0(VALU_DEP_2) | instskip(NEXT) | instid1(VALU_DEP_2)
	v_add_f64 v[1:2], v[5:6], v[1:2]
	v_add_f64 v[3:4], v[7:8], v[3:4]
	s_delay_alu instid0(VALU_DEP_2) | instskip(NEXT) | instid1(VALU_DEP_2)
	v_add_f64 v[1:2], v[42:43], -v[1:2]
	v_add_f64 v[3:4], v[44:45], -v[3:4]
	scratch_store_b128 off, v[1:4], off
	s_cbranch_vccz .LBB115_429
; %bb.326:
	v_dual_mov_b32 v1, s8 :: v_dual_mov_b32 v2, s9
	s_load_b64 s[0:1], s[0:1], 0x4
	flat_load_b32 v1, v[1:2] offset:200
	v_bfe_u32 v2, v0, 10, 10
	v_bfe_u32 v0, v0, 20, 10
	s_waitcnt lgkmcnt(0)
	s_lshr_b32 s0, s0, 16
	s_delay_alu instid0(VALU_DEP_2) | instskip(SKIP_1) | instid1(SALU_CYCLE_1)
	v_mul_u32_u24_e32 v2, s1, v2
	s_mul_i32 s0, s0, s1
	v_mul_u32_u24_e32 v3, s0, v150
	s_mov_b32 s0, exec_lo
	s_delay_alu instid0(VALU_DEP_1) | instskip(NEXT) | instid1(VALU_DEP_1)
	v_add3_u32 v0, v3, v2, v0
	v_lshl_add_u32 v0, v0, 4, 0x688
	s_waitcnt vmcnt(0)
	v_cmpx_ne_u32_e32 51, v1
	s_cbranch_execz .LBB115_328
; %bb.327:
	v_lshl_add_u32 v9, v1, 4, 0
	s_clause 0x1
	scratch_load_b128 v[1:4], v160, off
	scratch_load_b128 v[5:8], v9, off offset:-16
	s_waitcnt vmcnt(1)
	ds_store_2addr_b64 v0, v[1:2], v[3:4] offset1:1
	s_waitcnt vmcnt(0)
	s_clause 0x1
	scratch_store_b128 v160, v[5:8], off
	scratch_store_b128 v9, v[1:4], off offset:-16
.LBB115_328:
	s_or_b32 exec_lo, exec_lo, s0
	v_dual_mov_b32 v1, s8 :: v_dual_mov_b32 v2, s9
	s_mov_b32 s0, exec_lo
	flat_load_b32 v1, v[1:2] offset:196
	s_waitcnt vmcnt(0) lgkmcnt(0)
	v_cmpx_ne_u32_e32 50, v1
	s_cbranch_execz .LBB115_330
; %bb.329:
	v_lshl_add_u32 v9, v1, 4, 0
	s_clause 0x1
	scratch_load_b128 v[1:4], v162, off
	scratch_load_b128 v[5:8], v9, off offset:-16
	s_waitcnt vmcnt(1)
	ds_store_2addr_b64 v0, v[1:2], v[3:4] offset1:1
	s_waitcnt vmcnt(0)
	s_clause 0x1
	scratch_store_b128 v162, v[5:8], off
	scratch_store_b128 v9, v[1:4], off offset:-16
.LBB115_330:
	s_or_b32 exec_lo, exec_lo, s0
	v_dual_mov_b32 v1, s8 :: v_dual_mov_b32 v2, s9
	s_mov_b32 s0, exec_lo
	flat_load_b32 v1, v[1:2] offset:192
	s_waitcnt vmcnt(0) lgkmcnt(0)
	;; [unrolled: 19-line block ×49, first 2 shown]
	v_cmpx_ne_u32_e32 2, v1
	s_cbranch_execz .LBB115_426
; %bb.425:
	v_lshl_add_u32 v9, v1, 4, 0
	s_clause 0x1
	scratch_load_b128 v[1:4], v201, off
	scratch_load_b128 v[5:8], v9, off offset:-16
	s_waitcnt vmcnt(1)
	ds_store_2addr_b64 v0, v[1:2], v[3:4] offset1:1
	s_waitcnt vmcnt(0)
	s_clause 0x1
	scratch_store_b128 v201, v[5:8], off
	scratch_store_b128 v9, v[1:4], off offset:-16
.LBB115_426:
	s_or_b32 exec_lo, exec_lo, s0
	v_dual_mov_b32 v1, s8 :: v_dual_mov_b32 v2, s9
	s_mov_b32 s0, exec_lo
	flat_load_b32 v1, v[1:2]
	s_waitcnt vmcnt(0) lgkmcnt(0)
	v_cmpx_ne_u32_e32 1, v1
	s_cbranch_execz .LBB115_428
; %bb.427:
	v_lshl_add_u32 v9, v1, 4, 0
	scratch_load_b128 v[1:4], off, off
	scratch_load_b128 v[5:8], v9, off offset:-16
	s_waitcnt vmcnt(1)
	ds_store_2addr_b64 v0, v[1:2], v[3:4] offset1:1
	s_waitcnt vmcnt(0)
	scratch_store_b128 off, v[5:8], off
	scratch_store_b128 v9, v[1:4], off offset:-16
.LBB115_428:
	s_or_b32 exec_lo, exec_lo, s0
.LBB115_429:
	scratch_load_b128 v[0:3], off, off
	s_clause 0x18
	scratch_load_b128 v[4:7], v201, off
	scratch_load_b128 v[8:11], v200, off
	;; [unrolled: 1-line block ×25, first 2 shown]
	s_waitcnt vmcnt(25)
	global_store_b128 v[46:47], v[0:3], off
	s_clause 0x1
	scratch_load_b128 v[0:3], v176, off
	scratch_load_b128 v[44:47], v175, off
	s_waitcnt vmcnt(26)
	global_store_b128 v[48:49], v[4:7], off
	s_clause 0x1
	scratch_load_b128 v[4:7], v174, off
	scratch_load_b128 v[173:176], v173, off
	;; [unrolled: 5-line block ×13, first 2 shown]
	s_waitcnt vmcnt(38)
	global_store_b128 v[72:73], v[189:192], off
	s_waitcnt vmcnt(37)
	global_store_b128 v[74:75], v[193:196], off
	;; [unrolled: 2-line block ×39, first 2 shown]
	s_endpgm
	.section	.rodata,"a",@progbits
	.p2align	6, 0x0
	.amdhsa_kernel _ZN9rocsolver6v33100L18getri_kernel_smallILi52E19rocblas_complex_numIdEPKPS3_EEvT1_iilPiilS8_bb
		.amdhsa_group_segment_fixed_size 2696
		.amdhsa_private_segment_fixed_size 848
		.amdhsa_kernarg_size 60
		.amdhsa_user_sgpr_count 15
		.amdhsa_user_sgpr_dispatch_ptr 1
		.amdhsa_user_sgpr_queue_ptr 0
		.amdhsa_user_sgpr_kernarg_segment_ptr 1
		.amdhsa_user_sgpr_dispatch_id 0
		.amdhsa_user_sgpr_private_segment_size 0
		.amdhsa_wavefront_size32 1
		.amdhsa_uses_dynamic_stack 0
		.amdhsa_enable_private_segment 1
		.amdhsa_system_sgpr_workgroup_id_x 1
		.amdhsa_system_sgpr_workgroup_id_y 0
		.amdhsa_system_sgpr_workgroup_id_z 0
		.amdhsa_system_sgpr_workgroup_info 0
		.amdhsa_system_vgpr_workitem_id 2
		.amdhsa_next_free_vgpr 254
		.amdhsa_next_free_sgpr 58
		.amdhsa_reserve_vcc 1
		.amdhsa_float_round_mode_32 0
		.amdhsa_float_round_mode_16_64 0
		.amdhsa_float_denorm_mode_32 3
		.amdhsa_float_denorm_mode_16_64 3
		.amdhsa_dx10_clamp 1
		.amdhsa_ieee_mode 1
		.amdhsa_fp16_overflow 0
		.amdhsa_workgroup_processor_mode 1
		.amdhsa_memory_ordered 1
		.amdhsa_forward_progress 0
		.amdhsa_shared_vgpr_count 0
		.amdhsa_exception_fp_ieee_invalid_op 0
		.amdhsa_exception_fp_denorm_src 0
		.amdhsa_exception_fp_ieee_div_zero 0
		.amdhsa_exception_fp_ieee_overflow 0
		.amdhsa_exception_fp_ieee_underflow 0
		.amdhsa_exception_fp_ieee_inexact 0
		.amdhsa_exception_int_div_zero 0
	.end_amdhsa_kernel
	.section	.text._ZN9rocsolver6v33100L18getri_kernel_smallILi52E19rocblas_complex_numIdEPKPS3_EEvT1_iilPiilS8_bb,"axG",@progbits,_ZN9rocsolver6v33100L18getri_kernel_smallILi52E19rocblas_complex_numIdEPKPS3_EEvT1_iilPiilS8_bb,comdat
.Lfunc_end115:
	.size	_ZN9rocsolver6v33100L18getri_kernel_smallILi52E19rocblas_complex_numIdEPKPS3_EEvT1_iilPiilS8_bb, .Lfunc_end115-_ZN9rocsolver6v33100L18getri_kernel_smallILi52E19rocblas_complex_numIdEPKPS3_EEvT1_iilPiilS8_bb
                                        ; -- End function
	.section	.AMDGPU.csdata,"",@progbits
; Kernel info:
; codeLenInByte = 122436
; NumSgprs: 60
; NumVgprs: 254
; ScratchSize: 848
; MemoryBound: 0
; FloatMode: 240
; IeeeMode: 1
; LDSByteSize: 2696 bytes/workgroup (compile time only)
; SGPRBlocks: 7
; VGPRBlocks: 31
; NumSGPRsForWavesPerEU: 60
; NumVGPRsForWavesPerEU: 254
; Occupancy: 5
; WaveLimiterHint : 1
; COMPUTE_PGM_RSRC2:SCRATCH_EN: 1
; COMPUTE_PGM_RSRC2:USER_SGPR: 15
; COMPUTE_PGM_RSRC2:TRAP_HANDLER: 0
; COMPUTE_PGM_RSRC2:TGID_X_EN: 1
; COMPUTE_PGM_RSRC2:TGID_Y_EN: 0
; COMPUTE_PGM_RSRC2:TGID_Z_EN: 0
; COMPUTE_PGM_RSRC2:TIDIG_COMP_CNT: 2
	.section	.text._ZN9rocsolver6v33100L18getri_kernel_smallILi53E19rocblas_complex_numIdEPKPS3_EEvT1_iilPiilS8_bb,"axG",@progbits,_ZN9rocsolver6v33100L18getri_kernel_smallILi53E19rocblas_complex_numIdEPKPS3_EEvT1_iilPiilS8_bb,comdat
	.globl	_ZN9rocsolver6v33100L18getri_kernel_smallILi53E19rocblas_complex_numIdEPKPS3_EEvT1_iilPiilS8_bb ; -- Begin function _ZN9rocsolver6v33100L18getri_kernel_smallILi53E19rocblas_complex_numIdEPKPS3_EEvT1_iilPiilS8_bb
	.p2align	8
	.type	_ZN9rocsolver6v33100L18getri_kernel_smallILi53E19rocblas_complex_numIdEPKPS3_EEvT1_iilPiilS8_bb,@function
_ZN9rocsolver6v33100L18getri_kernel_smallILi53E19rocblas_complex_numIdEPKPS3_EEvT1_iilPiilS8_bb: ; @_ZN9rocsolver6v33100L18getri_kernel_smallILi53E19rocblas_complex_numIdEPKPS3_EEvT1_iilPiilS8_bb
; %bb.0:
	v_and_b32_e32 v152, 0x3ff, v0
	s_mov_b32 s4, exec_lo
	s_delay_alu instid0(VALU_DEP_1)
	v_cmpx_gt_u32_e32 53, v152
	s_cbranch_execz .LBB116_226
; %bb.1:
	s_mov_b32 s10, s15
	s_clause 0x2
	s_load_b32 s15, s[2:3], 0x38
	s_load_b64 s[8:9], s[2:3], 0x0
	s_load_b128 s[4:7], s[2:3], 0x28
	s_waitcnt lgkmcnt(0)
	s_bitcmp1_b32 s15, 8
	s_cselect_b32 s14, -1, 0
	s_ashr_i32 s11, s10, 31
	s_delay_alu instid0(SALU_CYCLE_1) | instskip(NEXT) | instid1(SALU_CYCLE_1)
	s_lshl_b64 s[12:13], s[10:11], 3
	s_add_u32 s8, s8, s12
	s_addc_u32 s9, s9, s13
	s_load_b64 s[12:13], s[8:9], 0x0
	s_bfe_u32 s8, s15, 0x10008
	s_delay_alu instid0(SALU_CYCLE_1)
	s_cmp_eq_u32 s8, 0
                                        ; implicit-def: $sgpr8_sgpr9
	s_cbranch_scc1 .LBB116_3
; %bb.2:
	s_clause 0x1
	s_load_b32 s8, s[2:3], 0x20
	s_load_b64 s[16:17], s[2:3], 0x18
	s_mul_i32 s5, s10, s5
	s_mul_hi_u32 s9, s10, s4
	s_mul_i32 s18, s11, s4
	s_add_i32 s5, s9, s5
	s_mul_i32 s4, s10, s4
	s_add_i32 s5, s5, s18
	s_delay_alu instid0(SALU_CYCLE_1)
	s_lshl_b64 s[4:5], s[4:5], 2
	s_waitcnt lgkmcnt(0)
	s_ashr_i32 s9, s8, 31
	s_add_u32 s16, s16, s4
	s_addc_u32 s17, s17, s5
	s_lshl_b64 s[4:5], s[8:9], 2
	s_delay_alu instid0(SALU_CYCLE_1)
	s_add_u32 s8, s16, s4
	s_addc_u32 s9, s17, s5
.LBB116_3:
	s_load_b64 s[2:3], s[2:3], 0x8
	v_lshlrev_b32_e32 v13, 4, v152
	s_movk_i32 s18, 0xd0
	s_movk_i32 s19, 0xe0
	;; [unrolled: 1-line block ×18, first 2 shown]
	s_waitcnt lgkmcnt(0)
	v_add3_u32 v5, s3, s3, v152
	s_ashr_i32 s5, s2, 31
	s_mov_b32 s4, s2
	s_mov_b32 s16, s3
	s_lshl_b64 s[4:5], s[4:5], 4
	v_add_nc_u32_e32 v7, s3, v5
	v_ashrrev_i32_e32 v6, 31, v5
	s_add_u32 s4, s12, s4
	s_addc_u32 s5, s13, s5
	v_add_co_u32 v46, s2, s4, v13
	v_add_nc_u32_e32 v9, s3, v7
	s_ashr_i32 s17, s3, 31
	v_add_co_ci_u32_e64 v47, null, s5, 0, s2
	v_ashrrev_i32_e32 v8, 31, v7
	v_lshlrev_b64 v[5:6], 4, v[5:6]
	s_lshl_b64 s[12:13], s[16:17], 4
	v_ashrrev_i32_e32 v10, 31, v9
	v_add_co_u32 v48, vcc_lo, v46, s12
	v_add_nc_u32_e32 v11, s3, v9
	v_add_co_ci_u32_e32 v49, vcc_lo, s13, v47, vcc_lo
	v_lshlrev_b64 v[7:8], 4, v[7:8]
	v_add_co_u32 v50, vcc_lo, s4, v5
	v_add_co_ci_u32_e32 v51, vcc_lo, s5, v6, vcc_lo
	v_lshlrev_b64 v[5:6], 4, v[9:10]
	v_ashrrev_i32_e32 v12, 31, v11
	v_add_nc_u32_e32 v9, s3, v11
	v_add_co_u32 v52, vcc_lo, s4, v7
	v_add_co_ci_u32_e32 v53, vcc_lo, s5, v8, vcc_lo
	s_delay_alu instid0(VALU_DEP_4) | instskip(NEXT) | instid1(VALU_DEP_4)
	v_lshlrev_b64 v[7:8], 4, v[11:12]
	v_ashrrev_i32_e32 v10, 31, v9
	v_add_nc_u32_e32 v11, s3, v9
	v_add_co_u32 v54, vcc_lo, s4, v5
	v_add_co_ci_u32_e32 v55, vcc_lo, s5, v6, vcc_lo
	s_delay_alu instid0(VALU_DEP_4) | instskip(NEXT) | instid1(VALU_DEP_4)
	v_lshlrev_b64 v[5:6], 4, v[9:10]
	v_add_nc_u32_e32 v9, s3, v11
	v_ashrrev_i32_e32 v12, 31, v11
	v_add_co_u32 v56, vcc_lo, s4, v7
	v_add_co_ci_u32_e32 v57, vcc_lo, s5, v8, vcc_lo
	s_delay_alu instid0(VALU_DEP_4) | instskip(SKIP_3) | instid1(VALU_DEP_4)
	v_add_nc_u32_e32 v20, s3, v9
	v_ashrrev_i32_e32 v10, 31, v9
	v_lshlrev_b64 v[18:19], 4, v[11:12]
	v_add_co_u32 v58, vcc_lo, s4, v5
	v_add_nc_u32_e32 v24, s3, v20
	v_ashrrev_i32_e32 v21, 31, v20
	global_load_b128 v[1:4], v13, s[4:5]
	v_add_co_ci_u32_e32 v59, vcc_lo, s5, v6, vcc_lo
	v_add_nc_u32_e32 v28, s3, v24
	v_lshlrev_b64 v[22:23], 4, v[9:10]
	s_clause 0x1
	global_load_b128 v[5:8], v[48:49], off
	global_load_b128 v[9:12], v[50:51], off
	v_add_co_u32 v60, vcc_lo, s4, v18
	v_add_nc_u32_e32 v32, s3, v28
	v_lshlrev_b64 v[26:27], 4, v[20:21]
	v_add_co_ci_u32_e32 v61, vcc_lo, s5, v19, vcc_lo
	v_ashrrev_i32_e32 v25, 31, v24
	s_delay_alu instid0(VALU_DEP_4)
	v_add_nc_u32_e32 v40, s3, v32
	v_add_co_u32 v62, vcc_lo, s4, v22
	v_ashrrev_i32_e32 v29, 31, v28
	v_add_co_ci_u32_e32 v63, vcc_lo, s5, v23, vcc_lo
	v_add_co_u32 v64, vcc_lo, s4, v26
	global_load_b128 v[14:17], v[52:53], off
	v_lshlrev_b64 v[30:31], 4, v[24:25]
	s_clause 0x1
	global_load_b128 v[18:21], v[54:55], off
	global_load_b128 v[22:25], v[56:57], off
	v_add_nc_u32_e32 v44, s3, v40
	v_add_co_ci_u32_e32 v65, vcc_lo, s5, v27, vcc_lo
	v_lshlrev_b64 v[38:39], 4, v[28:29]
	global_load_b128 v[26:29], v[58:59], off
	v_ashrrev_i32_e32 v33, 31, v32
	v_add_nc_u32_e32 v74, s3, v44
	v_ashrrev_i32_e32 v41, 31, v40
	v_add_co_u32 v66, vcc_lo, s4, v30
	s_delay_alu instid0(VALU_DEP_4)
	v_lshlrev_b64 v[42:43], 4, v[32:33]
	v_ashrrev_i32_e32 v45, 31, v44
	v_add_co_ci_u32_e32 v67, vcc_lo, s5, v31, vcc_lo
	v_add_nc_u32_e32 v78, s3, v74
	s_clause 0x1
	global_load_b128 v[30:33], v[60:61], off
	global_load_b128 v[34:37], v[62:63], off
	v_add_co_u32 v68, vcc_lo, s4, v38
	v_lshlrev_b64 v[72:73], 4, v[40:41]
	v_ashrrev_i32_e32 v75, 31, v74
	v_add_co_ci_u32_e32 v69, vcc_lo, s5, v39, vcc_lo
	v_add_co_u32 v70, vcc_lo, s4, v42
	v_lshlrev_b64 v[76:77], 4, v[44:45]
	v_add_nc_u32_e32 v82, s3, v78
	v_add_co_ci_u32_e32 v71, vcc_lo, s5, v43, vcc_lo
	v_add_co_u32 v72, vcc_lo, s4, v72
	v_lshlrev_b64 v[80:81], 4, v[74:75]
	v_add_co_ci_u32_e32 v73, vcc_lo, s5, v73, vcc_lo
	v_add_co_u32 v74, vcc_lo, s4, v76
	v_ashrrev_i32_e32 v83, 31, v82
	v_add_nc_u32_e32 v84, s3, v82
	s_clause 0x2
	global_load_b128 v[38:41], v[64:65], off
	global_load_b128 v[42:45], v[66:67], off
	global_load_b128 v[142:145], v[68:69], off
	v_add_co_ci_u32_e32 v75, vcc_lo, s5, v77, vcc_lo
	v_ashrrev_i32_e32 v79, 31, v78
	v_add_co_u32 v76, vcc_lo, s4, v80
	v_add_co_ci_u32_e32 v77, vcc_lo, s5, v81, vcc_lo
	v_lshlrev_b64 v[80:81], 4, v[82:83]
	v_add_nc_u32_e32 v82, s3, v84
	global_load_b128 v[146:149], v[70:71], off
	v_lshlrev_b64 v[78:79], 4, v[78:79]
	v_ashrrev_i32_e32 v85, 31, v84
	s_clause 0x1
	global_load_b128 v[153:156], v[72:73], off
	global_load_b128 v[157:160], v[74:75], off
	v_add_nc_u32_e32 v88, s3, v82
	v_ashrrev_i32_e32 v83, 31, v82
	s_movk_i32 s2, 0x50
	v_add_co_u32 v78, vcc_lo, s4, v78
	v_lshlrev_b64 v[84:85], 4, v[84:85]
	v_ashrrev_i32_e32 v89, 31, v88
	v_add_co_ci_u32_e32 v79, vcc_lo, s5, v79, vcc_lo
	v_add_co_u32 v80, vcc_lo, s4, v80
	v_lshlrev_b64 v[86:87], 4, v[82:83]
	v_add_co_ci_u32_e32 v81, vcc_lo, s5, v81, vcc_lo
	v_add_co_u32 v82, vcc_lo, s4, v84
	v_lshlrev_b64 v[89:90], 4, v[88:89]
	v_add_co_ci_u32_e32 v83, vcc_lo, s5, v85, vcc_lo
	s_clause 0x1
	global_load_b128 v[161:164], v[76:77], off
	global_load_b128 v[165:168], v[78:79], off
	v_add_co_u32 v84, vcc_lo, s4, v86
	v_add_co_ci_u32_e32 v85, vcc_lo, s5, v87, vcc_lo
	v_add_co_u32 v86, vcc_lo, s4, v89
	v_add_co_ci_u32_e32 v87, vcc_lo, s5, v90, vcc_lo
	s_clause 0x3
	global_load_b128 v[169:172], v[80:81], off
	global_load_b128 v[173:176], v[82:83], off
	;; [unrolled: 1-line block ×4, first 2 shown]
	v_add_nc_u32_e32 v88, s3, v88
	s_movk_i32 s12, 0x90
	s_movk_i32 s13, 0xa0
	;; [unrolled: 1-line block ×4, first 2 shown]
	v_add_nc_u32_e32 v90, s3, v88
	v_ashrrev_i32_e32 v89, 31, v88
	s_movk_i32 s37, 0x1f0
	s_movk_i32 s38, 0x200
	s_movk_i32 s39, 0x210
	v_add_nc_u32_e32 v92, s3, v90
	v_ashrrev_i32_e32 v91, 31, v90
	v_lshlrev_b64 v[88:89], 4, v[88:89]
	s_movk_i32 s40, 0x220
	s_movk_i32 s41, 0x230
	v_add_nc_u32_e32 v94, s3, v92
	v_ashrrev_i32_e32 v93, 31, v92
	v_lshlrev_b64 v[90:91], 4, v[90:91]
	v_add_co_u32 v88, vcc_lo, s4, v88
	s_delay_alu instid0(VALU_DEP_4) | instskip(SKIP_3) | instid1(VALU_DEP_4)
	v_add_nc_u32_e32 v96, s3, v94
	v_ashrrev_i32_e32 v95, 31, v94
	v_lshlrev_b64 v[92:93], 4, v[92:93]
	v_add_co_ci_u32_e32 v89, vcc_lo, s5, v89, vcc_lo
	v_add_nc_u32_e32 v98, s3, v96
	v_ashrrev_i32_e32 v97, 31, v96
	v_add_co_u32 v90, vcc_lo, s4, v90
	v_lshlrev_b64 v[94:95], 4, v[94:95]
	s_delay_alu instid0(VALU_DEP_4) | instskip(SKIP_3) | instid1(VALU_DEP_4)
	v_add_nc_u32_e32 v100, s3, v98
	v_ashrrev_i32_e32 v99, 31, v98
	v_add_co_ci_u32_e32 v91, vcc_lo, s5, v91, vcc_lo
	v_add_co_u32 v92, vcc_lo, s4, v92
	v_add_nc_u32_e32 v102, s3, v100
	v_lshlrev_b64 v[96:97], 4, v[96:97]
	v_ashrrev_i32_e32 v101, 31, v100
	v_add_co_ci_u32_e32 v93, vcc_lo, s5, v93, vcc_lo
	s_delay_alu instid0(VALU_DEP_4) | instskip(SKIP_3) | instid1(VALU_DEP_4)
	v_add_nc_u32_e32 v104, s3, v102
	v_add_co_u32 v94, vcc_lo, s4, v94
	v_lshlrev_b64 v[98:99], 4, v[98:99]
	v_ashrrev_i32_e32 v103, 31, v102
	v_add_nc_u32_e32 v106, s3, v104
	v_add_co_ci_u32_e32 v95, vcc_lo, s5, v95, vcc_lo
	v_add_co_u32 v96, vcc_lo, s4, v96
	s_delay_alu instid0(VALU_DEP_3) | instskip(SKIP_3) | instid1(VALU_DEP_4)
	v_add_nc_u32_e32 v108, s3, v106
	v_lshlrev_b64 v[100:101], 4, v[100:101]
	v_ashrrev_i32_e32 v105, 31, v104
	v_add_co_ci_u32_e32 v97, vcc_lo, s5, v97, vcc_lo
	v_add_nc_u32_e32 v110, s3, v108
	v_add_co_u32 v98, vcc_lo, s4, v98
	v_lshlrev_b64 v[102:103], 4, v[102:103]
	v_ashrrev_i32_e32 v107, 31, v106
	s_delay_alu instid0(VALU_DEP_4) | instskip(SKIP_2) | instid1(VALU_DEP_3)
	v_add_nc_u32_e32 v112, s3, v110
	v_add_co_ci_u32_e32 v99, vcc_lo, s5, v99, vcc_lo
	v_add_co_u32 v100, vcc_lo, s4, v100
	v_add_nc_u32_e32 v114, s3, v112
	v_lshlrev_b64 v[104:105], 4, v[104:105]
	v_ashrrev_i32_e32 v109, 31, v108
	v_add_co_ci_u32_e32 v101, vcc_lo, s5, v101, vcc_lo
	s_delay_alu instid0(VALU_DEP_4) | instskip(SKIP_3) | instid1(VALU_DEP_4)
	v_add_nc_u32_e32 v116, s3, v114
	v_add_co_u32 v102, vcc_lo, s4, v102
	v_lshlrev_b64 v[106:107], 4, v[106:107]
	v_ashrrev_i32_e32 v111, 31, v110
	v_add_nc_u32_e32 v118, s3, v116
	v_add_co_ci_u32_e32 v103, vcc_lo, s5, v103, vcc_lo
	v_add_co_u32 v104, vcc_lo, s4, v104
	s_delay_alu instid0(VALU_DEP_3) | instskip(SKIP_3) | instid1(VALU_DEP_4)
	v_add_nc_u32_e32 v120, s3, v118
	v_lshlrev_b64 v[108:109], 4, v[108:109]
	v_ashrrev_i32_e32 v113, 31, v112
	v_add_co_ci_u32_e32 v105, vcc_lo, s5, v105, vcc_lo
	v_add_nc_u32_e32 v122, s3, v120
	v_add_co_u32 v106, vcc_lo, s4, v106
	v_lshlrev_b64 v[110:111], 4, v[110:111]
	v_ashrrev_i32_e32 v115, 31, v114
	s_delay_alu instid0(VALU_DEP_4)
	v_add_nc_u32_e32 v124, s3, v122
	v_add_co_ci_u32_e32 v107, vcc_lo, s5, v107, vcc_lo
	v_add_co_u32 v108, vcc_lo, s4, v108
	v_lshlrev_b64 v[112:113], 4, v[112:113]
	v_ashrrev_i32_e32 v117, 31, v116
	v_add_co_ci_u32_e32 v109, vcc_lo, s5, v109, vcc_lo
	v_add_co_u32 v110, vcc_lo, s4, v110
	v_lshlrev_b64 v[114:115], 4, v[114:115]
	v_add_nc_u32_e32 v126, s3, v124
	v_ashrrev_i32_e32 v119, 31, v118
	v_add_co_ci_u32_e32 v111, vcc_lo, s5, v111, vcc_lo
	v_add_co_u32 v112, vcc_lo, s4, v112
	v_lshlrev_b64 v[116:117], 4, v[116:117]
	v_ashrrev_i32_e32 v121, 31, v120
	v_add_co_ci_u32_e32 v113, vcc_lo, s5, v113, vcc_lo
	v_add_nc_u32_e32 v128, s3, v126
	v_add_co_u32 v114, vcc_lo, s4, v114
	v_lshlrev_b64 v[118:119], 4, v[118:119]
	v_ashrrev_i32_e32 v123, 31, v122
	v_add_co_ci_u32_e32 v115, vcc_lo, s5, v115, vcc_lo
	v_add_co_u32 v116, vcc_lo, s4, v116
	v_lshlrev_b64 v[120:121], 4, v[120:121]
	v_ashrrev_i32_e32 v125, 31, v124
	v_add_nc_u32_e32 v130, s3, v128
	v_add_co_ci_u32_e32 v117, vcc_lo, s5, v117, vcc_lo
	v_add_co_u32 v118, vcc_lo, s4, v118
	v_lshlrev_b64 v[122:123], 4, v[122:123]
	v_ashrrev_i32_e32 v127, 31, v126
	v_add_co_ci_u32_e32 v119, vcc_lo, s5, v119, vcc_lo
	v_add_co_u32 v120, vcc_lo, s4, v120
	v_lshlrev_b64 v[124:125], 4, v[124:125]
	v_add_nc_u32_e32 v132, s3, v130
	v_ashrrev_i32_e32 v129, 31, v128
	v_add_co_ci_u32_e32 v121, vcc_lo, s5, v121, vcc_lo
	v_add_co_u32 v122, vcc_lo, s4, v122
	v_lshlrev_b64 v[126:127], 4, v[126:127]
	v_ashrrev_i32_e32 v131, 31, v130
	v_add_co_ci_u32_e32 v123, vcc_lo, s5, v123, vcc_lo
	v_add_nc_u32_e32 v134, s3, v132
	v_add_co_u32 v124, vcc_lo, s4, v124
	v_lshlrev_b64 v[128:129], 4, v[128:129]
	v_ashrrev_i32_e32 v133, 31, v132
	v_add_co_ci_u32_e32 v125, vcc_lo, s5, v125, vcc_lo
	s_clause 0xf
	global_load_b128 v[185:188], v[88:89], off
	global_load_b128 v[189:192], v[90:91], off
	;; [unrolled: 1-line block ×16, first 2 shown]
	v_add_co_u32 v126, vcc_lo, s4, v126
	v_add_nc_u32_e32 v136, s3, v134
	v_add_co_ci_u32_e32 v127, vcc_lo, s5, v127, vcc_lo
	v_add_co_u32 v128, vcc_lo, s4, v128
	v_add_co_ci_u32_e32 v129, vcc_lo, s5, v129, vcc_lo
	s_delay_alu instid0(VALU_DEP_4)
	v_add_nc_u32_e32 v138, s3, v136
	v_ashrrev_i32_e32 v135, 31, v134
	v_ashrrev_i32_e32 v137, 31, v136
	s_movk_i32 s42, 0x240
	s_movk_i32 s43, 0x250
	v_ashrrev_i32_e32 v139, 31, v138
	s_movk_i32 s44, 0x260
	s_movk_i32 s45, 0x270
	;; [unrolled: 1-line block ×15, first 2 shown]
	v_add_nc_u32_e64 v204, 0, 16
	v_add_nc_u32_e64 v203, 0, 32
	;; [unrolled: 1-line block ×4, first 2 shown]
	s_bitcmp0_b32 s15, 0
	s_waitcnt vmcnt(36)
	scratch_store_b128 off, v[1:4], off
	s_waitcnt vmcnt(35)
	scratch_store_b128 off, v[5:8], off offset:16
	s_waitcnt vmcnt(34)
	scratch_store_b128 off, v[9:12], off offset:32
	v_lshlrev_b64 v[9:10], 4, v[130:131]
	v_lshlrev_b64 v[11:12], 4, v[132:133]
	s_clause 0x1
	global_load_b128 v[1:4], v[120:121], off
	global_load_b128 v[5:8], v[122:123], off
	v_add_co_u32 v130, vcc_lo, s4, v9
	v_add_co_ci_u32_e32 v131, vcc_lo, s5, v10, vcc_lo
	v_add_co_u32 v132, vcc_lo, s4, v11
	v_add_co_ci_u32_e32 v133, vcc_lo, s5, v12, vcc_lo
	s_waitcnt vmcnt(35)
	scratch_store_b128 off, v[14:17], off offset:48
	s_waitcnt vmcnt(34)
	scratch_store_b128 off, v[18:21], off offset:64
	;; [unrolled: 2-line block ×3, first 2 shown]
	s_clause 0x1
	global_load_b128 v[9:12], v[124:125], off
	global_load_b128 v[14:17], v[126:127], off
	v_lshlrev_b64 v[18:19], 4, v[134:135]
	v_lshlrev_b64 v[20:21], 4, v[136:137]
	s_waitcnt vmcnt(34)
	scratch_store_b128 off, v[26:29], off offset:96
	v_add_nc_u32_e32 v26, s3, v138
	s_waitcnt vmcnt(33)
	scratch_store_b128 off, v[30:33], off offset:112
	s_waitcnt vmcnt(32)
	scratch_store_b128 off, v[34:37], off offset:128
	v_add_nc_u32_e32 v150, s3, v26
	v_ashrrev_i32_e32 v27, 31, v26
	v_add_co_u32 v134, vcc_lo, s4, v18
	v_lshlrev_b64 v[28:29], 4, v[138:139]
	s_delay_alu instid0(VALU_DEP_4) | instskip(SKIP_2) | instid1(VALU_DEP_3)
	v_add_nc_u32_e32 v34, s3, v150
	v_add_co_ci_u32_e32 v135, vcc_lo, s5, v19, vcc_lo
	v_add_co_u32 v136, vcc_lo, s4, v20
	v_add_nc_u32_e32 v36, s3, v34
	v_lshlrev_b64 v[26:27], 4, v[26:27]
	v_ashrrev_i32_e32 v151, 31, v150
	v_add_co_ci_u32_e32 v137, vcc_lo, s5, v21, vcc_lo
	s_clause 0x1
	global_load_b128 v[18:21], v[128:129], off
	global_load_b128 v[22:25], v[130:131], off
	v_add_co_u32 v138, vcc_lo, s4, v28
	v_ashrrev_i32_e32 v35, 31, v34
	v_add_co_ci_u32_e32 v139, vcc_lo, s5, v29, vcc_lo
	s_waitcnt vmcnt(33)
	scratch_store_b128 off, v[38:41], off offset:144
	s_waitcnt vmcnt(32)
	scratch_store_b128 off, v[42:45], off offset:160
	;; [unrolled: 2-line block ×3, first 2 shown]
	v_add_nc_u32_e32 v42, s3, v36
	v_add_co_u32 v140, vcc_lo, s4, v26
	v_lshlrev_b64 v[38:39], 4, v[150:151]
	v_ashrrev_i32_e32 v37, 31, v36
	v_add_co_ci_u32_e32 v141, vcc_lo, s5, v27, vcc_lo
	s_clause 0x1
	global_load_b128 v[26:29], v[132:133], off
	global_load_b128 v[30:33], v[134:135], off
	v_lshlrev_b64 v[34:35], 4, v[34:35]
	s_waitcnt vmcnt(32)
	scratch_store_b128 off, v[146:149], off offset:192
	v_add_nc_u32_e32 v148, s3, v42
	v_ashrrev_i32_e32 v43, 31, v42
	v_add_co_u32 v142, vcc_lo, s4, v38
	v_lshlrev_b64 v[36:37], 4, v[36:37]
	s_delay_alu instid0(VALU_DEP_4)
	v_ashrrev_i32_e32 v149, 31, v148
	v_add_co_ci_u32_e32 v143, vcc_lo, s5, v39, vcc_lo
	v_add_co_u32 v144, vcc_lo, s4, v34
	v_lshlrev_b64 v[150:151], 4, v[42:43]
	v_add_co_ci_u32_e32 v145, vcc_lo, s5, v35, vcc_lo
	v_add_co_u32 v146, vcc_lo, s4, v36
	s_waitcnt vmcnt(31)
	scratch_store_b128 off, v[153:156], off offset:208
	s_waitcnt vmcnt(30)
	scratch_store_b128 off, v[157:160], off offset:224
	v_lshlrev_b64 v[153:154], 4, v[148:149]
	v_add_co_ci_u32_e32 v147, vcc_lo, s5, v37, vcc_lo
	v_add_co_u32 v148, vcc_lo, s4, v150
	v_add_co_ci_u32_e32 v149, vcc_lo, s5, v151, vcc_lo
	s_delay_alu instid0(VALU_DEP_4)
	v_add_co_u32 v150, vcc_lo, s4, v153
	s_clause 0x1
	global_load_b128 v[34:37], v[136:137], off
	global_load_b128 v[38:41], v[138:139], off
	s_waitcnt vmcnt(31)
	scratch_store_b128 off, v[161:164], off offset:240
	s_waitcnt vmcnt(30)
	scratch_store_b128 off, v[165:168], off offset:256
	s_clause 0x1
	global_load_b128 v[42:45], v[140:141], off
	global_load_b128 v[156:159], v[142:143], off
	v_add_co_ci_u32_e32 v151, vcc_lo, s5, v154, vcc_lo
	s_clause 0x1
	global_load_b128 v[160:163], v[144:145], off
	global_load_b128 v[164:167], v[146:147], off
	s_waitcnt vmcnt(33)
	scratch_store_b128 off, v[169:172], off offset:272
	s_waitcnt vmcnt(32)
	scratch_store_b128 off, v[173:176], off offset:288
	s_clause 0x1
	global_load_b128 v[168:171], v[148:149], off
	global_load_b128 v[172:175], v[150:151], off
	s_movk_i32 s3, 0x60
	s_movk_i32 s4, 0x70
	;; [unrolled: 1-line block ×3, first 2 shown]
	s_waitcnt vmcnt(33)
	scratch_store_b128 off, v[177:180], off offset:304
	s_waitcnt vmcnt(32)
	scratch_store_b128 off, v[181:184], off offset:320
	v_add_nc_u32_e64 v155, s2, 0
	v_add_nc_u32_e64 v255, s3, 0
	;; [unrolled: 1-line block ×15, first 2 shown]
	s_mov_b32 s3, -1
	s_waitcnt vmcnt(31)
	scratch_store_b128 off, v[185:188], off offset:336
	s_waitcnt vmcnt(30)
	scratch_store_b128 off, v[189:192], off offset:352
	;; [unrolled: 2-line block ×4, first 2 shown]
	v_add_nc_u32_e64 v196, s12, 0
	v_add_nc_u32_e64 v195, s13, 0
	;; [unrolled: 1-line block ×8, first 2 shown]
	s_waitcnt vmcnt(27)
	scratch_store_b128 off, v[209:212], off offset:400
	s_waitcnt vmcnt(26)
	scratch_store_b128 off, v[213:216], off offset:416
	v_add_nc_u32_e64 v188, s22, 0
	v_add_nc_u32_e64 v187, s23, 0
	v_add_nc_u32_e64 v186, s24, 0
	v_add_nc_u32_e64 v185, s25, 0
	s_waitcnt vmcnt(25)
	scratch_store_b128 off, v[217:220], off offset:432
	s_waitcnt vmcnt(24)
	scratch_store_b128 off, v[221:224], off offset:448
	v_add_nc_u32_e64 v216, s35, 0
	v_add_nc_u32_e64 v215, s36, 0
	v_add_nc_u32_e64 v214, s37, 0
	v_add_nc_u32_e64 v213, s38, 0
	;; [unrolled: 8-line block ×3, first 2 shown]
	v_add_nc_u32_e64 v208, s43, 0
	v_add_nc_u32_e64 v207, s44, 0
	;; [unrolled: 1-line block ×3, first 2 shown]
	s_waitcnt vmcnt(21)
	scratch_store_b128 off, v[233:236], off offset:496
	s_waitcnt vmcnt(20)
	scratch_store_b128 off, v[237:240], off offset:512
	;; [unrolled: 2-line block ×19, first 2 shown]
	v_add_nc_u32_e64 v198, s49, 0
	v_add_nc_u32_e64 v163, s50, 0
	v_add_nc_u32_e64 v162, s51, 0
	v_add_nc_u32_e64 v160, s52, 0
	v_add_nc_u32_e64 v158, s53, 0
	v_add_nc_u32_e64 v156, s54, 0
	v_add_nc_u32_e64 v161, s55, 0
	v_add_nc_u32_e64 v159, s56, 0
	v_add_nc_u32_e64 v157, s57, 0
	v_add_nc_u32_e64 v197, s58, 0
	s_waitcnt vmcnt(2)
	scratch_store_b128 off, v[164:167], off offset:800
	s_waitcnt vmcnt(1)
	scratch_store_b128 off, v[168:171], off offset:816
	;; [unrolled: 2-line block ×3, first 2 shown]
	s_cbranch_scc1 .LBB116_224
; %bb.4:
	v_cmp_eq_u32_e64 s2, 0, v152
	s_delay_alu instid0(VALU_DEP_1)
	s_and_saveexec_b32 s3, s2
	s_cbranch_execz .LBB116_6
; %bb.5:
	v_mov_b32_e32 v1, 0
	ds_store_b32 v1, v1 offset:1696
.LBB116_6:
	s_or_b32 exec_lo, exec_lo, s3
	s_waitcnt lgkmcnt(0)
	s_waitcnt_vscnt null, 0x0
	s_barrier
	buffer_gl0_inv
	scratch_load_b128 v[1:4], v13, off
	s_waitcnt vmcnt(0)
	v_cmp_eq_f64_e32 vcc_lo, 0, v[1:2]
	v_cmp_eq_f64_e64 s3, 0, v[3:4]
	s_delay_alu instid0(VALU_DEP_1) | instskip(NEXT) | instid1(SALU_CYCLE_1)
	s_and_b32 s3, vcc_lo, s3
	s_and_saveexec_b32 s4, s3
	s_cbranch_execz .LBB116_10
; %bb.7:
	v_mov_b32_e32 v1, 0
	s_mov_b32 s5, 0
	ds_load_b32 v2, v1 offset:1696
	s_waitcnt lgkmcnt(0)
	v_readfirstlane_b32 s3, v2
	v_add_nc_u32_e32 v2, 1, v152
	s_delay_alu instid0(VALU_DEP_2) | instskip(NEXT) | instid1(VALU_DEP_1)
	s_cmp_eq_u32 s3, 0
	v_cmp_gt_i32_e32 vcc_lo, s3, v2
	s_cselect_b32 s12, -1, 0
	s_delay_alu instid0(SALU_CYCLE_1) | instskip(NEXT) | instid1(SALU_CYCLE_1)
	s_or_b32 s12, s12, vcc_lo
	s_and_b32 exec_lo, exec_lo, s12
	s_cbranch_execz .LBB116_10
; %bb.8:
	v_mov_b32_e32 v3, s3
.LBB116_9:                              ; =>This Inner Loop Header: Depth=1
	ds_cmpstore_rtn_b32 v3, v1, v2, v3 offset:1696
	s_waitcnt lgkmcnt(0)
	v_cmp_ne_u32_e32 vcc_lo, 0, v3
	v_cmp_le_i32_e64 s3, v3, v2
	s_delay_alu instid0(VALU_DEP_1) | instskip(NEXT) | instid1(SALU_CYCLE_1)
	s_and_b32 s3, vcc_lo, s3
	s_and_b32 s3, exec_lo, s3
	s_delay_alu instid0(SALU_CYCLE_1) | instskip(NEXT) | instid1(SALU_CYCLE_1)
	s_or_b32 s5, s3, s5
	s_and_not1_b32 exec_lo, exec_lo, s5
	s_cbranch_execnz .LBB116_9
.LBB116_10:
	s_or_b32 exec_lo, exec_lo, s4
	v_mov_b32_e32 v1, 0
	s_barrier
	buffer_gl0_inv
	ds_load_b32 v2, v1 offset:1696
	s_and_saveexec_b32 s3, s2
	s_cbranch_execz .LBB116_12
; %bb.11:
	s_lshl_b64 s[4:5], s[10:11], 2
	s_delay_alu instid0(SALU_CYCLE_1)
	s_add_u32 s4, s6, s4
	s_addc_u32 s5, s7, s5
	s_waitcnt lgkmcnt(0)
	global_store_b32 v1, v2, s[4:5]
.LBB116_12:
	s_or_b32 exec_lo, exec_lo, s3
	s_waitcnt lgkmcnt(0)
	v_cmp_ne_u32_e32 vcc_lo, 0, v2
	s_mov_b32 s3, 0
	s_cbranch_vccnz .LBB116_224
; %bb.13:
	v_add_nc_u32_e32 v14, 0, v13
                                        ; implicit-def: $vgpr9_vgpr10
	scratch_load_b128 v[1:4], v14, off
	s_waitcnt vmcnt(0)
	v_mov_b32_e32 v5, v1
	v_cmp_gt_f64_e32 vcc_lo, 0, v[1:2]
	v_xor_b32_e32 v6, 0x80000000, v2
	v_xor_b32_e32 v7, 0x80000000, v4
	s_delay_alu instid0(VALU_DEP_2) | instskip(SKIP_1) | instid1(VALU_DEP_3)
	v_cndmask_b32_e32 v6, v2, v6, vcc_lo
	v_cmp_gt_f64_e32 vcc_lo, 0, v[3:4]
	v_dual_cndmask_b32 v8, v4, v7 :: v_dual_mov_b32 v7, v3
	s_delay_alu instid0(VALU_DEP_1) | instskip(SKIP_1) | instid1(SALU_CYCLE_1)
	v_cmp_ngt_f64_e32 vcc_lo, v[5:6], v[7:8]
                                        ; implicit-def: $vgpr5_vgpr6
	s_and_saveexec_b32 s3, vcc_lo
	s_xor_b32 s3, exec_lo, s3
	s_cbranch_execz .LBB116_15
; %bb.14:
	v_div_scale_f64 v[5:6], null, v[3:4], v[3:4], v[1:2]
	v_div_scale_f64 v[11:12], vcc_lo, v[1:2], v[3:4], v[1:2]
	s_delay_alu instid0(VALU_DEP_2) | instskip(SKIP_2) | instid1(VALU_DEP_1)
	v_rcp_f64_e32 v[7:8], v[5:6]
	s_waitcnt_depctr 0xfff
	v_fma_f64 v[9:10], -v[5:6], v[7:8], 1.0
	v_fma_f64 v[7:8], v[7:8], v[9:10], v[7:8]
	s_delay_alu instid0(VALU_DEP_1) | instskip(NEXT) | instid1(VALU_DEP_1)
	v_fma_f64 v[9:10], -v[5:6], v[7:8], 1.0
	v_fma_f64 v[7:8], v[7:8], v[9:10], v[7:8]
	s_delay_alu instid0(VALU_DEP_1) | instskip(NEXT) | instid1(VALU_DEP_1)
	v_mul_f64 v[9:10], v[11:12], v[7:8]
	v_fma_f64 v[5:6], -v[5:6], v[9:10], v[11:12]
	s_delay_alu instid0(VALU_DEP_1) | instskip(NEXT) | instid1(VALU_DEP_1)
	v_div_fmas_f64 v[5:6], v[5:6], v[7:8], v[9:10]
	v_div_fixup_f64 v[5:6], v[5:6], v[3:4], v[1:2]
	s_delay_alu instid0(VALU_DEP_1) | instskip(NEXT) | instid1(VALU_DEP_1)
	v_fma_f64 v[1:2], v[1:2], v[5:6], v[3:4]
	v_div_scale_f64 v[3:4], null, v[1:2], v[1:2], 1.0
	v_div_scale_f64 v[11:12], vcc_lo, 1.0, v[1:2], 1.0
	s_delay_alu instid0(VALU_DEP_2) | instskip(SKIP_2) | instid1(VALU_DEP_1)
	v_rcp_f64_e32 v[7:8], v[3:4]
	s_waitcnt_depctr 0xfff
	v_fma_f64 v[9:10], -v[3:4], v[7:8], 1.0
	v_fma_f64 v[7:8], v[7:8], v[9:10], v[7:8]
	s_delay_alu instid0(VALU_DEP_1) | instskip(NEXT) | instid1(VALU_DEP_1)
	v_fma_f64 v[9:10], -v[3:4], v[7:8], 1.0
	v_fma_f64 v[7:8], v[7:8], v[9:10], v[7:8]
	s_delay_alu instid0(VALU_DEP_1) | instskip(NEXT) | instid1(VALU_DEP_1)
	v_mul_f64 v[9:10], v[11:12], v[7:8]
	v_fma_f64 v[3:4], -v[3:4], v[9:10], v[11:12]
	s_delay_alu instid0(VALU_DEP_1) | instskip(NEXT) | instid1(VALU_DEP_1)
	v_div_fmas_f64 v[3:4], v[3:4], v[7:8], v[9:10]
	v_div_fixup_f64 v[7:8], v[3:4], v[1:2], 1.0
                                        ; implicit-def: $vgpr1_vgpr2
	s_delay_alu instid0(VALU_DEP_1) | instskip(SKIP_1) | instid1(VALU_DEP_2)
	v_mul_f64 v[5:6], v[5:6], v[7:8]
	v_xor_b32_e32 v8, 0x80000000, v8
	v_xor_b32_e32 v10, 0x80000000, v6
	s_delay_alu instid0(VALU_DEP_3)
	v_mov_b32_e32 v9, v5
.LBB116_15:
	s_and_not1_saveexec_b32 s3, s3
	s_cbranch_execz .LBB116_17
; %bb.16:
	v_div_scale_f64 v[5:6], null, v[1:2], v[1:2], v[3:4]
	v_div_scale_f64 v[11:12], vcc_lo, v[3:4], v[1:2], v[3:4]
	s_delay_alu instid0(VALU_DEP_2) | instskip(SKIP_2) | instid1(VALU_DEP_1)
	v_rcp_f64_e32 v[7:8], v[5:6]
	s_waitcnt_depctr 0xfff
	v_fma_f64 v[9:10], -v[5:6], v[7:8], 1.0
	v_fma_f64 v[7:8], v[7:8], v[9:10], v[7:8]
	s_delay_alu instid0(VALU_DEP_1) | instskip(NEXT) | instid1(VALU_DEP_1)
	v_fma_f64 v[9:10], -v[5:6], v[7:8], 1.0
	v_fma_f64 v[7:8], v[7:8], v[9:10], v[7:8]
	s_delay_alu instid0(VALU_DEP_1) | instskip(NEXT) | instid1(VALU_DEP_1)
	v_mul_f64 v[9:10], v[11:12], v[7:8]
	v_fma_f64 v[5:6], -v[5:6], v[9:10], v[11:12]
	s_delay_alu instid0(VALU_DEP_1) | instskip(NEXT) | instid1(VALU_DEP_1)
	v_div_fmas_f64 v[5:6], v[5:6], v[7:8], v[9:10]
	v_div_fixup_f64 v[7:8], v[5:6], v[1:2], v[3:4]
	s_delay_alu instid0(VALU_DEP_1) | instskip(NEXT) | instid1(VALU_DEP_1)
	v_fma_f64 v[1:2], v[3:4], v[7:8], v[1:2]
	v_div_scale_f64 v[3:4], null, v[1:2], v[1:2], 1.0
	s_delay_alu instid0(VALU_DEP_1) | instskip(SKIP_2) | instid1(VALU_DEP_1)
	v_rcp_f64_e32 v[5:6], v[3:4]
	s_waitcnt_depctr 0xfff
	v_fma_f64 v[9:10], -v[3:4], v[5:6], 1.0
	v_fma_f64 v[5:6], v[5:6], v[9:10], v[5:6]
	s_delay_alu instid0(VALU_DEP_1) | instskip(NEXT) | instid1(VALU_DEP_1)
	v_fma_f64 v[9:10], -v[3:4], v[5:6], 1.0
	v_fma_f64 v[5:6], v[5:6], v[9:10], v[5:6]
	v_div_scale_f64 v[9:10], vcc_lo, 1.0, v[1:2], 1.0
	s_delay_alu instid0(VALU_DEP_1) | instskip(NEXT) | instid1(VALU_DEP_1)
	v_mul_f64 v[11:12], v[9:10], v[5:6]
	v_fma_f64 v[3:4], -v[3:4], v[11:12], v[9:10]
	s_delay_alu instid0(VALU_DEP_1) | instskip(NEXT) | instid1(VALU_DEP_1)
	v_div_fmas_f64 v[3:4], v[3:4], v[5:6], v[11:12]
	v_div_fixup_f64 v[5:6], v[3:4], v[1:2], 1.0
	s_delay_alu instid0(VALU_DEP_1)
	v_mul_f64 v[7:8], v[7:8], -v[5:6]
	v_xor_b32_e32 v10, 0x80000000, v6
	v_mov_b32_e32 v9, v5
.LBB116_17:
	s_or_b32 exec_lo, exec_lo, s3
	scratch_store_b128 v14, v[5:8], off
	scratch_load_b128 v[1:4], v204, off
	v_xor_b32_e32 v12, 0x80000000, v8
	v_mov_b32_e32 v11, v7
	v_add_nc_u32_e32 v5, 0x350, v13
	ds_store_b128 v13, v[9:12]
	s_waitcnt vmcnt(0)
	ds_store_b128 v13, v[1:4] offset:848
	s_waitcnt lgkmcnt(0)
	s_waitcnt_vscnt null, 0x0
	s_barrier
	buffer_gl0_inv
	s_and_saveexec_b32 s3, s2
	s_cbranch_execz .LBB116_19
; %bb.18:
	scratch_load_b128 v[1:4], v14, off
	ds_load_b128 v[6:9], v5
	v_mov_b32_e32 v10, 0
	ds_load_b128 v[15:18], v10 offset:16
	s_waitcnt vmcnt(0) lgkmcnt(1)
	v_mul_f64 v[10:11], v[6:7], v[3:4]
	v_mul_f64 v[3:4], v[8:9], v[3:4]
	s_delay_alu instid0(VALU_DEP_2) | instskip(NEXT) | instid1(VALU_DEP_2)
	v_fma_f64 v[8:9], v[8:9], v[1:2], v[10:11]
	v_fma_f64 v[1:2], v[6:7], v[1:2], -v[3:4]
	s_delay_alu instid0(VALU_DEP_2) | instskip(NEXT) | instid1(VALU_DEP_2)
	v_add_f64 v[3:4], v[8:9], 0
	v_add_f64 v[1:2], v[1:2], 0
	s_waitcnt lgkmcnt(0)
	s_delay_alu instid0(VALU_DEP_2) | instskip(NEXT) | instid1(VALU_DEP_2)
	v_mul_f64 v[6:7], v[3:4], v[17:18]
	v_mul_f64 v[8:9], v[1:2], v[17:18]
	s_delay_alu instid0(VALU_DEP_2) | instskip(NEXT) | instid1(VALU_DEP_2)
	v_fma_f64 v[1:2], v[1:2], v[15:16], -v[6:7]
	v_fma_f64 v[3:4], v[3:4], v[15:16], v[8:9]
	scratch_store_b128 off, v[1:4], off offset:16
.LBB116_19:
	s_or_b32 exec_lo, exec_lo, s3
	s_waitcnt_vscnt null, 0x0
	s_barrier
	buffer_gl0_inv
	scratch_load_b128 v[1:4], v203, off
	s_mov_b32 s3, exec_lo
	s_waitcnt vmcnt(0)
	ds_store_b128 v5, v[1:4]
	s_waitcnt lgkmcnt(0)
	s_barrier
	buffer_gl0_inv
	v_cmpx_gt_u32_e32 2, v152
	s_cbranch_execz .LBB116_23
; %bb.20:
	scratch_load_b128 v[1:4], v14, off
	ds_load_b128 v[6:9], v5
	s_waitcnt vmcnt(0) lgkmcnt(0)
	v_mul_f64 v[10:11], v[8:9], v[3:4]
	v_mul_f64 v[3:4], v[6:7], v[3:4]
	s_delay_alu instid0(VALU_DEP_2) | instskip(NEXT) | instid1(VALU_DEP_2)
	v_fma_f64 v[6:7], v[6:7], v[1:2], -v[10:11]
	v_fma_f64 v[3:4], v[8:9], v[1:2], v[3:4]
	s_delay_alu instid0(VALU_DEP_2) | instskip(NEXT) | instid1(VALU_DEP_2)
	v_add_f64 v[1:2], v[6:7], 0
	v_add_f64 v[3:4], v[3:4], 0
	s_and_saveexec_b32 s4, s2
	s_cbranch_execz .LBB116_22
; %bb.21:
	scratch_load_b128 v[6:9], off, off offset:16
	v_mov_b32_e32 v10, 0
	ds_load_b128 v[15:18], v10 offset:864
	s_waitcnt vmcnt(0) lgkmcnt(0)
	v_mul_f64 v[10:11], v[15:16], v[8:9]
	v_mul_f64 v[8:9], v[17:18], v[8:9]
	s_delay_alu instid0(VALU_DEP_2) | instskip(NEXT) | instid1(VALU_DEP_2)
	v_fma_f64 v[10:11], v[17:18], v[6:7], v[10:11]
	v_fma_f64 v[6:7], v[15:16], v[6:7], -v[8:9]
	s_delay_alu instid0(VALU_DEP_2) | instskip(NEXT) | instid1(VALU_DEP_2)
	v_add_f64 v[3:4], v[3:4], v[10:11]
	v_add_f64 v[1:2], v[1:2], v[6:7]
.LBB116_22:
	s_or_b32 exec_lo, exec_lo, s4
	v_mov_b32_e32 v6, 0
	ds_load_b128 v[6:9], v6 offset:32
	s_waitcnt lgkmcnt(0)
	v_mul_f64 v[10:11], v[3:4], v[8:9]
	v_mul_f64 v[8:9], v[1:2], v[8:9]
	s_delay_alu instid0(VALU_DEP_2) | instskip(NEXT) | instid1(VALU_DEP_2)
	v_fma_f64 v[1:2], v[1:2], v[6:7], -v[10:11]
	v_fma_f64 v[3:4], v[3:4], v[6:7], v[8:9]
	scratch_store_b128 off, v[1:4], off offset:32
.LBB116_23:
	s_or_b32 exec_lo, exec_lo, s3
	s_waitcnt_vscnt null, 0x0
	s_barrier
	buffer_gl0_inv
	scratch_load_b128 v[1:4], v202, off
	v_add_nc_u32_e32 v6, -1, v152
	s_mov_b32 s2, exec_lo
	s_waitcnt vmcnt(0)
	ds_store_b128 v5, v[1:4]
	s_waitcnt lgkmcnt(0)
	s_barrier
	buffer_gl0_inv
	v_cmpx_gt_u32_e32 3, v152
	s_cbranch_execz .LBB116_27
; %bb.24:
	v_dual_mov_b32 v1, 0 :: v_dual_add_nc_u32 v8, 0x350, v13
	v_dual_mov_b32 v2, 0 :: v_dual_add_nc_u32 v7, -1, v152
	v_or_b32_e32 v9, 8, v14
	s_mov_b32 s3, 0
	s_delay_alu instid0(VALU_DEP_2)
	v_dual_mov_b32 v4, v2 :: v_dual_mov_b32 v3, v1
	.p2align	6
.LBB116_25:                             ; =>This Inner Loop Header: Depth=1
	scratch_load_b128 v[15:18], v9, off offset:-8
	ds_load_b128 v[19:22], v8
	v_add_nc_u32_e32 v7, 1, v7
	v_add_nc_u32_e32 v8, 16, v8
	;; [unrolled: 1-line block ×3, first 2 shown]
	s_delay_alu instid0(VALU_DEP_3) | instskip(SKIP_4) | instid1(VALU_DEP_2)
	v_cmp_lt_u32_e32 vcc_lo, 1, v7
	s_or_b32 s3, vcc_lo, s3
	s_waitcnt vmcnt(0) lgkmcnt(0)
	v_mul_f64 v[10:11], v[21:22], v[17:18]
	v_mul_f64 v[17:18], v[19:20], v[17:18]
	v_fma_f64 v[10:11], v[19:20], v[15:16], -v[10:11]
	s_delay_alu instid0(VALU_DEP_2) | instskip(NEXT) | instid1(VALU_DEP_2)
	v_fma_f64 v[15:16], v[21:22], v[15:16], v[17:18]
	v_add_f64 v[3:4], v[3:4], v[10:11]
	s_delay_alu instid0(VALU_DEP_2)
	v_add_f64 v[1:2], v[1:2], v[15:16]
	s_and_not1_b32 exec_lo, exec_lo, s3
	s_cbranch_execnz .LBB116_25
; %bb.26:
	s_or_b32 exec_lo, exec_lo, s3
	v_mov_b32_e32 v7, 0
	ds_load_b128 v[7:10], v7 offset:48
	s_waitcnt lgkmcnt(0)
	v_mul_f64 v[11:12], v[1:2], v[9:10]
	v_mul_f64 v[15:16], v[3:4], v[9:10]
	s_delay_alu instid0(VALU_DEP_2) | instskip(NEXT) | instid1(VALU_DEP_2)
	v_fma_f64 v[9:10], v[3:4], v[7:8], -v[11:12]
	v_fma_f64 v[11:12], v[1:2], v[7:8], v[15:16]
	scratch_store_b128 off, v[9:12], off offset:48
.LBB116_27:
	s_or_b32 exec_lo, exec_lo, s2
	s_waitcnt_vscnt null, 0x0
	s_barrier
	buffer_gl0_inv
	scratch_load_b128 v[1:4], v201, off
	s_mov_b32 s2, exec_lo
	s_waitcnt vmcnt(0)
	ds_store_b128 v5, v[1:4]
	s_waitcnt lgkmcnt(0)
	s_barrier
	buffer_gl0_inv
	v_cmpx_gt_u32_e32 4, v152
	s_cbranch_execz .LBB116_31
; %bb.28:
	v_dual_mov_b32 v1, 0 :: v_dual_add_nc_u32 v8, 0x350, v13
	v_dual_mov_b32 v2, 0 :: v_dual_add_nc_u32 v7, -1, v152
	v_or_b32_e32 v9, 8, v14
	s_mov_b32 s3, 0
	s_delay_alu instid0(VALU_DEP_2)
	v_dual_mov_b32 v4, v2 :: v_dual_mov_b32 v3, v1
	.p2align	6
.LBB116_29:                             ; =>This Inner Loop Header: Depth=1
	scratch_load_b128 v[15:18], v9, off offset:-8
	ds_load_b128 v[19:22], v8
	v_add_nc_u32_e32 v7, 1, v7
	v_add_nc_u32_e32 v8, 16, v8
	v_add_nc_u32_e32 v9, 16, v9
	s_delay_alu instid0(VALU_DEP_3) | instskip(SKIP_4) | instid1(VALU_DEP_2)
	v_cmp_lt_u32_e32 vcc_lo, 2, v7
	s_or_b32 s3, vcc_lo, s3
	s_waitcnt vmcnt(0) lgkmcnt(0)
	v_mul_f64 v[10:11], v[21:22], v[17:18]
	v_mul_f64 v[17:18], v[19:20], v[17:18]
	v_fma_f64 v[10:11], v[19:20], v[15:16], -v[10:11]
	s_delay_alu instid0(VALU_DEP_2) | instskip(NEXT) | instid1(VALU_DEP_2)
	v_fma_f64 v[15:16], v[21:22], v[15:16], v[17:18]
	v_add_f64 v[3:4], v[3:4], v[10:11]
	s_delay_alu instid0(VALU_DEP_2)
	v_add_f64 v[1:2], v[1:2], v[15:16]
	s_and_not1_b32 exec_lo, exec_lo, s3
	s_cbranch_execnz .LBB116_29
; %bb.30:
	s_or_b32 exec_lo, exec_lo, s3
	v_mov_b32_e32 v7, 0
	ds_load_b128 v[7:10], v7 offset:64
	s_waitcnt lgkmcnt(0)
	v_mul_f64 v[11:12], v[1:2], v[9:10]
	v_mul_f64 v[15:16], v[3:4], v[9:10]
	s_delay_alu instid0(VALU_DEP_2) | instskip(NEXT) | instid1(VALU_DEP_2)
	v_fma_f64 v[9:10], v[3:4], v[7:8], -v[11:12]
	v_fma_f64 v[11:12], v[1:2], v[7:8], v[15:16]
	scratch_store_b128 off, v[9:12], off offset:64
.LBB116_31:
	s_or_b32 exec_lo, exec_lo, s2
	s_waitcnt_vscnt null, 0x0
	s_barrier
	buffer_gl0_inv
	scratch_load_b128 v[1:4], v155, off
	s_mov_b32 s2, exec_lo
	s_waitcnt vmcnt(0)
	ds_store_b128 v5, v[1:4]
	s_waitcnt lgkmcnt(0)
	s_barrier
	buffer_gl0_inv
	v_cmpx_gt_u32_e32 5, v152
	s_cbranch_execz .LBB116_35
; %bb.32:
	v_dual_mov_b32 v1, 0 :: v_dual_add_nc_u32 v8, 0x350, v13
	v_dual_mov_b32 v2, 0 :: v_dual_add_nc_u32 v7, -1, v152
	v_or_b32_e32 v9, 8, v14
	s_mov_b32 s3, 0
	s_delay_alu instid0(VALU_DEP_2)
	v_dual_mov_b32 v4, v2 :: v_dual_mov_b32 v3, v1
	.p2align	6
.LBB116_33:                             ; =>This Inner Loop Header: Depth=1
	scratch_load_b128 v[15:18], v9, off offset:-8
	ds_load_b128 v[19:22], v8
	v_add_nc_u32_e32 v7, 1, v7
	v_add_nc_u32_e32 v8, 16, v8
	v_add_nc_u32_e32 v9, 16, v9
	s_delay_alu instid0(VALU_DEP_3) | instskip(SKIP_4) | instid1(VALU_DEP_2)
	v_cmp_lt_u32_e32 vcc_lo, 3, v7
	s_or_b32 s3, vcc_lo, s3
	s_waitcnt vmcnt(0) lgkmcnt(0)
	v_mul_f64 v[10:11], v[21:22], v[17:18]
	v_mul_f64 v[17:18], v[19:20], v[17:18]
	v_fma_f64 v[10:11], v[19:20], v[15:16], -v[10:11]
	s_delay_alu instid0(VALU_DEP_2) | instskip(NEXT) | instid1(VALU_DEP_2)
	v_fma_f64 v[15:16], v[21:22], v[15:16], v[17:18]
	v_add_f64 v[3:4], v[3:4], v[10:11]
	s_delay_alu instid0(VALU_DEP_2)
	v_add_f64 v[1:2], v[1:2], v[15:16]
	s_and_not1_b32 exec_lo, exec_lo, s3
	s_cbranch_execnz .LBB116_33
; %bb.34:
	s_or_b32 exec_lo, exec_lo, s3
	v_mov_b32_e32 v7, 0
	ds_load_b128 v[7:10], v7 offset:80
	s_waitcnt lgkmcnt(0)
	v_mul_f64 v[11:12], v[1:2], v[9:10]
	v_mul_f64 v[15:16], v[3:4], v[9:10]
	s_delay_alu instid0(VALU_DEP_2) | instskip(NEXT) | instid1(VALU_DEP_2)
	v_fma_f64 v[9:10], v[3:4], v[7:8], -v[11:12]
	v_fma_f64 v[11:12], v[1:2], v[7:8], v[15:16]
	scratch_store_b128 off, v[9:12], off offset:80
.LBB116_35:
	s_or_b32 exec_lo, exec_lo, s2
	s_waitcnt_vscnt null, 0x0
	s_barrier
	buffer_gl0_inv
	scratch_load_b128 v[1:4], v255, off
	s_mov_b32 s2, exec_lo
	s_waitcnt vmcnt(0)
	ds_store_b128 v5, v[1:4]
	s_waitcnt lgkmcnt(0)
	s_barrier
	buffer_gl0_inv
	v_cmpx_gt_u32_e32 6, v152
	s_cbranch_execz .LBB116_39
; %bb.36:
	v_dual_mov_b32 v1, 0 :: v_dual_add_nc_u32 v8, 0x350, v13
	v_dual_mov_b32 v2, 0 :: v_dual_add_nc_u32 v7, -1, v152
	v_or_b32_e32 v9, 8, v14
	s_mov_b32 s3, 0
	s_delay_alu instid0(VALU_DEP_2)
	v_dual_mov_b32 v4, v2 :: v_dual_mov_b32 v3, v1
	.p2align	6
.LBB116_37:                             ; =>This Inner Loop Header: Depth=1
	scratch_load_b128 v[15:18], v9, off offset:-8
	ds_load_b128 v[19:22], v8
	v_add_nc_u32_e32 v7, 1, v7
	v_add_nc_u32_e32 v8, 16, v8
	;; [unrolled: 1-line block ×3, first 2 shown]
	s_delay_alu instid0(VALU_DEP_3) | instskip(SKIP_4) | instid1(VALU_DEP_2)
	v_cmp_lt_u32_e32 vcc_lo, 4, v7
	s_or_b32 s3, vcc_lo, s3
	s_waitcnt vmcnt(0) lgkmcnt(0)
	v_mul_f64 v[10:11], v[21:22], v[17:18]
	v_mul_f64 v[17:18], v[19:20], v[17:18]
	v_fma_f64 v[10:11], v[19:20], v[15:16], -v[10:11]
	s_delay_alu instid0(VALU_DEP_2) | instskip(NEXT) | instid1(VALU_DEP_2)
	v_fma_f64 v[15:16], v[21:22], v[15:16], v[17:18]
	v_add_f64 v[3:4], v[3:4], v[10:11]
	s_delay_alu instid0(VALU_DEP_2)
	v_add_f64 v[1:2], v[1:2], v[15:16]
	s_and_not1_b32 exec_lo, exec_lo, s3
	s_cbranch_execnz .LBB116_37
; %bb.38:
	s_or_b32 exec_lo, exec_lo, s3
	v_mov_b32_e32 v7, 0
	ds_load_b128 v[7:10], v7 offset:96
	s_waitcnt lgkmcnt(0)
	v_mul_f64 v[11:12], v[1:2], v[9:10]
	v_mul_f64 v[15:16], v[3:4], v[9:10]
	s_delay_alu instid0(VALU_DEP_2) | instskip(NEXT) | instid1(VALU_DEP_2)
	v_fma_f64 v[9:10], v[3:4], v[7:8], -v[11:12]
	v_fma_f64 v[11:12], v[1:2], v[7:8], v[15:16]
	scratch_store_b128 off, v[9:12], off offset:96
.LBB116_39:
	s_or_b32 exec_lo, exec_lo, s2
	s_waitcnt_vscnt null, 0x0
	s_barrier
	buffer_gl0_inv
	scratch_load_b128 v[1:4], v254, off
	s_mov_b32 s2, exec_lo
	s_waitcnt vmcnt(0)
	ds_store_b128 v5, v[1:4]
	s_waitcnt lgkmcnt(0)
	s_barrier
	buffer_gl0_inv
	v_cmpx_gt_u32_e32 7, v152
	s_cbranch_execz .LBB116_43
; %bb.40:
	v_dual_mov_b32 v1, 0 :: v_dual_add_nc_u32 v8, 0x350, v13
	v_dual_mov_b32 v2, 0 :: v_dual_add_nc_u32 v7, -1, v152
	v_or_b32_e32 v9, 8, v14
	s_mov_b32 s3, 0
	s_delay_alu instid0(VALU_DEP_2)
	v_dual_mov_b32 v4, v2 :: v_dual_mov_b32 v3, v1
	.p2align	6
.LBB116_41:                             ; =>This Inner Loop Header: Depth=1
	scratch_load_b128 v[15:18], v9, off offset:-8
	ds_load_b128 v[19:22], v8
	v_add_nc_u32_e32 v7, 1, v7
	v_add_nc_u32_e32 v8, 16, v8
	;; [unrolled: 1-line block ×3, first 2 shown]
	s_delay_alu instid0(VALU_DEP_3) | instskip(SKIP_4) | instid1(VALU_DEP_2)
	v_cmp_lt_u32_e32 vcc_lo, 5, v7
	s_or_b32 s3, vcc_lo, s3
	s_waitcnt vmcnt(0) lgkmcnt(0)
	v_mul_f64 v[10:11], v[21:22], v[17:18]
	v_mul_f64 v[17:18], v[19:20], v[17:18]
	v_fma_f64 v[10:11], v[19:20], v[15:16], -v[10:11]
	s_delay_alu instid0(VALU_DEP_2) | instskip(NEXT) | instid1(VALU_DEP_2)
	v_fma_f64 v[15:16], v[21:22], v[15:16], v[17:18]
	v_add_f64 v[3:4], v[3:4], v[10:11]
	s_delay_alu instid0(VALU_DEP_2)
	v_add_f64 v[1:2], v[1:2], v[15:16]
	s_and_not1_b32 exec_lo, exec_lo, s3
	s_cbranch_execnz .LBB116_41
; %bb.42:
	s_or_b32 exec_lo, exec_lo, s3
	v_mov_b32_e32 v7, 0
	ds_load_b128 v[7:10], v7 offset:112
	s_waitcnt lgkmcnt(0)
	v_mul_f64 v[11:12], v[1:2], v[9:10]
	v_mul_f64 v[15:16], v[3:4], v[9:10]
	s_delay_alu instid0(VALU_DEP_2) | instskip(NEXT) | instid1(VALU_DEP_2)
	v_fma_f64 v[9:10], v[3:4], v[7:8], -v[11:12]
	v_fma_f64 v[11:12], v[1:2], v[7:8], v[15:16]
	scratch_store_b128 off, v[9:12], off offset:112
.LBB116_43:
	s_or_b32 exec_lo, exec_lo, s2
	s_waitcnt_vscnt null, 0x0
	s_barrier
	buffer_gl0_inv
	scratch_load_b128 v[1:4], v253, off
	s_mov_b32 s2, exec_lo
	s_waitcnt vmcnt(0)
	ds_store_b128 v5, v[1:4]
	s_waitcnt lgkmcnt(0)
	s_barrier
	buffer_gl0_inv
	v_cmpx_gt_u32_e32 8, v152
	s_cbranch_execz .LBB116_47
; %bb.44:
	v_dual_mov_b32 v1, 0 :: v_dual_add_nc_u32 v8, 0x350, v13
	v_dual_mov_b32 v2, 0 :: v_dual_add_nc_u32 v7, -1, v152
	v_or_b32_e32 v9, 8, v14
	s_mov_b32 s3, 0
	s_delay_alu instid0(VALU_DEP_2)
	v_dual_mov_b32 v4, v2 :: v_dual_mov_b32 v3, v1
	.p2align	6
.LBB116_45:                             ; =>This Inner Loop Header: Depth=1
	scratch_load_b128 v[15:18], v9, off offset:-8
	ds_load_b128 v[19:22], v8
	v_add_nc_u32_e32 v7, 1, v7
	v_add_nc_u32_e32 v8, 16, v8
	;; [unrolled: 1-line block ×3, first 2 shown]
	s_delay_alu instid0(VALU_DEP_3) | instskip(SKIP_4) | instid1(VALU_DEP_2)
	v_cmp_lt_u32_e32 vcc_lo, 6, v7
	s_or_b32 s3, vcc_lo, s3
	s_waitcnt vmcnt(0) lgkmcnt(0)
	v_mul_f64 v[10:11], v[21:22], v[17:18]
	v_mul_f64 v[17:18], v[19:20], v[17:18]
	v_fma_f64 v[10:11], v[19:20], v[15:16], -v[10:11]
	s_delay_alu instid0(VALU_DEP_2) | instskip(NEXT) | instid1(VALU_DEP_2)
	v_fma_f64 v[15:16], v[21:22], v[15:16], v[17:18]
	v_add_f64 v[3:4], v[3:4], v[10:11]
	s_delay_alu instid0(VALU_DEP_2)
	v_add_f64 v[1:2], v[1:2], v[15:16]
	s_and_not1_b32 exec_lo, exec_lo, s3
	s_cbranch_execnz .LBB116_45
; %bb.46:
	s_or_b32 exec_lo, exec_lo, s3
	v_mov_b32_e32 v7, 0
	ds_load_b128 v[7:10], v7 offset:128
	s_waitcnt lgkmcnt(0)
	v_mul_f64 v[11:12], v[1:2], v[9:10]
	v_mul_f64 v[15:16], v[3:4], v[9:10]
	s_delay_alu instid0(VALU_DEP_2) | instskip(NEXT) | instid1(VALU_DEP_2)
	v_fma_f64 v[9:10], v[3:4], v[7:8], -v[11:12]
	v_fma_f64 v[11:12], v[1:2], v[7:8], v[15:16]
	scratch_store_b128 off, v[9:12], off offset:128
.LBB116_47:
	s_or_b32 exec_lo, exec_lo, s2
	s_waitcnt_vscnt null, 0x0
	s_barrier
	buffer_gl0_inv
	scratch_load_b128 v[1:4], v196, off
	s_mov_b32 s2, exec_lo
	s_waitcnt vmcnt(0)
	ds_store_b128 v5, v[1:4]
	s_waitcnt lgkmcnt(0)
	s_barrier
	buffer_gl0_inv
	v_cmpx_gt_u32_e32 9, v152
	s_cbranch_execz .LBB116_51
; %bb.48:
	v_dual_mov_b32 v1, 0 :: v_dual_add_nc_u32 v8, 0x350, v13
	v_dual_mov_b32 v2, 0 :: v_dual_add_nc_u32 v7, -1, v152
	v_or_b32_e32 v9, 8, v14
	s_mov_b32 s3, 0
	s_delay_alu instid0(VALU_DEP_2)
	v_dual_mov_b32 v4, v2 :: v_dual_mov_b32 v3, v1
	.p2align	6
.LBB116_49:                             ; =>This Inner Loop Header: Depth=1
	scratch_load_b128 v[15:18], v9, off offset:-8
	ds_load_b128 v[19:22], v8
	v_add_nc_u32_e32 v7, 1, v7
	v_add_nc_u32_e32 v8, 16, v8
	;; [unrolled: 1-line block ×3, first 2 shown]
	s_delay_alu instid0(VALU_DEP_3) | instskip(SKIP_4) | instid1(VALU_DEP_2)
	v_cmp_lt_u32_e32 vcc_lo, 7, v7
	s_or_b32 s3, vcc_lo, s3
	s_waitcnt vmcnt(0) lgkmcnt(0)
	v_mul_f64 v[10:11], v[21:22], v[17:18]
	v_mul_f64 v[17:18], v[19:20], v[17:18]
	v_fma_f64 v[10:11], v[19:20], v[15:16], -v[10:11]
	s_delay_alu instid0(VALU_DEP_2) | instskip(NEXT) | instid1(VALU_DEP_2)
	v_fma_f64 v[15:16], v[21:22], v[15:16], v[17:18]
	v_add_f64 v[3:4], v[3:4], v[10:11]
	s_delay_alu instid0(VALU_DEP_2)
	v_add_f64 v[1:2], v[1:2], v[15:16]
	s_and_not1_b32 exec_lo, exec_lo, s3
	s_cbranch_execnz .LBB116_49
; %bb.50:
	s_or_b32 exec_lo, exec_lo, s3
	v_mov_b32_e32 v7, 0
	ds_load_b128 v[7:10], v7 offset:144
	s_waitcnt lgkmcnt(0)
	v_mul_f64 v[11:12], v[1:2], v[9:10]
	v_mul_f64 v[15:16], v[3:4], v[9:10]
	s_delay_alu instid0(VALU_DEP_2) | instskip(NEXT) | instid1(VALU_DEP_2)
	v_fma_f64 v[9:10], v[3:4], v[7:8], -v[11:12]
	v_fma_f64 v[11:12], v[1:2], v[7:8], v[15:16]
	scratch_store_b128 off, v[9:12], off offset:144
.LBB116_51:
	s_or_b32 exec_lo, exec_lo, s2
	s_waitcnt_vscnt null, 0x0
	s_barrier
	buffer_gl0_inv
	scratch_load_b128 v[1:4], v195, off
	s_mov_b32 s2, exec_lo
	s_waitcnt vmcnt(0)
	ds_store_b128 v5, v[1:4]
	s_waitcnt lgkmcnt(0)
	s_barrier
	buffer_gl0_inv
	v_cmpx_gt_u32_e32 10, v152
	s_cbranch_execz .LBB116_55
; %bb.52:
	v_dual_mov_b32 v1, 0 :: v_dual_add_nc_u32 v8, 0x350, v13
	v_dual_mov_b32 v2, 0 :: v_dual_add_nc_u32 v7, -1, v152
	v_or_b32_e32 v9, 8, v14
	s_mov_b32 s3, 0
	s_delay_alu instid0(VALU_DEP_2)
	v_dual_mov_b32 v4, v2 :: v_dual_mov_b32 v3, v1
	.p2align	6
.LBB116_53:                             ; =>This Inner Loop Header: Depth=1
	scratch_load_b128 v[15:18], v9, off offset:-8
	ds_load_b128 v[19:22], v8
	v_add_nc_u32_e32 v7, 1, v7
	v_add_nc_u32_e32 v8, 16, v8
	;; [unrolled: 1-line block ×3, first 2 shown]
	s_delay_alu instid0(VALU_DEP_3) | instskip(SKIP_4) | instid1(VALU_DEP_2)
	v_cmp_lt_u32_e32 vcc_lo, 8, v7
	s_or_b32 s3, vcc_lo, s3
	s_waitcnt vmcnt(0) lgkmcnt(0)
	v_mul_f64 v[10:11], v[21:22], v[17:18]
	v_mul_f64 v[17:18], v[19:20], v[17:18]
	v_fma_f64 v[10:11], v[19:20], v[15:16], -v[10:11]
	s_delay_alu instid0(VALU_DEP_2) | instskip(NEXT) | instid1(VALU_DEP_2)
	v_fma_f64 v[15:16], v[21:22], v[15:16], v[17:18]
	v_add_f64 v[3:4], v[3:4], v[10:11]
	s_delay_alu instid0(VALU_DEP_2)
	v_add_f64 v[1:2], v[1:2], v[15:16]
	s_and_not1_b32 exec_lo, exec_lo, s3
	s_cbranch_execnz .LBB116_53
; %bb.54:
	s_or_b32 exec_lo, exec_lo, s3
	v_mov_b32_e32 v7, 0
	ds_load_b128 v[7:10], v7 offset:160
	s_waitcnt lgkmcnt(0)
	v_mul_f64 v[11:12], v[1:2], v[9:10]
	v_mul_f64 v[15:16], v[3:4], v[9:10]
	s_delay_alu instid0(VALU_DEP_2) | instskip(NEXT) | instid1(VALU_DEP_2)
	v_fma_f64 v[9:10], v[3:4], v[7:8], -v[11:12]
	v_fma_f64 v[11:12], v[1:2], v[7:8], v[15:16]
	scratch_store_b128 off, v[9:12], off offset:160
.LBB116_55:
	s_or_b32 exec_lo, exec_lo, s2
	s_waitcnt_vscnt null, 0x0
	s_barrier
	buffer_gl0_inv
	scratch_load_b128 v[1:4], v194, off
	s_mov_b32 s2, exec_lo
	s_waitcnt vmcnt(0)
	ds_store_b128 v5, v[1:4]
	s_waitcnt lgkmcnt(0)
	s_barrier
	buffer_gl0_inv
	v_cmpx_gt_u32_e32 11, v152
	s_cbranch_execz .LBB116_59
; %bb.56:
	v_dual_mov_b32 v1, 0 :: v_dual_add_nc_u32 v8, 0x350, v13
	v_dual_mov_b32 v2, 0 :: v_dual_add_nc_u32 v7, -1, v152
	v_or_b32_e32 v9, 8, v14
	s_mov_b32 s3, 0
	s_delay_alu instid0(VALU_DEP_2)
	v_dual_mov_b32 v4, v2 :: v_dual_mov_b32 v3, v1
	.p2align	6
.LBB116_57:                             ; =>This Inner Loop Header: Depth=1
	scratch_load_b128 v[15:18], v9, off offset:-8
	ds_load_b128 v[19:22], v8
	v_add_nc_u32_e32 v7, 1, v7
	v_add_nc_u32_e32 v8, 16, v8
	v_add_nc_u32_e32 v9, 16, v9
	s_delay_alu instid0(VALU_DEP_3) | instskip(SKIP_4) | instid1(VALU_DEP_2)
	v_cmp_lt_u32_e32 vcc_lo, 9, v7
	s_or_b32 s3, vcc_lo, s3
	s_waitcnt vmcnt(0) lgkmcnt(0)
	v_mul_f64 v[10:11], v[21:22], v[17:18]
	v_mul_f64 v[17:18], v[19:20], v[17:18]
	v_fma_f64 v[10:11], v[19:20], v[15:16], -v[10:11]
	s_delay_alu instid0(VALU_DEP_2) | instskip(NEXT) | instid1(VALU_DEP_2)
	v_fma_f64 v[15:16], v[21:22], v[15:16], v[17:18]
	v_add_f64 v[3:4], v[3:4], v[10:11]
	s_delay_alu instid0(VALU_DEP_2)
	v_add_f64 v[1:2], v[1:2], v[15:16]
	s_and_not1_b32 exec_lo, exec_lo, s3
	s_cbranch_execnz .LBB116_57
; %bb.58:
	s_or_b32 exec_lo, exec_lo, s3
	v_mov_b32_e32 v7, 0
	ds_load_b128 v[7:10], v7 offset:176
	s_waitcnt lgkmcnt(0)
	v_mul_f64 v[11:12], v[1:2], v[9:10]
	v_mul_f64 v[15:16], v[3:4], v[9:10]
	s_delay_alu instid0(VALU_DEP_2) | instskip(NEXT) | instid1(VALU_DEP_2)
	v_fma_f64 v[9:10], v[3:4], v[7:8], -v[11:12]
	v_fma_f64 v[11:12], v[1:2], v[7:8], v[15:16]
	scratch_store_b128 off, v[9:12], off offset:176
.LBB116_59:
	s_or_b32 exec_lo, exec_lo, s2
	s_waitcnt_vscnt null, 0x0
	s_barrier
	buffer_gl0_inv
	scratch_load_b128 v[1:4], v193, off
	s_mov_b32 s2, exec_lo
	s_waitcnt vmcnt(0)
	ds_store_b128 v5, v[1:4]
	s_waitcnt lgkmcnt(0)
	s_barrier
	buffer_gl0_inv
	v_cmpx_gt_u32_e32 12, v152
	s_cbranch_execz .LBB116_63
; %bb.60:
	v_dual_mov_b32 v1, 0 :: v_dual_add_nc_u32 v8, 0x350, v13
	v_dual_mov_b32 v2, 0 :: v_dual_add_nc_u32 v7, -1, v152
	v_or_b32_e32 v9, 8, v14
	s_mov_b32 s3, 0
	s_delay_alu instid0(VALU_DEP_2)
	v_dual_mov_b32 v4, v2 :: v_dual_mov_b32 v3, v1
	.p2align	6
.LBB116_61:                             ; =>This Inner Loop Header: Depth=1
	scratch_load_b128 v[15:18], v9, off offset:-8
	ds_load_b128 v[19:22], v8
	v_add_nc_u32_e32 v7, 1, v7
	v_add_nc_u32_e32 v8, 16, v8
	;; [unrolled: 1-line block ×3, first 2 shown]
	s_delay_alu instid0(VALU_DEP_3) | instskip(SKIP_4) | instid1(VALU_DEP_2)
	v_cmp_lt_u32_e32 vcc_lo, 10, v7
	s_or_b32 s3, vcc_lo, s3
	s_waitcnt vmcnt(0) lgkmcnt(0)
	v_mul_f64 v[10:11], v[21:22], v[17:18]
	v_mul_f64 v[17:18], v[19:20], v[17:18]
	v_fma_f64 v[10:11], v[19:20], v[15:16], -v[10:11]
	s_delay_alu instid0(VALU_DEP_2) | instskip(NEXT) | instid1(VALU_DEP_2)
	v_fma_f64 v[15:16], v[21:22], v[15:16], v[17:18]
	v_add_f64 v[3:4], v[3:4], v[10:11]
	s_delay_alu instid0(VALU_DEP_2)
	v_add_f64 v[1:2], v[1:2], v[15:16]
	s_and_not1_b32 exec_lo, exec_lo, s3
	s_cbranch_execnz .LBB116_61
; %bb.62:
	s_or_b32 exec_lo, exec_lo, s3
	v_mov_b32_e32 v7, 0
	ds_load_b128 v[7:10], v7 offset:192
	s_waitcnt lgkmcnt(0)
	v_mul_f64 v[11:12], v[1:2], v[9:10]
	v_mul_f64 v[15:16], v[3:4], v[9:10]
	s_delay_alu instid0(VALU_DEP_2) | instskip(NEXT) | instid1(VALU_DEP_2)
	v_fma_f64 v[9:10], v[3:4], v[7:8], -v[11:12]
	v_fma_f64 v[11:12], v[1:2], v[7:8], v[15:16]
	scratch_store_b128 off, v[9:12], off offset:192
.LBB116_63:
	s_or_b32 exec_lo, exec_lo, s2
	s_waitcnt_vscnt null, 0x0
	s_barrier
	buffer_gl0_inv
	scratch_load_b128 v[1:4], v192, off
	s_mov_b32 s2, exec_lo
	s_waitcnt vmcnt(0)
	ds_store_b128 v5, v[1:4]
	s_waitcnt lgkmcnt(0)
	s_barrier
	buffer_gl0_inv
	v_cmpx_gt_u32_e32 13, v152
	s_cbranch_execz .LBB116_67
; %bb.64:
	v_dual_mov_b32 v1, 0 :: v_dual_add_nc_u32 v8, 0x350, v13
	v_dual_mov_b32 v2, 0 :: v_dual_add_nc_u32 v7, -1, v152
	v_or_b32_e32 v9, 8, v14
	s_mov_b32 s3, 0
	s_delay_alu instid0(VALU_DEP_2)
	v_dual_mov_b32 v4, v2 :: v_dual_mov_b32 v3, v1
	.p2align	6
.LBB116_65:                             ; =>This Inner Loop Header: Depth=1
	scratch_load_b128 v[15:18], v9, off offset:-8
	ds_load_b128 v[19:22], v8
	v_add_nc_u32_e32 v7, 1, v7
	v_add_nc_u32_e32 v8, 16, v8
	;; [unrolled: 1-line block ×3, first 2 shown]
	s_delay_alu instid0(VALU_DEP_3) | instskip(SKIP_4) | instid1(VALU_DEP_2)
	v_cmp_lt_u32_e32 vcc_lo, 11, v7
	s_or_b32 s3, vcc_lo, s3
	s_waitcnt vmcnt(0) lgkmcnt(0)
	v_mul_f64 v[10:11], v[21:22], v[17:18]
	v_mul_f64 v[17:18], v[19:20], v[17:18]
	v_fma_f64 v[10:11], v[19:20], v[15:16], -v[10:11]
	s_delay_alu instid0(VALU_DEP_2) | instskip(NEXT) | instid1(VALU_DEP_2)
	v_fma_f64 v[15:16], v[21:22], v[15:16], v[17:18]
	v_add_f64 v[3:4], v[3:4], v[10:11]
	s_delay_alu instid0(VALU_DEP_2)
	v_add_f64 v[1:2], v[1:2], v[15:16]
	s_and_not1_b32 exec_lo, exec_lo, s3
	s_cbranch_execnz .LBB116_65
; %bb.66:
	s_or_b32 exec_lo, exec_lo, s3
	v_mov_b32_e32 v7, 0
	ds_load_b128 v[7:10], v7 offset:208
	s_waitcnt lgkmcnt(0)
	v_mul_f64 v[11:12], v[1:2], v[9:10]
	v_mul_f64 v[15:16], v[3:4], v[9:10]
	s_delay_alu instid0(VALU_DEP_2) | instskip(NEXT) | instid1(VALU_DEP_2)
	v_fma_f64 v[9:10], v[3:4], v[7:8], -v[11:12]
	v_fma_f64 v[11:12], v[1:2], v[7:8], v[15:16]
	scratch_store_b128 off, v[9:12], off offset:208
.LBB116_67:
	s_or_b32 exec_lo, exec_lo, s2
	s_waitcnt_vscnt null, 0x0
	s_barrier
	buffer_gl0_inv
	scratch_load_b128 v[1:4], v191, off
	s_mov_b32 s2, exec_lo
	s_waitcnt vmcnt(0)
	ds_store_b128 v5, v[1:4]
	s_waitcnt lgkmcnt(0)
	s_barrier
	buffer_gl0_inv
	v_cmpx_gt_u32_e32 14, v152
	s_cbranch_execz .LBB116_71
; %bb.68:
	v_dual_mov_b32 v1, 0 :: v_dual_add_nc_u32 v8, 0x350, v13
	v_dual_mov_b32 v2, 0 :: v_dual_add_nc_u32 v7, -1, v152
	v_or_b32_e32 v9, 8, v14
	s_mov_b32 s3, 0
	s_delay_alu instid0(VALU_DEP_2)
	v_dual_mov_b32 v4, v2 :: v_dual_mov_b32 v3, v1
	.p2align	6
.LBB116_69:                             ; =>This Inner Loop Header: Depth=1
	scratch_load_b128 v[15:18], v9, off offset:-8
	ds_load_b128 v[19:22], v8
	v_add_nc_u32_e32 v7, 1, v7
	v_add_nc_u32_e32 v8, 16, v8
	;; [unrolled: 1-line block ×3, first 2 shown]
	s_delay_alu instid0(VALU_DEP_3) | instskip(SKIP_4) | instid1(VALU_DEP_2)
	v_cmp_lt_u32_e32 vcc_lo, 12, v7
	s_or_b32 s3, vcc_lo, s3
	s_waitcnt vmcnt(0) lgkmcnt(0)
	v_mul_f64 v[10:11], v[21:22], v[17:18]
	v_mul_f64 v[17:18], v[19:20], v[17:18]
	v_fma_f64 v[10:11], v[19:20], v[15:16], -v[10:11]
	s_delay_alu instid0(VALU_DEP_2) | instskip(NEXT) | instid1(VALU_DEP_2)
	v_fma_f64 v[15:16], v[21:22], v[15:16], v[17:18]
	v_add_f64 v[3:4], v[3:4], v[10:11]
	s_delay_alu instid0(VALU_DEP_2)
	v_add_f64 v[1:2], v[1:2], v[15:16]
	s_and_not1_b32 exec_lo, exec_lo, s3
	s_cbranch_execnz .LBB116_69
; %bb.70:
	s_or_b32 exec_lo, exec_lo, s3
	v_mov_b32_e32 v7, 0
	ds_load_b128 v[7:10], v7 offset:224
	s_waitcnt lgkmcnt(0)
	v_mul_f64 v[11:12], v[1:2], v[9:10]
	v_mul_f64 v[15:16], v[3:4], v[9:10]
	s_delay_alu instid0(VALU_DEP_2) | instskip(NEXT) | instid1(VALU_DEP_2)
	v_fma_f64 v[9:10], v[3:4], v[7:8], -v[11:12]
	v_fma_f64 v[11:12], v[1:2], v[7:8], v[15:16]
	scratch_store_b128 off, v[9:12], off offset:224
.LBB116_71:
	s_or_b32 exec_lo, exec_lo, s2
	s_waitcnt_vscnt null, 0x0
	s_barrier
	buffer_gl0_inv
	scratch_load_b128 v[1:4], v190, off
	s_mov_b32 s2, exec_lo
	s_waitcnt vmcnt(0)
	ds_store_b128 v5, v[1:4]
	s_waitcnt lgkmcnt(0)
	s_barrier
	buffer_gl0_inv
	v_cmpx_gt_u32_e32 15, v152
	s_cbranch_execz .LBB116_75
; %bb.72:
	v_dual_mov_b32 v1, 0 :: v_dual_add_nc_u32 v8, 0x350, v13
	v_dual_mov_b32 v2, 0 :: v_dual_add_nc_u32 v7, -1, v152
	v_or_b32_e32 v9, 8, v14
	s_mov_b32 s3, 0
	s_delay_alu instid0(VALU_DEP_2)
	v_dual_mov_b32 v4, v2 :: v_dual_mov_b32 v3, v1
	.p2align	6
.LBB116_73:                             ; =>This Inner Loop Header: Depth=1
	scratch_load_b128 v[15:18], v9, off offset:-8
	ds_load_b128 v[19:22], v8
	v_add_nc_u32_e32 v7, 1, v7
	v_add_nc_u32_e32 v8, 16, v8
	;; [unrolled: 1-line block ×3, first 2 shown]
	s_delay_alu instid0(VALU_DEP_3) | instskip(SKIP_4) | instid1(VALU_DEP_2)
	v_cmp_lt_u32_e32 vcc_lo, 13, v7
	s_or_b32 s3, vcc_lo, s3
	s_waitcnt vmcnt(0) lgkmcnt(0)
	v_mul_f64 v[10:11], v[21:22], v[17:18]
	v_mul_f64 v[17:18], v[19:20], v[17:18]
	v_fma_f64 v[10:11], v[19:20], v[15:16], -v[10:11]
	s_delay_alu instid0(VALU_DEP_2) | instskip(NEXT) | instid1(VALU_DEP_2)
	v_fma_f64 v[15:16], v[21:22], v[15:16], v[17:18]
	v_add_f64 v[3:4], v[3:4], v[10:11]
	s_delay_alu instid0(VALU_DEP_2)
	v_add_f64 v[1:2], v[1:2], v[15:16]
	s_and_not1_b32 exec_lo, exec_lo, s3
	s_cbranch_execnz .LBB116_73
; %bb.74:
	s_or_b32 exec_lo, exec_lo, s3
	v_mov_b32_e32 v7, 0
	ds_load_b128 v[7:10], v7 offset:240
	s_waitcnt lgkmcnt(0)
	v_mul_f64 v[11:12], v[1:2], v[9:10]
	v_mul_f64 v[15:16], v[3:4], v[9:10]
	s_delay_alu instid0(VALU_DEP_2) | instskip(NEXT) | instid1(VALU_DEP_2)
	v_fma_f64 v[9:10], v[3:4], v[7:8], -v[11:12]
	v_fma_f64 v[11:12], v[1:2], v[7:8], v[15:16]
	scratch_store_b128 off, v[9:12], off offset:240
.LBB116_75:
	s_or_b32 exec_lo, exec_lo, s2
	s_waitcnt_vscnt null, 0x0
	s_barrier
	buffer_gl0_inv
	scratch_load_b128 v[1:4], v189, off
	s_mov_b32 s2, exec_lo
	s_waitcnt vmcnt(0)
	ds_store_b128 v5, v[1:4]
	s_waitcnt lgkmcnt(0)
	s_barrier
	buffer_gl0_inv
	v_cmpx_gt_u32_e32 16, v152
	s_cbranch_execz .LBB116_79
; %bb.76:
	v_dual_mov_b32 v1, 0 :: v_dual_add_nc_u32 v8, 0x350, v13
	v_dual_mov_b32 v2, 0 :: v_dual_add_nc_u32 v7, -1, v152
	v_or_b32_e32 v9, 8, v14
	s_mov_b32 s3, 0
	s_delay_alu instid0(VALU_DEP_2)
	v_dual_mov_b32 v4, v2 :: v_dual_mov_b32 v3, v1
	.p2align	6
.LBB116_77:                             ; =>This Inner Loop Header: Depth=1
	scratch_load_b128 v[15:18], v9, off offset:-8
	ds_load_b128 v[19:22], v8
	v_add_nc_u32_e32 v7, 1, v7
	v_add_nc_u32_e32 v8, 16, v8
	v_add_nc_u32_e32 v9, 16, v9
	s_delay_alu instid0(VALU_DEP_3) | instskip(SKIP_4) | instid1(VALU_DEP_2)
	v_cmp_lt_u32_e32 vcc_lo, 14, v7
	s_or_b32 s3, vcc_lo, s3
	s_waitcnt vmcnt(0) lgkmcnt(0)
	v_mul_f64 v[10:11], v[21:22], v[17:18]
	v_mul_f64 v[17:18], v[19:20], v[17:18]
	v_fma_f64 v[10:11], v[19:20], v[15:16], -v[10:11]
	s_delay_alu instid0(VALU_DEP_2) | instskip(NEXT) | instid1(VALU_DEP_2)
	v_fma_f64 v[15:16], v[21:22], v[15:16], v[17:18]
	v_add_f64 v[3:4], v[3:4], v[10:11]
	s_delay_alu instid0(VALU_DEP_2)
	v_add_f64 v[1:2], v[1:2], v[15:16]
	s_and_not1_b32 exec_lo, exec_lo, s3
	s_cbranch_execnz .LBB116_77
; %bb.78:
	s_or_b32 exec_lo, exec_lo, s3
	v_mov_b32_e32 v7, 0
	ds_load_b128 v[7:10], v7 offset:256
	s_waitcnt lgkmcnt(0)
	v_mul_f64 v[11:12], v[1:2], v[9:10]
	v_mul_f64 v[15:16], v[3:4], v[9:10]
	s_delay_alu instid0(VALU_DEP_2) | instskip(NEXT) | instid1(VALU_DEP_2)
	v_fma_f64 v[9:10], v[3:4], v[7:8], -v[11:12]
	v_fma_f64 v[11:12], v[1:2], v[7:8], v[15:16]
	scratch_store_b128 off, v[9:12], off offset:256
.LBB116_79:
	s_or_b32 exec_lo, exec_lo, s2
	s_waitcnt_vscnt null, 0x0
	s_barrier
	buffer_gl0_inv
	scratch_load_b128 v[1:4], v188, off
	s_mov_b32 s2, exec_lo
	s_waitcnt vmcnt(0)
	ds_store_b128 v5, v[1:4]
	s_waitcnt lgkmcnt(0)
	s_barrier
	buffer_gl0_inv
	v_cmpx_gt_u32_e32 17, v152
	s_cbranch_execz .LBB116_83
; %bb.80:
	v_dual_mov_b32 v1, 0 :: v_dual_add_nc_u32 v8, 0x350, v13
	v_dual_mov_b32 v2, 0 :: v_dual_add_nc_u32 v7, -1, v152
	v_or_b32_e32 v9, 8, v14
	s_mov_b32 s3, 0
	s_delay_alu instid0(VALU_DEP_2)
	v_dual_mov_b32 v4, v2 :: v_dual_mov_b32 v3, v1
	.p2align	6
.LBB116_81:                             ; =>This Inner Loop Header: Depth=1
	scratch_load_b128 v[15:18], v9, off offset:-8
	ds_load_b128 v[19:22], v8
	v_add_nc_u32_e32 v7, 1, v7
	v_add_nc_u32_e32 v8, 16, v8
	;; [unrolled: 1-line block ×3, first 2 shown]
	s_delay_alu instid0(VALU_DEP_3) | instskip(SKIP_4) | instid1(VALU_DEP_2)
	v_cmp_lt_u32_e32 vcc_lo, 15, v7
	s_or_b32 s3, vcc_lo, s3
	s_waitcnt vmcnt(0) lgkmcnt(0)
	v_mul_f64 v[10:11], v[21:22], v[17:18]
	v_mul_f64 v[17:18], v[19:20], v[17:18]
	v_fma_f64 v[10:11], v[19:20], v[15:16], -v[10:11]
	s_delay_alu instid0(VALU_DEP_2) | instskip(NEXT) | instid1(VALU_DEP_2)
	v_fma_f64 v[15:16], v[21:22], v[15:16], v[17:18]
	v_add_f64 v[3:4], v[3:4], v[10:11]
	s_delay_alu instid0(VALU_DEP_2)
	v_add_f64 v[1:2], v[1:2], v[15:16]
	s_and_not1_b32 exec_lo, exec_lo, s3
	s_cbranch_execnz .LBB116_81
; %bb.82:
	s_or_b32 exec_lo, exec_lo, s3
	v_mov_b32_e32 v7, 0
	ds_load_b128 v[7:10], v7 offset:272
	s_waitcnt lgkmcnt(0)
	v_mul_f64 v[11:12], v[1:2], v[9:10]
	v_mul_f64 v[15:16], v[3:4], v[9:10]
	s_delay_alu instid0(VALU_DEP_2) | instskip(NEXT) | instid1(VALU_DEP_2)
	v_fma_f64 v[9:10], v[3:4], v[7:8], -v[11:12]
	v_fma_f64 v[11:12], v[1:2], v[7:8], v[15:16]
	scratch_store_b128 off, v[9:12], off offset:272
.LBB116_83:
	s_or_b32 exec_lo, exec_lo, s2
	s_waitcnt_vscnt null, 0x0
	s_barrier
	buffer_gl0_inv
	scratch_load_b128 v[1:4], v187, off
	s_mov_b32 s2, exec_lo
	s_waitcnt vmcnt(0)
	ds_store_b128 v5, v[1:4]
	s_waitcnt lgkmcnt(0)
	s_barrier
	buffer_gl0_inv
	v_cmpx_gt_u32_e32 18, v152
	s_cbranch_execz .LBB116_87
; %bb.84:
	v_dual_mov_b32 v1, 0 :: v_dual_add_nc_u32 v8, 0x350, v13
	v_dual_mov_b32 v2, 0 :: v_dual_add_nc_u32 v7, -1, v152
	v_or_b32_e32 v9, 8, v14
	s_mov_b32 s3, 0
	s_delay_alu instid0(VALU_DEP_2)
	v_dual_mov_b32 v4, v2 :: v_dual_mov_b32 v3, v1
	.p2align	6
.LBB116_85:                             ; =>This Inner Loop Header: Depth=1
	scratch_load_b128 v[15:18], v9, off offset:-8
	ds_load_b128 v[19:22], v8
	v_add_nc_u32_e32 v7, 1, v7
	v_add_nc_u32_e32 v8, 16, v8
	;; [unrolled: 1-line block ×3, first 2 shown]
	s_delay_alu instid0(VALU_DEP_3) | instskip(SKIP_4) | instid1(VALU_DEP_2)
	v_cmp_lt_u32_e32 vcc_lo, 16, v7
	s_or_b32 s3, vcc_lo, s3
	s_waitcnt vmcnt(0) lgkmcnt(0)
	v_mul_f64 v[10:11], v[21:22], v[17:18]
	v_mul_f64 v[17:18], v[19:20], v[17:18]
	v_fma_f64 v[10:11], v[19:20], v[15:16], -v[10:11]
	s_delay_alu instid0(VALU_DEP_2) | instskip(NEXT) | instid1(VALU_DEP_2)
	v_fma_f64 v[15:16], v[21:22], v[15:16], v[17:18]
	v_add_f64 v[3:4], v[3:4], v[10:11]
	s_delay_alu instid0(VALU_DEP_2)
	v_add_f64 v[1:2], v[1:2], v[15:16]
	s_and_not1_b32 exec_lo, exec_lo, s3
	s_cbranch_execnz .LBB116_85
; %bb.86:
	s_or_b32 exec_lo, exec_lo, s3
	v_mov_b32_e32 v7, 0
	ds_load_b128 v[7:10], v7 offset:288
	s_waitcnt lgkmcnt(0)
	v_mul_f64 v[11:12], v[1:2], v[9:10]
	v_mul_f64 v[15:16], v[3:4], v[9:10]
	s_delay_alu instid0(VALU_DEP_2) | instskip(NEXT) | instid1(VALU_DEP_2)
	v_fma_f64 v[9:10], v[3:4], v[7:8], -v[11:12]
	v_fma_f64 v[11:12], v[1:2], v[7:8], v[15:16]
	scratch_store_b128 off, v[9:12], off offset:288
.LBB116_87:
	s_or_b32 exec_lo, exec_lo, s2
	s_waitcnt_vscnt null, 0x0
	s_barrier
	buffer_gl0_inv
	scratch_load_b128 v[1:4], v186, off
	s_mov_b32 s2, exec_lo
	s_waitcnt vmcnt(0)
	ds_store_b128 v5, v[1:4]
	s_waitcnt lgkmcnt(0)
	s_barrier
	buffer_gl0_inv
	v_cmpx_gt_u32_e32 19, v152
	s_cbranch_execz .LBB116_91
; %bb.88:
	v_dual_mov_b32 v1, 0 :: v_dual_add_nc_u32 v8, 0x350, v13
	v_dual_mov_b32 v2, 0 :: v_dual_add_nc_u32 v7, -1, v152
	v_or_b32_e32 v9, 8, v14
	s_mov_b32 s3, 0
	s_delay_alu instid0(VALU_DEP_2)
	v_dual_mov_b32 v4, v2 :: v_dual_mov_b32 v3, v1
	.p2align	6
.LBB116_89:                             ; =>This Inner Loop Header: Depth=1
	scratch_load_b128 v[15:18], v9, off offset:-8
	ds_load_b128 v[19:22], v8
	v_add_nc_u32_e32 v7, 1, v7
	v_add_nc_u32_e32 v8, 16, v8
	v_add_nc_u32_e32 v9, 16, v9
	s_delay_alu instid0(VALU_DEP_3) | instskip(SKIP_4) | instid1(VALU_DEP_2)
	v_cmp_lt_u32_e32 vcc_lo, 17, v7
	s_or_b32 s3, vcc_lo, s3
	s_waitcnt vmcnt(0) lgkmcnt(0)
	v_mul_f64 v[10:11], v[21:22], v[17:18]
	v_mul_f64 v[17:18], v[19:20], v[17:18]
	v_fma_f64 v[10:11], v[19:20], v[15:16], -v[10:11]
	s_delay_alu instid0(VALU_DEP_2) | instskip(NEXT) | instid1(VALU_DEP_2)
	v_fma_f64 v[15:16], v[21:22], v[15:16], v[17:18]
	v_add_f64 v[3:4], v[3:4], v[10:11]
	s_delay_alu instid0(VALU_DEP_2)
	v_add_f64 v[1:2], v[1:2], v[15:16]
	s_and_not1_b32 exec_lo, exec_lo, s3
	s_cbranch_execnz .LBB116_89
; %bb.90:
	s_or_b32 exec_lo, exec_lo, s3
	v_mov_b32_e32 v7, 0
	ds_load_b128 v[7:10], v7 offset:304
	s_waitcnt lgkmcnt(0)
	v_mul_f64 v[11:12], v[1:2], v[9:10]
	v_mul_f64 v[15:16], v[3:4], v[9:10]
	s_delay_alu instid0(VALU_DEP_2) | instskip(NEXT) | instid1(VALU_DEP_2)
	v_fma_f64 v[9:10], v[3:4], v[7:8], -v[11:12]
	v_fma_f64 v[11:12], v[1:2], v[7:8], v[15:16]
	scratch_store_b128 off, v[9:12], off offset:304
.LBB116_91:
	s_or_b32 exec_lo, exec_lo, s2
	s_waitcnt_vscnt null, 0x0
	s_barrier
	buffer_gl0_inv
	scratch_load_b128 v[1:4], v185, off
	s_mov_b32 s2, exec_lo
	s_waitcnt vmcnt(0)
	ds_store_b128 v5, v[1:4]
	s_waitcnt lgkmcnt(0)
	s_barrier
	buffer_gl0_inv
	v_cmpx_gt_u32_e32 20, v152
	s_cbranch_execz .LBB116_95
; %bb.92:
	v_dual_mov_b32 v1, 0 :: v_dual_add_nc_u32 v8, 0x350, v13
	v_dual_mov_b32 v2, 0 :: v_dual_add_nc_u32 v7, -1, v152
	v_or_b32_e32 v9, 8, v14
	s_mov_b32 s3, 0
	s_delay_alu instid0(VALU_DEP_2)
	v_dual_mov_b32 v4, v2 :: v_dual_mov_b32 v3, v1
	.p2align	6
.LBB116_93:                             ; =>This Inner Loop Header: Depth=1
	scratch_load_b128 v[15:18], v9, off offset:-8
	ds_load_b128 v[19:22], v8
	v_add_nc_u32_e32 v7, 1, v7
	v_add_nc_u32_e32 v8, 16, v8
	;; [unrolled: 1-line block ×3, first 2 shown]
	s_delay_alu instid0(VALU_DEP_3) | instskip(SKIP_4) | instid1(VALU_DEP_2)
	v_cmp_lt_u32_e32 vcc_lo, 18, v7
	s_or_b32 s3, vcc_lo, s3
	s_waitcnt vmcnt(0) lgkmcnt(0)
	v_mul_f64 v[10:11], v[21:22], v[17:18]
	v_mul_f64 v[17:18], v[19:20], v[17:18]
	v_fma_f64 v[10:11], v[19:20], v[15:16], -v[10:11]
	s_delay_alu instid0(VALU_DEP_2) | instskip(NEXT) | instid1(VALU_DEP_2)
	v_fma_f64 v[15:16], v[21:22], v[15:16], v[17:18]
	v_add_f64 v[3:4], v[3:4], v[10:11]
	s_delay_alu instid0(VALU_DEP_2)
	v_add_f64 v[1:2], v[1:2], v[15:16]
	s_and_not1_b32 exec_lo, exec_lo, s3
	s_cbranch_execnz .LBB116_93
; %bb.94:
	s_or_b32 exec_lo, exec_lo, s3
	v_mov_b32_e32 v7, 0
	ds_load_b128 v[7:10], v7 offset:320
	s_waitcnt lgkmcnt(0)
	v_mul_f64 v[11:12], v[1:2], v[9:10]
	v_mul_f64 v[15:16], v[3:4], v[9:10]
	s_delay_alu instid0(VALU_DEP_2) | instskip(NEXT) | instid1(VALU_DEP_2)
	v_fma_f64 v[9:10], v[3:4], v[7:8], -v[11:12]
	v_fma_f64 v[11:12], v[1:2], v[7:8], v[15:16]
	scratch_store_b128 off, v[9:12], off offset:320
.LBB116_95:
	s_or_b32 exec_lo, exec_lo, s2
	s_waitcnt_vscnt null, 0x0
	s_barrier
	buffer_gl0_inv
	scratch_load_b128 v[1:4], v184, off
	s_mov_b32 s2, exec_lo
	s_waitcnt vmcnt(0)
	ds_store_b128 v5, v[1:4]
	s_waitcnt lgkmcnt(0)
	s_barrier
	buffer_gl0_inv
	v_cmpx_gt_u32_e32 21, v152
	s_cbranch_execz .LBB116_99
; %bb.96:
	v_dual_mov_b32 v1, 0 :: v_dual_add_nc_u32 v8, 0x350, v13
	v_dual_mov_b32 v2, 0 :: v_dual_add_nc_u32 v7, -1, v152
	v_or_b32_e32 v9, 8, v14
	s_mov_b32 s3, 0
	s_delay_alu instid0(VALU_DEP_2)
	v_dual_mov_b32 v4, v2 :: v_dual_mov_b32 v3, v1
	.p2align	6
.LBB116_97:                             ; =>This Inner Loop Header: Depth=1
	scratch_load_b128 v[15:18], v9, off offset:-8
	ds_load_b128 v[19:22], v8
	v_add_nc_u32_e32 v7, 1, v7
	v_add_nc_u32_e32 v8, 16, v8
	;; [unrolled: 1-line block ×3, first 2 shown]
	s_delay_alu instid0(VALU_DEP_3) | instskip(SKIP_4) | instid1(VALU_DEP_2)
	v_cmp_lt_u32_e32 vcc_lo, 19, v7
	s_or_b32 s3, vcc_lo, s3
	s_waitcnt vmcnt(0) lgkmcnt(0)
	v_mul_f64 v[10:11], v[21:22], v[17:18]
	v_mul_f64 v[17:18], v[19:20], v[17:18]
	v_fma_f64 v[10:11], v[19:20], v[15:16], -v[10:11]
	s_delay_alu instid0(VALU_DEP_2) | instskip(NEXT) | instid1(VALU_DEP_2)
	v_fma_f64 v[15:16], v[21:22], v[15:16], v[17:18]
	v_add_f64 v[3:4], v[3:4], v[10:11]
	s_delay_alu instid0(VALU_DEP_2)
	v_add_f64 v[1:2], v[1:2], v[15:16]
	s_and_not1_b32 exec_lo, exec_lo, s3
	s_cbranch_execnz .LBB116_97
; %bb.98:
	s_or_b32 exec_lo, exec_lo, s3
	v_mov_b32_e32 v7, 0
	ds_load_b128 v[7:10], v7 offset:336
	s_waitcnt lgkmcnt(0)
	v_mul_f64 v[11:12], v[1:2], v[9:10]
	v_mul_f64 v[15:16], v[3:4], v[9:10]
	s_delay_alu instid0(VALU_DEP_2) | instskip(NEXT) | instid1(VALU_DEP_2)
	v_fma_f64 v[9:10], v[3:4], v[7:8], -v[11:12]
	v_fma_f64 v[11:12], v[1:2], v[7:8], v[15:16]
	scratch_store_b128 off, v[9:12], off offset:336
.LBB116_99:
	s_or_b32 exec_lo, exec_lo, s2
	s_waitcnt_vscnt null, 0x0
	s_barrier
	buffer_gl0_inv
	scratch_load_b128 v[1:4], v183, off
	s_mov_b32 s2, exec_lo
	s_waitcnt vmcnt(0)
	ds_store_b128 v5, v[1:4]
	s_waitcnt lgkmcnt(0)
	s_barrier
	buffer_gl0_inv
	v_cmpx_gt_u32_e32 22, v152
	s_cbranch_execz .LBB116_103
; %bb.100:
	v_dual_mov_b32 v1, 0 :: v_dual_add_nc_u32 v8, 0x350, v13
	v_dual_mov_b32 v2, 0 :: v_dual_add_nc_u32 v7, -1, v152
	v_or_b32_e32 v9, 8, v14
	s_mov_b32 s3, 0
	s_delay_alu instid0(VALU_DEP_2)
	v_dual_mov_b32 v4, v2 :: v_dual_mov_b32 v3, v1
	.p2align	6
.LBB116_101:                            ; =>This Inner Loop Header: Depth=1
	scratch_load_b128 v[15:18], v9, off offset:-8
	ds_load_b128 v[19:22], v8
	v_add_nc_u32_e32 v7, 1, v7
	v_add_nc_u32_e32 v8, 16, v8
	;; [unrolled: 1-line block ×3, first 2 shown]
	s_delay_alu instid0(VALU_DEP_3) | instskip(SKIP_4) | instid1(VALU_DEP_2)
	v_cmp_lt_u32_e32 vcc_lo, 20, v7
	s_or_b32 s3, vcc_lo, s3
	s_waitcnt vmcnt(0) lgkmcnt(0)
	v_mul_f64 v[10:11], v[21:22], v[17:18]
	v_mul_f64 v[17:18], v[19:20], v[17:18]
	v_fma_f64 v[10:11], v[19:20], v[15:16], -v[10:11]
	s_delay_alu instid0(VALU_DEP_2) | instskip(NEXT) | instid1(VALU_DEP_2)
	v_fma_f64 v[15:16], v[21:22], v[15:16], v[17:18]
	v_add_f64 v[3:4], v[3:4], v[10:11]
	s_delay_alu instid0(VALU_DEP_2)
	v_add_f64 v[1:2], v[1:2], v[15:16]
	s_and_not1_b32 exec_lo, exec_lo, s3
	s_cbranch_execnz .LBB116_101
; %bb.102:
	s_or_b32 exec_lo, exec_lo, s3
	v_mov_b32_e32 v7, 0
	ds_load_b128 v[7:10], v7 offset:352
	s_waitcnt lgkmcnt(0)
	v_mul_f64 v[11:12], v[1:2], v[9:10]
	v_mul_f64 v[15:16], v[3:4], v[9:10]
	s_delay_alu instid0(VALU_DEP_2) | instskip(NEXT) | instid1(VALU_DEP_2)
	v_fma_f64 v[9:10], v[3:4], v[7:8], -v[11:12]
	v_fma_f64 v[11:12], v[1:2], v[7:8], v[15:16]
	scratch_store_b128 off, v[9:12], off offset:352
.LBB116_103:
	s_or_b32 exec_lo, exec_lo, s2
	s_waitcnt_vscnt null, 0x0
	s_barrier
	buffer_gl0_inv
	scratch_load_b128 v[1:4], v182, off
	s_mov_b32 s2, exec_lo
	s_waitcnt vmcnt(0)
	ds_store_b128 v5, v[1:4]
	s_waitcnt lgkmcnt(0)
	s_barrier
	buffer_gl0_inv
	v_cmpx_gt_u32_e32 23, v152
	s_cbranch_execz .LBB116_107
; %bb.104:
	v_dual_mov_b32 v1, 0 :: v_dual_add_nc_u32 v8, 0x350, v13
	v_dual_mov_b32 v2, 0 :: v_dual_add_nc_u32 v7, -1, v152
	v_or_b32_e32 v9, 8, v14
	s_mov_b32 s3, 0
	s_delay_alu instid0(VALU_DEP_2)
	v_dual_mov_b32 v4, v2 :: v_dual_mov_b32 v3, v1
	.p2align	6
.LBB116_105:                            ; =>This Inner Loop Header: Depth=1
	scratch_load_b128 v[15:18], v9, off offset:-8
	ds_load_b128 v[19:22], v8
	v_add_nc_u32_e32 v7, 1, v7
	v_add_nc_u32_e32 v8, 16, v8
	;; [unrolled: 1-line block ×3, first 2 shown]
	s_delay_alu instid0(VALU_DEP_3) | instskip(SKIP_4) | instid1(VALU_DEP_2)
	v_cmp_lt_u32_e32 vcc_lo, 21, v7
	s_or_b32 s3, vcc_lo, s3
	s_waitcnt vmcnt(0) lgkmcnt(0)
	v_mul_f64 v[10:11], v[21:22], v[17:18]
	v_mul_f64 v[17:18], v[19:20], v[17:18]
	v_fma_f64 v[10:11], v[19:20], v[15:16], -v[10:11]
	s_delay_alu instid0(VALU_DEP_2) | instskip(NEXT) | instid1(VALU_DEP_2)
	v_fma_f64 v[15:16], v[21:22], v[15:16], v[17:18]
	v_add_f64 v[3:4], v[3:4], v[10:11]
	s_delay_alu instid0(VALU_DEP_2)
	v_add_f64 v[1:2], v[1:2], v[15:16]
	s_and_not1_b32 exec_lo, exec_lo, s3
	s_cbranch_execnz .LBB116_105
; %bb.106:
	s_or_b32 exec_lo, exec_lo, s3
	v_mov_b32_e32 v7, 0
	ds_load_b128 v[7:10], v7 offset:368
	s_waitcnt lgkmcnt(0)
	v_mul_f64 v[11:12], v[1:2], v[9:10]
	v_mul_f64 v[15:16], v[3:4], v[9:10]
	s_delay_alu instid0(VALU_DEP_2) | instskip(NEXT) | instid1(VALU_DEP_2)
	v_fma_f64 v[9:10], v[3:4], v[7:8], -v[11:12]
	v_fma_f64 v[11:12], v[1:2], v[7:8], v[15:16]
	scratch_store_b128 off, v[9:12], off offset:368
.LBB116_107:
	s_or_b32 exec_lo, exec_lo, s2
	s_waitcnt_vscnt null, 0x0
	s_barrier
	buffer_gl0_inv
	scratch_load_b128 v[1:4], v181, off
	s_mov_b32 s2, exec_lo
	s_waitcnt vmcnt(0)
	ds_store_b128 v5, v[1:4]
	s_waitcnt lgkmcnt(0)
	s_barrier
	buffer_gl0_inv
	v_cmpx_gt_u32_e32 24, v152
	s_cbranch_execz .LBB116_111
; %bb.108:
	v_dual_mov_b32 v1, 0 :: v_dual_add_nc_u32 v8, 0x350, v13
	v_dual_mov_b32 v2, 0 :: v_dual_add_nc_u32 v7, -1, v152
	v_or_b32_e32 v9, 8, v14
	s_mov_b32 s3, 0
	s_delay_alu instid0(VALU_DEP_2)
	v_dual_mov_b32 v4, v2 :: v_dual_mov_b32 v3, v1
	.p2align	6
.LBB116_109:                            ; =>This Inner Loop Header: Depth=1
	scratch_load_b128 v[15:18], v9, off offset:-8
	ds_load_b128 v[19:22], v8
	v_add_nc_u32_e32 v7, 1, v7
	v_add_nc_u32_e32 v8, 16, v8
	;; [unrolled: 1-line block ×3, first 2 shown]
	s_delay_alu instid0(VALU_DEP_3) | instskip(SKIP_4) | instid1(VALU_DEP_2)
	v_cmp_lt_u32_e32 vcc_lo, 22, v7
	s_or_b32 s3, vcc_lo, s3
	s_waitcnt vmcnt(0) lgkmcnt(0)
	v_mul_f64 v[10:11], v[21:22], v[17:18]
	v_mul_f64 v[17:18], v[19:20], v[17:18]
	v_fma_f64 v[10:11], v[19:20], v[15:16], -v[10:11]
	s_delay_alu instid0(VALU_DEP_2) | instskip(NEXT) | instid1(VALU_DEP_2)
	v_fma_f64 v[15:16], v[21:22], v[15:16], v[17:18]
	v_add_f64 v[3:4], v[3:4], v[10:11]
	s_delay_alu instid0(VALU_DEP_2)
	v_add_f64 v[1:2], v[1:2], v[15:16]
	s_and_not1_b32 exec_lo, exec_lo, s3
	s_cbranch_execnz .LBB116_109
; %bb.110:
	s_or_b32 exec_lo, exec_lo, s3
	v_mov_b32_e32 v7, 0
	ds_load_b128 v[7:10], v7 offset:384
	s_waitcnt lgkmcnt(0)
	v_mul_f64 v[11:12], v[1:2], v[9:10]
	v_mul_f64 v[15:16], v[3:4], v[9:10]
	s_delay_alu instid0(VALU_DEP_2) | instskip(NEXT) | instid1(VALU_DEP_2)
	v_fma_f64 v[9:10], v[3:4], v[7:8], -v[11:12]
	v_fma_f64 v[11:12], v[1:2], v[7:8], v[15:16]
	scratch_store_b128 off, v[9:12], off offset:384
.LBB116_111:
	s_or_b32 exec_lo, exec_lo, s2
	s_waitcnt_vscnt null, 0x0
	s_barrier
	buffer_gl0_inv
	scratch_load_b128 v[1:4], v180, off
	s_mov_b32 s2, exec_lo
	s_waitcnt vmcnt(0)
	ds_store_b128 v5, v[1:4]
	s_waitcnt lgkmcnt(0)
	s_barrier
	buffer_gl0_inv
	v_cmpx_gt_u32_e32 25, v152
	s_cbranch_execz .LBB116_115
; %bb.112:
	v_dual_mov_b32 v1, 0 :: v_dual_add_nc_u32 v8, 0x350, v13
	v_dual_mov_b32 v2, 0 :: v_dual_add_nc_u32 v7, -1, v152
	v_or_b32_e32 v9, 8, v14
	s_mov_b32 s3, 0
	s_delay_alu instid0(VALU_DEP_2)
	v_dual_mov_b32 v4, v2 :: v_dual_mov_b32 v3, v1
	.p2align	6
.LBB116_113:                            ; =>This Inner Loop Header: Depth=1
	scratch_load_b128 v[15:18], v9, off offset:-8
	ds_load_b128 v[19:22], v8
	v_add_nc_u32_e32 v7, 1, v7
	v_add_nc_u32_e32 v8, 16, v8
	;; [unrolled: 1-line block ×3, first 2 shown]
	s_delay_alu instid0(VALU_DEP_3) | instskip(SKIP_4) | instid1(VALU_DEP_2)
	v_cmp_lt_u32_e32 vcc_lo, 23, v7
	s_or_b32 s3, vcc_lo, s3
	s_waitcnt vmcnt(0) lgkmcnt(0)
	v_mul_f64 v[10:11], v[21:22], v[17:18]
	v_mul_f64 v[17:18], v[19:20], v[17:18]
	v_fma_f64 v[10:11], v[19:20], v[15:16], -v[10:11]
	s_delay_alu instid0(VALU_DEP_2) | instskip(NEXT) | instid1(VALU_DEP_2)
	v_fma_f64 v[15:16], v[21:22], v[15:16], v[17:18]
	v_add_f64 v[3:4], v[3:4], v[10:11]
	s_delay_alu instid0(VALU_DEP_2)
	v_add_f64 v[1:2], v[1:2], v[15:16]
	s_and_not1_b32 exec_lo, exec_lo, s3
	s_cbranch_execnz .LBB116_113
; %bb.114:
	s_or_b32 exec_lo, exec_lo, s3
	v_mov_b32_e32 v7, 0
	ds_load_b128 v[7:10], v7 offset:400
	s_waitcnt lgkmcnt(0)
	v_mul_f64 v[11:12], v[1:2], v[9:10]
	v_mul_f64 v[15:16], v[3:4], v[9:10]
	s_delay_alu instid0(VALU_DEP_2) | instskip(NEXT) | instid1(VALU_DEP_2)
	v_fma_f64 v[9:10], v[3:4], v[7:8], -v[11:12]
	v_fma_f64 v[11:12], v[1:2], v[7:8], v[15:16]
	scratch_store_b128 off, v[9:12], off offset:400
.LBB116_115:
	s_or_b32 exec_lo, exec_lo, s2
	s_waitcnt_vscnt null, 0x0
	s_barrier
	buffer_gl0_inv
	scratch_load_b128 v[1:4], v179, off
	s_mov_b32 s2, exec_lo
	s_waitcnt vmcnt(0)
	ds_store_b128 v5, v[1:4]
	s_waitcnt lgkmcnt(0)
	s_barrier
	buffer_gl0_inv
	v_cmpx_gt_u32_e32 26, v152
	s_cbranch_execz .LBB116_119
; %bb.116:
	v_dual_mov_b32 v1, 0 :: v_dual_add_nc_u32 v8, 0x350, v13
	v_dual_mov_b32 v2, 0 :: v_dual_add_nc_u32 v7, -1, v152
	v_or_b32_e32 v9, 8, v14
	s_mov_b32 s3, 0
	s_delay_alu instid0(VALU_DEP_2)
	v_dual_mov_b32 v4, v2 :: v_dual_mov_b32 v3, v1
	.p2align	6
.LBB116_117:                            ; =>This Inner Loop Header: Depth=1
	scratch_load_b128 v[15:18], v9, off offset:-8
	ds_load_b128 v[19:22], v8
	v_add_nc_u32_e32 v7, 1, v7
	v_add_nc_u32_e32 v8, 16, v8
	;; [unrolled: 1-line block ×3, first 2 shown]
	s_delay_alu instid0(VALU_DEP_3) | instskip(SKIP_4) | instid1(VALU_DEP_2)
	v_cmp_lt_u32_e32 vcc_lo, 24, v7
	s_or_b32 s3, vcc_lo, s3
	s_waitcnt vmcnt(0) lgkmcnt(0)
	v_mul_f64 v[10:11], v[21:22], v[17:18]
	v_mul_f64 v[17:18], v[19:20], v[17:18]
	v_fma_f64 v[10:11], v[19:20], v[15:16], -v[10:11]
	s_delay_alu instid0(VALU_DEP_2) | instskip(NEXT) | instid1(VALU_DEP_2)
	v_fma_f64 v[15:16], v[21:22], v[15:16], v[17:18]
	v_add_f64 v[3:4], v[3:4], v[10:11]
	s_delay_alu instid0(VALU_DEP_2)
	v_add_f64 v[1:2], v[1:2], v[15:16]
	s_and_not1_b32 exec_lo, exec_lo, s3
	s_cbranch_execnz .LBB116_117
; %bb.118:
	s_or_b32 exec_lo, exec_lo, s3
	v_mov_b32_e32 v7, 0
	ds_load_b128 v[7:10], v7 offset:416
	s_waitcnt lgkmcnt(0)
	v_mul_f64 v[11:12], v[1:2], v[9:10]
	v_mul_f64 v[15:16], v[3:4], v[9:10]
	s_delay_alu instid0(VALU_DEP_2) | instskip(NEXT) | instid1(VALU_DEP_2)
	v_fma_f64 v[9:10], v[3:4], v[7:8], -v[11:12]
	v_fma_f64 v[11:12], v[1:2], v[7:8], v[15:16]
	scratch_store_b128 off, v[9:12], off offset:416
.LBB116_119:
	s_or_b32 exec_lo, exec_lo, s2
	s_waitcnt_vscnt null, 0x0
	s_barrier
	buffer_gl0_inv
	scratch_load_b128 v[1:4], v178, off
	s_mov_b32 s2, exec_lo
	s_waitcnt vmcnt(0)
	ds_store_b128 v5, v[1:4]
	s_waitcnt lgkmcnt(0)
	s_barrier
	buffer_gl0_inv
	v_cmpx_gt_u32_e32 27, v152
	s_cbranch_execz .LBB116_123
; %bb.120:
	v_dual_mov_b32 v1, 0 :: v_dual_add_nc_u32 v8, 0x350, v13
	v_dual_mov_b32 v2, 0 :: v_dual_add_nc_u32 v7, -1, v152
	v_or_b32_e32 v9, 8, v14
	s_mov_b32 s3, 0
	s_delay_alu instid0(VALU_DEP_2)
	v_dual_mov_b32 v4, v2 :: v_dual_mov_b32 v3, v1
	.p2align	6
.LBB116_121:                            ; =>This Inner Loop Header: Depth=1
	scratch_load_b128 v[15:18], v9, off offset:-8
	ds_load_b128 v[19:22], v8
	v_add_nc_u32_e32 v7, 1, v7
	v_add_nc_u32_e32 v8, 16, v8
	;; [unrolled: 1-line block ×3, first 2 shown]
	s_delay_alu instid0(VALU_DEP_3) | instskip(SKIP_4) | instid1(VALU_DEP_2)
	v_cmp_lt_u32_e32 vcc_lo, 25, v7
	s_or_b32 s3, vcc_lo, s3
	s_waitcnt vmcnt(0) lgkmcnt(0)
	v_mul_f64 v[10:11], v[21:22], v[17:18]
	v_mul_f64 v[17:18], v[19:20], v[17:18]
	v_fma_f64 v[10:11], v[19:20], v[15:16], -v[10:11]
	s_delay_alu instid0(VALU_DEP_2) | instskip(NEXT) | instid1(VALU_DEP_2)
	v_fma_f64 v[15:16], v[21:22], v[15:16], v[17:18]
	v_add_f64 v[3:4], v[3:4], v[10:11]
	s_delay_alu instid0(VALU_DEP_2)
	v_add_f64 v[1:2], v[1:2], v[15:16]
	s_and_not1_b32 exec_lo, exec_lo, s3
	s_cbranch_execnz .LBB116_121
; %bb.122:
	s_or_b32 exec_lo, exec_lo, s3
	v_mov_b32_e32 v7, 0
	ds_load_b128 v[7:10], v7 offset:432
	s_waitcnt lgkmcnt(0)
	v_mul_f64 v[11:12], v[1:2], v[9:10]
	v_mul_f64 v[15:16], v[3:4], v[9:10]
	s_delay_alu instid0(VALU_DEP_2) | instskip(NEXT) | instid1(VALU_DEP_2)
	v_fma_f64 v[9:10], v[3:4], v[7:8], -v[11:12]
	v_fma_f64 v[11:12], v[1:2], v[7:8], v[15:16]
	scratch_store_b128 off, v[9:12], off offset:432
.LBB116_123:
	s_or_b32 exec_lo, exec_lo, s2
	s_waitcnt_vscnt null, 0x0
	s_barrier
	buffer_gl0_inv
	scratch_load_b128 v[1:4], v176, off
	s_mov_b32 s2, exec_lo
	s_waitcnt vmcnt(0)
	ds_store_b128 v5, v[1:4]
	s_waitcnt lgkmcnt(0)
	s_barrier
	buffer_gl0_inv
	v_cmpx_gt_u32_e32 28, v152
	s_cbranch_execz .LBB116_127
; %bb.124:
	v_dual_mov_b32 v1, 0 :: v_dual_add_nc_u32 v8, 0x350, v13
	v_dual_mov_b32 v2, 0 :: v_dual_add_nc_u32 v7, -1, v152
	v_or_b32_e32 v9, 8, v14
	s_mov_b32 s3, 0
	s_delay_alu instid0(VALU_DEP_2)
	v_dual_mov_b32 v4, v2 :: v_dual_mov_b32 v3, v1
	.p2align	6
.LBB116_125:                            ; =>This Inner Loop Header: Depth=1
	scratch_load_b128 v[15:18], v9, off offset:-8
	ds_load_b128 v[19:22], v8
	v_add_nc_u32_e32 v7, 1, v7
	v_add_nc_u32_e32 v8, 16, v8
	;; [unrolled: 1-line block ×3, first 2 shown]
	s_delay_alu instid0(VALU_DEP_3) | instskip(SKIP_4) | instid1(VALU_DEP_2)
	v_cmp_lt_u32_e32 vcc_lo, 26, v7
	s_or_b32 s3, vcc_lo, s3
	s_waitcnt vmcnt(0) lgkmcnt(0)
	v_mul_f64 v[10:11], v[21:22], v[17:18]
	v_mul_f64 v[17:18], v[19:20], v[17:18]
	v_fma_f64 v[10:11], v[19:20], v[15:16], -v[10:11]
	s_delay_alu instid0(VALU_DEP_2) | instskip(NEXT) | instid1(VALU_DEP_2)
	v_fma_f64 v[15:16], v[21:22], v[15:16], v[17:18]
	v_add_f64 v[3:4], v[3:4], v[10:11]
	s_delay_alu instid0(VALU_DEP_2)
	v_add_f64 v[1:2], v[1:2], v[15:16]
	s_and_not1_b32 exec_lo, exec_lo, s3
	s_cbranch_execnz .LBB116_125
; %bb.126:
	s_or_b32 exec_lo, exec_lo, s3
	v_mov_b32_e32 v7, 0
	ds_load_b128 v[7:10], v7 offset:448
	s_waitcnt lgkmcnt(0)
	v_mul_f64 v[11:12], v[1:2], v[9:10]
	v_mul_f64 v[15:16], v[3:4], v[9:10]
	s_delay_alu instid0(VALU_DEP_2) | instskip(NEXT) | instid1(VALU_DEP_2)
	v_fma_f64 v[9:10], v[3:4], v[7:8], -v[11:12]
	v_fma_f64 v[11:12], v[1:2], v[7:8], v[15:16]
	scratch_store_b128 off, v[9:12], off offset:448
.LBB116_127:
	s_or_b32 exec_lo, exec_lo, s2
	s_waitcnt_vscnt null, 0x0
	s_barrier
	buffer_gl0_inv
	scratch_load_b128 v[1:4], v216, off
	s_mov_b32 s2, exec_lo
	s_waitcnt vmcnt(0)
	ds_store_b128 v5, v[1:4]
	s_waitcnt lgkmcnt(0)
	s_barrier
	buffer_gl0_inv
	v_cmpx_gt_u32_e32 29, v152
	s_cbranch_execz .LBB116_131
; %bb.128:
	v_dual_mov_b32 v1, 0 :: v_dual_add_nc_u32 v8, 0x350, v13
	v_dual_mov_b32 v2, 0 :: v_dual_add_nc_u32 v7, -1, v152
	v_or_b32_e32 v9, 8, v14
	s_mov_b32 s3, 0
	s_delay_alu instid0(VALU_DEP_2)
	v_dual_mov_b32 v4, v2 :: v_dual_mov_b32 v3, v1
	.p2align	6
.LBB116_129:                            ; =>This Inner Loop Header: Depth=1
	scratch_load_b128 v[15:18], v9, off offset:-8
	ds_load_b128 v[19:22], v8
	v_add_nc_u32_e32 v7, 1, v7
	v_add_nc_u32_e32 v8, 16, v8
	;; [unrolled: 1-line block ×3, first 2 shown]
	s_delay_alu instid0(VALU_DEP_3) | instskip(SKIP_4) | instid1(VALU_DEP_2)
	v_cmp_lt_u32_e32 vcc_lo, 27, v7
	s_or_b32 s3, vcc_lo, s3
	s_waitcnt vmcnt(0) lgkmcnt(0)
	v_mul_f64 v[10:11], v[21:22], v[17:18]
	v_mul_f64 v[17:18], v[19:20], v[17:18]
	v_fma_f64 v[10:11], v[19:20], v[15:16], -v[10:11]
	s_delay_alu instid0(VALU_DEP_2) | instskip(NEXT) | instid1(VALU_DEP_2)
	v_fma_f64 v[15:16], v[21:22], v[15:16], v[17:18]
	v_add_f64 v[3:4], v[3:4], v[10:11]
	s_delay_alu instid0(VALU_DEP_2)
	v_add_f64 v[1:2], v[1:2], v[15:16]
	s_and_not1_b32 exec_lo, exec_lo, s3
	s_cbranch_execnz .LBB116_129
; %bb.130:
	s_or_b32 exec_lo, exec_lo, s3
	v_mov_b32_e32 v7, 0
	ds_load_b128 v[7:10], v7 offset:464
	s_waitcnt lgkmcnt(0)
	v_mul_f64 v[11:12], v[1:2], v[9:10]
	v_mul_f64 v[15:16], v[3:4], v[9:10]
	s_delay_alu instid0(VALU_DEP_2) | instskip(NEXT) | instid1(VALU_DEP_2)
	v_fma_f64 v[9:10], v[3:4], v[7:8], -v[11:12]
	v_fma_f64 v[11:12], v[1:2], v[7:8], v[15:16]
	scratch_store_b128 off, v[9:12], off offset:464
.LBB116_131:
	s_or_b32 exec_lo, exec_lo, s2
	s_waitcnt_vscnt null, 0x0
	s_barrier
	buffer_gl0_inv
	scratch_load_b128 v[1:4], v215, off
	s_mov_b32 s2, exec_lo
	s_waitcnt vmcnt(0)
	ds_store_b128 v5, v[1:4]
	s_waitcnt lgkmcnt(0)
	s_barrier
	buffer_gl0_inv
	v_cmpx_gt_u32_e32 30, v152
	s_cbranch_execz .LBB116_135
; %bb.132:
	v_dual_mov_b32 v1, 0 :: v_dual_add_nc_u32 v8, 0x350, v13
	v_dual_mov_b32 v2, 0 :: v_dual_add_nc_u32 v7, -1, v152
	v_or_b32_e32 v9, 8, v14
	s_mov_b32 s3, 0
	s_delay_alu instid0(VALU_DEP_2)
	v_dual_mov_b32 v4, v2 :: v_dual_mov_b32 v3, v1
	.p2align	6
.LBB116_133:                            ; =>This Inner Loop Header: Depth=1
	scratch_load_b128 v[15:18], v9, off offset:-8
	ds_load_b128 v[19:22], v8
	v_add_nc_u32_e32 v7, 1, v7
	v_add_nc_u32_e32 v8, 16, v8
	;; [unrolled: 1-line block ×3, first 2 shown]
	s_delay_alu instid0(VALU_DEP_3) | instskip(SKIP_4) | instid1(VALU_DEP_2)
	v_cmp_lt_u32_e32 vcc_lo, 28, v7
	s_or_b32 s3, vcc_lo, s3
	s_waitcnt vmcnt(0) lgkmcnt(0)
	v_mul_f64 v[10:11], v[21:22], v[17:18]
	v_mul_f64 v[17:18], v[19:20], v[17:18]
	v_fma_f64 v[10:11], v[19:20], v[15:16], -v[10:11]
	s_delay_alu instid0(VALU_DEP_2) | instskip(NEXT) | instid1(VALU_DEP_2)
	v_fma_f64 v[15:16], v[21:22], v[15:16], v[17:18]
	v_add_f64 v[3:4], v[3:4], v[10:11]
	s_delay_alu instid0(VALU_DEP_2)
	v_add_f64 v[1:2], v[1:2], v[15:16]
	s_and_not1_b32 exec_lo, exec_lo, s3
	s_cbranch_execnz .LBB116_133
; %bb.134:
	s_or_b32 exec_lo, exec_lo, s3
	v_mov_b32_e32 v7, 0
	ds_load_b128 v[7:10], v7 offset:480
	s_waitcnt lgkmcnt(0)
	v_mul_f64 v[11:12], v[1:2], v[9:10]
	v_mul_f64 v[15:16], v[3:4], v[9:10]
	s_delay_alu instid0(VALU_DEP_2) | instskip(NEXT) | instid1(VALU_DEP_2)
	v_fma_f64 v[9:10], v[3:4], v[7:8], -v[11:12]
	v_fma_f64 v[11:12], v[1:2], v[7:8], v[15:16]
	scratch_store_b128 off, v[9:12], off offset:480
.LBB116_135:
	s_or_b32 exec_lo, exec_lo, s2
	s_waitcnt_vscnt null, 0x0
	s_barrier
	buffer_gl0_inv
	scratch_load_b128 v[1:4], v214, off
	s_mov_b32 s2, exec_lo
	s_waitcnt vmcnt(0)
	ds_store_b128 v5, v[1:4]
	s_waitcnt lgkmcnt(0)
	s_barrier
	buffer_gl0_inv
	v_cmpx_gt_u32_e32 31, v152
	s_cbranch_execz .LBB116_139
; %bb.136:
	v_dual_mov_b32 v1, 0 :: v_dual_add_nc_u32 v8, 0x350, v13
	v_dual_mov_b32 v2, 0 :: v_dual_add_nc_u32 v7, -1, v152
	v_or_b32_e32 v9, 8, v14
	s_mov_b32 s3, 0
	s_delay_alu instid0(VALU_DEP_2)
	v_dual_mov_b32 v4, v2 :: v_dual_mov_b32 v3, v1
	.p2align	6
.LBB116_137:                            ; =>This Inner Loop Header: Depth=1
	scratch_load_b128 v[15:18], v9, off offset:-8
	ds_load_b128 v[19:22], v8
	v_add_nc_u32_e32 v7, 1, v7
	v_add_nc_u32_e32 v8, 16, v8
	;; [unrolled: 1-line block ×3, first 2 shown]
	s_delay_alu instid0(VALU_DEP_3) | instskip(SKIP_4) | instid1(VALU_DEP_2)
	v_cmp_lt_u32_e32 vcc_lo, 29, v7
	s_or_b32 s3, vcc_lo, s3
	s_waitcnt vmcnt(0) lgkmcnt(0)
	v_mul_f64 v[10:11], v[21:22], v[17:18]
	v_mul_f64 v[17:18], v[19:20], v[17:18]
	v_fma_f64 v[10:11], v[19:20], v[15:16], -v[10:11]
	s_delay_alu instid0(VALU_DEP_2) | instskip(NEXT) | instid1(VALU_DEP_2)
	v_fma_f64 v[15:16], v[21:22], v[15:16], v[17:18]
	v_add_f64 v[3:4], v[3:4], v[10:11]
	s_delay_alu instid0(VALU_DEP_2)
	v_add_f64 v[1:2], v[1:2], v[15:16]
	s_and_not1_b32 exec_lo, exec_lo, s3
	s_cbranch_execnz .LBB116_137
; %bb.138:
	s_or_b32 exec_lo, exec_lo, s3
	v_mov_b32_e32 v7, 0
	ds_load_b128 v[7:10], v7 offset:496
	s_waitcnt lgkmcnt(0)
	v_mul_f64 v[11:12], v[1:2], v[9:10]
	v_mul_f64 v[15:16], v[3:4], v[9:10]
	s_delay_alu instid0(VALU_DEP_2) | instskip(NEXT) | instid1(VALU_DEP_2)
	v_fma_f64 v[9:10], v[3:4], v[7:8], -v[11:12]
	v_fma_f64 v[11:12], v[1:2], v[7:8], v[15:16]
	scratch_store_b128 off, v[9:12], off offset:496
.LBB116_139:
	s_or_b32 exec_lo, exec_lo, s2
	s_waitcnt_vscnt null, 0x0
	s_barrier
	buffer_gl0_inv
	scratch_load_b128 v[1:4], v213, off
	s_mov_b32 s2, exec_lo
	s_waitcnt vmcnt(0)
	ds_store_b128 v5, v[1:4]
	s_waitcnt lgkmcnt(0)
	s_barrier
	buffer_gl0_inv
	v_cmpx_gt_u32_e32 32, v152
	s_cbranch_execz .LBB116_143
; %bb.140:
	v_dual_mov_b32 v1, 0 :: v_dual_add_nc_u32 v8, 0x350, v13
	v_dual_mov_b32 v2, 0 :: v_dual_add_nc_u32 v7, -1, v152
	v_or_b32_e32 v9, 8, v14
	s_mov_b32 s3, 0
	s_delay_alu instid0(VALU_DEP_2)
	v_dual_mov_b32 v4, v2 :: v_dual_mov_b32 v3, v1
	.p2align	6
.LBB116_141:                            ; =>This Inner Loop Header: Depth=1
	scratch_load_b128 v[15:18], v9, off offset:-8
	ds_load_b128 v[19:22], v8
	v_add_nc_u32_e32 v7, 1, v7
	v_add_nc_u32_e32 v8, 16, v8
	;; [unrolled: 1-line block ×3, first 2 shown]
	s_delay_alu instid0(VALU_DEP_3) | instskip(SKIP_4) | instid1(VALU_DEP_2)
	v_cmp_lt_u32_e32 vcc_lo, 30, v7
	s_or_b32 s3, vcc_lo, s3
	s_waitcnt vmcnt(0) lgkmcnt(0)
	v_mul_f64 v[10:11], v[21:22], v[17:18]
	v_mul_f64 v[17:18], v[19:20], v[17:18]
	v_fma_f64 v[10:11], v[19:20], v[15:16], -v[10:11]
	s_delay_alu instid0(VALU_DEP_2) | instskip(NEXT) | instid1(VALU_DEP_2)
	v_fma_f64 v[15:16], v[21:22], v[15:16], v[17:18]
	v_add_f64 v[3:4], v[3:4], v[10:11]
	s_delay_alu instid0(VALU_DEP_2)
	v_add_f64 v[1:2], v[1:2], v[15:16]
	s_and_not1_b32 exec_lo, exec_lo, s3
	s_cbranch_execnz .LBB116_141
; %bb.142:
	s_or_b32 exec_lo, exec_lo, s3
	v_mov_b32_e32 v7, 0
	ds_load_b128 v[7:10], v7 offset:512
	s_waitcnt lgkmcnt(0)
	v_mul_f64 v[11:12], v[1:2], v[9:10]
	v_mul_f64 v[15:16], v[3:4], v[9:10]
	s_delay_alu instid0(VALU_DEP_2) | instskip(NEXT) | instid1(VALU_DEP_2)
	v_fma_f64 v[9:10], v[3:4], v[7:8], -v[11:12]
	v_fma_f64 v[11:12], v[1:2], v[7:8], v[15:16]
	scratch_store_b128 off, v[9:12], off offset:512
.LBB116_143:
	s_or_b32 exec_lo, exec_lo, s2
	s_waitcnt_vscnt null, 0x0
	s_barrier
	buffer_gl0_inv
	scratch_load_b128 v[1:4], v212, off
	s_mov_b32 s2, exec_lo
	s_waitcnt vmcnt(0)
	ds_store_b128 v5, v[1:4]
	s_waitcnt lgkmcnt(0)
	s_barrier
	buffer_gl0_inv
	v_cmpx_gt_u32_e32 33, v152
	s_cbranch_execz .LBB116_147
; %bb.144:
	v_dual_mov_b32 v1, 0 :: v_dual_add_nc_u32 v8, 0x350, v13
	v_dual_mov_b32 v2, 0 :: v_dual_add_nc_u32 v7, -1, v152
	v_or_b32_e32 v9, 8, v14
	s_mov_b32 s3, 0
	s_delay_alu instid0(VALU_DEP_2)
	v_dual_mov_b32 v4, v2 :: v_dual_mov_b32 v3, v1
	.p2align	6
.LBB116_145:                            ; =>This Inner Loop Header: Depth=1
	scratch_load_b128 v[15:18], v9, off offset:-8
	ds_load_b128 v[19:22], v8
	v_add_nc_u32_e32 v7, 1, v7
	v_add_nc_u32_e32 v8, 16, v8
	;; [unrolled: 1-line block ×3, first 2 shown]
	s_delay_alu instid0(VALU_DEP_3) | instskip(SKIP_4) | instid1(VALU_DEP_2)
	v_cmp_lt_u32_e32 vcc_lo, 31, v7
	s_or_b32 s3, vcc_lo, s3
	s_waitcnt vmcnt(0) lgkmcnt(0)
	v_mul_f64 v[10:11], v[21:22], v[17:18]
	v_mul_f64 v[17:18], v[19:20], v[17:18]
	v_fma_f64 v[10:11], v[19:20], v[15:16], -v[10:11]
	s_delay_alu instid0(VALU_DEP_2) | instskip(NEXT) | instid1(VALU_DEP_2)
	v_fma_f64 v[15:16], v[21:22], v[15:16], v[17:18]
	v_add_f64 v[3:4], v[3:4], v[10:11]
	s_delay_alu instid0(VALU_DEP_2)
	v_add_f64 v[1:2], v[1:2], v[15:16]
	s_and_not1_b32 exec_lo, exec_lo, s3
	s_cbranch_execnz .LBB116_145
; %bb.146:
	s_or_b32 exec_lo, exec_lo, s3
	v_mov_b32_e32 v7, 0
	ds_load_b128 v[7:10], v7 offset:528
	s_waitcnt lgkmcnt(0)
	v_mul_f64 v[11:12], v[1:2], v[9:10]
	v_mul_f64 v[15:16], v[3:4], v[9:10]
	s_delay_alu instid0(VALU_DEP_2) | instskip(NEXT) | instid1(VALU_DEP_2)
	v_fma_f64 v[9:10], v[3:4], v[7:8], -v[11:12]
	v_fma_f64 v[11:12], v[1:2], v[7:8], v[15:16]
	scratch_store_b128 off, v[9:12], off offset:528
.LBB116_147:
	s_or_b32 exec_lo, exec_lo, s2
	s_waitcnt_vscnt null, 0x0
	s_barrier
	buffer_gl0_inv
	scratch_load_b128 v[1:4], v211, off
	s_mov_b32 s2, exec_lo
	s_waitcnt vmcnt(0)
	ds_store_b128 v5, v[1:4]
	s_waitcnt lgkmcnt(0)
	s_barrier
	buffer_gl0_inv
	v_cmpx_gt_u32_e32 34, v152
	s_cbranch_execz .LBB116_151
; %bb.148:
	v_dual_mov_b32 v1, 0 :: v_dual_add_nc_u32 v8, 0x350, v13
	v_dual_mov_b32 v2, 0 :: v_dual_add_nc_u32 v7, -1, v152
	v_or_b32_e32 v9, 8, v14
	s_mov_b32 s3, 0
	s_delay_alu instid0(VALU_DEP_2)
	v_dual_mov_b32 v4, v2 :: v_dual_mov_b32 v3, v1
	.p2align	6
.LBB116_149:                            ; =>This Inner Loop Header: Depth=1
	scratch_load_b128 v[15:18], v9, off offset:-8
	ds_load_b128 v[19:22], v8
	v_add_nc_u32_e32 v7, 1, v7
	v_add_nc_u32_e32 v8, 16, v8
	;; [unrolled: 1-line block ×3, first 2 shown]
	s_delay_alu instid0(VALU_DEP_3) | instskip(SKIP_4) | instid1(VALU_DEP_2)
	v_cmp_lt_u32_e32 vcc_lo, 32, v7
	s_or_b32 s3, vcc_lo, s3
	s_waitcnt vmcnt(0) lgkmcnt(0)
	v_mul_f64 v[10:11], v[21:22], v[17:18]
	v_mul_f64 v[17:18], v[19:20], v[17:18]
	v_fma_f64 v[10:11], v[19:20], v[15:16], -v[10:11]
	s_delay_alu instid0(VALU_DEP_2) | instskip(NEXT) | instid1(VALU_DEP_2)
	v_fma_f64 v[15:16], v[21:22], v[15:16], v[17:18]
	v_add_f64 v[3:4], v[3:4], v[10:11]
	s_delay_alu instid0(VALU_DEP_2)
	v_add_f64 v[1:2], v[1:2], v[15:16]
	s_and_not1_b32 exec_lo, exec_lo, s3
	s_cbranch_execnz .LBB116_149
; %bb.150:
	s_or_b32 exec_lo, exec_lo, s3
	v_mov_b32_e32 v7, 0
	ds_load_b128 v[7:10], v7 offset:544
	s_waitcnt lgkmcnt(0)
	v_mul_f64 v[11:12], v[1:2], v[9:10]
	v_mul_f64 v[15:16], v[3:4], v[9:10]
	s_delay_alu instid0(VALU_DEP_2) | instskip(NEXT) | instid1(VALU_DEP_2)
	v_fma_f64 v[9:10], v[3:4], v[7:8], -v[11:12]
	v_fma_f64 v[11:12], v[1:2], v[7:8], v[15:16]
	scratch_store_b128 off, v[9:12], off offset:544
.LBB116_151:
	s_or_b32 exec_lo, exec_lo, s2
	s_waitcnt_vscnt null, 0x0
	s_barrier
	buffer_gl0_inv
	scratch_load_b128 v[1:4], v210, off
	s_mov_b32 s2, exec_lo
	s_waitcnt vmcnt(0)
	ds_store_b128 v5, v[1:4]
	s_waitcnt lgkmcnt(0)
	s_barrier
	buffer_gl0_inv
	v_cmpx_gt_u32_e32 35, v152
	s_cbranch_execz .LBB116_155
; %bb.152:
	v_dual_mov_b32 v1, 0 :: v_dual_add_nc_u32 v8, 0x350, v13
	v_dual_mov_b32 v2, 0 :: v_dual_add_nc_u32 v7, -1, v152
	v_or_b32_e32 v9, 8, v14
	s_mov_b32 s3, 0
	s_delay_alu instid0(VALU_DEP_2)
	v_dual_mov_b32 v4, v2 :: v_dual_mov_b32 v3, v1
	.p2align	6
.LBB116_153:                            ; =>This Inner Loop Header: Depth=1
	scratch_load_b128 v[15:18], v9, off offset:-8
	ds_load_b128 v[19:22], v8
	v_add_nc_u32_e32 v7, 1, v7
	v_add_nc_u32_e32 v8, 16, v8
	;; [unrolled: 1-line block ×3, first 2 shown]
	s_delay_alu instid0(VALU_DEP_3) | instskip(SKIP_4) | instid1(VALU_DEP_2)
	v_cmp_lt_u32_e32 vcc_lo, 33, v7
	s_or_b32 s3, vcc_lo, s3
	s_waitcnt vmcnt(0) lgkmcnt(0)
	v_mul_f64 v[10:11], v[21:22], v[17:18]
	v_mul_f64 v[17:18], v[19:20], v[17:18]
	v_fma_f64 v[10:11], v[19:20], v[15:16], -v[10:11]
	s_delay_alu instid0(VALU_DEP_2) | instskip(NEXT) | instid1(VALU_DEP_2)
	v_fma_f64 v[15:16], v[21:22], v[15:16], v[17:18]
	v_add_f64 v[3:4], v[3:4], v[10:11]
	s_delay_alu instid0(VALU_DEP_2)
	v_add_f64 v[1:2], v[1:2], v[15:16]
	s_and_not1_b32 exec_lo, exec_lo, s3
	s_cbranch_execnz .LBB116_153
; %bb.154:
	s_or_b32 exec_lo, exec_lo, s3
	v_mov_b32_e32 v7, 0
	ds_load_b128 v[7:10], v7 offset:560
	s_waitcnt lgkmcnt(0)
	v_mul_f64 v[11:12], v[1:2], v[9:10]
	v_mul_f64 v[15:16], v[3:4], v[9:10]
	s_delay_alu instid0(VALU_DEP_2) | instskip(NEXT) | instid1(VALU_DEP_2)
	v_fma_f64 v[9:10], v[3:4], v[7:8], -v[11:12]
	v_fma_f64 v[11:12], v[1:2], v[7:8], v[15:16]
	scratch_store_b128 off, v[9:12], off offset:560
.LBB116_155:
	s_or_b32 exec_lo, exec_lo, s2
	s_waitcnt_vscnt null, 0x0
	s_barrier
	buffer_gl0_inv
	scratch_load_b128 v[1:4], v209, off
	s_mov_b32 s2, exec_lo
	s_waitcnt vmcnt(0)
	ds_store_b128 v5, v[1:4]
	s_waitcnt lgkmcnt(0)
	s_barrier
	buffer_gl0_inv
	v_cmpx_gt_u32_e32 36, v152
	s_cbranch_execz .LBB116_159
; %bb.156:
	v_dual_mov_b32 v1, 0 :: v_dual_add_nc_u32 v8, 0x350, v13
	v_dual_mov_b32 v2, 0 :: v_dual_add_nc_u32 v7, -1, v152
	v_or_b32_e32 v9, 8, v14
	s_mov_b32 s3, 0
	s_delay_alu instid0(VALU_DEP_2)
	v_dual_mov_b32 v4, v2 :: v_dual_mov_b32 v3, v1
	.p2align	6
.LBB116_157:                            ; =>This Inner Loop Header: Depth=1
	scratch_load_b128 v[15:18], v9, off offset:-8
	ds_load_b128 v[19:22], v8
	v_add_nc_u32_e32 v7, 1, v7
	v_add_nc_u32_e32 v8, 16, v8
	;; [unrolled: 1-line block ×3, first 2 shown]
	s_delay_alu instid0(VALU_DEP_3) | instskip(SKIP_4) | instid1(VALU_DEP_2)
	v_cmp_lt_u32_e32 vcc_lo, 34, v7
	s_or_b32 s3, vcc_lo, s3
	s_waitcnt vmcnt(0) lgkmcnt(0)
	v_mul_f64 v[10:11], v[21:22], v[17:18]
	v_mul_f64 v[17:18], v[19:20], v[17:18]
	v_fma_f64 v[10:11], v[19:20], v[15:16], -v[10:11]
	s_delay_alu instid0(VALU_DEP_2) | instskip(NEXT) | instid1(VALU_DEP_2)
	v_fma_f64 v[15:16], v[21:22], v[15:16], v[17:18]
	v_add_f64 v[3:4], v[3:4], v[10:11]
	s_delay_alu instid0(VALU_DEP_2)
	v_add_f64 v[1:2], v[1:2], v[15:16]
	s_and_not1_b32 exec_lo, exec_lo, s3
	s_cbranch_execnz .LBB116_157
; %bb.158:
	s_or_b32 exec_lo, exec_lo, s3
	v_mov_b32_e32 v7, 0
	ds_load_b128 v[7:10], v7 offset:576
	s_waitcnt lgkmcnt(0)
	v_mul_f64 v[11:12], v[1:2], v[9:10]
	v_mul_f64 v[15:16], v[3:4], v[9:10]
	s_delay_alu instid0(VALU_DEP_2) | instskip(NEXT) | instid1(VALU_DEP_2)
	v_fma_f64 v[9:10], v[3:4], v[7:8], -v[11:12]
	v_fma_f64 v[11:12], v[1:2], v[7:8], v[15:16]
	scratch_store_b128 off, v[9:12], off offset:576
.LBB116_159:
	s_or_b32 exec_lo, exec_lo, s2
	s_waitcnt_vscnt null, 0x0
	s_barrier
	buffer_gl0_inv
	scratch_load_b128 v[1:4], v208, off
	s_mov_b32 s2, exec_lo
	s_waitcnt vmcnt(0)
	ds_store_b128 v5, v[1:4]
	s_waitcnt lgkmcnt(0)
	s_barrier
	buffer_gl0_inv
	v_cmpx_gt_u32_e32 37, v152
	s_cbranch_execz .LBB116_163
; %bb.160:
	v_dual_mov_b32 v1, 0 :: v_dual_add_nc_u32 v8, 0x350, v13
	v_dual_mov_b32 v2, 0 :: v_dual_add_nc_u32 v7, -1, v152
	v_or_b32_e32 v9, 8, v14
	s_mov_b32 s3, 0
	s_delay_alu instid0(VALU_DEP_2)
	v_dual_mov_b32 v4, v2 :: v_dual_mov_b32 v3, v1
	.p2align	6
.LBB116_161:                            ; =>This Inner Loop Header: Depth=1
	scratch_load_b128 v[15:18], v9, off offset:-8
	ds_load_b128 v[19:22], v8
	v_add_nc_u32_e32 v7, 1, v7
	v_add_nc_u32_e32 v8, 16, v8
	;; [unrolled: 1-line block ×3, first 2 shown]
	s_delay_alu instid0(VALU_DEP_3) | instskip(SKIP_4) | instid1(VALU_DEP_2)
	v_cmp_lt_u32_e32 vcc_lo, 35, v7
	s_or_b32 s3, vcc_lo, s3
	s_waitcnt vmcnt(0) lgkmcnt(0)
	v_mul_f64 v[10:11], v[21:22], v[17:18]
	v_mul_f64 v[17:18], v[19:20], v[17:18]
	v_fma_f64 v[10:11], v[19:20], v[15:16], -v[10:11]
	s_delay_alu instid0(VALU_DEP_2) | instskip(NEXT) | instid1(VALU_DEP_2)
	v_fma_f64 v[15:16], v[21:22], v[15:16], v[17:18]
	v_add_f64 v[3:4], v[3:4], v[10:11]
	s_delay_alu instid0(VALU_DEP_2)
	v_add_f64 v[1:2], v[1:2], v[15:16]
	s_and_not1_b32 exec_lo, exec_lo, s3
	s_cbranch_execnz .LBB116_161
; %bb.162:
	s_or_b32 exec_lo, exec_lo, s3
	v_mov_b32_e32 v7, 0
	ds_load_b128 v[7:10], v7 offset:592
	s_waitcnt lgkmcnt(0)
	v_mul_f64 v[11:12], v[1:2], v[9:10]
	v_mul_f64 v[15:16], v[3:4], v[9:10]
	s_delay_alu instid0(VALU_DEP_2) | instskip(NEXT) | instid1(VALU_DEP_2)
	v_fma_f64 v[9:10], v[3:4], v[7:8], -v[11:12]
	v_fma_f64 v[11:12], v[1:2], v[7:8], v[15:16]
	scratch_store_b128 off, v[9:12], off offset:592
.LBB116_163:
	s_or_b32 exec_lo, exec_lo, s2
	s_waitcnt_vscnt null, 0x0
	s_barrier
	buffer_gl0_inv
	scratch_load_b128 v[1:4], v207, off
	s_mov_b32 s2, exec_lo
	s_waitcnt vmcnt(0)
	ds_store_b128 v5, v[1:4]
	s_waitcnt lgkmcnt(0)
	s_barrier
	buffer_gl0_inv
	v_cmpx_gt_u32_e32 38, v152
	s_cbranch_execz .LBB116_167
; %bb.164:
	v_dual_mov_b32 v1, 0 :: v_dual_add_nc_u32 v8, 0x350, v13
	v_dual_mov_b32 v2, 0 :: v_dual_add_nc_u32 v7, -1, v152
	v_or_b32_e32 v9, 8, v14
	s_mov_b32 s3, 0
	s_delay_alu instid0(VALU_DEP_2)
	v_dual_mov_b32 v4, v2 :: v_dual_mov_b32 v3, v1
	.p2align	6
.LBB116_165:                            ; =>This Inner Loop Header: Depth=1
	scratch_load_b128 v[15:18], v9, off offset:-8
	ds_load_b128 v[19:22], v8
	v_add_nc_u32_e32 v7, 1, v7
	v_add_nc_u32_e32 v8, 16, v8
	;; [unrolled: 1-line block ×3, first 2 shown]
	s_delay_alu instid0(VALU_DEP_3) | instskip(SKIP_4) | instid1(VALU_DEP_2)
	v_cmp_lt_u32_e32 vcc_lo, 36, v7
	s_or_b32 s3, vcc_lo, s3
	s_waitcnt vmcnt(0) lgkmcnt(0)
	v_mul_f64 v[10:11], v[21:22], v[17:18]
	v_mul_f64 v[17:18], v[19:20], v[17:18]
	v_fma_f64 v[10:11], v[19:20], v[15:16], -v[10:11]
	s_delay_alu instid0(VALU_DEP_2) | instskip(NEXT) | instid1(VALU_DEP_2)
	v_fma_f64 v[15:16], v[21:22], v[15:16], v[17:18]
	v_add_f64 v[3:4], v[3:4], v[10:11]
	s_delay_alu instid0(VALU_DEP_2)
	v_add_f64 v[1:2], v[1:2], v[15:16]
	s_and_not1_b32 exec_lo, exec_lo, s3
	s_cbranch_execnz .LBB116_165
; %bb.166:
	s_or_b32 exec_lo, exec_lo, s3
	v_mov_b32_e32 v7, 0
	ds_load_b128 v[7:10], v7 offset:608
	s_waitcnt lgkmcnt(0)
	v_mul_f64 v[11:12], v[1:2], v[9:10]
	v_mul_f64 v[15:16], v[3:4], v[9:10]
	s_delay_alu instid0(VALU_DEP_2) | instskip(NEXT) | instid1(VALU_DEP_2)
	v_fma_f64 v[9:10], v[3:4], v[7:8], -v[11:12]
	v_fma_f64 v[11:12], v[1:2], v[7:8], v[15:16]
	scratch_store_b128 off, v[9:12], off offset:608
.LBB116_167:
	s_or_b32 exec_lo, exec_lo, s2
	s_waitcnt_vscnt null, 0x0
	s_barrier
	buffer_gl0_inv
	scratch_load_b128 v[1:4], v206, off
	s_mov_b32 s2, exec_lo
	s_waitcnt vmcnt(0)
	ds_store_b128 v5, v[1:4]
	s_waitcnt lgkmcnt(0)
	s_barrier
	buffer_gl0_inv
	v_cmpx_gt_u32_e32 39, v152
	s_cbranch_execz .LBB116_171
; %bb.168:
	v_dual_mov_b32 v1, 0 :: v_dual_add_nc_u32 v8, 0x350, v13
	v_dual_mov_b32 v2, 0 :: v_dual_add_nc_u32 v7, -1, v152
	v_or_b32_e32 v9, 8, v14
	s_mov_b32 s3, 0
	s_delay_alu instid0(VALU_DEP_2)
	v_dual_mov_b32 v4, v2 :: v_dual_mov_b32 v3, v1
	.p2align	6
.LBB116_169:                            ; =>This Inner Loop Header: Depth=1
	scratch_load_b128 v[15:18], v9, off offset:-8
	ds_load_b128 v[19:22], v8
	v_add_nc_u32_e32 v7, 1, v7
	v_add_nc_u32_e32 v8, 16, v8
	;; [unrolled: 1-line block ×3, first 2 shown]
	s_delay_alu instid0(VALU_DEP_3) | instskip(SKIP_4) | instid1(VALU_DEP_2)
	v_cmp_lt_u32_e32 vcc_lo, 37, v7
	s_or_b32 s3, vcc_lo, s3
	s_waitcnt vmcnt(0) lgkmcnt(0)
	v_mul_f64 v[10:11], v[21:22], v[17:18]
	v_mul_f64 v[17:18], v[19:20], v[17:18]
	v_fma_f64 v[10:11], v[19:20], v[15:16], -v[10:11]
	s_delay_alu instid0(VALU_DEP_2) | instskip(NEXT) | instid1(VALU_DEP_2)
	v_fma_f64 v[15:16], v[21:22], v[15:16], v[17:18]
	v_add_f64 v[3:4], v[3:4], v[10:11]
	s_delay_alu instid0(VALU_DEP_2)
	v_add_f64 v[1:2], v[1:2], v[15:16]
	s_and_not1_b32 exec_lo, exec_lo, s3
	s_cbranch_execnz .LBB116_169
; %bb.170:
	s_or_b32 exec_lo, exec_lo, s3
	v_mov_b32_e32 v7, 0
	ds_load_b128 v[7:10], v7 offset:624
	s_waitcnt lgkmcnt(0)
	v_mul_f64 v[11:12], v[1:2], v[9:10]
	v_mul_f64 v[15:16], v[3:4], v[9:10]
	s_delay_alu instid0(VALU_DEP_2) | instskip(NEXT) | instid1(VALU_DEP_2)
	v_fma_f64 v[9:10], v[3:4], v[7:8], -v[11:12]
	v_fma_f64 v[11:12], v[1:2], v[7:8], v[15:16]
	scratch_store_b128 off, v[9:12], off offset:624
.LBB116_171:
	s_or_b32 exec_lo, exec_lo, s2
	s_waitcnt_vscnt null, 0x0
	s_barrier
	buffer_gl0_inv
	scratch_load_b128 v[1:4], v154, off
	s_mov_b32 s2, exec_lo
	s_waitcnt vmcnt(0)
	ds_store_b128 v5, v[1:4]
	s_waitcnt lgkmcnt(0)
	s_barrier
	buffer_gl0_inv
	v_cmpx_gt_u32_e32 40, v152
	s_cbranch_execz .LBB116_175
; %bb.172:
	v_dual_mov_b32 v1, 0 :: v_dual_add_nc_u32 v8, 0x350, v13
	v_dual_mov_b32 v2, 0 :: v_dual_add_nc_u32 v7, -1, v152
	v_or_b32_e32 v9, 8, v14
	s_mov_b32 s3, 0
	s_delay_alu instid0(VALU_DEP_2)
	v_dual_mov_b32 v4, v2 :: v_dual_mov_b32 v3, v1
	.p2align	6
.LBB116_173:                            ; =>This Inner Loop Header: Depth=1
	scratch_load_b128 v[15:18], v9, off offset:-8
	ds_load_b128 v[19:22], v8
	v_add_nc_u32_e32 v7, 1, v7
	v_add_nc_u32_e32 v8, 16, v8
	;; [unrolled: 1-line block ×3, first 2 shown]
	s_delay_alu instid0(VALU_DEP_3) | instskip(SKIP_4) | instid1(VALU_DEP_2)
	v_cmp_lt_u32_e32 vcc_lo, 38, v7
	s_or_b32 s3, vcc_lo, s3
	s_waitcnt vmcnt(0) lgkmcnt(0)
	v_mul_f64 v[10:11], v[21:22], v[17:18]
	v_mul_f64 v[17:18], v[19:20], v[17:18]
	v_fma_f64 v[10:11], v[19:20], v[15:16], -v[10:11]
	s_delay_alu instid0(VALU_DEP_2) | instskip(NEXT) | instid1(VALU_DEP_2)
	v_fma_f64 v[15:16], v[21:22], v[15:16], v[17:18]
	v_add_f64 v[3:4], v[3:4], v[10:11]
	s_delay_alu instid0(VALU_DEP_2)
	v_add_f64 v[1:2], v[1:2], v[15:16]
	s_and_not1_b32 exec_lo, exec_lo, s3
	s_cbranch_execnz .LBB116_173
; %bb.174:
	s_or_b32 exec_lo, exec_lo, s3
	v_mov_b32_e32 v7, 0
	ds_load_b128 v[7:10], v7 offset:640
	s_waitcnt lgkmcnt(0)
	v_mul_f64 v[11:12], v[1:2], v[9:10]
	v_mul_f64 v[15:16], v[3:4], v[9:10]
	s_delay_alu instid0(VALU_DEP_2) | instskip(NEXT) | instid1(VALU_DEP_2)
	v_fma_f64 v[9:10], v[3:4], v[7:8], -v[11:12]
	v_fma_f64 v[11:12], v[1:2], v[7:8], v[15:16]
	scratch_store_b128 off, v[9:12], off offset:640
.LBB116_175:
	s_or_b32 exec_lo, exec_lo, s2
	s_waitcnt_vscnt null, 0x0
	s_barrier
	buffer_gl0_inv
	scratch_load_b128 v[1:4], v153, off
	s_mov_b32 s2, exec_lo
	s_waitcnt vmcnt(0)
	ds_store_b128 v5, v[1:4]
	s_waitcnt lgkmcnt(0)
	s_barrier
	buffer_gl0_inv
	v_cmpx_gt_u32_e32 41, v152
	s_cbranch_execz .LBB116_179
; %bb.176:
	v_dual_mov_b32 v1, 0 :: v_dual_add_nc_u32 v8, 0x350, v13
	v_dual_mov_b32 v2, 0 :: v_dual_add_nc_u32 v7, -1, v152
	v_or_b32_e32 v9, 8, v14
	s_mov_b32 s3, 0
	s_delay_alu instid0(VALU_DEP_2)
	v_dual_mov_b32 v4, v2 :: v_dual_mov_b32 v3, v1
	.p2align	6
.LBB116_177:                            ; =>This Inner Loop Header: Depth=1
	scratch_load_b128 v[15:18], v9, off offset:-8
	ds_load_b128 v[19:22], v8
	v_add_nc_u32_e32 v7, 1, v7
	v_add_nc_u32_e32 v8, 16, v8
	;; [unrolled: 1-line block ×3, first 2 shown]
	s_delay_alu instid0(VALU_DEP_3) | instskip(SKIP_4) | instid1(VALU_DEP_2)
	v_cmp_lt_u32_e32 vcc_lo, 39, v7
	s_or_b32 s3, vcc_lo, s3
	s_waitcnt vmcnt(0) lgkmcnt(0)
	v_mul_f64 v[10:11], v[21:22], v[17:18]
	v_mul_f64 v[17:18], v[19:20], v[17:18]
	v_fma_f64 v[10:11], v[19:20], v[15:16], -v[10:11]
	s_delay_alu instid0(VALU_DEP_2) | instskip(NEXT) | instid1(VALU_DEP_2)
	v_fma_f64 v[15:16], v[21:22], v[15:16], v[17:18]
	v_add_f64 v[3:4], v[3:4], v[10:11]
	s_delay_alu instid0(VALU_DEP_2)
	v_add_f64 v[1:2], v[1:2], v[15:16]
	s_and_not1_b32 exec_lo, exec_lo, s3
	s_cbranch_execnz .LBB116_177
; %bb.178:
	s_or_b32 exec_lo, exec_lo, s3
	v_mov_b32_e32 v7, 0
	ds_load_b128 v[7:10], v7 offset:656
	s_waitcnt lgkmcnt(0)
	v_mul_f64 v[11:12], v[1:2], v[9:10]
	v_mul_f64 v[15:16], v[3:4], v[9:10]
	s_delay_alu instid0(VALU_DEP_2) | instskip(NEXT) | instid1(VALU_DEP_2)
	v_fma_f64 v[9:10], v[3:4], v[7:8], -v[11:12]
	v_fma_f64 v[11:12], v[1:2], v[7:8], v[15:16]
	scratch_store_b128 off, v[9:12], off offset:656
.LBB116_179:
	s_or_b32 exec_lo, exec_lo, s2
	s_waitcnt_vscnt null, 0x0
	s_barrier
	buffer_gl0_inv
	scratch_load_b128 v[1:4], v177, off
	s_mov_b32 s2, exec_lo
	s_waitcnt vmcnt(0)
	ds_store_b128 v5, v[1:4]
	s_waitcnt lgkmcnt(0)
	s_barrier
	buffer_gl0_inv
	v_cmpx_gt_u32_e32 42, v152
	s_cbranch_execz .LBB116_183
; %bb.180:
	v_dual_mov_b32 v1, 0 :: v_dual_add_nc_u32 v8, 0x350, v13
	v_dual_mov_b32 v2, 0 :: v_dual_add_nc_u32 v7, -1, v152
	v_or_b32_e32 v9, 8, v14
	s_mov_b32 s3, 0
	s_delay_alu instid0(VALU_DEP_2)
	v_dual_mov_b32 v4, v2 :: v_dual_mov_b32 v3, v1
	.p2align	6
.LBB116_181:                            ; =>This Inner Loop Header: Depth=1
	scratch_load_b128 v[15:18], v9, off offset:-8
	ds_load_b128 v[19:22], v8
	v_add_nc_u32_e32 v7, 1, v7
	v_add_nc_u32_e32 v8, 16, v8
	;; [unrolled: 1-line block ×3, first 2 shown]
	s_delay_alu instid0(VALU_DEP_3) | instskip(SKIP_4) | instid1(VALU_DEP_2)
	v_cmp_lt_u32_e32 vcc_lo, 40, v7
	s_or_b32 s3, vcc_lo, s3
	s_waitcnt vmcnt(0) lgkmcnt(0)
	v_mul_f64 v[10:11], v[21:22], v[17:18]
	v_mul_f64 v[17:18], v[19:20], v[17:18]
	v_fma_f64 v[10:11], v[19:20], v[15:16], -v[10:11]
	s_delay_alu instid0(VALU_DEP_2) | instskip(NEXT) | instid1(VALU_DEP_2)
	v_fma_f64 v[15:16], v[21:22], v[15:16], v[17:18]
	v_add_f64 v[3:4], v[3:4], v[10:11]
	s_delay_alu instid0(VALU_DEP_2)
	v_add_f64 v[1:2], v[1:2], v[15:16]
	s_and_not1_b32 exec_lo, exec_lo, s3
	s_cbranch_execnz .LBB116_181
; %bb.182:
	s_or_b32 exec_lo, exec_lo, s3
	v_mov_b32_e32 v7, 0
	ds_load_b128 v[7:10], v7 offset:672
	s_waitcnt lgkmcnt(0)
	v_mul_f64 v[11:12], v[1:2], v[9:10]
	v_mul_f64 v[15:16], v[3:4], v[9:10]
	s_delay_alu instid0(VALU_DEP_2) | instskip(NEXT) | instid1(VALU_DEP_2)
	v_fma_f64 v[9:10], v[3:4], v[7:8], -v[11:12]
	v_fma_f64 v[11:12], v[1:2], v[7:8], v[15:16]
	scratch_store_b128 off, v[9:12], off offset:672
.LBB116_183:
	s_or_b32 exec_lo, exec_lo, s2
	s_waitcnt_vscnt null, 0x0
	s_barrier
	buffer_gl0_inv
	scratch_load_b128 v[1:4], v198, off
	s_mov_b32 s2, exec_lo
	s_waitcnt vmcnt(0)
	ds_store_b128 v5, v[1:4]
	s_waitcnt lgkmcnt(0)
	s_barrier
	buffer_gl0_inv
	v_cmpx_gt_u32_e32 43, v152
	s_cbranch_execz .LBB116_187
; %bb.184:
	v_dual_mov_b32 v1, 0 :: v_dual_add_nc_u32 v8, 0x350, v13
	v_dual_mov_b32 v2, 0 :: v_dual_add_nc_u32 v7, -1, v152
	v_or_b32_e32 v9, 8, v14
	s_mov_b32 s3, 0
	s_delay_alu instid0(VALU_DEP_2)
	v_dual_mov_b32 v4, v2 :: v_dual_mov_b32 v3, v1
	.p2align	6
.LBB116_185:                            ; =>This Inner Loop Header: Depth=1
	scratch_load_b128 v[15:18], v9, off offset:-8
	ds_load_b128 v[19:22], v8
	v_add_nc_u32_e32 v7, 1, v7
	v_add_nc_u32_e32 v8, 16, v8
	;; [unrolled: 1-line block ×3, first 2 shown]
	s_delay_alu instid0(VALU_DEP_3) | instskip(SKIP_4) | instid1(VALU_DEP_2)
	v_cmp_lt_u32_e32 vcc_lo, 41, v7
	s_or_b32 s3, vcc_lo, s3
	s_waitcnt vmcnt(0) lgkmcnt(0)
	v_mul_f64 v[10:11], v[21:22], v[17:18]
	v_mul_f64 v[17:18], v[19:20], v[17:18]
	v_fma_f64 v[10:11], v[19:20], v[15:16], -v[10:11]
	s_delay_alu instid0(VALU_DEP_2) | instskip(NEXT) | instid1(VALU_DEP_2)
	v_fma_f64 v[15:16], v[21:22], v[15:16], v[17:18]
	v_add_f64 v[3:4], v[3:4], v[10:11]
	s_delay_alu instid0(VALU_DEP_2)
	v_add_f64 v[1:2], v[1:2], v[15:16]
	s_and_not1_b32 exec_lo, exec_lo, s3
	s_cbranch_execnz .LBB116_185
; %bb.186:
	s_or_b32 exec_lo, exec_lo, s3
	v_mov_b32_e32 v7, 0
	ds_load_b128 v[7:10], v7 offset:688
	s_waitcnt lgkmcnt(0)
	v_mul_f64 v[11:12], v[1:2], v[9:10]
	v_mul_f64 v[15:16], v[3:4], v[9:10]
	s_delay_alu instid0(VALU_DEP_2) | instskip(NEXT) | instid1(VALU_DEP_2)
	v_fma_f64 v[9:10], v[3:4], v[7:8], -v[11:12]
	v_fma_f64 v[11:12], v[1:2], v[7:8], v[15:16]
	scratch_store_b128 off, v[9:12], off offset:688
.LBB116_187:
	s_or_b32 exec_lo, exec_lo, s2
	s_waitcnt_vscnt null, 0x0
	s_barrier
	buffer_gl0_inv
	scratch_load_b128 v[1:4], v163, off
	s_mov_b32 s2, exec_lo
	s_waitcnt vmcnt(0)
	ds_store_b128 v5, v[1:4]
	s_waitcnt lgkmcnt(0)
	s_barrier
	buffer_gl0_inv
	v_cmpx_gt_u32_e32 44, v152
	s_cbranch_execz .LBB116_191
; %bb.188:
	v_dual_mov_b32 v1, 0 :: v_dual_add_nc_u32 v8, 0x350, v13
	v_dual_mov_b32 v2, 0 :: v_dual_add_nc_u32 v7, -1, v152
	v_or_b32_e32 v9, 8, v14
	s_mov_b32 s3, 0
	s_delay_alu instid0(VALU_DEP_2)
	v_dual_mov_b32 v4, v2 :: v_dual_mov_b32 v3, v1
	.p2align	6
.LBB116_189:                            ; =>This Inner Loop Header: Depth=1
	scratch_load_b128 v[15:18], v9, off offset:-8
	ds_load_b128 v[19:22], v8
	v_add_nc_u32_e32 v7, 1, v7
	v_add_nc_u32_e32 v8, 16, v8
	;; [unrolled: 1-line block ×3, first 2 shown]
	s_delay_alu instid0(VALU_DEP_3) | instskip(SKIP_4) | instid1(VALU_DEP_2)
	v_cmp_lt_u32_e32 vcc_lo, 42, v7
	s_or_b32 s3, vcc_lo, s3
	s_waitcnt vmcnt(0) lgkmcnt(0)
	v_mul_f64 v[10:11], v[21:22], v[17:18]
	v_mul_f64 v[17:18], v[19:20], v[17:18]
	v_fma_f64 v[10:11], v[19:20], v[15:16], -v[10:11]
	s_delay_alu instid0(VALU_DEP_2) | instskip(NEXT) | instid1(VALU_DEP_2)
	v_fma_f64 v[15:16], v[21:22], v[15:16], v[17:18]
	v_add_f64 v[3:4], v[3:4], v[10:11]
	s_delay_alu instid0(VALU_DEP_2)
	v_add_f64 v[1:2], v[1:2], v[15:16]
	s_and_not1_b32 exec_lo, exec_lo, s3
	s_cbranch_execnz .LBB116_189
; %bb.190:
	s_or_b32 exec_lo, exec_lo, s3
	v_mov_b32_e32 v7, 0
	ds_load_b128 v[7:10], v7 offset:704
	s_waitcnt lgkmcnt(0)
	v_mul_f64 v[11:12], v[1:2], v[9:10]
	v_mul_f64 v[15:16], v[3:4], v[9:10]
	s_delay_alu instid0(VALU_DEP_2) | instskip(NEXT) | instid1(VALU_DEP_2)
	v_fma_f64 v[9:10], v[3:4], v[7:8], -v[11:12]
	v_fma_f64 v[11:12], v[1:2], v[7:8], v[15:16]
	scratch_store_b128 off, v[9:12], off offset:704
.LBB116_191:
	s_or_b32 exec_lo, exec_lo, s2
	s_waitcnt_vscnt null, 0x0
	s_barrier
	buffer_gl0_inv
	scratch_load_b128 v[1:4], v162, off
	s_mov_b32 s2, exec_lo
	s_waitcnt vmcnt(0)
	ds_store_b128 v5, v[1:4]
	s_waitcnt lgkmcnt(0)
	s_barrier
	buffer_gl0_inv
	v_cmpx_gt_u32_e32 45, v152
	s_cbranch_execz .LBB116_195
; %bb.192:
	v_dual_mov_b32 v1, 0 :: v_dual_add_nc_u32 v8, 0x350, v13
	v_dual_mov_b32 v2, 0 :: v_dual_add_nc_u32 v7, -1, v152
	v_or_b32_e32 v9, 8, v14
	s_mov_b32 s3, 0
	s_delay_alu instid0(VALU_DEP_2)
	v_dual_mov_b32 v4, v2 :: v_dual_mov_b32 v3, v1
	.p2align	6
.LBB116_193:                            ; =>This Inner Loop Header: Depth=1
	scratch_load_b128 v[15:18], v9, off offset:-8
	ds_load_b128 v[19:22], v8
	v_add_nc_u32_e32 v7, 1, v7
	v_add_nc_u32_e32 v8, 16, v8
	;; [unrolled: 1-line block ×3, first 2 shown]
	s_delay_alu instid0(VALU_DEP_3) | instskip(SKIP_4) | instid1(VALU_DEP_2)
	v_cmp_lt_u32_e32 vcc_lo, 43, v7
	s_or_b32 s3, vcc_lo, s3
	s_waitcnt vmcnt(0) lgkmcnt(0)
	v_mul_f64 v[10:11], v[21:22], v[17:18]
	v_mul_f64 v[17:18], v[19:20], v[17:18]
	v_fma_f64 v[10:11], v[19:20], v[15:16], -v[10:11]
	s_delay_alu instid0(VALU_DEP_2) | instskip(NEXT) | instid1(VALU_DEP_2)
	v_fma_f64 v[15:16], v[21:22], v[15:16], v[17:18]
	v_add_f64 v[3:4], v[3:4], v[10:11]
	s_delay_alu instid0(VALU_DEP_2)
	v_add_f64 v[1:2], v[1:2], v[15:16]
	s_and_not1_b32 exec_lo, exec_lo, s3
	s_cbranch_execnz .LBB116_193
; %bb.194:
	s_or_b32 exec_lo, exec_lo, s3
	v_mov_b32_e32 v7, 0
	ds_load_b128 v[7:10], v7 offset:720
	s_waitcnt lgkmcnt(0)
	v_mul_f64 v[11:12], v[1:2], v[9:10]
	v_mul_f64 v[15:16], v[3:4], v[9:10]
	s_delay_alu instid0(VALU_DEP_2) | instskip(NEXT) | instid1(VALU_DEP_2)
	v_fma_f64 v[9:10], v[3:4], v[7:8], -v[11:12]
	v_fma_f64 v[11:12], v[1:2], v[7:8], v[15:16]
	scratch_store_b128 off, v[9:12], off offset:720
.LBB116_195:
	s_or_b32 exec_lo, exec_lo, s2
	s_waitcnt_vscnt null, 0x0
	s_barrier
	buffer_gl0_inv
	scratch_load_b128 v[1:4], v160, off
	s_mov_b32 s2, exec_lo
	s_waitcnt vmcnt(0)
	ds_store_b128 v5, v[1:4]
	s_waitcnt lgkmcnt(0)
	s_barrier
	buffer_gl0_inv
	v_cmpx_gt_u32_e32 46, v152
	s_cbranch_execz .LBB116_199
; %bb.196:
	v_dual_mov_b32 v1, 0 :: v_dual_add_nc_u32 v8, 0x350, v13
	v_dual_mov_b32 v2, 0 :: v_dual_add_nc_u32 v7, -1, v152
	v_or_b32_e32 v9, 8, v14
	s_mov_b32 s3, 0
	s_delay_alu instid0(VALU_DEP_2)
	v_dual_mov_b32 v4, v2 :: v_dual_mov_b32 v3, v1
	.p2align	6
.LBB116_197:                            ; =>This Inner Loop Header: Depth=1
	scratch_load_b128 v[15:18], v9, off offset:-8
	ds_load_b128 v[19:22], v8
	v_add_nc_u32_e32 v7, 1, v7
	v_add_nc_u32_e32 v8, 16, v8
	;; [unrolled: 1-line block ×3, first 2 shown]
	s_delay_alu instid0(VALU_DEP_3) | instskip(SKIP_4) | instid1(VALU_DEP_2)
	v_cmp_lt_u32_e32 vcc_lo, 44, v7
	s_or_b32 s3, vcc_lo, s3
	s_waitcnt vmcnt(0) lgkmcnt(0)
	v_mul_f64 v[10:11], v[21:22], v[17:18]
	v_mul_f64 v[17:18], v[19:20], v[17:18]
	v_fma_f64 v[10:11], v[19:20], v[15:16], -v[10:11]
	s_delay_alu instid0(VALU_DEP_2) | instskip(NEXT) | instid1(VALU_DEP_2)
	v_fma_f64 v[15:16], v[21:22], v[15:16], v[17:18]
	v_add_f64 v[3:4], v[3:4], v[10:11]
	s_delay_alu instid0(VALU_DEP_2)
	v_add_f64 v[1:2], v[1:2], v[15:16]
	s_and_not1_b32 exec_lo, exec_lo, s3
	s_cbranch_execnz .LBB116_197
; %bb.198:
	s_or_b32 exec_lo, exec_lo, s3
	v_mov_b32_e32 v7, 0
	ds_load_b128 v[7:10], v7 offset:736
	s_waitcnt lgkmcnt(0)
	v_mul_f64 v[11:12], v[1:2], v[9:10]
	v_mul_f64 v[15:16], v[3:4], v[9:10]
	s_delay_alu instid0(VALU_DEP_2) | instskip(NEXT) | instid1(VALU_DEP_2)
	v_fma_f64 v[9:10], v[3:4], v[7:8], -v[11:12]
	v_fma_f64 v[11:12], v[1:2], v[7:8], v[15:16]
	scratch_store_b128 off, v[9:12], off offset:736
.LBB116_199:
	s_or_b32 exec_lo, exec_lo, s2
	s_waitcnt_vscnt null, 0x0
	s_barrier
	buffer_gl0_inv
	scratch_load_b128 v[1:4], v158, off
	s_mov_b32 s2, exec_lo
	s_waitcnt vmcnt(0)
	ds_store_b128 v5, v[1:4]
	s_waitcnt lgkmcnt(0)
	s_barrier
	buffer_gl0_inv
	v_cmpx_gt_u32_e32 47, v152
	s_cbranch_execz .LBB116_203
; %bb.200:
	v_dual_mov_b32 v1, 0 :: v_dual_add_nc_u32 v8, 0x350, v13
	v_dual_mov_b32 v2, 0 :: v_dual_add_nc_u32 v7, -1, v152
	v_or_b32_e32 v9, 8, v14
	s_mov_b32 s3, 0
	s_delay_alu instid0(VALU_DEP_2)
	v_dual_mov_b32 v4, v2 :: v_dual_mov_b32 v3, v1
	.p2align	6
.LBB116_201:                            ; =>This Inner Loop Header: Depth=1
	scratch_load_b128 v[15:18], v9, off offset:-8
	ds_load_b128 v[19:22], v8
	v_add_nc_u32_e32 v7, 1, v7
	v_add_nc_u32_e32 v8, 16, v8
	;; [unrolled: 1-line block ×3, first 2 shown]
	s_delay_alu instid0(VALU_DEP_3) | instskip(SKIP_4) | instid1(VALU_DEP_2)
	v_cmp_lt_u32_e32 vcc_lo, 45, v7
	s_or_b32 s3, vcc_lo, s3
	s_waitcnt vmcnt(0) lgkmcnt(0)
	v_mul_f64 v[10:11], v[21:22], v[17:18]
	v_mul_f64 v[17:18], v[19:20], v[17:18]
	v_fma_f64 v[10:11], v[19:20], v[15:16], -v[10:11]
	s_delay_alu instid0(VALU_DEP_2) | instskip(NEXT) | instid1(VALU_DEP_2)
	v_fma_f64 v[15:16], v[21:22], v[15:16], v[17:18]
	v_add_f64 v[3:4], v[3:4], v[10:11]
	s_delay_alu instid0(VALU_DEP_2)
	v_add_f64 v[1:2], v[1:2], v[15:16]
	s_and_not1_b32 exec_lo, exec_lo, s3
	s_cbranch_execnz .LBB116_201
; %bb.202:
	s_or_b32 exec_lo, exec_lo, s3
	v_mov_b32_e32 v7, 0
	ds_load_b128 v[7:10], v7 offset:752
	s_waitcnt lgkmcnt(0)
	v_mul_f64 v[11:12], v[1:2], v[9:10]
	v_mul_f64 v[15:16], v[3:4], v[9:10]
	s_delay_alu instid0(VALU_DEP_2) | instskip(NEXT) | instid1(VALU_DEP_2)
	v_fma_f64 v[9:10], v[3:4], v[7:8], -v[11:12]
	v_fma_f64 v[11:12], v[1:2], v[7:8], v[15:16]
	scratch_store_b128 off, v[9:12], off offset:752
.LBB116_203:
	s_or_b32 exec_lo, exec_lo, s2
	s_waitcnt_vscnt null, 0x0
	s_barrier
	buffer_gl0_inv
	scratch_load_b128 v[1:4], v156, off
	s_mov_b32 s2, exec_lo
	s_waitcnt vmcnt(0)
	ds_store_b128 v5, v[1:4]
	s_waitcnt lgkmcnt(0)
	s_barrier
	buffer_gl0_inv
	v_cmpx_gt_u32_e32 48, v152
	s_cbranch_execz .LBB116_207
; %bb.204:
	v_dual_mov_b32 v1, 0 :: v_dual_add_nc_u32 v8, 0x350, v13
	v_dual_mov_b32 v2, 0 :: v_dual_add_nc_u32 v7, -1, v152
	v_or_b32_e32 v9, 8, v14
	s_mov_b32 s3, 0
	s_delay_alu instid0(VALU_DEP_2)
	v_dual_mov_b32 v4, v2 :: v_dual_mov_b32 v3, v1
	.p2align	6
.LBB116_205:                            ; =>This Inner Loop Header: Depth=1
	scratch_load_b128 v[15:18], v9, off offset:-8
	ds_load_b128 v[19:22], v8
	v_add_nc_u32_e32 v7, 1, v7
	v_add_nc_u32_e32 v8, 16, v8
	;; [unrolled: 1-line block ×3, first 2 shown]
	s_delay_alu instid0(VALU_DEP_3) | instskip(SKIP_4) | instid1(VALU_DEP_2)
	v_cmp_lt_u32_e32 vcc_lo, 46, v7
	s_or_b32 s3, vcc_lo, s3
	s_waitcnt vmcnt(0) lgkmcnt(0)
	v_mul_f64 v[10:11], v[21:22], v[17:18]
	v_mul_f64 v[17:18], v[19:20], v[17:18]
	v_fma_f64 v[10:11], v[19:20], v[15:16], -v[10:11]
	s_delay_alu instid0(VALU_DEP_2) | instskip(NEXT) | instid1(VALU_DEP_2)
	v_fma_f64 v[15:16], v[21:22], v[15:16], v[17:18]
	v_add_f64 v[3:4], v[3:4], v[10:11]
	s_delay_alu instid0(VALU_DEP_2)
	v_add_f64 v[1:2], v[1:2], v[15:16]
	s_and_not1_b32 exec_lo, exec_lo, s3
	s_cbranch_execnz .LBB116_205
; %bb.206:
	s_or_b32 exec_lo, exec_lo, s3
	v_mov_b32_e32 v7, 0
	ds_load_b128 v[7:10], v7 offset:768
	s_waitcnt lgkmcnt(0)
	v_mul_f64 v[11:12], v[1:2], v[9:10]
	v_mul_f64 v[15:16], v[3:4], v[9:10]
	s_delay_alu instid0(VALU_DEP_2) | instskip(NEXT) | instid1(VALU_DEP_2)
	v_fma_f64 v[9:10], v[3:4], v[7:8], -v[11:12]
	v_fma_f64 v[11:12], v[1:2], v[7:8], v[15:16]
	scratch_store_b128 off, v[9:12], off offset:768
.LBB116_207:
	s_or_b32 exec_lo, exec_lo, s2
	s_waitcnt_vscnt null, 0x0
	s_barrier
	buffer_gl0_inv
	scratch_load_b128 v[1:4], v161, off
	s_mov_b32 s2, exec_lo
	s_waitcnt vmcnt(0)
	ds_store_b128 v5, v[1:4]
	s_waitcnt lgkmcnt(0)
	s_barrier
	buffer_gl0_inv
	v_cmpx_gt_u32_e32 49, v152
	s_cbranch_execz .LBB116_211
; %bb.208:
	v_dual_mov_b32 v1, 0 :: v_dual_add_nc_u32 v8, 0x350, v13
	v_dual_mov_b32 v2, 0 :: v_dual_add_nc_u32 v7, -1, v152
	v_or_b32_e32 v9, 8, v14
	s_mov_b32 s3, 0
	s_delay_alu instid0(VALU_DEP_2)
	v_dual_mov_b32 v4, v2 :: v_dual_mov_b32 v3, v1
	.p2align	6
.LBB116_209:                            ; =>This Inner Loop Header: Depth=1
	scratch_load_b128 v[15:18], v9, off offset:-8
	ds_load_b128 v[19:22], v8
	v_add_nc_u32_e32 v7, 1, v7
	v_add_nc_u32_e32 v8, 16, v8
	;; [unrolled: 1-line block ×3, first 2 shown]
	s_delay_alu instid0(VALU_DEP_3) | instskip(SKIP_4) | instid1(VALU_DEP_2)
	v_cmp_lt_u32_e32 vcc_lo, 47, v7
	s_or_b32 s3, vcc_lo, s3
	s_waitcnt vmcnt(0) lgkmcnt(0)
	v_mul_f64 v[10:11], v[21:22], v[17:18]
	v_mul_f64 v[17:18], v[19:20], v[17:18]
	v_fma_f64 v[10:11], v[19:20], v[15:16], -v[10:11]
	s_delay_alu instid0(VALU_DEP_2) | instskip(NEXT) | instid1(VALU_DEP_2)
	v_fma_f64 v[15:16], v[21:22], v[15:16], v[17:18]
	v_add_f64 v[3:4], v[3:4], v[10:11]
	s_delay_alu instid0(VALU_DEP_2)
	v_add_f64 v[1:2], v[1:2], v[15:16]
	s_and_not1_b32 exec_lo, exec_lo, s3
	s_cbranch_execnz .LBB116_209
; %bb.210:
	s_or_b32 exec_lo, exec_lo, s3
	v_mov_b32_e32 v7, 0
	ds_load_b128 v[7:10], v7 offset:784
	s_waitcnt lgkmcnt(0)
	v_mul_f64 v[11:12], v[1:2], v[9:10]
	v_mul_f64 v[15:16], v[3:4], v[9:10]
	s_delay_alu instid0(VALU_DEP_2) | instskip(NEXT) | instid1(VALU_DEP_2)
	v_fma_f64 v[9:10], v[3:4], v[7:8], -v[11:12]
	v_fma_f64 v[11:12], v[1:2], v[7:8], v[15:16]
	scratch_store_b128 off, v[9:12], off offset:784
.LBB116_211:
	s_or_b32 exec_lo, exec_lo, s2
	s_waitcnt_vscnt null, 0x0
	s_barrier
	buffer_gl0_inv
	scratch_load_b128 v[1:4], v159, off
	s_mov_b32 s2, exec_lo
	s_waitcnt vmcnt(0)
	ds_store_b128 v5, v[1:4]
	s_waitcnt lgkmcnt(0)
	s_barrier
	buffer_gl0_inv
	v_cmpx_gt_u32_e32 50, v152
	s_cbranch_execz .LBB116_215
; %bb.212:
	v_dual_mov_b32 v1, 0 :: v_dual_add_nc_u32 v8, 0x350, v13
	v_dual_mov_b32 v2, 0 :: v_dual_add_nc_u32 v7, -1, v152
	v_or_b32_e32 v9, 8, v14
	s_mov_b32 s3, 0
	s_delay_alu instid0(VALU_DEP_2)
	v_dual_mov_b32 v4, v2 :: v_dual_mov_b32 v3, v1
	.p2align	6
.LBB116_213:                            ; =>This Inner Loop Header: Depth=1
	scratch_load_b128 v[15:18], v9, off offset:-8
	ds_load_b128 v[19:22], v8
	v_add_nc_u32_e32 v7, 1, v7
	v_add_nc_u32_e32 v8, 16, v8
	;; [unrolled: 1-line block ×3, first 2 shown]
	s_delay_alu instid0(VALU_DEP_3) | instskip(SKIP_4) | instid1(VALU_DEP_2)
	v_cmp_lt_u32_e32 vcc_lo, 48, v7
	s_or_b32 s3, vcc_lo, s3
	s_waitcnt vmcnt(0) lgkmcnt(0)
	v_mul_f64 v[10:11], v[21:22], v[17:18]
	v_mul_f64 v[17:18], v[19:20], v[17:18]
	v_fma_f64 v[10:11], v[19:20], v[15:16], -v[10:11]
	s_delay_alu instid0(VALU_DEP_2) | instskip(NEXT) | instid1(VALU_DEP_2)
	v_fma_f64 v[15:16], v[21:22], v[15:16], v[17:18]
	v_add_f64 v[3:4], v[3:4], v[10:11]
	s_delay_alu instid0(VALU_DEP_2)
	v_add_f64 v[1:2], v[1:2], v[15:16]
	s_and_not1_b32 exec_lo, exec_lo, s3
	s_cbranch_execnz .LBB116_213
; %bb.214:
	s_or_b32 exec_lo, exec_lo, s3
	v_mov_b32_e32 v7, 0
	ds_load_b128 v[7:10], v7 offset:800
	s_waitcnt lgkmcnt(0)
	v_mul_f64 v[11:12], v[1:2], v[9:10]
	v_mul_f64 v[15:16], v[3:4], v[9:10]
	s_delay_alu instid0(VALU_DEP_2) | instskip(NEXT) | instid1(VALU_DEP_2)
	v_fma_f64 v[9:10], v[3:4], v[7:8], -v[11:12]
	v_fma_f64 v[11:12], v[1:2], v[7:8], v[15:16]
	scratch_store_b128 off, v[9:12], off offset:800
.LBB116_215:
	s_or_b32 exec_lo, exec_lo, s2
	s_waitcnt_vscnt null, 0x0
	s_barrier
	buffer_gl0_inv
	scratch_load_b128 v[1:4], v157, off
	s_mov_b32 s2, exec_lo
	s_waitcnt vmcnt(0)
	ds_store_b128 v5, v[1:4]
	s_waitcnt lgkmcnt(0)
	s_barrier
	buffer_gl0_inv
	v_cmpx_gt_u32_e32 51, v152
	s_cbranch_execz .LBB116_219
; %bb.216:
	v_dual_mov_b32 v1, 0 :: v_dual_add_nc_u32 v8, 0x350, v13
	v_dual_mov_b32 v2, 0 :: v_dual_add_nc_u32 v7, -1, v152
	v_or_b32_e32 v9, 8, v14
	s_mov_b32 s3, 0
	s_delay_alu instid0(VALU_DEP_2)
	v_dual_mov_b32 v4, v2 :: v_dual_mov_b32 v3, v1
	.p2align	6
.LBB116_217:                            ; =>This Inner Loop Header: Depth=1
	scratch_load_b128 v[10:13], v9, off offset:-8
	ds_load_b128 v[15:18], v8
	v_add_nc_u32_e32 v7, 1, v7
	v_add_nc_u32_e32 v8, 16, v8
	;; [unrolled: 1-line block ×3, first 2 shown]
	s_delay_alu instid0(VALU_DEP_3) | instskip(SKIP_4) | instid1(VALU_DEP_2)
	v_cmp_lt_u32_e32 vcc_lo, 49, v7
	s_or_b32 s3, vcc_lo, s3
	s_waitcnt vmcnt(0) lgkmcnt(0)
	v_mul_f64 v[19:20], v[17:18], v[12:13]
	v_mul_f64 v[12:13], v[15:16], v[12:13]
	v_fma_f64 v[15:16], v[15:16], v[10:11], -v[19:20]
	s_delay_alu instid0(VALU_DEP_2) | instskip(NEXT) | instid1(VALU_DEP_2)
	v_fma_f64 v[10:11], v[17:18], v[10:11], v[12:13]
	v_add_f64 v[3:4], v[3:4], v[15:16]
	s_delay_alu instid0(VALU_DEP_2)
	v_add_f64 v[1:2], v[1:2], v[10:11]
	s_and_not1_b32 exec_lo, exec_lo, s3
	s_cbranch_execnz .LBB116_217
; %bb.218:
	s_or_b32 exec_lo, exec_lo, s3
	v_mov_b32_e32 v7, 0
	ds_load_b128 v[7:10], v7 offset:816
	s_waitcnt lgkmcnt(0)
	v_mul_f64 v[11:12], v[1:2], v[9:10]
	v_mul_f64 v[15:16], v[3:4], v[9:10]
	s_delay_alu instid0(VALU_DEP_2) | instskip(NEXT) | instid1(VALU_DEP_2)
	v_fma_f64 v[9:10], v[3:4], v[7:8], -v[11:12]
	v_fma_f64 v[11:12], v[1:2], v[7:8], v[15:16]
	scratch_store_b128 off, v[9:12], off offset:816
.LBB116_219:
	s_or_b32 exec_lo, exec_lo, s2
	s_waitcnt_vscnt null, 0x0
	s_barrier
	buffer_gl0_inv
	scratch_load_b128 v[1:4], v197, off
	s_mov_b32 s2, exec_lo
	s_waitcnt vmcnt(0)
	ds_store_b128 v5, v[1:4]
	s_waitcnt lgkmcnt(0)
	s_barrier
	buffer_gl0_inv
	v_cmpx_ne_u32_e32 52, v152
	s_cbranch_execz .LBB116_223
; %bb.220:
	v_mov_b32_e32 v1, 0
	v_mov_b32_e32 v2, 0
	v_or_b32_e32 v7, 8, v14
	s_mov_b32 s3, 0
	s_delay_alu instid0(VALU_DEP_2)
	v_dual_mov_b32 v4, v2 :: v_dual_mov_b32 v3, v1
	.p2align	6
.LBB116_221:                            ; =>This Inner Loop Header: Depth=1
	scratch_load_b128 v[8:11], v7, off offset:-8
	ds_load_b128 v[12:15], v5
	v_add_nc_u32_e32 v6, 1, v6
	v_add_nc_u32_e32 v5, 16, v5
	;; [unrolled: 1-line block ×3, first 2 shown]
	s_delay_alu instid0(VALU_DEP_3) | instskip(SKIP_4) | instid1(VALU_DEP_2)
	v_cmp_lt_u32_e32 vcc_lo, 50, v6
	s_or_b32 s3, vcc_lo, s3
	s_waitcnt vmcnt(0) lgkmcnt(0)
	v_mul_f64 v[16:17], v[14:15], v[10:11]
	v_mul_f64 v[10:11], v[12:13], v[10:11]
	v_fma_f64 v[12:13], v[12:13], v[8:9], -v[16:17]
	s_delay_alu instid0(VALU_DEP_2) | instskip(NEXT) | instid1(VALU_DEP_2)
	v_fma_f64 v[8:9], v[14:15], v[8:9], v[10:11]
	v_add_f64 v[3:4], v[3:4], v[12:13]
	s_delay_alu instid0(VALU_DEP_2)
	v_add_f64 v[1:2], v[1:2], v[8:9]
	s_and_not1_b32 exec_lo, exec_lo, s3
	s_cbranch_execnz .LBB116_221
; %bb.222:
	s_or_b32 exec_lo, exec_lo, s3
	v_mov_b32_e32 v5, 0
	ds_load_b128 v[5:8], v5 offset:832
	s_waitcnt lgkmcnt(0)
	v_mul_f64 v[9:10], v[1:2], v[7:8]
	v_mul_f64 v[7:8], v[3:4], v[7:8]
	s_delay_alu instid0(VALU_DEP_2) | instskip(NEXT) | instid1(VALU_DEP_2)
	v_fma_f64 v[3:4], v[3:4], v[5:6], -v[9:10]
	v_fma_f64 v[5:6], v[1:2], v[5:6], v[7:8]
	scratch_store_b128 off, v[3:6], off offset:832
.LBB116_223:
	s_or_b32 exec_lo, exec_lo, s2
	s_mov_b32 s3, -1
	s_waitcnt_vscnt null, 0x0
	s_barrier
	buffer_gl0_inv
.LBB116_224:
	s_and_b32 vcc_lo, exec_lo, s3
	s_cbranch_vccz .LBB116_226
; %bb.225:
	s_lshl_b64 s[2:3], s[10:11], 2
	v_mov_b32_e32 v1, 0
	s_add_u32 s2, s6, s2
	s_addc_u32 s3, s7, s3
	global_load_b32 v1, v1, s[2:3]
	s_waitcnt vmcnt(0)
	v_cmp_ne_u32_e32 vcc_lo, 0, v1
	s_cbranch_vccz .LBB116_227
.LBB116_226:
	s_endpgm
.LBB116_227:
	v_lshl_add_u32 v205, v152, 4, 0x350
	s_mov_b32 s2, exec_lo
	v_cmpx_eq_u32_e32 52, v152
	s_cbranch_execz .LBB116_229
; %bb.228:
	scratch_load_b128 v[1:4], v157, off
	v_mov_b32_e32 v5, 0
	s_delay_alu instid0(VALU_DEP_1)
	v_mov_b32_e32 v6, v5
	v_mov_b32_e32 v7, v5
	;; [unrolled: 1-line block ×3, first 2 shown]
	scratch_store_b128 off, v[5:8], off offset:816
	s_waitcnt vmcnt(0)
	ds_store_b128 v205, v[1:4]
.LBB116_229:
	s_or_b32 exec_lo, exec_lo, s2
	s_waitcnt lgkmcnt(0)
	s_waitcnt_vscnt null, 0x0
	s_barrier
	buffer_gl0_inv
	s_clause 0x1
	scratch_load_b128 v[2:5], off, off offset:832
	scratch_load_b128 v[6:9], off, off offset:816
	v_mov_b32_e32 v1, 0
	s_mov_b32 s2, exec_lo
	ds_load_b128 v[10:13], v1 offset:1680
	s_waitcnt vmcnt(1) lgkmcnt(0)
	v_mul_f64 v[14:15], v[12:13], v[4:5]
	v_mul_f64 v[4:5], v[10:11], v[4:5]
	s_delay_alu instid0(VALU_DEP_2) | instskip(NEXT) | instid1(VALU_DEP_2)
	v_fma_f64 v[10:11], v[10:11], v[2:3], -v[14:15]
	v_fma_f64 v[2:3], v[12:13], v[2:3], v[4:5]
	s_delay_alu instid0(VALU_DEP_2) | instskip(NEXT) | instid1(VALU_DEP_2)
	v_add_f64 v[4:5], v[10:11], 0
	v_add_f64 v[10:11], v[2:3], 0
	s_waitcnt vmcnt(0)
	s_delay_alu instid0(VALU_DEP_2) | instskip(NEXT) | instid1(VALU_DEP_2)
	v_add_f64 v[2:3], v[6:7], -v[4:5]
	v_add_f64 v[4:5], v[8:9], -v[10:11]
	scratch_store_b128 off, v[2:5], off offset:816
	v_cmpx_lt_u32_e32 50, v152
	s_cbranch_execz .LBB116_231
; %bb.230:
	scratch_load_b128 v[5:8], v159, off
	v_mov_b32_e32 v2, v1
	v_mov_b32_e32 v3, v1
	;; [unrolled: 1-line block ×3, first 2 shown]
	scratch_store_b128 off, v[1:4], off offset:800
	s_waitcnt vmcnt(0)
	ds_store_b128 v205, v[5:8]
.LBB116_231:
	s_or_b32 exec_lo, exec_lo, s2
	s_waitcnt lgkmcnt(0)
	s_waitcnt_vscnt null, 0x0
	s_barrier
	buffer_gl0_inv
	s_clause 0x2
	scratch_load_b128 v[2:5], off, off offset:816
	scratch_load_b128 v[6:9], off, off offset:832
	;; [unrolled: 1-line block ×3, first 2 shown]
	ds_load_b128 v[14:17], v1 offset:1664
	ds_load_b128 v[18:21], v1 offset:1680
	s_mov_b32 s2, exec_lo
	s_waitcnt vmcnt(2) lgkmcnt(1)
	v_mul_f64 v[22:23], v[16:17], v[4:5]
	v_mul_f64 v[4:5], v[14:15], v[4:5]
	s_waitcnt vmcnt(1) lgkmcnt(0)
	v_mul_f64 v[24:25], v[18:19], v[8:9]
	v_mul_f64 v[8:9], v[20:21], v[8:9]
	s_delay_alu instid0(VALU_DEP_4) | instskip(NEXT) | instid1(VALU_DEP_4)
	v_fma_f64 v[14:15], v[14:15], v[2:3], -v[22:23]
	v_fma_f64 v[1:2], v[16:17], v[2:3], v[4:5]
	s_delay_alu instid0(VALU_DEP_4) | instskip(NEXT) | instid1(VALU_DEP_4)
	v_fma_f64 v[3:4], v[20:21], v[6:7], v[24:25]
	v_fma_f64 v[5:6], v[18:19], v[6:7], -v[8:9]
	s_delay_alu instid0(VALU_DEP_4) | instskip(NEXT) | instid1(VALU_DEP_4)
	v_add_f64 v[7:8], v[14:15], 0
	v_add_f64 v[1:2], v[1:2], 0
	s_delay_alu instid0(VALU_DEP_2) | instskip(NEXT) | instid1(VALU_DEP_2)
	v_add_f64 v[5:6], v[7:8], v[5:6]
	v_add_f64 v[3:4], v[1:2], v[3:4]
	s_waitcnt vmcnt(0)
	s_delay_alu instid0(VALU_DEP_2) | instskip(NEXT) | instid1(VALU_DEP_2)
	v_add_f64 v[1:2], v[10:11], -v[5:6]
	v_add_f64 v[3:4], v[12:13], -v[3:4]
	scratch_store_b128 off, v[1:4], off offset:800
	v_cmpx_lt_u32_e32 49, v152
	s_cbranch_execz .LBB116_233
; %bb.232:
	scratch_load_b128 v[1:4], v161, off
	v_mov_b32_e32 v5, 0
	s_delay_alu instid0(VALU_DEP_1)
	v_mov_b32_e32 v6, v5
	v_mov_b32_e32 v7, v5
	v_mov_b32_e32 v8, v5
	scratch_store_b128 off, v[5:8], off offset:784
	s_waitcnt vmcnt(0)
	ds_store_b128 v205, v[1:4]
.LBB116_233:
	s_or_b32 exec_lo, exec_lo, s2
	s_waitcnt lgkmcnt(0)
	s_waitcnt_vscnt null, 0x0
	s_barrier
	buffer_gl0_inv
	s_clause 0x3
	scratch_load_b128 v[2:5], off, off offset:800
	scratch_load_b128 v[6:9], off, off offset:816
	;; [unrolled: 1-line block ×4, first 2 shown]
	v_mov_b32_e32 v1, 0
	ds_load_b128 v[18:21], v1 offset:1648
	ds_load_b128 v[22:25], v1 offset:1664
	s_mov_b32 s2, exec_lo
	s_waitcnt vmcnt(3) lgkmcnt(1)
	v_mul_f64 v[26:27], v[20:21], v[4:5]
	v_mul_f64 v[4:5], v[18:19], v[4:5]
	s_waitcnt vmcnt(2) lgkmcnt(0)
	v_mul_f64 v[28:29], v[22:23], v[8:9]
	v_mul_f64 v[8:9], v[24:25], v[8:9]
	s_delay_alu instid0(VALU_DEP_4) | instskip(NEXT) | instid1(VALU_DEP_4)
	v_fma_f64 v[18:19], v[18:19], v[2:3], -v[26:27]
	v_fma_f64 v[20:21], v[20:21], v[2:3], v[4:5]
	ds_load_b128 v[2:5], v1 offset:1680
	v_fma_f64 v[24:25], v[24:25], v[6:7], v[28:29]
	v_fma_f64 v[6:7], v[22:23], v[6:7], -v[8:9]
	s_waitcnt vmcnt(1) lgkmcnt(0)
	v_mul_f64 v[26:27], v[2:3], v[12:13]
	v_mul_f64 v[12:13], v[4:5], v[12:13]
	v_add_f64 v[8:9], v[18:19], 0
	v_add_f64 v[18:19], v[20:21], 0
	s_delay_alu instid0(VALU_DEP_4) | instskip(NEXT) | instid1(VALU_DEP_4)
	v_fma_f64 v[4:5], v[4:5], v[10:11], v[26:27]
	v_fma_f64 v[2:3], v[2:3], v[10:11], -v[12:13]
	s_delay_alu instid0(VALU_DEP_4) | instskip(NEXT) | instid1(VALU_DEP_4)
	v_add_f64 v[6:7], v[8:9], v[6:7]
	v_add_f64 v[8:9], v[18:19], v[24:25]
	s_delay_alu instid0(VALU_DEP_2) | instskip(NEXT) | instid1(VALU_DEP_2)
	v_add_f64 v[2:3], v[6:7], v[2:3]
	v_add_f64 v[4:5], v[8:9], v[4:5]
	s_waitcnt vmcnt(0)
	s_delay_alu instid0(VALU_DEP_2) | instskip(NEXT) | instid1(VALU_DEP_2)
	v_add_f64 v[2:3], v[14:15], -v[2:3]
	v_add_f64 v[4:5], v[16:17], -v[4:5]
	scratch_store_b128 off, v[2:5], off offset:784
	v_cmpx_lt_u32_e32 48, v152
	s_cbranch_execz .LBB116_235
; %bb.234:
	scratch_load_b128 v[5:8], v156, off
	v_mov_b32_e32 v2, v1
	v_mov_b32_e32 v3, v1
	;; [unrolled: 1-line block ×3, first 2 shown]
	scratch_store_b128 off, v[1:4], off offset:768
	s_waitcnt vmcnt(0)
	ds_store_b128 v205, v[5:8]
.LBB116_235:
	s_or_b32 exec_lo, exec_lo, s2
	s_waitcnt lgkmcnt(0)
	s_waitcnt_vscnt null, 0x0
	s_barrier
	buffer_gl0_inv
	s_clause 0x4
	scratch_load_b128 v[2:5], off, off offset:784
	scratch_load_b128 v[6:9], off, off offset:800
	;; [unrolled: 1-line block ×5, first 2 shown]
	ds_load_b128 v[22:25], v1 offset:1632
	ds_load_b128 v[26:29], v1 offset:1648
	s_mov_b32 s2, exec_lo
	s_waitcnt vmcnt(4) lgkmcnt(1)
	v_mul_f64 v[30:31], v[24:25], v[4:5]
	v_mul_f64 v[4:5], v[22:23], v[4:5]
	s_waitcnt vmcnt(3) lgkmcnt(0)
	v_mul_f64 v[32:33], v[26:27], v[8:9]
	v_mul_f64 v[8:9], v[28:29], v[8:9]
	s_delay_alu instid0(VALU_DEP_4) | instskip(NEXT) | instid1(VALU_DEP_4)
	v_fma_f64 v[30:31], v[22:23], v[2:3], -v[30:31]
	v_fma_f64 v[34:35], v[24:25], v[2:3], v[4:5]
	ds_load_b128 v[2:5], v1 offset:1664
	ds_load_b128 v[22:25], v1 offset:1680
	v_fma_f64 v[28:29], v[28:29], v[6:7], v[32:33]
	v_fma_f64 v[6:7], v[26:27], v[6:7], -v[8:9]
	s_waitcnt vmcnt(2) lgkmcnt(1)
	v_mul_f64 v[36:37], v[2:3], v[12:13]
	v_mul_f64 v[12:13], v[4:5], v[12:13]
	v_add_f64 v[8:9], v[30:31], 0
	v_add_f64 v[26:27], v[34:35], 0
	s_waitcnt vmcnt(1) lgkmcnt(0)
	v_mul_f64 v[30:31], v[22:23], v[16:17]
	v_mul_f64 v[16:17], v[24:25], v[16:17]
	v_fma_f64 v[4:5], v[4:5], v[10:11], v[36:37]
	v_fma_f64 v[1:2], v[2:3], v[10:11], -v[12:13]
	v_add_f64 v[6:7], v[8:9], v[6:7]
	v_add_f64 v[8:9], v[26:27], v[28:29]
	v_fma_f64 v[10:11], v[24:25], v[14:15], v[30:31]
	v_fma_f64 v[12:13], v[22:23], v[14:15], -v[16:17]
	s_delay_alu instid0(VALU_DEP_4) | instskip(NEXT) | instid1(VALU_DEP_4)
	v_add_f64 v[1:2], v[6:7], v[1:2]
	v_add_f64 v[3:4], v[8:9], v[4:5]
	s_delay_alu instid0(VALU_DEP_2) | instskip(NEXT) | instid1(VALU_DEP_2)
	v_add_f64 v[1:2], v[1:2], v[12:13]
	v_add_f64 v[3:4], v[3:4], v[10:11]
	s_waitcnt vmcnt(0)
	s_delay_alu instid0(VALU_DEP_2) | instskip(NEXT) | instid1(VALU_DEP_2)
	v_add_f64 v[1:2], v[18:19], -v[1:2]
	v_add_f64 v[3:4], v[20:21], -v[3:4]
	scratch_store_b128 off, v[1:4], off offset:768
	v_cmpx_lt_u32_e32 47, v152
	s_cbranch_execz .LBB116_237
; %bb.236:
	scratch_load_b128 v[1:4], v158, off
	v_mov_b32_e32 v5, 0
	s_delay_alu instid0(VALU_DEP_1)
	v_mov_b32_e32 v6, v5
	v_mov_b32_e32 v7, v5
	;; [unrolled: 1-line block ×3, first 2 shown]
	scratch_store_b128 off, v[5:8], off offset:752
	s_waitcnt vmcnt(0)
	ds_store_b128 v205, v[1:4]
.LBB116_237:
	s_or_b32 exec_lo, exec_lo, s2
	s_waitcnt lgkmcnt(0)
	s_waitcnt_vscnt null, 0x0
	s_barrier
	buffer_gl0_inv
	s_clause 0x5
	scratch_load_b128 v[2:5], off, off offset:768
	scratch_load_b128 v[6:9], off, off offset:784
	;; [unrolled: 1-line block ×6, first 2 shown]
	v_mov_b32_e32 v1, 0
	ds_load_b128 v[26:29], v1 offset:1616
	ds_load_b128 v[30:33], v1 offset:1632
	s_mov_b32 s2, exec_lo
	s_waitcnt vmcnt(5) lgkmcnt(1)
	v_mul_f64 v[34:35], v[28:29], v[4:5]
	v_mul_f64 v[4:5], v[26:27], v[4:5]
	s_waitcnt vmcnt(4) lgkmcnt(0)
	v_mul_f64 v[36:37], v[30:31], v[8:9]
	v_mul_f64 v[8:9], v[32:33], v[8:9]
	s_delay_alu instid0(VALU_DEP_4) | instskip(NEXT) | instid1(VALU_DEP_4)
	v_fma_f64 v[34:35], v[26:27], v[2:3], -v[34:35]
	v_fma_f64 v[38:39], v[28:29], v[2:3], v[4:5]
	ds_load_b128 v[2:5], v1 offset:1648
	ds_load_b128 v[26:29], v1 offset:1664
	v_fma_f64 v[32:33], v[32:33], v[6:7], v[36:37]
	v_fma_f64 v[6:7], v[30:31], v[6:7], -v[8:9]
	s_waitcnt vmcnt(3) lgkmcnt(1)
	v_mul_f64 v[40:41], v[2:3], v[12:13]
	v_mul_f64 v[12:13], v[4:5], v[12:13]
	v_add_f64 v[8:9], v[34:35], 0
	v_add_f64 v[30:31], v[38:39], 0
	s_waitcnt vmcnt(2) lgkmcnt(0)
	v_mul_f64 v[34:35], v[26:27], v[16:17]
	v_mul_f64 v[16:17], v[28:29], v[16:17]
	v_fma_f64 v[36:37], v[4:5], v[10:11], v[40:41]
	v_fma_f64 v[10:11], v[2:3], v[10:11], -v[12:13]
	ds_load_b128 v[2:5], v1 offset:1680
	v_add_f64 v[6:7], v[8:9], v[6:7]
	v_add_f64 v[8:9], v[30:31], v[32:33]
	v_fma_f64 v[28:29], v[28:29], v[14:15], v[34:35]
	v_fma_f64 v[14:15], v[26:27], v[14:15], -v[16:17]
	s_waitcnt vmcnt(1) lgkmcnt(0)
	v_mul_f64 v[12:13], v[2:3], v[20:21]
	v_mul_f64 v[20:21], v[4:5], v[20:21]
	v_add_f64 v[6:7], v[6:7], v[10:11]
	v_add_f64 v[8:9], v[8:9], v[36:37]
	s_delay_alu instid0(VALU_DEP_4) | instskip(NEXT) | instid1(VALU_DEP_4)
	v_fma_f64 v[4:5], v[4:5], v[18:19], v[12:13]
	v_fma_f64 v[2:3], v[2:3], v[18:19], -v[20:21]
	s_delay_alu instid0(VALU_DEP_4) | instskip(NEXT) | instid1(VALU_DEP_4)
	v_add_f64 v[6:7], v[6:7], v[14:15]
	v_add_f64 v[8:9], v[8:9], v[28:29]
	s_delay_alu instid0(VALU_DEP_2) | instskip(NEXT) | instid1(VALU_DEP_2)
	v_add_f64 v[2:3], v[6:7], v[2:3]
	v_add_f64 v[4:5], v[8:9], v[4:5]
	s_waitcnt vmcnt(0)
	s_delay_alu instid0(VALU_DEP_2) | instskip(NEXT) | instid1(VALU_DEP_2)
	v_add_f64 v[2:3], v[22:23], -v[2:3]
	v_add_f64 v[4:5], v[24:25], -v[4:5]
	scratch_store_b128 off, v[2:5], off offset:752
	v_cmpx_lt_u32_e32 46, v152
	s_cbranch_execz .LBB116_239
; %bb.238:
	scratch_load_b128 v[5:8], v160, off
	v_mov_b32_e32 v2, v1
	v_mov_b32_e32 v3, v1
	;; [unrolled: 1-line block ×3, first 2 shown]
	scratch_store_b128 off, v[1:4], off offset:736
	s_waitcnt vmcnt(0)
	ds_store_b128 v205, v[5:8]
.LBB116_239:
	s_or_b32 exec_lo, exec_lo, s2
	s_waitcnt lgkmcnt(0)
	s_waitcnt_vscnt null, 0x0
	s_barrier
	buffer_gl0_inv
	s_clause 0x5
	scratch_load_b128 v[2:5], off, off offset:752
	scratch_load_b128 v[6:9], off, off offset:768
	;; [unrolled: 1-line block ×6, first 2 shown]
	ds_load_b128 v[26:29], v1 offset:1600
	ds_load_b128 v[34:37], v1 offset:1616
	scratch_load_b128 v[30:33], off, off offset:736
	s_mov_b32 s2, exec_lo
	s_waitcnt vmcnt(6) lgkmcnt(1)
	v_mul_f64 v[38:39], v[28:29], v[4:5]
	v_mul_f64 v[4:5], v[26:27], v[4:5]
	s_waitcnt vmcnt(5) lgkmcnt(0)
	v_mul_f64 v[40:41], v[34:35], v[8:9]
	v_mul_f64 v[8:9], v[36:37], v[8:9]
	s_delay_alu instid0(VALU_DEP_4) | instskip(NEXT) | instid1(VALU_DEP_4)
	v_fma_f64 v[38:39], v[26:27], v[2:3], -v[38:39]
	v_fma_f64 v[42:43], v[28:29], v[2:3], v[4:5]
	ds_load_b128 v[2:5], v1 offset:1632
	ds_load_b128 v[26:29], v1 offset:1648
	v_fma_f64 v[36:37], v[36:37], v[6:7], v[40:41]
	v_fma_f64 v[6:7], v[34:35], v[6:7], -v[8:9]
	s_waitcnt vmcnt(4) lgkmcnt(1)
	v_mul_f64 v[44:45], v[2:3], v[12:13]
	v_mul_f64 v[12:13], v[4:5], v[12:13]
	v_add_f64 v[8:9], v[38:39], 0
	v_add_f64 v[34:35], v[42:43], 0
	s_waitcnt vmcnt(3) lgkmcnt(0)
	v_mul_f64 v[38:39], v[26:27], v[16:17]
	v_mul_f64 v[16:17], v[28:29], v[16:17]
	v_fma_f64 v[40:41], v[4:5], v[10:11], v[44:45]
	v_fma_f64 v[10:11], v[2:3], v[10:11], -v[12:13]
	v_add_f64 v[12:13], v[8:9], v[6:7]
	v_add_f64 v[34:35], v[34:35], v[36:37]
	ds_load_b128 v[2:5], v1 offset:1664
	ds_load_b128 v[6:9], v1 offset:1680
	v_fma_f64 v[28:29], v[28:29], v[14:15], v[38:39]
	v_fma_f64 v[14:15], v[26:27], v[14:15], -v[16:17]
	s_waitcnt vmcnt(2) lgkmcnt(1)
	v_mul_f64 v[36:37], v[2:3], v[20:21]
	v_mul_f64 v[20:21], v[4:5], v[20:21]
	s_waitcnt vmcnt(1) lgkmcnt(0)
	v_mul_f64 v[16:17], v[6:7], v[24:25]
	v_mul_f64 v[24:25], v[8:9], v[24:25]
	v_add_f64 v[10:11], v[12:13], v[10:11]
	v_add_f64 v[12:13], v[34:35], v[40:41]
	v_fma_f64 v[4:5], v[4:5], v[18:19], v[36:37]
	v_fma_f64 v[1:2], v[2:3], v[18:19], -v[20:21]
	v_fma_f64 v[8:9], v[8:9], v[22:23], v[16:17]
	v_fma_f64 v[6:7], v[6:7], v[22:23], -v[24:25]
	v_add_f64 v[10:11], v[10:11], v[14:15]
	v_add_f64 v[12:13], v[12:13], v[28:29]
	s_delay_alu instid0(VALU_DEP_2) | instskip(NEXT) | instid1(VALU_DEP_2)
	v_add_f64 v[1:2], v[10:11], v[1:2]
	v_add_f64 v[3:4], v[12:13], v[4:5]
	s_delay_alu instid0(VALU_DEP_2) | instskip(NEXT) | instid1(VALU_DEP_2)
	v_add_f64 v[1:2], v[1:2], v[6:7]
	v_add_f64 v[3:4], v[3:4], v[8:9]
	s_waitcnt vmcnt(0)
	s_delay_alu instid0(VALU_DEP_2) | instskip(NEXT) | instid1(VALU_DEP_2)
	v_add_f64 v[1:2], v[30:31], -v[1:2]
	v_add_f64 v[3:4], v[32:33], -v[3:4]
	scratch_store_b128 off, v[1:4], off offset:736
	v_cmpx_lt_u32_e32 45, v152
	s_cbranch_execz .LBB116_241
; %bb.240:
	scratch_load_b128 v[1:4], v162, off
	v_mov_b32_e32 v5, 0
	s_delay_alu instid0(VALU_DEP_1)
	v_mov_b32_e32 v6, v5
	v_mov_b32_e32 v7, v5
	;; [unrolled: 1-line block ×3, first 2 shown]
	scratch_store_b128 off, v[5:8], off offset:720
	s_waitcnt vmcnt(0)
	ds_store_b128 v205, v[1:4]
.LBB116_241:
	s_or_b32 exec_lo, exec_lo, s2
	s_waitcnt lgkmcnt(0)
	s_waitcnt_vscnt null, 0x0
	s_barrier
	buffer_gl0_inv
	s_clause 0x6
	scratch_load_b128 v[2:5], off, off offset:736
	scratch_load_b128 v[6:9], off, off offset:752
	;; [unrolled: 1-line block ×7, first 2 shown]
	v_mov_b32_e32 v1, 0
	scratch_load_b128 v[34:37], off, off offset:720
	s_mov_b32 s2, exec_lo
	ds_load_b128 v[30:33], v1 offset:1584
	ds_load_b128 v[38:41], v1 offset:1600
	s_waitcnt vmcnt(7) lgkmcnt(1)
	v_mul_f64 v[42:43], v[32:33], v[4:5]
	v_mul_f64 v[4:5], v[30:31], v[4:5]
	s_waitcnt vmcnt(6) lgkmcnt(0)
	v_mul_f64 v[44:45], v[38:39], v[8:9]
	v_mul_f64 v[8:9], v[40:41], v[8:9]
	s_delay_alu instid0(VALU_DEP_4) | instskip(NEXT) | instid1(VALU_DEP_4)
	v_fma_f64 v[42:43], v[30:31], v[2:3], -v[42:43]
	v_fma_f64 v[164:165], v[32:33], v[2:3], v[4:5]
	ds_load_b128 v[2:5], v1 offset:1616
	ds_load_b128 v[30:33], v1 offset:1632
	v_fma_f64 v[40:41], v[40:41], v[6:7], v[44:45]
	v_fma_f64 v[6:7], v[38:39], v[6:7], -v[8:9]
	s_waitcnt vmcnt(5) lgkmcnt(1)
	v_mul_f64 v[166:167], v[2:3], v[12:13]
	v_mul_f64 v[12:13], v[4:5], v[12:13]
	v_add_f64 v[8:9], v[42:43], 0
	v_add_f64 v[38:39], v[164:165], 0
	s_waitcnt vmcnt(4) lgkmcnt(0)
	v_mul_f64 v[42:43], v[30:31], v[16:17]
	v_mul_f64 v[16:17], v[32:33], v[16:17]
	v_fma_f64 v[44:45], v[4:5], v[10:11], v[166:167]
	v_fma_f64 v[10:11], v[2:3], v[10:11], -v[12:13]
	v_add_f64 v[12:13], v[8:9], v[6:7]
	v_add_f64 v[38:39], v[38:39], v[40:41]
	ds_load_b128 v[2:5], v1 offset:1648
	ds_load_b128 v[6:9], v1 offset:1664
	v_fma_f64 v[32:33], v[32:33], v[14:15], v[42:43]
	v_fma_f64 v[14:15], v[30:31], v[14:15], -v[16:17]
	s_waitcnt vmcnt(3) lgkmcnt(1)
	v_mul_f64 v[40:41], v[2:3], v[20:21]
	v_mul_f64 v[20:21], v[4:5], v[20:21]
	s_waitcnt vmcnt(2) lgkmcnt(0)
	v_mul_f64 v[16:17], v[6:7], v[24:25]
	v_mul_f64 v[24:25], v[8:9], v[24:25]
	v_add_f64 v[10:11], v[12:13], v[10:11]
	v_add_f64 v[12:13], v[38:39], v[44:45]
	v_fma_f64 v[30:31], v[4:5], v[18:19], v[40:41]
	v_fma_f64 v[18:19], v[2:3], v[18:19], -v[20:21]
	ds_load_b128 v[2:5], v1 offset:1680
	v_fma_f64 v[8:9], v[8:9], v[22:23], v[16:17]
	v_fma_f64 v[6:7], v[6:7], v[22:23], -v[24:25]
	v_add_f64 v[10:11], v[10:11], v[14:15]
	v_add_f64 v[12:13], v[12:13], v[32:33]
	s_waitcnt vmcnt(1) lgkmcnt(0)
	v_mul_f64 v[14:15], v[2:3], v[28:29]
	v_mul_f64 v[20:21], v[4:5], v[28:29]
	s_delay_alu instid0(VALU_DEP_4) | instskip(NEXT) | instid1(VALU_DEP_4)
	v_add_f64 v[10:11], v[10:11], v[18:19]
	v_add_f64 v[12:13], v[12:13], v[30:31]
	s_delay_alu instid0(VALU_DEP_4) | instskip(NEXT) | instid1(VALU_DEP_4)
	v_fma_f64 v[4:5], v[4:5], v[26:27], v[14:15]
	v_fma_f64 v[2:3], v[2:3], v[26:27], -v[20:21]
	s_delay_alu instid0(VALU_DEP_4) | instskip(NEXT) | instid1(VALU_DEP_4)
	v_add_f64 v[6:7], v[10:11], v[6:7]
	v_add_f64 v[8:9], v[12:13], v[8:9]
	s_delay_alu instid0(VALU_DEP_2) | instskip(NEXT) | instid1(VALU_DEP_2)
	v_add_f64 v[2:3], v[6:7], v[2:3]
	v_add_f64 v[4:5], v[8:9], v[4:5]
	s_waitcnt vmcnt(0)
	s_delay_alu instid0(VALU_DEP_2) | instskip(NEXT) | instid1(VALU_DEP_2)
	v_add_f64 v[2:3], v[34:35], -v[2:3]
	v_add_f64 v[4:5], v[36:37], -v[4:5]
	scratch_store_b128 off, v[2:5], off offset:720
	v_cmpx_lt_u32_e32 44, v152
	s_cbranch_execz .LBB116_243
; %bb.242:
	scratch_load_b128 v[5:8], v163, off
	v_mov_b32_e32 v2, v1
	v_mov_b32_e32 v3, v1
	;; [unrolled: 1-line block ×3, first 2 shown]
	scratch_store_b128 off, v[1:4], off offset:704
	s_waitcnt vmcnt(0)
	ds_store_b128 v205, v[5:8]
.LBB116_243:
	s_or_b32 exec_lo, exec_lo, s2
	s_waitcnt lgkmcnt(0)
	s_waitcnt_vscnt null, 0x0
	s_barrier
	buffer_gl0_inv
	s_clause 0x7
	scratch_load_b128 v[2:5], off, off offset:720
	scratch_load_b128 v[6:9], off, off offset:736
	scratch_load_b128 v[10:13], off, off offset:752
	scratch_load_b128 v[14:17], off, off offset:768
	scratch_load_b128 v[18:21], off, off offset:784
	scratch_load_b128 v[22:25], off, off offset:800
	scratch_load_b128 v[26:29], off, off offset:816
	scratch_load_b128 v[30:33], off, off offset:832
	ds_load_b128 v[34:37], v1 offset:1568
	ds_load_b128 v[38:41], v1 offset:1584
	scratch_load_b128 v[42:45], off, off offset:704
	s_mov_b32 s2, exec_lo
	s_waitcnt vmcnt(8) lgkmcnt(1)
	v_mul_f64 v[164:165], v[36:37], v[4:5]
	v_mul_f64 v[4:5], v[34:35], v[4:5]
	s_waitcnt vmcnt(7) lgkmcnt(0)
	v_mul_f64 v[166:167], v[38:39], v[8:9]
	v_mul_f64 v[8:9], v[40:41], v[8:9]
	s_delay_alu instid0(VALU_DEP_4) | instskip(NEXT) | instid1(VALU_DEP_4)
	v_fma_f64 v[164:165], v[34:35], v[2:3], -v[164:165]
	v_fma_f64 v[168:169], v[36:37], v[2:3], v[4:5]
	ds_load_b128 v[2:5], v1 offset:1600
	ds_load_b128 v[34:37], v1 offset:1616
	v_fma_f64 v[40:41], v[40:41], v[6:7], v[166:167]
	v_fma_f64 v[6:7], v[38:39], v[6:7], -v[8:9]
	s_waitcnt vmcnt(6) lgkmcnt(1)
	v_mul_f64 v[170:171], v[2:3], v[12:13]
	v_mul_f64 v[12:13], v[4:5], v[12:13]
	v_add_f64 v[8:9], v[164:165], 0
	v_add_f64 v[38:39], v[168:169], 0
	s_waitcnt vmcnt(5) lgkmcnt(0)
	v_mul_f64 v[164:165], v[34:35], v[16:17]
	v_mul_f64 v[16:17], v[36:37], v[16:17]
	v_fma_f64 v[166:167], v[4:5], v[10:11], v[170:171]
	v_fma_f64 v[10:11], v[2:3], v[10:11], -v[12:13]
	v_add_f64 v[12:13], v[8:9], v[6:7]
	v_add_f64 v[38:39], v[38:39], v[40:41]
	ds_load_b128 v[2:5], v1 offset:1632
	ds_load_b128 v[6:9], v1 offset:1648
	v_fma_f64 v[36:37], v[36:37], v[14:15], v[164:165]
	v_fma_f64 v[14:15], v[34:35], v[14:15], -v[16:17]
	s_waitcnt vmcnt(4) lgkmcnt(1)
	v_mul_f64 v[40:41], v[2:3], v[20:21]
	v_mul_f64 v[20:21], v[4:5], v[20:21]
	s_waitcnt vmcnt(3) lgkmcnt(0)
	v_mul_f64 v[16:17], v[6:7], v[24:25]
	v_mul_f64 v[24:25], v[8:9], v[24:25]
	v_add_f64 v[10:11], v[12:13], v[10:11]
	v_add_f64 v[12:13], v[38:39], v[166:167]
	v_fma_f64 v[34:35], v[4:5], v[18:19], v[40:41]
	v_fma_f64 v[18:19], v[2:3], v[18:19], -v[20:21]
	v_fma_f64 v[8:9], v[8:9], v[22:23], v[16:17]
	v_fma_f64 v[6:7], v[6:7], v[22:23], -v[24:25]
	v_add_f64 v[14:15], v[10:11], v[14:15]
	v_add_f64 v[20:21], v[12:13], v[36:37]
	ds_load_b128 v[2:5], v1 offset:1664
	ds_load_b128 v[10:13], v1 offset:1680
	s_waitcnt vmcnt(2) lgkmcnt(1)
	v_mul_f64 v[36:37], v[2:3], v[28:29]
	v_mul_f64 v[28:29], v[4:5], v[28:29]
	v_add_f64 v[14:15], v[14:15], v[18:19]
	v_add_f64 v[16:17], v[20:21], v[34:35]
	s_waitcnt vmcnt(1) lgkmcnt(0)
	v_mul_f64 v[18:19], v[10:11], v[32:33]
	v_mul_f64 v[20:21], v[12:13], v[32:33]
	v_fma_f64 v[4:5], v[4:5], v[26:27], v[36:37]
	v_fma_f64 v[1:2], v[2:3], v[26:27], -v[28:29]
	v_add_f64 v[6:7], v[14:15], v[6:7]
	v_add_f64 v[8:9], v[16:17], v[8:9]
	v_fma_f64 v[12:13], v[12:13], v[30:31], v[18:19]
	v_fma_f64 v[10:11], v[10:11], v[30:31], -v[20:21]
	s_delay_alu instid0(VALU_DEP_4) | instskip(NEXT) | instid1(VALU_DEP_4)
	v_add_f64 v[1:2], v[6:7], v[1:2]
	v_add_f64 v[3:4], v[8:9], v[4:5]
	s_delay_alu instid0(VALU_DEP_2) | instskip(NEXT) | instid1(VALU_DEP_2)
	v_add_f64 v[1:2], v[1:2], v[10:11]
	v_add_f64 v[3:4], v[3:4], v[12:13]
	s_waitcnt vmcnt(0)
	s_delay_alu instid0(VALU_DEP_2) | instskip(NEXT) | instid1(VALU_DEP_2)
	v_add_f64 v[1:2], v[42:43], -v[1:2]
	v_add_f64 v[3:4], v[44:45], -v[3:4]
	scratch_store_b128 off, v[1:4], off offset:704
	v_cmpx_lt_u32_e32 43, v152
	s_cbranch_execz .LBB116_245
; %bb.244:
	scratch_load_b128 v[1:4], v198, off
	v_mov_b32_e32 v5, 0
	s_delay_alu instid0(VALU_DEP_1)
	v_mov_b32_e32 v6, v5
	v_mov_b32_e32 v7, v5
	;; [unrolled: 1-line block ×3, first 2 shown]
	scratch_store_b128 off, v[5:8], off offset:688
	s_waitcnt vmcnt(0)
	ds_store_b128 v205, v[1:4]
.LBB116_245:
	s_or_b32 exec_lo, exec_lo, s2
	s_waitcnt lgkmcnt(0)
	s_waitcnt_vscnt null, 0x0
	s_barrier
	buffer_gl0_inv
	s_clause 0x7
	scratch_load_b128 v[2:5], off, off offset:704
	scratch_load_b128 v[6:9], off, off offset:720
	;; [unrolled: 1-line block ×8, first 2 shown]
	v_mov_b32_e32 v1, 0
	scratch_load_b128 v[38:41], off, off offset:832
	s_mov_b32 s2, exec_lo
	ds_load_b128 v[34:37], v1 offset:1552
	ds_load_b128 v[42:45], v1 offset:1568
	s_waitcnt vmcnt(8) lgkmcnt(1)
	v_mul_f64 v[164:165], v[36:37], v[4:5]
	v_mul_f64 v[4:5], v[34:35], v[4:5]
	s_waitcnt vmcnt(7) lgkmcnt(0)
	v_mul_f64 v[166:167], v[42:43], v[8:9]
	v_mul_f64 v[8:9], v[44:45], v[8:9]
	s_delay_alu instid0(VALU_DEP_4) | instskip(NEXT) | instid1(VALU_DEP_4)
	v_fma_f64 v[34:35], v[34:35], v[2:3], -v[164:165]
	v_fma_f64 v[36:37], v[36:37], v[2:3], v[4:5]
	ds_load_b128 v[2:5], v1 offset:1584
	v_fma_f64 v[44:45], v[44:45], v[6:7], v[166:167]
	v_fma_f64 v[42:43], v[42:43], v[6:7], -v[8:9]
	ds_load_b128 v[6:9], v1 offset:1600
	s_waitcnt vmcnt(6) lgkmcnt(1)
	v_mul_f64 v[164:165], v[2:3], v[12:13]
	v_mul_f64 v[12:13], v[4:5], v[12:13]
	s_waitcnt vmcnt(5) lgkmcnt(0)
	v_mul_f64 v[170:171], v[6:7], v[16:17]
	v_mul_f64 v[16:17], v[8:9], v[16:17]
	v_add_f64 v[166:167], v[34:35], 0
	v_add_f64 v[168:169], v[36:37], 0
	scratch_load_b128 v[34:37], off, off offset:688
	v_fma_f64 v[164:165], v[4:5], v[10:11], v[164:165]
	v_fma_f64 v[10:11], v[2:3], v[10:11], -v[12:13]
	ds_load_b128 v[2:5], v1 offset:1616
	v_add_f64 v[12:13], v[166:167], v[42:43]
	v_add_f64 v[42:43], v[168:169], v[44:45]
	v_fma_f64 v[166:167], v[8:9], v[14:15], v[170:171]
	v_fma_f64 v[14:15], v[6:7], v[14:15], -v[16:17]
	ds_load_b128 v[6:9], v1 offset:1632
	s_waitcnt vmcnt(5) lgkmcnt(1)
	v_mul_f64 v[44:45], v[2:3], v[20:21]
	v_mul_f64 v[20:21], v[4:5], v[20:21]
	s_waitcnt vmcnt(4) lgkmcnt(0)
	v_mul_f64 v[16:17], v[6:7], v[24:25]
	v_mul_f64 v[24:25], v[8:9], v[24:25]
	v_add_f64 v[10:11], v[12:13], v[10:11]
	v_add_f64 v[12:13], v[42:43], v[164:165]
	v_fma_f64 v[42:43], v[4:5], v[18:19], v[44:45]
	v_fma_f64 v[18:19], v[2:3], v[18:19], -v[20:21]
	ds_load_b128 v[2:5], v1 offset:1648
	v_fma_f64 v[16:17], v[8:9], v[22:23], v[16:17]
	v_fma_f64 v[22:23], v[6:7], v[22:23], -v[24:25]
	ds_load_b128 v[6:9], v1 offset:1664
	s_waitcnt vmcnt(3) lgkmcnt(1)
	v_mul_f64 v[20:21], v[4:5], v[28:29]
	v_add_f64 v[10:11], v[10:11], v[14:15]
	v_add_f64 v[12:13], v[12:13], v[166:167]
	v_mul_f64 v[14:15], v[2:3], v[28:29]
	s_waitcnt vmcnt(2) lgkmcnt(0)
	v_mul_f64 v[24:25], v[8:9], v[32:33]
	v_fma_f64 v[20:21], v[2:3], v[26:27], -v[20:21]
	v_add_f64 v[10:11], v[10:11], v[18:19]
	v_add_f64 v[12:13], v[12:13], v[42:43]
	v_mul_f64 v[18:19], v[6:7], v[32:33]
	v_fma_f64 v[14:15], v[4:5], v[26:27], v[14:15]
	ds_load_b128 v[2:5], v1 offset:1680
	v_fma_f64 v[6:7], v[6:7], v[30:31], -v[24:25]
	v_add_f64 v[10:11], v[10:11], v[22:23]
	v_add_f64 v[12:13], v[12:13], v[16:17]
	s_waitcnt vmcnt(1) lgkmcnt(0)
	v_mul_f64 v[16:17], v[2:3], v[40:41]
	v_mul_f64 v[22:23], v[4:5], v[40:41]
	v_fma_f64 v[8:9], v[8:9], v[30:31], v[18:19]
	v_add_f64 v[10:11], v[10:11], v[20:21]
	v_add_f64 v[12:13], v[12:13], v[14:15]
	v_fma_f64 v[4:5], v[4:5], v[38:39], v[16:17]
	v_fma_f64 v[2:3], v[2:3], v[38:39], -v[22:23]
	s_delay_alu instid0(VALU_DEP_4) | instskip(NEXT) | instid1(VALU_DEP_4)
	v_add_f64 v[6:7], v[10:11], v[6:7]
	v_add_f64 v[8:9], v[12:13], v[8:9]
	s_delay_alu instid0(VALU_DEP_2) | instskip(NEXT) | instid1(VALU_DEP_2)
	v_add_f64 v[2:3], v[6:7], v[2:3]
	v_add_f64 v[4:5], v[8:9], v[4:5]
	s_waitcnt vmcnt(0)
	s_delay_alu instid0(VALU_DEP_2) | instskip(NEXT) | instid1(VALU_DEP_2)
	v_add_f64 v[2:3], v[34:35], -v[2:3]
	v_add_f64 v[4:5], v[36:37], -v[4:5]
	scratch_store_b128 off, v[2:5], off offset:688
	v_cmpx_lt_u32_e32 42, v152
	s_cbranch_execz .LBB116_247
; %bb.246:
	scratch_load_b128 v[5:8], v177, off
	v_mov_b32_e32 v2, v1
	v_mov_b32_e32 v3, v1
	;; [unrolled: 1-line block ×3, first 2 shown]
	scratch_store_b128 off, v[1:4], off offset:672
	s_waitcnt vmcnt(0)
	ds_store_b128 v205, v[5:8]
.LBB116_247:
	s_or_b32 exec_lo, exec_lo, s2
	s_waitcnt lgkmcnt(0)
	s_waitcnt_vscnt null, 0x0
	s_barrier
	buffer_gl0_inv
	s_clause 0x7
	scratch_load_b128 v[2:5], off, off offset:688
	scratch_load_b128 v[6:9], off, off offset:704
	;; [unrolled: 1-line block ×8, first 2 shown]
	ds_load_b128 v[34:37], v1 offset:1536
	ds_load_b128 v[42:45], v1 offset:1552
	s_clause 0x1
	scratch_load_b128 v[38:41], off, off offset:816
	scratch_load_b128 v[164:167], off, off offset:832
	s_mov_b32 s2, exec_lo
	s_waitcnt vmcnt(9) lgkmcnt(1)
	v_mul_f64 v[168:169], v[36:37], v[4:5]
	v_mul_f64 v[4:5], v[34:35], v[4:5]
	s_waitcnt vmcnt(8) lgkmcnt(0)
	v_mul_f64 v[170:171], v[42:43], v[8:9]
	v_mul_f64 v[8:9], v[44:45], v[8:9]
	s_delay_alu instid0(VALU_DEP_4) | instskip(NEXT) | instid1(VALU_DEP_4)
	v_fma_f64 v[34:35], v[34:35], v[2:3], -v[168:169]
	v_fma_f64 v[36:37], v[36:37], v[2:3], v[4:5]
	ds_load_b128 v[2:5], v1 offset:1568
	v_fma_f64 v[44:45], v[44:45], v[6:7], v[170:171]
	v_fma_f64 v[42:43], v[42:43], v[6:7], -v[8:9]
	ds_load_b128 v[6:9], v1 offset:1584
	s_waitcnt vmcnt(7) lgkmcnt(1)
	v_mul_f64 v[168:169], v[2:3], v[12:13]
	v_mul_f64 v[12:13], v[4:5], v[12:13]
	s_waitcnt vmcnt(6) lgkmcnt(0)
	v_mul_f64 v[170:171], v[6:7], v[16:17]
	v_mul_f64 v[16:17], v[8:9], v[16:17]
	v_add_f64 v[34:35], v[34:35], 0
	v_add_f64 v[36:37], v[36:37], 0
	v_fma_f64 v[168:169], v[4:5], v[10:11], v[168:169]
	v_fma_f64 v[172:173], v[2:3], v[10:11], -v[12:13]
	ds_load_b128 v[2:5], v1 offset:1600
	scratch_load_b128 v[10:13], off, off offset:672
	v_add_f64 v[34:35], v[34:35], v[42:43]
	v_add_f64 v[36:37], v[36:37], v[44:45]
	v_fma_f64 v[44:45], v[8:9], v[14:15], v[170:171]
	v_fma_f64 v[14:15], v[6:7], v[14:15], -v[16:17]
	ds_load_b128 v[6:9], v1 offset:1616
	s_waitcnt vmcnt(6) lgkmcnt(1)
	v_mul_f64 v[42:43], v[2:3], v[20:21]
	v_mul_f64 v[20:21], v[4:5], v[20:21]
	v_add_f64 v[16:17], v[34:35], v[172:173]
	v_add_f64 v[34:35], v[36:37], v[168:169]
	s_waitcnt vmcnt(5) lgkmcnt(0)
	v_mul_f64 v[36:37], v[6:7], v[24:25]
	v_mul_f64 v[24:25], v[8:9], v[24:25]
	v_fma_f64 v[42:43], v[4:5], v[18:19], v[42:43]
	v_fma_f64 v[18:19], v[2:3], v[18:19], -v[20:21]
	ds_load_b128 v[2:5], v1 offset:1632
	v_add_f64 v[14:15], v[16:17], v[14:15]
	v_add_f64 v[16:17], v[34:35], v[44:45]
	v_fma_f64 v[34:35], v[8:9], v[22:23], v[36:37]
	v_fma_f64 v[22:23], v[6:7], v[22:23], -v[24:25]
	ds_load_b128 v[6:9], v1 offset:1648
	s_waitcnt vmcnt(4) lgkmcnt(1)
	v_mul_f64 v[20:21], v[2:3], v[28:29]
	v_mul_f64 v[28:29], v[4:5], v[28:29]
	s_waitcnt vmcnt(3) lgkmcnt(0)
	v_mul_f64 v[24:25], v[8:9], v[32:33]
	v_add_f64 v[14:15], v[14:15], v[18:19]
	v_add_f64 v[16:17], v[16:17], v[42:43]
	v_mul_f64 v[18:19], v[6:7], v[32:33]
	v_fma_f64 v[20:21], v[4:5], v[26:27], v[20:21]
	v_fma_f64 v[26:27], v[2:3], v[26:27], -v[28:29]
	ds_load_b128 v[2:5], v1 offset:1664
	v_fma_f64 v[24:25], v[6:7], v[30:31], -v[24:25]
	v_add_f64 v[14:15], v[14:15], v[22:23]
	v_add_f64 v[16:17], v[16:17], v[34:35]
	v_fma_f64 v[18:19], v[8:9], v[30:31], v[18:19]
	ds_load_b128 v[6:9], v1 offset:1680
	s_waitcnt vmcnt(2) lgkmcnt(1)
	v_mul_f64 v[22:23], v[2:3], v[40:41]
	v_mul_f64 v[28:29], v[4:5], v[40:41]
	v_add_f64 v[14:15], v[14:15], v[26:27]
	v_add_f64 v[16:17], v[16:17], v[20:21]
	s_waitcnt vmcnt(1) lgkmcnt(0)
	v_mul_f64 v[20:21], v[6:7], v[166:167]
	v_mul_f64 v[26:27], v[8:9], v[166:167]
	v_fma_f64 v[4:5], v[4:5], v[38:39], v[22:23]
	v_fma_f64 v[1:2], v[2:3], v[38:39], -v[28:29]
	v_add_f64 v[14:15], v[14:15], v[24:25]
	v_add_f64 v[16:17], v[16:17], v[18:19]
	v_fma_f64 v[8:9], v[8:9], v[164:165], v[20:21]
	v_fma_f64 v[6:7], v[6:7], v[164:165], -v[26:27]
	s_delay_alu instid0(VALU_DEP_4) | instskip(NEXT) | instid1(VALU_DEP_4)
	v_add_f64 v[1:2], v[14:15], v[1:2]
	v_add_f64 v[3:4], v[16:17], v[4:5]
	s_delay_alu instid0(VALU_DEP_2) | instskip(NEXT) | instid1(VALU_DEP_2)
	v_add_f64 v[1:2], v[1:2], v[6:7]
	v_add_f64 v[3:4], v[3:4], v[8:9]
	s_waitcnt vmcnt(0)
	s_delay_alu instid0(VALU_DEP_2) | instskip(NEXT) | instid1(VALU_DEP_2)
	v_add_f64 v[1:2], v[10:11], -v[1:2]
	v_add_f64 v[3:4], v[12:13], -v[3:4]
	scratch_store_b128 off, v[1:4], off offset:672
	v_cmpx_lt_u32_e32 41, v152
	s_cbranch_execz .LBB116_249
; %bb.248:
	scratch_load_b128 v[1:4], v153, off
	v_mov_b32_e32 v5, 0
	s_delay_alu instid0(VALU_DEP_1)
	v_mov_b32_e32 v6, v5
	v_mov_b32_e32 v7, v5
	;; [unrolled: 1-line block ×3, first 2 shown]
	scratch_store_b128 off, v[5:8], off offset:656
	s_waitcnt vmcnt(0)
	ds_store_b128 v205, v[1:4]
.LBB116_249:
	s_or_b32 exec_lo, exec_lo, s2
	s_waitcnt lgkmcnt(0)
	s_waitcnt_vscnt null, 0x0
	s_barrier
	buffer_gl0_inv
	s_clause 0x7
	scratch_load_b128 v[2:5], off, off offset:672
	scratch_load_b128 v[6:9], off, off offset:688
	;; [unrolled: 1-line block ×8, first 2 shown]
	v_mov_b32_e32 v1, 0
	s_clause 0x1
	scratch_load_b128 v[38:41], off, off offset:800
	scratch_load_b128 v[164:167], off, off offset:816
	s_mov_b32 s2, exec_lo
	ds_load_b128 v[34:37], v1 offset:1520
	ds_load_b128 v[42:45], v1 offset:1536
	s_waitcnt vmcnt(9) lgkmcnt(1)
	v_mul_f64 v[168:169], v[36:37], v[4:5]
	v_mul_f64 v[4:5], v[34:35], v[4:5]
	s_waitcnt vmcnt(8) lgkmcnt(0)
	v_mul_f64 v[170:171], v[42:43], v[8:9]
	v_mul_f64 v[8:9], v[44:45], v[8:9]
	s_delay_alu instid0(VALU_DEP_4) | instskip(NEXT) | instid1(VALU_DEP_4)
	v_fma_f64 v[168:169], v[34:35], v[2:3], -v[168:169]
	v_fma_f64 v[172:173], v[36:37], v[2:3], v[4:5]
	ds_load_b128 v[2:5], v1 offset:1552
	scratch_load_b128 v[34:37], off, off offset:832
	v_fma_f64 v[44:45], v[44:45], v[6:7], v[170:171]
	v_fma_f64 v[42:43], v[42:43], v[6:7], -v[8:9]
	ds_load_b128 v[6:9], v1 offset:1568
	s_waitcnt vmcnt(8) lgkmcnt(1)
	v_mul_f64 v[174:175], v[2:3], v[12:13]
	v_mul_f64 v[12:13], v[4:5], v[12:13]
	v_add_f64 v[168:169], v[168:169], 0
	v_add_f64 v[170:171], v[172:173], 0
	s_waitcnt vmcnt(7) lgkmcnt(0)
	v_mul_f64 v[172:173], v[6:7], v[16:17]
	v_mul_f64 v[16:17], v[8:9], v[16:17]
	v_fma_f64 v[174:175], v[4:5], v[10:11], v[174:175]
	v_fma_f64 v[10:11], v[2:3], v[10:11], -v[12:13]
	ds_load_b128 v[2:5], v1 offset:1584
	v_add_f64 v[12:13], v[168:169], v[42:43]
	v_add_f64 v[42:43], v[170:171], v[44:45]
	v_fma_f64 v[168:169], v[8:9], v[14:15], v[172:173]
	v_fma_f64 v[14:15], v[6:7], v[14:15], -v[16:17]
	ds_load_b128 v[6:9], v1 offset:1600
	s_waitcnt vmcnt(6) lgkmcnt(1)
	v_mul_f64 v[44:45], v[2:3], v[20:21]
	v_mul_f64 v[20:21], v[4:5], v[20:21]
	s_waitcnt vmcnt(5) lgkmcnt(0)
	v_mul_f64 v[170:171], v[6:7], v[24:25]
	v_mul_f64 v[24:25], v[8:9], v[24:25]
	v_add_f64 v[16:17], v[12:13], v[10:11]
	v_add_f64 v[42:43], v[42:43], v[174:175]
	scratch_load_b128 v[10:13], off, off offset:656
	v_fma_f64 v[44:45], v[4:5], v[18:19], v[44:45]
	v_fma_f64 v[18:19], v[2:3], v[18:19], -v[20:21]
	ds_load_b128 v[2:5], v1 offset:1616
	v_add_f64 v[14:15], v[16:17], v[14:15]
	v_add_f64 v[16:17], v[42:43], v[168:169]
	v_fma_f64 v[42:43], v[8:9], v[22:23], v[170:171]
	v_fma_f64 v[22:23], v[6:7], v[22:23], -v[24:25]
	ds_load_b128 v[6:9], v1 offset:1632
	s_waitcnt vmcnt(5) lgkmcnt(1)
	v_mul_f64 v[20:21], v[2:3], v[28:29]
	v_mul_f64 v[28:29], v[4:5], v[28:29]
	s_waitcnt vmcnt(4) lgkmcnt(0)
	v_mul_f64 v[24:25], v[8:9], v[32:33]
	v_add_f64 v[14:15], v[14:15], v[18:19]
	v_add_f64 v[16:17], v[16:17], v[44:45]
	v_mul_f64 v[18:19], v[6:7], v[32:33]
	v_fma_f64 v[20:21], v[4:5], v[26:27], v[20:21]
	v_fma_f64 v[26:27], v[2:3], v[26:27], -v[28:29]
	ds_load_b128 v[2:5], v1 offset:1648
	v_fma_f64 v[24:25], v[6:7], v[30:31], -v[24:25]
	v_add_f64 v[14:15], v[14:15], v[22:23]
	v_add_f64 v[16:17], v[16:17], v[42:43]
	v_fma_f64 v[18:19], v[8:9], v[30:31], v[18:19]
	ds_load_b128 v[6:9], v1 offset:1664
	s_waitcnt vmcnt(3) lgkmcnt(1)
	v_mul_f64 v[22:23], v[2:3], v[40:41]
	v_mul_f64 v[28:29], v[4:5], v[40:41]
	v_add_f64 v[14:15], v[14:15], v[26:27]
	v_add_f64 v[16:17], v[16:17], v[20:21]
	s_waitcnt vmcnt(2) lgkmcnt(0)
	v_mul_f64 v[20:21], v[6:7], v[166:167]
	v_mul_f64 v[26:27], v[8:9], v[166:167]
	v_fma_f64 v[22:23], v[4:5], v[38:39], v[22:23]
	v_fma_f64 v[28:29], v[2:3], v[38:39], -v[28:29]
	ds_load_b128 v[2:5], v1 offset:1680
	v_add_f64 v[14:15], v[14:15], v[24:25]
	v_add_f64 v[16:17], v[16:17], v[18:19]
	v_fma_f64 v[8:9], v[8:9], v[164:165], v[20:21]
	v_fma_f64 v[6:7], v[6:7], v[164:165], -v[26:27]
	s_waitcnt vmcnt(1) lgkmcnt(0)
	v_mul_f64 v[18:19], v[2:3], v[36:37]
	v_mul_f64 v[24:25], v[4:5], v[36:37]
	v_add_f64 v[14:15], v[14:15], v[28:29]
	v_add_f64 v[16:17], v[16:17], v[22:23]
	s_delay_alu instid0(VALU_DEP_4) | instskip(NEXT) | instid1(VALU_DEP_4)
	v_fma_f64 v[4:5], v[4:5], v[34:35], v[18:19]
	v_fma_f64 v[2:3], v[2:3], v[34:35], -v[24:25]
	s_delay_alu instid0(VALU_DEP_4) | instskip(NEXT) | instid1(VALU_DEP_4)
	v_add_f64 v[6:7], v[14:15], v[6:7]
	v_add_f64 v[8:9], v[16:17], v[8:9]
	s_delay_alu instid0(VALU_DEP_2) | instskip(NEXT) | instid1(VALU_DEP_2)
	v_add_f64 v[2:3], v[6:7], v[2:3]
	v_add_f64 v[4:5], v[8:9], v[4:5]
	s_waitcnt vmcnt(0)
	s_delay_alu instid0(VALU_DEP_2) | instskip(NEXT) | instid1(VALU_DEP_2)
	v_add_f64 v[2:3], v[10:11], -v[2:3]
	v_add_f64 v[4:5], v[12:13], -v[4:5]
	scratch_store_b128 off, v[2:5], off offset:656
	v_cmpx_lt_u32_e32 40, v152
	s_cbranch_execz .LBB116_251
; %bb.250:
	scratch_load_b128 v[5:8], v154, off
	v_mov_b32_e32 v2, v1
	v_mov_b32_e32 v3, v1
	;; [unrolled: 1-line block ×3, first 2 shown]
	scratch_store_b128 off, v[1:4], off offset:640
	s_waitcnt vmcnt(0)
	ds_store_b128 v205, v[5:8]
.LBB116_251:
	s_or_b32 exec_lo, exec_lo, s2
	s_waitcnt lgkmcnt(0)
	s_waitcnt_vscnt null, 0x0
	s_barrier
	buffer_gl0_inv
	s_clause 0x8
	scratch_load_b128 v[2:5], off, off offset:656
	scratch_load_b128 v[6:9], off, off offset:672
	;; [unrolled: 1-line block ×9, first 2 shown]
	ds_load_b128 v[38:41], v1 offset:1504
	ds_load_b128 v[42:45], v1 offset:1520
	s_clause 0x1
	scratch_load_b128 v[164:167], off, off offset:640
	scratch_load_b128 v[168:171], off, off offset:800
	s_mov_b32 s2, exec_lo
	s_waitcnt vmcnt(10) lgkmcnt(1)
	v_mul_f64 v[172:173], v[40:41], v[4:5]
	v_mul_f64 v[4:5], v[38:39], v[4:5]
	s_waitcnt vmcnt(9) lgkmcnt(0)
	v_mul_f64 v[199:200], v[42:43], v[8:9]
	v_mul_f64 v[8:9], v[44:45], v[8:9]
	s_delay_alu instid0(VALU_DEP_4) | instskip(NEXT) | instid1(VALU_DEP_4)
	v_fma_f64 v[217:218], v[38:39], v[2:3], -v[172:173]
	v_fma_f64 v[219:220], v[40:41], v[2:3], v[4:5]
	ds_load_b128 v[2:5], v1 offset:1536
	ds_load_b128 v[172:175], v1 offset:1552
	scratch_load_b128 v[38:41], off, off offset:816
	v_fma_f64 v[44:45], v[44:45], v[6:7], v[199:200]
	v_fma_f64 v[42:43], v[42:43], v[6:7], -v[8:9]
	scratch_load_b128 v[6:9], off, off offset:832
	s_waitcnt vmcnt(10) lgkmcnt(1)
	v_mul_f64 v[221:222], v[2:3], v[12:13]
	v_mul_f64 v[12:13], v[4:5], v[12:13]
	v_add_f64 v[199:200], v[217:218], 0
	v_add_f64 v[217:218], v[219:220], 0
	s_waitcnt vmcnt(9) lgkmcnt(0)
	v_mul_f64 v[219:220], v[172:173], v[16:17]
	v_mul_f64 v[16:17], v[174:175], v[16:17]
	v_fma_f64 v[221:222], v[4:5], v[10:11], v[221:222]
	v_fma_f64 v[223:224], v[2:3], v[10:11], -v[12:13]
	ds_load_b128 v[2:5], v1 offset:1568
	ds_load_b128 v[10:13], v1 offset:1584
	v_add_f64 v[42:43], v[199:200], v[42:43]
	v_add_f64 v[44:45], v[217:218], v[44:45]
	v_fma_f64 v[174:175], v[174:175], v[14:15], v[219:220]
	v_fma_f64 v[14:15], v[172:173], v[14:15], -v[16:17]
	s_waitcnt vmcnt(8) lgkmcnt(1)
	v_mul_f64 v[199:200], v[2:3], v[20:21]
	v_mul_f64 v[20:21], v[4:5], v[20:21]
	v_add_f64 v[16:17], v[42:43], v[223:224]
	v_add_f64 v[42:43], v[44:45], v[221:222]
	s_waitcnt vmcnt(7) lgkmcnt(0)
	v_mul_f64 v[44:45], v[10:11], v[24:25]
	v_mul_f64 v[24:25], v[12:13], v[24:25]
	v_fma_f64 v[172:173], v[4:5], v[18:19], v[199:200]
	v_fma_f64 v[18:19], v[2:3], v[18:19], -v[20:21]
	v_add_f64 v[20:21], v[16:17], v[14:15]
	v_add_f64 v[42:43], v[42:43], v[174:175]
	ds_load_b128 v[2:5], v1 offset:1600
	ds_load_b128 v[14:17], v1 offset:1616
	v_fma_f64 v[12:13], v[12:13], v[22:23], v[44:45]
	v_fma_f64 v[10:11], v[10:11], v[22:23], -v[24:25]
	s_waitcnt vmcnt(6) lgkmcnt(1)
	v_mul_f64 v[174:175], v[2:3], v[28:29]
	v_mul_f64 v[28:29], v[4:5], v[28:29]
	s_waitcnt vmcnt(5) lgkmcnt(0)
	v_mul_f64 v[22:23], v[14:15], v[32:33]
	v_mul_f64 v[24:25], v[16:17], v[32:33]
	v_add_f64 v[18:19], v[20:21], v[18:19]
	v_add_f64 v[20:21], v[42:43], v[172:173]
	v_fma_f64 v[32:33], v[4:5], v[26:27], v[174:175]
	v_fma_f64 v[26:27], v[2:3], v[26:27], -v[28:29]
	v_fma_f64 v[16:17], v[16:17], v[30:31], v[22:23]
	v_fma_f64 v[14:15], v[14:15], v[30:31], -v[24:25]
	v_add_f64 v[18:19], v[18:19], v[10:11]
	v_add_f64 v[20:21], v[20:21], v[12:13]
	ds_load_b128 v[2:5], v1 offset:1632
	ds_load_b128 v[10:13], v1 offset:1648
	s_waitcnt vmcnt(4) lgkmcnt(1)
	v_mul_f64 v[28:29], v[2:3], v[36:37]
	v_mul_f64 v[36:37], v[4:5], v[36:37]
	s_waitcnt vmcnt(2) lgkmcnt(0)
	v_mul_f64 v[22:23], v[10:11], v[170:171]
	v_mul_f64 v[24:25], v[12:13], v[170:171]
	v_add_f64 v[18:19], v[18:19], v[26:27]
	v_add_f64 v[20:21], v[20:21], v[32:33]
	v_fma_f64 v[26:27], v[4:5], v[34:35], v[28:29]
	v_fma_f64 v[28:29], v[2:3], v[34:35], -v[36:37]
	v_fma_f64 v[12:13], v[12:13], v[168:169], v[22:23]
	v_fma_f64 v[10:11], v[10:11], v[168:169], -v[24:25]
	v_add_f64 v[18:19], v[18:19], v[14:15]
	v_add_f64 v[20:21], v[20:21], v[16:17]
	ds_load_b128 v[2:5], v1 offset:1664
	ds_load_b128 v[14:17], v1 offset:1680
	s_waitcnt vmcnt(1) lgkmcnt(1)
	v_mul_f64 v[30:31], v[2:3], v[40:41]
	v_mul_f64 v[32:33], v[4:5], v[40:41]
	s_waitcnt vmcnt(0) lgkmcnt(0)
	v_mul_f64 v[22:23], v[14:15], v[8:9]
	v_mul_f64 v[8:9], v[16:17], v[8:9]
	v_add_f64 v[18:19], v[18:19], v[28:29]
	v_add_f64 v[20:21], v[20:21], v[26:27]
	v_fma_f64 v[4:5], v[4:5], v[38:39], v[30:31]
	v_fma_f64 v[1:2], v[2:3], v[38:39], -v[32:33]
	v_fma_f64 v[16:17], v[16:17], v[6:7], v[22:23]
	v_fma_f64 v[6:7], v[14:15], v[6:7], -v[8:9]
	v_add_f64 v[10:11], v[18:19], v[10:11]
	v_add_f64 v[12:13], v[20:21], v[12:13]
	s_delay_alu instid0(VALU_DEP_2) | instskip(NEXT) | instid1(VALU_DEP_2)
	v_add_f64 v[1:2], v[10:11], v[1:2]
	v_add_f64 v[3:4], v[12:13], v[4:5]
	s_delay_alu instid0(VALU_DEP_2) | instskip(NEXT) | instid1(VALU_DEP_2)
	;; [unrolled: 3-line block ×3, first 2 shown]
	v_add_f64 v[1:2], v[164:165], -v[1:2]
	v_add_f64 v[3:4], v[166:167], -v[3:4]
	scratch_store_b128 off, v[1:4], off offset:640
	v_cmpx_lt_u32_e32 39, v152
	s_cbranch_execz .LBB116_253
; %bb.252:
	scratch_load_b128 v[1:4], v206, off
	v_mov_b32_e32 v5, 0
	s_delay_alu instid0(VALU_DEP_1)
	v_mov_b32_e32 v6, v5
	v_mov_b32_e32 v7, v5
	;; [unrolled: 1-line block ×3, first 2 shown]
	scratch_store_b128 off, v[5:8], off offset:624
	s_waitcnt vmcnt(0)
	ds_store_b128 v205, v[1:4]
.LBB116_253:
	s_or_b32 exec_lo, exec_lo, s2
	s_waitcnt lgkmcnt(0)
	s_waitcnt_vscnt null, 0x0
	s_barrier
	buffer_gl0_inv
	s_clause 0x7
	scratch_load_b128 v[2:5], off, off offset:640
	scratch_load_b128 v[6:9], off, off offset:656
	;; [unrolled: 1-line block ×8, first 2 shown]
	v_mov_b32_e32 v1, 0
	s_mov_b32 s2, exec_lo
	ds_load_b128 v[34:37], v1 offset:1488
	s_clause 0x1
	scratch_load_b128 v[38:41], off, off offset:768
	scratch_load_b128 v[42:45], off, off offset:624
	ds_load_b128 v[164:167], v1 offset:1504
	scratch_load_b128 v[168:171], off, off offset:784
	s_waitcnt vmcnt(10) lgkmcnt(1)
	v_mul_f64 v[172:173], v[36:37], v[4:5]
	v_mul_f64 v[4:5], v[34:35], v[4:5]
	s_delay_alu instid0(VALU_DEP_2) | instskip(NEXT) | instid1(VALU_DEP_2)
	v_fma_f64 v[217:218], v[34:35], v[2:3], -v[172:173]
	v_fma_f64 v[219:220], v[36:37], v[2:3], v[4:5]
	scratch_load_b128 v[34:37], off, off offset:800
	ds_load_b128 v[2:5], v1 offset:1520
	s_waitcnt vmcnt(10) lgkmcnt(1)
	v_mul_f64 v[199:200], v[164:165], v[8:9]
	v_mul_f64 v[8:9], v[166:167], v[8:9]
	ds_load_b128 v[172:175], v1 offset:1536
	s_waitcnt vmcnt(9) lgkmcnt(1)
	v_mul_f64 v[221:222], v[2:3], v[12:13]
	v_mul_f64 v[12:13], v[4:5], v[12:13]
	v_fma_f64 v[166:167], v[166:167], v[6:7], v[199:200]
	v_fma_f64 v[164:165], v[164:165], v[6:7], -v[8:9]
	v_add_f64 v[199:200], v[217:218], 0
	v_add_f64 v[217:218], v[219:220], 0
	scratch_load_b128 v[6:9], off, off offset:816
	v_fma_f64 v[221:222], v[4:5], v[10:11], v[221:222]
	v_fma_f64 v[223:224], v[2:3], v[10:11], -v[12:13]
	scratch_load_b128 v[10:13], off, off offset:832
	ds_load_b128 v[2:5], v1 offset:1552
	s_waitcnt vmcnt(10) lgkmcnt(1)
	v_mul_f64 v[219:220], v[172:173], v[16:17]
	v_mul_f64 v[16:17], v[174:175], v[16:17]
	v_add_f64 v[199:200], v[199:200], v[164:165]
	v_add_f64 v[217:218], v[217:218], v[166:167]
	s_waitcnt vmcnt(9) lgkmcnt(0)
	v_mul_f64 v[225:226], v[2:3], v[20:21]
	v_mul_f64 v[20:21], v[4:5], v[20:21]
	ds_load_b128 v[164:167], v1 offset:1568
	v_fma_f64 v[174:175], v[174:175], v[14:15], v[219:220]
	v_fma_f64 v[14:15], v[172:173], v[14:15], -v[16:17]
	v_add_f64 v[16:17], v[199:200], v[223:224]
	v_add_f64 v[172:173], v[217:218], v[221:222]
	s_waitcnt vmcnt(8) lgkmcnt(0)
	v_mul_f64 v[199:200], v[164:165], v[24:25]
	v_mul_f64 v[24:25], v[166:167], v[24:25]
	v_fma_f64 v[217:218], v[4:5], v[18:19], v[225:226]
	v_fma_f64 v[18:19], v[2:3], v[18:19], -v[20:21]
	v_add_f64 v[20:21], v[16:17], v[14:15]
	v_add_f64 v[172:173], v[172:173], v[174:175]
	ds_load_b128 v[2:5], v1 offset:1584
	ds_load_b128 v[14:17], v1 offset:1600
	v_fma_f64 v[166:167], v[166:167], v[22:23], v[199:200]
	v_fma_f64 v[22:23], v[164:165], v[22:23], -v[24:25]
	s_waitcnt vmcnt(7) lgkmcnt(1)
	v_mul_f64 v[174:175], v[2:3], v[28:29]
	v_mul_f64 v[28:29], v[4:5], v[28:29]
	s_waitcnt vmcnt(6) lgkmcnt(0)
	v_mul_f64 v[24:25], v[14:15], v[32:33]
	v_mul_f64 v[32:33], v[16:17], v[32:33]
	v_add_f64 v[18:19], v[20:21], v[18:19]
	v_add_f64 v[20:21], v[172:173], v[217:218]
	v_fma_f64 v[164:165], v[4:5], v[26:27], v[174:175]
	v_fma_f64 v[26:27], v[2:3], v[26:27], -v[28:29]
	v_fma_f64 v[16:17], v[16:17], v[30:31], v[24:25]
	v_fma_f64 v[14:15], v[14:15], v[30:31], -v[32:33]
	v_add_f64 v[22:23], v[18:19], v[22:23]
	v_add_f64 v[28:29], v[20:21], v[166:167]
	ds_load_b128 v[2:5], v1 offset:1616
	ds_load_b128 v[18:21], v1 offset:1632
	s_waitcnt vmcnt(5) lgkmcnt(1)
	v_mul_f64 v[166:167], v[2:3], v[40:41]
	v_mul_f64 v[40:41], v[4:5], v[40:41]
	v_add_f64 v[22:23], v[22:23], v[26:27]
	v_add_f64 v[24:25], v[28:29], v[164:165]
	s_waitcnt vmcnt(3) lgkmcnt(0)
	v_mul_f64 v[26:27], v[18:19], v[170:171]
	v_mul_f64 v[28:29], v[20:21], v[170:171]
	v_fma_f64 v[30:31], v[4:5], v[38:39], v[166:167]
	v_fma_f64 v[32:33], v[2:3], v[38:39], -v[40:41]
	v_add_f64 v[22:23], v[22:23], v[14:15]
	v_add_f64 v[24:25], v[24:25], v[16:17]
	ds_load_b128 v[2:5], v1 offset:1648
	ds_load_b128 v[14:17], v1 offset:1664
	v_fma_f64 v[20:21], v[20:21], v[168:169], v[26:27]
	v_fma_f64 v[18:19], v[18:19], v[168:169], -v[28:29]
	s_waitcnt vmcnt(2) lgkmcnt(1)
	v_mul_f64 v[38:39], v[2:3], v[36:37]
	v_mul_f64 v[36:37], v[4:5], v[36:37]
	v_add_f64 v[22:23], v[22:23], v[32:33]
	v_add_f64 v[24:25], v[24:25], v[30:31]
	s_waitcnt vmcnt(1) lgkmcnt(0)
	v_mul_f64 v[26:27], v[14:15], v[8:9]
	v_mul_f64 v[8:9], v[16:17], v[8:9]
	v_fma_f64 v[28:29], v[4:5], v[34:35], v[38:39]
	v_fma_f64 v[30:31], v[2:3], v[34:35], -v[36:37]
	ds_load_b128 v[2:5], v1 offset:1680
	v_add_f64 v[18:19], v[22:23], v[18:19]
	v_add_f64 v[20:21], v[24:25], v[20:21]
	s_waitcnt vmcnt(0) lgkmcnt(0)
	v_mul_f64 v[22:23], v[2:3], v[12:13]
	v_mul_f64 v[12:13], v[4:5], v[12:13]
	v_fma_f64 v[16:17], v[16:17], v[6:7], v[26:27]
	v_fma_f64 v[6:7], v[14:15], v[6:7], -v[8:9]
	v_add_f64 v[8:9], v[18:19], v[30:31]
	v_add_f64 v[14:15], v[20:21], v[28:29]
	v_fma_f64 v[4:5], v[4:5], v[10:11], v[22:23]
	v_fma_f64 v[2:3], v[2:3], v[10:11], -v[12:13]
	s_delay_alu instid0(VALU_DEP_4) | instskip(NEXT) | instid1(VALU_DEP_4)
	v_add_f64 v[6:7], v[8:9], v[6:7]
	v_add_f64 v[8:9], v[14:15], v[16:17]
	s_delay_alu instid0(VALU_DEP_2) | instskip(NEXT) | instid1(VALU_DEP_2)
	v_add_f64 v[2:3], v[6:7], v[2:3]
	v_add_f64 v[4:5], v[8:9], v[4:5]
	s_delay_alu instid0(VALU_DEP_2) | instskip(NEXT) | instid1(VALU_DEP_2)
	v_add_f64 v[2:3], v[42:43], -v[2:3]
	v_add_f64 v[4:5], v[44:45], -v[4:5]
	scratch_store_b128 off, v[2:5], off offset:624
	v_cmpx_lt_u32_e32 38, v152
	s_cbranch_execz .LBB116_255
; %bb.254:
	scratch_load_b128 v[5:8], v207, off
	v_mov_b32_e32 v2, v1
	v_mov_b32_e32 v3, v1
	;; [unrolled: 1-line block ×3, first 2 shown]
	scratch_store_b128 off, v[1:4], off offset:608
	s_waitcnt vmcnt(0)
	ds_store_b128 v205, v[5:8]
.LBB116_255:
	s_or_b32 exec_lo, exec_lo, s2
	s_waitcnt lgkmcnt(0)
	s_waitcnt_vscnt null, 0x0
	s_barrier
	buffer_gl0_inv
	s_clause 0x8
	scratch_load_b128 v[2:5], off, off offset:624
	scratch_load_b128 v[6:9], off, off offset:640
	;; [unrolled: 1-line block ×9, first 2 shown]
	ds_load_b128 v[38:41], v1 offset:1472
	ds_load_b128 v[42:45], v1 offset:1488
	s_clause 0x1
	scratch_load_b128 v[164:167], off, off offset:608
	scratch_load_b128 v[168:171], off, off offset:768
	s_mov_b32 s2, exec_lo
	s_waitcnt vmcnt(10) lgkmcnt(1)
	v_mul_f64 v[172:173], v[40:41], v[4:5]
	v_mul_f64 v[4:5], v[38:39], v[4:5]
	s_waitcnt vmcnt(9) lgkmcnt(0)
	v_mul_f64 v[199:200], v[42:43], v[8:9]
	v_mul_f64 v[8:9], v[44:45], v[8:9]
	s_delay_alu instid0(VALU_DEP_4) | instskip(NEXT) | instid1(VALU_DEP_4)
	v_fma_f64 v[217:218], v[38:39], v[2:3], -v[172:173]
	v_fma_f64 v[219:220], v[40:41], v[2:3], v[4:5]
	ds_load_b128 v[2:5], v1 offset:1504
	ds_load_b128 v[172:175], v1 offset:1520
	scratch_load_b128 v[38:41], off, off offset:784
	v_fma_f64 v[44:45], v[44:45], v[6:7], v[199:200]
	v_fma_f64 v[42:43], v[42:43], v[6:7], -v[8:9]
	scratch_load_b128 v[6:9], off, off offset:800
	s_waitcnt vmcnt(10) lgkmcnt(1)
	v_mul_f64 v[221:222], v[2:3], v[12:13]
	v_mul_f64 v[12:13], v[4:5], v[12:13]
	v_add_f64 v[199:200], v[217:218], 0
	v_add_f64 v[217:218], v[219:220], 0
	s_waitcnt vmcnt(9) lgkmcnt(0)
	v_mul_f64 v[219:220], v[172:173], v[16:17]
	v_mul_f64 v[16:17], v[174:175], v[16:17]
	v_fma_f64 v[221:222], v[4:5], v[10:11], v[221:222]
	v_fma_f64 v[223:224], v[2:3], v[10:11], -v[12:13]
	ds_load_b128 v[2:5], v1 offset:1536
	scratch_load_b128 v[10:13], off, off offset:816
	v_add_f64 v[199:200], v[199:200], v[42:43]
	v_add_f64 v[217:218], v[217:218], v[44:45]
	ds_load_b128 v[42:45], v1 offset:1552
	v_fma_f64 v[174:175], v[174:175], v[14:15], v[219:220]
	v_fma_f64 v[172:173], v[172:173], v[14:15], -v[16:17]
	scratch_load_b128 v[14:17], off, off offset:832
	s_waitcnt vmcnt(10) lgkmcnt(1)
	v_mul_f64 v[225:226], v[2:3], v[20:21]
	v_mul_f64 v[20:21], v[4:5], v[20:21]
	s_waitcnt vmcnt(9) lgkmcnt(0)
	v_mul_f64 v[219:220], v[42:43], v[24:25]
	v_mul_f64 v[24:25], v[44:45], v[24:25]
	v_add_f64 v[199:200], v[199:200], v[223:224]
	v_add_f64 v[217:218], v[217:218], v[221:222]
	v_fma_f64 v[221:222], v[4:5], v[18:19], v[225:226]
	v_fma_f64 v[223:224], v[2:3], v[18:19], -v[20:21]
	ds_load_b128 v[2:5], v1 offset:1568
	ds_load_b128 v[18:21], v1 offset:1584
	v_fma_f64 v[44:45], v[44:45], v[22:23], v[219:220]
	v_fma_f64 v[22:23], v[42:43], v[22:23], -v[24:25]
	v_add_f64 v[172:173], v[199:200], v[172:173]
	v_add_f64 v[174:175], v[217:218], v[174:175]
	s_waitcnt vmcnt(8) lgkmcnt(1)
	v_mul_f64 v[199:200], v[2:3], v[28:29]
	v_mul_f64 v[28:29], v[4:5], v[28:29]
	s_delay_alu instid0(VALU_DEP_4) | instskip(NEXT) | instid1(VALU_DEP_4)
	v_add_f64 v[24:25], v[172:173], v[223:224]
	v_add_f64 v[42:43], v[174:175], v[221:222]
	s_waitcnt vmcnt(7) lgkmcnt(0)
	v_mul_f64 v[172:173], v[18:19], v[32:33]
	v_mul_f64 v[32:33], v[20:21], v[32:33]
	v_fma_f64 v[174:175], v[4:5], v[26:27], v[199:200]
	v_fma_f64 v[26:27], v[2:3], v[26:27], -v[28:29]
	v_add_f64 v[28:29], v[24:25], v[22:23]
	v_add_f64 v[42:43], v[42:43], v[44:45]
	ds_load_b128 v[2:5], v1 offset:1600
	ds_load_b128 v[22:25], v1 offset:1616
	v_fma_f64 v[20:21], v[20:21], v[30:31], v[172:173]
	v_fma_f64 v[18:19], v[18:19], v[30:31], -v[32:33]
	s_waitcnt vmcnt(6) lgkmcnt(1)
	v_mul_f64 v[44:45], v[2:3], v[36:37]
	v_mul_f64 v[36:37], v[4:5], v[36:37]
	s_waitcnt vmcnt(4) lgkmcnt(0)
	v_mul_f64 v[30:31], v[22:23], v[170:171]
	v_mul_f64 v[32:33], v[24:25], v[170:171]
	v_add_f64 v[26:27], v[28:29], v[26:27]
	v_add_f64 v[28:29], v[42:43], v[174:175]
	v_fma_f64 v[42:43], v[4:5], v[34:35], v[44:45]
	v_fma_f64 v[34:35], v[2:3], v[34:35], -v[36:37]
	v_fma_f64 v[24:25], v[24:25], v[168:169], v[30:31]
	v_fma_f64 v[22:23], v[22:23], v[168:169], -v[32:33]
	v_add_f64 v[26:27], v[26:27], v[18:19]
	v_add_f64 v[28:29], v[28:29], v[20:21]
	ds_load_b128 v[2:5], v1 offset:1632
	ds_load_b128 v[18:21], v1 offset:1648
	s_waitcnt vmcnt(3) lgkmcnt(1)
	v_mul_f64 v[36:37], v[2:3], v[40:41]
	v_mul_f64 v[40:41], v[4:5], v[40:41]
	s_waitcnt vmcnt(2) lgkmcnt(0)
	v_mul_f64 v[30:31], v[18:19], v[8:9]
	v_mul_f64 v[8:9], v[20:21], v[8:9]
	v_add_f64 v[26:27], v[26:27], v[34:35]
	v_add_f64 v[28:29], v[28:29], v[42:43]
	v_fma_f64 v[32:33], v[4:5], v[38:39], v[36:37]
	v_fma_f64 v[34:35], v[2:3], v[38:39], -v[40:41]
	v_fma_f64 v[20:21], v[20:21], v[6:7], v[30:31]
	v_fma_f64 v[6:7], v[18:19], v[6:7], -v[8:9]
	v_add_f64 v[26:27], v[26:27], v[22:23]
	v_add_f64 v[28:29], v[28:29], v[24:25]
	ds_load_b128 v[2:5], v1 offset:1664
	ds_load_b128 v[22:25], v1 offset:1680
	s_waitcnt vmcnt(1) lgkmcnt(1)
	v_mul_f64 v[36:37], v[2:3], v[12:13]
	v_mul_f64 v[12:13], v[4:5], v[12:13]
	v_add_f64 v[8:9], v[26:27], v[34:35]
	v_add_f64 v[18:19], v[28:29], v[32:33]
	s_waitcnt vmcnt(0) lgkmcnt(0)
	v_mul_f64 v[26:27], v[22:23], v[16:17]
	v_mul_f64 v[16:17], v[24:25], v[16:17]
	v_fma_f64 v[4:5], v[4:5], v[10:11], v[36:37]
	v_fma_f64 v[1:2], v[2:3], v[10:11], -v[12:13]
	v_add_f64 v[6:7], v[8:9], v[6:7]
	v_add_f64 v[8:9], v[18:19], v[20:21]
	v_fma_f64 v[10:11], v[24:25], v[14:15], v[26:27]
	v_fma_f64 v[12:13], v[22:23], v[14:15], -v[16:17]
	s_delay_alu instid0(VALU_DEP_4) | instskip(NEXT) | instid1(VALU_DEP_4)
	v_add_f64 v[1:2], v[6:7], v[1:2]
	v_add_f64 v[3:4], v[8:9], v[4:5]
	s_delay_alu instid0(VALU_DEP_2) | instskip(NEXT) | instid1(VALU_DEP_2)
	v_add_f64 v[1:2], v[1:2], v[12:13]
	v_add_f64 v[3:4], v[3:4], v[10:11]
	s_delay_alu instid0(VALU_DEP_2) | instskip(NEXT) | instid1(VALU_DEP_2)
	v_add_f64 v[1:2], v[164:165], -v[1:2]
	v_add_f64 v[3:4], v[166:167], -v[3:4]
	scratch_store_b128 off, v[1:4], off offset:608
	v_cmpx_lt_u32_e32 37, v152
	s_cbranch_execz .LBB116_257
; %bb.256:
	scratch_load_b128 v[1:4], v208, off
	v_mov_b32_e32 v5, 0
	s_delay_alu instid0(VALU_DEP_1)
	v_mov_b32_e32 v6, v5
	v_mov_b32_e32 v7, v5
	;; [unrolled: 1-line block ×3, first 2 shown]
	scratch_store_b128 off, v[5:8], off offset:592
	s_waitcnt vmcnt(0)
	ds_store_b128 v205, v[1:4]
.LBB116_257:
	s_or_b32 exec_lo, exec_lo, s2
	s_waitcnt lgkmcnt(0)
	s_waitcnt_vscnt null, 0x0
	s_barrier
	buffer_gl0_inv
	s_clause 0x7
	scratch_load_b128 v[2:5], off, off offset:608
	scratch_load_b128 v[6:9], off, off offset:624
	;; [unrolled: 1-line block ×8, first 2 shown]
	v_mov_b32_e32 v1, 0
	s_mov_b32 s2, exec_lo
	ds_load_b128 v[34:37], v1 offset:1456
	s_clause 0x1
	scratch_load_b128 v[38:41], off, off offset:736
	scratch_load_b128 v[42:45], off, off offset:592
	ds_load_b128 v[164:167], v1 offset:1472
	scratch_load_b128 v[168:171], off, off offset:752
	s_waitcnt vmcnt(10) lgkmcnt(1)
	v_mul_f64 v[172:173], v[36:37], v[4:5]
	v_mul_f64 v[4:5], v[34:35], v[4:5]
	s_delay_alu instid0(VALU_DEP_2) | instskip(NEXT) | instid1(VALU_DEP_2)
	v_fma_f64 v[217:218], v[34:35], v[2:3], -v[172:173]
	v_fma_f64 v[219:220], v[36:37], v[2:3], v[4:5]
	scratch_load_b128 v[34:37], off, off offset:768
	ds_load_b128 v[2:5], v1 offset:1488
	s_waitcnt vmcnt(10) lgkmcnt(1)
	v_mul_f64 v[199:200], v[164:165], v[8:9]
	v_mul_f64 v[8:9], v[166:167], v[8:9]
	ds_load_b128 v[172:175], v1 offset:1504
	s_waitcnt vmcnt(9) lgkmcnt(1)
	v_mul_f64 v[221:222], v[2:3], v[12:13]
	v_mul_f64 v[12:13], v[4:5], v[12:13]
	v_fma_f64 v[166:167], v[166:167], v[6:7], v[199:200]
	v_fma_f64 v[164:165], v[164:165], v[6:7], -v[8:9]
	v_add_f64 v[199:200], v[217:218], 0
	v_add_f64 v[217:218], v[219:220], 0
	scratch_load_b128 v[6:9], off, off offset:784
	v_fma_f64 v[221:222], v[4:5], v[10:11], v[221:222]
	v_fma_f64 v[223:224], v[2:3], v[10:11], -v[12:13]
	scratch_load_b128 v[10:13], off, off offset:800
	ds_load_b128 v[2:5], v1 offset:1520
	s_waitcnt vmcnt(10) lgkmcnt(1)
	v_mul_f64 v[219:220], v[172:173], v[16:17]
	v_mul_f64 v[16:17], v[174:175], v[16:17]
	v_add_f64 v[199:200], v[199:200], v[164:165]
	v_add_f64 v[217:218], v[217:218], v[166:167]
	s_waitcnt vmcnt(9) lgkmcnt(0)
	v_mul_f64 v[225:226], v[2:3], v[20:21]
	v_mul_f64 v[20:21], v[4:5], v[20:21]
	ds_load_b128 v[164:167], v1 offset:1536
	v_fma_f64 v[174:175], v[174:175], v[14:15], v[219:220]
	v_fma_f64 v[172:173], v[172:173], v[14:15], -v[16:17]
	scratch_load_b128 v[14:17], off, off offset:816
	v_add_f64 v[199:200], v[199:200], v[223:224]
	v_add_f64 v[217:218], v[217:218], v[221:222]
	v_fma_f64 v[221:222], v[4:5], v[18:19], v[225:226]
	v_fma_f64 v[223:224], v[2:3], v[18:19], -v[20:21]
	scratch_load_b128 v[18:21], off, off offset:832
	ds_load_b128 v[2:5], v1 offset:1552
	s_waitcnt vmcnt(10) lgkmcnt(1)
	v_mul_f64 v[219:220], v[164:165], v[24:25]
	v_mul_f64 v[24:25], v[166:167], v[24:25]
	s_waitcnt vmcnt(9) lgkmcnt(0)
	v_mul_f64 v[225:226], v[2:3], v[28:29]
	v_mul_f64 v[28:29], v[4:5], v[28:29]
	v_add_f64 v[199:200], v[199:200], v[172:173]
	v_add_f64 v[217:218], v[217:218], v[174:175]
	ds_load_b128 v[172:175], v1 offset:1568
	v_fma_f64 v[166:167], v[166:167], v[22:23], v[219:220]
	v_fma_f64 v[22:23], v[164:165], v[22:23], -v[24:25]
	v_add_f64 v[24:25], v[199:200], v[223:224]
	v_add_f64 v[164:165], v[217:218], v[221:222]
	s_waitcnt vmcnt(8) lgkmcnt(0)
	v_mul_f64 v[199:200], v[172:173], v[32:33]
	v_mul_f64 v[32:33], v[174:175], v[32:33]
	v_fma_f64 v[217:218], v[4:5], v[26:27], v[225:226]
	v_fma_f64 v[26:27], v[2:3], v[26:27], -v[28:29]
	v_add_f64 v[28:29], v[24:25], v[22:23]
	v_add_f64 v[164:165], v[164:165], v[166:167]
	ds_load_b128 v[2:5], v1 offset:1584
	ds_load_b128 v[22:25], v1 offset:1600
	v_fma_f64 v[174:175], v[174:175], v[30:31], v[199:200]
	v_fma_f64 v[30:31], v[172:173], v[30:31], -v[32:33]
	s_waitcnt vmcnt(7) lgkmcnt(1)
	v_mul_f64 v[166:167], v[2:3], v[40:41]
	v_mul_f64 v[40:41], v[4:5], v[40:41]
	s_waitcnt vmcnt(5) lgkmcnt(0)
	v_mul_f64 v[32:33], v[22:23], v[170:171]
	v_add_f64 v[26:27], v[28:29], v[26:27]
	v_add_f64 v[28:29], v[164:165], v[217:218]
	v_mul_f64 v[164:165], v[24:25], v[170:171]
	v_fma_f64 v[166:167], v[4:5], v[38:39], v[166:167]
	v_fma_f64 v[38:39], v[2:3], v[38:39], -v[40:41]
	v_fma_f64 v[24:25], v[24:25], v[168:169], v[32:33]
	v_add_f64 v[30:31], v[26:27], v[30:31]
	v_add_f64 v[40:41], v[28:29], v[174:175]
	ds_load_b128 v[2:5], v1 offset:1616
	ds_load_b128 v[26:29], v1 offset:1632
	v_fma_f64 v[22:23], v[22:23], v[168:169], -v[164:165]
	s_waitcnt vmcnt(4) lgkmcnt(1)
	v_mul_f64 v[170:171], v[2:3], v[36:37]
	v_mul_f64 v[36:37], v[4:5], v[36:37]
	v_add_f64 v[30:31], v[30:31], v[38:39]
	v_add_f64 v[32:33], v[40:41], v[166:167]
	s_waitcnt vmcnt(3) lgkmcnt(0)
	v_mul_f64 v[38:39], v[26:27], v[8:9]
	v_mul_f64 v[8:9], v[28:29], v[8:9]
	v_fma_f64 v[40:41], v[4:5], v[34:35], v[170:171]
	v_fma_f64 v[34:35], v[2:3], v[34:35], -v[36:37]
	v_add_f64 v[30:31], v[30:31], v[22:23]
	v_add_f64 v[32:33], v[32:33], v[24:25]
	ds_load_b128 v[2:5], v1 offset:1648
	ds_load_b128 v[22:25], v1 offset:1664
	v_fma_f64 v[28:29], v[28:29], v[6:7], v[38:39]
	v_fma_f64 v[6:7], v[26:27], v[6:7], -v[8:9]
	s_waitcnt vmcnt(2) lgkmcnt(1)
	v_mul_f64 v[36:37], v[2:3], v[12:13]
	v_mul_f64 v[12:13], v[4:5], v[12:13]
	v_add_f64 v[8:9], v[30:31], v[34:35]
	v_add_f64 v[26:27], v[32:33], v[40:41]
	s_waitcnt vmcnt(1) lgkmcnt(0)
	v_mul_f64 v[30:31], v[22:23], v[16:17]
	v_mul_f64 v[16:17], v[24:25], v[16:17]
	v_fma_f64 v[32:33], v[4:5], v[10:11], v[36:37]
	v_fma_f64 v[10:11], v[2:3], v[10:11], -v[12:13]
	ds_load_b128 v[2:5], v1 offset:1680
	v_add_f64 v[6:7], v[8:9], v[6:7]
	v_add_f64 v[8:9], v[26:27], v[28:29]
	v_fma_f64 v[24:25], v[24:25], v[14:15], v[30:31]
	v_fma_f64 v[14:15], v[22:23], v[14:15], -v[16:17]
	s_waitcnt vmcnt(0) lgkmcnt(0)
	v_mul_f64 v[12:13], v[2:3], v[20:21]
	v_mul_f64 v[20:21], v[4:5], v[20:21]
	v_add_f64 v[6:7], v[6:7], v[10:11]
	v_add_f64 v[8:9], v[8:9], v[32:33]
	s_delay_alu instid0(VALU_DEP_4) | instskip(NEXT) | instid1(VALU_DEP_4)
	v_fma_f64 v[4:5], v[4:5], v[18:19], v[12:13]
	v_fma_f64 v[2:3], v[2:3], v[18:19], -v[20:21]
	s_delay_alu instid0(VALU_DEP_4) | instskip(NEXT) | instid1(VALU_DEP_4)
	v_add_f64 v[6:7], v[6:7], v[14:15]
	v_add_f64 v[8:9], v[8:9], v[24:25]
	s_delay_alu instid0(VALU_DEP_2) | instskip(NEXT) | instid1(VALU_DEP_2)
	v_add_f64 v[2:3], v[6:7], v[2:3]
	v_add_f64 v[4:5], v[8:9], v[4:5]
	s_delay_alu instid0(VALU_DEP_2) | instskip(NEXT) | instid1(VALU_DEP_2)
	v_add_f64 v[2:3], v[42:43], -v[2:3]
	v_add_f64 v[4:5], v[44:45], -v[4:5]
	scratch_store_b128 off, v[2:5], off offset:592
	v_cmpx_lt_u32_e32 36, v152
	s_cbranch_execz .LBB116_259
; %bb.258:
	scratch_load_b128 v[5:8], v209, off
	v_mov_b32_e32 v2, v1
	v_mov_b32_e32 v3, v1
	;; [unrolled: 1-line block ×3, first 2 shown]
	scratch_store_b128 off, v[1:4], off offset:576
	s_waitcnt vmcnt(0)
	ds_store_b128 v205, v[5:8]
.LBB116_259:
	s_or_b32 exec_lo, exec_lo, s2
	s_waitcnt lgkmcnt(0)
	s_waitcnt_vscnt null, 0x0
	s_barrier
	buffer_gl0_inv
	s_clause 0x8
	scratch_load_b128 v[2:5], off, off offset:592
	scratch_load_b128 v[6:9], off, off offset:608
	;; [unrolled: 1-line block ×9, first 2 shown]
	ds_load_b128 v[38:41], v1 offset:1440
	ds_load_b128 v[42:45], v1 offset:1456
	s_clause 0x1
	scratch_load_b128 v[164:167], off, off offset:576
	scratch_load_b128 v[168:171], off, off offset:736
	s_mov_b32 s2, exec_lo
	s_waitcnt vmcnt(10) lgkmcnt(1)
	v_mul_f64 v[172:173], v[40:41], v[4:5]
	v_mul_f64 v[4:5], v[38:39], v[4:5]
	s_waitcnt vmcnt(9) lgkmcnt(0)
	v_mul_f64 v[199:200], v[42:43], v[8:9]
	v_mul_f64 v[8:9], v[44:45], v[8:9]
	s_delay_alu instid0(VALU_DEP_4) | instskip(NEXT) | instid1(VALU_DEP_4)
	v_fma_f64 v[217:218], v[38:39], v[2:3], -v[172:173]
	v_fma_f64 v[219:220], v[40:41], v[2:3], v[4:5]
	ds_load_b128 v[2:5], v1 offset:1472
	ds_load_b128 v[172:175], v1 offset:1488
	scratch_load_b128 v[38:41], off, off offset:752
	v_fma_f64 v[44:45], v[44:45], v[6:7], v[199:200]
	v_fma_f64 v[42:43], v[42:43], v[6:7], -v[8:9]
	scratch_load_b128 v[6:9], off, off offset:768
	s_waitcnt vmcnt(10) lgkmcnt(1)
	v_mul_f64 v[221:222], v[2:3], v[12:13]
	v_mul_f64 v[12:13], v[4:5], v[12:13]
	v_add_f64 v[199:200], v[217:218], 0
	v_add_f64 v[217:218], v[219:220], 0
	s_waitcnt vmcnt(9) lgkmcnt(0)
	v_mul_f64 v[219:220], v[172:173], v[16:17]
	v_mul_f64 v[16:17], v[174:175], v[16:17]
	v_fma_f64 v[221:222], v[4:5], v[10:11], v[221:222]
	v_fma_f64 v[223:224], v[2:3], v[10:11], -v[12:13]
	ds_load_b128 v[2:5], v1 offset:1504
	scratch_load_b128 v[10:13], off, off offset:784
	v_add_f64 v[199:200], v[199:200], v[42:43]
	v_add_f64 v[217:218], v[217:218], v[44:45]
	ds_load_b128 v[42:45], v1 offset:1520
	v_fma_f64 v[174:175], v[174:175], v[14:15], v[219:220]
	v_fma_f64 v[172:173], v[172:173], v[14:15], -v[16:17]
	scratch_load_b128 v[14:17], off, off offset:800
	s_waitcnt vmcnt(10) lgkmcnt(1)
	v_mul_f64 v[225:226], v[2:3], v[20:21]
	v_mul_f64 v[20:21], v[4:5], v[20:21]
	s_waitcnt vmcnt(9) lgkmcnt(0)
	v_mul_f64 v[219:220], v[42:43], v[24:25]
	v_mul_f64 v[24:25], v[44:45], v[24:25]
	v_add_f64 v[199:200], v[199:200], v[223:224]
	v_add_f64 v[217:218], v[217:218], v[221:222]
	v_fma_f64 v[221:222], v[4:5], v[18:19], v[225:226]
	v_fma_f64 v[223:224], v[2:3], v[18:19], -v[20:21]
	ds_load_b128 v[2:5], v1 offset:1536
	scratch_load_b128 v[18:21], off, off offset:816
	v_fma_f64 v[44:45], v[44:45], v[22:23], v[219:220]
	v_fma_f64 v[42:43], v[42:43], v[22:23], -v[24:25]
	scratch_load_b128 v[22:25], off, off offset:832
	v_add_f64 v[199:200], v[199:200], v[172:173]
	v_add_f64 v[217:218], v[217:218], v[174:175]
	ds_load_b128 v[172:175], v1 offset:1552
	s_waitcnt vmcnt(10) lgkmcnt(1)
	v_mul_f64 v[225:226], v[2:3], v[28:29]
	v_mul_f64 v[28:29], v[4:5], v[28:29]
	s_waitcnt vmcnt(9) lgkmcnt(0)
	v_mul_f64 v[219:220], v[172:173], v[32:33]
	v_mul_f64 v[32:33], v[174:175], v[32:33]
	v_add_f64 v[199:200], v[199:200], v[223:224]
	v_add_f64 v[217:218], v[217:218], v[221:222]
	v_fma_f64 v[221:222], v[4:5], v[26:27], v[225:226]
	v_fma_f64 v[223:224], v[2:3], v[26:27], -v[28:29]
	ds_load_b128 v[2:5], v1 offset:1568
	ds_load_b128 v[26:29], v1 offset:1584
	v_fma_f64 v[174:175], v[174:175], v[30:31], v[219:220]
	v_fma_f64 v[30:31], v[172:173], v[30:31], -v[32:33]
	v_add_f64 v[42:43], v[199:200], v[42:43]
	v_add_f64 v[44:45], v[217:218], v[44:45]
	s_waitcnt vmcnt(8) lgkmcnt(1)
	v_mul_f64 v[199:200], v[2:3], v[36:37]
	v_mul_f64 v[36:37], v[4:5], v[36:37]
	s_delay_alu instid0(VALU_DEP_4) | instskip(NEXT) | instid1(VALU_DEP_4)
	v_add_f64 v[32:33], v[42:43], v[223:224]
	v_add_f64 v[42:43], v[44:45], v[221:222]
	s_waitcnt vmcnt(6) lgkmcnt(0)
	v_mul_f64 v[44:45], v[26:27], v[170:171]
	v_mul_f64 v[170:171], v[28:29], v[170:171]
	v_fma_f64 v[172:173], v[4:5], v[34:35], v[199:200]
	v_fma_f64 v[34:35], v[2:3], v[34:35], -v[36:37]
	v_add_f64 v[36:37], v[32:33], v[30:31]
	v_add_f64 v[42:43], v[42:43], v[174:175]
	ds_load_b128 v[2:5], v1 offset:1600
	ds_load_b128 v[30:33], v1 offset:1616
	v_fma_f64 v[28:29], v[28:29], v[168:169], v[44:45]
	v_fma_f64 v[26:27], v[26:27], v[168:169], -v[170:171]
	s_waitcnt vmcnt(5) lgkmcnt(1)
	v_mul_f64 v[174:175], v[2:3], v[40:41]
	v_mul_f64 v[40:41], v[4:5], v[40:41]
	v_add_f64 v[34:35], v[36:37], v[34:35]
	v_add_f64 v[36:37], v[42:43], v[172:173]
	s_waitcnt vmcnt(4) lgkmcnt(0)
	v_mul_f64 v[42:43], v[30:31], v[8:9]
	v_mul_f64 v[8:9], v[32:33], v[8:9]
	v_fma_f64 v[44:45], v[4:5], v[38:39], v[174:175]
	v_fma_f64 v[38:39], v[2:3], v[38:39], -v[40:41]
	v_add_f64 v[34:35], v[34:35], v[26:27]
	v_add_f64 v[36:37], v[36:37], v[28:29]
	ds_load_b128 v[2:5], v1 offset:1632
	ds_load_b128 v[26:29], v1 offset:1648
	v_fma_f64 v[32:33], v[32:33], v[6:7], v[42:43]
	v_fma_f64 v[6:7], v[30:31], v[6:7], -v[8:9]
	s_waitcnt vmcnt(3) lgkmcnt(1)
	v_mul_f64 v[40:41], v[2:3], v[12:13]
	v_mul_f64 v[12:13], v[4:5], v[12:13]
	;; [unrolled: 16-line block ×3, first 2 shown]
	s_waitcnt vmcnt(0) lgkmcnt(0)
	v_mul_f64 v[16:17], v[6:7], v[24:25]
	v_mul_f64 v[24:25], v[8:9], v[24:25]
	v_add_f64 v[10:11], v[12:13], v[10:11]
	v_add_f64 v[12:13], v[30:31], v[36:37]
	v_fma_f64 v[4:5], v[4:5], v[18:19], v[32:33]
	v_fma_f64 v[1:2], v[2:3], v[18:19], -v[20:21]
	v_fma_f64 v[8:9], v[8:9], v[22:23], v[16:17]
	v_fma_f64 v[6:7], v[6:7], v[22:23], -v[24:25]
	v_add_f64 v[10:11], v[10:11], v[14:15]
	v_add_f64 v[12:13], v[12:13], v[28:29]
	s_delay_alu instid0(VALU_DEP_2) | instskip(NEXT) | instid1(VALU_DEP_2)
	v_add_f64 v[1:2], v[10:11], v[1:2]
	v_add_f64 v[3:4], v[12:13], v[4:5]
	s_delay_alu instid0(VALU_DEP_2) | instskip(NEXT) | instid1(VALU_DEP_2)
	;; [unrolled: 3-line block ×3, first 2 shown]
	v_add_f64 v[1:2], v[164:165], -v[1:2]
	v_add_f64 v[3:4], v[166:167], -v[3:4]
	scratch_store_b128 off, v[1:4], off offset:576
	v_cmpx_lt_u32_e32 35, v152
	s_cbranch_execz .LBB116_261
; %bb.260:
	scratch_load_b128 v[1:4], v210, off
	v_mov_b32_e32 v5, 0
	s_delay_alu instid0(VALU_DEP_1)
	v_mov_b32_e32 v6, v5
	v_mov_b32_e32 v7, v5
	;; [unrolled: 1-line block ×3, first 2 shown]
	scratch_store_b128 off, v[5:8], off offset:560
	s_waitcnt vmcnt(0)
	ds_store_b128 v205, v[1:4]
.LBB116_261:
	s_or_b32 exec_lo, exec_lo, s2
	s_waitcnt lgkmcnt(0)
	s_waitcnt_vscnt null, 0x0
	s_barrier
	buffer_gl0_inv
	s_clause 0x7
	scratch_load_b128 v[2:5], off, off offset:576
	scratch_load_b128 v[6:9], off, off offset:592
	;; [unrolled: 1-line block ×8, first 2 shown]
	v_mov_b32_e32 v1, 0
	s_mov_b32 s2, exec_lo
	ds_load_b128 v[34:37], v1 offset:1424
	s_clause 0x1
	scratch_load_b128 v[38:41], off, off offset:704
	scratch_load_b128 v[42:45], off, off offset:560
	ds_load_b128 v[164:167], v1 offset:1440
	scratch_load_b128 v[168:171], off, off offset:720
	s_waitcnt vmcnt(10) lgkmcnt(1)
	v_mul_f64 v[172:173], v[36:37], v[4:5]
	v_mul_f64 v[4:5], v[34:35], v[4:5]
	s_delay_alu instid0(VALU_DEP_2) | instskip(NEXT) | instid1(VALU_DEP_2)
	v_fma_f64 v[217:218], v[34:35], v[2:3], -v[172:173]
	v_fma_f64 v[219:220], v[36:37], v[2:3], v[4:5]
	scratch_load_b128 v[34:37], off, off offset:736
	ds_load_b128 v[2:5], v1 offset:1456
	s_waitcnt vmcnt(10) lgkmcnt(1)
	v_mul_f64 v[199:200], v[164:165], v[8:9]
	v_mul_f64 v[8:9], v[166:167], v[8:9]
	ds_load_b128 v[172:175], v1 offset:1472
	s_waitcnt vmcnt(9) lgkmcnt(1)
	v_mul_f64 v[221:222], v[2:3], v[12:13]
	v_mul_f64 v[12:13], v[4:5], v[12:13]
	v_fma_f64 v[166:167], v[166:167], v[6:7], v[199:200]
	v_fma_f64 v[164:165], v[164:165], v[6:7], -v[8:9]
	v_add_f64 v[199:200], v[217:218], 0
	v_add_f64 v[217:218], v[219:220], 0
	scratch_load_b128 v[6:9], off, off offset:752
	v_fma_f64 v[221:222], v[4:5], v[10:11], v[221:222]
	v_fma_f64 v[223:224], v[2:3], v[10:11], -v[12:13]
	scratch_load_b128 v[10:13], off, off offset:768
	ds_load_b128 v[2:5], v1 offset:1488
	s_waitcnt vmcnt(10) lgkmcnt(1)
	v_mul_f64 v[219:220], v[172:173], v[16:17]
	v_mul_f64 v[16:17], v[174:175], v[16:17]
	v_add_f64 v[199:200], v[199:200], v[164:165]
	v_add_f64 v[217:218], v[217:218], v[166:167]
	s_waitcnt vmcnt(9) lgkmcnt(0)
	v_mul_f64 v[225:226], v[2:3], v[20:21]
	v_mul_f64 v[20:21], v[4:5], v[20:21]
	ds_load_b128 v[164:167], v1 offset:1504
	v_fma_f64 v[174:175], v[174:175], v[14:15], v[219:220]
	v_fma_f64 v[172:173], v[172:173], v[14:15], -v[16:17]
	scratch_load_b128 v[14:17], off, off offset:784
	v_add_f64 v[199:200], v[199:200], v[223:224]
	v_add_f64 v[217:218], v[217:218], v[221:222]
	v_fma_f64 v[221:222], v[4:5], v[18:19], v[225:226]
	v_fma_f64 v[223:224], v[2:3], v[18:19], -v[20:21]
	scratch_load_b128 v[18:21], off, off offset:800
	ds_load_b128 v[2:5], v1 offset:1520
	s_waitcnt vmcnt(10) lgkmcnt(1)
	v_mul_f64 v[219:220], v[164:165], v[24:25]
	v_mul_f64 v[24:25], v[166:167], v[24:25]
	s_waitcnt vmcnt(9) lgkmcnt(0)
	v_mul_f64 v[225:226], v[2:3], v[28:29]
	v_mul_f64 v[28:29], v[4:5], v[28:29]
	v_add_f64 v[199:200], v[199:200], v[172:173]
	v_add_f64 v[217:218], v[217:218], v[174:175]
	ds_load_b128 v[172:175], v1 offset:1536
	v_fma_f64 v[166:167], v[166:167], v[22:23], v[219:220]
	v_fma_f64 v[164:165], v[164:165], v[22:23], -v[24:25]
	scratch_load_b128 v[22:25], off, off offset:816
	v_add_f64 v[199:200], v[199:200], v[223:224]
	v_add_f64 v[217:218], v[217:218], v[221:222]
	v_fma_f64 v[221:222], v[4:5], v[26:27], v[225:226]
	v_fma_f64 v[223:224], v[2:3], v[26:27], -v[28:29]
	scratch_load_b128 v[26:29], off, off offset:832
	ds_load_b128 v[2:5], v1 offset:1552
	s_waitcnt vmcnt(10) lgkmcnt(1)
	v_mul_f64 v[219:220], v[172:173], v[32:33]
	v_mul_f64 v[32:33], v[174:175], v[32:33]
	s_waitcnt vmcnt(9) lgkmcnt(0)
	v_mul_f64 v[225:226], v[2:3], v[40:41]
	v_mul_f64 v[40:41], v[4:5], v[40:41]
	v_add_f64 v[199:200], v[199:200], v[164:165]
	v_add_f64 v[217:218], v[217:218], v[166:167]
	ds_load_b128 v[164:167], v1 offset:1568
	v_fma_f64 v[174:175], v[174:175], v[30:31], v[219:220]
	v_fma_f64 v[30:31], v[172:173], v[30:31], -v[32:33]
	v_add_f64 v[32:33], v[199:200], v[223:224]
	v_add_f64 v[172:173], v[217:218], v[221:222]
	s_waitcnt vmcnt(7) lgkmcnt(0)
	v_mul_f64 v[199:200], v[164:165], v[170:171]
	v_mul_f64 v[170:171], v[166:167], v[170:171]
	v_fma_f64 v[217:218], v[4:5], v[38:39], v[225:226]
	v_fma_f64 v[38:39], v[2:3], v[38:39], -v[40:41]
	v_add_f64 v[40:41], v[32:33], v[30:31]
	v_add_f64 v[172:173], v[172:173], v[174:175]
	ds_load_b128 v[2:5], v1 offset:1584
	ds_load_b128 v[30:33], v1 offset:1600
	v_fma_f64 v[166:167], v[166:167], v[168:169], v[199:200]
	v_fma_f64 v[164:165], v[164:165], v[168:169], -v[170:171]
	s_waitcnt vmcnt(6) lgkmcnt(1)
	v_mul_f64 v[174:175], v[2:3], v[36:37]
	v_mul_f64 v[36:37], v[4:5], v[36:37]
	v_add_f64 v[38:39], v[40:41], v[38:39]
	v_add_f64 v[40:41], v[172:173], v[217:218]
	s_waitcnt vmcnt(5) lgkmcnt(0)
	v_mul_f64 v[168:169], v[30:31], v[8:9]
	v_mul_f64 v[8:9], v[32:33], v[8:9]
	v_fma_f64 v[170:171], v[4:5], v[34:35], v[174:175]
	v_fma_f64 v[172:173], v[2:3], v[34:35], -v[36:37]
	ds_load_b128 v[2:5], v1 offset:1616
	ds_load_b128 v[34:37], v1 offset:1632
	v_add_f64 v[38:39], v[38:39], v[164:165]
	v_add_f64 v[40:41], v[40:41], v[166:167]
	s_waitcnt vmcnt(4) lgkmcnt(1)
	v_mul_f64 v[164:165], v[2:3], v[12:13]
	v_mul_f64 v[12:13], v[4:5], v[12:13]
	v_fma_f64 v[32:33], v[32:33], v[6:7], v[168:169]
	v_fma_f64 v[6:7], v[30:31], v[6:7], -v[8:9]
	v_add_f64 v[8:9], v[38:39], v[172:173]
	v_add_f64 v[30:31], v[40:41], v[170:171]
	s_waitcnt vmcnt(3) lgkmcnt(0)
	v_mul_f64 v[38:39], v[34:35], v[16:17]
	v_mul_f64 v[16:17], v[36:37], v[16:17]
	v_fma_f64 v[40:41], v[4:5], v[10:11], v[164:165]
	v_fma_f64 v[10:11], v[2:3], v[10:11], -v[12:13]
	v_add_f64 v[12:13], v[8:9], v[6:7]
	v_add_f64 v[30:31], v[30:31], v[32:33]
	ds_load_b128 v[2:5], v1 offset:1648
	ds_load_b128 v[6:9], v1 offset:1664
	v_fma_f64 v[36:37], v[36:37], v[14:15], v[38:39]
	v_fma_f64 v[14:15], v[34:35], v[14:15], -v[16:17]
	s_waitcnt vmcnt(2) lgkmcnt(1)
	v_mul_f64 v[32:33], v[2:3], v[20:21]
	v_mul_f64 v[20:21], v[4:5], v[20:21]
	s_waitcnt vmcnt(1) lgkmcnt(0)
	v_mul_f64 v[16:17], v[6:7], v[24:25]
	v_mul_f64 v[24:25], v[8:9], v[24:25]
	v_add_f64 v[10:11], v[12:13], v[10:11]
	v_add_f64 v[12:13], v[30:31], v[40:41]
	v_fma_f64 v[30:31], v[4:5], v[18:19], v[32:33]
	v_fma_f64 v[18:19], v[2:3], v[18:19], -v[20:21]
	ds_load_b128 v[2:5], v1 offset:1680
	v_fma_f64 v[8:9], v[8:9], v[22:23], v[16:17]
	v_fma_f64 v[6:7], v[6:7], v[22:23], -v[24:25]
	v_add_f64 v[10:11], v[10:11], v[14:15]
	v_add_f64 v[12:13], v[12:13], v[36:37]
	s_waitcnt vmcnt(0) lgkmcnt(0)
	v_mul_f64 v[14:15], v[2:3], v[28:29]
	v_mul_f64 v[20:21], v[4:5], v[28:29]
	s_delay_alu instid0(VALU_DEP_4) | instskip(NEXT) | instid1(VALU_DEP_4)
	v_add_f64 v[10:11], v[10:11], v[18:19]
	v_add_f64 v[12:13], v[12:13], v[30:31]
	s_delay_alu instid0(VALU_DEP_4) | instskip(NEXT) | instid1(VALU_DEP_4)
	v_fma_f64 v[4:5], v[4:5], v[26:27], v[14:15]
	v_fma_f64 v[2:3], v[2:3], v[26:27], -v[20:21]
	s_delay_alu instid0(VALU_DEP_4) | instskip(NEXT) | instid1(VALU_DEP_4)
	v_add_f64 v[6:7], v[10:11], v[6:7]
	v_add_f64 v[8:9], v[12:13], v[8:9]
	s_delay_alu instid0(VALU_DEP_2) | instskip(NEXT) | instid1(VALU_DEP_2)
	v_add_f64 v[2:3], v[6:7], v[2:3]
	v_add_f64 v[4:5], v[8:9], v[4:5]
	s_delay_alu instid0(VALU_DEP_2) | instskip(NEXT) | instid1(VALU_DEP_2)
	v_add_f64 v[2:3], v[42:43], -v[2:3]
	v_add_f64 v[4:5], v[44:45], -v[4:5]
	scratch_store_b128 off, v[2:5], off offset:560
	v_cmpx_lt_u32_e32 34, v152
	s_cbranch_execz .LBB116_263
; %bb.262:
	scratch_load_b128 v[5:8], v211, off
	v_mov_b32_e32 v2, v1
	v_mov_b32_e32 v3, v1
	;; [unrolled: 1-line block ×3, first 2 shown]
	scratch_store_b128 off, v[1:4], off offset:544
	s_waitcnt vmcnt(0)
	ds_store_b128 v205, v[5:8]
.LBB116_263:
	s_or_b32 exec_lo, exec_lo, s2
	s_waitcnt lgkmcnt(0)
	s_waitcnt_vscnt null, 0x0
	s_barrier
	buffer_gl0_inv
	s_clause 0x8
	scratch_load_b128 v[2:5], off, off offset:560
	scratch_load_b128 v[6:9], off, off offset:576
	;; [unrolled: 1-line block ×9, first 2 shown]
	ds_load_b128 v[38:41], v1 offset:1408
	ds_load_b128 v[42:45], v1 offset:1424
	s_clause 0x1
	scratch_load_b128 v[164:167], off, off offset:544
	scratch_load_b128 v[168:171], off, off offset:704
	s_mov_b32 s2, exec_lo
	s_waitcnt vmcnt(10) lgkmcnt(1)
	v_mul_f64 v[172:173], v[40:41], v[4:5]
	v_mul_f64 v[4:5], v[38:39], v[4:5]
	s_waitcnt vmcnt(9) lgkmcnt(0)
	v_mul_f64 v[199:200], v[42:43], v[8:9]
	v_mul_f64 v[8:9], v[44:45], v[8:9]
	s_delay_alu instid0(VALU_DEP_4) | instskip(NEXT) | instid1(VALU_DEP_4)
	v_fma_f64 v[217:218], v[38:39], v[2:3], -v[172:173]
	v_fma_f64 v[219:220], v[40:41], v[2:3], v[4:5]
	ds_load_b128 v[2:5], v1 offset:1440
	ds_load_b128 v[172:175], v1 offset:1456
	scratch_load_b128 v[38:41], off, off offset:720
	v_fma_f64 v[44:45], v[44:45], v[6:7], v[199:200]
	v_fma_f64 v[42:43], v[42:43], v[6:7], -v[8:9]
	scratch_load_b128 v[6:9], off, off offset:736
	s_waitcnt vmcnt(10) lgkmcnt(1)
	v_mul_f64 v[221:222], v[2:3], v[12:13]
	v_mul_f64 v[12:13], v[4:5], v[12:13]
	v_add_f64 v[199:200], v[217:218], 0
	v_add_f64 v[217:218], v[219:220], 0
	s_waitcnt vmcnt(9) lgkmcnt(0)
	v_mul_f64 v[219:220], v[172:173], v[16:17]
	v_mul_f64 v[16:17], v[174:175], v[16:17]
	v_fma_f64 v[221:222], v[4:5], v[10:11], v[221:222]
	v_fma_f64 v[223:224], v[2:3], v[10:11], -v[12:13]
	ds_load_b128 v[2:5], v1 offset:1472
	scratch_load_b128 v[10:13], off, off offset:752
	v_add_f64 v[199:200], v[199:200], v[42:43]
	v_add_f64 v[217:218], v[217:218], v[44:45]
	ds_load_b128 v[42:45], v1 offset:1488
	v_fma_f64 v[174:175], v[174:175], v[14:15], v[219:220]
	v_fma_f64 v[172:173], v[172:173], v[14:15], -v[16:17]
	scratch_load_b128 v[14:17], off, off offset:768
	s_waitcnt vmcnt(10) lgkmcnt(1)
	v_mul_f64 v[225:226], v[2:3], v[20:21]
	v_mul_f64 v[20:21], v[4:5], v[20:21]
	s_waitcnt vmcnt(9) lgkmcnt(0)
	v_mul_f64 v[219:220], v[42:43], v[24:25]
	v_mul_f64 v[24:25], v[44:45], v[24:25]
	v_add_f64 v[199:200], v[199:200], v[223:224]
	v_add_f64 v[217:218], v[217:218], v[221:222]
	v_fma_f64 v[221:222], v[4:5], v[18:19], v[225:226]
	v_fma_f64 v[223:224], v[2:3], v[18:19], -v[20:21]
	ds_load_b128 v[2:5], v1 offset:1504
	scratch_load_b128 v[18:21], off, off offset:784
	v_fma_f64 v[44:45], v[44:45], v[22:23], v[219:220]
	v_fma_f64 v[42:43], v[42:43], v[22:23], -v[24:25]
	scratch_load_b128 v[22:25], off, off offset:800
	v_add_f64 v[199:200], v[199:200], v[172:173]
	v_add_f64 v[217:218], v[217:218], v[174:175]
	ds_load_b128 v[172:175], v1 offset:1520
	s_waitcnt vmcnt(10) lgkmcnt(1)
	v_mul_f64 v[225:226], v[2:3], v[28:29]
	v_mul_f64 v[28:29], v[4:5], v[28:29]
	s_waitcnt vmcnt(9) lgkmcnt(0)
	v_mul_f64 v[219:220], v[172:173], v[32:33]
	v_mul_f64 v[32:33], v[174:175], v[32:33]
	v_add_f64 v[199:200], v[199:200], v[223:224]
	v_add_f64 v[217:218], v[217:218], v[221:222]
	v_fma_f64 v[221:222], v[4:5], v[26:27], v[225:226]
	v_fma_f64 v[223:224], v[2:3], v[26:27], -v[28:29]
	ds_load_b128 v[2:5], v1 offset:1536
	scratch_load_b128 v[26:29], off, off offset:816
	v_fma_f64 v[174:175], v[174:175], v[30:31], v[219:220]
	v_fma_f64 v[172:173], v[172:173], v[30:31], -v[32:33]
	scratch_load_b128 v[30:33], off, off offset:832
	v_add_f64 v[199:200], v[199:200], v[42:43]
	v_add_f64 v[217:218], v[217:218], v[44:45]
	ds_load_b128 v[42:45], v1 offset:1552
	s_waitcnt vmcnt(10) lgkmcnt(1)
	v_mul_f64 v[225:226], v[2:3], v[36:37]
	v_mul_f64 v[36:37], v[4:5], v[36:37]
	s_waitcnt vmcnt(8) lgkmcnt(0)
	v_mul_f64 v[219:220], v[42:43], v[170:171]
	v_mul_f64 v[170:171], v[44:45], v[170:171]
	v_add_f64 v[199:200], v[199:200], v[223:224]
	v_add_f64 v[217:218], v[217:218], v[221:222]
	v_fma_f64 v[221:222], v[4:5], v[34:35], v[225:226]
	v_fma_f64 v[223:224], v[2:3], v[34:35], -v[36:37]
	ds_load_b128 v[2:5], v1 offset:1568
	ds_load_b128 v[34:37], v1 offset:1584
	v_fma_f64 v[44:45], v[44:45], v[168:169], v[219:220]
	v_fma_f64 v[42:43], v[42:43], v[168:169], -v[170:171]
	v_add_f64 v[172:173], v[199:200], v[172:173]
	v_add_f64 v[174:175], v[217:218], v[174:175]
	s_waitcnt vmcnt(7) lgkmcnt(1)
	v_mul_f64 v[199:200], v[2:3], v[40:41]
	v_mul_f64 v[40:41], v[4:5], v[40:41]
	s_delay_alu instid0(VALU_DEP_4) | instskip(NEXT) | instid1(VALU_DEP_4)
	v_add_f64 v[168:169], v[172:173], v[223:224]
	v_add_f64 v[170:171], v[174:175], v[221:222]
	s_waitcnt vmcnt(6) lgkmcnt(0)
	v_mul_f64 v[172:173], v[34:35], v[8:9]
	v_mul_f64 v[8:9], v[36:37], v[8:9]
	v_fma_f64 v[174:175], v[4:5], v[38:39], v[199:200]
	v_fma_f64 v[199:200], v[2:3], v[38:39], -v[40:41]
	ds_load_b128 v[2:5], v1 offset:1600
	ds_load_b128 v[38:41], v1 offset:1616
	v_add_f64 v[42:43], v[168:169], v[42:43]
	v_add_f64 v[44:45], v[170:171], v[44:45]
	v_fma_f64 v[36:37], v[36:37], v[6:7], v[172:173]
	s_waitcnt vmcnt(5) lgkmcnt(1)
	v_mul_f64 v[168:169], v[2:3], v[12:13]
	v_mul_f64 v[12:13], v[4:5], v[12:13]
	v_fma_f64 v[6:7], v[34:35], v[6:7], -v[8:9]
	v_add_f64 v[8:9], v[42:43], v[199:200]
	v_add_f64 v[34:35], v[44:45], v[174:175]
	s_waitcnt vmcnt(4) lgkmcnt(0)
	v_mul_f64 v[42:43], v[38:39], v[16:17]
	v_mul_f64 v[16:17], v[40:41], v[16:17]
	v_fma_f64 v[44:45], v[4:5], v[10:11], v[168:169]
	v_fma_f64 v[10:11], v[2:3], v[10:11], -v[12:13]
	v_add_f64 v[12:13], v[8:9], v[6:7]
	v_add_f64 v[34:35], v[34:35], v[36:37]
	ds_load_b128 v[2:5], v1 offset:1632
	ds_load_b128 v[6:9], v1 offset:1648
	v_fma_f64 v[40:41], v[40:41], v[14:15], v[42:43]
	v_fma_f64 v[14:15], v[38:39], v[14:15], -v[16:17]
	s_waitcnt vmcnt(3) lgkmcnt(1)
	v_mul_f64 v[36:37], v[2:3], v[20:21]
	v_mul_f64 v[20:21], v[4:5], v[20:21]
	s_waitcnt vmcnt(2) lgkmcnt(0)
	v_mul_f64 v[16:17], v[6:7], v[24:25]
	v_mul_f64 v[24:25], v[8:9], v[24:25]
	v_add_f64 v[10:11], v[12:13], v[10:11]
	v_add_f64 v[12:13], v[34:35], v[44:45]
	v_fma_f64 v[34:35], v[4:5], v[18:19], v[36:37]
	v_fma_f64 v[18:19], v[2:3], v[18:19], -v[20:21]
	v_fma_f64 v[8:9], v[8:9], v[22:23], v[16:17]
	v_fma_f64 v[6:7], v[6:7], v[22:23], -v[24:25]
	v_add_f64 v[14:15], v[10:11], v[14:15]
	v_add_f64 v[20:21], v[12:13], v[40:41]
	ds_load_b128 v[2:5], v1 offset:1664
	ds_load_b128 v[10:13], v1 offset:1680
	s_waitcnt vmcnt(1) lgkmcnt(1)
	v_mul_f64 v[36:37], v[2:3], v[28:29]
	v_mul_f64 v[28:29], v[4:5], v[28:29]
	v_add_f64 v[14:15], v[14:15], v[18:19]
	v_add_f64 v[16:17], v[20:21], v[34:35]
	s_waitcnt vmcnt(0) lgkmcnt(0)
	v_mul_f64 v[18:19], v[10:11], v[32:33]
	v_mul_f64 v[20:21], v[12:13], v[32:33]
	v_fma_f64 v[4:5], v[4:5], v[26:27], v[36:37]
	v_fma_f64 v[1:2], v[2:3], v[26:27], -v[28:29]
	v_add_f64 v[6:7], v[14:15], v[6:7]
	v_add_f64 v[8:9], v[16:17], v[8:9]
	v_fma_f64 v[12:13], v[12:13], v[30:31], v[18:19]
	v_fma_f64 v[10:11], v[10:11], v[30:31], -v[20:21]
	s_delay_alu instid0(VALU_DEP_4) | instskip(NEXT) | instid1(VALU_DEP_4)
	v_add_f64 v[1:2], v[6:7], v[1:2]
	v_add_f64 v[3:4], v[8:9], v[4:5]
	s_delay_alu instid0(VALU_DEP_2) | instskip(NEXT) | instid1(VALU_DEP_2)
	v_add_f64 v[1:2], v[1:2], v[10:11]
	v_add_f64 v[3:4], v[3:4], v[12:13]
	s_delay_alu instid0(VALU_DEP_2) | instskip(NEXT) | instid1(VALU_DEP_2)
	v_add_f64 v[1:2], v[164:165], -v[1:2]
	v_add_f64 v[3:4], v[166:167], -v[3:4]
	scratch_store_b128 off, v[1:4], off offset:544
	v_cmpx_lt_u32_e32 33, v152
	s_cbranch_execz .LBB116_265
; %bb.264:
	scratch_load_b128 v[1:4], v212, off
	v_mov_b32_e32 v5, 0
	s_delay_alu instid0(VALU_DEP_1)
	v_mov_b32_e32 v6, v5
	v_mov_b32_e32 v7, v5
	;; [unrolled: 1-line block ×3, first 2 shown]
	scratch_store_b128 off, v[5:8], off offset:528
	s_waitcnt vmcnt(0)
	ds_store_b128 v205, v[1:4]
.LBB116_265:
	s_or_b32 exec_lo, exec_lo, s2
	s_waitcnt lgkmcnt(0)
	s_waitcnt_vscnt null, 0x0
	s_barrier
	buffer_gl0_inv
	s_clause 0x7
	scratch_load_b128 v[2:5], off, off offset:544
	scratch_load_b128 v[6:9], off, off offset:560
	;; [unrolled: 1-line block ×8, first 2 shown]
	v_mov_b32_e32 v1, 0
	s_mov_b32 s2, exec_lo
	ds_load_b128 v[34:37], v1 offset:1392
	s_clause 0x1
	scratch_load_b128 v[38:41], off, off offset:672
	scratch_load_b128 v[42:45], off, off offset:528
	ds_load_b128 v[164:167], v1 offset:1408
	scratch_load_b128 v[168:171], off, off offset:688
	s_waitcnt vmcnt(10) lgkmcnt(1)
	v_mul_f64 v[172:173], v[36:37], v[4:5]
	v_mul_f64 v[4:5], v[34:35], v[4:5]
	s_delay_alu instid0(VALU_DEP_2) | instskip(NEXT) | instid1(VALU_DEP_2)
	v_fma_f64 v[217:218], v[34:35], v[2:3], -v[172:173]
	v_fma_f64 v[219:220], v[36:37], v[2:3], v[4:5]
	scratch_load_b128 v[34:37], off, off offset:704
	ds_load_b128 v[2:5], v1 offset:1424
	s_waitcnt vmcnt(10) lgkmcnt(1)
	v_mul_f64 v[199:200], v[164:165], v[8:9]
	v_mul_f64 v[8:9], v[166:167], v[8:9]
	ds_load_b128 v[172:175], v1 offset:1440
	s_waitcnt vmcnt(9) lgkmcnt(1)
	v_mul_f64 v[221:222], v[2:3], v[12:13]
	v_mul_f64 v[12:13], v[4:5], v[12:13]
	v_fma_f64 v[166:167], v[166:167], v[6:7], v[199:200]
	v_fma_f64 v[164:165], v[164:165], v[6:7], -v[8:9]
	v_add_f64 v[199:200], v[217:218], 0
	v_add_f64 v[217:218], v[219:220], 0
	scratch_load_b128 v[6:9], off, off offset:720
	v_fma_f64 v[221:222], v[4:5], v[10:11], v[221:222]
	v_fma_f64 v[223:224], v[2:3], v[10:11], -v[12:13]
	scratch_load_b128 v[10:13], off, off offset:736
	ds_load_b128 v[2:5], v1 offset:1456
	s_waitcnt vmcnt(10) lgkmcnt(1)
	v_mul_f64 v[219:220], v[172:173], v[16:17]
	v_mul_f64 v[16:17], v[174:175], v[16:17]
	v_add_f64 v[199:200], v[199:200], v[164:165]
	v_add_f64 v[217:218], v[217:218], v[166:167]
	s_waitcnt vmcnt(9) lgkmcnt(0)
	v_mul_f64 v[225:226], v[2:3], v[20:21]
	v_mul_f64 v[20:21], v[4:5], v[20:21]
	ds_load_b128 v[164:167], v1 offset:1472
	v_fma_f64 v[174:175], v[174:175], v[14:15], v[219:220]
	v_fma_f64 v[172:173], v[172:173], v[14:15], -v[16:17]
	scratch_load_b128 v[14:17], off, off offset:752
	v_add_f64 v[199:200], v[199:200], v[223:224]
	v_add_f64 v[217:218], v[217:218], v[221:222]
	v_fma_f64 v[221:222], v[4:5], v[18:19], v[225:226]
	v_fma_f64 v[223:224], v[2:3], v[18:19], -v[20:21]
	scratch_load_b128 v[18:21], off, off offset:768
	ds_load_b128 v[2:5], v1 offset:1488
	s_waitcnt vmcnt(10) lgkmcnt(1)
	v_mul_f64 v[219:220], v[164:165], v[24:25]
	v_mul_f64 v[24:25], v[166:167], v[24:25]
	s_waitcnt vmcnt(9) lgkmcnt(0)
	v_mul_f64 v[225:226], v[2:3], v[28:29]
	v_mul_f64 v[28:29], v[4:5], v[28:29]
	v_add_f64 v[199:200], v[199:200], v[172:173]
	v_add_f64 v[217:218], v[217:218], v[174:175]
	ds_load_b128 v[172:175], v1 offset:1504
	v_fma_f64 v[166:167], v[166:167], v[22:23], v[219:220]
	v_fma_f64 v[164:165], v[164:165], v[22:23], -v[24:25]
	scratch_load_b128 v[22:25], off, off offset:784
	v_add_f64 v[199:200], v[199:200], v[223:224]
	v_add_f64 v[217:218], v[217:218], v[221:222]
	v_fma_f64 v[221:222], v[4:5], v[26:27], v[225:226]
	v_fma_f64 v[223:224], v[2:3], v[26:27], -v[28:29]
	scratch_load_b128 v[26:29], off, off offset:800
	ds_load_b128 v[2:5], v1 offset:1520
	s_waitcnt vmcnt(10) lgkmcnt(1)
	v_mul_f64 v[219:220], v[172:173], v[32:33]
	v_mul_f64 v[32:33], v[174:175], v[32:33]
	s_waitcnt vmcnt(9) lgkmcnt(0)
	v_mul_f64 v[225:226], v[2:3], v[40:41]
	v_mul_f64 v[40:41], v[4:5], v[40:41]
	v_add_f64 v[199:200], v[199:200], v[164:165]
	v_add_f64 v[217:218], v[217:218], v[166:167]
	ds_load_b128 v[164:167], v1 offset:1536
	v_fma_f64 v[174:175], v[174:175], v[30:31], v[219:220]
	v_fma_f64 v[172:173], v[172:173], v[30:31], -v[32:33]
	scratch_load_b128 v[30:33], off, off offset:816
	v_add_f64 v[199:200], v[199:200], v[223:224]
	v_add_f64 v[217:218], v[217:218], v[221:222]
	v_fma_f64 v[223:224], v[4:5], v[38:39], v[225:226]
	v_fma_f64 v[225:226], v[2:3], v[38:39], -v[40:41]
	scratch_load_b128 v[38:41], off, off offset:832
	ds_load_b128 v[2:5], v1 offset:1552
	s_waitcnt vmcnt(9) lgkmcnt(1)
	v_mul_f64 v[219:220], v[164:165], v[170:171]
	v_mul_f64 v[221:222], v[166:167], v[170:171]
	v_add_f64 v[199:200], v[199:200], v[172:173]
	v_add_f64 v[174:175], v[217:218], v[174:175]
	ds_load_b128 v[170:173], v1 offset:1568
	v_fma_f64 v[166:167], v[166:167], v[168:169], v[219:220]
	v_fma_f64 v[164:165], v[164:165], v[168:169], -v[221:222]
	s_waitcnt vmcnt(8) lgkmcnt(1)
	v_mul_f64 v[217:218], v[2:3], v[36:37]
	v_mul_f64 v[36:37], v[4:5], v[36:37]
	v_add_f64 v[168:169], v[199:200], v[225:226]
	v_add_f64 v[174:175], v[174:175], v[223:224]
	s_delay_alu instid0(VALU_DEP_4) | instskip(NEXT) | instid1(VALU_DEP_4)
	v_fma_f64 v[217:218], v[4:5], v[34:35], v[217:218]
	v_fma_f64 v[219:220], v[2:3], v[34:35], -v[36:37]
	ds_load_b128 v[2:5], v1 offset:1584
	ds_load_b128 v[34:37], v1 offset:1600
	s_waitcnt vmcnt(7) lgkmcnt(2)
	v_mul_f64 v[199:200], v[170:171], v[8:9]
	v_mul_f64 v[8:9], v[172:173], v[8:9]
	v_add_f64 v[164:165], v[168:169], v[164:165]
	v_add_f64 v[166:167], v[174:175], v[166:167]
	s_waitcnt vmcnt(6) lgkmcnt(1)
	v_mul_f64 v[168:169], v[2:3], v[12:13]
	v_mul_f64 v[12:13], v[4:5], v[12:13]
	v_fma_f64 v[172:173], v[172:173], v[6:7], v[199:200]
	v_fma_f64 v[6:7], v[170:171], v[6:7], -v[8:9]
	v_add_f64 v[8:9], v[164:165], v[219:220]
	v_add_f64 v[164:165], v[166:167], v[217:218]
	s_waitcnt vmcnt(5) lgkmcnt(0)
	v_mul_f64 v[166:167], v[34:35], v[16:17]
	v_mul_f64 v[16:17], v[36:37], v[16:17]
	v_fma_f64 v[168:169], v[4:5], v[10:11], v[168:169]
	v_fma_f64 v[10:11], v[2:3], v[10:11], -v[12:13]
	v_add_f64 v[12:13], v[8:9], v[6:7]
	v_add_f64 v[164:165], v[164:165], v[172:173]
	ds_load_b128 v[2:5], v1 offset:1616
	ds_load_b128 v[6:9], v1 offset:1632
	v_fma_f64 v[36:37], v[36:37], v[14:15], v[166:167]
	v_fma_f64 v[14:15], v[34:35], v[14:15], -v[16:17]
	s_waitcnt vmcnt(4) lgkmcnt(1)
	v_mul_f64 v[170:171], v[2:3], v[20:21]
	v_mul_f64 v[20:21], v[4:5], v[20:21]
	s_waitcnt vmcnt(3) lgkmcnt(0)
	v_mul_f64 v[16:17], v[6:7], v[24:25]
	v_mul_f64 v[24:25], v[8:9], v[24:25]
	v_add_f64 v[10:11], v[12:13], v[10:11]
	v_add_f64 v[12:13], v[164:165], v[168:169]
	v_fma_f64 v[34:35], v[4:5], v[18:19], v[170:171]
	v_fma_f64 v[18:19], v[2:3], v[18:19], -v[20:21]
	v_fma_f64 v[8:9], v[8:9], v[22:23], v[16:17]
	v_fma_f64 v[6:7], v[6:7], v[22:23], -v[24:25]
	v_add_f64 v[14:15], v[10:11], v[14:15]
	v_add_f64 v[20:21], v[12:13], v[36:37]
	ds_load_b128 v[2:5], v1 offset:1648
	ds_load_b128 v[10:13], v1 offset:1664
	s_waitcnt vmcnt(2) lgkmcnt(1)
	v_mul_f64 v[36:37], v[2:3], v[28:29]
	v_mul_f64 v[28:29], v[4:5], v[28:29]
	v_add_f64 v[14:15], v[14:15], v[18:19]
	v_add_f64 v[16:17], v[20:21], v[34:35]
	s_waitcnt vmcnt(1) lgkmcnt(0)
	v_mul_f64 v[18:19], v[10:11], v[32:33]
	v_mul_f64 v[20:21], v[12:13], v[32:33]
	v_fma_f64 v[22:23], v[4:5], v[26:27], v[36:37]
	v_fma_f64 v[24:25], v[2:3], v[26:27], -v[28:29]
	ds_load_b128 v[2:5], v1 offset:1680
	v_add_f64 v[6:7], v[14:15], v[6:7]
	v_add_f64 v[8:9], v[16:17], v[8:9]
	v_fma_f64 v[12:13], v[12:13], v[30:31], v[18:19]
	v_fma_f64 v[10:11], v[10:11], v[30:31], -v[20:21]
	s_waitcnt vmcnt(0) lgkmcnt(0)
	v_mul_f64 v[14:15], v[2:3], v[40:41]
	v_mul_f64 v[16:17], v[4:5], v[40:41]
	v_add_f64 v[6:7], v[6:7], v[24:25]
	v_add_f64 v[8:9], v[8:9], v[22:23]
	s_delay_alu instid0(VALU_DEP_4) | instskip(NEXT) | instid1(VALU_DEP_4)
	v_fma_f64 v[4:5], v[4:5], v[38:39], v[14:15]
	v_fma_f64 v[2:3], v[2:3], v[38:39], -v[16:17]
	s_delay_alu instid0(VALU_DEP_4) | instskip(NEXT) | instid1(VALU_DEP_4)
	v_add_f64 v[6:7], v[6:7], v[10:11]
	v_add_f64 v[8:9], v[8:9], v[12:13]
	s_delay_alu instid0(VALU_DEP_2) | instskip(NEXT) | instid1(VALU_DEP_2)
	v_add_f64 v[2:3], v[6:7], v[2:3]
	v_add_f64 v[4:5], v[8:9], v[4:5]
	s_delay_alu instid0(VALU_DEP_2) | instskip(NEXT) | instid1(VALU_DEP_2)
	v_add_f64 v[2:3], v[42:43], -v[2:3]
	v_add_f64 v[4:5], v[44:45], -v[4:5]
	scratch_store_b128 off, v[2:5], off offset:528
	v_cmpx_lt_u32_e32 32, v152
	s_cbranch_execz .LBB116_267
; %bb.266:
	scratch_load_b128 v[5:8], v213, off
	v_mov_b32_e32 v2, v1
	v_mov_b32_e32 v3, v1
	;; [unrolled: 1-line block ×3, first 2 shown]
	scratch_store_b128 off, v[1:4], off offset:512
	s_waitcnt vmcnt(0)
	ds_store_b128 v205, v[5:8]
.LBB116_267:
	s_or_b32 exec_lo, exec_lo, s2
	s_waitcnt lgkmcnt(0)
	s_waitcnt_vscnt null, 0x0
	s_barrier
	buffer_gl0_inv
	s_clause 0x8
	scratch_load_b128 v[2:5], off, off offset:528
	scratch_load_b128 v[6:9], off, off offset:544
	;; [unrolled: 1-line block ×9, first 2 shown]
	ds_load_b128 v[38:41], v1 offset:1376
	ds_load_b128 v[42:45], v1 offset:1392
	s_clause 0x1
	scratch_load_b128 v[164:167], off, off offset:512
	scratch_load_b128 v[168:171], off, off offset:672
	s_mov_b32 s2, exec_lo
	s_waitcnt vmcnt(10) lgkmcnt(1)
	v_mul_f64 v[172:173], v[40:41], v[4:5]
	v_mul_f64 v[4:5], v[38:39], v[4:5]
	s_waitcnt vmcnt(9) lgkmcnt(0)
	v_mul_f64 v[199:200], v[42:43], v[8:9]
	v_mul_f64 v[8:9], v[44:45], v[8:9]
	s_delay_alu instid0(VALU_DEP_4) | instskip(NEXT) | instid1(VALU_DEP_4)
	v_fma_f64 v[217:218], v[38:39], v[2:3], -v[172:173]
	v_fma_f64 v[219:220], v[40:41], v[2:3], v[4:5]
	ds_load_b128 v[2:5], v1 offset:1408
	ds_load_b128 v[172:175], v1 offset:1424
	scratch_load_b128 v[38:41], off, off offset:688
	v_fma_f64 v[44:45], v[44:45], v[6:7], v[199:200]
	v_fma_f64 v[42:43], v[42:43], v[6:7], -v[8:9]
	scratch_load_b128 v[6:9], off, off offset:704
	s_waitcnt vmcnt(10) lgkmcnt(1)
	v_mul_f64 v[221:222], v[2:3], v[12:13]
	v_mul_f64 v[12:13], v[4:5], v[12:13]
	v_add_f64 v[199:200], v[217:218], 0
	v_add_f64 v[217:218], v[219:220], 0
	s_waitcnt vmcnt(9) lgkmcnt(0)
	v_mul_f64 v[219:220], v[172:173], v[16:17]
	v_mul_f64 v[16:17], v[174:175], v[16:17]
	v_fma_f64 v[221:222], v[4:5], v[10:11], v[221:222]
	v_fma_f64 v[223:224], v[2:3], v[10:11], -v[12:13]
	ds_load_b128 v[2:5], v1 offset:1440
	scratch_load_b128 v[10:13], off, off offset:720
	v_add_f64 v[199:200], v[199:200], v[42:43]
	v_add_f64 v[217:218], v[217:218], v[44:45]
	ds_load_b128 v[42:45], v1 offset:1456
	v_fma_f64 v[174:175], v[174:175], v[14:15], v[219:220]
	v_fma_f64 v[172:173], v[172:173], v[14:15], -v[16:17]
	scratch_load_b128 v[14:17], off, off offset:736
	s_waitcnt vmcnt(10) lgkmcnt(1)
	v_mul_f64 v[225:226], v[2:3], v[20:21]
	v_mul_f64 v[20:21], v[4:5], v[20:21]
	s_waitcnt vmcnt(9) lgkmcnt(0)
	v_mul_f64 v[219:220], v[42:43], v[24:25]
	v_mul_f64 v[24:25], v[44:45], v[24:25]
	v_add_f64 v[199:200], v[199:200], v[223:224]
	v_add_f64 v[217:218], v[217:218], v[221:222]
	v_fma_f64 v[221:222], v[4:5], v[18:19], v[225:226]
	v_fma_f64 v[223:224], v[2:3], v[18:19], -v[20:21]
	ds_load_b128 v[2:5], v1 offset:1472
	scratch_load_b128 v[18:21], off, off offset:752
	v_fma_f64 v[44:45], v[44:45], v[22:23], v[219:220]
	v_fma_f64 v[42:43], v[42:43], v[22:23], -v[24:25]
	scratch_load_b128 v[22:25], off, off offset:768
	v_add_f64 v[199:200], v[199:200], v[172:173]
	v_add_f64 v[217:218], v[217:218], v[174:175]
	ds_load_b128 v[172:175], v1 offset:1488
	s_waitcnt vmcnt(10) lgkmcnt(1)
	v_mul_f64 v[225:226], v[2:3], v[28:29]
	v_mul_f64 v[28:29], v[4:5], v[28:29]
	s_waitcnt vmcnt(9) lgkmcnt(0)
	v_mul_f64 v[219:220], v[172:173], v[32:33]
	v_mul_f64 v[32:33], v[174:175], v[32:33]
	v_add_f64 v[199:200], v[199:200], v[223:224]
	v_add_f64 v[217:218], v[217:218], v[221:222]
	v_fma_f64 v[221:222], v[4:5], v[26:27], v[225:226]
	v_fma_f64 v[223:224], v[2:3], v[26:27], -v[28:29]
	ds_load_b128 v[2:5], v1 offset:1504
	scratch_load_b128 v[26:29], off, off offset:784
	v_fma_f64 v[174:175], v[174:175], v[30:31], v[219:220]
	v_fma_f64 v[172:173], v[172:173], v[30:31], -v[32:33]
	scratch_load_b128 v[30:33], off, off offset:800
	v_add_f64 v[199:200], v[199:200], v[42:43]
	v_add_f64 v[217:218], v[217:218], v[44:45]
	ds_load_b128 v[42:45], v1 offset:1520
	s_waitcnt vmcnt(10) lgkmcnt(1)
	v_mul_f64 v[225:226], v[2:3], v[36:37]
	v_mul_f64 v[36:37], v[4:5], v[36:37]
	s_waitcnt vmcnt(8) lgkmcnt(0)
	v_mul_f64 v[219:220], v[42:43], v[170:171]
	v_add_f64 v[199:200], v[199:200], v[223:224]
	v_add_f64 v[217:218], v[217:218], v[221:222]
	v_mul_f64 v[221:222], v[44:45], v[170:171]
	v_fma_f64 v[223:224], v[4:5], v[34:35], v[225:226]
	v_fma_f64 v[225:226], v[2:3], v[34:35], -v[36:37]
	ds_load_b128 v[2:5], v1 offset:1536
	scratch_load_b128 v[34:37], off, off offset:816
	v_fma_f64 v[44:45], v[44:45], v[168:169], v[219:220]
	v_add_f64 v[199:200], v[199:200], v[172:173]
	v_add_f64 v[174:175], v[217:218], v[174:175]
	ds_load_b128 v[170:173], v1 offset:1552
	v_fma_f64 v[168:169], v[42:43], v[168:169], -v[221:222]
	s_waitcnt vmcnt(8) lgkmcnt(1)
	v_mul_f64 v[217:218], v[2:3], v[40:41]
	v_mul_f64 v[227:228], v[4:5], v[40:41]
	scratch_load_b128 v[40:43], off, off offset:832
	s_waitcnt vmcnt(8) lgkmcnt(0)
	v_mul_f64 v[221:222], v[170:171], v[8:9]
	v_mul_f64 v[8:9], v[172:173], v[8:9]
	v_add_f64 v[199:200], v[199:200], v[225:226]
	v_add_f64 v[174:175], v[174:175], v[223:224]
	v_fma_f64 v[223:224], v[4:5], v[38:39], v[217:218]
	v_fma_f64 v[38:39], v[2:3], v[38:39], -v[227:228]
	ds_load_b128 v[2:5], v1 offset:1568
	ds_load_b128 v[217:220], v1 offset:1584
	v_fma_f64 v[172:173], v[172:173], v[6:7], v[221:222]
	v_fma_f64 v[6:7], v[170:171], v[6:7], -v[8:9]
	v_add_f64 v[168:169], v[199:200], v[168:169]
	v_add_f64 v[44:45], v[174:175], v[44:45]
	s_waitcnt vmcnt(7) lgkmcnt(1)
	v_mul_f64 v[174:175], v[2:3], v[12:13]
	v_mul_f64 v[12:13], v[4:5], v[12:13]
	s_delay_alu instid0(VALU_DEP_4) | instskip(NEXT) | instid1(VALU_DEP_4)
	v_add_f64 v[8:9], v[168:169], v[38:39]
	v_add_f64 v[38:39], v[44:45], v[223:224]
	s_waitcnt vmcnt(6) lgkmcnt(0)
	v_mul_f64 v[44:45], v[217:218], v[16:17]
	v_mul_f64 v[16:17], v[219:220], v[16:17]
	v_fma_f64 v[168:169], v[4:5], v[10:11], v[174:175]
	v_fma_f64 v[10:11], v[2:3], v[10:11], -v[12:13]
	v_add_f64 v[12:13], v[8:9], v[6:7]
	v_add_f64 v[38:39], v[38:39], v[172:173]
	ds_load_b128 v[2:5], v1 offset:1600
	ds_load_b128 v[6:9], v1 offset:1616
	v_fma_f64 v[44:45], v[219:220], v[14:15], v[44:45]
	v_fma_f64 v[14:15], v[217:218], v[14:15], -v[16:17]
	s_waitcnt vmcnt(5) lgkmcnt(1)
	v_mul_f64 v[170:171], v[2:3], v[20:21]
	v_mul_f64 v[20:21], v[4:5], v[20:21]
	s_waitcnt vmcnt(4) lgkmcnt(0)
	v_mul_f64 v[16:17], v[6:7], v[24:25]
	v_mul_f64 v[24:25], v[8:9], v[24:25]
	v_add_f64 v[10:11], v[12:13], v[10:11]
	v_add_f64 v[12:13], v[38:39], v[168:169]
	v_fma_f64 v[38:39], v[4:5], v[18:19], v[170:171]
	v_fma_f64 v[18:19], v[2:3], v[18:19], -v[20:21]
	v_fma_f64 v[8:9], v[8:9], v[22:23], v[16:17]
	v_fma_f64 v[6:7], v[6:7], v[22:23], -v[24:25]
	v_add_f64 v[14:15], v[10:11], v[14:15]
	v_add_f64 v[20:21], v[12:13], v[44:45]
	ds_load_b128 v[2:5], v1 offset:1632
	ds_load_b128 v[10:13], v1 offset:1648
	s_waitcnt vmcnt(3) lgkmcnt(1)
	v_mul_f64 v[44:45], v[2:3], v[28:29]
	v_mul_f64 v[28:29], v[4:5], v[28:29]
	v_add_f64 v[14:15], v[14:15], v[18:19]
	v_add_f64 v[16:17], v[20:21], v[38:39]
	s_waitcnt vmcnt(2) lgkmcnt(0)
	v_mul_f64 v[18:19], v[10:11], v[32:33]
	v_mul_f64 v[20:21], v[12:13], v[32:33]
	v_fma_f64 v[22:23], v[4:5], v[26:27], v[44:45]
	v_fma_f64 v[24:25], v[2:3], v[26:27], -v[28:29]
	v_add_f64 v[14:15], v[14:15], v[6:7]
	v_add_f64 v[16:17], v[16:17], v[8:9]
	ds_load_b128 v[2:5], v1 offset:1664
	ds_load_b128 v[6:9], v1 offset:1680
	v_fma_f64 v[12:13], v[12:13], v[30:31], v[18:19]
	v_fma_f64 v[10:11], v[10:11], v[30:31], -v[20:21]
	s_waitcnt vmcnt(1) lgkmcnt(1)
	v_mul_f64 v[26:27], v[2:3], v[36:37]
	v_mul_f64 v[28:29], v[4:5], v[36:37]
	s_waitcnt vmcnt(0) lgkmcnt(0)
	v_mul_f64 v[18:19], v[6:7], v[42:43]
	v_add_f64 v[14:15], v[14:15], v[24:25]
	v_add_f64 v[16:17], v[16:17], v[22:23]
	v_mul_f64 v[20:21], v[8:9], v[42:43]
	v_fma_f64 v[4:5], v[4:5], v[34:35], v[26:27]
	v_fma_f64 v[1:2], v[2:3], v[34:35], -v[28:29]
	v_fma_f64 v[8:9], v[8:9], v[40:41], v[18:19]
	v_add_f64 v[10:11], v[14:15], v[10:11]
	v_add_f64 v[12:13], v[16:17], v[12:13]
	v_fma_f64 v[6:7], v[6:7], v[40:41], -v[20:21]
	s_delay_alu instid0(VALU_DEP_3) | instskip(NEXT) | instid1(VALU_DEP_3)
	v_add_f64 v[1:2], v[10:11], v[1:2]
	v_add_f64 v[3:4], v[12:13], v[4:5]
	s_delay_alu instid0(VALU_DEP_2) | instskip(NEXT) | instid1(VALU_DEP_2)
	v_add_f64 v[1:2], v[1:2], v[6:7]
	v_add_f64 v[3:4], v[3:4], v[8:9]
	s_delay_alu instid0(VALU_DEP_2) | instskip(NEXT) | instid1(VALU_DEP_2)
	v_add_f64 v[1:2], v[164:165], -v[1:2]
	v_add_f64 v[3:4], v[166:167], -v[3:4]
	scratch_store_b128 off, v[1:4], off offset:512
	v_cmpx_lt_u32_e32 31, v152
	s_cbranch_execz .LBB116_269
; %bb.268:
	scratch_load_b128 v[1:4], v214, off
	v_mov_b32_e32 v5, 0
	s_delay_alu instid0(VALU_DEP_1)
	v_mov_b32_e32 v6, v5
	v_mov_b32_e32 v7, v5
	;; [unrolled: 1-line block ×3, first 2 shown]
	scratch_store_b128 off, v[5:8], off offset:496
	s_waitcnt vmcnt(0)
	ds_store_b128 v205, v[1:4]
.LBB116_269:
	s_or_b32 exec_lo, exec_lo, s2
	s_waitcnt lgkmcnt(0)
	s_waitcnt_vscnt null, 0x0
	s_barrier
	buffer_gl0_inv
	s_clause 0x7
	scratch_load_b128 v[2:5], off, off offset:512
	scratch_load_b128 v[6:9], off, off offset:528
	;; [unrolled: 1-line block ×8, first 2 shown]
	v_mov_b32_e32 v1, 0
	s_mov_b32 s2, exec_lo
	ds_load_b128 v[34:37], v1 offset:1360
	s_clause 0x1
	scratch_load_b128 v[38:41], off, off offset:640
	scratch_load_b128 v[42:45], off, off offset:496
	ds_load_b128 v[164:167], v1 offset:1376
	scratch_load_b128 v[168:171], off, off offset:656
	s_waitcnt vmcnt(10) lgkmcnt(1)
	v_mul_f64 v[172:173], v[36:37], v[4:5]
	v_mul_f64 v[4:5], v[34:35], v[4:5]
	s_delay_alu instid0(VALU_DEP_2) | instskip(NEXT) | instid1(VALU_DEP_2)
	v_fma_f64 v[217:218], v[34:35], v[2:3], -v[172:173]
	v_fma_f64 v[219:220], v[36:37], v[2:3], v[4:5]
	scratch_load_b128 v[34:37], off, off offset:672
	ds_load_b128 v[2:5], v1 offset:1392
	s_waitcnt vmcnt(10) lgkmcnt(1)
	v_mul_f64 v[199:200], v[164:165], v[8:9]
	v_mul_f64 v[8:9], v[166:167], v[8:9]
	ds_load_b128 v[172:175], v1 offset:1408
	s_waitcnt vmcnt(9) lgkmcnt(1)
	v_mul_f64 v[221:222], v[2:3], v[12:13]
	v_mul_f64 v[12:13], v[4:5], v[12:13]
	v_fma_f64 v[166:167], v[166:167], v[6:7], v[199:200]
	v_fma_f64 v[164:165], v[164:165], v[6:7], -v[8:9]
	v_add_f64 v[199:200], v[217:218], 0
	v_add_f64 v[217:218], v[219:220], 0
	scratch_load_b128 v[6:9], off, off offset:688
	v_fma_f64 v[221:222], v[4:5], v[10:11], v[221:222]
	v_fma_f64 v[223:224], v[2:3], v[10:11], -v[12:13]
	scratch_load_b128 v[10:13], off, off offset:704
	ds_load_b128 v[2:5], v1 offset:1424
	s_waitcnt vmcnt(10) lgkmcnt(1)
	v_mul_f64 v[219:220], v[172:173], v[16:17]
	v_mul_f64 v[16:17], v[174:175], v[16:17]
	v_add_f64 v[199:200], v[199:200], v[164:165]
	v_add_f64 v[217:218], v[217:218], v[166:167]
	s_waitcnt vmcnt(9) lgkmcnt(0)
	v_mul_f64 v[225:226], v[2:3], v[20:21]
	v_mul_f64 v[20:21], v[4:5], v[20:21]
	ds_load_b128 v[164:167], v1 offset:1440
	v_fma_f64 v[174:175], v[174:175], v[14:15], v[219:220]
	v_fma_f64 v[172:173], v[172:173], v[14:15], -v[16:17]
	scratch_load_b128 v[14:17], off, off offset:720
	v_add_f64 v[199:200], v[199:200], v[223:224]
	v_add_f64 v[217:218], v[217:218], v[221:222]
	v_fma_f64 v[221:222], v[4:5], v[18:19], v[225:226]
	v_fma_f64 v[223:224], v[2:3], v[18:19], -v[20:21]
	scratch_load_b128 v[18:21], off, off offset:736
	ds_load_b128 v[2:5], v1 offset:1456
	s_waitcnt vmcnt(10) lgkmcnt(1)
	v_mul_f64 v[219:220], v[164:165], v[24:25]
	v_mul_f64 v[24:25], v[166:167], v[24:25]
	s_waitcnt vmcnt(9) lgkmcnt(0)
	v_mul_f64 v[225:226], v[2:3], v[28:29]
	v_mul_f64 v[28:29], v[4:5], v[28:29]
	v_add_f64 v[199:200], v[199:200], v[172:173]
	v_add_f64 v[217:218], v[217:218], v[174:175]
	ds_load_b128 v[172:175], v1 offset:1472
	v_fma_f64 v[166:167], v[166:167], v[22:23], v[219:220]
	v_fma_f64 v[164:165], v[164:165], v[22:23], -v[24:25]
	scratch_load_b128 v[22:25], off, off offset:752
	v_add_f64 v[199:200], v[199:200], v[223:224]
	v_add_f64 v[217:218], v[217:218], v[221:222]
	v_fma_f64 v[221:222], v[4:5], v[26:27], v[225:226]
	v_fma_f64 v[223:224], v[2:3], v[26:27], -v[28:29]
	scratch_load_b128 v[26:29], off, off offset:768
	ds_load_b128 v[2:5], v1 offset:1488
	s_waitcnt vmcnt(10) lgkmcnt(1)
	v_mul_f64 v[219:220], v[172:173], v[32:33]
	v_mul_f64 v[32:33], v[174:175], v[32:33]
	s_waitcnt vmcnt(9) lgkmcnt(0)
	v_mul_f64 v[225:226], v[2:3], v[40:41]
	v_mul_f64 v[40:41], v[4:5], v[40:41]
	v_add_f64 v[199:200], v[199:200], v[164:165]
	v_add_f64 v[217:218], v[217:218], v[166:167]
	ds_load_b128 v[164:167], v1 offset:1504
	v_fma_f64 v[174:175], v[174:175], v[30:31], v[219:220]
	v_fma_f64 v[172:173], v[172:173], v[30:31], -v[32:33]
	scratch_load_b128 v[30:33], off, off offset:784
	v_add_f64 v[199:200], v[199:200], v[223:224]
	v_add_f64 v[217:218], v[217:218], v[221:222]
	v_fma_f64 v[223:224], v[4:5], v[38:39], v[225:226]
	v_fma_f64 v[225:226], v[2:3], v[38:39], -v[40:41]
	scratch_load_b128 v[38:41], off, off offset:800
	ds_load_b128 v[2:5], v1 offset:1520
	s_waitcnt vmcnt(9) lgkmcnt(1)
	v_mul_f64 v[219:220], v[164:165], v[170:171]
	v_mul_f64 v[221:222], v[166:167], v[170:171]
	v_add_f64 v[199:200], v[199:200], v[172:173]
	v_add_f64 v[174:175], v[217:218], v[174:175]
	ds_load_b128 v[170:173], v1 offset:1536
	v_fma_f64 v[219:220], v[166:167], v[168:169], v[219:220]
	v_fma_f64 v[168:169], v[164:165], v[168:169], -v[221:222]
	scratch_load_b128 v[164:167], off, off offset:816
	s_waitcnt vmcnt(9) lgkmcnt(1)
	v_mul_f64 v[217:218], v[2:3], v[36:37]
	v_mul_f64 v[36:37], v[4:5], v[36:37]
	v_add_f64 v[199:200], v[199:200], v[225:226]
	v_add_f64 v[174:175], v[174:175], v[223:224]
	s_delay_alu instid0(VALU_DEP_4) | instskip(NEXT) | instid1(VALU_DEP_4)
	v_fma_f64 v[223:224], v[4:5], v[34:35], v[217:218]
	v_fma_f64 v[225:226], v[2:3], v[34:35], -v[36:37]
	scratch_load_b128 v[34:37], off, off offset:832
	ds_load_b128 v[2:5], v1 offset:1552
	s_waitcnt vmcnt(9) lgkmcnt(1)
	v_mul_f64 v[221:222], v[170:171], v[8:9]
	v_mul_f64 v[8:9], v[172:173], v[8:9]
	v_add_f64 v[168:169], v[199:200], v[168:169]
	v_add_f64 v[174:175], v[174:175], v[219:220]
	s_waitcnt vmcnt(8) lgkmcnt(0)
	v_mul_f64 v[199:200], v[2:3], v[12:13]
	v_mul_f64 v[12:13], v[4:5], v[12:13]
	ds_load_b128 v[217:220], v1 offset:1568
	v_fma_f64 v[172:173], v[172:173], v[6:7], v[221:222]
	v_fma_f64 v[6:7], v[170:171], v[6:7], -v[8:9]
	v_add_f64 v[8:9], v[168:169], v[225:226]
	v_add_f64 v[168:169], v[174:175], v[223:224]
	s_waitcnt vmcnt(7) lgkmcnt(0)
	v_mul_f64 v[170:171], v[217:218], v[16:17]
	v_mul_f64 v[16:17], v[219:220], v[16:17]
	v_fma_f64 v[174:175], v[4:5], v[10:11], v[199:200]
	v_fma_f64 v[10:11], v[2:3], v[10:11], -v[12:13]
	v_add_f64 v[12:13], v[8:9], v[6:7]
	v_add_f64 v[168:169], v[168:169], v[172:173]
	ds_load_b128 v[2:5], v1 offset:1584
	ds_load_b128 v[6:9], v1 offset:1600
	v_fma_f64 v[170:171], v[219:220], v[14:15], v[170:171]
	v_fma_f64 v[14:15], v[217:218], v[14:15], -v[16:17]
	s_waitcnt vmcnt(6) lgkmcnt(1)
	v_mul_f64 v[172:173], v[2:3], v[20:21]
	v_mul_f64 v[20:21], v[4:5], v[20:21]
	s_waitcnt vmcnt(5) lgkmcnt(0)
	v_mul_f64 v[16:17], v[6:7], v[24:25]
	v_mul_f64 v[24:25], v[8:9], v[24:25]
	v_add_f64 v[10:11], v[12:13], v[10:11]
	v_add_f64 v[12:13], v[168:169], v[174:175]
	v_fma_f64 v[168:169], v[4:5], v[18:19], v[172:173]
	v_fma_f64 v[18:19], v[2:3], v[18:19], -v[20:21]
	v_fma_f64 v[8:9], v[8:9], v[22:23], v[16:17]
	v_fma_f64 v[6:7], v[6:7], v[22:23], -v[24:25]
	v_add_f64 v[14:15], v[10:11], v[14:15]
	v_add_f64 v[20:21], v[12:13], v[170:171]
	ds_load_b128 v[2:5], v1 offset:1616
	ds_load_b128 v[10:13], v1 offset:1632
	s_waitcnt vmcnt(4) lgkmcnt(1)
	v_mul_f64 v[170:171], v[2:3], v[28:29]
	v_mul_f64 v[28:29], v[4:5], v[28:29]
	v_add_f64 v[14:15], v[14:15], v[18:19]
	v_add_f64 v[16:17], v[20:21], v[168:169]
	s_waitcnt vmcnt(3) lgkmcnt(0)
	v_mul_f64 v[18:19], v[10:11], v[32:33]
	v_mul_f64 v[20:21], v[12:13], v[32:33]
	v_fma_f64 v[22:23], v[4:5], v[26:27], v[170:171]
	v_fma_f64 v[24:25], v[2:3], v[26:27], -v[28:29]
	v_add_f64 v[14:15], v[14:15], v[6:7]
	v_add_f64 v[16:17], v[16:17], v[8:9]
	ds_load_b128 v[2:5], v1 offset:1648
	ds_load_b128 v[6:9], v1 offset:1664
	v_fma_f64 v[12:13], v[12:13], v[30:31], v[18:19]
	v_fma_f64 v[10:11], v[10:11], v[30:31], -v[20:21]
	s_waitcnt vmcnt(2) lgkmcnt(1)
	v_mul_f64 v[26:27], v[2:3], v[40:41]
	v_mul_f64 v[28:29], v[4:5], v[40:41]
	s_waitcnt vmcnt(1) lgkmcnt(0)
	v_mul_f64 v[18:19], v[6:7], v[166:167]
	v_mul_f64 v[20:21], v[8:9], v[166:167]
	v_add_f64 v[14:15], v[14:15], v[24:25]
	v_add_f64 v[16:17], v[16:17], v[22:23]
	v_fma_f64 v[22:23], v[4:5], v[38:39], v[26:27]
	v_fma_f64 v[24:25], v[2:3], v[38:39], -v[28:29]
	ds_load_b128 v[2:5], v1 offset:1680
	v_fma_f64 v[8:9], v[8:9], v[164:165], v[18:19]
	v_fma_f64 v[6:7], v[6:7], v[164:165], -v[20:21]
	v_add_f64 v[10:11], v[14:15], v[10:11]
	v_add_f64 v[12:13], v[16:17], v[12:13]
	s_waitcnt vmcnt(0) lgkmcnt(0)
	v_mul_f64 v[14:15], v[2:3], v[36:37]
	v_mul_f64 v[16:17], v[4:5], v[36:37]
	s_delay_alu instid0(VALU_DEP_4) | instskip(NEXT) | instid1(VALU_DEP_4)
	v_add_f64 v[10:11], v[10:11], v[24:25]
	v_add_f64 v[12:13], v[12:13], v[22:23]
	s_delay_alu instid0(VALU_DEP_4) | instskip(NEXT) | instid1(VALU_DEP_4)
	v_fma_f64 v[4:5], v[4:5], v[34:35], v[14:15]
	v_fma_f64 v[2:3], v[2:3], v[34:35], -v[16:17]
	s_delay_alu instid0(VALU_DEP_4) | instskip(NEXT) | instid1(VALU_DEP_4)
	v_add_f64 v[6:7], v[10:11], v[6:7]
	v_add_f64 v[8:9], v[12:13], v[8:9]
	s_delay_alu instid0(VALU_DEP_2) | instskip(NEXT) | instid1(VALU_DEP_2)
	v_add_f64 v[2:3], v[6:7], v[2:3]
	v_add_f64 v[4:5], v[8:9], v[4:5]
	s_delay_alu instid0(VALU_DEP_2) | instskip(NEXT) | instid1(VALU_DEP_2)
	v_add_f64 v[2:3], v[42:43], -v[2:3]
	v_add_f64 v[4:5], v[44:45], -v[4:5]
	scratch_store_b128 off, v[2:5], off offset:496
	v_cmpx_lt_u32_e32 30, v152
	s_cbranch_execz .LBB116_271
; %bb.270:
	scratch_load_b128 v[5:8], v215, off
	v_mov_b32_e32 v2, v1
	v_mov_b32_e32 v3, v1
	v_mov_b32_e32 v4, v1
	scratch_store_b128 off, v[1:4], off offset:480
	s_waitcnt vmcnt(0)
	ds_store_b128 v205, v[5:8]
.LBB116_271:
	s_or_b32 exec_lo, exec_lo, s2
	s_waitcnt lgkmcnt(0)
	s_waitcnt_vscnt null, 0x0
	s_barrier
	buffer_gl0_inv
	s_clause 0x8
	scratch_load_b128 v[2:5], off, off offset:496
	scratch_load_b128 v[6:9], off, off offset:512
	;; [unrolled: 1-line block ×9, first 2 shown]
	ds_load_b128 v[38:41], v1 offset:1344
	ds_load_b128 v[42:45], v1 offset:1360
	s_clause 0x1
	scratch_load_b128 v[164:167], off, off offset:480
	scratch_load_b128 v[168:171], off, off offset:640
	s_mov_b32 s2, exec_lo
	s_waitcnt vmcnt(10) lgkmcnt(1)
	v_mul_f64 v[172:173], v[40:41], v[4:5]
	v_mul_f64 v[4:5], v[38:39], v[4:5]
	s_waitcnt vmcnt(9) lgkmcnt(0)
	v_mul_f64 v[199:200], v[42:43], v[8:9]
	v_mul_f64 v[8:9], v[44:45], v[8:9]
	s_delay_alu instid0(VALU_DEP_4) | instskip(NEXT) | instid1(VALU_DEP_4)
	v_fma_f64 v[217:218], v[38:39], v[2:3], -v[172:173]
	v_fma_f64 v[219:220], v[40:41], v[2:3], v[4:5]
	ds_load_b128 v[2:5], v1 offset:1376
	ds_load_b128 v[172:175], v1 offset:1392
	scratch_load_b128 v[38:41], off, off offset:656
	v_fma_f64 v[44:45], v[44:45], v[6:7], v[199:200]
	v_fma_f64 v[42:43], v[42:43], v[6:7], -v[8:9]
	scratch_load_b128 v[6:9], off, off offset:672
	s_waitcnt vmcnt(10) lgkmcnt(1)
	v_mul_f64 v[221:222], v[2:3], v[12:13]
	v_mul_f64 v[12:13], v[4:5], v[12:13]
	v_add_f64 v[199:200], v[217:218], 0
	v_add_f64 v[217:218], v[219:220], 0
	s_waitcnt vmcnt(9) lgkmcnt(0)
	v_mul_f64 v[219:220], v[172:173], v[16:17]
	v_mul_f64 v[16:17], v[174:175], v[16:17]
	v_fma_f64 v[221:222], v[4:5], v[10:11], v[221:222]
	v_fma_f64 v[223:224], v[2:3], v[10:11], -v[12:13]
	ds_load_b128 v[2:5], v1 offset:1408
	scratch_load_b128 v[10:13], off, off offset:688
	v_add_f64 v[199:200], v[199:200], v[42:43]
	v_add_f64 v[217:218], v[217:218], v[44:45]
	ds_load_b128 v[42:45], v1 offset:1424
	v_fma_f64 v[174:175], v[174:175], v[14:15], v[219:220]
	v_fma_f64 v[172:173], v[172:173], v[14:15], -v[16:17]
	scratch_load_b128 v[14:17], off, off offset:704
	s_waitcnt vmcnt(10) lgkmcnt(1)
	v_mul_f64 v[225:226], v[2:3], v[20:21]
	v_mul_f64 v[20:21], v[4:5], v[20:21]
	s_waitcnt vmcnt(9) lgkmcnt(0)
	v_mul_f64 v[219:220], v[42:43], v[24:25]
	v_mul_f64 v[24:25], v[44:45], v[24:25]
	v_add_f64 v[199:200], v[199:200], v[223:224]
	v_add_f64 v[217:218], v[217:218], v[221:222]
	v_fma_f64 v[221:222], v[4:5], v[18:19], v[225:226]
	v_fma_f64 v[223:224], v[2:3], v[18:19], -v[20:21]
	ds_load_b128 v[2:5], v1 offset:1440
	scratch_load_b128 v[18:21], off, off offset:720
	v_fma_f64 v[44:45], v[44:45], v[22:23], v[219:220]
	v_fma_f64 v[42:43], v[42:43], v[22:23], -v[24:25]
	scratch_load_b128 v[22:25], off, off offset:736
	v_add_f64 v[199:200], v[199:200], v[172:173]
	v_add_f64 v[217:218], v[217:218], v[174:175]
	ds_load_b128 v[172:175], v1 offset:1456
	s_waitcnt vmcnt(10) lgkmcnt(1)
	v_mul_f64 v[225:226], v[2:3], v[28:29]
	v_mul_f64 v[28:29], v[4:5], v[28:29]
	s_waitcnt vmcnt(9) lgkmcnt(0)
	v_mul_f64 v[219:220], v[172:173], v[32:33]
	v_mul_f64 v[32:33], v[174:175], v[32:33]
	v_add_f64 v[199:200], v[199:200], v[223:224]
	v_add_f64 v[217:218], v[217:218], v[221:222]
	v_fma_f64 v[221:222], v[4:5], v[26:27], v[225:226]
	v_fma_f64 v[223:224], v[2:3], v[26:27], -v[28:29]
	ds_load_b128 v[2:5], v1 offset:1472
	scratch_load_b128 v[26:29], off, off offset:752
	v_fma_f64 v[174:175], v[174:175], v[30:31], v[219:220]
	v_fma_f64 v[172:173], v[172:173], v[30:31], -v[32:33]
	scratch_load_b128 v[30:33], off, off offset:768
	v_add_f64 v[199:200], v[199:200], v[42:43]
	v_add_f64 v[217:218], v[217:218], v[44:45]
	ds_load_b128 v[42:45], v1 offset:1488
	s_waitcnt vmcnt(10) lgkmcnt(1)
	v_mul_f64 v[225:226], v[2:3], v[36:37]
	v_mul_f64 v[36:37], v[4:5], v[36:37]
	s_waitcnt vmcnt(8) lgkmcnt(0)
	v_mul_f64 v[219:220], v[42:43], v[170:171]
	v_add_f64 v[199:200], v[199:200], v[223:224]
	v_add_f64 v[217:218], v[217:218], v[221:222]
	v_mul_f64 v[221:222], v[44:45], v[170:171]
	v_fma_f64 v[223:224], v[4:5], v[34:35], v[225:226]
	v_fma_f64 v[225:226], v[2:3], v[34:35], -v[36:37]
	ds_load_b128 v[2:5], v1 offset:1504
	scratch_load_b128 v[34:37], off, off offset:784
	v_fma_f64 v[44:45], v[44:45], v[168:169], v[219:220]
	v_add_f64 v[199:200], v[199:200], v[172:173]
	v_add_f64 v[174:175], v[217:218], v[174:175]
	ds_load_b128 v[170:173], v1 offset:1520
	v_fma_f64 v[168:169], v[42:43], v[168:169], -v[221:222]
	s_waitcnt vmcnt(8) lgkmcnt(1)
	v_mul_f64 v[217:218], v[2:3], v[40:41]
	v_mul_f64 v[227:228], v[4:5], v[40:41]
	scratch_load_b128 v[40:43], off, off offset:800
	v_add_f64 v[199:200], v[199:200], v[225:226]
	v_add_f64 v[174:175], v[174:175], v[223:224]
	s_waitcnt vmcnt(8) lgkmcnt(0)
	v_mul_f64 v[225:226], v[170:171], v[8:9]
	v_mul_f64 v[8:9], v[172:173], v[8:9]
	ds_load_b128 v[221:224], v1 offset:1552
	v_fma_f64 v[229:230], v[4:5], v[38:39], v[217:218]
	v_fma_f64 v[38:39], v[2:3], v[38:39], -v[227:228]
	ds_load_b128 v[2:5], v1 offset:1536
	scratch_load_b128 v[217:220], off, off offset:816
	v_add_f64 v[168:169], v[199:200], v[168:169]
	v_add_f64 v[44:45], v[174:175], v[44:45]
	v_fma_f64 v[172:173], v[172:173], v[6:7], v[225:226]
	v_fma_f64 v[170:171], v[170:171], v[6:7], -v[8:9]
	scratch_load_b128 v[6:9], off, off offset:832
	s_waitcnt vmcnt(9) lgkmcnt(0)
	v_mul_f64 v[174:175], v[2:3], v[12:13]
	v_mul_f64 v[12:13], v[4:5], v[12:13]
	v_add_f64 v[38:39], v[168:169], v[38:39]
	v_add_f64 v[44:45], v[44:45], v[229:230]
	s_waitcnt vmcnt(8)
	v_mul_f64 v[168:169], v[221:222], v[16:17]
	v_mul_f64 v[16:17], v[223:224], v[16:17]
	v_fma_f64 v[174:175], v[4:5], v[10:11], v[174:175]
	v_fma_f64 v[199:200], v[2:3], v[10:11], -v[12:13]
	ds_load_b128 v[2:5], v1 offset:1568
	ds_load_b128 v[10:13], v1 offset:1584
	v_add_f64 v[38:39], v[38:39], v[170:171]
	v_add_f64 v[44:45], v[44:45], v[172:173]
	s_waitcnt vmcnt(7) lgkmcnt(1)
	v_mul_f64 v[170:171], v[2:3], v[20:21]
	v_mul_f64 v[20:21], v[4:5], v[20:21]
	v_fma_f64 v[168:169], v[223:224], v[14:15], v[168:169]
	v_fma_f64 v[14:15], v[221:222], v[14:15], -v[16:17]
	v_add_f64 v[16:17], v[38:39], v[199:200]
	v_add_f64 v[38:39], v[44:45], v[174:175]
	s_waitcnt vmcnt(6) lgkmcnt(0)
	v_mul_f64 v[44:45], v[10:11], v[24:25]
	v_mul_f64 v[24:25], v[12:13], v[24:25]
	v_fma_f64 v[170:171], v[4:5], v[18:19], v[170:171]
	v_fma_f64 v[18:19], v[2:3], v[18:19], -v[20:21]
	v_add_f64 v[20:21], v[16:17], v[14:15]
	v_add_f64 v[38:39], v[38:39], v[168:169]
	ds_load_b128 v[2:5], v1 offset:1600
	ds_load_b128 v[14:17], v1 offset:1616
	v_fma_f64 v[12:13], v[12:13], v[22:23], v[44:45]
	v_fma_f64 v[10:11], v[10:11], v[22:23], -v[24:25]
	s_waitcnt vmcnt(5) lgkmcnt(1)
	v_mul_f64 v[168:169], v[2:3], v[28:29]
	v_mul_f64 v[28:29], v[4:5], v[28:29]
	s_waitcnt vmcnt(4) lgkmcnt(0)
	v_mul_f64 v[22:23], v[14:15], v[32:33]
	v_mul_f64 v[24:25], v[16:17], v[32:33]
	v_add_f64 v[18:19], v[20:21], v[18:19]
	v_add_f64 v[20:21], v[38:39], v[170:171]
	v_fma_f64 v[32:33], v[4:5], v[26:27], v[168:169]
	v_fma_f64 v[26:27], v[2:3], v[26:27], -v[28:29]
	v_fma_f64 v[16:17], v[16:17], v[30:31], v[22:23]
	v_fma_f64 v[14:15], v[14:15], v[30:31], -v[24:25]
	v_add_f64 v[18:19], v[18:19], v[10:11]
	v_add_f64 v[20:21], v[20:21], v[12:13]
	ds_load_b128 v[2:5], v1 offset:1632
	ds_load_b128 v[10:13], v1 offset:1648
	s_waitcnt vmcnt(3) lgkmcnt(1)
	v_mul_f64 v[28:29], v[2:3], v[36:37]
	v_mul_f64 v[36:37], v[4:5], v[36:37]
	s_waitcnt vmcnt(2) lgkmcnt(0)
	v_mul_f64 v[22:23], v[10:11], v[42:43]
	v_add_f64 v[18:19], v[18:19], v[26:27]
	v_add_f64 v[20:21], v[20:21], v[32:33]
	v_mul_f64 v[24:25], v[12:13], v[42:43]
	v_fma_f64 v[26:27], v[4:5], v[34:35], v[28:29]
	v_fma_f64 v[28:29], v[2:3], v[34:35], -v[36:37]
	v_fma_f64 v[12:13], v[12:13], v[40:41], v[22:23]
	v_add_f64 v[18:19], v[18:19], v[14:15]
	v_add_f64 v[20:21], v[20:21], v[16:17]
	ds_load_b128 v[2:5], v1 offset:1664
	ds_load_b128 v[14:17], v1 offset:1680
	v_fma_f64 v[10:11], v[10:11], v[40:41], -v[24:25]
	s_waitcnt vmcnt(1) lgkmcnt(1)
	v_mul_f64 v[30:31], v[2:3], v[219:220]
	v_mul_f64 v[32:33], v[4:5], v[219:220]
	s_waitcnt vmcnt(0) lgkmcnt(0)
	v_mul_f64 v[22:23], v[14:15], v[8:9]
	v_mul_f64 v[8:9], v[16:17], v[8:9]
	v_add_f64 v[18:19], v[18:19], v[28:29]
	v_add_f64 v[20:21], v[20:21], v[26:27]
	v_fma_f64 v[4:5], v[4:5], v[217:218], v[30:31]
	v_fma_f64 v[1:2], v[2:3], v[217:218], -v[32:33]
	v_fma_f64 v[16:17], v[16:17], v[6:7], v[22:23]
	v_fma_f64 v[6:7], v[14:15], v[6:7], -v[8:9]
	v_add_f64 v[10:11], v[18:19], v[10:11]
	v_add_f64 v[12:13], v[20:21], v[12:13]
	s_delay_alu instid0(VALU_DEP_2) | instskip(NEXT) | instid1(VALU_DEP_2)
	v_add_f64 v[1:2], v[10:11], v[1:2]
	v_add_f64 v[3:4], v[12:13], v[4:5]
	s_delay_alu instid0(VALU_DEP_2) | instskip(NEXT) | instid1(VALU_DEP_2)
	;; [unrolled: 3-line block ×3, first 2 shown]
	v_add_f64 v[1:2], v[164:165], -v[1:2]
	v_add_f64 v[3:4], v[166:167], -v[3:4]
	scratch_store_b128 off, v[1:4], off offset:480
	v_cmpx_lt_u32_e32 29, v152
	s_cbranch_execz .LBB116_273
; %bb.272:
	scratch_load_b128 v[1:4], v216, off
	v_mov_b32_e32 v5, 0
	s_delay_alu instid0(VALU_DEP_1)
	v_mov_b32_e32 v6, v5
	v_mov_b32_e32 v7, v5
	;; [unrolled: 1-line block ×3, first 2 shown]
	scratch_store_b128 off, v[5:8], off offset:464
	s_waitcnt vmcnt(0)
	ds_store_b128 v205, v[1:4]
.LBB116_273:
	s_or_b32 exec_lo, exec_lo, s2
	s_waitcnt lgkmcnt(0)
	s_waitcnt_vscnt null, 0x0
	s_barrier
	buffer_gl0_inv
	s_clause 0x7
	scratch_load_b128 v[2:5], off, off offset:480
	scratch_load_b128 v[6:9], off, off offset:496
	;; [unrolled: 1-line block ×8, first 2 shown]
	v_mov_b32_e32 v1, 0
	s_mov_b32 s2, exec_lo
	ds_load_b128 v[34:37], v1 offset:1328
	s_clause 0x1
	scratch_load_b128 v[38:41], off, off offset:608
	scratch_load_b128 v[42:45], off, off offset:464
	ds_load_b128 v[164:167], v1 offset:1344
	scratch_load_b128 v[168:171], off, off offset:624
	s_waitcnt vmcnt(10) lgkmcnt(1)
	v_mul_f64 v[172:173], v[36:37], v[4:5]
	v_mul_f64 v[4:5], v[34:35], v[4:5]
	s_delay_alu instid0(VALU_DEP_2) | instskip(NEXT) | instid1(VALU_DEP_2)
	v_fma_f64 v[217:218], v[34:35], v[2:3], -v[172:173]
	v_fma_f64 v[219:220], v[36:37], v[2:3], v[4:5]
	scratch_load_b128 v[34:37], off, off offset:640
	ds_load_b128 v[2:5], v1 offset:1360
	s_waitcnt vmcnt(10) lgkmcnt(1)
	v_mul_f64 v[199:200], v[164:165], v[8:9]
	v_mul_f64 v[8:9], v[166:167], v[8:9]
	ds_load_b128 v[172:175], v1 offset:1376
	s_waitcnt vmcnt(9) lgkmcnt(1)
	v_mul_f64 v[221:222], v[2:3], v[12:13]
	v_mul_f64 v[12:13], v[4:5], v[12:13]
	v_fma_f64 v[166:167], v[166:167], v[6:7], v[199:200]
	v_fma_f64 v[164:165], v[164:165], v[6:7], -v[8:9]
	v_add_f64 v[199:200], v[217:218], 0
	v_add_f64 v[217:218], v[219:220], 0
	scratch_load_b128 v[6:9], off, off offset:656
	v_fma_f64 v[221:222], v[4:5], v[10:11], v[221:222]
	v_fma_f64 v[223:224], v[2:3], v[10:11], -v[12:13]
	scratch_load_b128 v[10:13], off, off offset:672
	ds_load_b128 v[2:5], v1 offset:1392
	s_waitcnt vmcnt(10) lgkmcnt(1)
	v_mul_f64 v[219:220], v[172:173], v[16:17]
	v_mul_f64 v[16:17], v[174:175], v[16:17]
	v_add_f64 v[199:200], v[199:200], v[164:165]
	v_add_f64 v[217:218], v[217:218], v[166:167]
	s_waitcnt vmcnt(9) lgkmcnt(0)
	v_mul_f64 v[225:226], v[2:3], v[20:21]
	v_mul_f64 v[20:21], v[4:5], v[20:21]
	ds_load_b128 v[164:167], v1 offset:1408
	v_fma_f64 v[174:175], v[174:175], v[14:15], v[219:220]
	v_fma_f64 v[172:173], v[172:173], v[14:15], -v[16:17]
	scratch_load_b128 v[14:17], off, off offset:688
	v_add_f64 v[199:200], v[199:200], v[223:224]
	v_add_f64 v[217:218], v[217:218], v[221:222]
	v_fma_f64 v[221:222], v[4:5], v[18:19], v[225:226]
	v_fma_f64 v[223:224], v[2:3], v[18:19], -v[20:21]
	scratch_load_b128 v[18:21], off, off offset:704
	ds_load_b128 v[2:5], v1 offset:1424
	s_waitcnt vmcnt(10) lgkmcnt(1)
	v_mul_f64 v[219:220], v[164:165], v[24:25]
	v_mul_f64 v[24:25], v[166:167], v[24:25]
	s_waitcnt vmcnt(9) lgkmcnt(0)
	v_mul_f64 v[225:226], v[2:3], v[28:29]
	v_mul_f64 v[28:29], v[4:5], v[28:29]
	v_add_f64 v[199:200], v[199:200], v[172:173]
	v_add_f64 v[217:218], v[217:218], v[174:175]
	ds_load_b128 v[172:175], v1 offset:1440
	v_fma_f64 v[166:167], v[166:167], v[22:23], v[219:220]
	v_fma_f64 v[164:165], v[164:165], v[22:23], -v[24:25]
	scratch_load_b128 v[22:25], off, off offset:720
	v_add_f64 v[199:200], v[199:200], v[223:224]
	v_add_f64 v[217:218], v[217:218], v[221:222]
	v_fma_f64 v[221:222], v[4:5], v[26:27], v[225:226]
	v_fma_f64 v[223:224], v[2:3], v[26:27], -v[28:29]
	scratch_load_b128 v[26:29], off, off offset:736
	ds_load_b128 v[2:5], v1 offset:1456
	s_waitcnt vmcnt(10) lgkmcnt(1)
	v_mul_f64 v[219:220], v[172:173], v[32:33]
	v_mul_f64 v[32:33], v[174:175], v[32:33]
	s_waitcnt vmcnt(9) lgkmcnt(0)
	v_mul_f64 v[225:226], v[2:3], v[40:41]
	v_mul_f64 v[40:41], v[4:5], v[40:41]
	v_add_f64 v[199:200], v[199:200], v[164:165]
	v_add_f64 v[217:218], v[217:218], v[166:167]
	ds_load_b128 v[164:167], v1 offset:1472
	v_fma_f64 v[174:175], v[174:175], v[30:31], v[219:220]
	v_fma_f64 v[172:173], v[172:173], v[30:31], -v[32:33]
	scratch_load_b128 v[30:33], off, off offset:752
	v_add_f64 v[199:200], v[199:200], v[223:224]
	v_add_f64 v[217:218], v[217:218], v[221:222]
	v_fma_f64 v[223:224], v[4:5], v[38:39], v[225:226]
	v_fma_f64 v[225:226], v[2:3], v[38:39], -v[40:41]
	scratch_load_b128 v[38:41], off, off offset:768
	ds_load_b128 v[2:5], v1 offset:1488
	s_waitcnt vmcnt(9) lgkmcnt(1)
	v_mul_f64 v[219:220], v[164:165], v[170:171]
	v_mul_f64 v[221:222], v[166:167], v[170:171]
	v_add_f64 v[199:200], v[199:200], v[172:173]
	v_add_f64 v[174:175], v[217:218], v[174:175]
	ds_load_b128 v[170:173], v1 offset:1504
	v_fma_f64 v[219:220], v[166:167], v[168:169], v[219:220]
	v_fma_f64 v[168:169], v[164:165], v[168:169], -v[221:222]
	scratch_load_b128 v[164:167], off, off offset:784
	s_waitcnt vmcnt(9) lgkmcnt(1)
	v_mul_f64 v[217:218], v[2:3], v[36:37]
	v_mul_f64 v[36:37], v[4:5], v[36:37]
	v_add_f64 v[199:200], v[199:200], v[225:226]
	v_add_f64 v[174:175], v[174:175], v[223:224]
	s_delay_alu instid0(VALU_DEP_4) | instskip(NEXT) | instid1(VALU_DEP_4)
	v_fma_f64 v[223:224], v[4:5], v[34:35], v[217:218]
	v_fma_f64 v[225:226], v[2:3], v[34:35], -v[36:37]
	scratch_load_b128 v[34:37], off, off offset:800
	ds_load_b128 v[2:5], v1 offset:1520
	s_waitcnt vmcnt(9) lgkmcnt(1)
	v_mul_f64 v[221:222], v[170:171], v[8:9]
	v_mul_f64 v[8:9], v[172:173], v[8:9]
	v_add_f64 v[168:169], v[199:200], v[168:169]
	v_add_f64 v[174:175], v[174:175], v[219:220]
	s_waitcnt vmcnt(8) lgkmcnt(0)
	v_mul_f64 v[199:200], v[2:3], v[12:13]
	v_mul_f64 v[12:13], v[4:5], v[12:13]
	ds_load_b128 v[217:220], v1 offset:1536
	v_fma_f64 v[172:173], v[172:173], v[6:7], v[221:222]
	v_fma_f64 v[170:171], v[170:171], v[6:7], -v[8:9]
	scratch_load_b128 v[6:9], off, off offset:816
	v_add_f64 v[168:169], v[168:169], v[225:226]
	v_add_f64 v[174:175], v[174:175], v[223:224]
	v_fma_f64 v[199:200], v[4:5], v[10:11], v[199:200]
	v_fma_f64 v[223:224], v[2:3], v[10:11], -v[12:13]
	scratch_load_b128 v[10:13], off, off offset:832
	ds_load_b128 v[2:5], v1 offset:1552
	s_waitcnt vmcnt(9) lgkmcnt(1)
	v_mul_f64 v[221:222], v[217:218], v[16:17]
	v_mul_f64 v[16:17], v[219:220], v[16:17]
	v_add_f64 v[225:226], v[168:169], v[170:171]
	v_add_f64 v[172:173], v[174:175], v[172:173]
	s_waitcnt vmcnt(8) lgkmcnt(0)
	v_mul_f64 v[174:175], v[2:3], v[20:21]
	v_mul_f64 v[20:21], v[4:5], v[20:21]
	ds_load_b128 v[168:171], v1 offset:1568
	v_fma_f64 v[219:220], v[219:220], v[14:15], v[221:222]
	v_fma_f64 v[14:15], v[217:218], v[14:15], -v[16:17]
	v_add_f64 v[16:17], v[225:226], v[223:224]
	v_add_f64 v[172:173], v[172:173], v[199:200]
	s_waitcnt vmcnt(7) lgkmcnt(0)
	v_mul_f64 v[199:200], v[168:169], v[24:25]
	v_mul_f64 v[24:25], v[170:171], v[24:25]
	v_fma_f64 v[174:175], v[4:5], v[18:19], v[174:175]
	v_fma_f64 v[18:19], v[2:3], v[18:19], -v[20:21]
	v_add_f64 v[20:21], v[16:17], v[14:15]
	v_add_f64 v[172:173], v[172:173], v[219:220]
	ds_load_b128 v[2:5], v1 offset:1584
	ds_load_b128 v[14:17], v1 offset:1600
	v_fma_f64 v[170:171], v[170:171], v[22:23], v[199:200]
	v_fma_f64 v[22:23], v[168:169], v[22:23], -v[24:25]
	s_waitcnt vmcnt(6) lgkmcnt(1)
	v_mul_f64 v[217:218], v[2:3], v[28:29]
	v_mul_f64 v[28:29], v[4:5], v[28:29]
	s_waitcnt vmcnt(5) lgkmcnt(0)
	v_mul_f64 v[24:25], v[14:15], v[32:33]
	v_mul_f64 v[32:33], v[16:17], v[32:33]
	v_add_f64 v[18:19], v[20:21], v[18:19]
	v_add_f64 v[20:21], v[172:173], v[174:175]
	v_fma_f64 v[168:169], v[4:5], v[26:27], v[217:218]
	v_fma_f64 v[26:27], v[2:3], v[26:27], -v[28:29]
	v_fma_f64 v[16:17], v[16:17], v[30:31], v[24:25]
	v_fma_f64 v[14:15], v[14:15], v[30:31], -v[32:33]
	v_add_f64 v[22:23], v[18:19], v[22:23]
	v_add_f64 v[28:29], v[20:21], v[170:171]
	ds_load_b128 v[2:5], v1 offset:1616
	ds_load_b128 v[18:21], v1 offset:1632
	s_waitcnt vmcnt(4) lgkmcnt(1)
	v_mul_f64 v[170:171], v[2:3], v[40:41]
	v_mul_f64 v[40:41], v[4:5], v[40:41]
	v_add_f64 v[22:23], v[22:23], v[26:27]
	v_add_f64 v[24:25], v[28:29], v[168:169]
	s_waitcnt vmcnt(3) lgkmcnt(0)
	v_mul_f64 v[26:27], v[18:19], v[166:167]
	v_mul_f64 v[28:29], v[20:21], v[166:167]
	v_fma_f64 v[30:31], v[4:5], v[38:39], v[170:171]
	v_fma_f64 v[32:33], v[2:3], v[38:39], -v[40:41]
	v_add_f64 v[22:23], v[22:23], v[14:15]
	v_add_f64 v[24:25], v[24:25], v[16:17]
	ds_load_b128 v[2:5], v1 offset:1648
	ds_load_b128 v[14:17], v1 offset:1664
	v_fma_f64 v[20:21], v[20:21], v[164:165], v[26:27]
	v_fma_f64 v[18:19], v[18:19], v[164:165], -v[28:29]
	s_waitcnt vmcnt(2) lgkmcnt(1)
	v_mul_f64 v[38:39], v[2:3], v[36:37]
	v_mul_f64 v[36:37], v[4:5], v[36:37]
	s_waitcnt vmcnt(1) lgkmcnt(0)
	v_mul_f64 v[26:27], v[14:15], v[8:9]
	v_mul_f64 v[8:9], v[16:17], v[8:9]
	v_add_f64 v[22:23], v[22:23], v[32:33]
	v_add_f64 v[24:25], v[24:25], v[30:31]
	v_fma_f64 v[28:29], v[4:5], v[34:35], v[38:39]
	v_fma_f64 v[30:31], v[2:3], v[34:35], -v[36:37]
	ds_load_b128 v[2:5], v1 offset:1680
	v_fma_f64 v[16:17], v[16:17], v[6:7], v[26:27]
	v_fma_f64 v[6:7], v[14:15], v[6:7], -v[8:9]
	v_add_f64 v[18:19], v[22:23], v[18:19]
	v_add_f64 v[20:21], v[24:25], v[20:21]
	s_waitcnt vmcnt(0) lgkmcnt(0)
	v_mul_f64 v[22:23], v[2:3], v[12:13]
	v_mul_f64 v[12:13], v[4:5], v[12:13]
	s_delay_alu instid0(VALU_DEP_4) | instskip(NEXT) | instid1(VALU_DEP_4)
	v_add_f64 v[8:9], v[18:19], v[30:31]
	v_add_f64 v[14:15], v[20:21], v[28:29]
	s_delay_alu instid0(VALU_DEP_4) | instskip(NEXT) | instid1(VALU_DEP_4)
	v_fma_f64 v[4:5], v[4:5], v[10:11], v[22:23]
	v_fma_f64 v[2:3], v[2:3], v[10:11], -v[12:13]
	s_delay_alu instid0(VALU_DEP_4) | instskip(NEXT) | instid1(VALU_DEP_4)
	v_add_f64 v[6:7], v[8:9], v[6:7]
	v_add_f64 v[8:9], v[14:15], v[16:17]
	s_delay_alu instid0(VALU_DEP_2) | instskip(NEXT) | instid1(VALU_DEP_2)
	v_add_f64 v[2:3], v[6:7], v[2:3]
	v_add_f64 v[4:5], v[8:9], v[4:5]
	s_delay_alu instid0(VALU_DEP_2) | instskip(NEXT) | instid1(VALU_DEP_2)
	v_add_f64 v[2:3], v[42:43], -v[2:3]
	v_add_f64 v[4:5], v[44:45], -v[4:5]
	scratch_store_b128 off, v[2:5], off offset:464
	v_cmpx_lt_u32_e32 28, v152
	s_cbranch_execz .LBB116_275
; %bb.274:
	scratch_load_b128 v[5:8], v176, off
	v_mov_b32_e32 v2, v1
	v_mov_b32_e32 v3, v1
	;; [unrolled: 1-line block ×3, first 2 shown]
	scratch_store_b128 off, v[1:4], off offset:448
	s_waitcnt vmcnt(0)
	ds_store_b128 v205, v[5:8]
.LBB116_275:
	s_or_b32 exec_lo, exec_lo, s2
	s_waitcnt lgkmcnt(0)
	s_waitcnt_vscnt null, 0x0
	s_barrier
	buffer_gl0_inv
	s_clause 0x8
	scratch_load_b128 v[2:5], off, off offset:464
	scratch_load_b128 v[6:9], off, off offset:480
	scratch_load_b128 v[10:13], off, off offset:496
	scratch_load_b128 v[14:17], off, off offset:512
	scratch_load_b128 v[18:21], off, off offset:528
	scratch_load_b128 v[22:25], off, off offset:544
	scratch_load_b128 v[26:29], off, off offset:560
	scratch_load_b128 v[30:33], off, off offset:576
	scratch_load_b128 v[34:37], off, off offset:592
	ds_load_b128 v[38:41], v1 offset:1312
	ds_load_b128 v[42:45], v1 offset:1328
	s_clause 0x1
	scratch_load_b128 v[164:167], off, off offset:448
	scratch_load_b128 v[168:171], off, off offset:608
	s_mov_b32 s2, exec_lo
	s_waitcnt vmcnt(10) lgkmcnt(1)
	v_mul_f64 v[172:173], v[40:41], v[4:5]
	v_mul_f64 v[4:5], v[38:39], v[4:5]
	s_waitcnt vmcnt(9) lgkmcnt(0)
	v_mul_f64 v[199:200], v[42:43], v[8:9]
	v_mul_f64 v[8:9], v[44:45], v[8:9]
	s_delay_alu instid0(VALU_DEP_4) | instskip(NEXT) | instid1(VALU_DEP_4)
	v_fma_f64 v[217:218], v[38:39], v[2:3], -v[172:173]
	v_fma_f64 v[219:220], v[40:41], v[2:3], v[4:5]
	ds_load_b128 v[2:5], v1 offset:1344
	ds_load_b128 v[172:175], v1 offset:1360
	scratch_load_b128 v[38:41], off, off offset:624
	v_fma_f64 v[44:45], v[44:45], v[6:7], v[199:200]
	v_fma_f64 v[42:43], v[42:43], v[6:7], -v[8:9]
	scratch_load_b128 v[6:9], off, off offset:640
	s_waitcnt vmcnt(10) lgkmcnt(1)
	v_mul_f64 v[221:222], v[2:3], v[12:13]
	v_mul_f64 v[12:13], v[4:5], v[12:13]
	v_add_f64 v[199:200], v[217:218], 0
	v_add_f64 v[217:218], v[219:220], 0
	s_waitcnt vmcnt(9) lgkmcnt(0)
	v_mul_f64 v[219:220], v[172:173], v[16:17]
	v_mul_f64 v[16:17], v[174:175], v[16:17]
	v_fma_f64 v[221:222], v[4:5], v[10:11], v[221:222]
	v_fma_f64 v[223:224], v[2:3], v[10:11], -v[12:13]
	ds_load_b128 v[2:5], v1 offset:1376
	scratch_load_b128 v[10:13], off, off offset:656
	v_add_f64 v[199:200], v[199:200], v[42:43]
	v_add_f64 v[217:218], v[217:218], v[44:45]
	ds_load_b128 v[42:45], v1 offset:1392
	v_fma_f64 v[174:175], v[174:175], v[14:15], v[219:220]
	v_fma_f64 v[172:173], v[172:173], v[14:15], -v[16:17]
	scratch_load_b128 v[14:17], off, off offset:672
	s_waitcnt vmcnt(10) lgkmcnt(1)
	v_mul_f64 v[225:226], v[2:3], v[20:21]
	v_mul_f64 v[20:21], v[4:5], v[20:21]
	s_waitcnt vmcnt(9) lgkmcnt(0)
	v_mul_f64 v[219:220], v[42:43], v[24:25]
	v_mul_f64 v[24:25], v[44:45], v[24:25]
	v_add_f64 v[199:200], v[199:200], v[223:224]
	v_add_f64 v[217:218], v[217:218], v[221:222]
	v_fma_f64 v[221:222], v[4:5], v[18:19], v[225:226]
	v_fma_f64 v[223:224], v[2:3], v[18:19], -v[20:21]
	ds_load_b128 v[2:5], v1 offset:1408
	scratch_load_b128 v[18:21], off, off offset:688
	v_fma_f64 v[44:45], v[44:45], v[22:23], v[219:220]
	v_fma_f64 v[42:43], v[42:43], v[22:23], -v[24:25]
	scratch_load_b128 v[22:25], off, off offset:704
	v_add_f64 v[199:200], v[199:200], v[172:173]
	v_add_f64 v[217:218], v[217:218], v[174:175]
	ds_load_b128 v[172:175], v1 offset:1424
	s_waitcnt vmcnt(10) lgkmcnt(1)
	v_mul_f64 v[225:226], v[2:3], v[28:29]
	v_mul_f64 v[28:29], v[4:5], v[28:29]
	s_waitcnt vmcnt(9) lgkmcnt(0)
	v_mul_f64 v[219:220], v[172:173], v[32:33]
	v_mul_f64 v[32:33], v[174:175], v[32:33]
	v_add_f64 v[199:200], v[199:200], v[223:224]
	v_add_f64 v[217:218], v[217:218], v[221:222]
	v_fma_f64 v[221:222], v[4:5], v[26:27], v[225:226]
	v_fma_f64 v[223:224], v[2:3], v[26:27], -v[28:29]
	ds_load_b128 v[2:5], v1 offset:1440
	scratch_load_b128 v[26:29], off, off offset:720
	v_fma_f64 v[174:175], v[174:175], v[30:31], v[219:220]
	v_fma_f64 v[172:173], v[172:173], v[30:31], -v[32:33]
	scratch_load_b128 v[30:33], off, off offset:736
	v_add_f64 v[199:200], v[199:200], v[42:43]
	v_add_f64 v[217:218], v[217:218], v[44:45]
	ds_load_b128 v[42:45], v1 offset:1456
	s_waitcnt vmcnt(10) lgkmcnt(1)
	v_mul_f64 v[225:226], v[2:3], v[36:37]
	v_mul_f64 v[36:37], v[4:5], v[36:37]
	s_waitcnt vmcnt(8) lgkmcnt(0)
	v_mul_f64 v[219:220], v[42:43], v[170:171]
	v_add_f64 v[199:200], v[199:200], v[223:224]
	v_add_f64 v[217:218], v[217:218], v[221:222]
	v_mul_f64 v[221:222], v[44:45], v[170:171]
	v_fma_f64 v[223:224], v[4:5], v[34:35], v[225:226]
	v_fma_f64 v[225:226], v[2:3], v[34:35], -v[36:37]
	ds_load_b128 v[2:5], v1 offset:1472
	scratch_load_b128 v[34:37], off, off offset:752
	v_fma_f64 v[44:45], v[44:45], v[168:169], v[219:220]
	v_add_f64 v[199:200], v[199:200], v[172:173]
	v_add_f64 v[174:175], v[217:218], v[174:175]
	ds_load_b128 v[170:173], v1 offset:1488
	v_fma_f64 v[168:169], v[42:43], v[168:169], -v[221:222]
	s_waitcnt vmcnt(8) lgkmcnt(1)
	v_mul_f64 v[217:218], v[2:3], v[40:41]
	v_mul_f64 v[227:228], v[4:5], v[40:41]
	scratch_load_b128 v[40:43], off, off offset:768
	v_add_f64 v[199:200], v[199:200], v[225:226]
	v_add_f64 v[174:175], v[174:175], v[223:224]
	s_waitcnt vmcnt(8) lgkmcnt(0)
	v_mul_f64 v[225:226], v[170:171], v[8:9]
	v_mul_f64 v[8:9], v[172:173], v[8:9]
	ds_load_b128 v[221:224], v1 offset:1520
	v_fma_f64 v[229:230], v[4:5], v[38:39], v[217:218]
	v_fma_f64 v[38:39], v[2:3], v[38:39], -v[227:228]
	ds_load_b128 v[2:5], v1 offset:1504
	scratch_load_b128 v[217:220], off, off offset:784
	v_add_f64 v[168:169], v[199:200], v[168:169]
	v_add_f64 v[44:45], v[174:175], v[44:45]
	v_fma_f64 v[172:173], v[172:173], v[6:7], v[225:226]
	v_fma_f64 v[170:171], v[170:171], v[6:7], -v[8:9]
	scratch_load_b128 v[6:9], off, off offset:800
	s_waitcnt vmcnt(9) lgkmcnt(0)
	v_mul_f64 v[174:175], v[2:3], v[12:13]
	v_mul_f64 v[12:13], v[4:5], v[12:13]
	s_waitcnt vmcnt(8)
	v_mul_f64 v[199:200], v[221:222], v[16:17]
	v_mul_f64 v[16:17], v[223:224], v[16:17]
	v_add_f64 v[38:39], v[168:169], v[38:39]
	v_add_f64 v[44:45], v[44:45], v[229:230]
	v_fma_f64 v[174:175], v[4:5], v[10:11], v[174:175]
	v_fma_f64 v[225:226], v[2:3], v[10:11], -v[12:13]
	ds_load_b128 v[2:5], v1 offset:1536
	scratch_load_b128 v[10:13], off, off offset:816
	v_fma_f64 v[199:200], v[223:224], v[14:15], v[199:200]
	v_fma_f64 v[221:222], v[221:222], v[14:15], -v[16:17]
	scratch_load_b128 v[14:17], off, off offset:832
	v_add_f64 v[38:39], v[38:39], v[170:171]
	v_add_f64 v[44:45], v[44:45], v[172:173]
	ds_load_b128 v[168:171], v1 offset:1552
	s_waitcnt vmcnt(9) lgkmcnt(1)
	v_mul_f64 v[172:173], v[2:3], v[20:21]
	v_mul_f64 v[20:21], v[4:5], v[20:21]
	v_add_f64 v[38:39], v[38:39], v[225:226]
	v_add_f64 v[44:45], v[44:45], v[174:175]
	s_waitcnt vmcnt(8) lgkmcnt(0)
	v_mul_f64 v[174:175], v[168:169], v[24:25]
	v_mul_f64 v[24:25], v[170:171], v[24:25]
	v_fma_f64 v[172:173], v[4:5], v[18:19], v[172:173]
	v_fma_f64 v[223:224], v[2:3], v[18:19], -v[20:21]
	ds_load_b128 v[2:5], v1 offset:1568
	ds_load_b128 v[18:21], v1 offset:1584
	v_add_f64 v[38:39], v[38:39], v[221:222]
	v_add_f64 v[44:45], v[44:45], v[199:200]
	s_waitcnt vmcnt(7) lgkmcnt(1)
	v_mul_f64 v[199:200], v[2:3], v[28:29]
	v_mul_f64 v[28:29], v[4:5], v[28:29]
	v_fma_f64 v[170:171], v[170:171], v[22:23], v[174:175]
	v_fma_f64 v[22:23], v[168:169], v[22:23], -v[24:25]
	v_add_f64 v[24:25], v[38:39], v[223:224]
	v_add_f64 v[38:39], v[44:45], v[172:173]
	s_waitcnt vmcnt(6) lgkmcnt(0)
	v_mul_f64 v[44:45], v[18:19], v[32:33]
	v_mul_f64 v[32:33], v[20:21], v[32:33]
	v_fma_f64 v[168:169], v[4:5], v[26:27], v[199:200]
	v_fma_f64 v[26:27], v[2:3], v[26:27], -v[28:29]
	v_add_f64 v[28:29], v[24:25], v[22:23]
	v_add_f64 v[38:39], v[38:39], v[170:171]
	ds_load_b128 v[2:5], v1 offset:1600
	ds_load_b128 v[22:25], v1 offset:1616
	v_fma_f64 v[20:21], v[20:21], v[30:31], v[44:45]
	v_fma_f64 v[18:19], v[18:19], v[30:31], -v[32:33]
	s_waitcnt vmcnt(5) lgkmcnt(1)
	v_mul_f64 v[170:171], v[2:3], v[36:37]
	v_mul_f64 v[36:37], v[4:5], v[36:37]
	s_waitcnt vmcnt(4) lgkmcnt(0)
	v_mul_f64 v[30:31], v[22:23], v[42:43]
	v_add_f64 v[26:27], v[28:29], v[26:27]
	v_add_f64 v[28:29], v[38:39], v[168:169]
	v_mul_f64 v[32:33], v[24:25], v[42:43]
	v_fma_f64 v[38:39], v[4:5], v[34:35], v[170:171]
	v_fma_f64 v[34:35], v[2:3], v[34:35], -v[36:37]
	v_fma_f64 v[24:25], v[24:25], v[40:41], v[30:31]
	v_add_f64 v[26:27], v[26:27], v[18:19]
	v_add_f64 v[28:29], v[28:29], v[20:21]
	ds_load_b128 v[2:5], v1 offset:1632
	ds_load_b128 v[18:21], v1 offset:1648
	v_fma_f64 v[22:23], v[22:23], v[40:41], -v[32:33]
	s_waitcnt vmcnt(3) lgkmcnt(1)
	v_mul_f64 v[36:37], v[2:3], v[219:220]
	v_mul_f64 v[42:43], v[4:5], v[219:220]
	s_waitcnt vmcnt(2) lgkmcnt(0)
	v_mul_f64 v[30:31], v[18:19], v[8:9]
	v_mul_f64 v[8:9], v[20:21], v[8:9]
	v_add_f64 v[26:27], v[26:27], v[34:35]
	v_add_f64 v[28:29], v[28:29], v[38:39]
	v_fma_f64 v[32:33], v[4:5], v[217:218], v[36:37]
	v_fma_f64 v[34:35], v[2:3], v[217:218], -v[42:43]
	v_fma_f64 v[20:21], v[20:21], v[6:7], v[30:31]
	v_fma_f64 v[6:7], v[18:19], v[6:7], -v[8:9]
	v_add_f64 v[26:27], v[26:27], v[22:23]
	v_add_f64 v[28:29], v[28:29], v[24:25]
	ds_load_b128 v[2:5], v1 offset:1664
	ds_load_b128 v[22:25], v1 offset:1680
	s_waitcnt vmcnt(1) lgkmcnt(1)
	v_mul_f64 v[36:37], v[2:3], v[12:13]
	v_mul_f64 v[12:13], v[4:5], v[12:13]
	v_add_f64 v[8:9], v[26:27], v[34:35]
	v_add_f64 v[18:19], v[28:29], v[32:33]
	s_waitcnt vmcnt(0) lgkmcnt(0)
	v_mul_f64 v[26:27], v[22:23], v[16:17]
	v_mul_f64 v[16:17], v[24:25], v[16:17]
	v_fma_f64 v[4:5], v[4:5], v[10:11], v[36:37]
	v_fma_f64 v[1:2], v[2:3], v[10:11], -v[12:13]
	v_add_f64 v[6:7], v[8:9], v[6:7]
	v_add_f64 v[8:9], v[18:19], v[20:21]
	v_fma_f64 v[10:11], v[24:25], v[14:15], v[26:27]
	v_fma_f64 v[12:13], v[22:23], v[14:15], -v[16:17]
	s_delay_alu instid0(VALU_DEP_4) | instskip(NEXT) | instid1(VALU_DEP_4)
	v_add_f64 v[1:2], v[6:7], v[1:2]
	v_add_f64 v[3:4], v[8:9], v[4:5]
	s_delay_alu instid0(VALU_DEP_2) | instskip(NEXT) | instid1(VALU_DEP_2)
	v_add_f64 v[1:2], v[1:2], v[12:13]
	v_add_f64 v[3:4], v[3:4], v[10:11]
	s_delay_alu instid0(VALU_DEP_2) | instskip(NEXT) | instid1(VALU_DEP_2)
	v_add_f64 v[1:2], v[164:165], -v[1:2]
	v_add_f64 v[3:4], v[166:167], -v[3:4]
	scratch_store_b128 off, v[1:4], off offset:448
	v_cmpx_lt_u32_e32 27, v152
	s_cbranch_execz .LBB116_277
; %bb.276:
	scratch_load_b128 v[1:4], v178, off
	v_mov_b32_e32 v5, 0
	s_delay_alu instid0(VALU_DEP_1)
	v_mov_b32_e32 v6, v5
	v_mov_b32_e32 v7, v5
	;; [unrolled: 1-line block ×3, first 2 shown]
	scratch_store_b128 off, v[5:8], off offset:432
	s_waitcnt vmcnt(0)
	ds_store_b128 v205, v[1:4]
.LBB116_277:
	s_or_b32 exec_lo, exec_lo, s2
	s_waitcnt lgkmcnt(0)
	s_waitcnt_vscnt null, 0x0
	s_barrier
	buffer_gl0_inv
	s_clause 0x7
	scratch_load_b128 v[2:5], off, off offset:448
	scratch_load_b128 v[6:9], off, off offset:464
	;; [unrolled: 1-line block ×8, first 2 shown]
	v_mov_b32_e32 v1, 0
	s_mov_b32 s2, exec_lo
	ds_load_b128 v[34:37], v1 offset:1296
	s_clause 0x1
	scratch_load_b128 v[38:41], off, off offset:576
	scratch_load_b128 v[42:45], off, off offset:432
	ds_load_b128 v[164:167], v1 offset:1312
	scratch_load_b128 v[168:171], off, off offset:592
	s_waitcnt vmcnt(10) lgkmcnt(1)
	v_mul_f64 v[172:173], v[36:37], v[4:5]
	v_mul_f64 v[4:5], v[34:35], v[4:5]
	s_delay_alu instid0(VALU_DEP_2) | instskip(NEXT) | instid1(VALU_DEP_2)
	v_fma_f64 v[217:218], v[34:35], v[2:3], -v[172:173]
	v_fma_f64 v[219:220], v[36:37], v[2:3], v[4:5]
	scratch_load_b128 v[34:37], off, off offset:608
	ds_load_b128 v[2:5], v1 offset:1328
	s_waitcnt vmcnt(10) lgkmcnt(1)
	v_mul_f64 v[199:200], v[164:165], v[8:9]
	v_mul_f64 v[8:9], v[166:167], v[8:9]
	ds_load_b128 v[172:175], v1 offset:1344
	s_waitcnt vmcnt(9) lgkmcnt(1)
	v_mul_f64 v[221:222], v[2:3], v[12:13]
	v_mul_f64 v[12:13], v[4:5], v[12:13]
	v_fma_f64 v[166:167], v[166:167], v[6:7], v[199:200]
	v_fma_f64 v[164:165], v[164:165], v[6:7], -v[8:9]
	v_add_f64 v[199:200], v[217:218], 0
	v_add_f64 v[217:218], v[219:220], 0
	scratch_load_b128 v[6:9], off, off offset:624
	v_fma_f64 v[221:222], v[4:5], v[10:11], v[221:222]
	v_fma_f64 v[223:224], v[2:3], v[10:11], -v[12:13]
	scratch_load_b128 v[10:13], off, off offset:640
	ds_load_b128 v[2:5], v1 offset:1360
	s_waitcnt vmcnt(10) lgkmcnt(1)
	v_mul_f64 v[219:220], v[172:173], v[16:17]
	v_mul_f64 v[16:17], v[174:175], v[16:17]
	v_add_f64 v[199:200], v[199:200], v[164:165]
	v_add_f64 v[217:218], v[217:218], v[166:167]
	s_waitcnt vmcnt(9) lgkmcnt(0)
	v_mul_f64 v[225:226], v[2:3], v[20:21]
	v_mul_f64 v[20:21], v[4:5], v[20:21]
	ds_load_b128 v[164:167], v1 offset:1376
	v_fma_f64 v[174:175], v[174:175], v[14:15], v[219:220]
	v_fma_f64 v[172:173], v[172:173], v[14:15], -v[16:17]
	scratch_load_b128 v[14:17], off, off offset:656
	v_add_f64 v[199:200], v[199:200], v[223:224]
	v_add_f64 v[217:218], v[217:218], v[221:222]
	v_fma_f64 v[221:222], v[4:5], v[18:19], v[225:226]
	v_fma_f64 v[223:224], v[2:3], v[18:19], -v[20:21]
	scratch_load_b128 v[18:21], off, off offset:672
	ds_load_b128 v[2:5], v1 offset:1392
	s_waitcnt vmcnt(10) lgkmcnt(1)
	v_mul_f64 v[219:220], v[164:165], v[24:25]
	v_mul_f64 v[24:25], v[166:167], v[24:25]
	s_waitcnt vmcnt(9) lgkmcnt(0)
	v_mul_f64 v[225:226], v[2:3], v[28:29]
	v_mul_f64 v[28:29], v[4:5], v[28:29]
	v_add_f64 v[199:200], v[199:200], v[172:173]
	v_add_f64 v[217:218], v[217:218], v[174:175]
	ds_load_b128 v[172:175], v1 offset:1408
	v_fma_f64 v[166:167], v[166:167], v[22:23], v[219:220]
	v_fma_f64 v[164:165], v[164:165], v[22:23], -v[24:25]
	scratch_load_b128 v[22:25], off, off offset:688
	v_add_f64 v[199:200], v[199:200], v[223:224]
	v_add_f64 v[217:218], v[217:218], v[221:222]
	v_fma_f64 v[221:222], v[4:5], v[26:27], v[225:226]
	v_fma_f64 v[223:224], v[2:3], v[26:27], -v[28:29]
	scratch_load_b128 v[26:29], off, off offset:704
	ds_load_b128 v[2:5], v1 offset:1424
	s_waitcnt vmcnt(10) lgkmcnt(1)
	v_mul_f64 v[219:220], v[172:173], v[32:33]
	v_mul_f64 v[32:33], v[174:175], v[32:33]
	s_waitcnt vmcnt(9) lgkmcnt(0)
	v_mul_f64 v[225:226], v[2:3], v[40:41]
	v_mul_f64 v[40:41], v[4:5], v[40:41]
	v_add_f64 v[199:200], v[199:200], v[164:165]
	v_add_f64 v[217:218], v[217:218], v[166:167]
	ds_load_b128 v[164:167], v1 offset:1440
	v_fma_f64 v[174:175], v[174:175], v[30:31], v[219:220]
	v_fma_f64 v[172:173], v[172:173], v[30:31], -v[32:33]
	scratch_load_b128 v[30:33], off, off offset:720
	v_add_f64 v[199:200], v[199:200], v[223:224]
	v_add_f64 v[217:218], v[217:218], v[221:222]
	v_fma_f64 v[223:224], v[4:5], v[38:39], v[225:226]
	v_fma_f64 v[225:226], v[2:3], v[38:39], -v[40:41]
	scratch_load_b128 v[38:41], off, off offset:736
	ds_load_b128 v[2:5], v1 offset:1456
	s_waitcnt vmcnt(9) lgkmcnt(1)
	v_mul_f64 v[219:220], v[164:165], v[170:171]
	v_mul_f64 v[221:222], v[166:167], v[170:171]
	v_add_f64 v[199:200], v[199:200], v[172:173]
	v_add_f64 v[174:175], v[217:218], v[174:175]
	ds_load_b128 v[170:173], v1 offset:1472
	v_fma_f64 v[219:220], v[166:167], v[168:169], v[219:220]
	v_fma_f64 v[168:169], v[164:165], v[168:169], -v[221:222]
	scratch_load_b128 v[164:167], off, off offset:752
	s_waitcnt vmcnt(9) lgkmcnt(1)
	v_mul_f64 v[217:218], v[2:3], v[36:37]
	v_mul_f64 v[36:37], v[4:5], v[36:37]
	v_add_f64 v[199:200], v[199:200], v[225:226]
	v_add_f64 v[174:175], v[174:175], v[223:224]
	s_delay_alu instid0(VALU_DEP_4) | instskip(NEXT) | instid1(VALU_DEP_4)
	v_fma_f64 v[223:224], v[4:5], v[34:35], v[217:218]
	v_fma_f64 v[225:226], v[2:3], v[34:35], -v[36:37]
	scratch_load_b128 v[34:37], off, off offset:768
	ds_load_b128 v[2:5], v1 offset:1488
	s_waitcnt vmcnt(9) lgkmcnt(1)
	v_mul_f64 v[221:222], v[170:171], v[8:9]
	v_mul_f64 v[8:9], v[172:173], v[8:9]
	v_add_f64 v[168:169], v[199:200], v[168:169]
	v_add_f64 v[174:175], v[174:175], v[219:220]
	s_waitcnt vmcnt(8) lgkmcnt(0)
	v_mul_f64 v[199:200], v[2:3], v[12:13]
	v_mul_f64 v[12:13], v[4:5], v[12:13]
	ds_load_b128 v[217:220], v1 offset:1504
	v_fma_f64 v[172:173], v[172:173], v[6:7], v[221:222]
	v_fma_f64 v[170:171], v[170:171], v[6:7], -v[8:9]
	scratch_load_b128 v[6:9], off, off offset:784
	v_add_f64 v[168:169], v[168:169], v[225:226]
	v_add_f64 v[174:175], v[174:175], v[223:224]
	v_fma_f64 v[199:200], v[4:5], v[10:11], v[199:200]
	v_fma_f64 v[223:224], v[2:3], v[10:11], -v[12:13]
	scratch_load_b128 v[10:13], off, off offset:800
	ds_load_b128 v[2:5], v1 offset:1520
	s_waitcnt vmcnt(9) lgkmcnt(1)
	v_mul_f64 v[221:222], v[217:218], v[16:17]
	v_mul_f64 v[16:17], v[219:220], v[16:17]
	v_add_f64 v[225:226], v[168:169], v[170:171]
	v_add_f64 v[172:173], v[174:175], v[172:173]
	s_waitcnt vmcnt(8) lgkmcnt(0)
	v_mul_f64 v[174:175], v[2:3], v[20:21]
	v_mul_f64 v[20:21], v[4:5], v[20:21]
	ds_load_b128 v[168:171], v1 offset:1536
	v_fma_f64 v[219:220], v[219:220], v[14:15], v[221:222]
	v_fma_f64 v[217:218], v[217:218], v[14:15], -v[16:17]
	scratch_load_b128 v[14:17], off, off offset:816
	v_add_f64 v[221:222], v[225:226], v[223:224]
	v_add_f64 v[172:173], v[172:173], v[199:200]
	v_fma_f64 v[223:224], v[4:5], v[18:19], v[174:175]
	v_fma_f64 v[225:226], v[2:3], v[18:19], -v[20:21]
	scratch_load_b128 v[18:21], off, off offset:832
	ds_load_b128 v[2:5], v1 offset:1552
	s_waitcnt vmcnt(9) lgkmcnt(1)
	v_mul_f64 v[199:200], v[168:169], v[24:25]
	v_mul_f64 v[24:25], v[170:171], v[24:25]
	v_add_f64 v[217:218], v[221:222], v[217:218]
	v_add_f64 v[219:220], v[172:173], v[219:220]
	s_waitcnt vmcnt(8) lgkmcnt(0)
	v_mul_f64 v[221:222], v[2:3], v[28:29]
	v_mul_f64 v[28:29], v[4:5], v[28:29]
	ds_load_b128 v[172:175], v1 offset:1568
	v_fma_f64 v[170:171], v[170:171], v[22:23], v[199:200]
	v_fma_f64 v[22:23], v[168:169], v[22:23], -v[24:25]
	s_waitcnt vmcnt(7) lgkmcnt(0)
	v_mul_f64 v[199:200], v[172:173], v[32:33]
	v_mul_f64 v[32:33], v[174:175], v[32:33]
	v_add_f64 v[24:25], v[217:218], v[225:226]
	v_add_f64 v[168:169], v[219:220], v[223:224]
	v_fma_f64 v[217:218], v[4:5], v[26:27], v[221:222]
	v_fma_f64 v[26:27], v[2:3], v[26:27], -v[28:29]
	v_fma_f64 v[174:175], v[174:175], v[30:31], v[199:200]
	v_fma_f64 v[30:31], v[172:173], v[30:31], -v[32:33]
	v_add_f64 v[28:29], v[24:25], v[22:23]
	v_add_f64 v[168:169], v[168:169], v[170:171]
	ds_load_b128 v[2:5], v1 offset:1584
	ds_load_b128 v[22:25], v1 offset:1600
	s_waitcnt vmcnt(6) lgkmcnt(1)
	v_mul_f64 v[170:171], v[2:3], v[40:41]
	v_mul_f64 v[40:41], v[4:5], v[40:41]
	s_waitcnt vmcnt(5) lgkmcnt(0)
	v_mul_f64 v[32:33], v[22:23], v[166:167]
	v_mul_f64 v[166:167], v[24:25], v[166:167]
	v_add_f64 v[26:27], v[28:29], v[26:27]
	v_add_f64 v[28:29], v[168:169], v[217:218]
	v_fma_f64 v[168:169], v[4:5], v[38:39], v[170:171]
	v_fma_f64 v[38:39], v[2:3], v[38:39], -v[40:41]
	v_fma_f64 v[24:25], v[24:25], v[164:165], v[32:33]
	v_fma_f64 v[22:23], v[22:23], v[164:165], -v[166:167]
	v_add_f64 v[30:31], v[26:27], v[30:31]
	v_add_f64 v[40:41], v[28:29], v[174:175]
	ds_load_b128 v[2:5], v1 offset:1616
	ds_load_b128 v[26:29], v1 offset:1632
	s_waitcnt vmcnt(4) lgkmcnt(1)
	v_mul_f64 v[170:171], v[2:3], v[36:37]
	v_mul_f64 v[36:37], v[4:5], v[36:37]
	v_add_f64 v[30:31], v[30:31], v[38:39]
	v_add_f64 v[32:33], v[40:41], v[168:169]
	s_waitcnt vmcnt(3) lgkmcnt(0)
	v_mul_f64 v[38:39], v[26:27], v[8:9]
	v_mul_f64 v[8:9], v[28:29], v[8:9]
	v_fma_f64 v[40:41], v[4:5], v[34:35], v[170:171]
	v_fma_f64 v[34:35], v[2:3], v[34:35], -v[36:37]
	v_add_f64 v[30:31], v[30:31], v[22:23]
	v_add_f64 v[32:33], v[32:33], v[24:25]
	ds_load_b128 v[2:5], v1 offset:1648
	ds_load_b128 v[22:25], v1 offset:1664
	v_fma_f64 v[28:29], v[28:29], v[6:7], v[38:39]
	v_fma_f64 v[6:7], v[26:27], v[6:7], -v[8:9]
	s_waitcnt vmcnt(2) lgkmcnt(1)
	v_mul_f64 v[36:37], v[2:3], v[12:13]
	v_mul_f64 v[12:13], v[4:5], v[12:13]
	v_add_f64 v[8:9], v[30:31], v[34:35]
	v_add_f64 v[26:27], v[32:33], v[40:41]
	s_waitcnt vmcnt(1) lgkmcnt(0)
	v_mul_f64 v[30:31], v[22:23], v[16:17]
	v_mul_f64 v[16:17], v[24:25], v[16:17]
	v_fma_f64 v[32:33], v[4:5], v[10:11], v[36:37]
	v_fma_f64 v[10:11], v[2:3], v[10:11], -v[12:13]
	ds_load_b128 v[2:5], v1 offset:1680
	v_add_f64 v[6:7], v[8:9], v[6:7]
	v_add_f64 v[8:9], v[26:27], v[28:29]
	v_fma_f64 v[24:25], v[24:25], v[14:15], v[30:31]
	v_fma_f64 v[14:15], v[22:23], v[14:15], -v[16:17]
	s_waitcnt vmcnt(0) lgkmcnt(0)
	v_mul_f64 v[12:13], v[2:3], v[20:21]
	v_mul_f64 v[20:21], v[4:5], v[20:21]
	v_add_f64 v[6:7], v[6:7], v[10:11]
	v_add_f64 v[8:9], v[8:9], v[32:33]
	s_delay_alu instid0(VALU_DEP_4) | instskip(NEXT) | instid1(VALU_DEP_4)
	v_fma_f64 v[4:5], v[4:5], v[18:19], v[12:13]
	v_fma_f64 v[2:3], v[2:3], v[18:19], -v[20:21]
	s_delay_alu instid0(VALU_DEP_4) | instskip(NEXT) | instid1(VALU_DEP_4)
	v_add_f64 v[6:7], v[6:7], v[14:15]
	v_add_f64 v[8:9], v[8:9], v[24:25]
	s_delay_alu instid0(VALU_DEP_2) | instskip(NEXT) | instid1(VALU_DEP_2)
	v_add_f64 v[2:3], v[6:7], v[2:3]
	v_add_f64 v[4:5], v[8:9], v[4:5]
	s_delay_alu instid0(VALU_DEP_2) | instskip(NEXT) | instid1(VALU_DEP_2)
	v_add_f64 v[2:3], v[42:43], -v[2:3]
	v_add_f64 v[4:5], v[44:45], -v[4:5]
	scratch_store_b128 off, v[2:5], off offset:432
	v_cmpx_lt_u32_e32 26, v152
	s_cbranch_execz .LBB116_279
; %bb.278:
	scratch_load_b128 v[5:8], v179, off
	v_mov_b32_e32 v2, v1
	v_mov_b32_e32 v3, v1
	;; [unrolled: 1-line block ×3, first 2 shown]
	scratch_store_b128 off, v[1:4], off offset:416
	s_waitcnt vmcnt(0)
	ds_store_b128 v205, v[5:8]
.LBB116_279:
	s_or_b32 exec_lo, exec_lo, s2
	s_waitcnt lgkmcnt(0)
	s_waitcnt_vscnt null, 0x0
	s_barrier
	buffer_gl0_inv
	s_clause 0x8
	scratch_load_b128 v[2:5], off, off offset:432
	scratch_load_b128 v[6:9], off, off offset:448
	;; [unrolled: 1-line block ×9, first 2 shown]
	ds_load_b128 v[38:41], v1 offset:1280
	ds_load_b128 v[42:45], v1 offset:1296
	s_clause 0x1
	scratch_load_b128 v[164:167], off, off offset:416
	scratch_load_b128 v[168:171], off, off offset:576
	s_mov_b32 s2, exec_lo
	s_waitcnt vmcnt(10) lgkmcnt(1)
	v_mul_f64 v[172:173], v[40:41], v[4:5]
	v_mul_f64 v[4:5], v[38:39], v[4:5]
	s_waitcnt vmcnt(9) lgkmcnt(0)
	v_mul_f64 v[199:200], v[42:43], v[8:9]
	v_mul_f64 v[8:9], v[44:45], v[8:9]
	s_delay_alu instid0(VALU_DEP_4) | instskip(NEXT) | instid1(VALU_DEP_4)
	v_fma_f64 v[217:218], v[38:39], v[2:3], -v[172:173]
	v_fma_f64 v[219:220], v[40:41], v[2:3], v[4:5]
	ds_load_b128 v[2:5], v1 offset:1312
	ds_load_b128 v[172:175], v1 offset:1328
	scratch_load_b128 v[38:41], off, off offset:592
	v_fma_f64 v[44:45], v[44:45], v[6:7], v[199:200]
	v_fma_f64 v[42:43], v[42:43], v[6:7], -v[8:9]
	scratch_load_b128 v[6:9], off, off offset:608
	s_waitcnt vmcnt(10) lgkmcnt(1)
	v_mul_f64 v[221:222], v[2:3], v[12:13]
	v_mul_f64 v[12:13], v[4:5], v[12:13]
	v_add_f64 v[199:200], v[217:218], 0
	v_add_f64 v[217:218], v[219:220], 0
	s_waitcnt vmcnt(9) lgkmcnt(0)
	v_mul_f64 v[219:220], v[172:173], v[16:17]
	v_mul_f64 v[16:17], v[174:175], v[16:17]
	v_fma_f64 v[221:222], v[4:5], v[10:11], v[221:222]
	v_fma_f64 v[223:224], v[2:3], v[10:11], -v[12:13]
	ds_load_b128 v[2:5], v1 offset:1344
	scratch_load_b128 v[10:13], off, off offset:624
	v_add_f64 v[199:200], v[199:200], v[42:43]
	v_add_f64 v[217:218], v[217:218], v[44:45]
	ds_load_b128 v[42:45], v1 offset:1360
	v_fma_f64 v[174:175], v[174:175], v[14:15], v[219:220]
	v_fma_f64 v[172:173], v[172:173], v[14:15], -v[16:17]
	scratch_load_b128 v[14:17], off, off offset:640
	s_waitcnt vmcnt(10) lgkmcnt(1)
	v_mul_f64 v[225:226], v[2:3], v[20:21]
	v_mul_f64 v[20:21], v[4:5], v[20:21]
	s_waitcnt vmcnt(9) lgkmcnt(0)
	v_mul_f64 v[219:220], v[42:43], v[24:25]
	v_mul_f64 v[24:25], v[44:45], v[24:25]
	v_add_f64 v[199:200], v[199:200], v[223:224]
	v_add_f64 v[217:218], v[217:218], v[221:222]
	v_fma_f64 v[221:222], v[4:5], v[18:19], v[225:226]
	v_fma_f64 v[223:224], v[2:3], v[18:19], -v[20:21]
	ds_load_b128 v[2:5], v1 offset:1376
	scratch_load_b128 v[18:21], off, off offset:656
	v_fma_f64 v[44:45], v[44:45], v[22:23], v[219:220]
	v_fma_f64 v[42:43], v[42:43], v[22:23], -v[24:25]
	scratch_load_b128 v[22:25], off, off offset:672
	v_add_f64 v[199:200], v[199:200], v[172:173]
	v_add_f64 v[217:218], v[217:218], v[174:175]
	ds_load_b128 v[172:175], v1 offset:1392
	s_waitcnt vmcnt(10) lgkmcnt(1)
	v_mul_f64 v[225:226], v[2:3], v[28:29]
	v_mul_f64 v[28:29], v[4:5], v[28:29]
	s_waitcnt vmcnt(9) lgkmcnt(0)
	v_mul_f64 v[219:220], v[172:173], v[32:33]
	v_mul_f64 v[32:33], v[174:175], v[32:33]
	v_add_f64 v[199:200], v[199:200], v[223:224]
	v_add_f64 v[217:218], v[217:218], v[221:222]
	v_fma_f64 v[221:222], v[4:5], v[26:27], v[225:226]
	v_fma_f64 v[223:224], v[2:3], v[26:27], -v[28:29]
	ds_load_b128 v[2:5], v1 offset:1408
	scratch_load_b128 v[26:29], off, off offset:688
	v_fma_f64 v[174:175], v[174:175], v[30:31], v[219:220]
	v_fma_f64 v[172:173], v[172:173], v[30:31], -v[32:33]
	scratch_load_b128 v[30:33], off, off offset:704
	v_add_f64 v[199:200], v[199:200], v[42:43]
	v_add_f64 v[217:218], v[217:218], v[44:45]
	ds_load_b128 v[42:45], v1 offset:1424
	s_waitcnt vmcnt(10) lgkmcnt(1)
	v_mul_f64 v[225:226], v[2:3], v[36:37]
	v_mul_f64 v[36:37], v[4:5], v[36:37]
	s_waitcnt vmcnt(8) lgkmcnt(0)
	v_mul_f64 v[219:220], v[42:43], v[170:171]
	v_add_f64 v[199:200], v[199:200], v[223:224]
	v_add_f64 v[217:218], v[217:218], v[221:222]
	v_mul_f64 v[221:222], v[44:45], v[170:171]
	v_fma_f64 v[223:224], v[4:5], v[34:35], v[225:226]
	v_fma_f64 v[225:226], v[2:3], v[34:35], -v[36:37]
	ds_load_b128 v[2:5], v1 offset:1440
	scratch_load_b128 v[34:37], off, off offset:720
	v_fma_f64 v[44:45], v[44:45], v[168:169], v[219:220]
	v_add_f64 v[199:200], v[199:200], v[172:173]
	v_add_f64 v[174:175], v[217:218], v[174:175]
	ds_load_b128 v[170:173], v1 offset:1456
	v_fma_f64 v[168:169], v[42:43], v[168:169], -v[221:222]
	s_waitcnt vmcnt(8) lgkmcnt(1)
	v_mul_f64 v[217:218], v[2:3], v[40:41]
	v_mul_f64 v[227:228], v[4:5], v[40:41]
	scratch_load_b128 v[40:43], off, off offset:736
	v_add_f64 v[199:200], v[199:200], v[225:226]
	v_add_f64 v[174:175], v[174:175], v[223:224]
	s_waitcnt vmcnt(8) lgkmcnt(0)
	v_mul_f64 v[225:226], v[170:171], v[8:9]
	v_mul_f64 v[8:9], v[172:173], v[8:9]
	ds_load_b128 v[221:224], v1 offset:1488
	v_fma_f64 v[229:230], v[4:5], v[38:39], v[217:218]
	v_fma_f64 v[38:39], v[2:3], v[38:39], -v[227:228]
	ds_load_b128 v[2:5], v1 offset:1472
	scratch_load_b128 v[217:220], off, off offset:752
	v_add_f64 v[168:169], v[199:200], v[168:169]
	v_add_f64 v[44:45], v[174:175], v[44:45]
	v_fma_f64 v[172:173], v[172:173], v[6:7], v[225:226]
	v_fma_f64 v[170:171], v[170:171], v[6:7], -v[8:9]
	scratch_load_b128 v[6:9], off, off offset:768
	s_waitcnt vmcnt(9) lgkmcnt(0)
	v_mul_f64 v[174:175], v[2:3], v[12:13]
	v_mul_f64 v[12:13], v[4:5], v[12:13]
	s_waitcnt vmcnt(8)
	v_mul_f64 v[199:200], v[221:222], v[16:17]
	v_mul_f64 v[16:17], v[223:224], v[16:17]
	v_add_f64 v[38:39], v[168:169], v[38:39]
	v_add_f64 v[44:45], v[44:45], v[229:230]
	v_fma_f64 v[174:175], v[4:5], v[10:11], v[174:175]
	v_fma_f64 v[225:226], v[2:3], v[10:11], -v[12:13]
	ds_load_b128 v[2:5], v1 offset:1504
	scratch_load_b128 v[10:13], off, off offset:784
	v_fma_f64 v[199:200], v[223:224], v[14:15], v[199:200]
	v_fma_f64 v[221:222], v[221:222], v[14:15], -v[16:17]
	scratch_load_b128 v[14:17], off, off offset:800
	v_add_f64 v[38:39], v[38:39], v[170:171]
	v_add_f64 v[44:45], v[44:45], v[172:173]
	ds_load_b128 v[168:171], v1 offset:1520
	s_waitcnt vmcnt(9) lgkmcnt(1)
	v_mul_f64 v[172:173], v[2:3], v[20:21]
	v_mul_f64 v[20:21], v[4:5], v[20:21]
	s_waitcnt vmcnt(8) lgkmcnt(0)
	v_mul_f64 v[223:224], v[168:169], v[24:25]
	v_mul_f64 v[24:25], v[170:171], v[24:25]
	v_add_f64 v[38:39], v[38:39], v[225:226]
	v_add_f64 v[44:45], v[44:45], v[174:175]
	v_fma_f64 v[225:226], v[4:5], v[18:19], v[172:173]
	v_fma_f64 v[227:228], v[2:3], v[18:19], -v[20:21]
	ds_load_b128 v[2:5], v1 offset:1536
	ds_load_b128 v[172:175], v1 offset:1552
	scratch_load_b128 v[18:21], off, off offset:816
	v_fma_f64 v[170:171], v[170:171], v[22:23], v[223:224]
	v_fma_f64 v[168:169], v[168:169], v[22:23], -v[24:25]
	scratch_load_b128 v[22:25], off, off offset:832
	v_add_f64 v[38:39], v[38:39], v[221:222]
	v_add_f64 v[44:45], v[44:45], v[199:200]
	s_waitcnt vmcnt(9) lgkmcnt(1)
	v_mul_f64 v[199:200], v[2:3], v[28:29]
	v_mul_f64 v[28:29], v[4:5], v[28:29]
	s_waitcnt vmcnt(8) lgkmcnt(0)
	v_mul_f64 v[221:222], v[172:173], v[32:33]
	v_mul_f64 v[32:33], v[174:175], v[32:33]
	v_add_f64 v[38:39], v[38:39], v[227:228]
	v_add_f64 v[44:45], v[44:45], v[225:226]
	v_fma_f64 v[199:200], v[4:5], v[26:27], v[199:200]
	v_fma_f64 v[223:224], v[2:3], v[26:27], -v[28:29]
	ds_load_b128 v[2:5], v1 offset:1568
	ds_load_b128 v[26:29], v1 offset:1584
	v_add_f64 v[38:39], v[38:39], v[168:169]
	v_add_f64 v[44:45], v[44:45], v[170:171]
	s_waitcnt vmcnt(7) lgkmcnt(1)
	v_mul_f64 v[168:169], v[2:3], v[36:37]
	v_mul_f64 v[36:37], v[4:5], v[36:37]
	v_fma_f64 v[170:171], v[174:175], v[30:31], v[221:222]
	v_fma_f64 v[30:31], v[172:173], v[30:31], -v[32:33]
	v_add_f64 v[32:33], v[38:39], v[223:224]
	v_add_f64 v[38:39], v[44:45], v[199:200]
	s_waitcnt vmcnt(6) lgkmcnt(0)
	v_mul_f64 v[44:45], v[26:27], v[42:43]
	v_mul_f64 v[42:43], v[28:29], v[42:43]
	v_fma_f64 v[168:169], v[4:5], v[34:35], v[168:169]
	v_fma_f64 v[34:35], v[2:3], v[34:35], -v[36:37]
	v_add_f64 v[36:37], v[32:33], v[30:31]
	v_add_f64 v[38:39], v[38:39], v[170:171]
	ds_load_b128 v[2:5], v1 offset:1600
	ds_load_b128 v[30:33], v1 offset:1616
	v_fma_f64 v[28:29], v[28:29], v[40:41], v[44:45]
	v_fma_f64 v[26:27], v[26:27], v[40:41], -v[42:43]
	s_waitcnt vmcnt(5) lgkmcnt(1)
	v_mul_f64 v[170:171], v[2:3], v[219:220]
	v_mul_f64 v[172:173], v[4:5], v[219:220]
	v_add_f64 v[34:35], v[36:37], v[34:35]
	v_add_f64 v[36:37], v[38:39], v[168:169]
	s_waitcnt vmcnt(4) lgkmcnt(0)
	v_mul_f64 v[38:39], v[30:31], v[8:9]
	v_mul_f64 v[8:9], v[32:33], v[8:9]
	v_fma_f64 v[40:41], v[4:5], v[217:218], v[170:171]
	v_fma_f64 v[42:43], v[2:3], v[217:218], -v[172:173]
	v_add_f64 v[34:35], v[34:35], v[26:27]
	v_add_f64 v[36:37], v[36:37], v[28:29]
	ds_load_b128 v[2:5], v1 offset:1632
	ds_load_b128 v[26:29], v1 offset:1648
	v_fma_f64 v[32:33], v[32:33], v[6:7], v[38:39]
	v_fma_f64 v[6:7], v[30:31], v[6:7], -v[8:9]
	s_waitcnt vmcnt(3) lgkmcnt(1)
	v_mul_f64 v[44:45], v[2:3], v[12:13]
	v_mul_f64 v[12:13], v[4:5], v[12:13]
	;; [unrolled: 16-line block ×3, first 2 shown]
	s_waitcnt vmcnt(0) lgkmcnt(0)
	v_mul_f64 v[16:17], v[6:7], v[24:25]
	v_mul_f64 v[24:25], v[8:9], v[24:25]
	v_add_f64 v[10:11], v[12:13], v[10:11]
	v_add_f64 v[12:13], v[30:31], v[36:37]
	v_fma_f64 v[4:5], v[4:5], v[18:19], v[32:33]
	v_fma_f64 v[1:2], v[2:3], v[18:19], -v[20:21]
	v_fma_f64 v[8:9], v[8:9], v[22:23], v[16:17]
	v_fma_f64 v[6:7], v[6:7], v[22:23], -v[24:25]
	v_add_f64 v[10:11], v[10:11], v[14:15]
	v_add_f64 v[12:13], v[12:13], v[28:29]
	s_delay_alu instid0(VALU_DEP_2) | instskip(NEXT) | instid1(VALU_DEP_2)
	v_add_f64 v[1:2], v[10:11], v[1:2]
	v_add_f64 v[3:4], v[12:13], v[4:5]
	s_delay_alu instid0(VALU_DEP_2) | instskip(NEXT) | instid1(VALU_DEP_2)
	;; [unrolled: 3-line block ×3, first 2 shown]
	v_add_f64 v[1:2], v[164:165], -v[1:2]
	v_add_f64 v[3:4], v[166:167], -v[3:4]
	scratch_store_b128 off, v[1:4], off offset:416
	v_cmpx_lt_u32_e32 25, v152
	s_cbranch_execz .LBB116_281
; %bb.280:
	scratch_load_b128 v[1:4], v180, off
	v_mov_b32_e32 v5, 0
	s_delay_alu instid0(VALU_DEP_1)
	v_mov_b32_e32 v6, v5
	v_mov_b32_e32 v7, v5
	;; [unrolled: 1-line block ×3, first 2 shown]
	scratch_store_b128 off, v[5:8], off offset:400
	s_waitcnt vmcnt(0)
	ds_store_b128 v205, v[1:4]
.LBB116_281:
	s_or_b32 exec_lo, exec_lo, s2
	s_waitcnt lgkmcnt(0)
	s_waitcnt_vscnt null, 0x0
	s_barrier
	buffer_gl0_inv
	s_clause 0x7
	scratch_load_b128 v[2:5], off, off offset:416
	scratch_load_b128 v[6:9], off, off offset:432
	;; [unrolled: 1-line block ×8, first 2 shown]
	v_mov_b32_e32 v1, 0
	s_mov_b32 s2, exec_lo
	ds_load_b128 v[38:41], v1 offset:1264
	s_clause 0x1
	scratch_load_b128 v[34:37], off, off offset:544
	scratch_load_b128 v[42:45], off, off offset:400
	ds_load_b128 v[164:167], v1 offset:1280
	scratch_load_b128 v[168:171], off, off offset:560
	s_waitcnt vmcnt(10) lgkmcnt(1)
	v_mul_f64 v[172:173], v[40:41], v[4:5]
	v_mul_f64 v[4:5], v[38:39], v[4:5]
	s_delay_alu instid0(VALU_DEP_2) | instskip(NEXT) | instid1(VALU_DEP_2)
	v_fma_f64 v[217:218], v[38:39], v[2:3], -v[172:173]
	v_fma_f64 v[219:220], v[40:41], v[2:3], v[4:5]
	scratch_load_b128 v[38:41], off, off offset:576
	ds_load_b128 v[2:5], v1 offset:1296
	s_waitcnt vmcnt(10) lgkmcnt(1)
	v_mul_f64 v[199:200], v[164:165], v[8:9]
	v_mul_f64 v[8:9], v[166:167], v[8:9]
	ds_load_b128 v[172:175], v1 offset:1312
	s_waitcnt vmcnt(9) lgkmcnt(1)
	v_mul_f64 v[221:222], v[2:3], v[12:13]
	v_mul_f64 v[12:13], v[4:5], v[12:13]
	v_fma_f64 v[166:167], v[166:167], v[6:7], v[199:200]
	v_fma_f64 v[164:165], v[164:165], v[6:7], -v[8:9]
	v_add_f64 v[199:200], v[217:218], 0
	v_add_f64 v[217:218], v[219:220], 0
	scratch_load_b128 v[6:9], off, off offset:592
	v_fma_f64 v[221:222], v[4:5], v[10:11], v[221:222]
	v_fma_f64 v[223:224], v[2:3], v[10:11], -v[12:13]
	scratch_load_b128 v[10:13], off, off offset:608
	ds_load_b128 v[2:5], v1 offset:1328
	s_waitcnt vmcnt(10) lgkmcnt(1)
	v_mul_f64 v[219:220], v[172:173], v[16:17]
	v_mul_f64 v[16:17], v[174:175], v[16:17]
	v_add_f64 v[199:200], v[199:200], v[164:165]
	v_add_f64 v[217:218], v[217:218], v[166:167]
	s_waitcnt vmcnt(9) lgkmcnt(0)
	v_mul_f64 v[225:226], v[2:3], v[20:21]
	v_mul_f64 v[20:21], v[4:5], v[20:21]
	ds_load_b128 v[164:167], v1 offset:1344
	v_fma_f64 v[174:175], v[174:175], v[14:15], v[219:220]
	v_fma_f64 v[172:173], v[172:173], v[14:15], -v[16:17]
	scratch_load_b128 v[14:17], off, off offset:624
	v_add_f64 v[199:200], v[199:200], v[223:224]
	v_add_f64 v[217:218], v[217:218], v[221:222]
	v_fma_f64 v[221:222], v[4:5], v[18:19], v[225:226]
	v_fma_f64 v[223:224], v[2:3], v[18:19], -v[20:21]
	scratch_load_b128 v[18:21], off, off offset:640
	ds_load_b128 v[2:5], v1 offset:1360
	s_waitcnt vmcnt(10) lgkmcnt(1)
	v_mul_f64 v[219:220], v[164:165], v[24:25]
	v_mul_f64 v[24:25], v[166:167], v[24:25]
	s_waitcnt vmcnt(9) lgkmcnt(0)
	v_mul_f64 v[225:226], v[2:3], v[28:29]
	v_mul_f64 v[28:29], v[4:5], v[28:29]
	v_add_f64 v[199:200], v[199:200], v[172:173]
	v_add_f64 v[217:218], v[217:218], v[174:175]
	ds_load_b128 v[172:175], v1 offset:1376
	v_fma_f64 v[166:167], v[166:167], v[22:23], v[219:220]
	v_fma_f64 v[164:165], v[164:165], v[22:23], -v[24:25]
	scratch_load_b128 v[22:25], off, off offset:656
	v_add_f64 v[199:200], v[199:200], v[223:224]
	v_add_f64 v[217:218], v[217:218], v[221:222]
	v_fma_f64 v[221:222], v[4:5], v[26:27], v[225:226]
	v_fma_f64 v[223:224], v[2:3], v[26:27], -v[28:29]
	scratch_load_b128 v[26:29], off, off offset:672
	ds_load_b128 v[2:5], v1 offset:1392
	s_waitcnt vmcnt(10) lgkmcnt(1)
	v_mul_f64 v[219:220], v[172:173], v[32:33]
	v_mul_f64 v[32:33], v[174:175], v[32:33]
	s_waitcnt vmcnt(9) lgkmcnt(0)
	v_mul_f64 v[225:226], v[2:3], v[36:37]
	v_mul_f64 v[36:37], v[4:5], v[36:37]
	v_add_f64 v[199:200], v[199:200], v[164:165]
	v_add_f64 v[217:218], v[217:218], v[166:167]
	ds_load_b128 v[164:167], v1 offset:1408
	v_fma_f64 v[174:175], v[174:175], v[30:31], v[219:220]
	v_fma_f64 v[172:173], v[172:173], v[30:31], -v[32:33]
	scratch_load_b128 v[30:33], off, off offset:688
	v_add_f64 v[199:200], v[199:200], v[223:224]
	v_add_f64 v[217:218], v[217:218], v[221:222]
	v_fma_f64 v[223:224], v[4:5], v[34:35], v[225:226]
	v_fma_f64 v[225:226], v[2:3], v[34:35], -v[36:37]
	scratch_load_b128 v[34:37], off, off offset:704
	ds_load_b128 v[2:5], v1 offset:1424
	s_waitcnt vmcnt(9) lgkmcnt(1)
	v_mul_f64 v[219:220], v[164:165], v[170:171]
	v_mul_f64 v[221:222], v[166:167], v[170:171]
	v_add_f64 v[199:200], v[199:200], v[172:173]
	v_add_f64 v[174:175], v[217:218], v[174:175]
	ds_load_b128 v[170:173], v1 offset:1440
	v_fma_f64 v[219:220], v[166:167], v[168:169], v[219:220]
	v_fma_f64 v[168:169], v[164:165], v[168:169], -v[221:222]
	scratch_load_b128 v[164:167], off, off offset:720
	s_waitcnt vmcnt(9) lgkmcnt(1)
	v_mul_f64 v[217:218], v[2:3], v[40:41]
	v_mul_f64 v[40:41], v[4:5], v[40:41]
	v_add_f64 v[199:200], v[199:200], v[225:226]
	v_add_f64 v[174:175], v[174:175], v[223:224]
	s_delay_alu instid0(VALU_DEP_4) | instskip(NEXT) | instid1(VALU_DEP_4)
	v_fma_f64 v[223:224], v[4:5], v[38:39], v[217:218]
	v_fma_f64 v[225:226], v[2:3], v[38:39], -v[40:41]
	scratch_load_b128 v[38:41], off, off offset:736
	ds_load_b128 v[2:5], v1 offset:1456
	s_waitcnt vmcnt(9) lgkmcnt(1)
	v_mul_f64 v[221:222], v[170:171], v[8:9]
	v_mul_f64 v[8:9], v[172:173], v[8:9]
	v_add_f64 v[168:169], v[199:200], v[168:169]
	v_add_f64 v[174:175], v[174:175], v[219:220]
	s_waitcnt vmcnt(8) lgkmcnt(0)
	v_mul_f64 v[199:200], v[2:3], v[12:13]
	v_mul_f64 v[12:13], v[4:5], v[12:13]
	ds_load_b128 v[217:220], v1 offset:1472
	v_fma_f64 v[172:173], v[172:173], v[6:7], v[221:222]
	v_fma_f64 v[170:171], v[170:171], v[6:7], -v[8:9]
	scratch_load_b128 v[6:9], off, off offset:752
	v_add_f64 v[168:169], v[168:169], v[225:226]
	v_add_f64 v[174:175], v[174:175], v[223:224]
	v_fma_f64 v[199:200], v[4:5], v[10:11], v[199:200]
	v_fma_f64 v[223:224], v[2:3], v[10:11], -v[12:13]
	scratch_load_b128 v[10:13], off, off offset:768
	ds_load_b128 v[2:5], v1 offset:1488
	s_waitcnt vmcnt(9) lgkmcnt(1)
	v_mul_f64 v[221:222], v[217:218], v[16:17]
	v_mul_f64 v[16:17], v[219:220], v[16:17]
	v_add_f64 v[225:226], v[168:169], v[170:171]
	v_add_f64 v[172:173], v[174:175], v[172:173]
	s_waitcnt vmcnt(8) lgkmcnt(0)
	v_mul_f64 v[174:175], v[2:3], v[20:21]
	v_mul_f64 v[20:21], v[4:5], v[20:21]
	ds_load_b128 v[168:171], v1 offset:1504
	v_fma_f64 v[219:220], v[219:220], v[14:15], v[221:222]
	v_fma_f64 v[217:218], v[217:218], v[14:15], -v[16:17]
	scratch_load_b128 v[14:17], off, off offset:784
	v_add_f64 v[221:222], v[225:226], v[223:224]
	v_add_f64 v[172:173], v[172:173], v[199:200]
	v_fma_f64 v[223:224], v[4:5], v[18:19], v[174:175]
	v_fma_f64 v[225:226], v[2:3], v[18:19], -v[20:21]
	scratch_load_b128 v[18:21], off, off offset:800
	ds_load_b128 v[2:5], v1 offset:1520
	s_waitcnt vmcnt(9) lgkmcnt(1)
	v_mul_f64 v[199:200], v[168:169], v[24:25]
	v_mul_f64 v[24:25], v[170:171], v[24:25]
	v_add_f64 v[217:218], v[221:222], v[217:218]
	v_add_f64 v[219:220], v[172:173], v[219:220]
	s_waitcnt vmcnt(8) lgkmcnt(0)
	v_mul_f64 v[221:222], v[2:3], v[28:29]
	v_mul_f64 v[28:29], v[4:5], v[28:29]
	ds_load_b128 v[172:175], v1 offset:1536
	v_fma_f64 v[170:171], v[170:171], v[22:23], v[199:200]
	v_fma_f64 v[168:169], v[168:169], v[22:23], -v[24:25]
	scratch_load_b128 v[22:25], off, off offset:816
	v_add_f64 v[199:200], v[217:218], v[225:226]
	v_add_f64 v[217:218], v[219:220], v[223:224]
	v_fma_f64 v[221:222], v[4:5], v[26:27], v[221:222]
	v_fma_f64 v[223:224], v[2:3], v[26:27], -v[28:29]
	scratch_load_b128 v[26:29], off, off offset:832
	ds_load_b128 v[2:5], v1 offset:1552
	s_waitcnt vmcnt(9) lgkmcnt(1)
	v_mul_f64 v[219:220], v[172:173], v[32:33]
	v_mul_f64 v[32:33], v[174:175], v[32:33]
	s_waitcnt vmcnt(8) lgkmcnt(0)
	v_mul_f64 v[225:226], v[2:3], v[36:37]
	v_mul_f64 v[36:37], v[4:5], v[36:37]
	v_add_f64 v[199:200], v[199:200], v[168:169]
	v_add_f64 v[217:218], v[217:218], v[170:171]
	ds_load_b128 v[168:171], v1 offset:1568
	v_fma_f64 v[174:175], v[174:175], v[30:31], v[219:220]
	v_fma_f64 v[30:31], v[172:173], v[30:31], -v[32:33]
	v_add_f64 v[32:33], v[199:200], v[223:224]
	v_add_f64 v[172:173], v[217:218], v[221:222]
	s_waitcnt vmcnt(7) lgkmcnt(0)
	v_mul_f64 v[199:200], v[168:169], v[166:167]
	v_mul_f64 v[166:167], v[170:171], v[166:167]
	v_fma_f64 v[217:218], v[4:5], v[34:35], v[225:226]
	v_fma_f64 v[34:35], v[2:3], v[34:35], -v[36:37]
	v_add_f64 v[36:37], v[32:33], v[30:31]
	v_add_f64 v[172:173], v[172:173], v[174:175]
	ds_load_b128 v[2:5], v1 offset:1584
	ds_load_b128 v[30:33], v1 offset:1600
	v_fma_f64 v[170:171], v[170:171], v[164:165], v[199:200]
	v_fma_f64 v[164:165], v[168:169], v[164:165], -v[166:167]
	s_waitcnt vmcnt(6) lgkmcnt(1)
	v_mul_f64 v[174:175], v[2:3], v[40:41]
	v_mul_f64 v[40:41], v[4:5], v[40:41]
	s_waitcnt vmcnt(5) lgkmcnt(0)
	v_mul_f64 v[166:167], v[30:31], v[8:9]
	v_mul_f64 v[8:9], v[32:33], v[8:9]
	v_add_f64 v[34:35], v[36:37], v[34:35]
	v_add_f64 v[36:37], v[172:173], v[217:218]
	v_fma_f64 v[168:169], v[4:5], v[38:39], v[174:175]
	v_fma_f64 v[38:39], v[2:3], v[38:39], -v[40:41]
	v_fma_f64 v[32:33], v[32:33], v[6:7], v[166:167]
	v_fma_f64 v[6:7], v[30:31], v[6:7], -v[8:9]
	v_add_f64 v[40:41], v[34:35], v[164:165]
	v_add_f64 v[164:165], v[36:37], v[170:171]
	ds_load_b128 v[2:5], v1 offset:1616
	ds_load_b128 v[34:37], v1 offset:1632
	s_waitcnt vmcnt(4) lgkmcnt(1)
	v_mul_f64 v[170:171], v[2:3], v[12:13]
	v_mul_f64 v[12:13], v[4:5], v[12:13]
	v_add_f64 v[8:9], v[40:41], v[38:39]
	v_add_f64 v[30:31], v[164:165], v[168:169]
	s_waitcnt vmcnt(3) lgkmcnt(0)
	v_mul_f64 v[38:39], v[34:35], v[16:17]
	v_mul_f64 v[16:17], v[36:37], v[16:17]
	v_fma_f64 v[40:41], v[4:5], v[10:11], v[170:171]
	v_fma_f64 v[10:11], v[2:3], v[10:11], -v[12:13]
	v_add_f64 v[12:13], v[8:9], v[6:7]
	v_add_f64 v[30:31], v[30:31], v[32:33]
	ds_load_b128 v[2:5], v1 offset:1648
	ds_load_b128 v[6:9], v1 offset:1664
	v_fma_f64 v[36:37], v[36:37], v[14:15], v[38:39]
	v_fma_f64 v[14:15], v[34:35], v[14:15], -v[16:17]
	s_waitcnt vmcnt(2) lgkmcnt(1)
	v_mul_f64 v[32:33], v[2:3], v[20:21]
	v_mul_f64 v[20:21], v[4:5], v[20:21]
	s_waitcnt vmcnt(1) lgkmcnt(0)
	v_mul_f64 v[16:17], v[6:7], v[24:25]
	v_mul_f64 v[24:25], v[8:9], v[24:25]
	v_add_f64 v[10:11], v[12:13], v[10:11]
	v_add_f64 v[12:13], v[30:31], v[40:41]
	v_fma_f64 v[30:31], v[4:5], v[18:19], v[32:33]
	v_fma_f64 v[18:19], v[2:3], v[18:19], -v[20:21]
	ds_load_b128 v[2:5], v1 offset:1680
	v_fma_f64 v[8:9], v[8:9], v[22:23], v[16:17]
	v_fma_f64 v[6:7], v[6:7], v[22:23], -v[24:25]
	v_add_f64 v[10:11], v[10:11], v[14:15]
	v_add_f64 v[12:13], v[12:13], v[36:37]
	s_waitcnt vmcnt(0) lgkmcnt(0)
	v_mul_f64 v[14:15], v[2:3], v[28:29]
	v_mul_f64 v[20:21], v[4:5], v[28:29]
	s_delay_alu instid0(VALU_DEP_4) | instskip(NEXT) | instid1(VALU_DEP_4)
	v_add_f64 v[10:11], v[10:11], v[18:19]
	v_add_f64 v[12:13], v[12:13], v[30:31]
	s_delay_alu instid0(VALU_DEP_4) | instskip(NEXT) | instid1(VALU_DEP_4)
	v_fma_f64 v[4:5], v[4:5], v[26:27], v[14:15]
	v_fma_f64 v[2:3], v[2:3], v[26:27], -v[20:21]
	s_delay_alu instid0(VALU_DEP_4) | instskip(NEXT) | instid1(VALU_DEP_4)
	v_add_f64 v[6:7], v[10:11], v[6:7]
	v_add_f64 v[8:9], v[12:13], v[8:9]
	s_delay_alu instid0(VALU_DEP_2) | instskip(NEXT) | instid1(VALU_DEP_2)
	v_add_f64 v[2:3], v[6:7], v[2:3]
	v_add_f64 v[4:5], v[8:9], v[4:5]
	s_delay_alu instid0(VALU_DEP_2) | instskip(NEXT) | instid1(VALU_DEP_2)
	v_add_f64 v[2:3], v[42:43], -v[2:3]
	v_add_f64 v[4:5], v[44:45], -v[4:5]
	scratch_store_b128 off, v[2:5], off offset:400
	v_cmpx_lt_u32_e32 24, v152
	s_cbranch_execz .LBB116_283
; %bb.282:
	scratch_load_b128 v[5:8], v181, off
	v_mov_b32_e32 v2, v1
	v_mov_b32_e32 v3, v1
	;; [unrolled: 1-line block ×3, first 2 shown]
	scratch_store_b128 off, v[1:4], off offset:384
	s_waitcnt vmcnt(0)
	ds_store_b128 v205, v[5:8]
.LBB116_283:
	s_or_b32 exec_lo, exec_lo, s2
	s_waitcnt lgkmcnt(0)
	s_waitcnt_vscnt null, 0x0
	s_barrier
	buffer_gl0_inv
	s_clause 0x8
	scratch_load_b128 v[2:5], off, off offset:400
	scratch_load_b128 v[6:9], off, off offset:416
	;; [unrolled: 1-line block ×9, first 2 shown]
	ds_load_b128 v[42:45], v1 offset:1248
	ds_load_b128 v[38:41], v1 offset:1264
	s_clause 0x1
	scratch_load_b128 v[164:167], off, off offset:384
	scratch_load_b128 v[168:171], off, off offset:544
	s_mov_b32 s2, exec_lo
	s_waitcnt vmcnt(10) lgkmcnt(1)
	v_mul_f64 v[172:173], v[44:45], v[4:5]
	v_mul_f64 v[4:5], v[42:43], v[4:5]
	s_waitcnt vmcnt(9) lgkmcnt(0)
	v_mul_f64 v[199:200], v[38:39], v[8:9]
	v_mul_f64 v[8:9], v[40:41], v[8:9]
	s_delay_alu instid0(VALU_DEP_4) | instskip(NEXT) | instid1(VALU_DEP_4)
	v_fma_f64 v[217:218], v[42:43], v[2:3], -v[172:173]
	v_fma_f64 v[219:220], v[44:45], v[2:3], v[4:5]
	ds_load_b128 v[2:5], v1 offset:1280
	ds_load_b128 v[172:175], v1 offset:1296
	scratch_load_b128 v[42:45], off, off offset:560
	v_fma_f64 v[40:41], v[40:41], v[6:7], v[199:200]
	v_fma_f64 v[38:39], v[38:39], v[6:7], -v[8:9]
	scratch_load_b128 v[6:9], off, off offset:576
	s_waitcnt vmcnt(10) lgkmcnt(1)
	v_mul_f64 v[221:222], v[2:3], v[12:13]
	v_mul_f64 v[12:13], v[4:5], v[12:13]
	v_add_f64 v[199:200], v[217:218], 0
	v_add_f64 v[217:218], v[219:220], 0
	s_waitcnt vmcnt(9) lgkmcnt(0)
	v_mul_f64 v[219:220], v[172:173], v[16:17]
	v_mul_f64 v[16:17], v[174:175], v[16:17]
	v_fma_f64 v[221:222], v[4:5], v[10:11], v[221:222]
	v_fma_f64 v[223:224], v[2:3], v[10:11], -v[12:13]
	ds_load_b128 v[2:5], v1 offset:1312
	scratch_load_b128 v[10:13], off, off offset:592
	v_add_f64 v[199:200], v[199:200], v[38:39]
	v_add_f64 v[217:218], v[217:218], v[40:41]
	ds_load_b128 v[38:41], v1 offset:1328
	v_fma_f64 v[174:175], v[174:175], v[14:15], v[219:220]
	v_fma_f64 v[172:173], v[172:173], v[14:15], -v[16:17]
	scratch_load_b128 v[14:17], off, off offset:608
	s_waitcnt vmcnt(10) lgkmcnt(1)
	v_mul_f64 v[225:226], v[2:3], v[20:21]
	v_mul_f64 v[20:21], v[4:5], v[20:21]
	s_waitcnt vmcnt(9) lgkmcnt(0)
	v_mul_f64 v[219:220], v[38:39], v[24:25]
	v_mul_f64 v[24:25], v[40:41], v[24:25]
	v_add_f64 v[199:200], v[199:200], v[223:224]
	v_add_f64 v[217:218], v[217:218], v[221:222]
	v_fma_f64 v[221:222], v[4:5], v[18:19], v[225:226]
	v_fma_f64 v[223:224], v[2:3], v[18:19], -v[20:21]
	ds_load_b128 v[2:5], v1 offset:1344
	scratch_load_b128 v[18:21], off, off offset:624
	v_fma_f64 v[40:41], v[40:41], v[22:23], v[219:220]
	v_fma_f64 v[38:39], v[38:39], v[22:23], -v[24:25]
	scratch_load_b128 v[22:25], off, off offset:640
	v_add_f64 v[199:200], v[199:200], v[172:173]
	v_add_f64 v[217:218], v[217:218], v[174:175]
	ds_load_b128 v[172:175], v1 offset:1360
	s_waitcnt vmcnt(10) lgkmcnt(1)
	v_mul_f64 v[225:226], v[2:3], v[28:29]
	v_mul_f64 v[28:29], v[4:5], v[28:29]
	s_waitcnt vmcnt(9) lgkmcnt(0)
	v_mul_f64 v[219:220], v[172:173], v[32:33]
	v_mul_f64 v[32:33], v[174:175], v[32:33]
	v_add_f64 v[199:200], v[199:200], v[223:224]
	v_add_f64 v[217:218], v[217:218], v[221:222]
	v_fma_f64 v[221:222], v[4:5], v[26:27], v[225:226]
	v_fma_f64 v[223:224], v[2:3], v[26:27], -v[28:29]
	ds_load_b128 v[2:5], v1 offset:1376
	scratch_load_b128 v[26:29], off, off offset:656
	v_fma_f64 v[174:175], v[174:175], v[30:31], v[219:220]
	v_fma_f64 v[172:173], v[172:173], v[30:31], -v[32:33]
	scratch_load_b128 v[30:33], off, off offset:672
	v_add_f64 v[199:200], v[199:200], v[38:39]
	v_add_f64 v[217:218], v[217:218], v[40:41]
	ds_load_b128 v[38:41], v1 offset:1392
	s_waitcnt vmcnt(10) lgkmcnt(1)
	v_mul_f64 v[225:226], v[2:3], v[36:37]
	v_mul_f64 v[36:37], v[4:5], v[36:37]
	s_waitcnt vmcnt(8) lgkmcnt(0)
	v_mul_f64 v[219:220], v[38:39], v[170:171]
	v_add_f64 v[199:200], v[199:200], v[223:224]
	v_add_f64 v[217:218], v[217:218], v[221:222]
	v_mul_f64 v[221:222], v[40:41], v[170:171]
	v_fma_f64 v[223:224], v[4:5], v[34:35], v[225:226]
	v_fma_f64 v[225:226], v[2:3], v[34:35], -v[36:37]
	ds_load_b128 v[2:5], v1 offset:1408
	scratch_load_b128 v[34:37], off, off offset:688
	v_fma_f64 v[219:220], v[40:41], v[168:169], v[219:220]
	v_add_f64 v[199:200], v[199:200], v[172:173]
	v_add_f64 v[174:175], v[217:218], v[174:175]
	ds_load_b128 v[170:173], v1 offset:1424
	v_fma_f64 v[168:169], v[38:39], v[168:169], -v[221:222]
	scratch_load_b128 v[38:41], off, off offset:704
	s_waitcnt vmcnt(9) lgkmcnt(1)
	v_mul_f64 v[217:218], v[2:3], v[44:45]
	v_mul_f64 v[44:45], v[4:5], v[44:45]
	s_waitcnt vmcnt(8) lgkmcnt(0)
	v_mul_f64 v[221:222], v[170:171], v[8:9]
	v_mul_f64 v[8:9], v[172:173], v[8:9]
	v_add_f64 v[199:200], v[199:200], v[225:226]
	v_add_f64 v[174:175], v[174:175], v[223:224]
	v_fma_f64 v[223:224], v[4:5], v[42:43], v[217:218]
	v_fma_f64 v[225:226], v[2:3], v[42:43], -v[44:45]
	ds_load_b128 v[2:5], v1 offset:1440
	scratch_load_b128 v[42:45], off, off offset:720
	v_fma_f64 v[172:173], v[172:173], v[6:7], v[221:222]
	v_fma_f64 v[170:171], v[170:171], v[6:7], -v[8:9]
	scratch_load_b128 v[6:9], off, off offset:736
	v_add_f64 v[168:169], v[199:200], v[168:169]
	v_add_f64 v[174:175], v[174:175], v[219:220]
	ds_load_b128 v[217:220], v1 offset:1456
	s_waitcnt vmcnt(9) lgkmcnt(1)
	v_mul_f64 v[199:200], v[2:3], v[12:13]
	v_mul_f64 v[12:13], v[4:5], v[12:13]
	s_waitcnt vmcnt(8) lgkmcnt(0)
	v_mul_f64 v[221:222], v[217:218], v[16:17]
	v_mul_f64 v[16:17], v[219:220], v[16:17]
	v_add_f64 v[168:169], v[168:169], v[225:226]
	v_add_f64 v[174:175], v[174:175], v[223:224]
	v_fma_f64 v[199:200], v[4:5], v[10:11], v[199:200]
	v_fma_f64 v[223:224], v[2:3], v[10:11], -v[12:13]
	ds_load_b128 v[2:5], v1 offset:1472
	scratch_load_b128 v[10:13], off, off offset:752
	v_fma_f64 v[219:220], v[219:220], v[14:15], v[221:222]
	v_fma_f64 v[217:218], v[217:218], v[14:15], -v[16:17]
	scratch_load_b128 v[14:17], off, off offset:768
	v_add_f64 v[225:226], v[168:169], v[170:171]
	v_add_f64 v[172:173], v[174:175], v[172:173]
	ds_load_b128 v[168:171], v1 offset:1488
	s_waitcnt vmcnt(9) lgkmcnt(1)
	v_mul_f64 v[174:175], v[2:3], v[20:21]
	v_mul_f64 v[20:21], v[4:5], v[20:21]
	v_add_f64 v[221:222], v[225:226], v[223:224]
	v_add_f64 v[172:173], v[172:173], v[199:200]
	s_waitcnt vmcnt(8) lgkmcnt(0)
	v_mul_f64 v[199:200], v[168:169], v[24:25]
	v_mul_f64 v[24:25], v[170:171], v[24:25]
	v_fma_f64 v[223:224], v[4:5], v[18:19], v[174:175]
	v_fma_f64 v[225:226], v[2:3], v[18:19], -v[20:21]
	ds_load_b128 v[2:5], v1 offset:1504
	scratch_load_b128 v[18:21], off, off offset:784
	v_add_f64 v[217:218], v[221:222], v[217:218]
	v_add_f64 v[219:220], v[172:173], v[219:220]
	ds_load_b128 v[172:175], v1 offset:1520
	s_waitcnt vmcnt(8) lgkmcnt(1)
	v_mul_f64 v[221:222], v[2:3], v[28:29]
	v_mul_f64 v[28:29], v[4:5], v[28:29]
	v_fma_f64 v[170:171], v[170:171], v[22:23], v[199:200]
	v_fma_f64 v[168:169], v[168:169], v[22:23], -v[24:25]
	scratch_load_b128 v[22:25], off, off offset:800
	v_add_f64 v[199:200], v[217:218], v[225:226]
	v_add_f64 v[217:218], v[219:220], v[223:224]
	s_waitcnt vmcnt(8) lgkmcnt(0)
	v_mul_f64 v[219:220], v[172:173], v[32:33]
	v_mul_f64 v[32:33], v[174:175], v[32:33]
	v_fma_f64 v[221:222], v[4:5], v[26:27], v[221:222]
	v_fma_f64 v[223:224], v[2:3], v[26:27], -v[28:29]
	ds_load_b128 v[2:5], v1 offset:1536
	scratch_load_b128 v[26:29], off, off offset:816
	v_add_f64 v[199:200], v[199:200], v[168:169]
	v_add_f64 v[217:218], v[217:218], v[170:171]
	ds_load_b128 v[168:171], v1 offset:1552
	s_waitcnt vmcnt(8) lgkmcnt(1)
	v_mul_f64 v[225:226], v[2:3], v[36:37]
	v_mul_f64 v[36:37], v[4:5], v[36:37]
	v_fma_f64 v[174:175], v[174:175], v[30:31], v[219:220]
	v_fma_f64 v[172:173], v[172:173], v[30:31], -v[32:33]
	scratch_load_b128 v[30:33], off, off offset:832
	s_waitcnt vmcnt(8) lgkmcnt(0)
	v_mul_f64 v[219:220], v[168:169], v[40:41]
	v_mul_f64 v[40:41], v[170:171], v[40:41]
	v_add_f64 v[199:200], v[199:200], v[223:224]
	v_add_f64 v[217:218], v[217:218], v[221:222]
	v_fma_f64 v[221:222], v[4:5], v[34:35], v[225:226]
	v_fma_f64 v[223:224], v[2:3], v[34:35], -v[36:37]
	ds_load_b128 v[2:5], v1 offset:1568
	ds_load_b128 v[34:37], v1 offset:1584
	v_fma_f64 v[170:171], v[170:171], v[38:39], v[219:220]
	v_fma_f64 v[38:39], v[168:169], v[38:39], -v[40:41]
	v_add_f64 v[172:173], v[199:200], v[172:173]
	v_add_f64 v[174:175], v[217:218], v[174:175]
	s_waitcnt vmcnt(7) lgkmcnt(1)
	v_mul_f64 v[199:200], v[2:3], v[44:45]
	v_mul_f64 v[44:45], v[4:5], v[44:45]
	s_delay_alu instid0(VALU_DEP_4) | instskip(NEXT) | instid1(VALU_DEP_4)
	v_add_f64 v[40:41], v[172:173], v[223:224]
	v_add_f64 v[168:169], v[174:175], v[221:222]
	s_waitcnt vmcnt(6) lgkmcnt(0)
	v_mul_f64 v[172:173], v[34:35], v[8:9]
	v_mul_f64 v[8:9], v[36:37], v[8:9]
	v_fma_f64 v[174:175], v[4:5], v[42:43], v[199:200]
	v_fma_f64 v[42:43], v[2:3], v[42:43], -v[44:45]
	v_add_f64 v[44:45], v[40:41], v[38:39]
	v_add_f64 v[168:169], v[168:169], v[170:171]
	ds_load_b128 v[2:5], v1 offset:1600
	ds_load_b128 v[38:41], v1 offset:1616
	v_fma_f64 v[36:37], v[36:37], v[6:7], v[172:173]
	v_fma_f64 v[6:7], v[34:35], v[6:7], -v[8:9]
	s_waitcnt vmcnt(5) lgkmcnt(1)
	v_mul_f64 v[170:171], v[2:3], v[12:13]
	v_mul_f64 v[12:13], v[4:5], v[12:13]
	v_add_f64 v[8:9], v[44:45], v[42:43]
	v_add_f64 v[34:35], v[168:169], v[174:175]
	s_waitcnt vmcnt(4) lgkmcnt(0)
	v_mul_f64 v[42:43], v[38:39], v[16:17]
	v_mul_f64 v[16:17], v[40:41], v[16:17]
	v_fma_f64 v[44:45], v[4:5], v[10:11], v[170:171]
	v_fma_f64 v[10:11], v[2:3], v[10:11], -v[12:13]
	v_add_f64 v[12:13], v[8:9], v[6:7]
	v_add_f64 v[34:35], v[34:35], v[36:37]
	ds_load_b128 v[2:5], v1 offset:1632
	ds_load_b128 v[6:9], v1 offset:1648
	v_fma_f64 v[40:41], v[40:41], v[14:15], v[42:43]
	v_fma_f64 v[14:15], v[38:39], v[14:15], -v[16:17]
	s_waitcnt vmcnt(3) lgkmcnt(1)
	v_mul_f64 v[36:37], v[2:3], v[20:21]
	v_mul_f64 v[20:21], v[4:5], v[20:21]
	s_waitcnt vmcnt(2) lgkmcnt(0)
	v_mul_f64 v[16:17], v[6:7], v[24:25]
	v_mul_f64 v[24:25], v[8:9], v[24:25]
	v_add_f64 v[10:11], v[12:13], v[10:11]
	v_add_f64 v[12:13], v[34:35], v[44:45]
	v_fma_f64 v[34:35], v[4:5], v[18:19], v[36:37]
	v_fma_f64 v[18:19], v[2:3], v[18:19], -v[20:21]
	v_fma_f64 v[8:9], v[8:9], v[22:23], v[16:17]
	v_fma_f64 v[6:7], v[6:7], v[22:23], -v[24:25]
	v_add_f64 v[14:15], v[10:11], v[14:15]
	v_add_f64 v[20:21], v[12:13], v[40:41]
	ds_load_b128 v[2:5], v1 offset:1664
	ds_load_b128 v[10:13], v1 offset:1680
	s_waitcnt vmcnt(1) lgkmcnt(1)
	v_mul_f64 v[36:37], v[2:3], v[28:29]
	v_mul_f64 v[28:29], v[4:5], v[28:29]
	v_add_f64 v[14:15], v[14:15], v[18:19]
	v_add_f64 v[16:17], v[20:21], v[34:35]
	s_waitcnt vmcnt(0) lgkmcnt(0)
	v_mul_f64 v[18:19], v[10:11], v[32:33]
	v_mul_f64 v[20:21], v[12:13], v[32:33]
	v_fma_f64 v[4:5], v[4:5], v[26:27], v[36:37]
	v_fma_f64 v[1:2], v[2:3], v[26:27], -v[28:29]
	v_add_f64 v[6:7], v[14:15], v[6:7]
	v_add_f64 v[8:9], v[16:17], v[8:9]
	v_fma_f64 v[12:13], v[12:13], v[30:31], v[18:19]
	v_fma_f64 v[10:11], v[10:11], v[30:31], -v[20:21]
	s_delay_alu instid0(VALU_DEP_4) | instskip(NEXT) | instid1(VALU_DEP_4)
	v_add_f64 v[1:2], v[6:7], v[1:2]
	v_add_f64 v[3:4], v[8:9], v[4:5]
	s_delay_alu instid0(VALU_DEP_2) | instskip(NEXT) | instid1(VALU_DEP_2)
	v_add_f64 v[1:2], v[1:2], v[10:11]
	v_add_f64 v[3:4], v[3:4], v[12:13]
	s_delay_alu instid0(VALU_DEP_2) | instskip(NEXT) | instid1(VALU_DEP_2)
	v_add_f64 v[1:2], v[164:165], -v[1:2]
	v_add_f64 v[3:4], v[166:167], -v[3:4]
	scratch_store_b128 off, v[1:4], off offset:384
	v_cmpx_lt_u32_e32 23, v152
	s_cbranch_execz .LBB116_285
; %bb.284:
	scratch_load_b128 v[1:4], v182, off
	v_mov_b32_e32 v5, 0
	s_delay_alu instid0(VALU_DEP_1)
	v_mov_b32_e32 v6, v5
	v_mov_b32_e32 v7, v5
	;; [unrolled: 1-line block ×3, first 2 shown]
	scratch_store_b128 off, v[5:8], off offset:368
	s_waitcnt vmcnt(0)
	ds_store_b128 v205, v[1:4]
.LBB116_285:
	s_or_b32 exec_lo, exec_lo, s2
	s_waitcnt lgkmcnt(0)
	s_waitcnt_vscnt null, 0x0
	s_barrier
	buffer_gl0_inv
	s_clause 0x7
	scratch_load_b128 v[2:5], off, off offset:384
	scratch_load_b128 v[6:9], off, off offset:400
	;; [unrolled: 1-line block ×8, first 2 shown]
	v_mov_b32_e32 v1, 0
	s_mov_b32 s2, exec_lo
	ds_load_b128 v[38:41], v1 offset:1232
	s_clause 0x1
	scratch_load_b128 v[34:37], off, off offset:512
	scratch_load_b128 v[42:45], off, off offset:368
	ds_load_b128 v[164:167], v1 offset:1248
	scratch_load_b128 v[168:171], off, off offset:528
	s_waitcnt vmcnt(10) lgkmcnt(1)
	v_mul_f64 v[172:173], v[40:41], v[4:5]
	v_mul_f64 v[4:5], v[38:39], v[4:5]
	s_delay_alu instid0(VALU_DEP_2) | instskip(NEXT) | instid1(VALU_DEP_2)
	v_fma_f64 v[217:218], v[38:39], v[2:3], -v[172:173]
	v_fma_f64 v[219:220], v[40:41], v[2:3], v[4:5]
	scratch_load_b128 v[38:41], off, off offset:544
	ds_load_b128 v[2:5], v1 offset:1264
	s_waitcnt vmcnt(10) lgkmcnt(1)
	v_mul_f64 v[199:200], v[164:165], v[8:9]
	v_mul_f64 v[8:9], v[166:167], v[8:9]
	ds_load_b128 v[172:175], v1 offset:1280
	s_waitcnt vmcnt(9) lgkmcnt(1)
	v_mul_f64 v[221:222], v[2:3], v[12:13]
	v_mul_f64 v[12:13], v[4:5], v[12:13]
	v_fma_f64 v[166:167], v[166:167], v[6:7], v[199:200]
	v_fma_f64 v[164:165], v[164:165], v[6:7], -v[8:9]
	v_add_f64 v[199:200], v[217:218], 0
	v_add_f64 v[217:218], v[219:220], 0
	scratch_load_b128 v[6:9], off, off offset:560
	v_fma_f64 v[221:222], v[4:5], v[10:11], v[221:222]
	v_fma_f64 v[223:224], v[2:3], v[10:11], -v[12:13]
	scratch_load_b128 v[10:13], off, off offset:576
	ds_load_b128 v[2:5], v1 offset:1296
	s_waitcnt vmcnt(10) lgkmcnt(1)
	v_mul_f64 v[219:220], v[172:173], v[16:17]
	v_mul_f64 v[16:17], v[174:175], v[16:17]
	v_add_f64 v[199:200], v[199:200], v[164:165]
	v_add_f64 v[217:218], v[217:218], v[166:167]
	s_waitcnt vmcnt(9) lgkmcnt(0)
	v_mul_f64 v[225:226], v[2:3], v[20:21]
	v_mul_f64 v[20:21], v[4:5], v[20:21]
	ds_load_b128 v[164:167], v1 offset:1312
	v_fma_f64 v[174:175], v[174:175], v[14:15], v[219:220]
	v_fma_f64 v[172:173], v[172:173], v[14:15], -v[16:17]
	scratch_load_b128 v[14:17], off, off offset:592
	v_add_f64 v[199:200], v[199:200], v[223:224]
	v_add_f64 v[217:218], v[217:218], v[221:222]
	v_fma_f64 v[221:222], v[4:5], v[18:19], v[225:226]
	v_fma_f64 v[223:224], v[2:3], v[18:19], -v[20:21]
	scratch_load_b128 v[18:21], off, off offset:608
	ds_load_b128 v[2:5], v1 offset:1328
	s_waitcnt vmcnt(10) lgkmcnt(1)
	v_mul_f64 v[219:220], v[164:165], v[24:25]
	v_mul_f64 v[24:25], v[166:167], v[24:25]
	s_waitcnt vmcnt(9) lgkmcnt(0)
	v_mul_f64 v[225:226], v[2:3], v[28:29]
	v_mul_f64 v[28:29], v[4:5], v[28:29]
	v_add_f64 v[199:200], v[199:200], v[172:173]
	v_add_f64 v[217:218], v[217:218], v[174:175]
	ds_load_b128 v[172:175], v1 offset:1344
	v_fma_f64 v[166:167], v[166:167], v[22:23], v[219:220]
	v_fma_f64 v[164:165], v[164:165], v[22:23], -v[24:25]
	scratch_load_b128 v[22:25], off, off offset:624
	v_add_f64 v[199:200], v[199:200], v[223:224]
	v_add_f64 v[217:218], v[217:218], v[221:222]
	v_fma_f64 v[221:222], v[4:5], v[26:27], v[225:226]
	v_fma_f64 v[223:224], v[2:3], v[26:27], -v[28:29]
	scratch_load_b128 v[26:29], off, off offset:640
	ds_load_b128 v[2:5], v1 offset:1360
	s_waitcnt vmcnt(10) lgkmcnt(1)
	v_mul_f64 v[219:220], v[172:173], v[32:33]
	v_mul_f64 v[32:33], v[174:175], v[32:33]
	s_waitcnt vmcnt(9) lgkmcnt(0)
	v_mul_f64 v[225:226], v[2:3], v[36:37]
	v_mul_f64 v[36:37], v[4:5], v[36:37]
	v_add_f64 v[199:200], v[199:200], v[164:165]
	v_add_f64 v[217:218], v[217:218], v[166:167]
	ds_load_b128 v[164:167], v1 offset:1376
	v_fma_f64 v[174:175], v[174:175], v[30:31], v[219:220]
	v_fma_f64 v[172:173], v[172:173], v[30:31], -v[32:33]
	scratch_load_b128 v[30:33], off, off offset:656
	v_add_f64 v[199:200], v[199:200], v[223:224]
	v_add_f64 v[217:218], v[217:218], v[221:222]
	v_fma_f64 v[223:224], v[4:5], v[34:35], v[225:226]
	v_fma_f64 v[225:226], v[2:3], v[34:35], -v[36:37]
	scratch_load_b128 v[34:37], off, off offset:672
	ds_load_b128 v[2:5], v1 offset:1392
	s_waitcnt vmcnt(9) lgkmcnt(1)
	v_mul_f64 v[219:220], v[164:165], v[170:171]
	v_mul_f64 v[221:222], v[166:167], v[170:171]
	v_add_f64 v[199:200], v[199:200], v[172:173]
	v_add_f64 v[174:175], v[217:218], v[174:175]
	ds_load_b128 v[170:173], v1 offset:1408
	v_fma_f64 v[219:220], v[166:167], v[168:169], v[219:220]
	v_fma_f64 v[168:169], v[164:165], v[168:169], -v[221:222]
	scratch_load_b128 v[164:167], off, off offset:688
	s_waitcnt vmcnt(9) lgkmcnt(1)
	v_mul_f64 v[217:218], v[2:3], v[40:41]
	v_mul_f64 v[40:41], v[4:5], v[40:41]
	v_add_f64 v[199:200], v[199:200], v[225:226]
	v_add_f64 v[174:175], v[174:175], v[223:224]
	s_delay_alu instid0(VALU_DEP_4) | instskip(NEXT) | instid1(VALU_DEP_4)
	v_fma_f64 v[223:224], v[4:5], v[38:39], v[217:218]
	v_fma_f64 v[225:226], v[2:3], v[38:39], -v[40:41]
	scratch_load_b128 v[38:41], off, off offset:704
	ds_load_b128 v[2:5], v1 offset:1424
	s_waitcnt vmcnt(9) lgkmcnt(1)
	v_mul_f64 v[221:222], v[170:171], v[8:9]
	v_mul_f64 v[8:9], v[172:173], v[8:9]
	v_add_f64 v[168:169], v[199:200], v[168:169]
	v_add_f64 v[174:175], v[174:175], v[219:220]
	s_waitcnt vmcnt(8) lgkmcnt(0)
	v_mul_f64 v[199:200], v[2:3], v[12:13]
	v_mul_f64 v[12:13], v[4:5], v[12:13]
	ds_load_b128 v[217:220], v1 offset:1440
	v_fma_f64 v[172:173], v[172:173], v[6:7], v[221:222]
	v_fma_f64 v[170:171], v[170:171], v[6:7], -v[8:9]
	scratch_load_b128 v[6:9], off, off offset:720
	v_add_f64 v[168:169], v[168:169], v[225:226]
	v_add_f64 v[174:175], v[174:175], v[223:224]
	v_fma_f64 v[199:200], v[4:5], v[10:11], v[199:200]
	v_fma_f64 v[223:224], v[2:3], v[10:11], -v[12:13]
	scratch_load_b128 v[10:13], off, off offset:736
	ds_load_b128 v[2:5], v1 offset:1456
	s_waitcnt vmcnt(9) lgkmcnt(1)
	v_mul_f64 v[221:222], v[217:218], v[16:17]
	v_mul_f64 v[16:17], v[219:220], v[16:17]
	v_add_f64 v[225:226], v[168:169], v[170:171]
	v_add_f64 v[172:173], v[174:175], v[172:173]
	s_waitcnt vmcnt(8) lgkmcnt(0)
	v_mul_f64 v[174:175], v[2:3], v[20:21]
	v_mul_f64 v[20:21], v[4:5], v[20:21]
	ds_load_b128 v[168:171], v1 offset:1472
	v_fma_f64 v[219:220], v[219:220], v[14:15], v[221:222]
	v_fma_f64 v[217:218], v[217:218], v[14:15], -v[16:17]
	scratch_load_b128 v[14:17], off, off offset:752
	v_add_f64 v[221:222], v[225:226], v[223:224]
	v_add_f64 v[172:173], v[172:173], v[199:200]
	;; [unrolled: 18-line block ×3, first 2 shown]
	v_fma_f64 v[221:222], v[4:5], v[26:27], v[221:222]
	v_fma_f64 v[223:224], v[2:3], v[26:27], -v[28:29]
	scratch_load_b128 v[26:29], off, off offset:800
	ds_load_b128 v[2:5], v1 offset:1520
	s_waitcnt vmcnt(9) lgkmcnt(1)
	v_mul_f64 v[219:220], v[172:173], v[32:33]
	v_mul_f64 v[32:33], v[174:175], v[32:33]
	s_waitcnt vmcnt(8) lgkmcnt(0)
	v_mul_f64 v[225:226], v[2:3], v[36:37]
	v_mul_f64 v[36:37], v[4:5], v[36:37]
	v_add_f64 v[199:200], v[199:200], v[168:169]
	v_add_f64 v[217:218], v[217:218], v[170:171]
	ds_load_b128 v[168:171], v1 offset:1536
	v_fma_f64 v[174:175], v[174:175], v[30:31], v[219:220]
	v_fma_f64 v[172:173], v[172:173], v[30:31], -v[32:33]
	scratch_load_b128 v[30:33], off, off offset:816
	v_add_f64 v[199:200], v[199:200], v[223:224]
	v_add_f64 v[217:218], v[217:218], v[221:222]
	v_fma_f64 v[221:222], v[4:5], v[34:35], v[225:226]
	v_fma_f64 v[223:224], v[2:3], v[34:35], -v[36:37]
	scratch_load_b128 v[34:37], off, off offset:832
	ds_load_b128 v[2:5], v1 offset:1552
	s_waitcnt vmcnt(9) lgkmcnt(1)
	v_mul_f64 v[219:220], v[168:169], v[166:167]
	v_mul_f64 v[166:167], v[170:171], v[166:167]
	s_waitcnt vmcnt(8) lgkmcnt(0)
	v_mul_f64 v[225:226], v[2:3], v[40:41]
	v_mul_f64 v[40:41], v[4:5], v[40:41]
	v_add_f64 v[199:200], v[199:200], v[172:173]
	v_add_f64 v[217:218], v[217:218], v[174:175]
	ds_load_b128 v[172:175], v1 offset:1568
	v_fma_f64 v[170:171], v[170:171], v[164:165], v[219:220]
	v_fma_f64 v[164:165], v[168:169], v[164:165], -v[166:167]
	v_fma_f64 v[219:220], v[2:3], v[38:39], -v[40:41]
	v_add_f64 v[166:167], v[199:200], v[223:224]
	v_add_f64 v[168:169], v[217:218], v[221:222]
	s_waitcnt vmcnt(7) lgkmcnt(0)
	v_mul_f64 v[199:200], v[172:173], v[8:9]
	v_mul_f64 v[8:9], v[174:175], v[8:9]
	v_fma_f64 v[217:218], v[4:5], v[38:39], v[225:226]
	ds_load_b128 v[2:5], v1 offset:1584
	ds_load_b128 v[38:41], v1 offset:1600
	v_add_f64 v[164:165], v[166:167], v[164:165]
	v_add_f64 v[166:167], v[168:169], v[170:171]
	s_waitcnt vmcnt(6) lgkmcnt(1)
	v_mul_f64 v[168:169], v[2:3], v[12:13]
	v_mul_f64 v[12:13], v[4:5], v[12:13]
	v_fma_f64 v[170:171], v[174:175], v[6:7], v[199:200]
	v_fma_f64 v[6:7], v[172:173], v[6:7], -v[8:9]
	v_add_f64 v[8:9], v[164:165], v[219:220]
	v_add_f64 v[164:165], v[166:167], v[217:218]
	s_waitcnt vmcnt(5) lgkmcnt(0)
	v_mul_f64 v[166:167], v[38:39], v[16:17]
	v_mul_f64 v[16:17], v[40:41], v[16:17]
	v_fma_f64 v[168:169], v[4:5], v[10:11], v[168:169]
	v_fma_f64 v[10:11], v[2:3], v[10:11], -v[12:13]
	v_add_f64 v[12:13], v[8:9], v[6:7]
	v_add_f64 v[164:165], v[164:165], v[170:171]
	ds_load_b128 v[2:5], v1 offset:1616
	ds_load_b128 v[6:9], v1 offset:1632
	v_fma_f64 v[40:41], v[40:41], v[14:15], v[166:167]
	v_fma_f64 v[14:15], v[38:39], v[14:15], -v[16:17]
	s_waitcnt vmcnt(4) lgkmcnt(1)
	v_mul_f64 v[170:171], v[2:3], v[20:21]
	v_mul_f64 v[20:21], v[4:5], v[20:21]
	s_waitcnt vmcnt(3) lgkmcnt(0)
	v_mul_f64 v[16:17], v[6:7], v[24:25]
	v_mul_f64 v[24:25], v[8:9], v[24:25]
	v_add_f64 v[10:11], v[12:13], v[10:11]
	v_add_f64 v[12:13], v[164:165], v[168:169]
	v_fma_f64 v[38:39], v[4:5], v[18:19], v[170:171]
	v_fma_f64 v[18:19], v[2:3], v[18:19], -v[20:21]
	v_fma_f64 v[8:9], v[8:9], v[22:23], v[16:17]
	v_fma_f64 v[6:7], v[6:7], v[22:23], -v[24:25]
	v_add_f64 v[14:15], v[10:11], v[14:15]
	v_add_f64 v[20:21], v[12:13], v[40:41]
	ds_load_b128 v[2:5], v1 offset:1648
	ds_load_b128 v[10:13], v1 offset:1664
	s_waitcnt vmcnt(2) lgkmcnt(1)
	v_mul_f64 v[40:41], v[2:3], v[28:29]
	v_mul_f64 v[28:29], v[4:5], v[28:29]
	v_add_f64 v[14:15], v[14:15], v[18:19]
	v_add_f64 v[16:17], v[20:21], v[38:39]
	s_waitcnt vmcnt(1) lgkmcnt(0)
	v_mul_f64 v[18:19], v[10:11], v[32:33]
	v_mul_f64 v[20:21], v[12:13], v[32:33]
	v_fma_f64 v[22:23], v[4:5], v[26:27], v[40:41]
	v_fma_f64 v[24:25], v[2:3], v[26:27], -v[28:29]
	ds_load_b128 v[2:5], v1 offset:1680
	v_add_f64 v[6:7], v[14:15], v[6:7]
	v_add_f64 v[8:9], v[16:17], v[8:9]
	v_fma_f64 v[12:13], v[12:13], v[30:31], v[18:19]
	v_fma_f64 v[10:11], v[10:11], v[30:31], -v[20:21]
	s_waitcnt vmcnt(0) lgkmcnt(0)
	v_mul_f64 v[14:15], v[2:3], v[36:37]
	v_mul_f64 v[16:17], v[4:5], v[36:37]
	v_add_f64 v[6:7], v[6:7], v[24:25]
	v_add_f64 v[8:9], v[8:9], v[22:23]
	s_delay_alu instid0(VALU_DEP_4) | instskip(NEXT) | instid1(VALU_DEP_4)
	v_fma_f64 v[4:5], v[4:5], v[34:35], v[14:15]
	v_fma_f64 v[2:3], v[2:3], v[34:35], -v[16:17]
	s_delay_alu instid0(VALU_DEP_4) | instskip(NEXT) | instid1(VALU_DEP_4)
	v_add_f64 v[6:7], v[6:7], v[10:11]
	v_add_f64 v[8:9], v[8:9], v[12:13]
	s_delay_alu instid0(VALU_DEP_2) | instskip(NEXT) | instid1(VALU_DEP_2)
	v_add_f64 v[2:3], v[6:7], v[2:3]
	v_add_f64 v[4:5], v[8:9], v[4:5]
	s_delay_alu instid0(VALU_DEP_2) | instskip(NEXT) | instid1(VALU_DEP_2)
	v_add_f64 v[2:3], v[42:43], -v[2:3]
	v_add_f64 v[4:5], v[44:45], -v[4:5]
	scratch_store_b128 off, v[2:5], off offset:368
	v_cmpx_lt_u32_e32 22, v152
	s_cbranch_execz .LBB116_287
; %bb.286:
	scratch_load_b128 v[5:8], v183, off
	v_mov_b32_e32 v2, v1
	v_mov_b32_e32 v3, v1
	;; [unrolled: 1-line block ×3, first 2 shown]
	scratch_store_b128 off, v[1:4], off offset:352
	s_waitcnt vmcnt(0)
	ds_store_b128 v205, v[5:8]
.LBB116_287:
	s_or_b32 exec_lo, exec_lo, s2
	s_waitcnt lgkmcnt(0)
	s_waitcnt_vscnt null, 0x0
	s_barrier
	buffer_gl0_inv
	s_clause 0x8
	scratch_load_b128 v[2:5], off, off offset:368
	scratch_load_b128 v[6:9], off, off offset:384
	;; [unrolled: 1-line block ×9, first 2 shown]
	ds_load_b128 v[42:45], v1 offset:1216
	ds_load_b128 v[38:41], v1 offset:1232
	s_clause 0x1
	scratch_load_b128 v[164:167], off, off offset:352
	scratch_load_b128 v[168:171], off, off offset:512
	s_mov_b32 s2, exec_lo
	s_waitcnt vmcnt(10) lgkmcnt(1)
	v_mul_f64 v[172:173], v[44:45], v[4:5]
	v_mul_f64 v[4:5], v[42:43], v[4:5]
	s_waitcnt vmcnt(9) lgkmcnt(0)
	v_mul_f64 v[199:200], v[38:39], v[8:9]
	v_mul_f64 v[8:9], v[40:41], v[8:9]
	s_delay_alu instid0(VALU_DEP_4) | instskip(NEXT) | instid1(VALU_DEP_4)
	v_fma_f64 v[217:218], v[42:43], v[2:3], -v[172:173]
	v_fma_f64 v[219:220], v[44:45], v[2:3], v[4:5]
	ds_load_b128 v[2:5], v1 offset:1248
	ds_load_b128 v[172:175], v1 offset:1264
	scratch_load_b128 v[42:45], off, off offset:528
	v_fma_f64 v[40:41], v[40:41], v[6:7], v[199:200]
	v_fma_f64 v[38:39], v[38:39], v[6:7], -v[8:9]
	scratch_load_b128 v[6:9], off, off offset:544
	s_waitcnt vmcnt(10) lgkmcnt(1)
	v_mul_f64 v[221:222], v[2:3], v[12:13]
	v_mul_f64 v[12:13], v[4:5], v[12:13]
	v_add_f64 v[199:200], v[217:218], 0
	v_add_f64 v[217:218], v[219:220], 0
	s_waitcnt vmcnt(9) lgkmcnt(0)
	v_mul_f64 v[219:220], v[172:173], v[16:17]
	v_mul_f64 v[16:17], v[174:175], v[16:17]
	v_fma_f64 v[221:222], v[4:5], v[10:11], v[221:222]
	v_fma_f64 v[223:224], v[2:3], v[10:11], -v[12:13]
	ds_load_b128 v[2:5], v1 offset:1280
	scratch_load_b128 v[10:13], off, off offset:560
	v_add_f64 v[199:200], v[199:200], v[38:39]
	v_add_f64 v[217:218], v[217:218], v[40:41]
	ds_load_b128 v[38:41], v1 offset:1296
	v_fma_f64 v[174:175], v[174:175], v[14:15], v[219:220]
	v_fma_f64 v[172:173], v[172:173], v[14:15], -v[16:17]
	scratch_load_b128 v[14:17], off, off offset:576
	s_waitcnt vmcnt(10) lgkmcnt(1)
	v_mul_f64 v[225:226], v[2:3], v[20:21]
	v_mul_f64 v[20:21], v[4:5], v[20:21]
	s_waitcnt vmcnt(9) lgkmcnt(0)
	v_mul_f64 v[219:220], v[38:39], v[24:25]
	v_mul_f64 v[24:25], v[40:41], v[24:25]
	v_add_f64 v[199:200], v[199:200], v[223:224]
	v_add_f64 v[217:218], v[217:218], v[221:222]
	v_fma_f64 v[221:222], v[4:5], v[18:19], v[225:226]
	v_fma_f64 v[223:224], v[2:3], v[18:19], -v[20:21]
	ds_load_b128 v[2:5], v1 offset:1312
	scratch_load_b128 v[18:21], off, off offset:592
	v_fma_f64 v[40:41], v[40:41], v[22:23], v[219:220]
	v_fma_f64 v[38:39], v[38:39], v[22:23], -v[24:25]
	scratch_load_b128 v[22:25], off, off offset:608
	v_add_f64 v[199:200], v[199:200], v[172:173]
	v_add_f64 v[217:218], v[217:218], v[174:175]
	ds_load_b128 v[172:175], v1 offset:1328
	s_waitcnt vmcnt(10) lgkmcnt(1)
	v_mul_f64 v[225:226], v[2:3], v[28:29]
	v_mul_f64 v[28:29], v[4:5], v[28:29]
	s_waitcnt vmcnt(9) lgkmcnt(0)
	v_mul_f64 v[219:220], v[172:173], v[32:33]
	v_mul_f64 v[32:33], v[174:175], v[32:33]
	v_add_f64 v[199:200], v[199:200], v[223:224]
	v_add_f64 v[217:218], v[217:218], v[221:222]
	v_fma_f64 v[221:222], v[4:5], v[26:27], v[225:226]
	v_fma_f64 v[223:224], v[2:3], v[26:27], -v[28:29]
	ds_load_b128 v[2:5], v1 offset:1344
	scratch_load_b128 v[26:29], off, off offset:624
	v_fma_f64 v[174:175], v[174:175], v[30:31], v[219:220]
	v_fma_f64 v[172:173], v[172:173], v[30:31], -v[32:33]
	scratch_load_b128 v[30:33], off, off offset:640
	v_add_f64 v[199:200], v[199:200], v[38:39]
	v_add_f64 v[217:218], v[217:218], v[40:41]
	ds_load_b128 v[38:41], v1 offset:1360
	s_waitcnt vmcnt(10) lgkmcnt(1)
	v_mul_f64 v[225:226], v[2:3], v[36:37]
	v_mul_f64 v[36:37], v[4:5], v[36:37]
	s_waitcnt vmcnt(8) lgkmcnt(0)
	v_mul_f64 v[219:220], v[38:39], v[170:171]
	v_add_f64 v[199:200], v[199:200], v[223:224]
	v_add_f64 v[217:218], v[217:218], v[221:222]
	v_mul_f64 v[221:222], v[40:41], v[170:171]
	v_fma_f64 v[223:224], v[4:5], v[34:35], v[225:226]
	v_fma_f64 v[225:226], v[2:3], v[34:35], -v[36:37]
	ds_load_b128 v[2:5], v1 offset:1376
	scratch_load_b128 v[34:37], off, off offset:656
	v_fma_f64 v[219:220], v[40:41], v[168:169], v[219:220]
	v_add_f64 v[199:200], v[199:200], v[172:173]
	v_add_f64 v[174:175], v[217:218], v[174:175]
	ds_load_b128 v[170:173], v1 offset:1392
	v_fma_f64 v[168:169], v[38:39], v[168:169], -v[221:222]
	scratch_load_b128 v[38:41], off, off offset:672
	s_waitcnt vmcnt(9) lgkmcnt(1)
	v_mul_f64 v[217:218], v[2:3], v[44:45]
	v_mul_f64 v[44:45], v[4:5], v[44:45]
	s_waitcnt vmcnt(8) lgkmcnt(0)
	v_mul_f64 v[221:222], v[170:171], v[8:9]
	v_mul_f64 v[8:9], v[172:173], v[8:9]
	v_add_f64 v[199:200], v[199:200], v[225:226]
	v_add_f64 v[174:175], v[174:175], v[223:224]
	v_fma_f64 v[223:224], v[4:5], v[42:43], v[217:218]
	v_fma_f64 v[225:226], v[2:3], v[42:43], -v[44:45]
	ds_load_b128 v[2:5], v1 offset:1408
	scratch_load_b128 v[42:45], off, off offset:688
	v_fma_f64 v[172:173], v[172:173], v[6:7], v[221:222]
	v_fma_f64 v[170:171], v[170:171], v[6:7], -v[8:9]
	scratch_load_b128 v[6:9], off, off offset:704
	v_add_f64 v[168:169], v[199:200], v[168:169]
	v_add_f64 v[174:175], v[174:175], v[219:220]
	ds_load_b128 v[217:220], v1 offset:1424
	s_waitcnt vmcnt(9) lgkmcnt(1)
	v_mul_f64 v[199:200], v[2:3], v[12:13]
	v_mul_f64 v[12:13], v[4:5], v[12:13]
	s_waitcnt vmcnt(8) lgkmcnt(0)
	v_mul_f64 v[221:222], v[217:218], v[16:17]
	v_mul_f64 v[16:17], v[219:220], v[16:17]
	v_add_f64 v[168:169], v[168:169], v[225:226]
	v_add_f64 v[174:175], v[174:175], v[223:224]
	v_fma_f64 v[199:200], v[4:5], v[10:11], v[199:200]
	v_fma_f64 v[223:224], v[2:3], v[10:11], -v[12:13]
	ds_load_b128 v[2:5], v1 offset:1440
	scratch_load_b128 v[10:13], off, off offset:720
	v_fma_f64 v[219:220], v[219:220], v[14:15], v[221:222]
	v_fma_f64 v[217:218], v[217:218], v[14:15], -v[16:17]
	scratch_load_b128 v[14:17], off, off offset:736
	v_add_f64 v[225:226], v[168:169], v[170:171]
	v_add_f64 v[172:173], v[174:175], v[172:173]
	ds_load_b128 v[168:171], v1 offset:1456
	s_waitcnt vmcnt(9) lgkmcnt(1)
	v_mul_f64 v[174:175], v[2:3], v[20:21]
	v_mul_f64 v[20:21], v[4:5], v[20:21]
	v_add_f64 v[221:222], v[225:226], v[223:224]
	v_add_f64 v[172:173], v[172:173], v[199:200]
	s_waitcnt vmcnt(8) lgkmcnt(0)
	v_mul_f64 v[199:200], v[168:169], v[24:25]
	v_mul_f64 v[24:25], v[170:171], v[24:25]
	v_fma_f64 v[223:224], v[4:5], v[18:19], v[174:175]
	v_fma_f64 v[225:226], v[2:3], v[18:19], -v[20:21]
	ds_load_b128 v[2:5], v1 offset:1472
	scratch_load_b128 v[18:21], off, off offset:752
	v_add_f64 v[217:218], v[221:222], v[217:218]
	v_add_f64 v[219:220], v[172:173], v[219:220]
	ds_load_b128 v[172:175], v1 offset:1488
	s_waitcnt vmcnt(8) lgkmcnt(1)
	v_mul_f64 v[221:222], v[2:3], v[28:29]
	v_mul_f64 v[28:29], v[4:5], v[28:29]
	v_fma_f64 v[170:171], v[170:171], v[22:23], v[199:200]
	v_fma_f64 v[168:169], v[168:169], v[22:23], -v[24:25]
	scratch_load_b128 v[22:25], off, off offset:768
	v_add_f64 v[199:200], v[217:218], v[225:226]
	v_add_f64 v[217:218], v[219:220], v[223:224]
	s_waitcnt vmcnt(8) lgkmcnt(0)
	v_mul_f64 v[219:220], v[172:173], v[32:33]
	v_mul_f64 v[32:33], v[174:175], v[32:33]
	v_fma_f64 v[221:222], v[4:5], v[26:27], v[221:222]
	v_fma_f64 v[223:224], v[2:3], v[26:27], -v[28:29]
	ds_load_b128 v[2:5], v1 offset:1504
	scratch_load_b128 v[26:29], off, off offset:784
	v_add_f64 v[199:200], v[199:200], v[168:169]
	v_add_f64 v[217:218], v[217:218], v[170:171]
	ds_load_b128 v[168:171], v1 offset:1520
	s_waitcnt vmcnt(8) lgkmcnt(1)
	v_mul_f64 v[225:226], v[2:3], v[36:37]
	v_mul_f64 v[36:37], v[4:5], v[36:37]
	v_fma_f64 v[174:175], v[174:175], v[30:31], v[219:220]
	v_fma_f64 v[172:173], v[172:173], v[30:31], -v[32:33]
	scratch_load_b128 v[30:33], off, off offset:800
	s_waitcnt vmcnt(8) lgkmcnt(0)
	v_mul_f64 v[219:220], v[168:169], v[40:41]
	v_mul_f64 v[40:41], v[170:171], v[40:41]
	v_add_f64 v[199:200], v[199:200], v[223:224]
	v_add_f64 v[217:218], v[217:218], v[221:222]
	v_fma_f64 v[221:222], v[4:5], v[34:35], v[225:226]
	v_fma_f64 v[223:224], v[2:3], v[34:35], -v[36:37]
	ds_load_b128 v[2:5], v1 offset:1536
	scratch_load_b128 v[34:37], off, off offset:816
	v_fma_f64 v[170:171], v[170:171], v[38:39], v[219:220]
	v_fma_f64 v[168:169], v[168:169], v[38:39], -v[40:41]
	scratch_load_b128 v[38:41], off, off offset:832
	v_add_f64 v[199:200], v[199:200], v[172:173]
	v_add_f64 v[217:218], v[217:218], v[174:175]
	ds_load_b128 v[172:175], v1 offset:1552
	s_waitcnt vmcnt(9) lgkmcnt(1)
	v_mul_f64 v[225:226], v[2:3], v[44:45]
	v_mul_f64 v[44:45], v[4:5], v[44:45]
	s_waitcnt vmcnt(8) lgkmcnt(0)
	v_mul_f64 v[219:220], v[172:173], v[8:9]
	v_mul_f64 v[8:9], v[174:175], v[8:9]
	v_add_f64 v[199:200], v[199:200], v[223:224]
	v_add_f64 v[217:218], v[217:218], v[221:222]
	v_fma_f64 v[221:222], v[4:5], v[42:43], v[225:226]
	v_fma_f64 v[223:224], v[2:3], v[42:43], -v[44:45]
	ds_load_b128 v[2:5], v1 offset:1568
	ds_load_b128 v[42:45], v1 offset:1584
	v_fma_f64 v[174:175], v[174:175], v[6:7], v[219:220]
	v_fma_f64 v[6:7], v[172:173], v[6:7], -v[8:9]
	v_add_f64 v[168:169], v[199:200], v[168:169]
	v_add_f64 v[170:171], v[217:218], v[170:171]
	s_waitcnt vmcnt(7) lgkmcnt(1)
	v_mul_f64 v[199:200], v[2:3], v[12:13]
	v_mul_f64 v[12:13], v[4:5], v[12:13]
	s_delay_alu instid0(VALU_DEP_4) | instskip(NEXT) | instid1(VALU_DEP_4)
	v_add_f64 v[8:9], v[168:169], v[223:224]
	v_add_f64 v[168:169], v[170:171], v[221:222]
	s_waitcnt vmcnt(6) lgkmcnt(0)
	v_mul_f64 v[170:171], v[42:43], v[16:17]
	v_mul_f64 v[16:17], v[44:45], v[16:17]
	v_fma_f64 v[172:173], v[4:5], v[10:11], v[199:200]
	v_fma_f64 v[10:11], v[2:3], v[10:11], -v[12:13]
	v_add_f64 v[12:13], v[8:9], v[6:7]
	v_add_f64 v[168:169], v[168:169], v[174:175]
	ds_load_b128 v[2:5], v1 offset:1600
	ds_load_b128 v[6:9], v1 offset:1616
	v_fma_f64 v[44:45], v[44:45], v[14:15], v[170:171]
	v_fma_f64 v[14:15], v[42:43], v[14:15], -v[16:17]
	s_waitcnt vmcnt(5) lgkmcnt(1)
	v_mul_f64 v[174:175], v[2:3], v[20:21]
	v_mul_f64 v[20:21], v[4:5], v[20:21]
	s_waitcnt vmcnt(4) lgkmcnt(0)
	v_mul_f64 v[16:17], v[6:7], v[24:25]
	v_mul_f64 v[24:25], v[8:9], v[24:25]
	v_add_f64 v[10:11], v[12:13], v[10:11]
	v_add_f64 v[12:13], v[168:169], v[172:173]
	v_fma_f64 v[42:43], v[4:5], v[18:19], v[174:175]
	v_fma_f64 v[18:19], v[2:3], v[18:19], -v[20:21]
	v_fma_f64 v[8:9], v[8:9], v[22:23], v[16:17]
	v_fma_f64 v[6:7], v[6:7], v[22:23], -v[24:25]
	v_add_f64 v[14:15], v[10:11], v[14:15]
	v_add_f64 v[20:21], v[12:13], v[44:45]
	ds_load_b128 v[2:5], v1 offset:1632
	ds_load_b128 v[10:13], v1 offset:1648
	s_waitcnt vmcnt(3) lgkmcnt(1)
	v_mul_f64 v[44:45], v[2:3], v[28:29]
	v_mul_f64 v[28:29], v[4:5], v[28:29]
	v_add_f64 v[14:15], v[14:15], v[18:19]
	v_add_f64 v[16:17], v[20:21], v[42:43]
	s_waitcnt vmcnt(2) lgkmcnt(0)
	v_mul_f64 v[18:19], v[10:11], v[32:33]
	v_mul_f64 v[20:21], v[12:13], v[32:33]
	v_fma_f64 v[22:23], v[4:5], v[26:27], v[44:45]
	v_fma_f64 v[24:25], v[2:3], v[26:27], -v[28:29]
	v_add_f64 v[14:15], v[14:15], v[6:7]
	v_add_f64 v[16:17], v[16:17], v[8:9]
	ds_load_b128 v[2:5], v1 offset:1664
	ds_load_b128 v[6:9], v1 offset:1680
	v_fma_f64 v[12:13], v[12:13], v[30:31], v[18:19]
	v_fma_f64 v[10:11], v[10:11], v[30:31], -v[20:21]
	s_waitcnt vmcnt(1) lgkmcnt(1)
	v_mul_f64 v[26:27], v[2:3], v[36:37]
	v_mul_f64 v[28:29], v[4:5], v[36:37]
	s_waitcnt vmcnt(0) lgkmcnt(0)
	v_mul_f64 v[18:19], v[6:7], v[40:41]
	v_mul_f64 v[20:21], v[8:9], v[40:41]
	v_add_f64 v[14:15], v[14:15], v[24:25]
	v_add_f64 v[16:17], v[16:17], v[22:23]
	v_fma_f64 v[4:5], v[4:5], v[34:35], v[26:27]
	v_fma_f64 v[1:2], v[2:3], v[34:35], -v[28:29]
	v_fma_f64 v[8:9], v[8:9], v[38:39], v[18:19]
	v_fma_f64 v[6:7], v[6:7], v[38:39], -v[20:21]
	v_add_f64 v[10:11], v[14:15], v[10:11]
	v_add_f64 v[12:13], v[16:17], v[12:13]
	s_delay_alu instid0(VALU_DEP_2) | instskip(NEXT) | instid1(VALU_DEP_2)
	v_add_f64 v[1:2], v[10:11], v[1:2]
	v_add_f64 v[3:4], v[12:13], v[4:5]
	s_delay_alu instid0(VALU_DEP_2) | instskip(NEXT) | instid1(VALU_DEP_2)
	;; [unrolled: 3-line block ×3, first 2 shown]
	v_add_f64 v[1:2], v[164:165], -v[1:2]
	v_add_f64 v[3:4], v[166:167], -v[3:4]
	scratch_store_b128 off, v[1:4], off offset:352
	v_cmpx_lt_u32_e32 21, v152
	s_cbranch_execz .LBB116_289
; %bb.288:
	scratch_load_b128 v[1:4], v184, off
	v_mov_b32_e32 v5, 0
	s_delay_alu instid0(VALU_DEP_1)
	v_mov_b32_e32 v6, v5
	v_mov_b32_e32 v7, v5
	;; [unrolled: 1-line block ×3, first 2 shown]
	scratch_store_b128 off, v[5:8], off offset:336
	s_waitcnt vmcnt(0)
	ds_store_b128 v205, v[1:4]
.LBB116_289:
	s_or_b32 exec_lo, exec_lo, s2
	s_waitcnt lgkmcnt(0)
	s_waitcnt_vscnt null, 0x0
	s_barrier
	buffer_gl0_inv
	s_clause 0x7
	scratch_load_b128 v[2:5], off, off offset:352
	scratch_load_b128 v[6:9], off, off offset:368
	;; [unrolled: 1-line block ×8, first 2 shown]
	v_mov_b32_e32 v1, 0
	s_mov_b32 s2, exec_lo
	ds_load_b128 v[38:41], v1 offset:1200
	s_clause 0x1
	scratch_load_b128 v[34:37], off, off offset:480
	scratch_load_b128 v[42:45], off, off offset:336
	ds_load_b128 v[164:167], v1 offset:1216
	scratch_load_b128 v[168:171], off, off offset:496
	s_waitcnt vmcnt(10) lgkmcnt(1)
	v_mul_f64 v[172:173], v[40:41], v[4:5]
	v_mul_f64 v[4:5], v[38:39], v[4:5]
	s_delay_alu instid0(VALU_DEP_2) | instskip(NEXT) | instid1(VALU_DEP_2)
	v_fma_f64 v[217:218], v[38:39], v[2:3], -v[172:173]
	v_fma_f64 v[219:220], v[40:41], v[2:3], v[4:5]
	scratch_load_b128 v[38:41], off, off offset:512
	ds_load_b128 v[2:5], v1 offset:1232
	s_waitcnt vmcnt(10) lgkmcnt(1)
	v_mul_f64 v[199:200], v[164:165], v[8:9]
	v_mul_f64 v[8:9], v[166:167], v[8:9]
	ds_load_b128 v[172:175], v1 offset:1248
	s_waitcnt vmcnt(9) lgkmcnt(1)
	v_mul_f64 v[221:222], v[2:3], v[12:13]
	v_mul_f64 v[12:13], v[4:5], v[12:13]
	v_fma_f64 v[166:167], v[166:167], v[6:7], v[199:200]
	v_fma_f64 v[164:165], v[164:165], v[6:7], -v[8:9]
	v_add_f64 v[199:200], v[217:218], 0
	v_add_f64 v[217:218], v[219:220], 0
	scratch_load_b128 v[6:9], off, off offset:528
	v_fma_f64 v[221:222], v[4:5], v[10:11], v[221:222]
	v_fma_f64 v[223:224], v[2:3], v[10:11], -v[12:13]
	scratch_load_b128 v[10:13], off, off offset:544
	ds_load_b128 v[2:5], v1 offset:1264
	s_waitcnt vmcnt(10) lgkmcnt(1)
	v_mul_f64 v[219:220], v[172:173], v[16:17]
	v_mul_f64 v[16:17], v[174:175], v[16:17]
	v_add_f64 v[199:200], v[199:200], v[164:165]
	v_add_f64 v[217:218], v[217:218], v[166:167]
	s_waitcnt vmcnt(9) lgkmcnt(0)
	v_mul_f64 v[225:226], v[2:3], v[20:21]
	v_mul_f64 v[20:21], v[4:5], v[20:21]
	ds_load_b128 v[164:167], v1 offset:1280
	v_fma_f64 v[174:175], v[174:175], v[14:15], v[219:220]
	v_fma_f64 v[172:173], v[172:173], v[14:15], -v[16:17]
	scratch_load_b128 v[14:17], off, off offset:560
	v_add_f64 v[199:200], v[199:200], v[223:224]
	v_add_f64 v[217:218], v[217:218], v[221:222]
	v_fma_f64 v[221:222], v[4:5], v[18:19], v[225:226]
	v_fma_f64 v[223:224], v[2:3], v[18:19], -v[20:21]
	scratch_load_b128 v[18:21], off, off offset:576
	ds_load_b128 v[2:5], v1 offset:1296
	s_waitcnt vmcnt(10) lgkmcnt(1)
	v_mul_f64 v[219:220], v[164:165], v[24:25]
	v_mul_f64 v[24:25], v[166:167], v[24:25]
	s_waitcnt vmcnt(9) lgkmcnt(0)
	v_mul_f64 v[225:226], v[2:3], v[28:29]
	v_mul_f64 v[28:29], v[4:5], v[28:29]
	v_add_f64 v[199:200], v[199:200], v[172:173]
	v_add_f64 v[217:218], v[217:218], v[174:175]
	ds_load_b128 v[172:175], v1 offset:1312
	v_fma_f64 v[166:167], v[166:167], v[22:23], v[219:220]
	v_fma_f64 v[164:165], v[164:165], v[22:23], -v[24:25]
	scratch_load_b128 v[22:25], off, off offset:592
	v_add_f64 v[199:200], v[199:200], v[223:224]
	v_add_f64 v[217:218], v[217:218], v[221:222]
	v_fma_f64 v[221:222], v[4:5], v[26:27], v[225:226]
	v_fma_f64 v[223:224], v[2:3], v[26:27], -v[28:29]
	scratch_load_b128 v[26:29], off, off offset:608
	ds_load_b128 v[2:5], v1 offset:1328
	s_waitcnt vmcnt(10) lgkmcnt(1)
	v_mul_f64 v[219:220], v[172:173], v[32:33]
	v_mul_f64 v[32:33], v[174:175], v[32:33]
	s_waitcnt vmcnt(9) lgkmcnt(0)
	v_mul_f64 v[225:226], v[2:3], v[36:37]
	v_mul_f64 v[36:37], v[4:5], v[36:37]
	v_add_f64 v[199:200], v[199:200], v[164:165]
	v_add_f64 v[217:218], v[217:218], v[166:167]
	ds_load_b128 v[164:167], v1 offset:1344
	v_fma_f64 v[174:175], v[174:175], v[30:31], v[219:220]
	v_fma_f64 v[172:173], v[172:173], v[30:31], -v[32:33]
	scratch_load_b128 v[30:33], off, off offset:624
	v_add_f64 v[199:200], v[199:200], v[223:224]
	v_add_f64 v[217:218], v[217:218], v[221:222]
	v_fma_f64 v[223:224], v[4:5], v[34:35], v[225:226]
	v_fma_f64 v[225:226], v[2:3], v[34:35], -v[36:37]
	scratch_load_b128 v[34:37], off, off offset:640
	ds_load_b128 v[2:5], v1 offset:1360
	s_waitcnt vmcnt(9) lgkmcnt(1)
	v_mul_f64 v[219:220], v[164:165], v[170:171]
	v_mul_f64 v[221:222], v[166:167], v[170:171]
	v_add_f64 v[199:200], v[199:200], v[172:173]
	v_add_f64 v[174:175], v[217:218], v[174:175]
	ds_load_b128 v[170:173], v1 offset:1376
	v_fma_f64 v[219:220], v[166:167], v[168:169], v[219:220]
	v_fma_f64 v[168:169], v[164:165], v[168:169], -v[221:222]
	scratch_load_b128 v[164:167], off, off offset:656
	s_waitcnt vmcnt(9) lgkmcnt(1)
	v_mul_f64 v[217:218], v[2:3], v[40:41]
	v_mul_f64 v[40:41], v[4:5], v[40:41]
	v_add_f64 v[199:200], v[199:200], v[225:226]
	v_add_f64 v[174:175], v[174:175], v[223:224]
	s_delay_alu instid0(VALU_DEP_4) | instskip(NEXT) | instid1(VALU_DEP_4)
	v_fma_f64 v[223:224], v[4:5], v[38:39], v[217:218]
	v_fma_f64 v[225:226], v[2:3], v[38:39], -v[40:41]
	scratch_load_b128 v[38:41], off, off offset:672
	ds_load_b128 v[2:5], v1 offset:1392
	s_waitcnt vmcnt(9) lgkmcnt(1)
	v_mul_f64 v[221:222], v[170:171], v[8:9]
	v_mul_f64 v[8:9], v[172:173], v[8:9]
	v_add_f64 v[168:169], v[199:200], v[168:169]
	v_add_f64 v[174:175], v[174:175], v[219:220]
	s_waitcnt vmcnt(8) lgkmcnt(0)
	v_mul_f64 v[199:200], v[2:3], v[12:13]
	v_mul_f64 v[12:13], v[4:5], v[12:13]
	ds_load_b128 v[217:220], v1 offset:1408
	v_fma_f64 v[172:173], v[172:173], v[6:7], v[221:222]
	v_fma_f64 v[170:171], v[170:171], v[6:7], -v[8:9]
	scratch_load_b128 v[6:9], off, off offset:688
	v_add_f64 v[168:169], v[168:169], v[225:226]
	v_add_f64 v[174:175], v[174:175], v[223:224]
	v_fma_f64 v[199:200], v[4:5], v[10:11], v[199:200]
	v_fma_f64 v[223:224], v[2:3], v[10:11], -v[12:13]
	scratch_load_b128 v[10:13], off, off offset:704
	ds_load_b128 v[2:5], v1 offset:1424
	s_waitcnt vmcnt(9) lgkmcnt(1)
	v_mul_f64 v[221:222], v[217:218], v[16:17]
	v_mul_f64 v[16:17], v[219:220], v[16:17]
	v_add_f64 v[225:226], v[168:169], v[170:171]
	v_add_f64 v[172:173], v[174:175], v[172:173]
	s_waitcnt vmcnt(8) lgkmcnt(0)
	v_mul_f64 v[174:175], v[2:3], v[20:21]
	v_mul_f64 v[20:21], v[4:5], v[20:21]
	ds_load_b128 v[168:171], v1 offset:1440
	v_fma_f64 v[219:220], v[219:220], v[14:15], v[221:222]
	v_fma_f64 v[217:218], v[217:218], v[14:15], -v[16:17]
	scratch_load_b128 v[14:17], off, off offset:720
	v_add_f64 v[221:222], v[225:226], v[223:224]
	v_add_f64 v[172:173], v[172:173], v[199:200]
	;; [unrolled: 18-line block ×3, first 2 shown]
	v_fma_f64 v[221:222], v[4:5], v[26:27], v[221:222]
	v_fma_f64 v[223:224], v[2:3], v[26:27], -v[28:29]
	scratch_load_b128 v[26:29], off, off offset:768
	ds_load_b128 v[2:5], v1 offset:1488
	s_waitcnt vmcnt(9) lgkmcnt(1)
	v_mul_f64 v[219:220], v[172:173], v[32:33]
	v_mul_f64 v[32:33], v[174:175], v[32:33]
	s_waitcnt vmcnt(8) lgkmcnt(0)
	v_mul_f64 v[225:226], v[2:3], v[36:37]
	v_mul_f64 v[36:37], v[4:5], v[36:37]
	v_add_f64 v[199:200], v[199:200], v[168:169]
	v_add_f64 v[217:218], v[217:218], v[170:171]
	ds_load_b128 v[168:171], v1 offset:1504
	v_fma_f64 v[174:175], v[174:175], v[30:31], v[219:220]
	v_fma_f64 v[172:173], v[172:173], v[30:31], -v[32:33]
	scratch_load_b128 v[30:33], off, off offset:784
	v_add_f64 v[199:200], v[199:200], v[223:224]
	v_add_f64 v[217:218], v[217:218], v[221:222]
	v_fma_f64 v[221:222], v[4:5], v[34:35], v[225:226]
	v_fma_f64 v[223:224], v[2:3], v[34:35], -v[36:37]
	scratch_load_b128 v[34:37], off, off offset:800
	ds_load_b128 v[2:5], v1 offset:1520
	s_waitcnt vmcnt(9) lgkmcnt(1)
	v_mul_f64 v[219:220], v[168:169], v[166:167]
	v_mul_f64 v[166:167], v[170:171], v[166:167]
	s_waitcnt vmcnt(8) lgkmcnt(0)
	v_mul_f64 v[225:226], v[2:3], v[40:41]
	v_mul_f64 v[40:41], v[4:5], v[40:41]
	v_add_f64 v[199:200], v[199:200], v[172:173]
	v_add_f64 v[217:218], v[217:218], v[174:175]
	ds_load_b128 v[172:175], v1 offset:1536
	v_fma_f64 v[170:171], v[170:171], v[164:165], v[219:220]
	v_fma_f64 v[168:169], v[168:169], v[164:165], -v[166:167]
	scratch_load_b128 v[164:167], off, off offset:816
	v_add_f64 v[199:200], v[199:200], v[223:224]
	v_add_f64 v[217:218], v[217:218], v[221:222]
	v_fma_f64 v[221:222], v[4:5], v[38:39], v[225:226]
	v_fma_f64 v[223:224], v[2:3], v[38:39], -v[40:41]
	scratch_load_b128 v[38:41], off, off offset:832
	ds_load_b128 v[2:5], v1 offset:1552
	s_waitcnt vmcnt(9) lgkmcnt(1)
	v_mul_f64 v[219:220], v[172:173], v[8:9]
	v_mul_f64 v[8:9], v[174:175], v[8:9]
	s_waitcnt vmcnt(8) lgkmcnt(0)
	v_mul_f64 v[225:226], v[2:3], v[12:13]
	v_mul_f64 v[12:13], v[4:5], v[12:13]
	v_add_f64 v[199:200], v[199:200], v[168:169]
	v_add_f64 v[217:218], v[217:218], v[170:171]
	ds_load_b128 v[168:171], v1 offset:1568
	v_fma_f64 v[174:175], v[174:175], v[6:7], v[219:220]
	v_fma_f64 v[6:7], v[172:173], v[6:7], -v[8:9]
	v_add_f64 v[8:9], v[199:200], v[223:224]
	v_add_f64 v[172:173], v[217:218], v[221:222]
	s_waitcnt vmcnt(7) lgkmcnt(0)
	v_mul_f64 v[199:200], v[168:169], v[16:17]
	v_mul_f64 v[16:17], v[170:171], v[16:17]
	v_fma_f64 v[217:218], v[4:5], v[10:11], v[225:226]
	v_fma_f64 v[10:11], v[2:3], v[10:11], -v[12:13]
	v_add_f64 v[12:13], v[8:9], v[6:7]
	v_add_f64 v[172:173], v[172:173], v[174:175]
	ds_load_b128 v[2:5], v1 offset:1584
	ds_load_b128 v[6:9], v1 offset:1600
	v_fma_f64 v[170:171], v[170:171], v[14:15], v[199:200]
	v_fma_f64 v[14:15], v[168:169], v[14:15], -v[16:17]
	s_waitcnt vmcnt(6) lgkmcnt(1)
	v_mul_f64 v[174:175], v[2:3], v[20:21]
	v_mul_f64 v[20:21], v[4:5], v[20:21]
	s_waitcnt vmcnt(5) lgkmcnt(0)
	v_mul_f64 v[16:17], v[6:7], v[24:25]
	v_mul_f64 v[24:25], v[8:9], v[24:25]
	v_add_f64 v[10:11], v[12:13], v[10:11]
	v_add_f64 v[12:13], v[172:173], v[217:218]
	v_fma_f64 v[168:169], v[4:5], v[18:19], v[174:175]
	v_fma_f64 v[18:19], v[2:3], v[18:19], -v[20:21]
	v_fma_f64 v[8:9], v[8:9], v[22:23], v[16:17]
	v_fma_f64 v[6:7], v[6:7], v[22:23], -v[24:25]
	v_add_f64 v[14:15], v[10:11], v[14:15]
	v_add_f64 v[20:21], v[12:13], v[170:171]
	ds_load_b128 v[2:5], v1 offset:1616
	ds_load_b128 v[10:13], v1 offset:1632
	s_waitcnt vmcnt(4) lgkmcnt(1)
	v_mul_f64 v[170:171], v[2:3], v[28:29]
	v_mul_f64 v[28:29], v[4:5], v[28:29]
	v_add_f64 v[14:15], v[14:15], v[18:19]
	v_add_f64 v[16:17], v[20:21], v[168:169]
	s_waitcnt vmcnt(3) lgkmcnt(0)
	v_mul_f64 v[18:19], v[10:11], v[32:33]
	v_mul_f64 v[20:21], v[12:13], v[32:33]
	v_fma_f64 v[22:23], v[4:5], v[26:27], v[170:171]
	v_fma_f64 v[24:25], v[2:3], v[26:27], -v[28:29]
	v_add_f64 v[14:15], v[14:15], v[6:7]
	v_add_f64 v[16:17], v[16:17], v[8:9]
	ds_load_b128 v[2:5], v1 offset:1648
	ds_load_b128 v[6:9], v1 offset:1664
	v_fma_f64 v[12:13], v[12:13], v[30:31], v[18:19]
	v_fma_f64 v[10:11], v[10:11], v[30:31], -v[20:21]
	s_waitcnt vmcnt(2) lgkmcnt(1)
	v_mul_f64 v[26:27], v[2:3], v[36:37]
	v_mul_f64 v[28:29], v[4:5], v[36:37]
	s_waitcnt vmcnt(1) lgkmcnt(0)
	v_mul_f64 v[18:19], v[6:7], v[166:167]
	v_mul_f64 v[20:21], v[8:9], v[166:167]
	v_add_f64 v[14:15], v[14:15], v[24:25]
	v_add_f64 v[16:17], v[16:17], v[22:23]
	v_fma_f64 v[22:23], v[4:5], v[34:35], v[26:27]
	v_fma_f64 v[24:25], v[2:3], v[34:35], -v[28:29]
	ds_load_b128 v[2:5], v1 offset:1680
	v_fma_f64 v[8:9], v[8:9], v[164:165], v[18:19]
	v_fma_f64 v[6:7], v[6:7], v[164:165], -v[20:21]
	v_add_f64 v[10:11], v[14:15], v[10:11]
	v_add_f64 v[12:13], v[16:17], v[12:13]
	s_waitcnt vmcnt(0) lgkmcnt(0)
	v_mul_f64 v[14:15], v[2:3], v[40:41]
	v_mul_f64 v[16:17], v[4:5], v[40:41]
	s_delay_alu instid0(VALU_DEP_4) | instskip(NEXT) | instid1(VALU_DEP_4)
	v_add_f64 v[10:11], v[10:11], v[24:25]
	v_add_f64 v[12:13], v[12:13], v[22:23]
	s_delay_alu instid0(VALU_DEP_4) | instskip(NEXT) | instid1(VALU_DEP_4)
	v_fma_f64 v[4:5], v[4:5], v[38:39], v[14:15]
	v_fma_f64 v[2:3], v[2:3], v[38:39], -v[16:17]
	s_delay_alu instid0(VALU_DEP_4) | instskip(NEXT) | instid1(VALU_DEP_4)
	v_add_f64 v[6:7], v[10:11], v[6:7]
	v_add_f64 v[8:9], v[12:13], v[8:9]
	s_delay_alu instid0(VALU_DEP_2) | instskip(NEXT) | instid1(VALU_DEP_2)
	v_add_f64 v[2:3], v[6:7], v[2:3]
	v_add_f64 v[4:5], v[8:9], v[4:5]
	s_delay_alu instid0(VALU_DEP_2) | instskip(NEXT) | instid1(VALU_DEP_2)
	v_add_f64 v[2:3], v[42:43], -v[2:3]
	v_add_f64 v[4:5], v[44:45], -v[4:5]
	scratch_store_b128 off, v[2:5], off offset:336
	v_cmpx_lt_u32_e32 20, v152
	s_cbranch_execz .LBB116_291
; %bb.290:
	scratch_load_b128 v[5:8], v185, off
	v_mov_b32_e32 v2, v1
	v_mov_b32_e32 v3, v1
	;; [unrolled: 1-line block ×3, first 2 shown]
	scratch_store_b128 off, v[1:4], off offset:320
	s_waitcnt vmcnt(0)
	ds_store_b128 v205, v[5:8]
.LBB116_291:
	s_or_b32 exec_lo, exec_lo, s2
	s_waitcnt lgkmcnt(0)
	s_waitcnt_vscnt null, 0x0
	s_barrier
	buffer_gl0_inv
	s_clause 0x8
	scratch_load_b128 v[2:5], off, off offset:336
	scratch_load_b128 v[6:9], off, off offset:352
	;; [unrolled: 1-line block ×9, first 2 shown]
	ds_load_b128 v[42:45], v1 offset:1184
	ds_load_b128 v[38:41], v1 offset:1200
	s_clause 0x1
	scratch_load_b128 v[164:167], off, off offset:320
	scratch_load_b128 v[168:171], off, off offset:480
	s_mov_b32 s2, exec_lo
	s_waitcnt vmcnt(10) lgkmcnt(1)
	v_mul_f64 v[172:173], v[44:45], v[4:5]
	v_mul_f64 v[4:5], v[42:43], v[4:5]
	s_waitcnt vmcnt(9) lgkmcnt(0)
	v_mul_f64 v[199:200], v[38:39], v[8:9]
	v_mul_f64 v[8:9], v[40:41], v[8:9]
	s_delay_alu instid0(VALU_DEP_4) | instskip(NEXT) | instid1(VALU_DEP_4)
	v_fma_f64 v[217:218], v[42:43], v[2:3], -v[172:173]
	v_fma_f64 v[219:220], v[44:45], v[2:3], v[4:5]
	ds_load_b128 v[2:5], v1 offset:1216
	ds_load_b128 v[172:175], v1 offset:1232
	scratch_load_b128 v[42:45], off, off offset:496
	v_fma_f64 v[40:41], v[40:41], v[6:7], v[199:200]
	v_fma_f64 v[38:39], v[38:39], v[6:7], -v[8:9]
	scratch_load_b128 v[6:9], off, off offset:512
	s_waitcnt vmcnt(10) lgkmcnt(1)
	v_mul_f64 v[221:222], v[2:3], v[12:13]
	v_mul_f64 v[12:13], v[4:5], v[12:13]
	v_add_f64 v[199:200], v[217:218], 0
	v_add_f64 v[217:218], v[219:220], 0
	s_waitcnt vmcnt(9) lgkmcnt(0)
	v_mul_f64 v[219:220], v[172:173], v[16:17]
	v_mul_f64 v[16:17], v[174:175], v[16:17]
	v_fma_f64 v[221:222], v[4:5], v[10:11], v[221:222]
	v_fma_f64 v[223:224], v[2:3], v[10:11], -v[12:13]
	ds_load_b128 v[2:5], v1 offset:1248
	scratch_load_b128 v[10:13], off, off offset:528
	v_add_f64 v[199:200], v[199:200], v[38:39]
	v_add_f64 v[217:218], v[217:218], v[40:41]
	ds_load_b128 v[38:41], v1 offset:1264
	v_fma_f64 v[174:175], v[174:175], v[14:15], v[219:220]
	v_fma_f64 v[172:173], v[172:173], v[14:15], -v[16:17]
	scratch_load_b128 v[14:17], off, off offset:544
	s_waitcnt vmcnt(10) lgkmcnt(1)
	v_mul_f64 v[225:226], v[2:3], v[20:21]
	v_mul_f64 v[20:21], v[4:5], v[20:21]
	s_waitcnt vmcnt(9) lgkmcnt(0)
	v_mul_f64 v[219:220], v[38:39], v[24:25]
	v_mul_f64 v[24:25], v[40:41], v[24:25]
	v_add_f64 v[199:200], v[199:200], v[223:224]
	v_add_f64 v[217:218], v[217:218], v[221:222]
	v_fma_f64 v[221:222], v[4:5], v[18:19], v[225:226]
	v_fma_f64 v[223:224], v[2:3], v[18:19], -v[20:21]
	ds_load_b128 v[2:5], v1 offset:1280
	scratch_load_b128 v[18:21], off, off offset:560
	v_fma_f64 v[40:41], v[40:41], v[22:23], v[219:220]
	v_fma_f64 v[38:39], v[38:39], v[22:23], -v[24:25]
	scratch_load_b128 v[22:25], off, off offset:576
	v_add_f64 v[199:200], v[199:200], v[172:173]
	v_add_f64 v[217:218], v[217:218], v[174:175]
	ds_load_b128 v[172:175], v1 offset:1296
	s_waitcnt vmcnt(10) lgkmcnt(1)
	v_mul_f64 v[225:226], v[2:3], v[28:29]
	v_mul_f64 v[28:29], v[4:5], v[28:29]
	s_waitcnt vmcnt(9) lgkmcnt(0)
	v_mul_f64 v[219:220], v[172:173], v[32:33]
	v_mul_f64 v[32:33], v[174:175], v[32:33]
	v_add_f64 v[199:200], v[199:200], v[223:224]
	v_add_f64 v[217:218], v[217:218], v[221:222]
	v_fma_f64 v[221:222], v[4:5], v[26:27], v[225:226]
	v_fma_f64 v[223:224], v[2:3], v[26:27], -v[28:29]
	ds_load_b128 v[2:5], v1 offset:1312
	scratch_load_b128 v[26:29], off, off offset:592
	v_fma_f64 v[174:175], v[174:175], v[30:31], v[219:220]
	v_fma_f64 v[172:173], v[172:173], v[30:31], -v[32:33]
	scratch_load_b128 v[30:33], off, off offset:608
	v_add_f64 v[199:200], v[199:200], v[38:39]
	v_add_f64 v[217:218], v[217:218], v[40:41]
	ds_load_b128 v[38:41], v1 offset:1328
	s_waitcnt vmcnt(10) lgkmcnt(1)
	v_mul_f64 v[225:226], v[2:3], v[36:37]
	v_mul_f64 v[36:37], v[4:5], v[36:37]
	s_waitcnt vmcnt(8) lgkmcnt(0)
	v_mul_f64 v[219:220], v[38:39], v[170:171]
	v_add_f64 v[199:200], v[199:200], v[223:224]
	v_add_f64 v[217:218], v[217:218], v[221:222]
	v_mul_f64 v[221:222], v[40:41], v[170:171]
	v_fma_f64 v[223:224], v[4:5], v[34:35], v[225:226]
	v_fma_f64 v[225:226], v[2:3], v[34:35], -v[36:37]
	ds_load_b128 v[2:5], v1 offset:1344
	scratch_load_b128 v[34:37], off, off offset:624
	v_fma_f64 v[219:220], v[40:41], v[168:169], v[219:220]
	v_add_f64 v[199:200], v[199:200], v[172:173]
	v_add_f64 v[174:175], v[217:218], v[174:175]
	ds_load_b128 v[170:173], v1 offset:1360
	v_fma_f64 v[168:169], v[38:39], v[168:169], -v[221:222]
	scratch_load_b128 v[38:41], off, off offset:640
	s_waitcnt vmcnt(9) lgkmcnt(1)
	v_mul_f64 v[217:218], v[2:3], v[44:45]
	v_mul_f64 v[44:45], v[4:5], v[44:45]
	s_waitcnt vmcnt(8) lgkmcnt(0)
	v_mul_f64 v[221:222], v[170:171], v[8:9]
	v_mul_f64 v[8:9], v[172:173], v[8:9]
	v_add_f64 v[199:200], v[199:200], v[225:226]
	v_add_f64 v[174:175], v[174:175], v[223:224]
	v_fma_f64 v[223:224], v[4:5], v[42:43], v[217:218]
	v_fma_f64 v[225:226], v[2:3], v[42:43], -v[44:45]
	ds_load_b128 v[2:5], v1 offset:1376
	scratch_load_b128 v[42:45], off, off offset:656
	v_fma_f64 v[172:173], v[172:173], v[6:7], v[221:222]
	v_fma_f64 v[170:171], v[170:171], v[6:7], -v[8:9]
	scratch_load_b128 v[6:9], off, off offset:672
	v_add_f64 v[168:169], v[199:200], v[168:169]
	v_add_f64 v[174:175], v[174:175], v[219:220]
	ds_load_b128 v[217:220], v1 offset:1392
	s_waitcnt vmcnt(9) lgkmcnt(1)
	v_mul_f64 v[199:200], v[2:3], v[12:13]
	v_mul_f64 v[12:13], v[4:5], v[12:13]
	s_waitcnt vmcnt(8) lgkmcnt(0)
	v_mul_f64 v[221:222], v[217:218], v[16:17]
	v_mul_f64 v[16:17], v[219:220], v[16:17]
	v_add_f64 v[168:169], v[168:169], v[225:226]
	v_add_f64 v[174:175], v[174:175], v[223:224]
	v_fma_f64 v[199:200], v[4:5], v[10:11], v[199:200]
	v_fma_f64 v[223:224], v[2:3], v[10:11], -v[12:13]
	ds_load_b128 v[2:5], v1 offset:1408
	scratch_load_b128 v[10:13], off, off offset:688
	v_fma_f64 v[219:220], v[219:220], v[14:15], v[221:222]
	v_fma_f64 v[217:218], v[217:218], v[14:15], -v[16:17]
	scratch_load_b128 v[14:17], off, off offset:704
	v_add_f64 v[225:226], v[168:169], v[170:171]
	v_add_f64 v[172:173], v[174:175], v[172:173]
	ds_load_b128 v[168:171], v1 offset:1424
	s_waitcnt vmcnt(9) lgkmcnt(1)
	v_mul_f64 v[174:175], v[2:3], v[20:21]
	v_mul_f64 v[20:21], v[4:5], v[20:21]
	v_add_f64 v[221:222], v[225:226], v[223:224]
	v_add_f64 v[172:173], v[172:173], v[199:200]
	s_waitcnt vmcnt(8) lgkmcnt(0)
	v_mul_f64 v[199:200], v[168:169], v[24:25]
	v_mul_f64 v[24:25], v[170:171], v[24:25]
	v_fma_f64 v[223:224], v[4:5], v[18:19], v[174:175]
	v_fma_f64 v[225:226], v[2:3], v[18:19], -v[20:21]
	ds_load_b128 v[2:5], v1 offset:1440
	scratch_load_b128 v[18:21], off, off offset:720
	v_add_f64 v[217:218], v[221:222], v[217:218]
	v_add_f64 v[219:220], v[172:173], v[219:220]
	ds_load_b128 v[172:175], v1 offset:1456
	s_waitcnt vmcnt(8) lgkmcnt(1)
	v_mul_f64 v[221:222], v[2:3], v[28:29]
	v_mul_f64 v[28:29], v[4:5], v[28:29]
	v_fma_f64 v[170:171], v[170:171], v[22:23], v[199:200]
	v_fma_f64 v[168:169], v[168:169], v[22:23], -v[24:25]
	scratch_load_b128 v[22:25], off, off offset:736
	v_add_f64 v[199:200], v[217:218], v[225:226]
	v_add_f64 v[217:218], v[219:220], v[223:224]
	s_waitcnt vmcnt(8) lgkmcnt(0)
	v_mul_f64 v[219:220], v[172:173], v[32:33]
	v_mul_f64 v[32:33], v[174:175], v[32:33]
	v_fma_f64 v[221:222], v[4:5], v[26:27], v[221:222]
	v_fma_f64 v[223:224], v[2:3], v[26:27], -v[28:29]
	ds_load_b128 v[2:5], v1 offset:1472
	scratch_load_b128 v[26:29], off, off offset:752
	v_add_f64 v[199:200], v[199:200], v[168:169]
	v_add_f64 v[217:218], v[217:218], v[170:171]
	ds_load_b128 v[168:171], v1 offset:1488
	s_waitcnt vmcnt(8) lgkmcnt(1)
	v_mul_f64 v[225:226], v[2:3], v[36:37]
	v_mul_f64 v[36:37], v[4:5], v[36:37]
	v_fma_f64 v[174:175], v[174:175], v[30:31], v[219:220]
	v_fma_f64 v[172:173], v[172:173], v[30:31], -v[32:33]
	scratch_load_b128 v[30:33], off, off offset:768
	s_waitcnt vmcnt(8) lgkmcnt(0)
	v_mul_f64 v[219:220], v[168:169], v[40:41]
	v_mul_f64 v[40:41], v[170:171], v[40:41]
	v_add_f64 v[199:200], v[199:200], v[223:224]
	v_add_f64 v[217:218], v[217:218], v[221:222]
	v_fma_f64 v[221:222], v[4:5], v[34:35], v[225:226]
	v_fma_f64 v[223:224], v[2:3], v[34:35], -v[36:37]
	ds_load_b128 v[2:5], v1 offset:1504
	scratch_load_b128 v[34:37], off, off offset:784
	v_fma_f64 v[170:171], v[170:171], v[38:39], v[219:220]
	v_fma_f64 v[168:169], v[168:169], v[38:39], -v[40:41]
	scratch_load_b128 v[38:41], off, off offset:800
	v_add_f64 v[199:200], v[199:200], v[172:173]
	v_add_f64 v[217:218], v[217:218], v[174:175]
	ds_load_b128 v[172:175], v1 offset:1520
	s_waitcnt vmcnt(9) lgkmcnt(1)
	v_mul_f64 v[225:226], v[2:3], v[44:45]
	v_mul_f64 v[44:45], v[4:5], v[44:45]
	s_waitcnt vmcnt(8) lgkmcnt(0)
	v_mul_f64 v[219:220], v[172:173], v[8:9]
	v_mul_f64 v[8:9], v[174:175], v[8:9]
	v_add_f64 v[199:200], v[199:200], v[223:224]
	v_add_f64 v[217:218], v[217:218], v[221:222]
	v_fma_f64 v[221:222], v[4:5], v[42:43], v[225:226]
	v_fma_f64 v[223:224], v[2:3], v[42:43], -v[44:45]
	ds_load_b128 v[2:5], v1 offset:1536
	scratch_load_b128 v[42:45], off, off offset:816
	v_fma_f64 v[174:175], v[174:175], v[6:7], v[219:220]
	v_fma_f64 v[172:173], v[172:173], v[6:7], -v[8:9]
	scratch_load_b128 v[6:9], off, off offset:832
	v_add_f64 v[199:200], v[199:200], v[168:169]
	v_add_f64 v[217:218], v[217:218], v[170:171]
	ds_load_b128 v[168:171], v1 offset:1552
	s_waitcnt vmcnt(9) lgkmcnt(1)
	v_mul_f64 v[225:226], v[2:3], v[12:13]
	v_mul_f64 v[12:13], v[4:5], v[12:13]
	s_waitcnt vmcnt(8) lgkmcnt(0)
	v_mul_f64 v[219:220], v[168:169], v[16:17]
	v_mul_f64 v[16:17], v[170:171], v[16:17]
	v_add_f64 v[199:200], v[199:200], v[223:224]
	v_add_f64 v[217:218], v[217:218], v[221:222]
	v_fma_f64 v[221:222], v[4:5], v[10:11], v[225:226]
	v_fma_f64 v[223:224], v[2:3], v[10:11], -v[12:13]
	ds_load_b128 v[2:5], v1 offset:1568
	ds_load_b128 v[10:13], v1 offset:1584
	v_fma_f64 v[170:171], v[170:171], v[14:15], v[219:220]
	v_fma_f64 v[14:15], v[168:169], v[14:15], -v[16:17]
	v_add_f64 v[172:173], v[199:200], v[172:173]
	v_add_f64 v[174:175], v[217:218], v[174:175]
	s_waitcnt vmcnt(7) lgkmcnt(1)
	v_mul_f64 v[199:200], v[2:3], v[20:21]
	v_mul_f64 v[20:21], v[4:5], v[20:21]
	s_delay_alu instid0(VALU_DEP_4) | instskip(NEXT) | instid1(VALU_DEP_4)
	v_add_f64 v[16:17], v[172:173], v[223:224]
	v_add_f64 v[168:169], v[174:175], v[221:222]
	s_waitcnt vmcnt(6) lgkmcnt(0)
	v_mul_f64 v[172:173], v[10:11], v[24:25]
	v_mul_f64 v[24:25], v[12:13], v[24:25]
	v_fma_f64 v[174:175], v[4:5], v[18:19], v[199:200]
	v_fma_f64 v[18:19], v[2:3], v[18:19], -v[20:21]
	v_add_f64 v[20:21], v[16:17], v[14:15]
	v_add_f64 v[168:169], v[168:169], v[170:171]
	ds_load_b128 v[2:5], v1 offset:1600
	ds_load_b128 v[14:17], v1 offset:1616
	v_fma_f64 v[12:13], v[12:13], v[22:23], v[172:173]
	v_fma_f64 v[10:11], v[10:11], v[22:23], -v[24:25]
	s_waitcnt vmcnt(5) lgkmcnt(1)
	v_mul_f64 v[170:171], v[2:3], v[28:29]
	v_mul_f64 v[28:29], v[4:5], v[28:29]
	s_waitcnt vmcnt(4) lgkmcnt(0)
	v_mul_f64 v[22:23], v[14:15], v[32:33]
	v_mul_f64 v[24:25], v[16:17], v[32:33]
	v_add_f64 v[18:19], v[20:21], v[18:19]
	v_add_f64 v[20:21], v[168:169], v[174:175]
	v_fma_f64 v[32:33], v[4:5], v[26:27], v[170:171]
	v_fma_f64 v[26:27], v[2:3], v[26:27], -v[28:29]
	v_fma_f64 v[16:17], v[16:17], v[30:31], v[22:23]
	v_fma_f64 v[14:15], v[14:15], v[30:31], -v[24:25]
	v_add_f64 v[18:19], v[18:19], v[10:11]
	v_add_f64 v[20:21], v[20:21], v[12:13]
	ds_load_b128 v[2:5], v1 offset:1632
	ds_load_b128 v[10:13], v1 offset:1648
	s_waitcnt vmcnt(3) lgkmcnt(1)
	v_mul_f64 v[28:29], v[2:3], v[36:37]
	v_mul_f64 v[36:37], v[4:5], v[36:37]
	s_waitcnt vmcnt(2) lgkmcnt(0)
	v_mul_f64 v[22:23], v[10:11], v[40:41]
	v_mul_f64 v[24:25], v[12:13], v[40:41]
	v_add_f64 v[18:19], v[18:19], v[26:27]
	v_add_f64 v[20:21], v[20:21], v[32:33]
	v_fma_f64 v[26:27], v[4:5], v[34:35], v[28:29]
	v_fma_f64 v[28:29], v[2:3], v[34:35], -v[36:37]
	v_fma_f64 v[12:13], v[12:13], v[38:39], v[22:23]
	v_fma_f64 v[10:11], v[10:11], v[38:39], -v[24:25]
	v_add_f64 v[18:19], v[18:19], v[14:15]
	v_add_f64 v[20:21], v[20:21], v[16:17]
	ds_load_b128 v[2:5], v1 offset:1664
	ds_load_b128 v[14:17], v1 offset:1680
	s_waitcnt vmcnt(1) lgkmcnt(1)
	v_mul_f64 v[30:31], v[2:3], v[44:45]
	v_mul_f64 v[32:33], v[4:5], v[44:45]
	s_waitcnt vmcnt(0) lgkmcnt(0)
	v_mul_f64 v[22:23], v[14:15], v[8:9]
	v_mul_f64 v[8:9], v[16:17], v[8:9]
	v_add_f64 v[18:19], v[18:19], v[28:29]
	v_add_f64 v[20:21], v[20:21], v[26:27]
	v_fma_f64 v[4:5], v[4:5], v[42:43], v[30:31]
	v_fma_f64 v[1:2], v[2:3], v[42:43], -v[32:33]
	v_fma_f64 v[16:17], v[16:17], v[6:7], v[22:23]
	v_fma_f64 v[6:7], v[14:15], v[6:7], -v[8:9]
	v_add_f64 v[10:11], v[18:19], v[10:11]
	v_add_f64 v[12:13], v[20:21], v[12:13]
	s_delay_alu instid0(VALU_DEP_2) | instskip(NEXT) | instid1(VALU_DEP_2)
	v_add_f64 v[1:2], v[10:11], v[1:2]
	v_add_f64 v[3:4], v[12:13], v[4:5]
	s_delay_alu instid0(VALU_DEP_2) | instskip(NEXT) | instid1(VALU_DEP_2)
	v_add_f64 v[1:2], v[1:2], v[6:7]
	v_add_f64 v[3:4], v[3:4], v[16:17]
	s_delay_alu instid0(VALU_DEP_2) | instskip(NEXT) | instid1(VALU_DEP_2)
	v_add_f64 v[1:2], v[164:165], -v[1:2]
	v_add_f64 v[3:4], v[166:167], -v[3:4]
	scratch_store_b128 off, v[1:4], off offset:320
	v_cmpx_lt_u32_e32 19, v152
	s_cbranch_execz .LBB116_293
; %bb.292:
	scratch_load_b128 v[1:4], v186, off
	v_mov_b32_e32 v5, 0
	s_delay_alu instid0(VALU_DEP_1)
	v_mov_b32_e32 v6, v5
	v_mov_b32_e32 v7, v5
	;; [unrolled: 1-line block ×3, first 2 shown]
	scratch_store_b128 off, v[5:8], off offset:304
	s_waitcnt vmcnt(0)
	ds_store_b128 v205, v[1:4]
.LBB116_293:
	s_or_b32 exec_lo, exec_lo, s2
	s_waitcnt lgkmcnt(0)
	s_waitcnt_vscnt null, 0x0
	s_barrier
	buffer_gl0_inv
	s_clause 0x7
	scratch_load_b128 v[2:5], off, off offset:320
	scratch_load_b128 v[6:9], off, off offset:336
	;; [unrolled: 1-line block ×8, first 2 shown]
	v_mov_b32_e32 v1, 0
	s_mov_b32 s2, exec_lo
	ds_load_b128 v[38:41], v1 offset:1168
	s_clause 0x1
	scratch_load_b128 v[34:37], off, off offset:448
	scratch_load_b128 v[42:45], off, off offset:304
	ds_load_b128 v[164:167], v1 offset:1184
	scratch_load_b128 v[168:171], off, off offset:464
	s_waitcnt vmcnt(10) lgkmcnt(1)
	v_mul_f64 v[172:173], v[40:41], v[4:5]
	v_mul_f64 v[4:5], v[38:39], v[4:5]
	s_delay_alu instid0(VALU_DEP_2) | instskip(NEXT) | instid1(VALU_DEP_2)
	v_fma_f64 v[217:218], v[38:39], v[2:3], -v[172:173]
	v_fma_f64 v[219:220], v[40:41], v[2:3], v[4:5]
	scratch_load_b128 v[38:41], off, off offset:480
	ds_load_b128 v[2:5], v1 offset:1200
	s_waitcnt vmcnt(10) lgkmcnt(1)
	v_mul_f64 v[199:200], v[164:165], v[8:9]
	v_mul_f64 v[8:9], v[166:167], v[8:9]
	ds_load_b128 v[172:175], v1 offset:1216
	s_waitcnt vmcnt(9) lgkmcnt(1)
	v_mul_f64 v[221:222], v[2:3], v[12:13]
	v_mul_f64 v[12:13], v[4:5], v[12:13]
	v_fma_f64 v[166:167], v[166:167], v[6:7], v[199:200]
	v_fma_f64 v[164:165], v[164:165], v[6:7], -v[8:9]
	v_add_f64 v[199:200], v[217:218], 0
	v_add_f64 v[217:218], v[219:220], 0
	scratch_load_b128 v[6:9], off, off offset:496
	v_fma_f64 v[221:222], v[4:5], v[10:11], v[221:222]
	v_fma_f64 v[223:224], v[2:3], v[10:11], -v[12:13]
	scratch_load_b128 v[10:13], off, off offset:512
	ds_load_b128 v[2:5], v1 offset:1232
	s_waitcnt vmcnt(10) lgkmcnt(1)
	v_mul_f64 v[219:220], v[172:173], v[16:17]
	v_mul_f64 v[16:17], v[174:175], v[16:17]
	v_add_f64 v[199:200], v[199:200], v[164:165]
	v_add_f64 v[217:218], v[217:218], v[166:167]
	s_waitcnt vmcnt(9) lgkmcnt(0)
	v_mul_f64 v[225:226], v[2:3], v[20:21]
	v_mul_f64 v[20:21], v[4:5], v[20:21]
	ds_load_b128 v[164:167], v1 offset:1248
	v_fma_f64 v[174:175], v[174:175], v[14:15], v[219:220]
	v_fma_f64 v[172:173], v[172:173], v[14:15], -v[16:17]
	scratch_load_b128 v[14:17], off, off offset:528
	v_add_f64 v[199:200], v[199:200], v[223:224]
	v_add_f64 v[217:218], v[217:218], v[221:222]
	v_fma_f64 v[221:222], v[4:5], v[18:19], v[225:226]
	v_fma_f64 v[223:224], v[2:3], v[18:19], -v[20:21]
	scratch_load_b128 v[18:21], off, off offset:544
	ds_load_b128 v[2:5], v1 offset:1264
	s_waitcnt vmcnt(10) lgkmcnt(1)
	v_mul_f64 v[219:220], v[164:165], v[24:25]
	v_mul_f64 v[24:25], v[166:167], v[24:25]
	s_waitcnt vmcnt(9) lgkmcnt(0)
	v_mul_f64 v[225:226], v[2:3], v[28:29]
	v_mul_f64 v[28:29], v[4:5], v[28:29]
	v_add_f64 v[199:200], v[199:200], v[172:173]
	v_add_f64 v[217:218], v[217:218], v[174:175]
	ds_load_b128 v[172:175], v1 offset:1280
	v_fma_f64 v[166:167], v[166:167], v[22:23], v[219:220]
	v_fma_f64 v[164:165], v[164:165], v[22:23], -v[24:25]
	scratch_load_b128 v[22:25], off, off offset:560
	v_add_f64 v[199:200], v[199:200], v[223:224]
	v_add_f64 v[217:218], v[217:218], v[221:222]
	v_fma_f64 v[221:222], v[4:5], v[26:27], v[225:226]
	v_fma_f64 v[223:224], v[2:3], v[26:27], -v[28:29]
	scratch_load_b128 v[26:29], off, off offset:576
	ds_load_b128 v[2:5], v1 offset:1296
	s_waitcnt vmcnt(10) lgkmcnt(1)
	v_mul_f64 v[219:220], v[172:173], v[32:33]
	v_mul_f64 v[32:33], v[174:175], v[32:33]
	s_waitcnt vmcnt(9) lgkmcnt(0)
	v_mul_f64 v[225:226], v[2:3], v[36:37]
	v_mul_f64 v[36:37], v[4:5], v[36:37]
	v_add_f64 v[199:200], v[199:200], v[164:165]
	v_add_f64 v[217:218], v[217:218], v[166:167]
	ds_load_b128 v[164:167], v1 offset:1312
	v_fma_f64 v[174:175], v[174:175], v[30:31], v[219:220]
	v_fma_f64 v[172:173], v[172:173], v[30:31], -v[32:33]
	scratch_load_b128 v[30:33], off, off offset:592
	v_add_f64 v[199:200], v[199:200], v[223:224]
	v_add_f64 v[217:218], v[217:218], v[221:222]
	v_fma_f64 v[223:224], v[4:5], v[34:35], v[225:226]
	v_fma_f64 v[225:226], v[2:3], v[34:35], -v[36:37]
	scratch_load_b128 v[34:37], off, off offset:608
	ds_load_b128 v[2:5], v1 offset:1328
	s_waitcnt vmcnt(9) lgkmcnt(1)
	v_mul_f64 v[219:220], v[164:165], v[170:171]
	v_mul_f64 v[221:222], v[166:167], v[170:171]
	v_add_f64 v[199:200], v[199:200], v[172:173]
	v_add_f64 v[174:175], v[217:218], v[174:175]
	ds_load_b128 v[170:173], v1 offset:1344
	v_fma_f64 v[219:220], v[166:167], v[168:169], v[219:220]
	v_fma_f64 v[168:169], v[164:165], v[168:169], -v[221:222]
	scratch_load_b128 v[164:167], off, off offset:624
	s_waitcnt vmcnt(9) lgkmcnt(1)
	v_mul_f64 v[217:218], v[2:3], v[40:41]
	v_mul_f64 v[40:41], v[4:5], v[40:41]
	v_add_f64 v[199:200], v[199:200], v[225:226]
	v_add_f64 v[174:175], v[174:175], v[223:224]
	s_delay_alu instid0(VALU_DEP_4) | instskip(NEXT) | instid1(VALU_DEP_4)
	v_fma_f64 v[223:224], v[4:5], v[38:39], v[217:218]
	v_fma_f64 v[225:226], v[2:3], v[38:39], -v[40:41]
	scratch_load_b128 v[38:41], off, off offset:640
	ds_load_b128 v[2:5], v1 offset:1360
	s_waitcnt vmcnt(9) lgkmcnt(1)
	v_mul_f64 v[221:222], v[170:171], v[8:9]
	v_mul_f64 v[8:9], v[172:173], v[8:9]
	v_add_f64 v[168:169], v[199:200], v[168:169]
	v_add_f64 v[174:175], v[174:175], v[219:220]
	s_waitcnt vmcnt(8) lgkmcnt(0)
	v_mul_f64 v[199:200], v[2:3], v[12:13]
	v_mul_f64 v[12:13], v[4:5], v[12:13]
	ds_load_b128 v[217:220], v1 offset:1376
	v_fma_f64 v[172:173], v[172:173], v[6:7], v[221:222]
	v_fma_f64 v[170:171], v[170:171], v[6:7], -v[8:9]
	scratch_load_b128 v[6:9], off, off offset:656
	v_add_f64 v[168:169], v[168:169], v[225:226]
	v_add_f64 v[174:175], v[174:175], v[223:224]
	v_fma_f64 v[199:200], v[4:5], v[10:11], v[199:200]
	v_fma_f64 v[223:224], v[2:3], v[10:11], -v[12:13]
	scratch_load_b128 v[10:13], off, off offset:672
	ds_load_b128 v[2:5], v1 offset:1392
	s_waitcnt vmcnt(9) lgkmcnt(1)
	v_mul_f64 v[221:222], v[217:218], v[16:17]
	v_mul_f64 v[16:17], v[219:220], v[16:17]
	v_add_f64 v[225:226], v[168:169], v[170:171]
	v_add_f64 v[172:173], v[174:175], v[172:173]
	s_waitcnt vmcnt(8) lgkmcnt(0)
	v_mul_f64 v[174:175], v[2:3], v[20:21]
	v_mul_f64 v[20:21], v[4:5], v[20:21]
	ds_load_b128 v[168:171], v1 offset:1408
	v_fma_f64 v[219:220], v[219:220], v[14:15], v[221:222]
	v_fma_f64 v[217:218], v[217:218], v[14:15], -v[16:17]
	scratch_load_b128 v[14:17], off, off offset:688
	v_add_f64 v[221:222], v[225:226], v[223:224]
	v_add_f64 v[172:173], v[172:173], v[199:200]
	;; [unrolled: 18-line block ×3, first 2 shown]
	v_fma_f64 v[221:222], v[4:5], v[26:27], v[221:222]
	v_fma_f64 v[223:224], v[2:3], v[26:27], -v[28:29]
	scratch_load_b128 v[26:29], off, off offset:736
	ds_load_b128 v[2:5], v1 offset:1456
	s_waitcnt vmcnt(9) lgkmcnt(1)
	v_mul_f64 v[219:220], v[172:173], v[32:33]
	v_mul_f64 v[32:33], v[174:175], v[32:33]
	s_waitcnt vmcnt(8) lgkmcnt(0)
	v_mul_f64 v[225:226], v[2:3], v[36:37]
	v_mul_f64 v[36:37], v[4:5], v[36:37]
	v_add_f64 v[199:200], v[199:200], v[168:169]
	v_add_f64 v[217:218], v[217:218], v[170:171]
	ds_load_b128 v[168:171], v1 offset:1472
	v_fma_f64 v[174:175], v[174:175], v[30:31], v[219:220]
	v_fma_f64 v[172:173], v[172:173], v[30:31], -v[32:33]
	scratch_load_b128 v[30:33], off, off offset:752
	v_add_f64 v[199:200], v[199:200], v[223:224]
	v_add_f64 v[217:218], v[217:218], v[221:222]
	v_fma_f64 v[221:222], v[4:5], v[34:35], v[225:226]
	v_fma_f64 v[223:224], v[2:3], v[34:35], -v[36:37]
	scratch_load_b128 v[34:37], off, off offset:768
	ds_load_b128 v[2:5], v1 offset:1488
	s_waitcnt vmcnt(9) lgkmcnt(1)
	v_mul_f64 v[219:220], v[168:169], v[166:167]
	v_mul_f64 v[166:167], v[170:171], v[166:167]
	s_waitcnt vmcnt(8) lgkmcnt(0)
	v_mul_f64 v[225:226], v[2:3], v[40:41]
	v_mul_f64 v[40:41], v[4:5], v[40:41]
	v_add_f64 v[199:200], v[199:200], v[172:173]
	v_add_f64 v[217:218], v[217:218], v[174:175]
	ds_load_b128 v[172:175], v1 offset:1504
	v_fma_f64 v[170:171], v[170:171], v[164:165], v[219:220]
	v_fma_f64 v[168:169], v[168:169], v[164:165], -v[166:167]
	scratch_load_b128 v[164:167], off, off offset:784
	v_add_f64 v[199:200], v[199:200], v[223:224]
	v_add_f64 v[217:218], v[217:218], v[221:222]
	;; [unrolled: 18-line block ×3, first 2 shown]
	v_fma_f64 v[221:222], v[4:5], v[10:11], v[225:226]
	v_fma_f64 v[223:224], v[2:3], v[10:11], -v[12:13]
	scratch_load_b128 v[10:13], off, off offset:832
	ds_load_b128 v[2:5], v1 offset:1552
	s_waitcnt vmcnt(9) lgkmcnt(1)
	v_mul_f64 v[219:220], v[168:169], v[16:17]
	v_mul_f64 v[16:17], v[170:171], v[16:17]
	s_waitcnt vmcnt(8) lgkmcnt(0)
	v_mul_f64 v[225:226], v[2:3], v[20:21]
	v_mul_f64 v[20:21], v[4:5], v[20:21]
	v_add_f64 v[199:200], v[199:200], v[172:173]
	v_add_f64 v[217:218], v[217:218], v[174:175]
	ds_load_b128 v[172:175], v1 offset:1568
	v_fma_f64 v[170:171], v[170:171], v[14:15], v[219:220]
	v_fma_f64 v[14:15], v[168:169], v[14:15], -v[16:17]
	v_add_f64 v[16:17], v[199:200], v[223:224]
	v_add_f64 v[168:169], v[217:218], v[221:222]
	s_waitcnt vmcnt(7) lgkmcnt(0)
	v_mul_f64 v[199:200], v[172:173], v[24:25]
	v_mul_f64 v[24:25], v[174:175], v[24:25]
	v_fma_f64 v[217:218], v[4:5], v[18:19], v[225:226]
	v_fma_f64 v[18:19], v[2:3], v[18:19], -v[20:21]
	v_add_f64 v[20:21], v[16:17], v[14:15]
	v_add_f64 v[168:169], v[168:169], v[170:171]
	ds_load_b128 v[2:5], v1 offset:1584
	ds_load_b128 v[14:17], v1 offset:1600
	v_fma_f64 v[174:175], v[174:175], v[22:23], v[199:200]
	v_fma_f64 v[22:23], v[172:173], v[22:23], -v[24:25]
	s_waitcnt vmcnt(6) lgkmcnt(1)
	v_mul_f64 v[170:171], v[2:3], v[28:29]
	v_mul_f64 v[28:29], v[4:5], v[28:29]
	s_waitcnt vmcnt(5) lgkmcnt(0)
	v_mul_f64 v[24:25], v[14:15], v[32:33]
	v_mul_f64 v[32:33], v[16:17], v[32:33]
	v_add_f64 v[18:19], v[20:21], v[18:19]
	v_add_f64 v[20:21], v[168:169], v[217:218]
	v_fma_f64 v[168:169], v[4:5], v[26:27], v[170:171]
	v_fma_f64 v[26:27], v[2:3], v[26:27], -v[28:29]
	v_fma_f64 v[16:17], v[16:17], v[30:31], v[24:25]
	v_fma_f64 v[14:15], v[14:15], v[30:31], -v[32:33]
	v_add_f64 v[22:23], v[18:19], v[22:23]
	v_add_f64 v[28:29], v[20:21], v[174:175]
	ds_load_b128 v[2:5], v1 offset:1616
	ds_load_b128 v[18:21], v1 offset:1632
	s_waitcnt vmcnt(4) lgkmcnt(1)
	v_mul_f64 v[170:171], v[2:3], v[36:37]
	v_mul_f64 v[36:37], v[4:5], v[36:37]
	v_add_f64 v[22:23], v[22:23], v[26:27]
	v_add_f64 v[24:25], v[28:29], v[168:169]
	s_waitcnt vmcnt(3) lgkmcnt(0)
	v_mul_f64 v[26:27], v[18:19], v[166:167]
	v_mul_f64 v[28:29], v[20:21], v[166:167]
	v_fma_f64 v[30:31], v[4:5], v[34:35], v[170:171]
	v_fma_f64 v[32:33], v[2:3], v[34:35], -v[36:37]
	v_add_f64 v[22:23], v[22:23], v[14:15]
	v_add_f64 v[24:25], v[24:25], v[16:17]
	ds_load_b128 v[2:5], v1 offset:1648
	ds_load_b128 v[14:17], v1 offset:1664
	v_fma_f64 v[20:21], v[20:21], v[164:165], v[26:27]
	v_fma_f64 v[18:19], v[18:19], v[164:165], -v[28:29]
	s_waitcnt vmcnt(2) lgkmcnt(1)
	v_mul_f64 v[34:35], v[2:3], v[40:41]
	v_mul_f64 v[36:37], v[4:5], v[40:41]
	s_waitcnt vmcnt(1) lgkmcnt(0)
	v_mul_f64 v[26:27], v[14:15], v[8:9]
	v_mul_f64 v[8:9], v[16:17], v[8:9]
	v_add_f64 v[22:23], v[22:23], v[32:33]
	v_add_f64 v[24:25], v[24:25], v[30:31]
	v_fma_f64 v[28:29], v[4:5], v[38:39], v[34:35]
	v_fma_f64 v[30:31], v[2:3], v[38:39], -v[36:37]
	ds_load_b128 v[2:5], v1 offset:1680
	v_fma_f64 v[16:17], v[16:17], v[6:7], v[26:27]
	v_fma_f64 v[6:7], v[14:15], v[6:7], -v[8:9]
	v_add_f64 v[18:19], v[22:23], v[18:19]
	v_add_f64 v[20:21], v[24:25], v[20:21]
	s_waitcnt vmcnt(0) lgkmcnt(0)
	v_mul_f64 v[22:23], v[2:3], v[12:13]
	v_mul_f64 v[12:13], v[4:5], v[12:13]
	s_delay_alu instid0(VALU_DEP_4) | instskip(NEXT) | instid1(VALU_DEP_4)
	v_add_f64 v[8:9], v[18:19], v[30:31]
	v_add_f64 v[14:15], v[20:21], v[28:29]
	s_delay_alu instid0(VALU_DEP_4) | instskip(NEXT) | instid1(VALU_DEP_4)
	v_fma_f64 v[4:5], v[4:5], v[10:11], v[22:23]
	v_fma_f64 v[2:3], v[2:3], v[10:11], -v[12:13]
	s_delay_alu instid0(VALU_DEP_4) | instskip(NEXT) | instid1(VALU_DEP_4)
	v_add_f64 v[6:7], v[8:9], v[6:7]
	v_add_f64 v[8:9], v[14:15], v[16:17]
	s_delay_alu instid0(VALU_DEP_2) | instskip(NEXT) | instid1(VALU_DEP_2)
	v_add_f64 v[2:3], v[6:7], v[2:3]
	v_add_f64 v[4:5], v[8:9], v[4:5]
	s_delay_alu instid0(VALU_DEP_2) | instskip(NEXT) | instid1(VALU_DEP_2)
	v_add_f64 v[2:3], v[42:43], -v[2:3]
	v_add_f64 v[4:5], v[44:45], -v[4:5]
	scratch_store_b128 off, v[2:5], off offset:304
	v_cmpx_lt_u32_e32 18, v152
	s_cbranch_execz .LBB116_295
; %bb.294:
	scratch_load_b128 v[5:8], v187, off
	v_mov_b32_e32 v2, v1
	v_mov_b32_e32 v3, v1
	;; [unrolled: 1-line block ×3, first 2 shown]
	scratch_store_b128 off, v[1:4], off offset:288
	s_waitcnt vmcnt(0)
	ds_store_b128 v205, v[5:8]
.LBB116_295:
	s_or_b32 exec_lo, exec_lo, s2
	s_waitcnt lgkmcnt(0)
	s_waitcnt_vscnt null, 0x0
	s_barrier
	buffer_gl0_inv
	s_clause 0x8
	scratch_load_b128 v[2:5], off, off offset:304
	scratch_load_b128 v[6:9], off, off offset:320
	;; [unrolled: 1-line block ×9, first 2 shown]
	ds_load_b128 v[42:45], v1 offset:1152
	ds_load_b128 v[38:41], v1 offset:1168
	s_clause 0x1
	scratch_load_b128 v[164:167], off, off offset:288
	scratch_load_b128 v[168:171], off, off offset:448
	s_mov_b32 s2, exec_lo
	s_waitcnt vmcnt(10) lgkmcnt(1)
	v_mul_f64 v[172:173], v[44:45], v[4:5]
	v_mul_f64 v[4:5], v[42:43], v[4:5]
	s_waitcnt vmcnt(9) lgkmcnt(0)
	v_mul_f64 v[199:200], v[38:39], v[8:9]
	v_mul_f64 v[8:9], v[40:41], v[8:9]
	s_delay_alu instid0(VALU_DEP_4) | instskip(NEXT) | instid1(VALU_DEP_4)
	v_fma_f64 v[217:218], v[42:43], v[2:3], -v[172:173]
	v_fma_f64 v[219:220], v[44:45], v[2:3], v[4:5]
	ds_load_b128 v[2:5], v1 offset:1184
	ds_load_b128 v[172:175], v1 offset:1200
	scratch_load_b128 v[42:45], off, off offset:464
	v_fma_f64 v[40:41], v[40:41], v[6:7], v[199:200]
	v_fma_f64 v[38:39], v[38:39], v[6:7], -v[8:9]
	scratch_load_b128 v[6:9], off, off offset:480
	s_waitcnt vmcnt(10) lgkmcnt(1)
	v_mul_f64 v[221:222], v[2:3], v[12:13]
	v_mul_f64 v[12:13], v[4:5], v[12:13]
	v_add_f64 v[199:200], v[217:218], 0
	v_add_f64 v[217:218], v[219:220], 0
	s_waitcnt vmcnt(9) lgkmcnt(0)
	v_mul_f64 v[219:220], v[172:173], v[16:17]
	v_mul_f64 v[16:17], v[174:175], v[16:17]
	v_fma_f64 v[221:222], v[4:5], v[10:11], v[221:222]
	v_fma_f64 v[223:224], v[2:3], v[10:11], -v[12:13]
	ds_load_b128 v[2:5], v1 offset:1216
	scratch_load_b128 v[10:13], off, off offset:496
	v_add_f64 v[199:200], v[199:200], v[38:39]
	v_add_f64 v[217:218], v[217:218], v[40:41]
	ds_load_b128 v[38:41], v1 offset:1232
	v_fma_f64 v[174:175], v[174:175], v[14:15], v[219:220]
	v_fma_f64 v[172:173], v[172:173], v[14:15], -v[16:17]
	scratch_load_b128 v[14:17], off, off offset:512
	s_waitcnt vmcnt(10) lgkmcnt(1)
	v_mul_f64 v[225:226], v[2:3], v[20:21]
	v_mul_f64 v[20:21], v[4:5], v[20:21]
	s_waitcnt vmcnt(9) lgkmcnt(0)
	v_mul_f64 v[219:220], v[38:39], v[24:25]
	v_mul_f64 v[24:25], v[40:41], v[24:25]
	v_add_f64 v[199:200], v[199:200], v[223:224]
	v_add_f64 v[217:218], v[217:218], v[221:222]
	v_fma_f64 v[221:222], v[4:5], v[18:19], v[225:226]
	v_fma_f64 v[223:224], v[2:3], v[18:19], -v[20:21]
	ds_load_b128 v[2:5], v1 offset:1248
	scratch_load_b128 v[18:21], off, off offset:528
	v_fma_f64 v[40:41], v[40:41], v[22:23], v[219:220]
	v_fma_f64 v[38:39], v[38:39], v[22:23], -v[24:25]
	scratch_load_b128 v[22:25], off, off offset:544
	v_add_f64 v[199:200], v[199:200], v[172:173]
	v_add_f64 v[217:218], v[217:218], v[174:175]
	ds_load_b128 v[172:175], v1 offset:1264
	s_waitcnt vmcnt(10) lgkmcnt(1)
	v_mul_f64 v[225:226], v[2:3], v[28:29]
	v_mul_f64 v[28:29], v[4:5], v[28:29]
	s_waitcnt vmcnt(9) lgkmcnt(0)
	v_mul_f64 v[219:220], v[172:173], v[32:33]
	v_mul_f64 v[32:33], v[174:175], v[32:33]
	v_add_f64 v[199:200], v[199:200], v[223:224]
	v_add_f64 v[217:218], v[217:218], v[221:222]
	v_fma_f64 v[221:222], v[4:5], v[26:27], v[225:226]
	v_fma_f64 v[223:224], v[2:3], v[26:27], -v[28:29]
	ds_load_b128 v[2:5], v1 offset:1280
	scratch_load_b128 v[26:29], off, off offset:560
	v_fma_f64 v[174:175], v[174:175], v[30:31], v[219:220]
	v_fma_f64 v[172:173], v[172:173], v[30:31], -v[32:33]
	scratch_load_b128 v[30:33], off, off offset:576
	v_add_f64 v[199:200], v[199:200], v[38:39]
	v_add_f64 v[217:218], v[217:218], v[40:41]
	ds_load_b128 v[38:41], v1 offset:1296
	s_waitcnt vmcnt(10) lgkmcnt(1)
	v_mul_f64 v[225:226], v[2:3], v[36:37]
	v_mul_f64 v[36:37], v[4:5], v[36:37]
	s_waitcnt vmcnt(8) lgkmcnt(0)
	v_mul_f64 v[219:220], v[38:39], v[170:171]
	v_add_f64 v[199:200], v[199:200], v[223:224]
	v_add_f64 v[217:218], v[217:218], v[221:222]
	v_mul_f64 v[221:222], v[40:41], v[170:171]
	v_fma_f64 v[223:224], v[4:5], v[34:35], v[225:226]
	v_fma_f64 v[225:226], v[2:3], v[34:35], -v[36:37]
	ds_load_b128 v[2:5], v1 offset:1312
	scratch_load_b128 v[34:37], off, off offset:592
	v_fma_f64 v[219:220], v[40:41], v[168:169], v[219:220]
	v_add_f64 v[199:200], v[199:200], v[172:173]
	v_add_f64 v[174:175], v[217:218], v[174:175]
	ds_load_b128 v[170:173], v1 offset:1328
	v_fma_f64 v[168:169], v[38:39], v[168:169], -v[221:222]
	scratch_load_b128 v[38:41], off, off offset:608
	s_waitcnt vmcnt(9) lgkmcnt(1)
	v_mul_f64 v[217:218], v[2:3], v[44:45]
	v_mul_f64 v[44:45], v[4:5], v[44:45]
	s_waitcnt vmcnt(8) lgkmcnt(0)
	v_mul_f64 v[221:222], v[170:171], v[8:9]
	v_mul_f64 v[8:9], v[172:173], v[8:9]
	v_add_f64 v[199:200], v[199:200], v[225:226]
	v_add_f64 v[174:175], v[174:175], v[223:224]
	v_fma_f64 v[223:224], v[4:5], v[42:43], v[217:218]
	v_fma_f64 v[225:226], v[2:3], v[42:43], -v[44:45]
	ds_load_b128 v[2:5], v1 offset:1344
	scratch_load_b128 v[42:45], off, off offset:624
	v_fma_f64 v[172:173], v[172:173], v[6:7], v[221:222]
	v_fma_f64 v[170:171], v[170:171], v[6:7], -v[8:9]
	scratch_load_b128 v[6:9], off, off offset:640
	v_add_f64 v[168:169], v[199:200], v[168:169]
	v_add_f64 v[174:175], v[174:175], v[219:220]
	ds_load_b128 v[217:220], v1 offset:1360
	s_waitcnt vmcnt(9) lgkmcnt(1)
	v_mul_f64 v[199:200], v[2:3], v[12:13]
	v_mul_f64 v[12:13], v[4:5], v[12:13]
	s_waitcnt vmcnt(8) lgkmcnt(0)
	v_mul_f64 v[221:222], v[217:218], v[16:17]
	v_mul_f64 v[16:17], v[219:220], v[16:17]
	v_add_f64 v[168:169], v[168:169], v[225:226]
	v_add_f64 v[174:175], v[174:175], v[223:224]
	v_fma_f64 v[199:200], v[4:5], v[10:11], v[199:200]
	v_fma_f64 v[223:224], v[2:3], v[10:11], -v[12:13]
	ds_load_b128 v[2:5], v1 offset:1376
	scratch_load_b128 v[10:13], off, off offset:656
	v_fma_f64 v[219:220], v[219:220], v[14:15], v[221:222]
	v_fma_f64 v[217:218], v[217:218], v[14:15], -v[16:17]
	scratch_load_b128 v[14:17], off, off offset:672
	v_add_f64 v[225:226], v[168:169], v[170:171]
	v_add_f64 v[172:173], v[174:175], v[172:173]
	ds_load_b128 v[168:171], v1 offset:1392
	s_waitcnt vmcnt(9) lgkmcnt(1)
	v_mul_f64 v[174:175], v[2:3], v[20:21]
	v_mul_f64 v[20:21], v[4:5], v[20:21]
	v_add_f64 v[221:222], v[225:226], v[223:224]
	v_add_f64 v[172:173], v[172:173], v[199:200]
	s_waitcnt vmcnt(8) lgkmcnt(0)
	v_mul_f64 v[199:200], v[168:169], v[24:25]
	v_mul_f64 v[24:25], v[170:171], v[24:25]
	v_fma_f64 v[223:224], v[4:5], v[18:19], v[174:175]
	v_fma_f64 v[225:226], v[2:3], v[18:19], -v[20:21]
	ds_load_b128 v[2:5], v1 offset:1408
	scratch_load_b128 v[18:21], off, off offset:688
	v_add_f64 v[217:218], v[221:222], v[217:218]
	v_add_f64 v[219:220], v[172:173], v[219:220]
	ds_load_b128 v[172:175], v1 offset:1424
	s_waitcnt vmcnt(8) lgkmcnt(1)
	v_mul_f64 v[221:222], v[2:3], v[28:29]
	v_mul_f64 v[28:29], v[4:5], v[28:29]
	v_fma_f64 v[170:171], v[170:171], v[22:23], v[199:200]
	v_fma_f64 v[168:169], v[168:169], v[22:23], -v[24:25]
	scratch_load_b128 v[22:25], off, off offset:704
	v_add_f64 v[199:200], v[217:218], v[225:226]
	v_add_f64 v[217:218], v[219:220], v[223:224]
	s_waitcnt vmcnt(8) lgkmcnt(0)
	v_mul_f64 v[219:220], v[172:173], v[32:33]
	v_mul_f64 v[32:33], v[174:175], v[32:33]
	v_fma_f64 v[221:222], v[4:5], v[26:27], v[221:222]
	v_fma_f64 v[223:224], v[2:3], v[26:27], -v[28:29]
	ds_load_b128 v[2:5], v1 offset:1440
	scratch_load_b128 v[26:29], off, off offset:720
	v_add_f64 v[199:200], v[199:200], v[168:169]
	v_add_f64 v[217:218], v[217:218], v[170:171]
	ds_load_b128 v[168:171], v1 offset:1456
	s_waitcnt vmcnt(8) lgkmcnt(1)
	v_mul_f64 v[225:226], v[2:3], v[36:37]
	v_mul_f64 v[36:37], v[4:5], v[36:37]
	v_fma_f64 v[174:175], v[174:175], v[30:31], v[219:220]
	v_fma_f64 v[172:173], v[172:173], v[30:31], -v[32:33]
	scratch_load_b128 v[30:33], off, off offset:736
	s_waitcnt vmcnt(8) lgkmcnt(0)
	v_mul_f64 v[219:220], v[168:169], v[40:41]
	v_mul_f64 v[40:41], v[170:171], v[40:41]
	v_add_f64 v[199:200], v[199:200], v[223:224]
	v_add_f64 v[217:218], v[217:218], v[221:222]
	v_fma_f64 v[221:222], v[4:5], v[34:35], v[225:226]
	v_fma_f64 v[223:224], v[2:3], v[34:35], -v[36:37]
	ds_load_b128 v[2:5], v1 offset:1472
	scratch_load_b128 v[34:37], off, off offset:752
	v_fma_f64 v[170:171], v[170:171], v[38:39], v[219:220]
	v_fma_f64 v[168:169], v[168:169], v[38:39], -v[40:41]
	scratch_load_b128 v[38:41], off, off offset:768
	v_add_f64 v[199:200], v[199:200], v[172:173]
	v_add_f64 v[217:218], v[217:218], v[174:175]
	ds_load_b128 v[172:175], v1 offset:1488
	s_waitcnt vmcnt(9) lgkmcnt(1)
	v_mul_f64 v[225:226], v[2:3], v[44:45]
	v_mul_f64 v[44:45], v[4:5], v[44:45]
	s_waitcnt vmcnt(8) lgkmcnt(0)
	v_mul_f64 v[219:220], v[172:173], v[8:9]
	v_mul_f64 v[8:9], v[174:175], v[8:9]
	v_add_f64 v[199:200], v[199:200], v[223:224]
	v_add_f64 v[217:218], v[217:218], v[221:222]
	v_fma_f64 v[221:222], v[4:5], v[42:43], v[225:226]
	v_fma_f64 v[223:224], v[2:3], v[42:43], -v[44:45]
	ds_load_b128 v[2:5], v1 offset:1504
	scratch_load_b128 v[42:45], off, off offset:784
	v_fma_f64 v[174:175], v[174:175], v[6:7], v[219:220]
	v_fma_f64 v[172:173], v[172:173], v[6:7], -v[8:9]
	scratch_load_b128 v[6:9], off, off offset:800
	v_add_f64 v[199:200], v[199:200], v[168:169]
	v_add_f64 v[217:218], v[217:218], v[170:171]
	ds_load_b128 v[168:171], v1 offset:1520
	s_waitcnt vmcnt(9) lgkmcnt(1)
	v_mul_f64 v[225:226], v[2:3], v[12:13]
	v_mul_f64 v[12:13], v[4:5], v[12:13]
	;; [unrolled: 18-line block ×3, first 2 shown]
	s_waitcnt vmcnt(8) lgkmcnt(0)
	v_mul_f64 v[219:220], v[172:173], v[24:25]
	v_mul_f64 v[24:25], v[174:175], v[24:25]
	v_add_f64 v[199:200], v[199:200], v[223:224]
	v_add_f64 v[217:218], v[217:218], v[221:222]
	v_fma_f64 v[221:222], v[4:5], v[18:19], v[225:226]
	v_fma_f64 v[223:224], v[2:3], v[18:19], -v[20:21]
	ds_load_b128 v[2:5], v1 offset:1568
	ds_load_b128 v[18:21], v1 offset:1584
	v_fma_f64 v[174:175], v[174:175], v[22:23], v[219:220]
	v_fma_f64 v[22:23], v[172:173], v[22:23], -v[24:25]
	v_add_f64 v[168:169], v[199:200], v[168:169]
	v_add_f64 v[170:171], v[217:218], v[170:171]
	s_waitcnt vmcnt(7) lgkmcnt(1)
	v_mul_f64 v[199:200], v[2:3], v[28:29]
	v_mul_f64 v[28:29], v[4:5], v[28:29]
	s_delay_alu instid0(VALU_DEP_4) | instskip(NEXT) | instid1(VALU_DEP_4)
	v_add_f64 v[24:25], v[168:169], v[223:224]
	v_add_f64 v[168:169], v[170:171], v[221:222]
	s_waitcnt vmcnt(6) lgkmcnt(0)
	v_mul_f64 v[170:171], v[18:19], v[32:33]
	v_mul_f64 v[32:33], v[20:21], v[32:33]
	v_fma_f64 v[172:173], v[4:5], v[26:27], v[199:200]
	v_fma_f64 v[26:27], v[2:3], v[26:27], -v[28:29]
	v_add_f64 v[28:29], v[24:25], v[22:23]
	v_add_f64 v[168:169], v[168:169], v[174:175]
	ds_load_b128 v[2:5], v1 offset:1600
	ds_load_b128 v[22:25], v1 offset:1616
	v_fma_f64 v[20:21], v[20:21], v[30:31], v[170:171]
	v_fma_f64 v[18:19], v[18:19], v[30:31], -v[32:33]
	s_waitcnt vmcnt(5) lgkmcnt(1)
	v_mul_f64 v[174:175], v[2:3], v[36:37]
	v_mul_f64 v[36:37], v[4:5], v[36:37]
	s_waitcnt vmcnt(4) lgkmcnt(0)
	v_mul_f64 v[30:31], v[22:23], v[40:41]
	v_mul_f64 v[32:33], v[24:25], v[40:41]
	v_add_f64 v[26:27], v[28:29], v[26:27]
	v_add_f64 v[28:29], v[168:169], v[172:173]
	v_fma_f64 v[40:41], v[4:5], v[34:35], v[174:175]
	v_fma_f64 v[34:35], v[2:3], v[34:35], -v[36:37]
	v_fma_f64 v[24:25], v[24:25], v[38:39], v[30:31]
	v_fma_f64 v[22:23], v[22:23], v[38:39], -v[32:33]
	v_add_f64 v[26:27], v[26:27], v[18:19]
	v_add_f64 v[28:29], v[28:29], v[20:21]
	ds_load_b128 v[2:5], v1 offset:1632
	ds_load_b128 v[18:21], v1 offset:1648
	s_waitcnt vmcnt(3) lgkmcnt(1)
	v_mul_f64 v[36:37], v[2:3], v[44:45]
	v_mul_f64 v[44:45], v[4:5], v[44:45]
	s_waitcnt vmcnt(2) lgkmcnt(0)
	v_mul_f64 v[30:31], v[18:19], v[8:9]
	v_mul_f64 v[8:9], v[20:21], v[8:9]
	v_add_f64 v[26:27], v[26:27], v[34:35]
	v_add_f64 v[28:29], v[28:29], v[40:41]
	v_fma_f64 v[32:33], v[4:5], v[42:43], v[36:37]
	v_fma_f64 v[34:35], v[2:3], v[42:43], -v[44:45]
	v_fma_f64 v[20:21], v[20:21], v[6:7], v[30:31]
	v_fma_f64 v[6:7], v[18:19], v[6:7], -v[8:9]
	v_add_f64 v[26:27], v[26:27], v[22:23]
	v_add_f64 v[28:29], v[28:29], v[24:25]
	ds_load_b128 v[2:5], v1 offset:1664
	ds_load_b128 v[22:25], v1 offset:1680
	s_waitcnt vmcnt(1) lgkmcnt(1)
	v_mul_f64 v[36:37], v[2:3], v[12:13]
	v_mul_f64 v[12:13], v[4:5], v[12:13]
	v_add_f64 v[8:9], v[26:27], v[34:35]
	v_add_f64 v[18:19], v[28:29], v[32:33]
	s_waitcnt vmcnt(0) lgkmcnt(0)
	v_mul_f64 v[26:27], v[22:23], v[16:17]
	v_mul_f64 v[16:17], v[24:25], v[16:17]
	v_fma_f64 v[4:5], v[4:5], v[10:11], v[36:37]
	v_fma_f64 v[1:2], v[2:3], v[10:11], -v[12:13]
	v_add_f64 v[6:7], v[8:9], v[6:7]
	v_add_f64 v[8:9], v[18:19], v[20:21]
	v_fma_f64 v[10:11], v[24:25], v[14:15], v[26:27]
	v_fma_f64 v[12:13], v[22:23], v[14:15], -v[16:17]
	s_delay_alu instid0(VALU_DEP_4) | instskip(NEXT) | instid1(VALU_DEP_4)
	v_add_f64 v[1:2], v[6:7], v[1:2]
	v_add_f64 v[3:4], v[8:9], v[4:5]
	s_delay_alu instid0(VALU_DEP_2) | instskip(NEXT) | instid1(VALU_DEP_2)
	v_add_f64 v[1:2], v[1:2], v[12:13]
	v_add_f64 v[3:4], v[3:4], v[10:11]
	s_delay_alu instid0(VALU_DEP_2) | instskip(NEXT) | instid1(VALU_DEP_2)
	v_add_f64 v[1:2], v[164:165], -v[1:2]
	v_add_f64 v[3:4], v[166:167], -v[3:4]
	scratch_store_b128 off, v[1:4], off offset:288
	v_cmpx_lt_u32_e32 17, v152
	s_cbranch_execz .LBB116_297
; %bb.296:
	scratch_load_b128 v[1:4], v188, off
	v_mov_b32_e32 v5, 0
	s_delay_alu instid0(VALU_DEP_1)
	v_mov_b32_e32 v6, v5
	v_mov_b32_e32 v7, v5
	;; [unrolled: 1-line block ×3, first 2 shown]
	scratch_store_b128 off, v[5:8], off offset:272
	s_waitcnt vmcnt(0)
	ds_store_b128 v205, v[1:4]
.LBB116_297:
	s_or_b32 exec_lo, exec_lo, s2
	s_waitcnt lgkmcnt(0)
	s_waitcnt_vscnt null, 0x0
	s_barrier
	buffer_gl0_inv
	s_clause 0x7
	scratch_load_b128 v[2:5], off, off offset:288
	scratch_load_b128 v[6:9], off, off offset:304
	;; [unrolled: 1-line block ×8, first 2 shown]
	v_mov_b32_e32 v1, 0
	s_mov_b32 s2, exec_lo
	ds_load_b128 v[38:41], v1 offset:1136
	s_clause 0x1
	scratch_load_b128 v[34:37], off, off offset:416
	scratch_load_b128 v[42:45], off, off offset:272
	ds_load_b128 v[164:167], v1 offset:1152
	scratch_load_b128 v[168:171], off, off offset:432
	s_waitcnt vmcnt(10) lgkmcnt(1)
	v_mul_f64 v[172:173], v[40:41], v[4:5]
	v_mul_f64 v[4:5], v[38:39], v[4:5]
	s_delay_alu instid0(VALU_DEP_2) | instskip(NEXT) | instid1(VALU_DEP_2)
	v_fma_f64 v[217:218], v[38:39], v[2:3], -v[172:173]
	v_fma_f64 v[219:220], v[40:41], v[2:3], v[4:5]
	scratch_load_b128 v[38:41], off, off offset:448
	ds_load_b128 v[2:5], v1 offset:1168
	s_waitcnt vmcnt(10) lgkmcnt(1)
	v_mul_f64 v[199:200], v[164:165], v[8:9]
	v_mul_f64 v[8:9], v[166:167], v[8:9]
	ds_load_b128 v[172:175], v1 offset:1184
	s_waitcnt vmcnt(9) lgkmcnt(1)
	v_mul_f64 v[221:222], v[2:3], v[12:13]
	v_mul_f64 v[12:13], v[4:5], v[12:13]
	v_fma_f64 v[166:167], v[166:167], v[6:7], v[199:200]
	v_fma_f64 v[164:165], v[164:165], v[6:7], -v[8:9]
	v_add_f64 v[199:200], v[217:218], 0
	v_add_f64 v[217:218], v[219:220], 0
	scratch_load_b128 v[6:9], off, off offset:464
	v_fma_f64 v[221:222], v[4:5], v[10:11], v[221:222]
	v_fma_f64 v[223:224], v[2:3], v[10:11], -v[12:13]
	scratch_load_b128 v[10:13], off, off offset:480
	ds_load_b128 v[2:5], v1 offset:1200
	s_waitcnt vmcnt(10) lgkmcnt(1)
	v_mul_f64 v[219:220], v[172:173], v[16:17]
	v_mul_f64 v[16:17], v[174:175], v[16:17]
	v_add_f64 v[199:200], v[199:200], v[164:165]
	v_add_f64 v[217:218], v[217:218], v[166:167]
	s_waitcnt vmcnt(9) lgkmcnt(0)
	v_mul_f64 v[225:226], v[2:3], v[20:21]
	v_mul_f64 v[20:21], v[4:5], v[20:21]
	ds_load_b128 v[164:167], v1 offset:1216
	v_fma_f64 v[174:175], v[174:175], v[14:15], v[219:220]
	v_fma_f64 v[172:173], v[172:173], v[14:15], -v[16:17]
	scratch_load_b128 v[14:17], off, off offset:496
	v_add_f64 v[199:200], v[199:200], v[223:224]
	v_add_f64 v[217:218], v[217:218], v[221:222]
	v_fma_f64 v[221:222], v[4:5], v[18:19], v[225:226]
	v_fma_f64 v[223:224], v[2:3], v[18:19], -v[20:21]
	scratch_load_b128 v[18:21], off, off offset:512
	ds_load_b128 v[2:5], v1 offset:1232
	s_waitcnt vmcnt(10) lgkmcnt(1)
	v_mul_f64 v[219:220], v[164:165], v[24:25]
	v_mul_f64 v[24:25], v[166:167], v[24:25]
	s_waitcnt vmcnt(9) lgkmcnt(0)
	v_mul_f64 v[225:226], v[2:3], v[28:29]
	v_mul_f64 v[28:29], v[4:5], v[28:29]
	v_add_f64 v[199:200], v[199:200], v[172:173]
	v_add_f64 v[217:218], v[217:218], v[174:175]
	ds_load_b128 v[172:175], v1 offset:1248
	v_fma_f64 v[166:167], v[166:167], v[22:23], v[219:220]
	v_fma_f64 v[164:165], v[164:165], v[22:23], -v[24:25]
	scratch_load_b128 v[22:25], off, off offset:528
	v_add_f64 v[199:200], v[199:200], v[223:224]
	v_add_f64 v[217:218], v[217:218], v[221:222]
	v_fma_f64 v[221:222], v[4:5], v[26:27], v[225:226]
	v_fma_f64 v[223:224], v[2:3], v[26:27], -v[28:29]
	scratch_load_b128 v[26:29], off, off offset:544
	ds_load_b128 v[2:5], v1 offset:1264
	s_waitcnt vmcnt(10) lgkmcnt(1)
	v_mul_f64 v[219:220], v[172:173], v[32:33]
	v_mul_f64 v[32:33], v[174:175], v[32:33]
	s_waitcnt vmcnt(9) lgkmcnt(0)
	v_mul_f64 v[225:226], v[2:3], v[36:37]
	v_mul_f64 v[36:37], v[4:5], v[36:37]
	v_add_f64 v[199:200], v[199:200], v[164:165]
	v_add_f64 v[217:218], v[217:218], v[166:167]
	ds_load_b128 v[164:167], v1 offset:1280
	v_fma_f64 v[174:175], v[174:175], v[30:31], v[219:220]
	v_fma_f64 v[172:173], v[172:173], v[30:31], -v[32:33]
	scratch_load_b128 v[30:33], off, off offset:560
	v_add_f64 v[199:200], v[199:200], v[223:224]
	v_add_f64 v[217:218], v[217:218], v[221:222]
	v_fma_f64 v[223:224], v[4:5], v[34:35], v[225:226]
	v_fma_f64 v[225:226], v[2:3], v[34:35], -v[36:37]
	scratch_load_b128 v[34:37], off, off offset:576
	ds_load_b128 v[2:5], v1 offset:1296
	s_waitcnt vmcnt(9) lgkmcnt(1)
	v_mul_f64 v[219:220], v[164:165], v[170:171]
	v_mul_f64 v[221:222], v[166:167], v[170:171]
	v_add_f64 v[199:200], v[199:200], v[172:173]
	v_add_f64 v[174:175], v[217:218], v[174:175]
	ds_load_b128 v[170:173], v1 offset:1312
	v_fma_f64 v[219:220], v[166:167], v[168:169], v[219:220]
	v_fma_f64 v[168:169], v[164:165], v[168:169], -v[221:222]
	scratch_load_b128 v[164:167], off, off offset:592
	s_waitcnt vmcnt(9) lgkmcnt(1)
	v_mul_f64 v[217:218], v[2:3], v[40:41]
	v_mul_f64 v[40:41], v[4:5], v[40:41]
	v_add_f64 v[199:200], v[199:200], v[225:226]
	v_add_f64 v[174:175], v[174:175], v[223:224]
	s_delay_alu instid0(VALU_DEP_4) | instskip(NEXT) | instid1(VALU_DEP_4)
	v_fma_f64 v[223:224], v[4:5], v[38:39], v[217:218]
	v_fma_f64 v[225:226], v[2:3], v[38:39], -v[40:41]
	scratch_load_b128 v[38:41], off, off offset:608
	ds_load_b128 v[2:5], v1 offset:1328
	s_waitcnt vmcnt(9) lgkmcnt(1)
	v_mul_f64 v[221:222], v[170:171], v[8:9]
	v_mul_f64 v[8:9], v[172:173], v[8:9]
	v_add_f64 v[168:169], v[199:200], v[168:169]
	v_add_f64 v[174:175], v[174:175], v[219:220]
	s_waitcnt vmcnt(8) lgkmcnt(0)
	v_mul_f64 v[199:200], v[2:3], v[12:13]
	v_mul_f64 v[12:13], v[4:5], v[12:13]
	ds_load_b128 v[217:220], v1 offset:1344
	v_fma_f64 v[172:173], v[172:173], v[6:7], v[221:222]
	v_fma_f64 v[170:171], v[170:171], v[6:7], -v[8:9]
	scratch_load_b128 v[6:9], off, off offset:624
	v_add_f64 v[168:169], v[168:169], v[225:226]
	v_add_f64 v[174:175], v[174:175], v[223:224]
	v_fma_f64 v[199:200], v[4:5], v[10:11], v[199:200]
	v_fma_f64 v[223:224], v[2:3], v[10:11], -v[12:13]
	scratch_load_b128 v[10:13], off, off offset:640
	ds_load_b128 v[2:5], v1 offset:1360
	s_waitcnt vmcnt(9) lgkmcnt(1)
	v_mul_f64 v[221:222], v[217:218], v[16:17]
	v_mul_f64 v[16:17], v[219:220], v[16:17]
	v_add_f64 v[225:226], v[168:169], v[170:171]
	v_add_f64 v[172:173], v[174:175], v[172:173]
	s_waitcnt vmcnt(8) lgkmcnt(0)
	v_mul_f64 v[174:175], v[2:3], v[20:21]
	v_mul_f64 v[20:21], v[4:5], v[20:21]
	ds_load_b128 v[168:171], v1 offset:1376
	v_fma_f64 v[219:220], v[219:220], v[14:15], v[221:222]
	v_fma_f64 v[217:218], v[217:218], v[14:15], -v[16:17]
	scratch_load_b128 v[14:17], off, off offset:656
	v_add_f64 v[221:222], v[225:226], v[223:224]
	v_add_f64 v[172:173], v[172:173], v[199:200]
	;; [unrolled: 18-line block ×3, first 2 shown]
	v_fma_f64 v[221:222], v[4:5], v[26:27], v[221:222]
	v_fma_f64 v[223:224], v[2:3], v[26:27], -v[28:29]
	scratch_load_b128 v[26:29], off, off offset:704
	ds_load_b128 v[2:5], v1 offset:1424
	s_waitcnt vmcnt(9) lgkmcnt(1)
	v_mul_f64 v[219:220], v[172:173], v[32:33]
	v_mul_f64 v[32:33], v[174:175], v[32:33]
	s_waitcnt vmcnt(8) lgkmcnt(0)
	v_mul_f64 v[225:226], v[2:3], v[36:37]
	v_mul_f64 v[36:37], v[4:5], v[36:37]
	v_add_f64 v[199:200], v[199:200], v[168:169]
	v_add_f64 v[217:218], v[217:218], v[170:171]
	ds_load_b128 v[168:171], v1 offset:1440
	v_fma_f64 v[174:175], v[174:175], v[30:31], v[219:220]
	v_fma_f64 v[172:173], v[172:173], v[30:31], -v[32:33]
	scratch_load_b128 v[30:33], off, off offset:720
	v_add_f64 v[199:200], v[199:200], v[223:224]
	v_add_f64 v[217:218], v[217:218], v[221:222]
	v_fma_f64 v[221:222], v[4:5], v[34:35], v[225:226]
	v_fma_f64 v[223:224], v[2:3], v[34:35], -v[36:37]
	scratch_load_b128 v[34:37], off, off offset:736
	ds_load_b128 v[2:5], v1 offset:1456
	s_waitcnt vmcnt(9) lgkmcnt(1)
	v_mul_f64 v[219:220], v[168:169], v[166:167]
	v_mul_f64 v[166:167], v[170:171], v[166:167]
	s_waitcnt vmcnt(8) lgkmcnt(0)
	v_mul_f64 v[225:226], v[2:3], v[40:41]
	v_mul_f64 v[40:41], v[4:5], v[40:41]
	v_add_f64 v[199:200], v[199:200], v[172:173]
	v_add_f64 v[217:218], v[217:218], v[174:175]
	ds_load_b128 v[172:175], v1 offset:1472
	v_fma_f64 v[170:171], v[170:171], v[164:165], v[219:220]
	v_fma_f64 v[168:169], v[168:169], v[164:165], -v[166:167]
	scratch_load_b128 v[164:167], off, off offset:752
	v_add_f64 v[199:200], v[199:200], v[223:224]
	v_add_f64 v[217:218], v[217:218], v[221:222]
	;; [unrolled: 18-line block ×4, first 2 shown]
	v_fma_f64 v[221:222], v[4:5], v[18:19], v[225:226]
	v_fma_f64 v[223:224], v[2:3], v[18:19], -v[20:21]
	scratch_load_b128 v[18:21], off, off offset:832
	ds_load_b128 v[2:5], v1 offset:1552
	s_waitcnt vmcnt(9) lgkmcnt(1)
	v_mul_f64 v[219:220], v[172:173], v[24:25]
	v_mul_f64 v[24:25], v[174:175], v[24:25]
	s_waitcnt vmcnt(8) lgkmcnt(0)
	v_mul_f64 v[225:226], v[2:3], v[28:29]
	v_mul_f64 v[28:29], v[4:5], v[28:29]
	v_add_f64 v[199:200], v[199:200], v[168:169]
	v_add_f64 v[217:218], v[217:218], v[170:171]
	ds_load_b128 v[168:171], v1 offset:1568
	v_fma_f64 v[174:175], v[174:175], v[22:23], v[219:220]
	v_fma_f64 v[22:23], v[172:173], v[22:23], -v[24:25]
	v_add_f64 v[24:25], v[199:200], v[223:224]
	v_add_f64 v[172:173], v[217:218], v[221:222]
	s_waitcnt vmcnt(7) lgkmcnt(0)
	v_mul_f64 v[199:200], v[168:169], v[32:33]
	v_mul_f64 v[32:33], v[170:171], v[32:33]
	v_fma_f64 v[217:218], v[4:5], v[26:27], v[225:226]
	v_fma_f64 v[26:27], v[2:3], v[26:27], -v[28:29]
	v_add_f64 v[28:29], v[24:25], v[22:23]
	v_add_f64 v[172:173], v[172:173], v[174:175]
	ds_load_b128 v[2:5], v1 offset:1584
	ds_load_b128 v[22:25], v1 offset:1600
	v_fma_f64 v[170:171], v[170:171], v[30:31], v[199:200]
	v_fma_f64 v[30:31], v[168:169], v[30:31], -v[32:33]
	s_waitcnt vmcnt(6) lgkmcnt(1)
	v_mul_f64 v[174:175], v[2:3], v[36:37]
	v_mul_f64 v[36:37], v[4:5], v[36:37]
	s_waitcnt vmcnt(5) lgkmcnt(0)
	v_mul_f64 v[32:33], v[22:23], v[166:167]
	v_mul_f64 v[166:167], v[24:25], v[166:167]
	v_add_f64 v[26:27], v[28:29], v[26:27]
	v_add_f64 v[28:29], v[172:173], v[217:218]
	v_fma_f64 v[168:169], v[4:5], v[34:35], v[174:175]
	v_fma_f64 v[34:35], v[2:3], v[34:35], -v[36:37]
	v_fma_f64 v[24:25], v[24:25], v[164:165], v[32:33]
	v_fma_f64 v[22:23], v[22:23], v[164:165], -v[166:167]
	v_add_f64 v[30:31], v[26:27], v[30:31]
	v_add_f64 v[36:37], v[28:29], v[170:171]
	ds_load_b128 v[2:5], v1 offset:1616
	ds_load_b128 v[26:29], v1 offset:1632
	s_waitcnt vmcnt(4) lgkmcnt(1)
	v_mul_f64 v[170:171], v[2:3], v[40:41]
	v_mul_f64 v[40:41], v[4:5], v[40:41]
	v_add_f64 v[30:31], v[30:31], v[34:35]
	v_add_f64 v[32:33], v[36:37], v[168:169]
	s_waitcnt vmcnt(3) lgkmcnt(0)
	v_mul_f64 v[34:35], v[26:27], v[8:9]
	v_mul_f64 v[8:9], v[28:29], v[8:9]
	v_fma_f64 v[36:37], v[4:5], v[38:39], v[170:171]
	v_fma_f64 v[38:39], v[2:3], v[38:39], -v[40:41]
	v_add_f64 v[30:31], v[30:31], v[22:23]
	v_add_f64 v[32:33], v[32:33], v[24:25]
	ds_load_b128 v[2:5], v1 offset:1648
	ds_load_b128 v[22:25], v1 offset:1664
	v_fma_f64 v[28:29], v[28:29], v[6:7], v[34:35]
	v_fma_f64 v[6:7], v[26:27], v[6:7], -v[8:9]
	s_waitcnt vmcnt(2) lgkmcnt(1)
	v_mul_f64 v[40:41], v[2:3], v[12:13]
	v_mul_f64 v[12:13], v[4:5], v[12:13]
	v_add_f64 v[8:9], v[30:31], v[38:39]
	v_add_f64 v[26:27], v[32:33], v[36:37]
	s_waitcnt vmcnt(1) lgkmcnt(0)
	v_mul_f64 v[30:31], v[22:23], v[16:17]
	v_mul_f64 v[16:17], v[24:25], v[16:17]
	v_fma_f64 v[32:33], v[4:5], v[10:11], v[40:41]
	v_fma_f64 v[10:11], v[2:3], v[10:11], -v[12:13]
	ds_load_b128 v[2:5], v1 offset:1680
	v_add_f64 v[6:7], v[8:9], v[6:7]
	v_add_f64 v[8:9], v[26:27], v[28:29]
	v_fma_f64 v[24:25], v[24:25], v[14:15], v[30:31]
	v_fma_f64 v[14:15], v[22:23], v[14:15], -v[16:17]
	s_waitcnt vmcnt(0) lgkmcnt(0)
	v_mul_f64 v[12:13], v[2:3], v[20:21]
	v_mul_f64 v[20:21], v[4:5], v[20:21]
	v_add_f64 v[6:7], v[6:7], v[10:11]
	v_add_f64 v[8:9], v[8:9], v[32:33]
	s_delay_alu instid0(VALU_DEP_4) | instskip(NEXT) | instid1(VALU_DEP_4)
	v_fma_f64 v[4:5], v[4:5], v[18:19], v[12:13]
	v_fma_f64 v[2:3], v[2:3], v[18:19], -v[20:21]
	s_delay_alu instid0(VALU_DEP_4) | instskip(NEXT) | instid1(VALU_DEP_4)
	v_add_f64 v[6:7], v[6:7], v[14:15]
	v_add_f64 v[8:9], v[8:9], v[24:25]
	s_delay_alu instid0(VALU_DEP_2) | instskip(NEXT) | instid1(VALU_DEP_2)
	v_add_f64 v[2:3], v[6:7], v[2:3]
	v_add_f64 v[4:5], v[8:9], v[4:5]
	s_delay_alu instid0(VALU_DEP_2) | instskip(NEXT) | instid1(VALU_DEP_2)
	v_add_f64 v[2:3], v[42:43], -v[2:3]
	v_add_f64 v[4:5], v[44:45], -v[4:5]
	scratch_store_b128 off, v[2:5], off offset:272
	v_cmpx_lt_u32_e32 16, v152
	s_cbranch_execz .LBB116_299
; %bb.298:
	scratch_load_b128 v[5:8], v189, off
	v_mov_b32_e32 v2, v1
	v_mov_b32_e32 v3, v1
	v_mov_b32_e32 v4, v1
	scratch_store_b128 off, v[1:4], off offset:256
	s_waitcnt vmcnt(0)
	ds_store_b128 v205, v[5:8]
.LBB116_299:
	s_or_b32 exec_lo, exec_lo, s2
	s_waitcnt lgkmcnt(0)
	s_waitcnt_vscnt null, 0x0
	s_barrier
	buffer_gl0_inv
	s_clause 0x8
	scratch_load_b128 v[2:5], off, off offset:272
	scratch_load_b128 v[6:9], off, off offset:288
	;; [unrolled: 1-line block ×9, first 2 shown]
	ds_load_b128 v[42:45], v1 offset:1120
	ds_load_b128 v[38:41], v1 offset:1136
	s_clause 0x1
	scratch_load_b128 v[164:167], off, off offset:256
	scratch_load_b128 v[168:171], off, off offset:416
	s_mov_b32 s2, exec_lo
	s_waitcnt vmcnt(10) lgkmcnt(1)
	v_mul_f64 v[172:173], v[44:45], v[4:5]
	v_mul_f64 v[4:5], v[42:43], v[4:5]
	s_waitcnt vmcnt(9) lgkmcnt(0)
	v_mul_f64 v[199:200], v[38:39], v[8:9]
	v_mul_f64 v[8:9], v[40:41], v[8:9]
	s_delay_alu instid0(VALU_DEP_4) | instskip(NEXT) | instid1(VALU_DEP_4)
	v_fma_f64 v[217:218], v[42:43], v[2:3], -v[172:173]
	v_fma_f64 v[219:220], v[44:45], v[2:3], v[4:5]
	ds_load_b128 v[2:5], v1 offset:1152
	ds_load_b128 v[172:175], v1 offset:1168
	scratch_load_b128 v[42:45], off, off offset:432
	v_fma_f64 v[40:41], v[40:41], v[6:7], v[199:200]
	v_fma_f64 v[38:39], v[38:39], v[6:7], -v[8:9]
	scratch_load_b128 v[6:9], off, off offset:448
	s_waitcnt vmcnt(10) lgkmcnt(1)
	v_mul_f64 v[221:222], v[2:3], v[12:13]
	v_mul_f64 v[12:13], v[4:5], v[12:13]
	v_add_f64 v[199:200], v[217:218], 0
	v_add_f64 v[217:218], v[219:220], 0
	s_waitcnt vmcnt(9) lgkmcnt(0)
	v_mul_f64 v[219:220], v[172:173], v[16:17]
	v_mul_f64 v[16:17], v[174:175], v[16:17]
	v_fma_f64 v[221:222], v[4:5], v[10:11], v[221:222]
	v_fma_f64 v[223:224], v[2:3], v[10:11], -v[12:13]
	ds_load_b128 v[2:5], v1 offset:1184
	scratch_load_b128 v[10:13], off, off offset:464
	v_add_f64 v[199:200], v[199:200], v[38:39]
	v_add_f64 v[217:218], v[217:218], v[40:41]
	ds_load_b128 v[38:41], v1 offset:1200
	v_fma_f64 v[174:175], v[174:175], v[14:15], v[219:220]
	v_fma_f64 v[172:173], v[172:173], v[14:15], -v[16:17]
	scratch_load_b128 v[14:17], off, off offset:480
	s_waitcnt vmcnt(10) lgkmcnt(1)
	v_mul_f64 v[225:226], v[2:3], v[20:21]
	v_mul_f64 v[20:21], v[4:5], v[20:21]
	s_waitcnt vmcnt(9) lgkmcnt(0)
	v_mul_f64 v[219:220], v[38:39], v[24:25]
	v_mul_f64 v[24:25], v[40:41], v[24:25]
	v_add_f64 v[199:200], v[199:200], v[223:224]
	v_add_f64 v[217:218], v[217:218], v[221:222]
	v_fma_f64 v[221:222], v[4:5], v[18:19], v[225:226]
	v_fma_f64 v[223:224], v[2:3], v[18:19], -v[20:21]
	ds_load_b128 v[2:5], v1 offset:1216
	scratch_load_b128 v[18:21], off, off offset:496
	v_fma_f64 v[40:41], v[40:41], v[22:23], v[219:220]
	v_fma_f64 v[38:39], v[38:39], v[22:23], -v[24:25]
	scratch_load_b128 v[22:25], off, off offset:512
	v_add_f64 v[199:200], v[199:200], v[172:173]
	v_add_f64 v[217:218], v[217:218], v[174:175]
	ds_load_b128 v[172:175], v1 offset:1232
	s_waitcnt vmcnt(10) lgkmcnt(1)
	v_mul_f64 v[225:226], v[2:3], v[28:29]
	v_mul_f64 v[28:29], v[4:5], v[28:29]
	s_waitcnt vmcnt(9) lgkmcnt(0)
	v_mul_f64 v[219:220], v[172:173], v[32:33]
	v_mul_f64 v[32:33], v[174:175], v[32:33]
	v_add_f64 v[199:200], v[199:200], v[223:224]
	v_add_f64 v[217:218], v[217:218], v[221:222]
	v_fma_f64 v[221:222], v[4:5], v[26:27], v[225:226]
	v_fma_f64 v[223:224], v[2:3], v[26:27], -v[28:29]
	ds_load_b128 v[2:5], v1 offset:1248
	scratch_load_b128 v[26:29], off, off offset:528
	v_fma_f64 v[174:175], v[174:175], v[30:31], v[219:220]
	v_fma_f64 v[172:173], v[172:173], v[30:31], -v[32:33]
	scratch_load_b128 v[30:33], off, off offset:544
	v_add_f64 v[199:200], v[199:200], v[38:39]
	v_add_f64 v[217:218], v[217:218], v[40:41]
	ds_load_b128 v[38:41], v1 offset:1264
	s_waitcnt vmcnt(10) lgkmcnt(1)
	v_mul_f64 v[225:226], v[2:3], v[36:37]
	v_mul_f64 v[36:37], v[4:5], v[36:37]
	s_waitcnt vmcnt(8) lgkmcnt(0)
	v_mul_f64 v[219:220], v[38:39], v[170:171]
	v_add_f64 v[199:200], v[199:200], v[223:224]
	v_add_f64 v[217:218], v[217:218], v[221:222]
	v_mul_f64 v[221:222], v[40:41], v[170:171]
	v_fma_f64 v[223:224], v[4:5], v[34:35], v[225:226]
	v_fma_f64 v[225:226], v[2:3], v[34:35], -v[36:37]
	ds_load_b128 v[2:5], v1 offset:1280
	scratch_load_b128 v[34:37], off, off offset:560
	v_fma_f64 v[219:220], v[40:41], v[168:169], v[219:220]
	v_add_f64 v[199:200], v[199:200], v[172:173]
	v_add_f64 v[174:175], v[217:218], v[174:175]
	ds_load_b128 v[170:173], v1 offset:1296
	v_fma_f64 v[168:169], v[38:39], v[168:169], -v[221:222]
	scratch_load_b128 v[38:41], off, off offset:576
	s_waitcnt vmcnt(9) lgkmcnt(1)
	v_mul_f64 v[217:218], v[2:3], v[44:45]
	v_mul_f64 v[44:45], v[4:5], v[44:45]
	s_waitcnt vmcnt(8) lgkmcnt(0)
	v_mul_f64 v[221:222], v[170:171], v[8:9]
	v_mul_f64 v[8:9], v[172:173], v[8:9]
	v_add_f64 v[199:200], v[199:200], v[225:226]
	v_add_f64 v[174:175], v[174:175], v[223:224]
	v_fma_f64 v[223:224], v[4:5], v[42:43], v[217:218]
	v_fma_f64 v[225:226], v[2:3], v[42:43], -v[44:45]
	ds_load_b128 v[2:5], v1 offset:1312
	scratch_load_b128 v[42:45], off, off offset:592
	v_fma_f64 v[172:173], v[172:173], v[6:7], v[221:222]
	v_fma_f64 v[170:171], v[170:171], v[6:7], -v[8:9]
	scratch_load_b128 v[6:9], off, off offset:608
	v_add_f64 v[168:169], v[199:200], v[168:169]
	v_add_f64 v[174:175], v[174:175], v[219:220]
	ds_load_b128 v[217:220], v1 offset:1328
	s_waitcnt vmcnt(9) lgkmcnt(1)
	v_mul_f64 v[199:200], v[2:3], v[12:13]
	v_mul_f64 v[12:13], v[4:5], v[12:13]
	s_waitcnt vmcnt(8) lgkmcnt(0)
	v_mul_f64 v[221:222], v[217:218], v[16:17]
	v_mul_f64 v[16:17], v[219:220], v[16:17]
	v_add_f64 v[168:169], v[168:169], v[225:226]
	v_add_f64 v[174:175], v[174:175], v[223:224]
	v_fma_f64 v[199:200], v[4:5], v[10:11], v[199:200]
	v_fma_f64 v[223:224], v[2:3], v[10:11], -v[12:13]
	ds_load_b128 v[2:5], v1 offset:1344
	scratch_load_b128 v[10:13], off, off offset:624
	v_fma_f64 v[219:220], v[219:220], v[14:15], v[221:222]
	v_fma_f64 v[217:218], v[217:218], v[14:15], -v[16:17]
	scratch_load_b128 v[14:17], off, off offset:640
	v_add_f64 v[225:226], v[168:169], v[170:171]
	v_add_f64 v[172:173], v[174:175], v[172:173]
	ds_load_b128 v[168:171], v1 offset:1360
	s_waitcnt vmcnt(9) lgkmcnt(1)
	v_mul_f64 v[174:175], v[2:3], v[20:21]
	v_mul_f64 v[20:21], v[4:5], v[20:21]
	v_add_f64 v[221:222], v[225:226], v[223:224]
	v_add_f64 v[172:173], v[172:173], v[199:200]
	s_waitcnt vmcnt(8) lgkmcnt(0)
	v_mul_f64 v[199:200], v[168:169], v[24:25]
	v_mul_f64 v[24:25], v[170:171], v[24:25]
	v_fma_f64 v[223:224], v[4:5], v[18:19], v[174:175]
	v_fma_f64 v[225:226], v[2:3], v[18:19], -v[20:21]
	ds_load_b128 v[2:5], v1 offset:1376
	scratch_load_b128 v[18:21], off, off offset:656
	v_add_f64 v[217:218], v[221:222], v[217:218]
	v_add_f64 v[219:220], v[172:173], v[219:220]
	ds_load_b128 v[172:175], v1 offset:1392
	s_waitcnt vmcnt(8) lgkmcnt(1)
	v_mul_f64 v[221:222], v[2:3], v[28:29]
	v_mul_f64 v[28:29], v[4:5], v[28:29]
	v_fma_f64 v[170:171], v[170:171], v[22:23], v[199:200]
	v_fma_f64 v[168:169], v[168:169], v[22:23], -v[24:25]
	scratch_load_b128 v[22:25], off, off offset:672
	v_add_f64 v[199:200], v[217:218], v[225:226]
	v_add_f64 v[217:218], v[219:220], v[223:224]
	s_waitcnt vmcnt(8) lgkmcnt(0)
	v_mul_f64 v[219:220], v[172:173], v[32:33]
	v_mul_f64 v[32:33], v[174:175], v[32:33]
	v_fma_f64 v[221:222], v[4:5], v[26:27], v[221:222]
	v_fma_f64 v[223:224], v[2:3], v[26:27], -v[28:29]
	ds_load_b128 v[2:5], v1 offset:1408
	scratch_load_b128 v[26:29], off, off offset:688
	v_add_f64 v[199:200], v[199:200], v[168:169]
	v_add_f64 v[217:218], v[217:218], v[170:171]
	ds_load_b128 v[168:171], v1 offset:1424
	s_waitcnt vmcnt(8) lgkmcnt(1)
	v_mul_f64 v[225:226], v[2:3], v[36:37]
	v_mul_f64 v[36:37], v[4:5], v[36:37]
	v_fma_f64 v[174:175], v[174:175], v[30:31], v[219:220]
	v_fma_f64 v[172:173], v[172:173], v[30:31], -v[32:33]
	scratch_load_b128 v[30:33], off, off offset:704
	s_waitcnt vmcnt(8) lgkmcnt(0)
	v_mul_f64 v[219:220], v[168:169], v[40:41]
	v_mul_f64 v[40:41], v[170:171], v[40:41]
	v_add_f64 v[199:200], v[199:200], v[223:224]
	v_add_f64 v[217:218], v[217:218], v[221:222]
	v_fma_f64 v[221:222], v[4:5], v[34:35], v[225:226]
	v_fma_f64 v[223:224], v[2:3], v[34:35], -v[36:37]
	ds_load_b128 v[2:5], v1 offset:1440
	scratch_load_b128 v[34:37], off, off offset:720
	v_fma_f64 v[170:171], v[170:171], v[38:39], v[219:220]
	v_fma_f64 v[168:169], v[168:169], v[38:39], -v[40:41]
	scratch_load_b128 v[38:41], off, off offset:736
	v_add_f64 v[199:200], v[199:200], v[172:173]
	v_add_f64 v[217:218], v[217:218], v[174:175]
	ds_load_b128 v[172:175], v1 offset:1456
	s_waitcnt vmcnt(9) lgkmcnt(1)
	v_mul_f64 v[225:226], v[2:3], v[44:45]
	v_mul_f64 v[44:45], v[4:5], v[44:45]
	s_waitcnt vmcnt(8) lgkmcnt(0)
	v_mul_f64 v[219:220], v[172:173], v[8:9]
	v_mul_f64 v[8:9], v[174:175], v[8:9]
	v_add_f64 v[199:200], v[199:200], v[223:224]
	v_add_f64 v[217:218], v[217:218], v[221:222]
	v_fma_f64 v[221:222], v[4:5], v[42:43], v[225:226]
	v_fma_f64 v[223:224], v[2:3], v[42:43], -v[44:45]
	ds_load_b128 v[2:5], v1 offset:1472
	scratch_load_b128 v[42:45], off, off offset:752
	v_fma_f64 v[174:175], v[174:175], v[6:7], v[219:220]
	v_fma_f64 v[172:173], v[172:173], v[6:7], -v[8:9]
	scratch_load_b128 v[6:9], off, off offset:768
	v_add_f64 v[199:200], v[199:200], v[168:169]
	v_add_f64 v[217:218], v[217:218], v[170:171]
	ds_load_b128 v[168:171], v1 offset:1488
	s_waitcnt vmcnt(9) lgkmcnt(1)
	v_mul_f64 v[225:226], v[2:3], v[12:13]
	v_mul_f64 v[12:13], v[4:5], v[12:13]
	;; [unrolled: 18-line block ×4, first 2 shown]
	s_waitcnt vmcnt(8) lgkmcnt(0)
	v_mul_f64 v[219:220], v[168:169], v[32:33]
	v_mul_f64 v[32:33], v[170:171], v[32:33]
	v_add_f64 v[199:200], v[199:200], v[223:224]
	v_add_f64 v[217:218], v[217:218], v[221:222]
	v_fma_f64 v[221:222], v[4:5], v[26:27], v[225:226]
	v_fma_f64 v[223:224], v[2:3], v[26:27], -v[28:29]
	ds_load_b128 v[2:5], v1 offset:1568
	ds_load_b128 v[26:29], v1 offset:1584
	v_fma_f64 v[170:171], v[170:171], v[30:31], v[219:220]
	v_fma_f64 v[30:31], v[168:169], v[30:31], -v[32:33]
	v_add_f64 v[172:173], v[199:200], v[172:173]
	v_add_f64 v[174:175], v[217:218], v[174:175]
	s_waitcnt vmcnt(7) lgkmcnt(1)
	v_mul_f64 v[199:200], v[2:3], v[36:37]
	v_mul_f64 v[36:37], v[4:5], v[36:37]
	s_delay_alu instid0(VALU_DEP_4) | instskip(NEXT) | instid1(VALU_DEP_4)
	v_add_f64 v[32:33], v[172:173], v[223:224]
	v_add_f64 v[168:169], v[174:175], v[221:222]
	s_waitcnt vmcnt(6) lgkmcnt(0)
	v_mul_f64 v[172:173], v[26:27], v[40:41]
	v_mul_f64 v[40:41], v[28:29], v[40:41]
	v_fma_f64 v[174:175], v[4:5], v[34:35], v[199:200]
	v_fma_f64 v[34:35], v[2:3], v[34:35], -v[36:37]
	v_add_f64 v[36:37], v[32:33], v[30:31]
	v_add_f64 v[168:169], v[168:169], v[170:171]
	ds_load_b128 v[2:5], v1 offset:1600
	ds_load_b128 v[30:33], v1 offset:1616
	v_fma_f64 v[28:29], v[28:29], v[38:39], v[172:173]
	v_fma_f64 v[26:27], v[26:27], v[38:39], -v[40:41]
	s_waitcnt vmcnt(5) lgkmcnt(1)
	v_mul_f64 v[170:171], v[2:3], v[44:45]
	v_mul_f64 v[44:45], v[4:5], v[44:45]
	s_waitcnt vmcnt(4) lgkmcnt(0)
	v_mul_f64 v[38:39], v[30:31], v[8:9]
	v_mul_f64 v[8:9], v[32:33], v[8:9]
	v_add_f64 v[34:35], v[36:37], v[34:35]
	v_add_f64 v[36:37], v[168:169], v[174:175]
	v_fma_f64 v[40:41], v[4:5], v[42:43], v[170:171]
	v_fma_f64 v[42:43], v[2:3], v[42:43], -v[44:45]
	v_fma_f64 v[32:33], v[32:33], v[6:7], v[38:39]
	v_fma_f64 v[6:7], v[30:31], v[6:7], -v[8:9]
	v_add_f64 v[34:35], v[34:35], v[26:27]
	v_add_f64 v[36:37], v[36:37], v[28:29]
	ds_load_b128 v[2:5], v1 offset:1632
	ds_load_b128 v[26:29], v1 offset:1648
	s_waitcnt vmcnt(3) lgkmcnt(1)
	v_mul_f64 v[44:45], v[2:3], v[12:13]
	v_mul_f64 v[12:13], v[4:5], v[12:13]
	v_add_f64 v[8:9], v[34:35], v[42:43]
	v_add_f64 v[30:31], v[36:37], v[40:41]
	s_waitcnt vmcnt(2) lgkmcnt(0)
	v_mul_f64 v[34:35], v[26:27], v[16:17]
	v_mul_f64 v[16:17], v[28:29], v[16:17]
	v_fma_f64 v[36:37], v[4:5], v[10:11], v[44:45]
	v_fma_f64 v[10:11], v[2:3], v[10:11], -v[12:13]
	v_add_f64 v[12:13], v[8:9], v[6:7]
	v_add_f64 v[30:31], v[30:31], v[32:33]
	ds_load_b128 v[2:5], v1 offset:1664
	ds_load_b128 v[6:9], v1 offset:1680
	v_fma_f64 v[28:29], v[28:29], v[14:15], v[34:35]
	v_fma_f64 v[14:15], v[26:27], v[14:15], -v[16:17]
	s_waitcnt vmcnt(1) lgkmcnt(1)
	v_mul_f64 v[32:33], v[2:3], v[20:21]
	v_mul_f64 v[20:21], v[4:5], v[20:21]
	s_waitcnt vmcnt(0) lgkmcnt(0)
	v_mul_f64 v[16:17], v[6:7], v[24:25]
	v_mul_f64 v[24:25], v[8:9], v[24:25]
	v_add_f64 v[10:11], v[12:13], v[10:11]
	v_add_f64 v[12:13], v[30:31], v[36:37]
	v_fma_f64 v[4:5], v[4:5], v[18:19], v[32:33]
	v_fma_f64 v[1:2], v[2:3], v[18:19], -v[20:21]
	v_fma_f64 v[8:9], v[8:9], v[22:23], v[16:17]
	v_fma_f64 v[6:7], v[6:7], v[22:23], -v[24:25]
	v_add_f64 v[10:11], v[10:11], v[14:15]
	v_add_f64 v[12:13], v[12:13], v[28:29]
	s_delay_alu instid0(VALU_DEP_2) | instskip(NEXT) | instid1(VALU_DEP_2)
	v_add_f64 v[1:2], v[10:11], v[1:2]
	v_add_f64 v[3:4], v[12:13], v[4:5]
	s_delay_alu instid0(VALU_DEP_2) | instskip(NEXT) | instid1(VALU_DEP_2)
	;; [unrolled: 3-line block ×3, first 2 shown]
	v_add_f64 v[1:2], v[164:165], -v[1:2]
	v_add_f64 v[3:4], v[166:167], -v[3:4]
	scratch_store_b128 off, v[1:4], off offset:256
	v_cmpx_lt_u32_e32 15, v152
	s_cbranch_execz .LBB116_301
; %bb.300:
	scratch_load_b128 v[1:4], v190, off
	v_mov_b32_e32 v5, 0
	s_delay_alu instid0(VALU_DEP_1)
	v_mov_b32_e32 v6, v5
	v_mov_b32_e32 v7, v5
	v_mov_b32_e32 v8, v5
	scratch_store_b128 off, v[5:8], off offset:240
	s_waitcnt vmcnt(0)
	ds_store_b128 v205, v[1:4]
.LBB116_301:
	s_or_b32 exec_lo, exec_lo, s2
	s_waitcnt lgkmcnt(0)
	s_waitcnt_vscnt null, 0x0
	s_barrier
	buffer_gl0_inv
	s_clause 0x7
	scratch_load_b128 v[2:5], off, off offset:256
	scratch_load_b128 v[6:9], off, off offset:272
	;; [unrolled: 1-line block ×8, first 2 shown]
	v_mov_b32_e32 v1, 0
	s_mov_b32 s2, exec_lo
	ds_load_b128 v[38:41], v1 offset:1104
	s_clause 0x1
	scratch_load_b128 v[34:37], off, off offset:384
	scratch_load_b128 v[42:45], off, off offset:240
	ds_load_b128 v[164:167], v1 offset:1120
	scratch_load_b128 v[168:171], off, off offset:400
	s_waitcnt vmcnt(10) lgkmcnt(1)
	v_mul_f64 v[172:173], v[40:41], v[4:5]
	v_mul_f64 v[4:5], v[38:39], v[4:5]
	s_delay_alu instid0(VALU_DEP_2) | instskip(NEXT) | instid1(VALU_DEP_2)
	v_fma_f64 v[217:218], v[38:39], v[2:3], -v[172:173]
	v_fma_f64 v[219:220], v[40:41], v[2:3], v[4:5]
	scratch_load_b128 v[38:41], off, off offset:416
	ds_load_b128 v[2:5], v1 offset:1136
	s_waitcnt vmcnt(10) lgkmcnt(1)
	v_mul_f64 v[199:200], v[164:165], v[8:9]
	v_mul_f64 v[8:9], v[166:167], v[8:9]
	ds_load_b128 v[172:175], v1 offset:1152
	s_waitcnt vmcnt(9) lgkmcnt(1)
	v_mul_f64 v[221:222], v[2:3], v[12:13]
	v_mul_f64 v[12:13], v[4:5], v[12:13]
	v_fma_f64 v[166:167], v[166:167], v[6:7], v[199:200]
	v_fma_f64 v[164:165], v[164:165], v[6:7], -v[8:9]
	v_add_f64 v[199:200], v[217:218], 0
	v_add_f64 v[217:218], v[219:220], 0
	scratch_load_b128 v[6:9], off, off offset:432
	v_fma_f64 v[221:222], v[4:5], v[10:11], v[221:222]
	v_fma_f64 v[223:224], v[2:3], v[10:11], -v[12:13]
	scratch_load_b128 v[10:13], off, off offset:448
	ds_load_b128 v[2:5], v1 offset:1168
	s_waitcnt vmcnt(10) lgkmcnt(1)
	v_mul_f64 v[219:220], v[172:173], v[16:17]
	v_mul_f64 v[16:17], v[174:175], v[16:17]
	v_add_f64 v[199:200], v[199:200], v[164:165]
	v_add_f64 v[217:218], v[217:218], v[166:167]
	s_waitcnt vmcnt(9) lgkmcnt(0)
	v_mul_f64 v[225:226], v[2:3], v[20:21]
	v_mul_f64 v[20:21], v[4:5], v[20:21]
	ds_load_b128 v[164:167], v1 offset:1184
	v_fma_f64 v[174:175], v[174:175], v[14:15], v[219:220]
	v_fma_f64 v[172:173], v[172:173], v[14:15], -v[16:17]
	scratch_load_b128 v[14:17], off, off offset:464
	v_add_f64 v[199:200], v[199:200], v[223:224]
	v_add_f64 v[217:218], v[217:218], v[221:222]
	v_fma_f64 v[221:222], v[4:5], v[18:19], v[225:226]
	v_fma_f64 v[223:224], v[2:3], v[18:19], -v[20:21]
	scratch_load_b128 v[18:21], off, off offset:480
	ds_load_b128 v[2:5], v1 offset:1200
	s_waitcnt vmcnt(10) lgkmcnt(1)
	v_mul_f64 v[219:220], v[164:165], v[24:25]
	v_mul_f64 v[24:25], v[166:167], v[24:25]
	s_waitcnt vmcnt(9) lgkmcnt(0)
	v_mul_f64 v[225:226], v[2:3], v[28:29]
	v_mul_f64 v[28:29], v[4:5], v[28:29]
	v_add_f64 v[199:200], v[199:200], v[172:173]
	v_add_f64 v[217:218], v[217:218], v[174:175]
	ds_load_b128 v[172:175], v1 offset:1216
	v_fma_f64 v[166:167], v[166:167], v[22:23], v[219:220]
	v_fma_f64 v[164:165], v[164:165], v[22:23], -v[24:25]
	scratch_load_b128 v[22:25], off, off offset:496
	v_add_f64 v[199:200], v[199:200], v[223:224]
	v_add_f64 v[217:218], v[217:218], v[221:222]
	v_fma_f64 v[221:222], v[4:5], v[26:27], v[225:226]
	v_fma_f64 v[223:224], v[2:3], v[26:27], -v[28:29]
	scratch_load_b128 v[26:29], off, off offset:512
	ds_load_b128 v[2:5], v1 offset:1232
	s_waitcnt vmcnt(10) lgkmcnt(1)
	v_mul_f64 v[219:220], v[172:173], v[32:33]
	v_mul_f64 v[32:33], v[174:175], v[32:33]
	s_waitcnt vmcnt(9) lgkmcnt(0)
	v_mul_f64 v[225:226], v[2:3], v[36:37]
	v_mul_f64 v[36:37], v[4:5], v[36:37]
	v_add_f64 v[199:200], v[199:200], v[164:165]
	v_add_f64 v[217:218], v[217:218], v[166:167]
	ds_load_b128 v[164:167], v1 offset:1248
	v_fma_f64 v[174:175], v[174:175], v[30:31], v[219:220]
	v_fma_f64 v[172:173], v[172:173], v[30:31], -v[32:33]
	scratch_load_b128 v[30:33], off, off offset:528
	v_add_f64 v[199:200], v[199:200], v[223:224]
	v_add_f64 v[217:218], v[217:218], v[221:222]
	v_fma_f64 v[223:224], v[4:5], v[34:35], v[225:226]
	v_fma_f64 v[225:226], v[2:3], v[34:35], -v[36:37]
	scratch_load_b128 v[34:37], off, off offset:544
	ds_load_b128 v[2:5], v1 offset:1264
	s_waitcnt vmcnt(9) lgkmcnt(1)
	v_mul_f64 v[219:220], v[164:165], v[170:171]
	v_mul_f64 v[221:222], v[166:167], v[170:171]
	v_add_f64 v[199:200], v[199:200], v[172:173]
	v_add_f64 v[174:175], v[217:218], v[174:175]
	ds_load_b128 v[170:173], v1 offset:1280
	v_fma_f64 v[219:220], v[166:167], v[168:169], v[219:220]
	v_fma_f64 v[168:169], v[164:165], v[168:169], -v[221:222]
	scratch_load_b128 v[164:167], off, off offset:560
	s_waitcnt vmcnt(9) lgkmcnt(1)
	v_mul_f64 v[217:218], v[2:3], v[40:41]
	v_mul_f64 v[40:41], v[4:5], v[40:41]
	v_add_f64 v[199:200], v[199:200], v[225:226]
	v_add_f64 v[174:175], v[174:175], v[223:224]
	s_delay_alu instid0(VALU_DEP_4) | instskip(NEXT) | instid1(VALU_DEP_4)
	v_fma_f64 v[223:224], v[4:5], v[38:39], v[217:218]
	v_fma_f64 v[225:226], v[2:3], v[38:39], -v[40:41]
	scratch_load_b128 v[38:41], off, off offset:576
	ds_load_b128 v[2:5], v1 offset:1296
	s_waitcnt vmcnt(9) lgkmcnt(1)
	v_mul_f64 v[221:222], v[170:171], v[8:9]
	v_mul_f64 v[8:9], v[172:173], v[8:9]
	v_add_f64 v[168:169], v[199:200], v[168:169]
	v_add_f64 v[174:175], v[174:175], v[219:220]
	s_waitcnt vmcnt(8) lgkmcnt(0)
	v_mul_f64 v[199:200], v[2:3], v[12:13]
	v_mul_f64 v[12:13], v[4:5], v[12:13]
	ds_load_b128 v[217:220], v1 offset:1312
	v_fma_f64 v[172:173], v[172:173], v[6:7], v[221:222]
	v_fma_f64 v[170:171], v[170:171], v[6:7], -v[8:9]
	scratch_load_b128 v[6:9], off, off offset:592
	v_add_f64 v[168:169], v[168:169], v[225:226]
	v_add_f64 v[174:175], v[174:175], v[223:224]
	v_fma_f64 v[199:200], v[4:5], v[10:11], v[199:200]
	v_fma_f64 v[223:224], v[2:3], v[10:11], -v[12:13]
	scratch_load_b128 v[10:13], off, off offset:608
	ds_load_b128 v[2:5], v1 offset:1328
	s_waitcnt vmcnt(9) lgkmcnt(1)
	v_mul_f64 v[221:222], v[217:218], v[16:17]
	v_mul_f64 v[16:17], v[219:220], v[16:17]
	v_add_f64 v[225:226], v[168:169], v[170:171]
	v_add_f64 v[172:173], v[174:175], v[172:173]
	s_waitcnt vmcnt(8) lgkmcnt(0)
	v_mul_f64 v[174:175], v[2:3], v[20:21]
	v_mul_f64 v[20:21], v[4:5], v[20:21]
	ds_load_b128 v[168:171], v1 offset:1344
	v_fma_f64 v[219:220], v[219:220], v[14:15], v[221:222]
	v_fma_f64 v[217:218], v[217:218], v[14:15], -v[16:17]
	scratch_load_b128 v[14:17], off, off offset:624
	v_add_f64 v[221:222], v[225:226], v[223:224]
	v_add_f64 v[172:173], v[172:173], v[199:200]
	;; [unrolled: 18-line block ×3, first 2 shown]
	v_fma_f64 v[221:222], v[4:5], v[26:27], v[221:222]
	v_fma_f64 v[223:224], v[2:3], v[26:27], -v[28:29]
	scratch_load_b128 v[26:29], off, off offset:672
	ds_load_b128 v[2:5], v1 offset:1392
	s_waitcnt vmcnt(9) lgkmcnt(1)
	v_mul_f64 v[219:220], v[172:173], v[32:33]
	v_mul_f64 v[32:33], v[174:175], v[32:33]
	s_waitcnt vmcnt(8) lgkmcnt(0)
	v_mul_f64 v[225:226], v[2:3], v[36:37]
	v_mul_f64 v[36:37], v[4:5], v[36:37]
	v_add_f64 v[199:200], v[199:200], v[168:169]
	v_add_f64 v[217:218], v[217:218], v[170:171]
	ds_load_b128 v[168:171], v1 offset:1408
	v_fma_f64 v[174:175], v[174:175], v[30:31], v[219:220]
	v_fma_f64 v[172:173], v[172:173], v[30:31], -v[32:33]
	scratch_load_b128 v[30:33], off, off offset:688
	v_add_f64 v[199:200], v[199:200], v[223:224]
	v_add_f64 v[217:218], v[217:218], v[221:222]
	v_fma_f64 v[221:222], v[4:5], v[34:35], v[225:226]
	v_fma_f64 v[223:224], v[2:3], v[34:35], -v[36:37]
	scratch_load_b128 v[34:37], off, off offset:704
	ds_load_b128 v[2:5], v1 offset:1424
	s_waitcnt vmcnt(9) lgkmcnt(1)
	v_mul_f64 v[219:220], v[168:169], v[166:167]
	v_mul_f64 v[166:167], v[170:171], v[166:167]
	s_waitcnt vmcnt(8) lgkmcnt(0)
	v_mul_f64 v[225:226], v[2:3], v[40:41]
	v_mul_f64 v[40:41], v[4:5], v[40:41]
	v_add_f64 v[199:200], v[199:200], v[172:173]
	v_add_f64 v[217:218], v[217:218], v[174:175]
	ds_load_b128 v[172:175], v1 offset:1440
	v_fma_f64 v[170:171], v[170:171], v[164:165], v[219:220]
	v_fma_f64 v[168:169], v[168:169], v[164:165], -v[166:167]
	scratch_load_b128 v[164:167], off, off offset:720
	v_add_f64 v[199:200], v[199:200], v[223:224]
	v_add_f64 v[217:218], v[217:218], v[221:222]
	;; [unrolled: 18-line block ×5, first 2 shown]
	v_fma_f64 v[221:222], v[4:5], v[26:27], v[225:226]
	v_fma_f64 v[223:224], v[2:3], v[26:27], -v[28:29]
	scratch_load_b128 v[26:29], off, off offset:832
	ds_load_b128 v[2:5], v1 offset:1552
	s_waitcnt vmcnt(9) lgkmcnt(1)
	v_mul_f64 v[219:220], v[168:169], v[32:33]
	v_mul_f64 v[32:33], v[170:171], v[32:33]
	s_waitcnt vmcnt(8) lgkmcnt(0)
	v_mul_f64 v[225:226], v[2:3], v[36:37]
	v_mul_f64 v[36:37], v[4:5], v[36:37]
	v_add_f64 v[199:200], v[199:200], v[172:173]
	v_add_f64 v[217:218], v[217:218], v[174:175]
	ds_load_b128 v[172:175], v1 offset:1568
	v_fma_f64 v[170:171], v[170:171], v[30:31], v[219:220]
	v_fma_f64 v[30:31], v[168:169], v[30:31], -v[32:33]
	v_add_f64 v[32:33], v[199:200], v[223:224]
	v_add_f64 v[168:169], v[217:218], v[221:222]
	s_waitcnt vmcnt(7) lgkmcnt(0)
	v_mul_f64 v[199:200], v[172:173], v[166:167]
	v_mul_f64 v[166:167], v[174:175], v[166:167]
	v_fma_f64 v[217:218], v[4:5], v[34:35], v[225:226]
	v_fma_f64 v[34:35], v[2:3], v[34:35], -v[36:37]
	v_add_f64 v[36:37], v[32:33], v[30:31]
	v_add_f64 v[168:169], v[168:169], v[170:171]
	ds_load_b128 v[2:5], v1 offset:1584
	ds_load_b128 v[30:33], v1 offset:1600
	v_fma_f64 v[174:175], v[174:175], v[164:165], v[199:200]
	v_fma_f64 v[164:165], v[172:173], v[164:165], -v[166:167]
	s_waitcnt vmcnt(6) lgkmcnt(1)
	v_mul_f64 v[170:171], v[2:3], v[40:41]
	v_mul_f64 v[40:41], v[4:5], v[40:41]
	s_waitcnt vmcnt(5) lgkmcnt(0)
	v_mul_f64 v[166:167], v[30:31], v[8:9]
	v_mul_f64 v[8:9], v[32:33], v[8:9]
	v_add_f64 v[34:35], v[36:37], v[34:35]
	v_add_f64 v[36:37], v[168:169], v[217:218]
	v_fma_f64 v[168:169], v[4:5], v[38:39], v[170:171]
	v_fma_f64 v[38:39], v[2:3], v[38:39], -v[40:41]
	v_fma_f64 v[32:33], v[32:33], v[6:7], v[166:167]
	v_fma_f64 v[6:7], v[30:31], v[6:7], -v[8:9]
	v_add_f64 v[40:41], v[34:35], v[164:165]
	v_add_f64 v[164:165], v[36:37], v[174:175]
	ds_load_b128 v[2:5], v1 offset:1616
	ds_load_b128 v[34:37], v1 offset:1632
	s_waitcnt vmcnt(4) lgkmcnt(1)
	v_mul_f64 v[170:171], v[2:3], v[12:13]
	v_mul_f64 v[12:13], v[4:5], v[12:13]
	v_add_f64 v[8:9], v[40:41], v[38:39]
	v_add_f64 v[30:31], v[164:165], v[168:169]
	s_waitcnt vmcnt(3) lgkmcnt(0)
	v_mul_f64 v[38:39], v[34:35], v[16:17]
	v_mul_f64 v[16:17], v[36:37], v[16:17]
	v_fma_f64 v[40:41], v[4:5], v[10:11], v[170:171]
	v_fma_f64 v[10:11], v[2:3], v[10:11], -v[12:13]
	v_add_f64 v[12:13], v[8:9], v[6:7]
	v_add_f64 v[30:31], v[30:31], v[32:33]
	ds_load_b128 v[2:5], v1 offset:1648
	ds_load_b128 v[6:9], v1 offset:1664
	v_fma_f64 v[36:37], v[36:37], v[14:15], v[38:39]
	v_fma_f64 v[14:15], v[34:35], v[14:15], -v[16:17]
	s_waitcnt vmcnt(2) lgkmcnt(1)
	v_mul_f64 v[32:33], v[2:3], v[20:21]
	v_mul_f64 v[20:21], v[4:5], v[20:21]
	s_waitcnt vmcnt(1) lgkmcnt(0)
	v_mul_f64 v[16:17], v[6:7], v[24:25]
	v_mul_f64 v[24:25], v[8:9], v[24:25]
	v_add_f64 v[10:11], v[12:13], v[10:11]
	v_add_f64 v[12:13], v[30:31], v[40:41]
	v_fma_f64 v[30:31], v[4:5], v[18:19], v[32:33]
	v_fma_f64 v[18:19], v[2:3], v[18:19], -v[20:21]
	ds_load_b128 v[2:5], v1 offset:1680
	v_fma_f64 v[8:9], v[8:9], v[22:23], v[16:17]
	v_fma_f64 v[6:7], v[6:7], v[22:23], -v[24:25]
	v_add_f64 v[10:11], v[10:11], v[14:15]
	v_add_f64 v[12:13], v[12:13], v[36:37]
	s_waitcnt vmcnt(0) lgkmcnt(0)
	v_mul_f64 v[14:15], v[2:3], v[28:29]
	v_mul_f64 v[20:21], v[4:5], v[28:29]
	s_delay_alu instid0(VALU_DEP_4) | instskip(NEXT) | instid1(VALU_DEP_4)
	v_add_f64 v[10:11], v[10:11], v[18:19]
	v_add_f64 v[12:13], v[12:13], v[30:31]
	s_delay_alu instid0(VALU_DEP_4) | instskip(NEXT) | instid1(VALU_DEP_4)
	v_fma_f64 v[4:5], v[4:5], v[26:27], v[14:15]
	v_fma_f64 v[2:3], v[2:3], v[26:27], -v[20:21]
	s_delay_alu instid0(VALU_DEP_4) | instskip(NEXT) | instid1(VALU_DEP_4)
	v_add_f64 v[6:7], v[10:11], v[6:7]
	v_add_f64 v[8:9], v[12:13], v[8:9]
	s_delay_alu instid0(VALU_DEP_2) | instskip(NEXT) | instid1(VALU_DEP_2)
	v_add_f64 v[2:3], v[6:7], v[2:3]
	v_add_f64 v[4:5], v[8:9], v[4:5]
	s_delay_alu instid0(VALU_DEP_2) | instskip(NEXT) | instid1(VALU_DEP_2)
	v_add_f64 v[2:3], v[42:43], -v[2:3]
	v_add_f64 v[4:5], v[44:45], -v[4:5]
	scratch_store_b128 off, v[2:5], off offset:240
	v_cmpx_lt_u32_e32 14, v152
	s_cbranch_execz .LBB116_303
; %bb.302:
	scratch_load_b128 v[5:8], v191, off
	v_mov_b32_e32 v2, v1
	v_mov_b32_e32 v3, v1
	;; [unrolled: 1-line block ×3, first 2 shown]
	scratch_store_b128 off, v[1:4], off offset:224
	s_waitcnt vmcnt(0)
	ds_store_b128 v205, v[5:8]
.LBB116_303:
	s_or_b32 exec_lo, exec_lo, s2
	s_waitcnt lgkmcnt(0)
	s_waitcnt_vscnt null, 0x0
	s_barrier
	buffer_gl0_inv
	s_clause 0x8
	scratch_load_b128 v[2:5], off, off offset:240
	scratch_load_b128 v[6:9], off, off offset:256
	;; [unrolled: 1-line block ×9, first 2 shown]
	ds_load_b128 v[42:45], v1 offset:1088
	ds_load_b128 v[38:41], v1 offset:1104
	s_clause 0x1
	scratch_load_b128 v[164:167], off, off offset:224
	scratch_load_b128 v[168:171], off, off offset:384
	s_mov_b32 s2, exec_lo
	s_waitcnt vmcnt(10) lgkmcnt(1)
	v_mul_f64 v[172:173], v[44:45], v[4:5]
	v_mul_f64 v[4:5], v[42:43], v[4:5]
	s_waitcnt vmcnt(9) lgkmcnt(0)
	v_mul_f64 v[199:200], v[38:39], v[8:9]
	v_mul_f64 v[8:9], v[40:41], v[8:9]
	s_delay_alu instid0(VALU_DEP_4) | instskip(NEXT) | instid1(VALU_DEP_4)
	v_fma_f64 v[217:218], v[42:43], v[2:3], -v[172:173]
	v_fma_f64 v[219:220], v[44:45], v[2:3], v[4:5]
	ds_load_b128 v[2:5], v1 offset:1120
	ds_load_b128 v[172:175], v1 offset:1136
	scratch_load_b128 v[42:45], off, off offset:400
	v_fma_f64 v[40:41], v[40:41], v[6:7], v[199:200]
	v_fma_f64 v[38:39], v[38:39], v[6:7], -v[8:9]
	scratch_load_b128 v[6:9], off, off offset:416
	s_waitcnt vmcnt(10) lgkmcnt(1)
	v_mul_f64 v[221:222], v[2:3], v[12:13]
	v_mul_f64 v[12:13], v[4:5], v[12:13]
	v_add_f64 v[199:200], v[217:218], 0
	v_add_f64 v[217:218], v[219:220], 0
	s_waitcnt vmcnt(9) lgkmcnt(0)
	v_mul_f64 v[219:220], v[172:173], v[16:17]
	v_mul_f64 v[16:17], v[174:175], v[16:17]
	v_fma_f64 v[221:222], v[4:5], v[10:11], v[221:222]
	v_fma_f64 v[223:224], v[2:3], v[10:11], -v[12:13]
	ds_load_b128 v[2:5], v1 offset:1152
	scratch_load_b128 v[10:13], off, off offset:432
	v_add_f64 v[199:200], v[199:200], v[38:39]
	v_add_f64 v[217:218], v[217:218], v[40:41]
	ds_load_b128 v[38:41], v1 offset:1168
	v_fma_f64 v[174:175], v[174:175], v[14:15], v[219:220]
	v_fma_f64 v[172:173], v[172:173], v[14:15], -v[16:17]
	scratch_load_b128 v[14:17], off, off offset:448
	s_waitcnt vmcnt(10) lgkmcnt(1)
	v_mul_f64 v[225:226], v[2:3], v[20:21]
	v_mul_f64 v[20:21], v[4:5], v[20:21]
	s_waitcnt vmcnt(9) lgkmcnt(0)
	v_mul_f64 v[219:220], v[38:39], v[24:25]
	v_mul_f64 v[24:25], v[40:41], v[24:25]
	v_add_f64 v[199:200], v[199:200], v[223:224]
	v_add_f64 v[217:218], v[217:218], v[221:222]
	v_fma_f64 v[221:222], v[4:5], v[18:19], v[225:226]
	v_fma_f64 v[223:224], v[2:3], v[18:19], -v[20:21]
	ds_load_b128 v[2:5], v1 offset:1184
	scratch_load_b128 v[18:21], off, off offset:464
	v_fma_f64 v[40:41], v[40:41], v[22:23], v[219:220]
	v_fma_f64 v[38:39], v[38:39], v[22:23], -v[24:25]
	scratch_load_b128 v[22:25], off, off offset:480
	v_add_f64 v[199:200], v[199:200], v[172:173]
	v_add_f64 v[217:218], v[217:218], v[174:175]
	ds_load_b128 v[172:175], v1 offset:1200
	s_waitcnt vmcnt(10) lgkmcnt(1)
	v_mul_f64 v[225:226], v[2:3], v[28:29]
	v_mul_f64 v[28:29], v[4:5], v[28:29]
	s_waitcnt vmcnt(9) lgkmcnt(0)
	v_mul_f64 v[219:220], v[172:173], v[32:33]
	v_mul_f64 v[32:33], v[174:175], v[32:33]
	v_add_f64 v[199:200], v[199:200], v[223:224]
	v_add_f64 v[217:218], v[217:218], v[221:222]
	v_fma_f64 v[221:222], v[4:5], v[26:27], v[225:226]
	v_fma_f64 v[223:224], v[2:3], v[26:27], -v[28:29]
	ds_load_b128 v[2:5], v1 offset:1216
	scratch_load_b128 v[26:29], off, off offset:496
	v_fma_f64 v[174:175], v[174:175], v[30:31], v[219:220]
	v_fma_f64 v[172:173], v[172:173], v[30:31], -v[32:33]
	scratch_load_b128 v[30:33], off, off offset:512
	v_add_f64 v[199:200], v[199:200], v[38:39]
	v_add_f64 v[217:218], v[217:218], v[40:41]
	ds_load_b128 v[38:41], v1 offset:1232
	s_waitcnt vmcnt(10) lgkmcnt(1)
	v_mul_f64 v[225:226], v[2:3], v[36:37]
	v_mul_f64 v[36:37], v[4:5], v[36:37]
	s_waitcnt vmcnt(8) lgkmcnt(0)
	v_mul_f64 v[219:220], v[38:39], v[170:171]
	v_add_f64 v[199:200], v[199:200], v[223:224]
	v_add_f64 v[217:218], v[217:218], v[221:222]
	v_mul_f64 v[221:222], v[40:41], v[170:171]
	v_fma_f64 v[223:224], v[4:5], v[34:35], v[225:226]
	v_fma_f64 v[225:226], v[2:3], v[34:35], -v[36:37]
	ds_load_b128 v[2:5], v1 offset:1248
	scratch_load_b128 v[34:37], off, off offset:528
	v_fma_f64 v[219:220], v[40:41], v[168:169], v[219:220]
	v_add_f64 v[199:200], v[199:200], v[172:173]
	v_add_f64 v[174:175], v[217:218], v[174:175]
	ds_load_b128 v[170:173], v1 offset:1264
	v_fma_f64 v[168:169], v[38:39], v[168:169], -v[221:222]
	scratch_load_b128 v[38:41], off, off offset:544
	s_waitcnt vmcnt(9) lgkmcnt(1)
	v_mul_f64 v[217:218], v[2:3], v[44:45]
	v_mul_f64 v[44:45], v[4:5], v[44:45]
	s_waitcnt vmcnt(8) lgkmcnt(0)
	v_mul_f64 v[221:222], v[170:171], v[8:9]
	v_mul_f64 v[8:9], v[172:173], v[8:9]
	v_add_f64 v[199:200], v[199:200], v[225:226]
	v_add_f64 v[174:175], v[174:175], v[223:224]
	v_fma_f64 v[223:224], v[4:5], v[42:43], v[217:218]
	v_fma_f64 v[225:226], v[2:3], v[42:43], -v[44:45]
	ds_load_b128 v[2:5], v1 offset:1280
	scratch_load_b128 v[42:45], off, off offset:560
	v_fma_f64 v[172:173], v[172:173], v[6:7], v[221:222]
	v_fma_f64 v[170:171], v[170:171], v[6:7], -v[8:9]
	scratch_load_b128 v[6:9], off, off offset:576
	v_add_f64 v[168:169], v[199:200], v[168:169]
	v_add_f64 v[174:175], v[174:175], v[219:220]
	ds_load_b128 v[217:220], v1 offset:1296
	s_waitcnt vmcnt(9) lgkmcnt(1)
	v_mul_f64 v[199:200], v[2:3], v[12:13]
	v_mul_f64 v[12:13], v[4:5], v[12:13]
	s_waitcnt vmcnt(8) lgkmcnt(0)
	v_mul_f64 v[221:222], v[217:218], v[16:17]
	v_mul_f64 v[16:17], v[219:220], v[16:17]
	v_add_f64 v[168:169], v[168:169], v[225:226]
	v_add_f64 v[174:175], v[174:175], v[223:224]
	v_fma_f64 v[199:200], v[4:5], v[10:11], v[199:200]
	v_fma_f64 v[223:224], v[2:3], v[10:11], -v[12:13]
	ds_load_b128 v[2:5], v1 offset:1312
	scratch_load_b128 v[10:13], off, off offset:592
	v_fma_f64 v[219:220], v[219:220], v[14:15], v[221:222]
	v_fma_f64 v[217:218], v[217:218], v[14:15], -v[16:17]
	scratch_load_b128 v[14:17], off, off offset:608
	v_add_f64 v[225:226], v[168:169], v[170:171]
	v_add_f64 v[172:173], v[174:175], v[172:173]
	ds_load_b128 v[168:171], v1 offset:1328
	s_waitcnt vmcnt(9) lgkmcnt(1)
	v_mul_f64 v[174:175], v[2:3], v[20:21]
	v_mul_f64 v[20:21], v[4:5], v[20:21]
	v_add_f64 v[221:222], v[225:226], v[223:224]
	v_add_f64 v[172:173], v[172:173], v[199:200]
	s_waitcnt vmcnt(8) lgkmcnt(0)
	v_mul_f64 v[199:200], v[168:169], v[24:25]
	v_mul_f64 v[24:25], v[170:171], v[24:25]
	v_fma_f64 v[223:224], v[4:5], v[18:19], v[174:175]
	v_fma_f64 v[225:226], v[2:3], v[18:19], -v[20:21]
	ds_load_b128 v[2:5], v1 offset:1344
	scratch_load_b128 v[18:21], off, off offset:624
	v_add_f64 v[217:218], v[221:222], v[217:218]
	v_add_f64 v[219:220], v[172:173], v[219:220]
	ds_load_b128 v[172:175], v1 offset:1360
	s_waitcnt vmcnt(8) lgkmcnt(1)
	v_mul_f64 v[221:222], v[2:3], v[28:29]
	v_mul_f64 v[28:29], v[4:5], v[28:29]
	v_fma_f64 v[170:171], v[170:171], v[22:23], v[199:200]
	v_fma_f64 v[168:169], v[168:169], v[22:23], -v[24:25]
	scratch_load_b128 v[22:25], off, off offset:640
	v_add_f64 v[199:200], v[217:218], v[225:226]
	v_add_f64 v[217:218], v[219:220], v[223:224]
	s_waitcnt vmcnt(8) lgkmcnt(0)
	v_mul_f64 v[219:220], v[172:173], v[32:33]
	v_mul_f64 v[32:33], v[174:175], v[32:33]
	v_fma_f64 v[221:222], v[4:5], v[26:27], v[221:222]
	v_fma_f64 v[223:224], v[2:3], v[26:27], -v[28:29]
	ds_load_b128 v[2:5], v1 offset:1376
	scratch_load_b128 v[26:29], off, off offset:656
	v_add_f64 v[199:200], v[199:200], v[168:169]
	v_add_f64 v[217:218], v[217:218], v[170:171]
	ds_load_b128 v[168:171], v1 offset:1392
	s_waitcnt vmcnt(8) lgkmcnt(1)
	v_mul_f64 v[225:226], v[2:3], v[36:37]
	v_mul_f64 v[36:37], v[4:5], v[36:37]
	v_fma_f64 v[174:175], v[174:175], v[30:31], v[219:220]
	v_fma_f64 v[172:173], v[172:173], v[30:31], -v[32:33]
	scratch_load_b128 v[30:33], off, off offset:672
	s_waitcnt vmcnt(8) lgkmcnt(0)
	v_mul_f64 v[219:220], v[168:169], v[40:41]
	v_mul_f64 v[40:41], v[170:171], v[40:41]
	v_add_f64 v[199:200], v[199:200], v[223:224]
	v_add_f64 v[217:218], v[217:218], v[221:222]
	v_fma_f64 v[221:222], v[4:5], v[34:35], v[225:226]
	v_fma_f64 v[223:224], v[2:3], v[34:35], -v[36:37]
	ds_load_b128 v[2:5], v1 offset:1408
	scratch_load_b128 v[34:37], off, off offset:688
	v_fma_f64 v[170:171], v[170:171], v[38:39], v[219:220]
	v_fma_f64 v[168:169], v[168:169], v[38:39], -v[40:41]
	scratch_load_b128 v[38:41], off, off offset:704
	v_add_f64 v[199:200], v[199:200], v[172:173]
	v_add_f64 v[217:218], v[217:218], v[174:175]
	ds_load_b128 v[172:175], v1 offset:1424
	s_waitcnt vmcnt(9) lgkmcnt(1)
	v_mul_f64 v[225:226], v[2:3], v[44:45]
	v_mul_f64 v[44:45], v[4:5], v[44:45]
	s_waitcnt vmcnt(8) lgkmcnt(0)
	v_mul_f64 v[219:220], v[172:173], v[8:9]
	v_mul_f64 v[8:9], v[174:175], v[8:9]
	v_add_f64 v[199:200], v[199:200], v[223:224]
	v_add_f64 v[217:218], v[217:218], v[221:222]
	v_fma_f64 v[221:222], v[4:5], v[42:43], v[225:226]
	v_fma_f64 v[223:224], v[2:3], v[42:43], -v[44:45]
	ds_load_b128 v[2:5], v1 offset:1440
	scratch_load_b128 v[42:45], off, off offset:720
	v_fma_f64 v[174:175], v[174:175], v[6:7], v[219:220]
	v_fma_f64 v[172:173], v[172:173], v[6:7], -v[8:9]
	scratch_load_b128 v[6:9], off, off offset:736
	v_add_f64 v[199:200], v[199:200], v[168:169]
	v_add_f64 v[217:218], v[217:218], v[170:171]
	ds_load_b128 v[168:171], v1 offset:1456
	s_waitcnt vmcnt(9) lgkmcnt(1)
	v_mul_f64 v[225:226], v[2:3], v[12:13]
	v_mul_f64 v[12:13], v[4:5], v[12:13]
	;; [unrolled: 18-line block ×5, first 2 shown]
	s_waitcnt vmcnt(8) lgkmcnt(0)
	v_mul_f64 v[219:220], v[172:173], v[40:41]
	v_mul_f64 v[40:41], v[174:175], v[40:41]
	v_add_f64 v[199:200], v[199:200], v[223:224]
	v_add_f64 v[217:218], v[217:218], v[221:222]
	v_fma_f64 v[221:222], v[4:5], v[34:35], v[225:226]
	v_fma_f64 v[223:224], v[2:3], v[34:35], -v[36:37]
	ds_load_b128 v[2:5], v1 offset:1568
	ds_load_b128 v[34:37], v1 offset:1584
	v_fma_f64 v[174:175], v[174:175], v[38:39], v[219:220]
	v_fma_f64 v[38:39], v[172:173], v[38:39], -v[40:41]
	v_add_f64 v[168:169], v[199:200], v[168:169]
	v_add_f64 v[170:171], v[217:218], v[170:171]
	s_waitcnt vmcnt(7) lgkmcnt(1)
	v_mul_f64 v[199:200], v[2:3], v[44:45]
	v_mul_f64 v[44:45], v[4:5], v[44:45]
	s_delay_alu instid0(VALU_DEP_4) | instskip(NEXT) | instid1(VALU_DEP_4)
	v_add_f64 v[40:41], v[168:169], v[223:224]
	v_add_f64 v[168:169], v[170:171], v[221:222]
	s_waitcnt vmcnt(6) lgkmcnt(0)
	v_mul_f64 v[170:171], v[34:35], v[8:9]
	v_mul_f64 v[8:9], v[36:37], v[8:9]
	v_fma_f64 v[172:173], v[4:5], v[42:43], v[199:200]
	v_fma_f64 v[42:43], v[2:3], v[42:43], -v[44:45]
	v_add_f64 v[44:45], v[40:41], v[38:39]
	v_add_f64 v[168:169], v[168:169], v[174:175]
	ds_load_b128 v[2:5], v1 offset:1600
	ds_load_b128 v[38:41], v1 offset:1616
	v_fma_f64 v[36:37], v[36:37], v[6:7], v[170:171]
	v_fma_f64 v[6:7], v[34:35], v[6:7], -v[8:9]
	s_waitcnt vmcnt(5) lgkmcnt(1)
	v_mul_f64 v[174:175], v[2:3], v[12:13]
	v_mul_f64 v[12:13], v[4:5], v[12:13]
	v_add_f64 v[8:9], v[44:45], v[42:43]
	v_add_f64 v[34:35], v[168:169], v[172:173]
	s_waitcnt vmcnt(4) lgkmcnt(0)
	v_mul_f64 v[42:43], v[38:39], v[16:17]
	v_mul_f64 v[16:17], v[40:41], v[16:17]
	v_fma_f64 v[44:45], v[4:5], v[10:11], v[174:175]
	v_fma_f64 v[10:11], v[2:3], v[10:11], -v[12:13]
	v_add_f64 v[12:13], v[8:9], v[6:7]
	v_add_f64 v[34:35], v[34:35], v[36:37]
	ds_load_b128 v[2:5], v1 offset:1632
	ds_load_b128 v[6:9], v1 offset:1648
	v_fma_f64 v[40:41], v[40:41], v[14:15], v[42:43]
	v_fma_f64 v[14:15], v[38:39], v[14:15], -v[16:17]
	s_waitcnt vmcnt(3) lgkmcnt(1)
	v_mul_f64 v[36:37], v[2:3], v[20:21]
	v_mul_f64 v[20:21], v[4:5], v[20:21]
	s_waitcnt vmcnt(2) lgkmcnt(0)
	v_mul_f64 v[16:17], v[6:7], v[24:25]
	v_mul_f64 v[24:25], v[8:9], v[24:25]
	v_add_f64 v[10:11], v[12:13], v[10:11]
	v_add_f64 v[12:13], v[34:35], v[44:45]
	v_fma_f64 v[34:35], v[4:5], v[18:19], v[36:37]
	v_fma_f64 v[18:19], v[2:3], v[18:19], -v[20:21]
	v_fma_f64 v[8:9], v[8:9], v[22:23], v[16:17]
	v_fma_f64 v[6:7], v[6:7], v[22:23], -v[24:25]
	v_add_f64 v[14:15], v[10:11], v[14:15]
	v_add_f64 v[20:21], v[12:13], v[40:41]
	ds_load_b128 v[2:5], v1 offset:1664
	ds_load_b128 v[10:13], v1 offset:1680
	s_waitcnt vmcnt(1) lgkmcnt(1)
	v_mul_f64 v[36:37], v[2:3], v[28:29]
	v_mul_f64 v[28:29], v[4:5], v[28:29]
	v_add_f64 v[14:15], v[14:15], v[18:19]
	v_add_f64 v[16:17], v[20:21], v[34:35]
	s_waitcnt vmcnt(0) lgkmcnt(0)
	v_mul_f64 v[18:19], v[10:11], v[32:33]
	v_mul_f64 v[20:21], v[12:13], v[32:33]
	v_fma_f64 v[4:5], v[4:5], v[26:27], v[36:37]
	v_fma_f64 v[1:2], v[2:3], v[26:27], -v[28:29]
	v_add_f64 v[6:7], v[14:15], v[6:7]
	v_add_f64 v[8:9], v[16:17], v[8:9]
	v_fma_f64 v[12:13], v[12:13], v[30:31], v[18:19]
	v_fma_f64 v[10:11], v[10:11], v[30:31], -v[20:21]
	s_delay_alu instid0(VALU_DEP_4) | instskip(NEXT) | instid1(VALU_DEP_4)
	v_add_f64 v[1:2], v[6:7], v[1:2]
	v_add_f64 v[3:4], v[8:9], v[4:5]
	s_delay_alu instid0(VALU_DEP_2) | instskip(NEXT) | instid1(VALU_DEP_2)
	v_add_f64 v[1:2], v[1:2], v[10:11]
	v_add_f64 v[3:4], v[3:4], v[12:13]
	s_delay_alu instid0(VALU_DEP_2) | instskip(NEXT) | instid1(VALU_DEP_2)
	v_add_f64 v[1:2], v[164:165], -v[1:2]
	v_add_f64 v[3:4], v[166:167], -v[3:4]
	scratch_store_b128 off, v[1:4], off offset:224
	v_cmpx_lt_u32_e32 13, v152
	s_cbranch_execz .LBB116_305
; %bb.304:
	scratch_load_b128 v[1:4], v192, off
	v_mov_b32_e32 v5, 0
	s_delay_alu instid0(VALU_DEP_1)
	v_mov_b32_e32 v6, v5
	v_mov_b32_e32 v7, v5
	;; [unrolled: 1-line block ×3, first 2 shown]
	scratch_store_b128 off, v[5:8], off offset:208
	s_waitcnt vmcnt(0)
	ds_store_b128 v205, v[1:4]
.LBB116_305:
	s_or_b32 exec_lo, exec_lo, s2
	s_waitcnt lgkmcnt(0)
	s_waitcnt_vscnt null, 0x0
	s_barrier
	buffer_gl0_inv
	s_clause 0x7
	scratch_load_b128 v[2:5], off, off offset:224
	scratch_load_b128 v[6:9], off, off offset:240
	;; [unrolled: 1-line block ×8, first 2 shown]
	v_mov_b32_e32 v1, 0
	s_mov_b32 s2, exec_lo
	ds_load_b128 v[38:41], v1 offset:1072
	s_clause 0x1
	scratch_load_b128 v[34:37], off, off offset:352
	scratch_load_b128 v[42:45], off, off offset:208
	ds_load_b128 v[164:167], v1 offset:1088
	scratch_load_b128 v[168:171], off, off offset:368
	s_waitcnt vmcnt(10) lgkmcnt(1)
	v_mul_f64 v[172:173], v[40:41], v[4:5]
	v_mul_f64 v[4:5], v[38:39], v[4:5]
	s_delay_alu instid0(VALU_DEP_2) | instskip(NEXT) | instid1(VALU_DEP_2)
	v_fma_f64 v[217:218], v[38:39], v[2:3], -v[172:173]
	v_fma_f64 v[219:220], v[40:41], v[2:3], v[4:5]
	scratch_load_b128 v[38:41], off, off offset:384
	ds_load_b128 v[2:5], v1 offset:1104
	s_waitcnt vmcnt(10) lgkmcnt(1)
	v_mul_f64 v[199:200], v[164:165], v[8:9]
	v_mul_f64 v[8:9], v[166:167], v[8:9]
	ds_load_b128 v[172:175], v1 offset:1120
	s_waitcnt vmcnt(9) lgkmcnt(1)
	v_mul_f64 v[221:222], v[2:3], v[12:13]
	v_mul_f64 v[12:13], v[4:5], v[12:13]
	v_fma_f64 v[166:167], v[166:167], v[6:7], v[199:200]
	v_fma_f64 v[164:165], v[164:165], v[6:7], -v[8:9]
	v_add_f64 v[199:200], v[217:218], 0
	v_add_f64 v[217:218], v[219:220], 0
	scratch_load_b128 v[6:9], off, off offset:400
	v_fma_f64 v[221:222], v[4:5], v[10:11], v[221:222]
	v_fma_f64 v[223:224], v[2:3], v[10:11], -v[12:13]
	scratch_load_b128 v[10:13], off, off offset:416
	ds_load_b128 v[2:5], v1 offset:1136
	s_waitcnt vmcnt(10) lgkmcnt(1)
	v_mul_f64 v[219:220], v[172:173], v[16:17]
	v_mul_f64 v[16:17], v[174:175], v[16:17]
	v_add_f64 v[199:200], v[199:200], v[164:165]
	v_add_f64 v[217:218], v[217:218], v[166:167]
	s_waitcnt vmcnt(9) lgkmcnt(0)
	v_mul_f64 v[225:226], v[2:3], v[20:21]
	v_mul_f64 v[20:21], v[4:5], v[20:21]
	ds_load_b128 v[164:167], v1 offset:1152
	v_fma_f64 v[174:175], v[174:175], v[14:15], v[219:220]
	v_fma_f64 v[172:173], v[172:173], v[14:15], -v[16:17]
	scratch_load_b128 v[14:17], off, off offset:432
	v_add_f64 v[199:200], v[199:200], v[223:224]
	v_add_f64 v[217:218], v[217:218], v[221:222]
	v_fma_f64 v[221:222], v[4:5], v[18:19], v[225:226]
	v_fma_f64 v[223:224], v[2:3], v[18:19], -v[20:21]
	scratch_load_b128 v[18:21], off, off offset:448
	ds_load_b128 v[2:5], v1 offset:1168
	s_waitcnt vmcnt(10) lgkmcnt(1)
	v_mul_f64 v[219:220], v[164:165], v[24:25]
	v_mul_f64 v[24:25], v[166:167], v[24:25]
	s_waitcnt vmcnt(9) lgkmcnt(0)
	v_mul_f64 v[225:226], v[2:3], v[28:29]
	v_mul_f64 v[28:29], v[4:5], v[28:29]
	v_add_f64 v[199:200], v[199:200], v[172:173]
	v_add_f64 v[217:218], v[217:218], v[174:175]
	ds_load_b128 v[172:175], v1 offset:1184
	v_fma_f64 v[166:167], v[166:167], v[22:23], v[219:220]
	v_fma_f64 v[164:165], v[164:165], v[22:23], -v[24:25]
	scratch_load_b128 v[22:25], off, off offset:464
	v_add_f64 v[199:200], v[199:200], v[223:224]
	v_add_f64 v[217:218], v[217:218], v[221:222]
	v_fma_f64 v[221:222], v[4:5], v[26:27], v[225:226]
	v_fma_f64 v[223:224], v[2:3], v[26:27], -v[28:29]
	scratch_load_b128 v[26:29], off, off offset:480
	ds_load_b128 v[2:5], v1 offset:1200
	s_waitcnt vmcnt(10) lgkmcnt(1)
	v_mul_f64 v[219:220], v[172:173], v[32:33]
	v_mul_f64 v[32:33], v[174:175], v[32:33]
	s_waitcnt vmcnt(9) lgkmcnt(0)
	v_mul_f64 v[225:226], v[2:3], v[36:37]
	v_mul_f64 v[36:37], v[4:5], v[36:37]
	v_add_f64 v[199:200], v[199:200], v[164:165]
	v_add_f64 v[217:218], v[217:218], v[166:167]
	ds_load_b128 v[164:167], v1 offset:1216
	v_fma_f64 v[174:175], v[174:175], v[30:31], v[219:220]
	v_fma_f64 v[172:173], v[172:173], v[30:31], -v[32:33]
	scratch_load_b128 v[30:33], off, off offset:496
	v_add_f64 v[199:200], v[199:200], v[223:224]
	v_add_f64 v[217:218], v[217:218], v[221:222]
	v_fma_f64 v[223:224], v[4:5], v[34:35], v[225:226]
	v_fma_f64 v[225:226], v[2:3], v[34:35], -v[36:37]
	scratch_load_b128 v[34:37], off, off offset:512
	ds_load_b128 v[2:5], v1 offset:1232
	s_waitcnt vmcnt(9) lgkmcnt(1)
	v_mul_f64 v[219:220], v[164:165], v[170:171]
	v_mul_f64 v[221:222], v[166:167], v[170:171]
	v_add_f64 v[199:200], v[199:200], v[172:173]
	v_add_f64 v[174:175], v[217:218], v[174:175]
	ds_load_b128 v[170:173], v1 offset:1248
	v_fma_f64 v[219:220], v[166:167], v[168:169], v[219:220]
	v_fma_f64 v[168:169], v[164:165], v[168:169], -v[221:222]
	scratch_load_b128 v[164:167], off, off offset:528
	s_waitcnt vmcnt(9) lgkmcnt(1)
	v_mul_f64 v[217:218], v[2:3], v[40:41]
	v_mul_f64 v[40:41], v[4:5], v[40:41]
	v_add_f64 v[199:200], v[199:200], v[225:226]
	v_add_f64 v[174:175], v[174:175], v[223:224]
	s_delay_alu instid0(VALU_DEP_4) | instskip(NEXT) | instid1(VALU_DEP_4)
	v_fma_f64 v[223:224], v[4:5], v[38:39], v[217:218]
	v_fma_f64 v[225:226], v[2:3], v[38:39], -v[40:41]
	scratch_load_b128 v[38:41], off, off offset:544
	ds_load_b128 v[2:5], v1 offset:1264
	s_waitcnt vmcnt(9) lgkmcnt(1)
	v_mul_f64 v[221:222], v[170:171], v[8:9]
	v_mul_f64 v[8:9], v[172:173], v[8:9]
	v_add_f64 v[168:169], v[199:200], v[168:169]
	v_add_f64 v[174:175], v[174:175], v[219:220]
	s_waitcnt vmcnt(8) lgkmcnt(0)
	v_mul_f64 v[199:200], v[2:3], v[12:13]
	v_mul_f64 v[12:13], v[4:5], v[12:13]
	ds_load_b128 v[217:220], v1 offset:1280
	v_fma_f64 v[172:173], v[172:173], v[6:7], v[221:222]
	v_fma_f64 v[170:171], v[170:171], v[6:7], -v[8:9]
	scratch_load_b128 v[6:9], off, off offset:560
	v_add_f64 v[168:169], v[168:169], v[225:226]
	v_add_f64 v[174:175], v[174:175], v[223:224]
	v_fma_f64 v[199:200], v[4:5], v[10:11], v[199:200]
	v_fma_f64 v[223:224], v[2:3], v[10:11], -v[12:13]
	scratch_load_b128 v[10:13], off, off offset:576
	ds_load_b128 v[2:5], v1 offset:1296
	s_waitcnt vmcnt(9) lgkmcnt(1)
	v_mul_f64 v[221:222], v[217:218], v[16:17]
	v_mul_f64 v[16:17], v[219:220], v[16:17]
	v_add_f64 v[225:226], v[168:169], v[170:171]
	v_add_f64 v[172:173], v[174:175], v[172:173]
	s_waitcnt vmcnt(8) lgkmcnt(0)
	v_mul_f64 v[174:175], v[2:3], v[20:21]
	v_mul_f64 v[20:21], v[4:5], v[20:21]
	ds_load_b128 v[168:171], v1 offset:1312
	v_fma_f64 v[219:220], v[219:220], v[14:15], v[221:222]
	v_fma_f64 v[217:218], v[217:218], v[14:15], -v[16:17]
	scratch_load_b128 v[14:17], off, off offset:592
	v_add_f64 v[221:222], v[225:226], v[223:224]
	v_add_f64 v[172:173], v[172:173], v[199:200]
	;; [unrolled: 18-line block ×3, first 2 shown]
	v_fma_f64 v[221:222], v[4:5], v[26:27], v[221:222]
	v_fma_f64 v[223:224], v[2:3], v[26:27], -v[28:29]
	scratch_load_b128 v[26:29], off, off offset:640
	ds_load_b128 v[2:5], v1 offset:1360
	s_waitcnt vmcnt(9) lgkmcnt(1)
	v_mul_f64 v[219:220], v[172:173], v[32:33]
	v_mul_f64 v[32:33], v[174:175], v[32:33]
	s_waitcnt vmcnt(8) lgkmcnt(0)
	v_mul_f64 v[225:226], v[2:3], v[36:37]
	v_mul_f64 v[36:37], v[4:5], v[36:37]
	v_add_f64 v[199:200], v[199:200], v[168:169]
	v_add_f64 v[217:218], v[217:218], v[170:171]
	ds_load_b128 v[168:171], v1 offset:1376
	v_fma_f64 v[174:175], v[174:175], v[30:31], v[219:220]
	v_fma_f64 v[172:173], v[172:173], v[30:31], -v[32:33]
	scratch_load_b128 v[30:33], off, off offset:656
	v_add_f64 v[199:200], v[199:200], v[223:224]
	v_add_f64 v[217:218], v[217:218], v[221:222]
	v_fma_f64 v[221:222], v[4:5], v[34:35], v[225:226]
	v_fma_f64 v[223:224], v[2:3], v[34:35], -v[36:37]
	scratch_load_b128 v[34:37], off, off offset:672
	ds_load_b128 v[2:5], v1 offset:1392
	s_waitcnt vmcnt(9) lgkmcnt(1)
	v_mul_f64 v[219:220], v[168:169], v[166:167]
	v_mul_f64 v[166:167], v[170:171], v[166:167]
	s_waitcnt vmcnt(8) lgkmcnt(0)
	v_mul_f64 v[225:226], v[2:3], v[40:41]
	v_mul_f64 v[40:41], v[4:5], v[40:41]
	v_add_f64 v[199:200], v[199:200], v[172:173]
	v_add_f64 v[217:218], v[217:218], v[174:175]
	ds_load_b128 v[172:175], v1 offset:1408
	v_fma_f64 v[170:171], v[170:171], v[164:165], v[219:220]
	v_fma_f64 v[168:169], v[168:169], v[164:165], -v[166:167]
	scratch_load_b128 v[164:167], off, off offset:688
	v_add_f64 v[199:200], v[199:200], v[223:224]
	v_add_f64 v[217:218], v[217:218], v[221:222]
	;; [unrolled: 18-line block ×6, first 2 shown]
	v_fma_f64 v[223:224], v[4:5], v[34:35], v[225:226]
	v_fma_f64 v[225:226], v[2:3], v[34:35], -v[36:37]
	scratch_load_b128 v[34:37], off, off offset:832
	ds_load_b128 v[2:5], v1 offset:1552
	s_waitcnt vmcnt(9) lgkmcnt(1)
	v_mul_f64 v[219:220], v[172:173], v[166:167]
	v_mul_f64 v[221:222], v[174:175], v[166:167]
	v_add_f64 v[199:200], v[199:200], v[168:169]
	v_add_f64 v[170:171], v[217:218], v[170:171]
	s_waitcnt vmcnt(8) lgkmcnt(0)
	v_mul_f64 v[217:218], v[2:3], v[40:41]
	v_mul_f64 v[40:41], v[4:5], v[40:41]
	ds_load_b128 v[166:169], v1 offset:1568
	v_fma_f64 v[174:175], v[174:175], v[164:165], v[219:220]
	v_fma_f64 v[164:165], v[172:173], v[164:165], -v[221:222]
	v_add_f64 v[172:173], v[199:200], v[225:226]
	v_add_f64 v[170:171], v[170:171], v[223:224]
	s_waitcnt vmcnt(7) lgkmcnt(0)
	v_mul_f64 v[199:200], v[166:167], v[8:9]
	v_mul_f64 v[8:9], v[168:169], v[8:9]
	v_fma_f64 v[217:218], v[4:5], v[38:39], v[217:218]
	v_fma_f64 v[219:220], v[2:3], v[38:39], -v[40:41]
	ds_load_b128 v[2:5], v1 offset:1584
	ds_load_b128 v[38:41], v1 offset:1600
	v_add_f64 v[164:165], v[172:173], v[164:165]
	v_add_f64 v[170:171], v[170:171], v[174:175]
	s_waitcnt vmcnt(6) lgkmcnt(1)
	v_mul_f64 v[172:173], v[2:3], v[12:13]
	v_mul_f64 v[12:13], v[4:5], v[12:13]
	v_fma_f64 v[168:169], v[168:169], v[6:7], v[199:200]
	v_fma_f64 v[6:7], v[166:167], v[6:7], -v[8:9]
	s_waitcnt vmcnt(5) lgkmcnt(0)
	v_mul_f64 v[166:167], v[38:39], v[16:17]
	v_mul_f64 v[16:17], v[40:41], v[16:17]
	v_add_f64 v[8:9], v[164:165], v[219:220]
	v_add_f64 v[164:165], v[170:171], v[217:218]
	v_fma_f64 v[170:171], v[4:5], v[10:11], v[172:173]
	v_fma_f64 v[10:11], v[2:3], v[10:11], -v[12:13]
	v_fma_f64 v[40:41], v[40:41], v[14:15], v[166:167]
	v_fma_f64 v[14:15], v[38:39], v[14:15], -v[16:17]
	v_add_f64 v[12:13], v[8:9], v[6:7]
	v_add_f64 v[164:165], v[164:165], v[168:169]
	ds_load_b128 v[2:5], v1 offset:1616
	ds_load_b128 v[6:9], v1 offset:1632
	s_waitcnt vmcnt(4) lgkmcnt(1)
	v_mul_f64 v[168:169], v[2:3], v[20:21]
	v_mul_f64 v[20:21], v[4:5], v[20:21]
	s_waitcnt vmcnt(3) lgkmcnt(0)
	v_mul_f64 v[16:17], v[6:7], v[24:25]
	v_mul_f64 v[24:25], v[8:9], v[24:25]
	v_add_f64 v[10:11], v[12:13], v[10:11]
	v_add_f64 v[12:13], v[164:165], v[170:171]
	v_fma_f64 v[38:39], v[4:5], v[18:19], v[168:169]
	v_fma_f64 v[18:19], v[2:3], v[18:19], -v[20:21]
	v_fma_f64 v[8:9], v[8:9], v[22:23], v[16:17]
	v_fma_f64 v[6:7], v[6:7], v[22:23], -v[24:25]
	v_add_f64 v[14:15], v[10:11], v[14:15]
	v_add_f64 v[20:21], v[12:13], v[40:41]
	ds_load_b128 v[2:5], v1 offset:1648
	ds_load_b128 v[10:13], v1 offset:1664
	s_waitcnt vmcnt(2) lgkmcnt(1)
	v_mul_f64 v[40:41], v[2:3], v[28:29]
	v_mul_f64 v[28:29], v[4:5], v[28:29]
	v_add_f64 v[14:15], v[14:15], v[18:19]
	v_add_f64 v[16:17], v[20:21], v[38:39]
	s_waitcnt vmcnt(1) lgkmcnt(0)
	v_mul_f64 v[18:19], v[10:11], v[32:33]
	v_mul_f64 v[20:21], v[12:13], v[32:33]
	v_fma_f64 v[22:23], v[4:5], v[26:27], v[40:41]
	v_fma_f64 v[24:25], v[2:3], v[26:27], -v[28:29]
	ds_load_b128 v[2:5], v1 offset:1680
	v_add_f64 v[6:7], v[14:15], v[6:7]
	v_add_f64 v[8:9], v[16:17], v[8:9]
	v_fma_f64 v[12:13], v[12:13], v[30:31], v[18:19]
	v_fma_f64 v[10:11], v[10:11], v[30:31], -v[20:21]
	s_waitcnt vmcnt(0) lgkmcnt(0)
	v_mul_f64 v[14:15], v[2:3], v[36:37]
	v_mul_f64 v[16:17], v[4:5], v[36:37]
	v_add_f64 v[6:7], v[6:7], v[24:25]
	v_add_f64 v[8:9], v[8:9], v[22:23]
	s_delay_alu instid0(VALU_DEP_4) | instskip(NEXT) | instid1(VALU_DEP_4)
	v_fma_f64 v[4:5], v[4:5], v[34:35], v[14:15]
	v_fma_f64 v[2:3], v[2:3], v[34:35], -v[16:17]
	s_delay_alu instid0(VALU_DEP_4) | instskip(NEXT) | instid1(VALU_DEP_4)
	v_add_f64 v[6:7], v[6:7], v[10:11]
	v_add_f64 v[8:9], v[8:9], v[12:13]
	s_delay_alu instid0(VALU_DEP_2) | instskip(NEXT) | instid1(VALU_DEP_2)
	v_add_f64 v[2:3], v[6:7], v[2:3]
	v_add_f64 v[4:5], v[8:9], v[4:5]
	s_delay_alu instid0(VALU_DEP_2) | instskip(NEXT) | instid1(VALU_DEP_2)
	v_add_f64 v[2:3], v[42:43], -v[2:3]
	v_add_f64 v[4:5], v[44:45], -v[4:5]
	scratch_store_b128 off, v[2:5], off offset:208
	v_cmpx_lt_u32_e32 12, v152
	s_cbranch_execz .LBB116_307
; %bb.306:
	scratch_load_b128 v[5:8], v193, off
	v_mov_b32_e32 v2, v1
	v_mov_b32_e32 v3, v1
	;; [unrolled: 1-line block ×3, first 2 shown]
	scratch_store_b128 off, v[1:4], off offset:192
	s_waitcnt vmcnt(0)
	ds_store_b128 v205, v[5:8]
.LBB116_307:
	s_or_b32 exec_lo, exec_lo, s2
	s_waitcnt lgkmcnt(0)
	s_waitcnt_vscnt null, 0x0
	s_barrier
	buffer_gl0_inv
	s_clause 0x8
	scratch_load_b128 v[2:5], off, off offset:208
	scratch_load_b128 v[6:9], off, off offset:224
	;; [unrolled: 1-line block ×9, first 2 shown]
	ds_load_b128 v[42:45], v1 offset:1056
	ds_load_b128 v[38:41], v1 offset:1072
	s_clause 0x1
	scratch_load_b128 v[164:167], off, off offset:192
	scratch_load_b128 v[168:171], off, off offset:352
	s_mov_b32 s2, exec_lo
	s_waitcnt vmcnt(10) lgkmcnt(1)
	v_mul_f64 v[172:173], v[44:45], v[4:5]
	v_mul_f64 v[4:5], v[42:43], v[4:5]
	s_waitcnt vmcnt(9) lgkmcnt(0)
	v_mul_f64 v[199:200], v[38:39], v[8:9]
	v_mul_f64 v[8:9], v[40:41], v[8:9]
	s_delay_alu instid0(VALU_DEP_4) | instskip(NEXT) | instid1(VALU_DEP_4)
	v_fma_f64 v[217:218], v[42:43], v[2:3], -v[172:173]
	v_fma_f64 v[219:220], v[44:45], v[2:3], v[4:5]
	ds_load_b128 v[2:5], v1 offset:1088
	ds_load_b128 v[172:175], v1 offset:1104
	scratch_load_b128 v[42:45], off, off offset:368
	v_fma_f64 v[40:41], v[40:41], v[6:7], v[199:200]
	v_fma_f64 v[38:39], v[38:39], v[6:7], -v[8:9]
	scratch_load_b128 v[6:9], off, off offset:384
	s_waitcnt vmcnt(10) lgkmcnt(1)
	v_mul_f64 v[221:222], v[2:3], v[12:13]
	v_mul_f64 v[12:13], v[4:5], v[12:13]
	v_add_f64 v[199:200], v[217:218], 0
	v_add_f64 v[217:218], v[219:220], 0
	s_waitcnt vmcnt(9) lgkmcnt(0)
	v_mul_f64 v[219:220], v[172:173], v[16:17]
	v_mul_f64 v[16:17], v[174:175], v[16:17]
	v_fma_f64 v[221:222], v[4:5], v[10:11], v[221:222]
	v_fma_f64 v[223:224], v[2:3], v[10:11], -v[12:13]
	ds_load_b128 v[2:5], v1 offset:1120
	scratch_load_b128 v[10:13], off, off offset:400
	v_add_f64 v[199:200], v[199:200], v[38:39]
	v_add_f64 v[217:218], v[217:218], v[40:41]
	ds_load_b128 v[38:41], v1 offset:1136
	v_fma_f64 v[174:175], v[174:175], v[14:15], v[219:220]
	v_fma_f64 v[172:173], v[172:173], v[14:15], -v[16:17]
	scratch_load_b128 v[14:17], off, off offset:416
	s_waitcnt vmcnt(10) lgkmcnt(1)
	v_mul_f64 v[225:226], v[2:3], v[20:21]
	v_mul_f64 v[20:21], v[4:5], v[20:21]
	s_waitcnt vmcnt(9) lgkmcnt(0)
	v_mul_f64 v[219:220], v[38:39], v[24:25]
	v_mul_f64 v[24:25], v[40:41], v[24:25]
	v_add_f64 v[199:200], v[199:200], v[223:224]
	v_add_f64 v[217:218], v[217:218], v[221:222]
	v_fma_f64 v[221:222], v[4:5], v[18:19], v[225:226]
	v_fma_f64 v[223:224], v[2:3], v[18:19], -v[20:21]
	ds_load_b128 v[2:5], v1 offset:1152
	scratch_load_b128 v[18:21], off, off offset:432
	v_fma_f64 v[40:41], v[40:41], v[22:23], v[219:220]
	v_fma_f64 v[38:39], v[38:39], v[22:23], -v[24:25]
	scratch_load_b128 v[22:25], off, off offset:448
	v_add_f64 v[199:200], v[199:200], v[172:173]
	v_add_f64 v[217:218], v[217:218], v[174:175]
	ds_load_b128 v[172:175], v1 offset:1168
	s_waitcnt vmcnt(10) lgkmcnt(1)
	v_mul_f64 v[225:226], v[2:3], v[28:29]
	v_mul_f64 v[28:29], v[4:5], v[28:29]
	s_waitcnt vmcnt(9) lgkmcnt(0)
	v_mul_f64 v[219:220], v[172:173], v[32:33]
	v_mul_f64 v[32:33], v[174:175], v[32:33]
	v_add_f64 v[199:200], v[199:200], v[223:224]
	v_add_f64 v[217:218], v[217:218], v[221:222]
	v_fma_f64 v[221:222], v[4:5], v[26:27], v[225:226]
	v_fma_f64 v[223:224], v[2:3], v[26:27], -v[28:29]
	ds_load_b128 v[2:5], v1 offset:1184
	scratch_load_b128 v[26:29], off, off offset:464
	v_fma_f64 v[174:175], v[174:175], v[30:31], v[219:220]
	v_fma_f64 v[172:173], v[172:173], v[30:31], -v[32:33]
	scratch_load_b128 v[30:33], off, off offset:480
	v_add_f64 v[199:200], v[199:200], v[38:39]
	v_add_f64 v[217:218], v[217:218], v[40:41]
	ds_load_b128 v[38:41], v1 offset:1200
	s_waitcnt vmcnt(10) lgkmcnt(1)
	v_mul_f64 v[225:226], v[2:3], v[36:37]
	v_mul_f64 v[36:37], v[4:5], v[36:37]
	s_waitcnt vmcnt(8) lgkmcnt(0)
	v_mul_f64 v[219:220], v[38:39], v[170:171]
	v_add_f64 v[199:200], v[199:200], v[223:224]
	v_add_f64 v[217:218], v[217:218], v[221:222]
	v_mul_f64 v[221:222], v[40:41], v[170:171]
	v_fma_f64 v[223:224], v[4:5], v[34:35], v[225:226]
	v_fma_f64 v[225:226], v[2:3], v[34:35], -v[36:37]
	ds_load_b128 v[2:5], v1 offset:1216
	scratch_load_b128 v[34:37], off, off offset:496
	v_fma_f64 v[219:220], v[40:41], v[168:169], v[219:220]
	v_add_f64 v[199:200], v[199:200], v[172:173]
	v_add_f64 v[174:175], v[217:218], v[174:175]
	ds_load_b128 v[170:173], v1 offset:1232
	v_fma_f64 v[168:169], v[38:39], v[168:169], -v[221:222]
	scratch_load_b128 v[38:41], off, off offset:512
	s_waitcnt vmcnt(9) lgkmcnt(1)
	v_mul_f64 v[217:218], v[2:3], v[44:45]
	v_mul_f64 v[44:45], v[4:5], v[44:45]
	s_waitcnt vmcnt(8) lgkmcnt(0)
	v_mul_f64 v[221:222], v[170:171], v[8:9]
	v_mul_f64 v[8:9], v[172:173], v[8:9]
	v_add_f64 v[199:200], v[199:200], v[225:226]
	v_add_f64 v[174:175], v[174:175], v[223:224]
	v_fma_f64 v[223:224], v[4:5], v[42:43], v[217:218]
	v_fma_f64 v[225:226], v[2:3], v[42:43], -v[44:45]
	ds_load_b128 v[2:5], v1 offset:1248
	scratch_load_b128 v[42:45], off, off offset:528
	v_fma_f64 v[172:173], v[172:173], v[6:7], v[221:222]
	v_fma_f64 v[170:171], v[170:171], v[6:7], -v[8:9]
	scratch_load_b128 v[6:9], off, off offset:544
	v_add_f64 v[168:169], v[199:200], v[168:169]
	v_add_f64 v[174:175], v[174:175], v[219:220]
	ds_load_b128 v[217:220], v1 offset:1264
	s_waitcnt vmcnt(9) lgkmcnt(1)
	v_mul_f64 v[199:200], v[2:3], v[12:13]
	v_mul_f64 v[12:13], v[4:5], v[12:13]
	s_waitcnt vmcnt(8) lgkmcnt(0)
	v_mul_f64 v[221:222], v[217:218], v[16:17]
	v_mul_f64 v[16:17], v[219:220], v[16:17]
	v_add_f64 v[168:169], v[168:169], v[225:226]
	v_add_f64 v[174:175], v[174:175], v[223:224]
	v_fma_f64 v[199:200], v[4:5], v[10:11], v[199:200]
	v_fma_f64 v[223:224], v[2:3], v[10:11], -v[12:13]
	ds_load_b128 v[2:5], v1 offset:1280
	scratch_load_b128 v[10:13], off, off offset:560
	v_fma_f64 v[219:220], v[219:220], v[14:15], v[221:222]
	v_fma_f64 v[217:218], v[217:218], v[14:15], -v[16:17]
	scratch_load_b128 v[14:17], off, off offset:576
	v_add_f64 v[225:226], v[168:169], v[170:171]
	v_add_f64 v[172:173], v[174:175], v[172:173]
	ds_load_b128 v[168:171], v1 offset:1296
	s_waitcnt vmcnt(9) lgkmcnt(1)
	v_mul_f64 v[174:175], v[2:3], v[20:21]
	v_mul_f64 v[20:21], v[4:5], v[20:21]
	v_add_f64 v[221:222], v[225:226], v[223:224]
	v_add_f64 v[172:173], v[172:173], v[199:200]
	s_waitcnt vmcnt(8) lgkmcnt(0)
	v_mul_f64 v[199:200], v[168:169], v[24:25]
	v_mul_f64 v[24:25], v[170:171], v[24:25]
	v_fma_f64 v[223:224], v[4:5], v[18:19], v[174:175]
	v_fma_f64 v[225:226], v[2:3], v[18:19], -v[20:21]
	ds_load_b128 v[2:5], v1 offset:1312
	scratch_load_b128 v[18:21], off, off offset:592
	v_add_f64 v[217:218], v[221:222], v[217:218]
	v_add_f64 v[219:220], v[172:173], v[219:220]
	ds_load_b128 v[172:175], v1 offset:1328
	s_waitcnt vmcnt(8) lgkmcnt(1)
	v_mul_f64 v[221:222], v[2:3], v[28:29]
	v_mul_f64 v[28:29], v[4:5], v[28:29]
	v_fma_f64 v[170:171], v[170:171], v[22:23], v[199:200]
	v_fma_f64 v[168:169], v[168:169], v[22:23], -v[24:25]
	scratch_load_b128 v[22:25], off, off offset:608
	v_add_f64 v[199:200], v[217:218], v[225:226]
	v_add_f64 v[217:218], v[219:220], v[223:224]
	s_waitcnt vmcnt(8) lgkmcnt(0)
	v_mul_f64 v[219:220], v[172:173], v[32:33]
	v_mul_f64 v[32:33], v[174:175], v[32:33]
	v_fma_f64 v[221:222], v[4:5], v[26:27], v[221:222]
	v_fma_f64 v[223:224], v[2:3], v[26:27], -v[28:29]
	ds_load_b128 v[2:5], v1 offset:1344
	scratch_load_b128 v[26:29], off, off offset:624
	v_add_f64 v[199:200], v[199:200], v[168:169]
	v_add_f64 v[217:218], v[217:218], v[170:171]
	ds_load_b128 v[168:171], v1 offset:1360
	s_waitcnt vmcnt(8) lgkmcnt(1)
	v_mul_f64 v[225:226], v[2:3], v[36:37]
	v_mul_f64 v[36:37], v[4:5], v[36:37]
	v_fma_f64 v[174:175], v[174:175], v[30:31], v[219:220]
	v_fma_f64 v[172:173], v[172:173], v[30:31], -v[32:33]
	scratch_load_b128 v[30:33], off, off offset:640
	s_waitcnt vmcnt(8) lgkmcnt(0)
	v_mul_f64 v[219:220], v[168:169], v[40:41]
	v_mul_f64 v[40:41], v[170:171], v[40:41]
	v_add_f64 v[199:200], v[199:200], v[223:224]
	v_add_f64 v[217:218], v[217:218], v[221:222]
	v_fma_f64 v[221:222], v[4:5], v[34:35], v[225:226]
	v_fma_f64 v[223:224], v[2:3], v[34:35], -v[36:37]
	ds_load_b128 v[2:5], v1 offset:1376
	scratch_load_b128 v[34:37], off, off offset:656
	v_fma_f64 v[170:171], v[170:171], v[38:39], v[219:220]
	v_fma_f64 v[168:169], v[168:169], v[38:39], -v[40:41]
	scratch_load_b128 v[38:41], off, off offset:672
	v_add_f64 v[199:200], v[199:200], v[172:173]
	v_add_f64 v[217:218], v[217:218], v[174:175]
	ds_load_b128 v[172:175], v1 offset:1392
	s_waitcnt vmcnt(9) lgkmcnt(1)
	v_mul_f64 v[225:226], v[2:3], v[44:45]
	v_mul_f64 v[44:45], v[4:5], v[44:45]
	s_waitcnt vmcnt(8) lgkmcnt(0)
	v_mul_f64 v[219:220], v[172:173], v[8:9]
	v_mul_f64 v[8:9], v[174:175], v[8:9]
	v_add_f64 v[199:200], v[199:200], v[223:224]
	v_add_f64 v[217:218], v[217:218], v[221:222]
	v_fma_f64 v[221:222], v[4:5], v[42:43], v[225:226]
	v_fma_f64 v[223:224], v[2:3], v[42:43], -v[44:45]
	ds_load_b128 v[2:5], v1 offset:1408
	scratch_load_b128 v[42:45], off, off offset:688
	v_fma_f64 v[174:175], v[174:175], v[6:7], v[219:220]
	v_fma_f64 v[172:173], v[172:173], v[6:7], -v[8:9]
	scratch_load_b128 v[6:9], off, off offset:704
	v_add_f64 v[199:200], v[199:200], v[168:169]
	v_add_f64 v[217:218], v[217:218], v[170:171]
	ds_load_b128 v[168:171], v1 offset:1424
	s_waitcnt vmcnt(9) lgkmcnt(1)
	v_mul_f64 v[225:226], v[2:3], v[12:13]
	v_mul_f64 v[12:13], v[4:5], v[12:13]
	;; [unrolled: 18-line block ×6, first 2 shown]
	s_waitcnt vmcnt(8) lgkmcnt(0)
	v_mul_f64 v[219:220], v[168:169], v[8:9]
	v_mul_f64 v[8:9], v[170:171], v[8:9]
	v_add_f64 v[199:200], v[199:200], v[223:224]
	v_add_f64 v[217:218], v[217:218], v[221:222]
	v_fma_f64 v[221:222], v[4:5], v[42:43], v[225:226]
	v_fma_f64 v[223:224], v[2:3], v[42:43], -v[44:45]
	ds_load_b128 v[2:5], v1 offset:1568
	ds_load_b128 v[42:45], v1 offset:1584
	v_fma_f64 v[170:171], v[170:171], v[6:7], v[219:220]
	v_fma_f64 v[6:7], v[168:169], v[6:7], -v[8:9]
	v_add_f64 v[172:173], v[199:200], v[172:173]
	v_add_f64 v[174:175], v[217:218], v[174:175]
	s_waitcnt vmcnt(7) lgkmcnt(1)
	v_mul_f64 v[199:200], v[2:3], v[12:13]
	v_mul_f64 v[12:13], v[4:5], v[12:13]
	s_delay_alu instid0(VALU_DEP_4) | instskip(NEXT) | instid1(VALU_DEP_4)
	v_add_f64 v[8:9], v[172:173], v[223:224]
	v_add_f64 v[168:169], v[174:175], v[221:222]
	s_waitcnt vmcnt(6) lgkmcnt(0)
	v_mul_f64 v[172:173], v[42:43], v[16:17]
	v_mul_f64 v[16:17], v[44:45], v[16:17]
	v_fma_f64 v[174:175], v[4:5], v[10:11], v[199:200]
	v_fma_f64 v[10:11], v[2:3], v[10:11], -v[12:13]
	v_add_f64 v[12:13], v[8:9], v[6:7]
	v_add_f64 v[168:169], v[168:169], v[170:171]
	ds_load_b128 v[2:5], v1 offset:1600
	ds_load_b128 v[6:9], v1 offset:1616
	v_fma_f64 v[44:45], v[44:45], v[14:15], v[172:173]
	v_fma_f64 v[14:15], v[42:43], v[14:15], -v[16:17]
	s_waitcnt vmcnt(5) lgkmcnt(1)
	v_mul_f64 v[170:171], v[2:3], v[20:21]
	v_mul_f64 v[20:21], v[4:5], v[20:21]
	s_waitcnt vmcnt(4) lgkmcnt(0)
	v_mul_f64 v[16:17], v[6:7], v[24:25]
	v_mul_f64 v[24:25], v[8:9], v[24:25]
	v_add_f64 v[10:11], v[12:13], v[10:11]
	v_add_f64 v[12:13], v[168:169], v[174:175]
	v_fma_f64 v[42:43], v[4:5], v[18:19], v[170:171]
	v_fma_f64 v[18:19], v[2:3], v[18:19], -v[20:21]
	v_fma_f64 v[8:9], v[8:9], v[22:23], v[16:17]
	v_fma_f64 v[6:7], v[6:7], v[22:23], -v[24:25]
	v_add_f64 v[14:15], v[10:11], v[14:15]
	v_add_f64 v[20:21], v[12:13], v[44:45]
	ds_load_b128 v[2:5], v1 offset:1632
	ds_load_b128 v[10:13], v1 offset:1648
	s_waitcnt vmcnt(3) lgkmcnt(1)
	v_mul_f64 v[44:45], v[2:3], v[28:29]
	v_mul_f64 v[28:29], v[4:5], v[28:29]
	v_add_f64 v[14:15], v[14:15], v[18:19]
	v_add_f64 v[16:17], v[20:21], v[42:43]
	s_waitcnt vmcnt(2) lgkmcnt(0)
	v_mul_f64 v[18:19], v[10:11], v[32:33]
	v_mul_f64 v[20:21], v[12:13], v[32:33]
	v_fma_f64 v[22:23], v[4:5], v[26:27], v[44:45]
	v_fma_f64 v[24:25], v[2:3], v[26:27], -v[28:29]
	v_add_f64 v[14:15], v[14:15], v[6:7]
	v_add_f64 v[16:17], v[16:17], v[8:9]
	ds_load_b128 v[2:5], v1 offset:1664
	ds_load_b128 v[6:9], v1 offset:1680
	v_fma_f64 v[12:13], v[12:13], v[30:31], v[18:19]
	v_fma_f64 v[10:11], v[10:11], v[30:31], -v[20:21]
	s_waitcnt vmcnt(1) lgkmcnt(1)
	v_mul_f64 v[26:27], v[2:3], v[36:37]
	v_mul_f64 v[28:29], v[4:5], v[36:37]
	s_waitcnt vmcnt(0) lgkmcnt(0)
	v_mul_f64 v[18:19], v[6:7], v[40:41]
	v_mul_f64 v[20:21], v[8:9], v[40:41]
	v_add_f64 v[14:15], v[14:15], v[24:25]
	v_add_f64 v[16:17], v[16:17], v[22:23]
	v_fma_f64 v[4:5], v[4:5], v[34:35], v[26:27]
	v_fma_f64 v[1:2], v[2:3], v[34:35], -v[28:29]
	v_fma_f64 v[8:9], v[8:9], v[38:39], v[18:19]
	v_fma_f64 v[6:7], v[6:7], v[38:39], -v[20:21]
	v_add_f64 v[10:11], v[14:15], v[10:11]
	v_add_f64 v[12:13], v[16:17], v[12:13]
	s_delay_alu instid0(VALU_DEP_2) | instskip(NEXT) | instid1(VALU_DEP_2)
	v_add_f64 v[1:2], v[10:11], v[1:2]
	v_add_f64 v[3:4], v[12:13], v[4:5]
	s_delay_alu instid0(VALU_DEP_2) | instskip(NEXT) | instid1(VALU_DEP_2)
	;; [unrolled: 3-line block ×3, first 2 shown]
	v_add_f64 v[1:2], v[164:165], -v[1:2]
	v_add_f64 v[3:4], v[166:167], -v[3:4]
	scratch_store_b128 off, v[1:4], off offset:192
	v_cmpx_lt_u32_e32 11, v152
	s_cbranch_execz .LBB116_309
; %bb.308:
	scratch_load_b128 v[1:4], v194, off
	v_mov_b32_e32 v5, 0
	s_delay_alu instid0(VALU_DEP_1)
	v_mov_b32_e32 v6, v5
	v_mov_b32_e32 v7, v5
	;; [unrolled: 1-line block ×3, first 2 shown]
	scratch_store_b128 off, v[5:8], off offset:176
	s_waitcnt vmcnt(0)
	ds_store_b128 v205, v[1:4]
.LBB116_309:
	s_or_b32 exec_lo, exec_lo, s2
	s_waitcnt lgkmcnt(0)
	s_waitcnt_vscnt null, 0x0
	s_barrier
	buffer_gl0_inv
	s_clause 0x7
	scratch_load_b128 v[2:5], off, off offset:192
	scratch_load_b128 v[6:9], off, off offset:208
	;; [unrolled: 1-line block ×8, first 2 shown]
	v_mov_b32_e32 v1, 0
	s_mov_b32 s2, exec_lo
	ds_load_b128 v[38:41], v1 offset:1040
	s_clause 0x1
	scratch_load_b128 v[34:37], off, off offset:320
	scratch_load_b128 v[42:45], off, off offset:176
	ds_load_b128 v[164:167], v1 offset:1056
	scratch_load_b128 v[168:171], off, off offset:336
	s_waitcnt vmcnt(10) lgkmcnt(1)
	v_mul_f64 v[172:173], v[40:41], v[4:5]
	v_mul_f64 v[4:5], v[38:39], v[4:5]
	s_delay_alu instid0(VALU_DEP_2) | instskip(NEXT) | instid1(VALU_DEP_2)
	v_fma_f64 v[217:218], v[38:39], v[2:3], -v[172:173]
	v_fma_f64 v[219:220], v[40:41], v[2:3], v[4:5]
	scratch_load_b128 v[38:41], off, off offset:352
	ds_load_b128 v[2:5], v1 offset:1072
	s_waitcnt vmcnt(10) lgkmcnt(1)
	v_mul_f64 v[199:200], v[164:165], v[8:9]
	v_mul_f64 v[8:9], v[166:167], v[8:9]
	ds_load_b128 v[172:175], v1 offset:1088
	s_waitcnt vmcnt(9) lgkmcnt(1)
	v_mul_f64 v[221:222], v[2:3], v[12:13]
	v_mul_f64 v[12:13], v[4:5], v[12:13]
	v_fma_f64 v[166:167], v[166:167], v[6:7], v[199:200]
	v_fma_f64 v[164:165], v[164:165], v[6:7], -v[8:9]
	v_add_f64 v[199:200], v[217:218], 0
	v_add_f64 v[217:218], v[219:220], 0
	scratch_load_b128 v[6:9], off, off offset:368
	v_fma_f64 v[221:222], v[4:5], v[10:11], v[221:222]
	v_fma_f64 v[223:224], v[2:3], v[10:11], -v[12:13]
	scratch_load_b128 v[10:13], off, off offset:384
	ds_load_b128 v[2:5], v1 offset:1104
	s_waitcnt vmcnt(10) lgkmcnt(1)
	v_mul_f64 v[219:220], v[172:173], v[16:17]
	v_mul_f64 v[16:17], v[174:175], v[16:17]
	v_add_f64 v[199:200], v[199:200], v[164:165]
	v_add_f64 v[217:218], v[217:218], v[166:167]
	s_waitcnt vmcnt(9) lgkmcnt(0)
	v_mul_f64 v[225:226], v[2:3], v[20:21]
	v_mul_f64 v[20:21], v[4:5], v[20:21]
	ds_load_b128 v[164:167], v1 offset:1120
	v_fma_f64 v[174:175], v[174:175], v[14:15], v[219:220]
	v_fma_f64 v[172:173], v[172:173], v[14:15], -v[16:17]
	scratch_load_b128 v[14:17], off, off offset:400
	v_add_f64 v[199:200], v[199:200], v[223:224]
	v_add_f64 v[217:218], v[217:218], v[221:222]
	v_fma_f64 v[221:222], v[4:5], v[18:19], v[225:226]
	v_fma_f64 v[223:224], v[2:3], v[18:19], -v[20:21]
	scratch_load_b128 v[18:21], off, off offset:416
	ds_load_b128 v[2:5], v1 offset:1136
	s_waitcnt vmcnt(10) lgkmcnt(1)
	v_mul_f64 v[219:220], v[164:165], v[24:25]
	v_mul_f64 v[24:25], v[166:167], v[24:25]
	s_waitcnt vmcnt(9) lgkmcnt(0)
	v_mul_f64 v[225:226], v[2:3], v[28:29]
	v_mul_f64 v[28:29], v[4:5], v[28:29]
	v_add_f64 v[199:200], v[199:200], v[172:173]
	v_add_f64 v[217:218], v[217:218], v[174:175]
	ds_load_b128 v[172:175], v1 offset:1152
	v_fma_f64 v[166:167], v[166:167], v[22:23], v[219:220]
	v_fma_f64 v[164:165], v[164:165], v[22:23], -v[24:25]
	scratch_load_b128 v[22:25], off, off offset:432
	v_add_f64 v[199:200], v[199:200], v[223:224]
	v_add_f64 v[217:218], v[217:218], v[221:222]
	v_fma_f64 v[221:222], v[4:5], v[26:27], v[225:226]
	v_fma_f64 v[223:224], v[2:3], v[26:27], -v[28:29]
	scratch_load_b128 v[26:29], off, off offset:448
	ds_load_b128 v[2:5], v1 offset:1168
	s_waitcnt vmcnt(10) lgkmcnt(1)
	v_mul_f64 v[219:220], v[172:173], v[32:33]
	v_mul_f64 v[32:33], v[174:175], v[32:33]
	s_waitcnt vmcnt(9) lgkmcnt(0)
	v_mul_f64 v[225:226], v[2:3], v[36:37]
	v_mul_f64 v[36:37], v[4:5], v[36:37]
	v_add_f64 v[199:200], v[199:200], v[164:165]
	v_add_f64 v[217:218], v[217:218], v[166:167]
	ds_load_b128 v[164:167], v1 offset:1184
	v_fma_f64 v[174:175], v[174:175], v[30:31], v[219:220]
	v_fma_f64 v[172:173], v[172:173], v[30:31], -v[32:33]
	scratch_load_b128 v[30:33], off, off offset:464
	v_add_f64 v[199:200], v[199:200], v[223:224]
	v_add_f64 v[217:218], v[217:218], v[221:222]
	v_fma_f64 v[223:224], v[4:5], v[34:35], v[225:226]
	v_fma_f64 v[225:226], v[2:3], v[34:35], -v[36:37]
	scratch_load_b128 v[34:37], off, off offset:480
	ds_load_b128 v[2:5], v1 offset:1200
	s_waitcnt vmcnt(9) lgkmcnt(1)
	v_mul_f64 v[219:220], v[164:165], v[170:171]
	v_mul_f64 v[221:222], v[166:167], v[170:171]
	v_add_f64 v[199:200], v[199:200], v[172:173]
	v_add_f64 v[174:175], v[217:218], v[174:175]
	ds_load_b128 v[170:173], v1 offset:1216
	v_fma_f64 v[219:220], v[166:167], v[168:169], v[219:220]
	v_fma_f64 v[168:169], v[164:165], v[168:169], -v[221:222]
	scratch_load_b128 v[164:167], off, off offset:496
	s_waitcnt vmcnt(9) lgkmcnt(1)
	v_mul_f64 v[217:218], v[2:3], v[40:41]
	v_mul_f64 v[40:41], v[4:5], v[40:41]
	v_add_f64 v[199:200], v[199:200], v[225:226]
	v_add_f64 v[174:175], v[174:175], v[223:224]
	s_delay_alu instid0(VALU_DEP_4) | instskip(NEXT) | instid1(VALU_DEP_4)
	v_fma_f64 v[223:224], v[4:5], v[38:39], v[217:218]
	v_fma_f64 v[225:226], v[2:3], v[38:39], -v[40:41]
	scratch_load_b128 v[38:41], off, off offset:512
	ds_load_b128 v[2:5], v1 offset:1232
	s_waitcnt vmcnt(9) lgkmcnt(1)
	v_mul_f64 v[221:222], v[170:171], v[8:9]
	v_mul_f64 v[8:9], v[172:173], v[8:9]
	v_add_f64 v[168:169], v[199:200], v[168:169]
	v_add_f64 v[174:175], v[174:175], v[219:220]
	s_waitcnt vmcnt(8) lgkmcnt(0)
	v_mul_f64 v[199:200], v[2:3], v[12:13]
	v_mul_f64 v[12:13], v[4:5], v[12:13]
	ds_load_b128 v[217:220], v1 offset:1248
	v_fma_f64 v[172:173], v[172:173], v[6:7], v[221:222]
	v_fma_f64 v[170:171], v[170:171], v[6:7], -v[8:9]
	scratch_load_b128 v[6:9], off, off offset:528
	v_add_f64 v[168:169], v[168:169], v[225:226]
	v_add_f64 v[174:175], v[174:175], v[223:224]
	v_fma_f64 v[199:200], v[4:5], v[10:11], v[199:200]
	v_fma_f64 v[223:224], v[2:3], v[10:11], -v[12:13]
	scratch_load_b128 v[10:13], off, off offset:544
	ds_load_b128 v[2:5], v1 offset:1264
	s_waitcnt vmcnt(9) lgkmcnt(1)
	v_mul_f64 v[221:222], v[217:218], v[16:17]
	v_mul_f64 v[16:17], v[219:220], v[16:17]
	v_add_f64 v[225:226], v[168:169], v[170:171]
	v_add_f64 v[172:173], v[174:175], v[172:173]
	s_waitcnt vmcnt(8) lgkmcnt(0)
	v_mul_f64 v[174:175], v[2:3], v[20:21]
	v_mul_f64 v[20:21], v[4:5], v[20:21]
	ds_load_b128 v[168:171], v1 offset:1280
	v_fma_f64 v[219:220], v[219:220], v[14:15], v[221:222]
	v_fma_f64 v[217:218], v[217:218], v[14:15], -v[16:17]
	scratch_load_b128 v[14:17], off, off offset:560
	v_add_f64 v[221:222], v[225:226], v[223:224]
	v_add_f64 v[172:173], v[172:173], v[199:200]
	;; [unrolled: 18-line block ×3, first 2 shown]
	v_fma_f64 v[221:222], v[4:5], v[26:27], v[221:222]
	v_fma_f64 v[223:224], v[2:3], v[26:27], -v[28:29]
	scratch_load_b128 v[26:29], off, off offset:608
	ds_load_b128 v[2:5], v1 offset:1328
	s_waitcnt vmcnt(9) lgkmcnt(1)
	v_mul_f64 v[219:220], v[172:173], v[32:33]
	v_mul_f64 v[32:33], v[174:175], v[32:33]
	s_waitcnt vmcnt(8) lgkmcnt(0)
	v_mul_f64 v[225:226], v[2:3], v[36:37]
	v_mul_f64 v[36:37], v[4:5], v[36:37]
	v_add_f64 v[199:200], v[199:200], v[168:169]
	v_add_f64 v[217:218], v[217:218], v[170:171]
	ds_load_b128 v[168:171], v1 offset:1344
	v_fma_f64 v[174:175], v[174:175], v[30:31], v[219:220]
	v_fma_f64 v[172:173], v[172:173], v[30:31], -v[32:33]
	scratch_load_b128 v[30:33], off, off offset:624
	v_add_f64 v[199:200], v[199:200], v[223:224]
	v_add_f64 v[217:218], v[217:218], v[221:222]
	v_fma_f64 v[221:222], v[4:5], v[34:35], v[225:226]
	v_fma_f64 v[223:224], v[2:3], v[34:35], -v[36:37]
	scratch_load_b128 v[34:37], off, off offset:640
	ds_load_b128 v[2:5], v1 offset:1360
	s_waitcnt vmcnt(9) lgkmcnt(1)
	v_mul_f64 v[219:220], v[168:169], v[166:167]
	v_mul_f64 v[166:167], v[170:171], v[166:167]
	s_waitcnt vmcnt(8) lgkmcnt(0)
	v_mul_f64 v[225:226], v[2:3], v[40:41]
	v_mul_f64 v[40:41], v[4:5], v[40:41]
	v_add_f64 v[199:200], v[199:200], v[172:173]
	v_add_f64 v[217:218], v[217:218], v[174:175]
	ds_load_b128 v[172:175], v1 offset:1376
	v_fma_f64 v[170:171], v[170:171], v[164:165], v[219:220]
	v_fma_f64 v[168:169], v[168:169], v[164:165], -v[166:167]
	scratch_load_b128 v[164:167], off, off offset:656
	v_add_f64 v[199:200], v[199:200], v[223:224]
	v_add_f64 v[217:218], v[217:218], v[221:222]
	;; [unrolled: 18-line block ×6, first 2 shown]
	v_fma_f64 v[223:224], v[4:5], v[34:35], v[225:226]
	v_fma_f64 v[225:226], v[2:3], v[34:35], -v[36:37]
	scratch_load_b128 v[34:37], off, off offset:800
	ds_load_b128 v[2:5], v1 offset:1520
	s_waitcnt vmcnt(9) lgkmcnt(1)
	v_mul_f64 v[219:220], v[172:173], v[166:167]
	v_mul_f64 v[221:222], v[174:175], v[166:167]
	v_add_f64 v[199:200], v[199:200], v[168:169]
	v_add_f64 v[170:171], v[217:218], v[170:171]
	s_waitcnt vmcnt(8) lgkmcnt(0)
	v_mul_f64 v[217:218], v[2:3], v[40:41]
	v_mul_f64 v[40:41], v[4:5], v[40:41]
	ds_load_b128 v[166:169], v1 offset:1536
	v_fma_f64 v[174:175], v[174:175], v[164:165], v[219:220]
	v_fma_f64 v[164:165], v[172:173], v[164:165], -v[221:222]
	v_add_f64 v[199:200], v[199:200], v[225:226]
	v_add_f64 v[219:220], v[170:171], v[223:224]
	scratch_load_b128 v[170:173], off, off offset:816
	v_fma_f64 v[223:224], v[4:5], v[38:39], v[217:218]
	v_fma_f64 v[225:226], v[2:3], v[38:39], -v[40:41]
	scratch_load_b128 v[38:41], off, off offset:832
	ds_load_b128 v[2:5], v1 offset:1552
	s_waitcnt vmcnt(9) lgkmcnt(1)
	v_mul_f64 v[221:222], v[166:167], v[8:9]
	v_mul_f64 v[8:9], v[168:169], v[8:9]
	v_add_f64 v[164:165], v[199:200], v[164:165]
	v_add_f64 v[174:175], v[219:220], v[174:175]
	s_waitcnt vmcnt(8) lgkmcnt(0)
	v_mul_f64 v[199:200], v[2:3], v[12:13]
	v_mul_f64 v[12:13], v[4:5], v[12:13]
	ds_load_b128 v[217:220], v1 offset:1568
	v_fma_f64 v[168:169], v[168:169], v[6:7], v[221:222]
	v_fma_f64 v[6:7], v[166:167], v[6:7], -v[8:9]
	s_waitcnt vmcnt(7) lgkmcnt(0)
	v_mul_f64 v[166:167], v[217:218], v[16:17]
	v_mul_f64 v[16:17], v[219:220], v[16:17]
	v_add_f64 v[8:9], v[164:165], v[225:226]
	v_add_f64 v[164:165], v[174:175], v[223:224]
	v_fma_f64 v[174:175], v[4:5], v[10:11], v[199:200]
	v_fma_f64 v[10:11], v[2:3], v[10:11], -v[12:13]
	v_fma_f64 v[166:167], v[219:220], v[14:15], v[166:167]
	v_fma_f64 v[14:15], v[217:218], v[14:15], -v[16:17]
	v_add_f64 v[12:13], v[8:9], v[6:7]
	v_add_f64 v[164:165], v[164:165], v[168:169]
	ds_load_b128 v[2:5], v1 offset:1584
	ds_load_b128 v[6:9], v1 offset:1600
	s_waitcnt vmcnt(6) lgkmcnt(1)
	v_mul_f64 v[168:169], v[2:3], v[20:21]
	v_mul_f64 v[20:21], v[4:5], v[20:21]
	s_waitcnt vmcnt(5) lgkmcnt(0)
	v_mul_f64 v[16:17], v[6:7], v[24:25]
	v_mul_f64 v[24:25], v[8:9], v[24:25]
	v_add_f64 v[10:11], v[12:13], v[10:11]
	v_add_f64 v[12:13], v[164:165], v[174:175]
	v_fma_f64 v[164:165], v[4:5], v[18:19], v[168:169]
	v_fma_f64 v[18:19], v[2:3], v[18:19], -v[20:21]
	v_fma_f64 v[8:9], v[8:9], v[22:23], v[16:17]
	v_fma_f64 v[6:7], v[6:7], v[22:23], -v[24:25]
	v_add_f64 v[14:15], v[10:11], v[14:15]
	v_add_f64 v[20:21], v[12:13], v[166:167]
	ds_load_b128 v[2:5], v1 offset:1616
	ds_load_b128 v[10:13], v1 offset:1632
	s_waitcnt vmcnt(4) lgkmcnt(1)
	v_mul_f64 v[166:167], v[2:3], v[28:29]
	v_mul_f64 v[28:29], v[4:5], v[28:29]
	v_add_f64 v[14:15], v[14:15], v[18:19]
	v_add_f64 v[16:17], v[20:21], v[164:165]
	s_waitcnt vmcnt(3) lgkmcnt(0)
	v_mul_f64 v[18:19], v[10:11], v[32:33]
	v_mul_f64 v[20:21], v[12:13], v[32:33]
	v_fma_f64 v[22:23], v[4:5], v[26:27], v[166:167]
	v_fma_f64 v[24:25], v[2:3], v[26:27], -v[28:29]
	v_add_f64 v[14:15], v[14:15], v[6:7]
	v_add_f64 v[16:17], v[16:17], v[8:9]
	ds_load_b128 v[2:5], v1 offset:1648
	ds_load_b128 v[6:9], v1 offset:1664
	v_fma_f64 v[12:13], v[12:13], v[30:31], v[18:19]
	v_fma_f64 v[10:11], v[10:11], v[30:31], -v[20:21]
	s_waitcnt vmcnt(2) lgkmcnt(1)
	v_mul_f64 v[26:27], v[2:3], v[36:37]
	v_mul_f64 v[28:29], v[4:5], v[36:37]
	v_add_f64 v[14:15], v[14:15], v[24:25]
	v_add_f64 v[16:17], v[16:17], v[22:23]
	s_waitcnt vmcnt(1) lgkmcnt(0)
	v_mul_f64 v[18:19], v[6:7], v[172:173]
	v_mul_f64 v[20:21], v[8:9], v[172:173]
	v_fma_f64 v[22:23], v[4:5], v[34:35], v[26:27]
	v_fma_f64 v[24:25], v[2:3], v[34:35], -v[28:29]
	ds_load_b128 v[2:5], v1 offset:1680
	v_add_f64 v[10:11], v[14:15], v[10:11]
	v_add_f64 v[12:13], v[16:17], v[12:13]
	s_waitcnt vmcnt(0) lgkmcnt(0)
	v_mul_f64 v[14:15], v[2:3], v[40:41]
	v_mul_f64 v[16:17], v[4:5], v[40:41]
	v_fma_f64 v[8:9], v[8:9], v[170:171], v[18:19]
	v_fma_f64 v[6:7], v[6:7], v[170:171], -v[20:21]
	v_add_f64 v[10:11], v[10:11], v[24:25]
	v_add_f64 v[12:13], v[12:13], v[22:23]
	v_fma_f64 v[4:5], v[4:5], v[38:39], v[14:15]
	v_fma_f64 v[2:3], v[2:3], v[38:39], -v[16:17]
	s_delay_alu instid0(VALU_DEP_4) | instskip(NEXT) | instid1(VALU_DEP_4)
	v_add_f64 v[6:7], v[10:11], v[6:7]
	v_add_f64 v[8:9], v[12:13], v[8:9]
	s_delay_alu instid0(VALU_DEP_2) | instskip(NEXT) | instid1(VALU_DEP_2)
	v_add_f64 v[2:3], v[6:7], v[2:3]
	v_add_f64 v[4:5], v[8:9], v[4:5]
	s_delay_alu instid0(VALU_DEP_2) | instskip(NEXT) | instid1(VALU_DEP_2)
	v_add_f64 v[2:3], v[42:43], -v[2:3]
	v_add_f64 v[4:5], v[44:45], -v[4:5]
	scratch_store_b128 off, v[2:5], off offset:176
	v_cmpx_lt_u32_e32 10, v152
	s_cbranch_execz .LBB116_311
; %bb.310:
	scratch_load_b128 v[5:8], v195, off
	v_mov_b32_e32 v2, v1
	v_mov_b32_e32 v3, v1
	;; [unrolled: 1-line block ×3, first 2 shown]
	scratch_store_b128 off, v[1:4], off offset:160
	s_waitcnt vmcnt(0)
	ds_store_b128 v205, v[5:8]
.LBB116_311:
	s_or_b32 exec_lo, exec_lo, s2
	s_waitcnt lgkmcnt(0)
	s_waitcnt_vscnt null, 0x0
	s_barrier
	buffer_gl0_inv
	s_clause 0x8
	scratch_load_b128 v[2:5], off, off offset:176
	scratch_load_b128 v[6:9], off, off offset:192
	;; [unrolled: 1-line block ×9, first 2 shown]
	ds_load_b128 v[42:45], v1 offset:1024
	ds_load_b128 v[38:41], v1 offset:1040
	s_clause 0x1
	scratch_load_b128 v[164:167], off, off offset:160
	scratch_load_b128 v[168:171], off, off offset:320
	s_mov_b32 s2, exec_lo
	s_waitcnt vmcnt(10) lgkmcnt(1)
	v_mul_f64 v[172:173], v[44:45], v[4:5]
	v_mul_f64 v[4:5], v[42:43], v[4:5]
	s_waitcnt vmcnt(9) lgkmcnt(0)
	v_mul_f64 v[199:200], v[38:39], v[8:9]
	v_mul_f64 v[8:9], v[40:41], v[8:9]
	s_delay_alu instid0(VALU_DEP_4) | instskip(NEXT) | instid1(VALU_DEP_4)
	v_fma_f64 v[217:218], v[42:43], v[2:3], -v[172:173]
	v_fma_f64 v[219:220], v[44:45], v[2:3], v[4:5]
	ds_load_b128 v[2:5], v1 offset:1056
	ds_load_b128 v[172:175], v1 offset:1072
	scratch_load_b128 v[42:45], off, off offset:336
	v_fma_f64 v[40:41], v[40:41], v[6:7], v[199:200]
	v_fma_f64 v[38:39], v[38:39], v[6:7], -v[8:9]
	scratch_load_b128 v[6:9], off, off offset:352
	s_waitcnt vmcnt(10) lgkmcnt(1)
	v_mul_f64 v[221:222], v[2:3], v[12:13]
	v_mul_f64 v[12:13], v[4:5], v[12:13]
	v_add_f64 v[199:200], v[217:218], 0
	v_add_f64 v[217:218], v[219:220], 0
	s_waitcnt vmcnt(9) lgkmcnt(0)
	v_mul_f64 v[219:220], v[172:173], v[16:17]
	v_mul_f64 v[16:17], v[174:175], v[16:17]
	v_fma_f64 v[221:222], v[4:5], v[10:11], v[221:222]
	v_fma_f64 v[223:224], v[2:3], v[10:11], -v[12:13]
	ds_load_b128 v[2:5], v1 offset:1088
	scratch_load_b128 v[10:13], off, off offset:368
	v_add_f64 v[199:200], v[199:200], v[38:39]
	v_add_f64 v[217:218], v[217:218], v[40:41]
	ds_load_b128 v[38:41], v1 offset:1104
	v_fma_f64 v[174:175], v[174:175], v[14:15], v[219:220]
	v_fma_f64 v[172:173], v[172:173], v[14:15], -v[16:17]
	scratch_load_b128 v[14:17], off, off offset:384
	s_waitcnt vmcnt(10) lgkmcnt(1)
	v_mul_f64 v[225:226], v[2:3], v[20:21]
	v_mul_f64 v[20:21], v[4:5], v[20:21]
	s_waitcnt vmcnt(9) lgkmcnt(0)
	v_mul_f64 v[219:220], v[38:39], v[24:25]
	v_mul_f64 v[24:25], v[40:41], v[24:25]
	v_add_f64 v[199:200], v[199:200], v[223:224]
	v_add_f64 v[217:218], v[217:218], v[221:222]
	v_fma_f64 v[221:222], v[4:5], v[18:19], v[225:226]
	v_fma_f64 v[223:224], v[2:3], v[18:19], -v[20:21]
	ds_load_b128 v[2:5], v1 offset:1120
	scratch_load_b128 v[18:21], off, off offset:400
	v_fma_f64 v[40:41], v[40:41], v[22:23], v[219:220]
	v_fma_f64 v[38:39], v[38:39], v[22:23], -v[24:25]
	scratch_load_b128 v[22:25], off, off offset:416
	v_add_f64 v[199:200], v[199:200], v[172:173]
	v_add_f64 v[217:218], v[217:218], v[174:175]
	ds_load_b128 v[172:175], v1 offset:1136
	s_waitcnt vmcnt(10) lgkmcnt(1)
	v_mul_f64 v[225:226], v[2:3], v[28:29]
	v_mul_f64 v[28:29], v[4:5], v[28:29]
	s_waitcnt vmcnt(9) lgkmcnt(0)
	v_mul_f64 v[219:220], v[172:173], v[32:33]
	v_mul_f64 v[32:33], v[174:175], v[32:33]
	v_add_f64 v[199:200], v[199:200], v[223:224]
	v_add_f64 v[217:218], v[217:218], v[221:222]
	v_fma_f64 v[221:222], v[4:5], v[26:27], v[225:226]
	v_fma_f64 v[223:224], v[2:3], v[26:27], -v[28:29]
	ds_load_b128 v[2:5], v1 offset:1152
	scratch_load_b128 v[26:29], off, off offset:432
	v_fma_f64 v[174:175], v[174:175], v[30:31], v[219:220]
	v_fma_f64 v[172:173], v[172:173], v[30:31], -v[32:33]
	scratch_load_b128 v[30:33], off, off offset:448
	v_add_f64 v[199:200], v[199:200], v[38:39]
	v_add_f64 v[217:218], v[217:218], v[40:41]
	ds_load_b128 v[38:41], v1 offset:1168
	s_waitcnt vmcnt(10) lgkmcnt(1)
	v_mul_f64 v[225:226], v[2:3], v[36:37]
	v_mul_f64 v[36:37], v[4:5], v[36:37]
	s_waitcnt vmcnt(8) lgkmcnt(0)
	v_mul_f64 v[219:220], v[38:39], v[170:171]
	v_add_f64 v[199:200], v[199:200], v[223:224]
	v_add_f64 v[217:218], v[217:218], v[221:222]
	v_mul_f64 v[221:222], v[40:41], v[170:171]
	v_fma_f64 v[223:224], v[4:5], v[34:35], v[225:226]
	v_fma_f64 v[225:226], v[2:3], v[34:35], -v[36:37]
	ds_load_b128 v[2:5], v1 offset:1184
	scratch_load_b128 v[34:37], off, off offset:464
	v_fma_f64 v[219:220], v[40:41], v[168:169], v[219:220]
	v_add_f64 v[199:200], v[199:200], v[172:173]
	v_add_f64 v[174:175], v[217:218], v[174:175]
	ds_load_b128 v[170:173], v1 offset:1200
	v_fma_f64 v[168:169], v[38:39], v[168:169], -v[221:222]
	scratch_load_b128 v[38:41], off, off offset:480
	s_waitcnt vmcnt(9) lgkmcnt(1)
	v_mul_f64 v[217:218], v[2:3], v[44:45]
	v_mul_f64 v[44:45], v[4:5], v[44:45]
	s_waitcnt vmcnt(8) lgkmcnt(0)
	v_mul_f64 v[221:222], v[170:171], v[8:9]
	v_mul_f64 v[8:9], v[172:173], v[8:9]
	v_add_f64 v[199:200], v[199:200], v[225:226]
	v_add_f64 v[174:175], v[174:175], v[223:224]
	v_fma_f64 v[223:224], v[4:5], v[42:43], v[217:218]
	v_fma_f64 v[225:226], v[2:3], v[42:43], -v[44:45]
	ds_load_b128 v[2:5], v1 offset:1216
	scratch_load_b128 v[42:45], off, off offset:496
	v_fma_f64 v[172:173], v[172:173], v[6:7], v[221:222]
	v_fma_f64 v[170:171], v[170:171], v[6:7], -v[8:9]
	scratch_load_b128 v[6:9], off, off offset:512
	v_add_f64 v[168:169], v[199:200], v[168:169]
	v_add_f64 v[174:175], v[174:175], v[219:220]
	ds_load_b128 v[217:220], v1 offset:1232
	s_waitcnt vmcnt(9) lgkmcnt(1)
	v_mul_f64 v[199:200], v[2:3], v[12:13]
	v_mul_f64 v[12:13], v[4:5], v[12:13]
	s_waitcnt vmcnt(8) lgkmcnt(0)
	v_mul_f64 v[221:222], v[217:218], v[16:17]
	v_mul_f64 v[16:17], v[219:220], v[16:17]
	v_add_f64 v[168:169], v[168:169], v[225:226]
	v_add_f64 v[174:175], v[174:175], v[223:224]
	v_fma_f64 v[199:200], v[4:5], v[10:11], v[199:200]
	v_fma_f64 v[223:224], v[2:3], v[10:11], -v[12:13]
	ds_load_b128 v[2:5], v1 offset:1248
	scratch_load_b128 v[10:13], off, off offset:528
	v_fma_f64 v[219:220], v[219:220], v[14:15], v[221:222]
	v_fma_f64 v[217:218], v[217:218], v[14:15], -v[16:17]
	scratch_load_b128 v[14:17], off, off offset:544
	v_add_f64 v[225:226], v[168:169], v[170:171]
	v_add_f64 v[172:173], v[174:175], v[172:173]
	ds_load_b128 v[168:171], v1 offset:1264
	s_waitcnt vmcnt(9) lgkmcnt(1)
	v_mul_f64 v[174:175], v[2:3], v[20:21]
	v_mul_f64 v[20:21], v[4:5], v[20:21]
	v_add_f64 v[221:222], v[225:226], v[223:224]
	v_add_f64 v[172:173], v[172:173], v[199:200]
	s_waitcnt vmcnt(8) lgkmcnt(0)
	v_mul_f64 v[199:200], v[168:169], v[24:25]
	v_mul_f64 v[24:25], v[170:171], v[24:25]
	v_fma_f64 v[223:224], v[4:5], v[18:19], v[174:175]
	v_fma_f64 v[225:226], v[2:3], v[18:19], -v[20:21]
	ds_load_b128 v[2:5], v1 offset:1280
	scratch_load_b128 v[18:21], off, off offset:560
	v_add_f64 v[217:218], v[221:222], v[217:218]
	v_add_f64 v[219:220], v[172:173], v[219:220]
	ds_load_b128 v[172:175], v1 offset:1296
	s_waitcnt vmcnt(8) lgkmcnt(1)
	v_mul_f64 v[221:222], v[2:3], v[28:29]
	v_mul_f64 v[28:29], v[4:5], v[28:29]
	v_fma_f64 v[170:171], v[170:171], v[22:23], v[199:200]
	v_fma_f64 v[168:169], v[168:169], v[22:23], -v[24:25]
	scratch_load_b128 v[22:25], off, off offset:576
	v_add_f64 v[199:200], v[217:218], v[225:226]
	v_add_f64 v[217:218], v[219:220], v[223:224]
	s_waitcnt vmcnt(8) lgkmcnt(0)
	v_mul_f64 v[219:220], v[172:173], v[32:33]
	v_mul_f64 v[32:33], v[174:175], v[32:33]
	v_fma_f64 v[221:222], v[4:5], v[26:27], v[221:222]
	v_fma_f64 v[223:224], v[2:3], v[26:27], -v[28:29]
	ds_load_b128 v[2:5], v1 offset:1312
	scratch_load_b128 v[26:29], off, off offset:592
	v_add_f64 v[199:200], v[199:200], v[168:169]
	v_add_f64 v[217:218], v[217:218], v[170:171]
	ds_load_b128 v[168:171], v1 offset:1328
	s_waitcnt vmcnt(8) lgkmcnt(1)
	v_mul_f64 v[225:226], v[2:3], v[36:37]
	v_mul_f64 v[36:37], v[4:5], v[36:37]
	v_fma_f64 v[174:175], v[174:175], v[30:31], v[219:220]
	v_fma_f64 v[172:173], v[172:173], v[30:31], -v[32:33]
	scratch_load_b128 v[30:33], off, off offset:608
	s_waitcnt vmcnt(8) lgkmcnt(0)
	v_mul_f64 v[219:220], v[168:169], v[40:41]
	v_mul_f64 v[40:41], v[170:171], v[40:41]
	v_add_f64 v[199:200], v[199:200], v[223:224]
	v_add_f64 v[217:218], v[217:218], v[221:222]
	v_fma_f64 v[221:222], v[4:5], v[34:35], v[225:226]
	v_fma_f64 v[223:224], v[2:3], v[34:35], -v[36:37]
	ds_load_b128 v[2:5], v1 offset:1344
	scratch_load_b128 v[34:37], off, off offset:624
	v_fma_f64 v[170:171], v[170:171], v[38:39], v[219:220]
	v_fma_f64 v[168:169], v[168:169], v[38:39], -v[40:41]
	scratch_load_b128 v[38:41], off, off offset:640
	v_add_f64 v[199:200], v[199:200], v[172:173]
	v_add_f64 v[217:218], v[217:218], v[174:175]
	ds_load_b128 v[172:175], v1 offset:1360
	s_waitcnt vmcnt(9) lgkmcnt(1)
	v_mul_f64 v[225:226], v[2:3], v[44:45]
	v_mul_f64 v[44:45], v[4:5], v[44:45]
	s_waitcnt vmcnt(8) lgkmcnt(0)
	v_mul_f64 v[219:220], v[172:173], v[8:9]
	v_mul_f64 v[8:9], v[174:175], v[8:9]
	v_add_f64 v[199:200], v[199:200], v[223:224]
	v_add_f64 v[217:218], v[217:218], v[221:222]
	v_fma_f64 v[221:222], v[4:5], v[42:43], v[225:226]
	v_fma_f64 v[223:224], v[2:3], v[42:43], -v[44:45]
	ds_load_b128 v[2:5], v1 offset:1376
	scratch_load_b128 v[42:45], off, off offset:656
	v_fma_f64 v[174:175], v[174:175], v[6:7], v[219:220]
	v_fma_f64 v[172:173], v[172:173], v[6:7], -v[8:9]
	scratch_load_b128 v[6:9], off, off offset:672
	v_add_f64 v[199:200], v[199:200], v[168:169]
	v_add_f64 v[217:218], v[217:218], v[170:171]
	ds_load_b128 v[168:171], v1 offset:1392
	s_waitcnt vmcnt(9) lgkmcnt(1)
	v_mul_f64 v[225:226], v[2:3], v[12:13]
	v_mul_f64 v[12:13], v[4:5], v[12:13]
	;; [unrolled: 18-line block ×7, first 2 shown]
	s_waitcnt vmcnt(8) lgkmcnt(0)
	v_mul_f64 v[219:220], v[172:173], v[16:17]
	v_mul_f64 v[16:17], v[174:175], v[16:17]
	v_add_f64 v[199:200], v[199:200], v[223:224]
	v_add_f64 v[217:218], v[217:218], v[221:222]
	v_fma_f64 v[221:222], v[4:5], v[10:11], v[225:226]
	v_fma_f64 v[223:224], v[2:3], v[10:11], -v[12:13]
	ds_load_b128 v[2:5], v1 offset:1568
	ds_load_b128 v[10:13], v1 offset:1584
	v_fma_f64 v[174:175], v[174:175], v[14:15], v[219:220]
	v_fma_f64 v[14:15], v[172:173], v[14:15], -v[16:17]
	v_add_f64 v[168:169], v[199:200], v[168:169]
	v_add_f64 v[170:171], v[217:218], v[170:171]
	s_waitcnt vmcnt(7) lgkmcnt(1)
	v_mul_f64 v[199:200], v[2:3], v[20:21]
	v_mul_f64 v[20:21], v[4:5], v[20:21]
	s_delay_alu instid0(VALU_DEP_4) | instskip(NEXT) | instid1(VALU_DEP_4)
	v_add_f64 v[16:17], v[168:169], v[223:224]
	v_add_f64 v[168:169], v[170:171], v[221:222]
	s_waitcnt vmcnt(6) lgkmcnt(0)
	v_mul_f64 v[170:171], v[10:11], v[24:25]
	v_mul_f64 v[24:25], v[12:13], v[24:25]
	v_fma_f64 v[172:173], v[4:5], v[18:19], v[199:200]
	v_fma_f64 v[18:19], v[2:3], v[18:19], -v[20:21]
	v_add_f64 v[20:21], v[16:17], v[14:15]
	v_add_f64 v[168:169], v[168:169], v[174:175]
	ds_load_b128 v[2:5], v1 offset:1600
	ds_load_b128 v[14:17], v1 offset:1616
	v_fma_f64 v[12:13], v[12:13], v[22:23], v[170:171]
	v_fma_f64 v[10:11], v[10:11], v[22:23], -v[24:25]
	s_waitcnt vmcnt(5) lgkmcnt(1)
	v_mul_f64 v[174:175], v[2:3], v[28:29]
	v_mul_f64 v[28:29], v[4:5], v[28:29]
	s_waitcnt vmcnt(4) lgkmcnt(0)
	v_mul_f64 v[22:23], v[14:15], v[32:33]
	v_mul_f64 v[24:25], v[16:17], v[32:33]
	v_add_f64 v[18:19], v[20:21], v[18:19]
	v_add_f64 v[20:21], v[168:169], v[172:173]
	v_fma_f64 v[32:33], v[4:5], v[26:27], v[174:175]
	v_fma_f64 v[26:27], v[2:3], v[26:27], -v[28:29]
	v_fma_f64 v[16:17], v[16:17], v[30:31], v[22:23]
	v_fma_f64 v[14:15], v[14:15], v[30:31], -v[24:25]
	v_add_f64 v[18:19], v[18:19], v[10:11]
	v_add_f64 v[20:21], v[20:21], v[12:13]
	ds_load_b128 v[2:5], v1 offset:1632
	ds_load_b128 v[10:13], v1 offset:1648
	s_waitcnt vmcnt(3) lgkmcnt(1)
	v_mul_f64 v[28:29], v[2:3], v[36:37]
	v_mul_f64 v[36:37], v[4:5], v[36:37]
	s_waitcnt vmcnt(2) lgkmcnt(0)
	v_mul_f64 v[22:23], v[10:11], v[40:41]
	v_mul_f64 v[24:25], v[12:13], v[40:41]
	v_add_f64 v[18:19], v[18:19], v[26:27]
	v_add_f64 v[20:21], v[20:21], v[32:33]
	v_fma_f64 v[26:27], v[4:5], v[34:35], v[28:29]
	v_fma_f64 v[28:29], v[2:3], v[34:35], -v[36:37]
	v_fma_f64 v[12:13], v[12:13], v[38:39], v[22:23]
	v_fma_f64 v[10:11], v[10:11], v[38:39], -v[24:25]
	v_add_f64 v[18:19], v[18:19], v[14:15]
	v_add_f64 v[20:21], v[20:21], v[16:17]
	ds_load_b128 v[2:5], v1 offset:1664
	ds_load_b128 v[14:17], v1 offset:1680
	s_waitcnt vmcnt(1) lgkmcnt(1)
	v_mul_f64 v[30:31], v[2:3], v[44:45]
	v_mul_f64 v[32:33], v[4:5], v[44:45]
	s_waitcnt vmcnt(0) lgkmcnt(0)
	v_mul_f64 v[22:23], v[14:15], v[8:9]
	v_mul_f64 v[8:9], v[16:17], v[8:9]
	v_add_f64 v[18:19], v[18:19], v[28:29]
	v_add_f64 v[20:21], v[20:21], v[26:27]
	v_fma_f64 v[4:5], v[4:5], v[42:43], v[30:31]
	v_fma_f64 v[1:2], v[2:3], v[42:43], -v[32:33]
	v_fma_f64 v[16:17], v[16:17], v[6:7], v[22:23]
	v_fma_f64 v[6:7], v[14:15], v[6:7], -v[8:9]
	v_add_f64 v[10:11], v[18:19], v[10:11]
	v_add_f64 v[12:13], v[20:21], v[12:13]
	s_delay_alu instid0(VALU_DEP_2) | instskip(NEXT) | instid1(VALU_DEP_2)
	v_add_f64 v[1:2], v[10:11], v[1:2]
	v_add_f64 v[3:4], v[12:13], v[4:5]
	s_delay_alu instid0(VALU_DEP_2) | instskip(NEXT) | instid1(VALU_DEP_2)
	;; [unrolled: 3-line block ×3, first 2 shown]
	v_add_f64 v[1:2], v[164:165], -v[1:2]
	v_add_f64 v[3:4], v[166:167], -v[3:4]
	scratch_store_b128 off, v[1:4], off offset:160
	v_cmpx_lt_u32_e32 9, v152
	s_cbranch_execz .LBB116_313
; %bb.312:
	scratch_load_b128 v[1:4], v196, off
	v_mov_b32_e32 v5, 0
	s_delay_alu instid0(VALU_DEP_1)
	v_mov_b32_e32 v6, v5
	v_mov_b32_e32 v7, v5
	;; [unrolled: 1-line block ×3, first 2 shown]
	scratch_store_b128 off, v[5:8], off offset:144
	s_waitcnt vmcnt(0)
	ds_store_b128 v205, v[1:4]
.LBB116_313:
	s_or_b32 exec_lo, exec_lo, s2
	s_waitcnt lgkmcnt(0)
	s_waitcnt_vscnt null, 0x0
	s_barrier
	buffer_gl0_inv
	s_clause 0x7
	scratch_load_b128 v[2:5], off, off offset:160
	scratch_load_b128 v[6:9], off, off offset:176
	scratch_load_b128 v[10:13], off, off offset:192
	scratch_load_b128 v[14:17], off, off offset:208
	scratch_load_b128 v[18:21], off, off offset:224
	scratch_load_b128 v[22:25], off, off offset:240
	scratch_load_b128 v[26:29], off, off offset:256
	scratch_load_b128 v[30:33], off, off offset:272
	v_mov_b32_e32 v1, 0
	s_mov_b32 s2, exec_lo
	ds_load_b128 v[38:41], v1 offset:1008
	s_clause 0x1
	scratch_load_b128 v[34:37], off, off offset:288
	scratch_load_b128 v[42:45], off, off offset:144
	ds_load_b128 v[164:167], v1 offset:1024
	scratch_load_b128 v[168:171], off, off offset:304
	s_waitcnt vmcnt(10) lgkmcnt(1)
	v_mul_f64 v[172:173], v[40:41], v[4:5]
	v_mul_f64 v[4:5], v[38:39], v[4:5]
	s_delay_alu instid0(VALU_DEP_2) | instskip(NEXT) | instid1(VALU_DEP_2)
	v_fma_f64 v[217:218], v[38:39], v[2:3], -v[172:173]
	v_fma_f64 v[219:220], v[40:41], v[2:3], v[4:5]
	scratch_load_b128 v[38:41], off, off offset:320
	ds_load_b128 v[2:5], v1 offset:1040
	s_waitcnt vmcnt(10) lgkmcnt(1)
	v_mul_f64 v[199:200], v[164:165], v[8:9]
	v_mul_f64 v[8:9], v[166:167], v[8:9]
	ds_load_b128 v[172:175], v1 offset:1056
	s_waitcnt vmcnt(9) lgkmcnt(1)
	v_mul_f64 v[221:222], v[2:3], v[12:13]
	v_mul_f64 v[12:13], v[4:5], v[12:13]
	v_fma_f64 v[166:167], v[166:167], v[6:7], v[199:200]
	v_fma_f64 v[164:165], v[164:165], v[6:7], -v[8:9]
	v_add_f64 v[199:200], v[217:218], 0
	v_add_f64 v[217:218], v[219:220], 0
	scratch_load_b128 v[6:9], off, off offset:336
	v_fma_f64 v[221:222], v[4:5], v[10:11], v[221:222]
	v_fma_f64 v[223:224], v[2:3], v[10:11], -v[12:13]
	scratch_load_b128 v[10:13], off, off offset:352
	ds_load_b128 v[2:5], v1 offset:1072
	s_waitcnt vmcnt(10) lgkmcnt(1)
	v_mul_f64 v[219:220], v[172:173], v[16:17]
	v_mul_f64 v[16:17], v[174:175], v[16:17]
	v_add_f64 v[199:200], v[199:200], v[164:165]
	v_add_f64 v[217:218], v[217:218], v[166:167]
	s_waitcnt vmcnt(9) lgkmcnt(0)
	v_mul_f64 v[225:226], v[2:3], v[20:21]
	v_mul_f64 v[20:21], v[4:5], v[20:21]
	ds_load_b128 v[164:167], v1 offset:1088
	v_fma_f64 v[174:175], v[174:175], v[14:15], v[219:220]
	v_fma_f64 v[172:173], v[172:173], v[14:15], -v[16:17]
	scratch_load_b128 v[14:17], off, off offset:368
	v_add_f64 v[199:200], v[199:200], v[223:224]
	v_add_f64 v[217:218], v[217:218], v[221:222]
	v_fma_f64 v[221:222], v[4:5], v[18:19], v[225:226]
	v_fma_f64 v[223:224], v[2:3], v[18:19], -v[20:21]
	scratch_load_b128 v[18:21], off, off offset:384
	ds_load_b128 v[2:5], v1 offset:1104
	s_waitcnt vmcnt(10) lgkmcnt(1)
	v_mul_f64 v[219:220], v[164:165], v[24:25]
	v_mul_f64 v[24:25], v[166:167], v[24:25]
	s_waitcnt vmcnt(9) lgkmcnt(0)
	v_mul_f64 v[225:226], v[2:3], v[28:29]
	v_mul_f64 v[28:29], v[4:5], v[28:29]
	v_add_f64 v[199:200], v[199:200], v[172:173]
	v_add_f64 v[217:218], v[217:218], v[174:175]
	ds_load_b128 v[172:175], v1 offset:1120
	v_fma_f64 v[166:167], v[166:167], v[22:23], v[219:220]
	v_fma_f64 v[164:165], v[164:165], v[22:23], -v[24:25]
	scratch_load_b128 v[22:25], off, off offset:400
	v_add_f64 v[199:200], v[199:200], v[223:224]
	v_add_f64 v[217:218], v[217:218], v[221:222]
	v_fma_f64 v[221:222], v[4:5], v[26:27], v[225:226]
	v_fma_f64 v[223:224], v[2:3], v[26:27], -v[28:29]
	scratch_load_b128 v[26:29], off, off offset:416
	ds_load_b128 v[2:5], v1 offset:1136
	s_waitcnt vmcnt(10) lgkmcnt(1)
	v_mul_f64 v[219:220], v[172:173], v[32:33]
	v_mul_f64 v[32:33], v[174:175], v[32:33]
	s_waitcnt vmcnt(9) lgkmcnt(0)
	v_mul_f64 v[225:226], v[2:3], v[36:37]
	v_mul_f64 v[36:37], v[4:5], v[36:37]
	v_add_f64 v[199:200], v[199:200], v[164:165]
	v_add_f64 v[217:218], v[217:218], v[166:167]
	ds_load_b128 v[164:167], v1 offset:1152
	v_fma_f64 v[174:175], v[174:175], v[30:31], v[219:220]
	v_fma_f64 v[172:173], v[172:173], v[30:31], -v[32:33]
	scratch_load_b128 v[30:33], off, off offset:432
	v_add_f64 v[199:200], v[199:200], v[223:224]
	v_add_f64 v[217:218], v[217:218], v[221:222]
	v_fma_f64 v[223:224], v[4:5], v[34:35], v[225:226]
	v_fma_f64 v[225:226], v[2:3], v[34:35], -v[36:37]
	scratch_load_b128 v[34:37], off, off offset:448
	ds_load_b128 v[2:5], v1 offset:1168
	s_waitcnt vmcnt(9) lgkmcnt(1)
	v_mul_f64 v[219:220], v[164:165], v[170:171]
	v_mul_f64 v[221:222], v[166:167], v[170:171]
	v_add_f64 v[199:200], v[199:200], v[172:173]
	v_add_f64 v[174:175], v[217:218], v[174:175]
	ds_load_b128 v[170:173], v1 offset:1184
	v_fma_f64 v[219:220], v[166:167], v[168:169], v[219:220]
	v_fma_f64 v[168:169], v[164:165], v[168:169], -v[221:222]
	scratch_load_b128 v[164:167], off, off offset:464
	s_waitcnt vmcnt(9) lgkmcnt(1)
	v_mul_f64 v[217:218], v[2:3], v[40:41]
	v_mul_f64 v[40:41], v[4:5], v[40:41]
	v_add_f64 v[199:200], v[199:200], v[225:226]
	v_add_f64 v[174:175], v[174:175], v[223:224]
	s_delay_alu instid0(VALU_DEP_4) | instskip(NEXT) | instid1(VALU_DEP_4)
	v_fma_f64 v[223:224], v[4:5], v[38:39], v[217:218]
	v_fma_f64 v[225:226], v[2:3], v[38:39], -v[40:41]
	scratch_load_b128 v[38:41], off, off offset:480
	ds_load_b128 v[2:5], v1 offset:1200
	s_waitcnt vmcnt(9) lgkmcnt(1)
	v_mul_f64 v[221:222], v[170:171], v[8:9]
	v_mul_f64 v[8:9], v[172:173], v[8:9]
	v_add_f64 v[168:169], v[199:200], v[168:169]
	v_add_f64 v[174:175], v[174:175], v[219:220]
	s_waitcnt vmcnt(8) lgkmcnt(0)
	v_mul_f64 v[199:200], v[2:3], v[12:13]
	v_mul_f64 v[12:13], v[4:5], v[12:13]
	ds_load_b128 v[217:220], v1 offset:1216
	v_fma_f64 v[172:173], v[172:173], v[6:7], v[221:222]
	v_fma_f64 v[170:171], v[170:171], v[6:7], -v[8:9]
	scratch_load_b128 v[6:9], off, off offset:496
	v_add_f64 v[168:169], v[168:169], v[225:226]
	v_add_f64 v[174:175], v[174:175], v[223:224]
	v_fma_f64 v[199:200], v[4:5], v[10:11], v[199:200]
	v_fma_f64 v[223:224], v[2:3], v[10:11], -v[12:13]
	scratch_load_b128 v[10:13], off, off offset:512
	ds_load_b128 v[2:5], v1 offset:1232
	s_waitcnt vmcnt(9) lgkmcnt(1)
	v_mul_f64 v[221:222], v[217:218], v[16:17]
	v_mul_f64 v[16:17], v[219:220], v[16:17]
	v_add_f64 v[225:226], v[168:169], v[170:171]
	v_add_f64 v[172:173], v[174:175], v[172:173]
	s_waitcnt vmcnt(8) lgkmcnt(0)
	v_mul_f64 v[174:175], v[2:3], v[20:21]
	v_mul_f64 v[20:21], v[4:5], v[20:21]
	ds_load_b128 v[168:171], v1 offset:1248
	v_fma_f64 v[219:220], v[219:220], v[14:15], v[221:222]
	v_fma_f64 v[217:218], v[217:218], v[14:15], -v[16:17]
	scratch_load_b128 v[14:17], off, off offset:528
	v_add_f64 v[221:222], v[225:226], v[223:224]
	v_add_f64 v[172:173], v[172:173], v[199:200]
	;; [unrolled: 18-line block ×3, first 2 shown]
	v_fma_f64 v[221:222], v[4:5], v[26:27], v[221:222]
	v_fma_f64 v[223:224], v[2:3], v[26:27], -v[28:29]
	scratch_load_b128 v[26:29], off, off offset:576
	ds_load_b128 v[2:5], v1 offset:1296
	s_waitcnt vmcnt(9) lgkmcnt(1)
	v_mul_f64 v[219:220], v[172:173], v[32:33]
	v_mul_f64 v[32:33], v[174:175], v[32:33]
	s_waitcnt vmcnt(8) lgkmcnt(0)
	v_mul_f64 v[225:226], v[2:3], v[36:37]
	v_mul_f64 v[36:37], v[4:5], v[36:37]
	v_add_f64 v[199:200], v[199:200], v[168:169]
	v_add_f64 v[217:218], v[217:218], v[170:171]
	ds_load_b128 v[168:171], v1 offset:1312
	v_fma_f64 v[174:175], v[174:175], v[30:31], v[219:220]
	v_fma_f64 v[172:173], v[172:173], v[30:31], -v[32:33]
	scratch_load_b128 v[30:33], off, off offset:592
	v_add_f64 v[199:200], v[199:200], v[223:224]
	v_add_f64 v[217:218], v[217:218], v[221:222]
	v_fma_f64 v[221:222], v[4:5], v[34:35], v[225:226]
	v_fma_f64 v[223:224], v[2:3], v[34:35], -v[36:37]
	scratch_load_b128 v[34:37], off, off offset:608
	ds_load_b128 v[2:5], v1 offset:1328
	s_waitcnt vmcnt(9) lgkmcnt(1)
	v_mul_f64 v[219:220], v[168:169], v[166:167]
	v_mul_f64 v[166:167], v[170:171], v[166:167]
	s_waitcnt vmcnt(8) lgkmcnt(0)
	v_mul_f64 v[225:226], v[2:3], v[40:41]
	v_mul_f64 v[40:41], v[4:5], v[40:41]
	v_add_f64 v[199:200], v[199:200], v[172:173]
	v_add_f64 v[217:218], v[217:218], v[174:175]
	ds_load_b128 v[172:175], v1 offset:1344
	v_fma_f64 v[170:171], v[170:171], v[164:165], v[219:220]
	v_fma_f64 v[168:169], v[168:169], v[164:165], -v[166:167]
	scratch_load_b128 v[164:167], off, off offset:624
	v_add_f64 v[199:200], v[199:200], v[223:224]
	v_add_f64 v[217:218], v[217:218], v[221:222]
	;; [unrolled: 18-line block ×6, first 2 shown]
	v_fma_f64 v[223:224], v[4:5], v[34:35], v[225:226]
	v_fma_f64 v[225:226], v[2:3], v[34:35], -v[36:37]
	scratch_load_b128 v[34:37], off, off offset:768
	ds_load_b128 v[2:5], v1 offset:1488
	s_waitcnt vmcnt(9) lgkmcnt(1)
	v_mul_f64 v[219:220], v[172:173], v[166:167]
	v_mul_f64 v[221:222], v[174:175], v[166:167]
	v_add_f64 v[199:200], v[199:200], v[168:169]
	v_add_f64 v[170:171], v[217:218], v[170:171]
	s_waitcnt vmcnt(8) lgkmcnt(0)
	v_mul_f64 v[217:218], v[2:3], v[40:41]
	v_mul_f64 v[40:41], v[4:5], v[40:41]
	ds_load_b128 v[166:169], v1 offset:1504
	v_fma_f64 v[174:175], v[174:175], v[164:165], v[219:220]
	v_fma_f64 v[164:165], v[172:173], v[164:165], -v[221:222]
	v_add_f64 v[199:200], v[199:200], v[225:226]
	v_add_f64 v[219:220], v[170:171], v[223:224]
	scratch_load_b128 v[170:173], off, off offset:784
	v_fma_f64 v[223:224], v[4:5], v[38:39], v[217:218]
	v_fma_f64 v[225:226], v[2:3], v[38:39], -v[40:41]
	scratch_load_b128 v[38:41], off, off offset:800
	ds_load_b128 v[2:5], v1 offset:1520
	s_waitcnt vmcnt(9) lgkmcnt(1)
	v_mul_f64 v[221:222], v[166:167], v[8:9]
	v_mul_f64 v[8:9], v[168:169], v[8:9]
	v_add_f64 v[164:165], v[199:200], v[164:165]
	v_add_f64 v[174:175], v[219:220], v[174:175]
	s_waitcnt vmcnt(8) lgkmcnt(0)
	v_mul_f64 v[199:200], v[2:3], v[12:13]
	v_mul_f64 v[12:13], v[4:5], v[12:13]
	ds_load_b128 v[217:220], v1 offset:1536
	v_fma_f64 v[168:169], v[168:169], v[6:7], v[221:222]
	v_fma_f64 v[166:167], v[166:167], v[6:7], -v[8:9]
	scratch_load_b128 v[6:9], off, off offset:816
	v_add_f64 v[164:165], v[164:165], v[225:226]
	v_add_f64 v[174:175], v[174:175], v[223:224]
	v_fma_f64 v[199:200], v[4:5], v[10:11], v[199:200]
	v_fma_f64 v[223:224], v[2:3], v[10:11], -v[12:13]
	scratch_load_b128 v[10:13], off, off offset:832
	ds_load_b128 v[2:5], v1 offset:1552
	s_waitcnt vmcnt(9) lgkmcnt(1)
	v_mul_f64 v[221:222], v[217:218], v[16:17]
	v_mul_f64 v[16:17], v[219:220], v[16:17]
	v_add_f64 v[225:226], v[164:165], v[166:167]
	v_add_f64 v[168:169], v[174:175], v[168:169]
	s_waitcnt vmcnt(8) lgkmcnt(0)
	v_mul_f64 v[174:175], v[2:3], v[20:21]
	v_mul_f64 v[20:21], v[4:5], v[20:21]
	ds_load_b128 v[164:167], v1 offset:1568
	v_fma_f64 v[219:220], v[219:220], v[14:15], v[221:222]
	v_fma_f64 v[14:15], v[217:218], v[14:15], -v[16:17]
	v_add_f64 v[16:17], v[225:226], v[223:224]
	v_add_f64 v[168:169], v[168:169], v[199:200]
	s_waitcnt vmcnt(7) lgkmcnt(0)
	v_mul_f64 v[199:200], v[164:165], v[24:25]
	v_mul_f64 v[24:25], v[166:167], v[24:25]
	v_fma_f64 v[174:175], v[4:5], v[18:19], v[174:175]
	v_fma_f64 v[18:19], v[2:3], v[18:19], -v[20:21]
	v_add_f64 v[20:21], v[16:17], v[14:15]
	v_add_f64 v[168:169], v[168:169], v[219:220]
	ds_load_b128 v[2:5], v1 offset:1584
	ds_load_b128 v[14:17], v1 offset:1600
	v_fma_f64 v[166:167], v[166:167], v[22:23], v[199:200]
	v_fma_f64 v[22:23], v[164:165], v[22:23], -v[24:25]
	s_waitcnt vmcnt(6) lgkmcnt(1)
	v_mul_f64 v[217:218], v[2:3], v[28:29]
	v_mul_f64 v[28:29], v[4:5], v[28:29]
	s_waitcnt vmcnt(5) lgkmcnt(0)
	v_mul_f64 v[24:25], v[14:15], v[32:33]
	v_mul_f64 v[32:33], v[16:17], v[32:33]
	v_add_f64 v[18:19], v[20:21], v[18:19]
	v_add_f64 v[20:21], v[168:169], v[174:175]
	v_fma_f64 v[164:165], v[4:5], v[26:27], v[217:218]
	v_fma_f64 v[26:27], v[2:3], v[26:27], -v[28:29]
	v_fma_f64 v[16:17], v[16:17], v[30:31], v[24:25]
	v_fma_f64 v[14:15], v[14:15], v[30:31], -v[32:33]
	v_add_f64 v[22:23], v[18:19], v[22:23]
	v_add_f64 v[28:29], v[20:21], v[166:167]
	ds_load_b128 v[2:5], v1 offset:1616
	ds_load_b128 v[18:21], v1 offset:1632
	s_waitcnt vmcnt(4) lgkmcnt(1)
	v_mul_f64 v[166:167], v[2:3], v[36:37]
	v_mul_f64 v[36:37], v[4:5], v[36:37]
	v_add_f64 v[22:23], v[22:23], v[26:27]
	v_add_f64 v[24:25], v[28:29], v[164:165]
	s_waitcnt vmcnt(3) lgkmcnt(0)
	v_mul_f64 v[26:27], v[18:19], v[172:173]
	v_mul_f64 v[28:29], v[20:21], v[172:173]
	v_fma_f64 v[30:31], v[4:5], v[34:35], v[166:167]
	v_fma_f64 v[32:33], v[2:3], v[34:35], -v[36:37]
	v_add_f64 v[22:23], v[22:23], v[14:15]
	v_add_f64 v[24:25], v[24:25], v[16:17]
	ds_load_b128 v[2:5], v1 offset:1648
	ds_load_b128 v[14:17], v1 offset:1664
	v_fma_f64 v[20:21], v[20:21], v[170:171], v[26:27]
	v_fma_f64 v[18:19], v[18:19], v[170:171], -v[28:29]
	s_waitcnt vmcnt(2) lgkmcnt(1)
	v_mul_f64 v[34:35], v[2:3], v[40:41]
	v_mul_f64 v[36:37], v[4:5], v[40:41]
	s_waitcnt vmcnt(1) lgkmcnt(0)
	v_mul_f64 v[26:27], v[14:15], v[8:9]
	v_mul_f64 v[8:9], v[16:17], v[8:9]
	v_add_f64 v[22:23], v[22:23], v[32:33]
	v_add_f64 v[24:25], v[24:25], v[30:31]
	v_fma_f64 v[28:29], v[4:5], v[38:39], v[34:35]
	v_fma_f64 v[30:31], v[2:3], v[38:39], -v[36:37]
	ds_load_b128 v[2:5], v1 offset:1680
	v_fma_f64 v[16:17], v[16:17], v[6:7], v[26:27]
	v_fma_f64 v[6:7], v[14:15], v[6:7], -v[8:9]
	v_add_f64 v[18:19], v[22:23], v[18:19]
	v_add_f64 v[20:21], v[24:25], v[20:21]
	s_waitcnt vmcnt(0) lgkmcnt(0)
	v_mul_f64 v[22:23], v[2:3], v[12:13]
	v_mul_f64 v[12:13], v[4:5], v[12:13]
	s_delay_alu instid0(VALU_DEP_4) | instskip(NEXT) | instid1(VALU_DEP_4)
	v_add_f64 v[8:9], v[18:19], v[30:31]
	v_add_f64 v[14:15], v[20:21], v[28:29]
	s_delay_alu instid0(VALU_DEP_4) | instskip(NEXT) | instid1(VALU_DEP_4)
	v_fma_f64 v[4:5], v[4:5], v[10:11], v[22:23]
	v_fma_f64 v[2:3], v[2:3], v[10:11], -v[12:13]
	s_delay_alu instid0(VALU_DEP_4) | instskip(NEXT) | instid1(VALU_DEP_4)
	v_add_f64 v[6:7], v[8:9], v[6:7]
	v_add_f64 v[8:9], v[14:15], v[16:17]
	s_delay_alu instid0(VALU_DEP_2) | instskip(NEXT) | instid1(VALU_DEP_2)
	v_add_f64 v[2:3], v[6:7], v[2:3]
	v_add_f64 v[4:5], v[8:9], v[4:5]
	s_delay_alu instid0(VALU_DEP_2) | instskip(NEXT) | instid1(VALU_DEP_2)
	v_add_f64 v[2:3], v[42:43], -v[2:3]
	v_add_f64 v[4:5], v[44:45], -v[4:5]
	scratch_store_b128 off, v[2:5], off offset:144
	v_cmpx_lt_u32_e32 8, v152
	s_cbranch_execz .LBB116_315
; %bb.314:
	scratch_load_b128 v[5:8], v253, off
	v_mov_b32_e32 v2, v1
	v_mov_b32_e32 v3, v1
	;; [unrolled: 1-line block ×3, first 2 shown]
	scratch_store_b128 off, v[1:4], off offset:128
	s_waitcnt vmcnt(0)
	ds_store_b128 v205, v[5:8]
.LBB116_315:
	s_or_b32 exec_lo, exec_lo, s2
	s_waitcnt lgkmcnt(0)
	s_waitcnt_vscnt null, 0x0
	s_barrier
	buffer_gl0_inv
	s_clause 0x8
	scratch_load_b128 v[2:5], off, off offset:144
	scratch_load_b128 v[6:9], off, off offset:160
	;; [unrolled: 1-line block ×9, first 2 shown]
	ds_load_b128 v[42:45], v1 offset:992
	ds_load_b128 v[38:41], v1 offset:1008
	s_clause 0x1
	scratch_load_b128 v[164:167], off, off offset:128
	scratch_load_b128 v[168:171], off, off offset:288
	s_mov_b32 s2, exec_lo
	s_waitcnt vmcnt(10) lgkmcnt(1)
	v_mul_f64 v[172:173], v[44:45], v[4:5]
	v_mul_f64 v[4:5], v[42:43], v[4:5]
	s_waitcnt vmcnt(9) lgkmcnt(0)
	v_mul_f64 v[199:200], v[38:39], v[8:9]
	v_mul_f64 v[8:9], v[40:41], v[8:9]
	s_delay_alu instid0(VALU_DEP_4) | instskip(NEXT) | instid1(VALU_DEP_4)
	v_fma_f64 v[217:218], v[42:43], v[2:3], -v[172:173]
	v_fma_f64 v[219:220], v[44:45], v[2:3], v[4:5]
	ds_load_b128 v[2:5], v1 offset:1024
	ds_load_b128 v[172:175], v1 offset:1040
	scratch_load_b128 v[42:45], off, off offset:304
	v_fma_f64 v[40:41], v[40:41], v[6:7], v[199:200]
	v_fma_f64 v[38:39], v[38:39], v[6:7], -v[8:9]
	scratch_load_b128 v[6:9], off, off offset:320
	s_waitcnt vmcnt(10) lgkmcnt(1)
	v_mul_f64 v[221:222], v[2:3], v[12:13]
	v_mul_f64 v[12:13], v[4:5], v[12:13]
	v_add_f64 v[199:200], v[217:218], 0
	v_add_f64 v[217:218], v[219:220], 0
	s_waitcnt vmcnt(9) lgkmcnt(0)
	v_mul_f64 v[219:220], v[172:173], v[16:17]
	v_mul_f64 v[16:17], v[174:175], v[16:17]
	v_fma_f64 v[221:222], v[4:5], v[10:11], v[221:222]
	v_fma_f64 v[223:224], v[2:3], v[10:11], -v[12:13]
	ds_load_b128 v[2:5], v1 offset:1056
	scratch_load_b128 v[10:13], off, off offset:336
	v_add_f64 v[199:200], v[199:200], v[38:39]
	v_add_f64 v[217:218], v[217:218], v[40:41]
	ds_load_b128 v[38:41], v1 offset:1072
	v_fma_f64 v[174:175], v[174:175], v[14:15], v[219:220]
	v_fma_f64 v[172:173], v[172:173], v[14:15], -v[16:17]
	scratch_load_b128 v[14:17], off, off offset:352
	s_waitcnt vmcnt(10) lgkmcnt(1)
	v_mul_f64 v[225:226], v[2:3], v[20:21]
	v_mul_f64 v[20:21], v[4:5], v[20:21]
	s_waitcnt vmcnt(9) lgkmcnt(0)
	v_mul_f64 v[219:220], v[38:39], v[24:25]
	v_mul_f64 v[24:25], v[40:41], v[24:25]
	v_add_f64 v[199:200], v[199:200], v[223:224]
	v_add_f64 v[217:218], v[217:218], v[221:222]
	v_fma_f64 v[221:222], v[4:5], v[18:19], v[225:226]
	v_fma_f64 v[223:224], v[2:3], v[18:19], -v[20:21]
	ds_load_b128 v[2:5], v1 offset:1088
	scratch_load_b128 v[18:21], off, off offset:368
	v_fma_f64 v[40:41], v[40:41], v[22:23], v[219:220]
	v_fma_f64 v[38:39], v[38:39], v[22:23], -v[24:25]
	scratch_load_b128 v[22:25], off, off offset:384
	v_add_f64 v[199:200], v[199:200], v[172:173]
	v_add_f64 v[217:218], v[217:218], v[174:175]
	ds_load_b128 v[172:175], v1 offset:1104
	s_waitcnt vmcnt(10) lgkmcnt(1)
	v_mul_f64 v[225:226], v[2:3], v[28:29]
	v_mul_f64 v[28:29], v[4:5], v[28:29]
	s_waitcnt vmcnt(9) lgkmcnt(0)
	v_mul_f64 v[219:220], v[172:173], v[32:33]
	v_mul_f64 v[32:33], v[174:175], v[32:33]
	v_add_f64 v[199:200], v[199:200], v[223:224]
	v_add_f64 v[217:218], v[217:218], v[221:222]
	v_fma_f64 v[221:222], v[4:5], v[26:27], v[225:226]
	v_fma_f64 v[223:224], v[2:3], v[26:27], -v[28:29]
	ds_load_b128 v[2:5], v1 offset:1120
	scratch_load_b128 v[26:29], off, off offset:400
	v_fma_f64 v[174:175], v[174:175], v[30:31], v[219:220]
	v_fma_f64 v[172:173], v[172:173], v[30:31], -v[32:33]
	scratch_load_b128 v[30:33], off, off offset:416
	v_add_f64 v[199:200], v[199:200], v[38:39]
	v_add_f64 v[217:218], v[217:218], v[40:41]
	ds_load_b128 v[38:41], v1 offset:1136
	s_waitcnt vmcnt(10) lgkmcnt(1)
	v_mul_f64 v[225:226], v[2:3], v[36:37]
	v_mul_f64 v[36:37], v[4:5], v[36:37]
	s_waitcnt vmcnt(8) lgkmcnt(0)
	v_mul_f64 v[219:220], v[38:39], v[170:171]
	v_add_f64 v[199:200], v[199:200], v[223:224]
	v_add_f64 v[217:218], v[217:218], v[221:222]
	v_mul_f64 v[221:222], v[40:41], v[170:171]
	v_fma_f64 v[223:224], v[4:5], v[34:35], v[225:226]
	v_fma_f64 v[225:226], v[2:3], v[34:35], -v[36:37]
	ds_load_b128 v[2:5], v1 offset:1152
	scratch_load_b128 v[34:37], off, off offset:432
	v_fma_f64 v[219:220], v[40:41], v[168:169], v[219:220]
	v_add_f64 v[199:200], v[199:200], v[172:173]
	v_add_f64 v[174:175], v[217:218], v[174:175]
	ds_load_b128 v[170:173], v1 offset:1168
	v_fma_f64 v[168:169], v[38:39], v[168:169], -v[221:222]
	scratch_load_b128 v[38:41], off, off offset:448
	s_waitcnt vmcnt(9) lgkmcnt(1)
	v_mul_f64 v[217:218], v[2:3], v[44:45]
	v_mul_f64 v[44:45], v[4:5], v[44:45]
	s_waitcnt vmcnt(8) lgkmcnt(0)
	v_mul_f64 v[221:222], v[170:171], v[8:9]
	v_mul_f64 v[8:9], v[172:173], v[8:9]
	v_add_f64 v[199:200], v[199:200], v[225:226]
	v_add_f64 v[174:175], v[174:175], v[223:224]
	v_fma_f64 v[223:224], v[4:5], v[42:43], v[217:218]
	v_fma_f64 v[225:226], v[2:3], v[42:43], -v[44:45]
	ds_load_b128 v[2:5], v1 offset:1184
	scratch_load_b128 v[42:45], off, off offset:464
	v_fma_f64 v[172:173], v[172:173], v[6:7], v[221:222]
	v_fma_f64 v[170:171], v[170:171], v[6:7], -v[8:9]
	scratch_load_b128 v[6:9], off, off offset:480
	v_add_f64 v[168:169], v[199:200], v[168:169]
	v_add_f64 v[174:175], v[174:175], v[219:220]
	ds_load_b128 v[217:220], v1 offset:1200
	s_waitcnt vmcnt(9) lgkmcnt(1)
	v_mul_f64 v[199:200], v[2:3], v[12:13]
	v_mul_f64 v[12:13], v[4:5], v[12:13]
	s_waitcnt vmcnt(8) lgkmcnt(0)
	v_mul_f64 v[221:222], v[217:218], v[16:17]
	v_mul_f64 v[16:17], v[219:220], v[16:17]
	v_add_f64 v[168:169], v[168:169], v[225:226]
	v_add_f64 v[174:175], v[174:175], v[223:224]
	v_fma_f64 v[199:200], v[4:5], v[10:11], v[199:200]
	v_fma_f64 v[223:224], v[2:3], v[10:11], -v[12:13]
	ds_load_b128 v[2:5], v1 offset:1216
	scratch_load_b128 v[10:13], off, off offset:496
	v_fma_f64 v[219:220], v[219:220], v[14:15], v[221:222]
	v_fma_f64 v[217:218], v[217:218], v[14:15], -v[16:17]
	scratch_load_b128 v[14:17], off, off offset:512
	v_add_f64 v[225:226], v[168:169], v[170:171]
	v_add_f64 v[172:173], v[174:175], v[172:173]
	ds_load_b128 v[168:171], v1 offset:1232
	s_waitcnt vmcnt(9) lgkmcnt(1)
	v_mul_f64 v[174:175], v[2:3], v[20:21]
	v_mul_f64 v[20:21], v[4:5], v[20:21]
	v_add_f64 v[221:222], v[225:226], v[223:224]
	v_add_f64 v[172:173], v[172:173], v[199:200]
	s_waitcnt vmcnt(8) lgkmcnt(0)
	v_mul_f64 v[199:200], v[168:169], v[24:25]
	v_mul_f64 v[24:25], v[170:171], v[24:25]
	v_fma_f64 v[223:224], v[4:5], v[18:19], v[174:175]
	v_fma_f64 v[225:226], v[2:3], v[18:19], -v[20:21]
	ds_load_b128 v[2:5], v1 offset:1248
	scratch_load_b128 v[18:21], off, off offset:528
	v_add_f64 v[217:218], v[221:222], v[217:218]
	v_add_f64 v[219:220], v[172:173], v[219:220]
	ds_load_b128 v[172:175], v1 offset:1264
	s_waitcnt vmcnt(8) lgkmcnt(1)
	v_mul_f64 v[221:222], v[2:3], v[28:29]
	v_mul_f64 v[28:29], v[4:5], v[28:29]
	v_fma_f64 v[170:171], v[170:171], v[22:23], v[199:200]
	v_fma_f64 v[168:169], v[168:169], v[22:23], -v[24:25]
	scratch_load_b128 v[22:25], off, off offset:544
	v_add_f64 v[199:200], v[217:218], v[225:226]
	v_add_f64 v[217:218], v[219:220], v[223:224]
	s_waitcnt vmcnt(8) lgkmcnt(0)
	v_mul_f64 v[219:220], v[172:173], v[32:33]
	v_mul_f64 v[32:33], v[174:175], v[32:33]
	v_fma_f64 v[221:222], v[4:5], v[26:27], v[221:222]
	v_fma_f64 v[223:224], v[2:3], v[26:27], -v[28:29]
	ds_load_b128 v[2:5], v1 offset:1280
	scratch_load_b128 v[26:29], off, off offset:560
	v_add_f64 v[199:200], v[199:200], v[168:169]
	v_add_f64 v[217:218], v[217:218], v[170:171]
	ds_load_b128 v[168:171], v1 offset:1296
	s_waitcnt vmcnt(8) lgkmcnt(1)
	v_mul_f64 v[225:226], v[2:3], v[36:37]
	v_mul_f64 v[36:37], v[4:5], v[36:37]
	v_fma_f64 v[174:175], v[174:175], v[30:31], v[219:220]
	v_fma_f64 v[172:173], v[172:173], v[30:31], -v[32:33]
	scratch_load_b128 v[30:33], off, off offset:576
	s_waitcnt vmcnt(8) lgkmcnt(0)
	v_mul_f64 v[219:220], v[168:169], v[40:41]
	v_mul_f64 v[40:41], v[170:171], v[40:41]
	v_add_f64 v[199:200], v[199:200], v[223:224]
	v_add_f64 v[217:218], v[217:218], v[221:222]
	v_fma_f64 v[221:222], v[4:5], v[34:35], v[225:226]
	v_fma_f64 v[223:224], v[2:3], v[34:35], -v[36:37]
	ds_load_b128 v[2:5], v1 offset:1312
	scratch_load_b128 v[34:37], off, off offset:592
	v_fma_f64 v[170:171], v[170:171], v[38:39], v[219:220]
	v_fma_f64 v[168:169], v[168:169], v[38:39], -v[40:41]
	scratch_load_b128 v[38:41], off, off offset:608
	v_add_f64 v[199:200], v[199:200], v[172:173]
	v_add_f64 v[217:218], v[217:218], v[174:175]
	ds_load_b128 v[172:175], v1 offset:1328
	s_waitcnt vmcnt(9) lgkmcnt(1)
	v_mul_f64 v[225:226], v[2:3], v[44:45]
	v_mul_f64 v[44:45], v[4:5], v[44:45]
	s_waitcnt vmcnt(8) lgkmcnt(0)
	v_mul_f64 v[219:220], v[172:173], v[8:9]
	v_mul_f64 v[8:9], v[174:175], v[8:9]
	v_add_f64 v[199:200], v[199:200], v[223:224]
	v_add_f64 v[217:218], v[217:218], v[221:222]
	v_fma_f64 v[221:222], v[4:5], v[42:43], v[225:226]
	v_fma_f64 v[223:224], v[2:3], v[42:43], -v[44:45]
	ds_load_b128 v[2:5], v1 offset:1344
	scratch_load_b128 v[42:45], off, off offset:624
	v_fma_f64 v[174:175], v[174:175], v[6:7], v[219:220]
	v_fma_f64 v[172:173], v[172:173], v[6:7], -v[8:9]
	scratch_load_b128 v[6:9], off, off offset:640
	v_add_f64 v[199:200], v[199:200], v[168:169]
	v_add_f64 v[217:218], v[217:218], v[170:171]
	ds_load_b128 v[168:171], v1 offset:1360
	s_waitcnt vmcnt(9) lgkmcnt(1)
	v_mul_f64 v[225:226], v[2:3], v[12:13]
	v_mul_f64 v[12:13], v[4:5], v[12:13]
	;; [unrolled: 18-line block ×8, first 2 shown]
	s_waitcnt vmcnt(8) lgkmcnt(0)
	v_mul_f64 v[219:220], v[168:169], v[24:25]
	v_mul_f64 v[24:25], v[170:171], v[24:25]
	v_add_f64 v[199:200], v[199:200], v[223:224]
	v_add_f64 v[217:218], v[217:218], v[221:222]
	v_fma_f64 v[221:222], v[4:5], v[18:19], v[225:226]
	v_fma_f64 v[223:224], v[2:3], v[18:19], -v[20:21]
	ds_load_b128 v[2:5], v1 offset:1568
	ds_load_b128 v[18:21], v1 offset:1584
	v_fma_f64 v[170:171], v[170:171], v[22:23], v[219:220]
	v_fma_f64 v[22:23], v[168:169], v[22:23], -v[24:25]
	v_add_f64 v[172:173], v[199:200], v[172:173]
	v_add_f64 v[174:175], v[217:218], v[174:175]
	s_waitcnt vmcnt(7) lgkmcnt(1)
	v_mul_f64 v[199:200], v[2:3], v[28:29]
	v_mul_f64 v[28:29], v[4:5], v[28:29]
	s_delay_alu instid0(VALU_DEP_4) | instskip(NEXT) | instid1(VALU_DEP_4)
	v_add_f64 v[24:25], v[172:173], v[223:224]
	v_add_f64 v[168:169], v[174:175], v[221:222]
	s_waitcnt vmcnt(6) lgkmcnt(0)
	v_mul_f64 v[172:173], v[18:19], v[32:33]
	v_mul_f64 v[32:33], v[20:21], v[32:33]
	v_fma_f64 v[174:175], v[4:5], v[26:27], v[199:200]
	v_fma_f64 v[26:27], v[2:3], v[26:27], -v[28:29]
	v_add_f64 v[28:29], v[24:25], v[22:23]
	v_add_f64 v[168:169], v[168:169], v[170:171]
	ds_load_b128 v[2:5], v1 offset:1600
	ds_load_b128 v[22:25], v1 offset:1616
	v_fma_f64 v[20:21], v[20:21], v[30:31], v[172:173]
	v_fma_f64 v[18:19], v[18:19], v[30:31], -v[32:33]
	s_waitcnt vmcnt(5) lgkmcnt(1)
	v_mul_f64 v[170:171], v[2:3], v[36:37]
	v_mul_f64 v[36:37], v[4:5], v[36:37]
	s_waitcnt vmcnt(4) lgkmcnt(0)
	v_mul_f64 v[30:31], v[22:23], v[40:41]
	v_mul_f64 v[32:33], v[24:25], v[40:41]
	v_add_f64 v[26:27], v[28:29], v[26:27]
	v_add_f64 v[28:29], v[168:169], v[174:175]
	v_fma_f64 v[40:41], v[4:5], v[34:35], v[170:171]
	v_fma_f64 v[34:35], v[2:3], v[34:35], -v[36:37]
	v_fma_f64 v[24:25], v[24:25], v[38:39], v[30:31]
	v_fma_f64 v[22:23], v[22:23], v[38:39], -v[32:33]
	v_add_f64 v[26:27], v[26:27], v[18:19]
	v_add_f64 v[28:29], v[28:29], v[20:21]
	ds_load_b128 v[2:5], v1 offset:1632
	ds_load_b128 v[18:21], v1 offset:1648
	s_waitcnt vmcnt(3) lgkmcnt(1)
	v_mul_f64 v[36:37], v[2:3], v[44:45]
	v_mul_f64 v[44:45], v[4:5], v[44:45]
	s_waitcnt vmcnt(2) lgkmcnt(0)
	v_mul_f64 v[30:31], v[18:19], v[8:9]
	v_mul_f64 v[8:9], v[20:21], v[8:9]
	v_add_f64 v[26:27], v[26:27], v[34:35]
	v_add_f64 v[28:29], v[28:29], v[40:41]
	v_fma_f64 v[32:33], v[4:5], v[42:43], v[36:37]
	v_fma_f64 v[34:35], v[2:3], v[42:43], -v[44:45]
	v_fma_f64 v[20:21], v[20:21], v[6:7], v[30:31]
	v_fma_f64 v[6:7], v[18:19], v[6:7], -v[8:9]
	v_add_f64 v[26:27], v[26:27], v[22:23]
	v_add_f64 v[28:29], v[28:29], v[24:25]
	ds_load_b128 v[2:5], v1 offset:1664
	ds_load_b128 v[22:25], v1 offset:1680
	s_waitcnt vmcnt(1) lgkmcnt(1)
	v_mul_f64 v[36:37], v[2:3], v[12:13]
	v_mul_f64 v[12:13], v[4:5], v[12:13]
	v_add_f64 v[8:9], v[26:27], v[34:35]
	v_add_f64 v[18:19], v[28:29], v[32:33]
	s_waitcnt vmcnt(0) lgkmcnt(0)
	v_mul_f64 v[26:27], v[22:23], v[16:17]
	v_mul_f64 v[16:17], v[24:25], v[16:17]
	v_fma_f64 v[4:5], v[4:5], v[10:11], v[36:37]
	v_fma_f64 v[1:2], v[2:3], v[10:11], -v[12:13]
	v_add_f64 v[6:7], v[8:9], v[6:7]
	v_add_f64 v[8:9], v[18:19], v[20:21]
	v_fma_f64 v[10:11], v[24:25], v[14:15], v[26:27]
	v_fma_f64 v[12:13], v[22:23], v[14:15], -v[16:17]
	s_delay_alu instid0(VALU_DEP_4) | instskip(NEXT) | instid1(VALU_DEP_4)
	v_add_f64 v[1:2], v[6:7], v[1:2]
	v_add_f64 v[3:4], v[8:9], v[4:5]
	s_delay_alu instid0(VALU_DEP_2) | instskip(NEXT) | instid1(VALU_DEP_2)
	v_add_f64 v[1:2], v[1:2], v[12:13]
	v_add_f64 v[3:4], v[3:4], v[10:11]
	s_delay_alu instid0(VALU_DEP_2) | instskip(NEXT) | instid1(VALU_DEP_2)
	v_add_f64 v[1:2], v[164:165], -v[1:2]
	v_add_f64 v[3:4], v[166:167], -v[3:4]
	scratch_store_b128 off, v[1:4], off offset:128
	v_cmpx_lt_u32_e32 7, v152
	s_cbranch_execz .LBB116_317
; %bb.316:
	scratch_load_b128 v[1:4], v254, off
	v_mov_b32_e32 v5, 0
	s_delay_alu instid0(VALU_DEP_1)
	v_mov_b32_e32 v6, v5
	v_mov_b32_e32 v7, v5
	;; [unrolled: 1-line block ×3, first 2 shown]
	scratch_store_b128 off, v[5:8], off offset:112
	s_waitcnt vmcnt(0)
	ds_store_b128 v205, v[1:4]
.LBB116_317:
	s_or_b32 exec_lo, exec_lo, s2
	s_waitcnt lgkmcnt(0)
	s_waitcnt_vscnt null, 0x0
	s_barrier
	buffer_gl0_inv
	s_clause 0x7
	scratch_load_b128 v[2:5], off, off offset:128
	scratch_load_b128 v[6:9], off, off offset:144
	;; [unrolled: 1-line block ×8, first 2 shown]
	v_mov_b32_e32 v1, 0
	s_mov_b32 s2, exec_lo
	ds_load_b128 v[38:41], v1 offset:976
	s_clause 0x1
	scratch_load_b128 v[34:37], off, off offset:256
	scratch_load_b128 v[42:45], off, off offset:112
	ds_load_b128 v[164:167], v1 offset:992
	scratch_load_b128 v[168:171], off, off offset:272
	s_waitcnt vmcnt(10) lgkmcnt(1)
	v_mul_f64 v[172:173], v[40:41], v[4:5]
	v_mul_f64 v[4:5], v[38:39], v[4:5]
	s_delay_alu instid0(VALU_DEP_2) | instskip(NEXT) | instid1(VALU_DEP_2)
	v_fma_f64 v[217:218], v[38:39], v[2:3], -v[172:173]
	v_fma_f64 v[219:220], v[40:41], v[2:3], v[4:5]
	scratch_load_b128 v[38:41], off, off offset:288
	ds_load_b128 v[2:5], v1 offset:1008
	s_waitcnt vmcnt(10) lgkmcnt(1)
	v_mul_f64 v[199:200], v[164:165], v[8:9]
	v_mul_f64 v[8:9], v[166:167], v[8:9]
	ds_load_b128 v[172:175], v1 offset:1024
	s_waitcnt vmcnt(9) lgkmcnt(1)
	v_mul_f64 v[221:222], v[2:3], v[12:13]
	v_mul_f64 v[12:13], v[4:5], v[12:13]
	v_fma_f64 v[166:167], v[166:167], v[6:7], v[199:200]
	v_fma_f64 v[164:165], v[164:165], v[6:7], -v[8:9]
	v_add_f64 v[199:200], v[217:218], 0
	v_add_f64 v[217:218], v[219:220], 0
	scratch_load_b128 v[6:9], off, off offset:304
	v_fma_f64 v[221:222], v[4:5], v[10:11], v[221:222]
	v_fma_f64 v[223:224], v[2:3], v[10:11], -v[12:13]
	scratch_load_b128 v[10:13], off, off offset:320
	ds_load_b128 v[2:5], v1 offset:1040
	s_waitcnt vmcnt(10) lgkmcnt(1)
	v_mul_f64 v[219:220], v[172:173], v[16:17]
	v_mul_f64 v[16:17], v[174:175], v[16:17]
	v_add_f64 v[199:200], v[199:200], v[164:165]
	v_add_f64 v[217:218], v[217:218], v[166:167]
	s_waitcnt vmcnt(9) lgkmcnt(0)
	v_mul_f64 v[225:226], v[2:3], v[20:21]
	v_mul_f64 v[20:21], v[4:5], v[20:21]
	ds_load_b128 v[164:167], v1 offset:1056
	v_fma_f64 v[174:175], v[174:175], v[14:15], v[219:220]
	v_fma_f64 v[172:173], v[172:173], v[14:15], -v[16:17]
	scratch_load_b128 v[14:17], off, off offset:336
	v_add_f64 v[199:200], v[199:200], v[223:224]
	v_add_f64 v[217:218], v[217:218], v[221:222]
	v_fma_f64 v[221:222], v[4:5], v[18:19], v[225:226]
	v_fma_f64 v[223:224], v[2:3], v[18:19], -v[20:21]
	scratch_load_b128 v[18:21], off, off offset:352
	ds_load_b128 v[2:5], v1 offset:1072
	s_waitcnt vmcnt(10) lgkmcnt(1)
	v_mul_f64 v[219:220], v[164:165], v[24:25]
	v_mul_f64 v[24:25], v[166:167], v[24:25]
	s_waitcnt vmcnt(9) lgkmcnt(0)
	v_mul_f64 v[225:226], v[2:3], v[28:29]
	v_mul_f64 v[28:29], v[4:5], v[28:29]
	v_add_f64 v[199:200], v[199:200], v[172:173]
	v_add_f64 v[217:218], v[217:218], v[174:175]
	ds_load_b128 v[172:175], v1 offset:1088
	v_fma_f64 v[166:167], v[166:167], v[22:23], v[219:220]
	v_fma_f64 v[164:165], v[164:165], v[22:23], -v[24:25]
	scratch_load_b128 v[22:25], off, off offset:368
	v_add_f64 v[199:200], v[199:200], v[223:224]
	v_add_f64 v[217:218], v[217:218], v[221:222]
	v_fma_f64 v[221:222], v[4:5], v[26:27], v[225:226]
	v_fma_f64 v[223:224], v[2:3], v[26:27], -v[28:29]
	scratch_load_b128 v[26:29], off, off offset:384
	ds_load_b128 v[2:5], v1 offset:1104
	s_waitcnt vmcnt(10) lgkmcnt(1)
	v_mul_f64 v[219:220], v[172:173], v[32:33]
	v_mul_f64 v[32:33], v[174:175], v[32:33]
	s_waitcnt vmcnt(9) lgkmcnt(0)
	v_mul_f64 v[225:226], v[2:3], v[36:37]
	v_mul_f64 v[36:37], v[4:5], v[36:37]
	v_add_f64 v[199:200], v[199:200], v[164:165]
	v_add_f64 v[217:218], v[217:218], v[166:167]
	ds_load_b128 v[164:167], v1 offset:1120
	v_fma_f64 v[174:175], v[174:175], v[30:31], v[219:220]
	v_fma_f64 v[172:173], v[172:173], v[30:31], -v[32:33]
	scratch_load_b128 v[30:33], off, off offset:400
	v_add_f64 v[199:200], v[199:200], v[223:224]
	v_add_f64 v[217:218], v[217:218], v[221:222]
	v_fma_f64 v[223:224], v[4:5], v[34:35], v[225:226]
	v_fma_f64 v[225:226], v[2:3], v[34:35], -v[36:37]
	scratch_load_b128 v[34:37], off, off offset:416
	ds_load_b128 v[2:5], v1 offset:1136
	s_waitcnt vmcnt(9) lgkmcnt(1)
	v_mul_f64 v[219:220], v[164:165], v[170:171]
	v_mul_f64 v[221:222], v[166:167], v[170:171]
	v_add_f64 v[199:200], v[199:200], v[172:173]
	v_add_f64 v[174:175], v[217:218], v[174:175]
	ds_load_b128 v[170:173], v1 offset:1152
	v_fma_f64 v[219:220], v[166:167], v[168:169], v[219:220]
	v_fma_f64 v[168:169], v[164:165], v[168:169], -v[221:222]
	scratch_load_b128 v[164:167], off, off offset:432
	s_waitcnt vmcnt(9) lgkmcnt(1)
	v_mul_f64 v[217:218], v[2:3], v[40:41]
	v_mul_f64 v[40:41], v[4:5], v[40:41]
	v_add_f64 v[199:200], v[199:200], v[225:226]
	v_add_f64 v[174:175], v[174:175], v[223:224]
	s_delay_alu instid0(VALU_DEP_4) | instskip(NEXT) | instid1(VALU_DEP_4)
	v_fma_f64 v[223:224], v[4:5], v[38:39], v[217:218]
	v_fma_f64 v[225:226], v[2:3], v[38:39], -v[40:41]
	scratch_load_b128 v[38:41], off, off offset:448
	ds_load_b128 v[2:5], v1 offset:1168
	s_waitcnt vmcnt(9) lgkmcnt(1)
	v_mul_f64 v[221:222], v[170:171], v[8:9]
	v_mul_f64 v[8:9], v[172:173], v[8:9]
	v_add_f64 v[168:169], v[199:200], v[168:169]
	v_add_f64 v[174:175], v[174:175], v[219:220]
	s_waitcnt vmcnt(8) lgkmcnt(0)
	v_mul_f64 v[199:200], v[2:3], v[12:13]
	v_mul_f64 v[12:13], v[4:5], v[12:13]
	ds_load_b128 v[217:220], v1 offset:1184
	v_fma_f64 v[172:173], v[172:173], v[6:7], v[221:222]
	v_fma_f64 v[170:171], v[170:171], v[6:7], -v[8:9]
	scratch_load_b128 v[6:9], off, off offset:464
	v_add_f64 v[168:169], v[168:169], v[225:226]
	v_add_f64 v[174:175], v[174:175], v[223:224]
	v_fma_f64 v[199:200], v[4:5], v[10:11], v[199:200]
	v_fma_f64 v[223:224], v[2:3], v[10:11], -v[12:13]
	scratch_load_b128 v[10:13], off, off offset:480
	ds_load_b128 v[2:5], v1 offset:1200
	s_waitcnt vmcnt(9) lgkmcnt(1)
	v_mul_f64 v[221:222], v[217:218], v[16:17]
	v_mul_f64 v[16:17], v[219:220], v[16:17]
	v_add_f64 v[225:226], v[168:169], v[170:171]
	v_add_f64 v[172:173], v[174:175], v[172:173]
	s_waitcnt vmcnt(8) lgkmcnt(0)
	v_mul_f64 v[174:175], v[2:3], v[20:21]
	v_mul_f64 v[20:21], v[4:5], v[20:21]
	ds_load_b128 v[168:171], v1 offset:1216
	v_fma_f64 v[219:220], v[219:220], v[14:15], v[221:222]
	v_fma_f64 v[217:218], v[217:218], v[14:15], -v[16:17]
	scratch_load_b128 v[14:17], off, off offset:496
	v_add_f64 v[221:222], v[225:226], v[223:224]
	v_add_f64 v[172:173], v[172:173], v[199:200]
	;; [unrolled: 18-line block ×3, first 2 shown]
	v_fma_f64 v[221:222], v[4:5], v[26:27], v[221:222]
	v_fma_f64 v[223:224], v[2:3], v[26:27], -v[28:29]
	scratch_load_b128 v[26:29], off, off offset:544
	ds_load_b128 v[2:5], v1 offset:1264
	s_waitcnt vmcnt(9) lgkmcnt(1)
	v_mul_f64 v[219:220], v[172:173], v[32:33]
	v_mul_f64 v[32:33], v[174:175], v[32:33]
	s_waitcnt vmcnt(8) lgkmcnt(0)
	v_mul_f64 v[225:226], v[2:3], v[36:37]
	v_mul_f64 v[36:37], v[4:5], v[36:37]
	v_add_f64 v[199:200], v[199:200], v[168:169]
	v_add_f64 v[217:218], v[217:218], v[170:171]
	ds_load_b128 v[168:171], v1 offset:1280
	v_fma_f64 v[174:175], v[174:175], v[30:31], v[219:220]
	v_fma_f64 v[172:173], v[172:173], v[30:31], -v[32:33]
	scratch_load_b128 v[30:33], off, off offset:560
	v_add_f64 v[199:200], v[199:200], v[223:224]
	v_add_f64 v[217:218], v[217:218], v[221:222]
	v_fma_f64 v[221:222], v[4:5], v[34:35], v[225:226]
	v_fma_f64 v[223:224], v[2:3], v[34:35], -v[36:37]
	scratch_load_b128 v[34:37], off, off offset:576
	ds_load_b128 v[2:5], v1 offset:1296
	s_waitcnt vmcnt(9) lgkmcnt(1)
	v_mul_f64 v[219:220], v[168:169], v[166:167]
	v_mul_f64 v[166:167], v[170:171], v[166:167]
	s_waitcnt vmcnt(8) lgkmcnt(0)
	v_mul_f64 v[225:226], v[2:3], v[40:41]
	v_mul_f64 v[40:41], v[4:5], v[40:41]
	v_add_f64 v[199:200], v[199:200], v[172:173]
	v_add_f64 v[217:218], v[217:218], v[174:175]
	ds_load_b128 v[172:175], v1 offset:1312
	v_fma_f64 v[170:171], v[170:171], v[164:165], v[219:220]
	v_fma_f64 v[168:169], v[168:169], v[164:165], -v[166:167]
	scratch_load_b128 v[164:167], off, off offset:592
	v_add_f64 v[199:200], v[199:200], v[223:224]
	v_add_f64 v[217:218], v[217:218], v[221:222]
	v_fma_f64 v[221:222], v[4:5], v[38:39], v[225:226]
	v_fma_f64 v[223:224], v[2:3], v[38:39], -v[40:41]
	scratch_load_b128 v[38:41], off, off offset:608
	ds_load_b128 v[2:5], v1 offset:1328
	s_waitcnt vmcnt(9) lgkmcnt(1)
	v_mul_f64 v[219:220], v[172:173], v[8:9]
	v_mul_f64 v[8:9], v[174:175], v[8:9]
	s_waitcnt vmcnt(8) lgkmcnt(0)
	v_mul_f64 v[225:226], v[2:3], v[12:13]
	v_mul_f64 v[12:13], v[4:5], v[12:13]
	v_add_f64 v[199:200], v[199:200], v[168:169]
	v_add_f64 v[217:218], v[217:218], v[170:171]
	ds_load_b128 v[168:171], v1 offset:1344
	v_fma_f64 v[174:175], v[174:175], v[6:7], v[219:220]
	v_fma_f64 v[172:173], v[172:173], v[6:7], -v[8:9]
	scratch_load_b128 v[6:9], off, off offset:624
	v_add_f64 v[199:200], v[199:200], v[223:224]
	v_add_f64 v[217:218], v[217:218], v[221:222]
	v_fma_f64 v[221:222], v[4:5], v[10:11], v[225:226]
	v_fma_f64 v[223:224], v[2:3], v[10:11], -v[12:13]
	scratch_load_b128 v[10:13], off, off offset:640
	ds_load_b128 v[2:5], v1 offset:1360
	s_waitcnt vmcnt(9) lgkmcnt(1)
	v_mul_f64 v[219:220], v[168:169], v[16:17]
	v_mul_f64 v[16:17], v[170:171], v[16:17]
	s_waitcnt vmcnt(8) lgkmcnt(0)
	v_mul_f64 v[225:226], v[2:3], v[20:21]
	v_mul_f64 v[20:21], v[4:5], v[20:21]
	v_add_f64 v[199:200], v[199:200], v[172:173]
	v_add_f64 v[217:218], v[217:218], v[174:175]
	ds_load_b128 v[172:175], v1 offset:1376
	v_fma_f64 v[170:171], v[170:171], v[14:15], v[219:220]
	v_fma_f64 v[168:169], v[168:169], v[14:15], -v[16:17]
	scratch_load_b128 v[14:17], off, off offset:656
	v_add_f64 v[199:200], v[199:200], v[223:224]
	v_add_f64 v[217:218], v[217:218], v[221:222]
	v_fma_f64 v[221:222], v[4:5], v[18:19], v[225:226]
	v_fma_f64 v[223:224], v[2:3], v[18:19], -v[20:21]
	scratch_load_b128 v[18:21], off, off offset:672
	ds_load_b128 v[2:5], v1 offset:1392
	s_waitcnt vmcnt(9) lgkmcnt(1)
	v_mul_f64 v[219:220], v[172:173], v[24:25]
	v_mul_f64 v[24:25], v[174:175], v[24:25]
	s_waitcnt vmcnt(8) lgkmcnt(0)
	v_mul_f64 v[225:226], v[2:3], v[28:29]
	v_mul_f64 v[28:29], v[4:5], v[28:29]
	v_add_f64 v[199:200], v[199:200], v[168:169]
	v_add_f64 v[217:218], v[217:218], v[170:171]
	ds_load_b128 v[168:171], v1 offset:1408
	v_fma_f64 v[174:175], v[174:175], v[22:23], v[219:220]
	v_fma_f64 v[172:173], v[172:173], v[22:23], -v[24:25]
	scratch_load_b128 v[22:25], off, off offset:688
	v_add_f64 v[199:200], v[199:200], v[223:224]
	v_add_f64 v[217:218], v[217:218], v[221:222]
	v_fma_f64 v[221:222], v[4:5], v[26:27], v[225:226]
	v_fma_f64 v[223:224], v[2:3], v[26:27], -v[28:29]
	scratch_load_b128 v[26:29], off, off offset:704
	ds_load_b128 v[2:5], v1 offset:1424
	s_waitcnt vmcnt(9) lgkmcnt(1)
	v_mul_f64 v[219:220], v[168:169], v[32:33]
	v_mul_f64 v[32:33], v[170:171], v[32:33]
	s_waitcnt vmcnt(8) lgkmcnt(0)
	v_mul_f64 v[225:226], v[2:3], v[36:37]
	v_mul_f64 v[36:37], v[4:5], v[36:37]
	v_add_f64 v[199:200], v[199:200], v[172:173]
	v_add_f64 v[217:218], v[217:218], v[174:175]
	ds_load_b128 v[172:175], v1 offset:1440
	v_fma_f64 v[170:171], v[170:171], v[30:31], v[219:220]
	v_fma_f64 v[168:169], v[168:169], v[30:31], -v[32:33]
	scratch_load_b128 v[30:33], off, off offset:720
	v_add_f64 v[199:200], v[199:200], v[223:224]
	v_add_f64 v[217:218], v[217:218], v[221:222]
	v_fma_f64 v[223:224], v[4:5], v[34:35], v[225:226]
	v_fma_f64 v[225:226], v[2:3], v[34:35], -v[36:37]
	scratch_load_b128 v[34:37], off, off offset:736
	ds_load_b128 v[2:5], v1 offset:1456
	s_waitcnt vmcnt(9) lgkmcnt(1)
	v_mul_f64 v[219:220], v[172:173], v[166:167]
	v_mul_f64 v[221:222], v[174:175], v[166:167]
	v_add_f64 v[199:200], v[199:200], v[168:169]
	v_add_f64 v[170:171], v[217:218], v[170:171]
	s_waitcnt vmcnt(8) lgkmcnt(0)
	v_mul_f64 v[217:218], v[2:3], v[40:41]
	v_mul_f64 v[40:41], v[4:5], v[40:41]
	ds_load_b128 v[166:169], v1 offset:1472
	v_fma_f64 v[174:175], v[174:175], v[164:165], v[219:220]
	v_fma_f64 v[164:165], v[172:173], v[164:165], -v[221:222]
	v_add_f64 v[199:200], v[199:200], v[225:226]
	v_add_f64 v[219:220], v[170:171], v[223:224]
	scratch_load_b128 v[170:173], off, off offset:752
	v_fma_f64 v[223:224], v[4:5], v[38:39], v[217:218]
	v_fma_f64 v[225:226], v[2:3], v[38:39], -v[40:41]
	scratch_load_b128 v[38:41], off, off offset:768
	ds_load_b128 v[2:5], v1 offset:1488
	s_waitcnt vmcnt(9) lgkmcnt(1)
	v_mul_f64 v[221:222], v[166:167], v[8:9]
	v_mul_f64 v[8:9], v[168:169], v[8:9]
	v_add_f64 v[164:165], v[199:200], v[164:165]
	v_add_f64 v[174:175], v[219:220], v[174:175]
	s_waitcnt vmcnt(8) lgkmcnt(0)
	v_mul_f64 v[199:200], v[2:3], v[12:13]
	v_mul_f64 v[12:13], v[4:5], v[12:13]
	ds_load_b128 v[217:220], v1 offset:1504
	v_fma_f64 v[168:169], v[168:169], v[6:7], v[221:222]
	v_fma_f64 v[166:167], v[166:167], v[6:7], -v[8:9]
	scratch_load_b128 v[6:9], off, off offset:784
	v_add_f64 v[164:165], v[164:165], v[225:226]
	v_add_f64 v[174:175], v[174:175], v[223:224]
	v_fma_f64 v[199:200], v[4:5], v[10:11], v[199:200]
	v_fma_f64 v[223:224], v[2:3], v[10:11], -v[12:13]
	scratch_load_b128 v[10:13], off, off offset:800
	ds_load_b128 v[2:5], v1 offset:1520
	s_waitcnt vmcnt(9) lgkmcnt(1)
	v_mul_f64 v[221:222], v[217:218], v[16:17]
	v_mul_f64 v[16:17], v[219:220], v[16:17]
	v_add_f64 v[225:226], v[164:165], v[166:167]
	v_add_f64 v[168:169], v[174:175], v[168:169]
	s_waitcnt vmcnt(8) lgkmcnt(0)
	v_mul_f64 v[174:175], v[2:3], v[20:21]
	v_mul_f64 v[20:21], v[4:5], v[20:21]
	ds_load_b128 v[164:167], v1 offset:1536
	v_fma_f64 v[219:220], v[219:220], v[14:15], v[221:222]
	v_fma_f64 v[217:218], v[217:218], v[14:15], -v[16:17]
	scratch_load_b128 v[14:17], off, off offset:816
	v_add_f64 v[221:222], v[225:226], v[223:224]
	v_add_f64 v[168:169], v[168:169], v[199:200]
	v_fma_f64 v[174:175], v[4:5], v[18:19], v[174:175]
	v_fma_f64 v[223:224], v[2:3], v[18:19], -v[20:21]
	scratch_load_b128 v[18:21], off, off offset:832
	ds_load_b128 v[2:5], v1 offset:1552
	s_waitcnt vmcnt(9) lgkmcnt(1)
	v_mul_f64 v[199:200], v[164:165], v[24:25]
	v_mul_f64 v[24:25], v[166:167], v[24:25]
	s_waitcnt vmcnt(8) lgkmcnt(0)
	v_mul_f64 v[225:226], v[2:3], v[28:29]
	v_mul_f64 v[28:29], v[4:5], v[28:29]
	v_add_f64 v[221:222], v[221:222], v[217:218]
	v_add_f64 v[168:169], v[168:169], v[219:220]
	ds_load_b128 v[217:220], v1 offset:1568
	v_fma_f64 v[166:167], v[166:167], v[22:23], v[199:200]
	v_fma_f64 v[22:23], v[164:165], v[22:23], -v[24:25]
	v_add_f64 v[24:25], v[221:222], v[223:224]
	v_add_f64 v[164:165], v[168:169], v[174:175]
	s_waitcnt vmcnt(7) lgkmcnt(0)
	v_mul_f64 v[168:169], v[217:218], v[32:33]
	v_mul_f64 v[32:33], v[219:220], v[32:33]
	v_fma_f64 v[174:175], v[4:5], v[26:27], v[225:226]
	v_fma_f64 v[26:27], v[2:3], v[26:27], -v[28:29]
	v_add_f64 v[28:29], v[24:25], v[22:23]
	v_add_f64 v[164:165], v[164:165], v[166:167]
	ds_load_b128 v[2:5], v1 offset:1584
	ds_load_b128 v[22:25], v1 offset:1600
	v_fma_f64 v[168:169], v[219:220], v[30:31], v[168:169]
	v_fma_f64 v[30:31], v[217:218], v[30:31], -v[32:33]
	s_waitcnt vmcnt(6) lgkmcnt(1)
	v_mul_f64 v[166:167], v[2:3], v[36:37]
	v_mul_f64 v[36:37], v[4:5], v[36:37]
	v_add_f64 v[26:27], v[28:29], v[26:27]
	v_add_f64 v[28:29], v[164:165], v[174:175]
	s_waitcnt vmcnt(5) lgkmcnt(0)
	v_mul_f64 v[32:33], v[22:23], v[172:173]
	v_mul_f64 v[164:165], v[24:25], v[172:173]
	v_fma_f64 v[166:167], v[4:5], v[34:35], v[166:167]
	v_fma_f64 v[34:35], v[2:3], v[34:35], -v[36:37]
	v_add_f64 v[30:31], v[26:27], v[30:31]
	v_add_f64 v[36:37], v[28:29], v[168:169]
	ds_load_b128 v[2:5], v1 offset:1616
	ds_load_b128 v[26:29], v1 offset:1632
	v_fma_f64 v[24:25], v[24:25], v[170:171], v[32:33]
	v_fma_f64 v[22:23], v[22:23], v[170:171], -v[164:165]
	s_waitcnt vmcnt(4) lgkmcnt(1)
	v_mul_f64 v[168:169], v[2:3], v[40:41]
	v_mul_f64 v[40:41], v[4:5], v[40:41]
	;; [unrolled: 16-line block ×3, first 2 shown]
	v_add_f64 v[8:9], v[30:31], v[38:39]
	v_add_f64 v[26:27], v[32:33], v[36:37]
	s_waitcnt vmcnt(1) lgkmcnt(0)
	v_mul_f64 v[30:31], v[22:23], v[16:17]
	v_mul_f64 v[16:17], v[24:25], v[16:17]
	v_fma_f64 v[32:33], v[4:5], v[10:11], v[40:41]
	v_fma_f64 v[10:11], v[2:3], v[10:11], -v[12:13]
	ds_load_b128 v[2:5], v1 offset:1680
	v_add_f64 v[6:7], v[8:9], v[6:7]
	v_add_f64 v[8:9], v[26:27], v[28:29]
	v_fma_f64 v[24:25], v[24:25], v[14:15], v[30:31]
	v_fma_f64 v[14:15], v[22:23], v[14:15], -v[16:17]
	s_waitcnt vmcnt(0) lgkmcnt(0)
	v_mul_f64 v[12:13], v[2:3], v[20:21]
	v_mul_f64 v[20:21], v[4:5], v[20:21]
	v_add_f64 v[6:7], v[6:7], v[10:11]
	v_add_f64 v[8:9], v[8:9], v[32:33]
	s_delay_alu instid0(VALU_DEP_4) | instskip(NEXT) | instid1(VALU_DEP_4)
	v_fma_f64 v[4:5], v[4:5], v[18:19], v[12:13]
	v_fma_f64 v[2:3], v[2:3], v[18:19], -v[20:21]
	s_delay_alu instid0(VALU_DEP_4) | instskip(NEXT) | instid1(VALU_DEP_4)
	v_add_f64 v[6:7], v[6:7], v[14:15]
	v_add_f64 v[8:9], v[8:9], v[24:25]
	s_delay_alu instid0(VALU_DEP_2) | instskip(NEXT) | instid1(VALU_DEP_2)
	v_add_f64 v[2:3], v[6:7], v[2:3]
	v_add_f64 v[4:5], v[8:9], v[4:5]
	s_delay_alu instid0(VALU_DEP_2) | instskip(NEXT) | instid1(VALU_DEP_2)
	v_add_f64 v[2:3], v[42:43], -v[2:3]
	v_add_f64 v[4:5], v[44:45], -v[4:5]
	scratch_store_b128 off, v[2:5], off offset:112
	v_cmpx_lt_u32_e32 6, v152
	s_cbranch_execz .LBB116_319
; %bb.318:
	scratch_load_b128 v[5:8], v255, off
	v_mov_b32_e32 v2, v1
	v_mov_b32_e32 v3, v1
	;; [unrolled: 1-line block ×3, first 2 shown]
	scratch_store_b128 off, v[1:4], off offset:96
	s_waitcnt vmcnt(0)
	ds_store_b128 v205, v[5:8]
.LBB116_319:
	s_or_b32 exec_lo, exec_lo, s2
	s_waitcnt lgkmcnt(0)
	s_waitcnt_vscnt null, 0x0
	s_barrier
	buffer_gl0_inv
	s_clause 0x8
	scratch_load_b128 v[2:5], off, off offset:112
	scratch_load_b128 v[6:9], off, off offset:128
	;; [unrolled: 1-line block ×9, first 2 shown]
	ds_load_b128 v[42:45], v1 offset:960
	ds_load_b128 v[38:41], v1 offset:976
	s_clause 0x1
	scratch_load_b128 v[164:167], off, off offset:96
	scratch_load_b128 v[168:171], off, off offset:256
	s_mov_b32 s2, exec_lo
	s_waitcnt vmcnt(10) lgkmcnt(1)
	v_mul_f64 v[172:173], v[44:45], v[4:5]
	v_mul_f64 v[4:5], v[42:43], v[4:5]
	s_waitcnt vmcnt(9) lgkmcnt(0)
	v_mul_f64 v[199:200], v[38:39], v[8:9]
	v_mul_f64 v[8:9], v[40:41], v[8:9]
	s_delay_alu instid0(VALU_DEP_4) | instskip(NEXT) | instid1(VALU_DEP_4)
	v_fma_f64 v[217:218], v[42:43], v[2:3], -v[172:173]
	v_fma_f64 v[219:220], v[44:45], v[2:3], v[4:5]
	ds_load_b128 v[2:5], v1 offset:992
	ds_load_b128 v[172:175], v1 offset:1008
	scratch_load_b128 v[42:45], off, off offset:272
	v_fma_f64 v[40:41], v[40:41], v[6:7], v[199:200]
	v_fma_f64 v[38:39], v[38:39], v[6:7], -v[8:9]
	scratch_load_b128 v[6:9], off, off offset:288
	s_waitcnt vmcnt(10) lgkmcnt(1)
	v_mul_f64 v[221:222], v[2:3], v[12:13]
	v_mul_f64 v[12:13], v[4:5], v[12:13]
	v_add_f64 v[199:200], v[217:218], 0
	v_add_f64 v[217:218], v[219:220], 0
	s_waitcnt vmcnt(9) lgkmcnt(0)
	v_mul_f64 v[219:220], v[172:173], v[16:17]
	v_mul_f64 v[16:17], v[174:175], v[16:17]
	v_fma_f64 v[221:222], v[4:5], v[10:11], v[221:222]
	v_fma_f64 v[223:224], v[2:3], v[10:11], -v[12:13]
	ds_load_b128 v[2:5], v1 offset:1024
	scratch_load_b128 v[10:13], off, off offset:304
	v_add_f64 v[199:200], v[199:200], v[38:39]
	v_add_f64 v[217:218], v[217:218], v[40:41]
	ds_load_b128 v[38:41], v1 offset:1040
	v_fma_f64 v[174:175], v[174:175], v[14:15], v[219:220]
	v_fma_f64 v[172:173], v[172:173], v[14:15], -v[16:17]
	scratch_load_b128 v[14:17], off, off offset:320
	s_waitcnt vmcnt(10) lgkmcnt(1)
	v_mul_f64 v[225:226], v[2:3], v[20:21]
	v_mul_f64 v[20:21], v[4:5], v[20:21]
	s_waitcnt vmcnt(9) lgkmcnt(0)
	v_mul_f64 v[219:220], v[38:39], v[24:25]
	v_mul_f64 v[24:25], v[40:41], v[24:25]
	v_add_f64 v[199:200], v[199:200], v[223:224]
	v_add_f64 v[217:218], v[217:218], v[221:222]
	v_fma_f64 v[221:222], v[4:5], v[18:19], v[225:226]
	v_fma_f64 v[223:224], v[2:3], v[18:19], -v[20:21]
	ds_load_b128 v[2:5], v1 offset:1056
	scratch_load_b128 v[18:21], off, off offset:336
	v_fma_f64 v[40:41], v[40:41], v[22:23], v[219:220]
	v_fma_f64 v[38:39], v[38:39], v[22:23], -v[24:25]
	scratch_load_b128 v[22:25], off, off offset:352
	v_add_f64 v[199:200], v[199:200], v[172:173]
	v_add_f64 v[217:218], v[217:218], v[174:175]
	ds_load_b128 v[172:175], v1 offset:1072
	s_waitcnt vmcnt(10) lgkmcnt(1)
	v_mul_f64 v[225:226], v[2:3], v[28:29]
	v_mul_f64 v[28:29], v[4:5], v[28:29]
	s_waitcnt vmcnt(9) lgkmcnt(0)
	v_mul_f64 v[219:220], v[172:173], v[32:33]
	v_mul_f64 v[32:33], v[174:175], v[32:33]
	v_add_f64 v[199:200], v[199:200], v[223:224]
	v_add_f64 v[217:218], v[217:218], v[221:222]
	v_fma_f64 v[221:222], v[4:5], v[26:27], v[225:226]
	v_fma_f64 v[223:224], v[2:3], v[26:27], -v[28:29]
	ds_load_b128 v[2:5], v1 offset:1088
	scratch_load_b128 v[26:29], off, off offset:368
	v_fma_f64 v[174:175], v[174:175], v[30:31], v[219:220]
	v_fma_f64 v[172:173], v[172:173], v[30:31], -v[32:33]
	scratch_load_b128 v[30:33], off, off offset:384
	v_add_f64 v[199:200], v[199:200], v[38:39]
	v_add_f64 v[217:218], v[217:218], v[40:41]
	ds_load_b128 v[38:41], v1 offset:1104
	s_waitcnt vmcnt(10) lgkmcnt(1)
	v_mul_f64 v[225:226], v[2:3], v[36:37]
	v_mul_f64 v[36:37], v[4:5], v[36:37]
	s_waitcnt vmcnt(8) lgkmcnt(0)
	v_mul_f64 v[219:220], v[38:39], v[170:171]
	v_add_f64 v[199:200], v[199:200], v[223:224]
	v_add_f64 v[217:218], v[217:218], v[221:222]
	v_mul_f64 v[221:222], v[40:41], v[170:171]
	v_fma_f64 v[223:224], v[4:5], v[34:35], v[225:226]
	v_fma_f64 v[225:226], v[2:3], v[34:35], -v[36:37]
	ds_load_b128 v[2:5], v1 offset:1120
	scratch_load_b128 v[34:37], off, off offset:400
	v_fma_f64 v[219:220], v[40:41], v[168:169], v[219:220]
	v_add_f64 v[199:200], v[199:200], v[172:173]
	v_add_f64 v[174:175], v[217:218], v[174:175]
	ds_load_b128 v[170:173], v1 offset:1136
	v_fma_f64 v[168:169], v[38:39], v[168:169], -v[221:222]
	scratch_load_b128 v[38:41], off, off offset:416
	s_waitcnt vmcnt(9) lgkmcnt(1)
	v_mul_f64 v[217:218], v[2:3], v[44:45]
	v_mul_f64 v[44:45], v[4:5], v[44:45]
	s_waitcnt vmcnt(8) lgkmcnt(0)
	v_mul_f64 v[221:222], v[170:171], v[8:9]
	v_mul_f64 v[8:9], v[172:173], v[8:9]
	v_add_f64 v[199:200], v[199:200], v[225:226]
	v_add_f64 v[174:175], v[174:175], v[223:224]
	v_fma_f64 v[223:224], v[4:5], v[42:43], v[217:218]
	v_fma_f64 v[225:226], v[2:3], v[42:43], -v[44:45]
	ds_load_b128 v[2:5], v1 offset:1152
	scratch_load_b128 v[42:45], off, off offset:432
	v_fma_f64 v[172:173], v[172:173], v[6:7], v[221:222]
	v_fma_f64 v[170:171], v[170:171], v[6:7], -v[8:9]
	scratch_load_b128 v[6:9], off, off offset:448
	v_add_f64 v[168:169], v[199:200], v[168:169]
	v_add_f64 v[174:175], v[174:175], v[219:220]
	ds_load_b128 v[217:220], v1 offset:1168
	s_waitcnt vmcnt(9) lgkmcnt(1)
	v_mul_f64 v[199:200], v[2:3], v[12:13]
	v_mul_f64 v[12:13], v[4:5], v[12:13]
	s_waitcnt vmcnt(8) lgkmcnt(0)
	v_mul_f64 v[221:222], v[217:218], v[16:17]
	v_mul_f64 v[16:17], v[219:220], v[16:17]
	v_add_f64 v[168:169], v[168:169], v[225:226]
	v_add_f64 v[174:175], v[174:175], v[223:224]
	v_fma_f64 v[199:200], v[4:5], v[10:11], v[199:200]
	v_fma_f64 v[223:224], v[2:3], v[10:11], -v[12:13]
	ds_load_b128 v[2:5], v1 offset:1184
	scratch_load_b128 v[10:13], off, off offset:464
	v_fma_f64 v[219:220], v[219:220], v[14:15], v[221:222]
	v_fma_f64 v[217:218], v[217:218], v[14:15], -v[16:17]
	scratch_load_b128 v[14:17], off, off offset:480
	v_add_f64 v[225:226], v[168:169], v[170:171]
	v_add_f64 v[172:173], v[174:175], v[172:173]
	ds_load_b128 v[168:171], v1 offset:1200
	s_waitcnt vmcnt(9) lgkmcnt(1)
	v_mul_f64 v[174:175], v[2:3], v[20:21]
	v_mul_f64 v[20:21], v[4:5], v[20:21]
	v_add_f64 v[221:222], v[225:226], v[223:224]
	v_add_f64 v[172:173], v[172:173], v[199:200]
	s_waitcnt vmcnt(8) lgkmcnt(0)
	v_mul_f64 v[199:200], v[168:169], v[24:25]
	v_mul_f64 v[24:25], v[170:171], v[24:25]
	v_fma_f64 v[223:224], v[4:5], v[18:19], v[174:175]
	v_fma_f64 v[225:226], v[2:3], v[18:19], -v[20:21]
	ds_load_b128 v[2:5], v1 offset:1216
	scratch_load_b128 v[18:21], off, off offset:496
	v_add_f64 v[217:218], v[221:222], v[217:218]
	v_add_f64 v[219:220], v[172:173], v[219:220]
	ds_load_b128 v[172:175], v1 offset:1232
	s_waitcnt vmcnt(8) lgkmcnt(1)
	v_mul_f64 v[221:222], v[2:3], v[28:29]
	v_mul_f64 v[28:29], v[4:5], v[28:29]
	v_fma_f64 v[170:171], v[170:171], v[22:23], v[199:200]
	v_fma_f64 v[168:169], v[168:169], v[22:23], -v[24:25]
	scratch_load_b128 v[22:25], off, off offset:512
	v_add_f64 v[199:200], v[217:218], v[225:226]
	v_add_f64 v[217:218], v[219:220], v[223:224]
	s_waitcnt vmcnt(8) lgkmcnt(0)
	v_mul_f64 v[219:220], v[172:173], v[32:33]
	v_mul_f64 v[32:33], v[174:175], v[32:33]
	v_fma_f64 v[221:222], v[4:5], v[26:27], v[221:222]
	v_fma_f64 v[223:224], v[2:3], v[26:27], -v[28:29]
	ds_load_b128 v[2:5], v1 offset:1248
	scratch_load_b128 v[26:29], off, off offset:528
	v_add_f64 v[199:200], v[199:200], v[168:169]
	v_add_f64 v[217:218], v[217:218], v[170:171]
	ds_load_b128 v[168:171], v1 offset:1264
	s_waitcnt vmcnt(8) lgkmcnt(1)
	v_mul_f64 v[225:226], v[2:3], v[36:37]
	v_mul_f64 v[36:37], v[4:5], v[36:37]
	v_fma_f64 v[174:175], v[174:175], v[30:31], v[219:220]
	v_fma_f64 v[172:173], v[172:173], v[30:31], -v[32:33]
	scratch_load_b128 v[30:33], off, off offset:544
	s_waitcnt vmcnt(8) lgkmcnt(0)
	v_mul_f64 v[219:220], v[168:169], v[40:41]
	v_mul_f64 v[40:41], v[170:171], v[40:41]
	v_add_f64 v[199:200], v[199:200], v[223:224]
	v_add_f64 v[217:218], v[217:218], v[221:222]
	v_fma_f64 v[221:222], v[4:5], v[34:35], v[225:226]
	v_fma_f64 v[223:224], v[2:3], v[34:35], -v[36:37]
	ds_load_b128 v[2:5], v1 offset:1280
	scratch_load_b128 v[34:37], off, off offset:560
	v_fma_f64 v[170:171], v[170:171], v[38:39], v[219:220]
	v_fma_f64 v[168:169], v[168:169], v[38:39], -v[40:41]
	scratch_load_b128 v[38:41], off, off offset:576
	v_add_f64 v[199:200], v[199:200], v[172:173]
	v_add_f64 v[217:218], v[217:218], v[174:175]
	ds_load_b128 v[172:175], v1 offset:1296
	s_waitcnt vmcnt(9) lgkmcnt(1)
	v_mul_f64 v[225:226], v[2:3], v[44:45]
	v_mul_f64 v[44:45], v[4:5], v[44:45]
	s_waitcnt vmcnt(8) lgkmcnt(0)
	v_mul_f64 v[219:220], v[172:173], v[8:9]
	v_mul_f64 v[8:9], v[174:175], v[8:9]
	v_add_f64 v[199:200], v[199:200], v[223:224]
	v_add_f64 v[217:218], v[217:218], v[221:222]
	v_fma_f64 v[221:222], v[4:5], v[42:43], v[225:226]
	v_fma_f64 v[223:224], v[2:3], v[42:43], -v[44:45]
	ds_load_b128 v[2:5], v1 offset:1312
	scratch_load_b128 v[42:45], off, off offset:592
	v_fma_f64 v[174:175], v[174:175], v[6:7], v[219:220]
	v_fma_f64 v[172:173], v[172:173], v[6:7], -v[8:9]
	scratch_load_b128 v[6:9], off, off offset:608
	v_add_f64 v[199:200], v[199:200], v[168:169]
	v_add_f64 v[217:218], v[217:218], v[170:171]
	ds_load_b128 v[168:171], v1 offset:1328
	s_waitcnt vmcnt(9) lgkmcnt(1)
	v_mul_f64 v[225:226], v[2:3], v[12:13]
	v_mul_f64 v[12:13], v[4:5], v[12:13]
	;; [unrolled: 18-line block ×9, first 2 shown]
	s_waitcnt vmcnt(8) lgkmcnt(0)
	v_mul_f64 v[219:220], v[172:173], v[32:33]
	v_mul_f64 v[32:33], v[174:175], v[32:33]
	v_add_f64 v[199:200], v[199:200], v[223:224]
	v_add_f64 v[217:218], v[217:218], v[221:222]
	v_fma_f64 v[221:222], v[4:5], v[26:27], v[225:226]
	v_fma_f64 v[223:224], v[2:3], v[26:27], -v[28:29]
	ds_load_b128 v[2:5], v1 offset:1568
	ds_load_b128 v[26:29], v1 offset:1584
	v_fma_f64 v[174:175], v[174:175], v[30:31], v[219:220]
	v_fma_f64 v[30:31], v[172:173], v[30:31], -v[32:33]
	v_add_f64 v[168:169], v[199:200], v[168:169]
	v_add_f64 v[170:171], v[217:218], v[170:171]
	s_waitcnt vmcnt(7) lgkmcnt(1)
	v_mul_f64 v[199:200], v[2:3], v[36:37]
	v_mul_f64 v[36:37], v[4:5], v[36:37]
	s_delay_alu instid0(VALU_DEP_4) | instskip(NEXT) | instid1(VALU_DEP_4)
	v_add_f64 v[32:33], v[168:169], v[223:224]
	v_add_f64 v[168:169], v[170:171], v[221:222]
	s_waitcnt vmcnt(6) lgkmcnt(0)
	v_mul_f64 v[170:171], v[26:27], v[40:41]
	v_mul_f64 v[40:41], v[28:29], v[40:41]
	v_fma_f64 v[172:173], v[4:5], v[34:35], v[199:200]
	v_fma_f64 v[34:35], v[2:3], v[34:35], -v[36:37]
	v_add_f64 v[36:37], v[32:33], v[30:31]
	v_add_f64 v[168:169], v[168:169], v[174:175]
	ds_load_b128 v[2:5], v1 offset:1600
	ds_load_b128 v[30:33], v1 offset:1616
	v_fma_f64 v[28:29], v[28:29], v[38:39], v[170:171]
	v_fma_f64 v[26:27], v[26:27], v[38:39], -v[40:41]
	s_waitcnt vmcnt(5) lgkmcnt(1)
	v_mul_f64 v[174:175], v[2:3], v[44:45]
	v_mul_f64 v[44:45], v[4:5], v[44:45]
	s_waitcnt vmcnt(4) lgkmcnt(0)
	v_mul_f64 v[38:39], v[30:31], v[8:9]
	v_mul_f64 v[8:9], v[32:33], v[8:9]
	v_add_f64 v[34:35], v[36:37], v[34:35]
	v_add_f64 v[36:37], v[168:169], v[172:173]
	v_fma_f64 v[40:41], v[4:5], v[42:43], v[174:175]
	v_fma_f64 v[42:43], v[2:3], v[42:43], -v[44:45]
	v_fma_f64 v[32:33], v[32:33], v[6:7], v[38:39]
	v_fma_f64 v[6:7], v[30:31], v[6:7], -v[8:9]
	v_add_f64 v[34:35], v[34:35], v[26:27]
	v_add_f64 v[36:37], v[36:37], v[28:29]
	ds_load_b128 v[2:5], v1 offset:1632
	ds_load_b128 v[26:29], v1 offset:1648
	s_waitcnt vmcnt(3) lgkmcnt(1)
	v_mul_f64 v[44:45], v[2:3], v[12:13]
	v_mul_f64 v[12:13], v[4:5], v[12:13]
	v_add_f64 v[8:9], v[34:35], v[42:43]
	v_add_f64 v[30:31], v[36:37], v[40:41]
	s_waitcnt vmcnt(2) lgkmcnt(0)
	v_mul_f64 v[34:35], v[26:27], v[16:17]
	v_mul_f64 v[16:17], v[28:29], v[16:17]
	v_fma_f64 v[36:37], v[4:5], v[10:11], v[44:45]
	v_fma_f64 v[10:11], v[2:3], v[10:11], -v[12:13]
	v_add_f64 v[12:13], v[8:9], v[6:7]
	v_add_f64 v[30:31], v[30:31], v[32:33]
	ds_load_b128 v[2:5], v1 offset:1664
	ds_load_b128 v[6:9], v1 offset:1680
	v_fma_f64 v[28:29], v[28:29], v[14:15], v[34:35]
	v_fma_f64 v[14:15], v[26:27], v[14:15], -v[16:17]
	s_waitcnt vmcnt(1) lgkmcnt(1)
	v_mul_f64 v[32:33], v[2:3], v[20:21]
	v_mul_f64 v[20:21], v[4:5], v[20:21]
	s_waitcnt vmcnt(0) lgkmcnt(0)
	v_mul_f64 v[16:17], v[6:7], v[24:25]
	v_mul_f64 v[24:25], v[8:9], v[24:25]
	v_add_f64 v[10:11], v[12:13], v[10:11]
	v_add_f64 v[12:13], v[30:31], v[36:37]
	v_fma_f64 v[4:5], v[4:5], v[18:19], v[32:33]
	v_fma_f64 v[1:2], v[2:3], v[18:19], -v[20:21]
	v_fma_f64 v[8:9], v[8:9], v[22:23], v[16:17]
	v_fma_f64 v[6:7], v[6:7], v[22:23], -v[24:25]
	v_add_f64 v[10:11], v[10:11], v[14:15]
	v_add_f64 v[12:13], v[12:13], v[28:29]
	s_delay_alu instid0(VALU_DEP_2) | instskip(NEXT) | instid1(VALU_DEP_2)
	v_add_f64 v[1:2], v[10:11], v[1:2]
	v_add_f64 v[3:4], v[12:13], v[4:5]
	s_delay_alu instid0(VALU_DEP_2) | instskip(NEXT) | instid1(VALU_DEP_2)
	;; [unrolled: 3-line block ×3, first 2 shown]
	v_add_f64 v[1:2], v[164:165], -v[1:2]
	v_add_f64 v[3:4], v[166:167], -v[3:4]
	scratch_store_b128 off, v[1:4], off offset:96
	v_cmpx_lt_u32_e32 5, v152
	s_cbranch_execz .LBB116_321
; %bb.320:
	scratch_load_b128 v[1:4], v155, off
	v_mov_b32_e32 v5, 0
	s_delay_alu instid0(VALU_DEP_1)
	v_mov_b32_e32 v6, v5
	v_mov_b32_e32 v7, v5
	;; [unrolled: 1-line block ×3, first 2 shown]
	scratch_store_b128 off, v[5:8], off offset:80
	s_waitcnt vmcnt(0)
	ds_store_b128 v205, v[1:4]
.LBB116_321:
	s_or_b32 exec_lo, exec_lo, s2
	s_waitcnt lgkmcnt(0)
	s_waitcnt_vscnt null, 0x0
	s_barrier
	buffer_gl0_inv
	s_clause 0x7
	scratch_load_b128 v[2:5], off, off offset:96
	scratch_load_b128 v[6:9], off, off offset:112
	;; [unrolled: 1-line block ×8, first 2 shown]
	v_mov_b32_e32 v1, 0
	s_mov_b32 s2, exec_lo
	ds_load_b128 v[38:41], v1 offset:944
	s_clause 0x1
	scratch_load_b128 v[34:37], off, off offset:224
	scratch_load_b128 v[42:45], off, off offset:80
	ds_load_b128 v[164:167], v1 offset:960
	scratch_load_b128 v[168:171], off, off offset:240
	s_waitcnt vmcnt(10) lgkmcnt(1)
	v_mul_f64 v[172:173], v[40:41], v[4:5]
	v_mul_f64 v[4:5], v[38:39], v[4:5]
	s_delay_alu instid0(VALU_DEP_2) | instskip(NEXT) | instid1(VALU_DEP_2)
	v_fma_f64 v[217:218], v[38:39], v[2:3], -v[172:173]
	v_fma_f64 v[219:220], v[40:41], v[2:3], v[4:5]
	scratch_load_b128 v[38:41], off, off offset:256
	ds_load_b128 v[2:5], v1 offset:976
	s_waitcnt vmcnt(10) lgkmcnt(1)
	v_mul_f64 v[199:200], v[164:165], v[8:9]
	v_mul_f64 v[8:9], v[166:167], v[8:9]
	ds_load_b128 v[172:175], v1 offset:992
	s_waitcnt vmcnt(9) lgkmcnt(1)
	v_mul_f64 v[221:222], v[2:3], v[12:13]
	v_mul_f64 v[12:13], v[4:5], v[12:13]
	v_fma_f64 v[166:167], v[166:167], v[6:7], v[199:200]
	v_fma_f64 v[164:165], v[164:165], v[6:7], -v[8:9]
	v_add_f64 v[199:200], v[217:218], 0
	v_add_f64 v[217:218], v[219:220], 0
	scratch_load_b128 v[6:9], off, off offset:272
	v_fma_f64 v[221:222], v[4:5], v[10:11], v[221:222]
	v_fma_f64 v[223:224], v[2:3], v[10:11], -v[12:13]
	scratch_load_b128 v[10:13], off, off offset:288
	ds_load_b128 v[2:5], v1 offset:1008
	s_waitcnt vmcnt(10) lgkmcnt(1)
	v_mul_f64 v[219:220], v[172:173], v[16:17]
	v_mul_f64 v[16:17], v[174:175], v[16:17]
	v_add_f64 v[199:200], v[199:200], v[164:165]
	v_add_f64 v[217:218], v[217:218], v[166:167]
	s_waitcnt vmcnt(9) lgkmcnt(0)
	v_mul_f64 v[225:226], v[2:3], v[20:21]
	v_mul_f64 v[20:21], v[4:5], v[20:21]
	ds_load_b128 v[164:167], v1 offset:1024
	v_fma_f64 v[174:175], v[174:175], v[14:15], v[219:220]
	v_fma_f64 v[172:173], v[172:173], v[14:15], -v[16:17]
	scratch_load_b128 v[14:17], off, off offset:304
	v_add_f64 v[199:200], v[199:200], v[223:224]
	v_add_f64 v[217:218], v[217:218], v[221:222]
	v_fma_f64 v[221:222], v[4:5], v[18:19], v[225:226]
	v_fma_f64 v[223:224], v[2:3], v[18:19], -v[20:21]
	scratch_load_b128 v[18:21], off, off offset:320
	ds_load_b128 v[2:5], v1 offset:1040
	s_waitcnt vmcnt(10) lgkmcnt(1)
	v_mul_f64 v[219:220], v[164:165], v[24:25]
	v_mul_f64 v[24:25], v[166:167], v[24:25]
	s_waitcnt vmcnt(9) lgkmcnt(0)
	v_mul_f64 v[225:226], v[2:3], v[28:29]
	v_mul_f64 v[28:29], v[4:5], v[28:29]
	v_add_f64 v[199:200], v[199:200], v[172:173]
	v_add_f64 v[217:218], v[217:218], v[174:175]
	ds_load_b128 v[172:175], v1 offset:1056
	v_fma_f64 v[166:167], v[166:167], v[22:23], v[219:220]
	v_fma_f64 v[164:165], v[164:165], v[22:23], -v[24:25]
	scratch_load_b128 v[22:25], off, off offset:336
	v_add_f64 v[199:200], v[199:200], v[223:224]
	v_add_f64 v[217:218], v[217:218], v[221:222]
	v_fma_f64 v[221:222], v[4:5], v[26:27], v[225:226]
	v_fma_f64 v[223:224], v[2:3], v[26:27], -v[28:29]
	scratch_load_b128 v[26:29], off, off offset:352
	ds_load_b128 v[2:5], v1 offset:1072
	s_waitcnt vmcnt(10) lgkmcnt(1)
	v_mul_f64 v[219:220], v[172:173], v[32:33]
	v_mul_f64 v[32:33], v[174:175], v[32:33]
	s_waitcnt vmcnt(9) lgkmcnt(0)
	v_mul_f64 v[225:226], v[2:3], v[36:37]
	v_mul_f64 v[36:37], v[4:5], v[36:37]
	v_add_f64 v[199:200], v[199:200], v[164:165]
	v_add_f64 v[217:218], v[217:218], v[166:167]
	ds_load_b128 v[164:167], v1 offset:1088
	v_fma_f64 v[174:175], v[174:175], v[30:31], v[219:220]
	v_fma_f64 v[172:173], v[172:173], v[30:31], -v[32:33]
	scratch_load_b128 v[30:33], off, off offset:368
	v_add_f64 v[199:200], v[199:200], v[223:224]
	v_add_f64 v[217:218], v[217:218], v[221:222]
	v_fma_f64 v[223:224], v[4:5], v[34:35], v[225:226]
	v_fma_f64 v[225:226], v[2:3], v[34:35], -v[36:37]
	scratch_load_b128 v[34:37], off, off offset:384
	ds_load_b128 v[2:5], v1 offset:1104
	s_waitcnt vmcnt(9) lgkmcnt(1)
	v_mul_f64 v[219:220], v[164:165], v[170:171]
	v_mul_f64 v[221:222], v[166:167], v[170:171]
	v_add_f64 v[199:200], v[199:200], v[172:173]
	v_add_f64 v[174:175], v[217:218], v[174:175]
	ds_load_b128 v[170:173], v1 offset:1120
	v_fma_f64 v[219:220], v[166:167], v[168:169], v[219:220]
	v_fma_f64 v[168:169], v[164:165], v[168:169], -v[221:222]
	scratch_load_b128 v[164:167], off, off offset:400
	s_waitcnt vmcnt(9) lgkmcnt(1)
	v_mul_f64 v[217:218], v[2:3], v[40:41]
	v_mul_f64 v[40:41], v[4:5], v[40:41]
	v_add_f64 v[199:200], v[199:200], v[225:226]
	v_add_f64 v[174:175], v[174:175], v[223:224]
	s_delay_alu instid0(VALU_DEP_4) | instskip(NEXT) | instid1(VALU_DEP_4)
	v_fma_f64 v[223:224], v[4:5], v[38:39], v[217:218]
	v_fma_f64 v[225:226], v[2:3], v[38:39], -v[40:41]
	scratch_load_b128 v[38:41], off, off offset:416
	ds_load_b128 v[2:5], v1 offset:1136
	s_waitcnt vmcnt(9) lgkmcnt(1)
	v_mul_f64 v[221:222], v[170:171], v[8:9]
	v_mul_f64 v[8:9], v[172:173], v[8:9]
	v_add_f64 v[168:169], v[199:200], v[168:169]
	v_add_f64 v[174:175], v[174:175], v[219:220]
	s_waitcnt vmcnt(8) lgkmcnt(0)
	v_mul_f64 v[199:200], v[2:3], v[12:13]
	v_mul_f64 v[12:13], v[4:5], v[12:13]
	ds_load_b128 v[217:220], v1 offset:1152
	v_fma_f64 v[172:173], v[172:173], v[6:7], v[221:222]
	v_fma_f64 v[170:171], v[170:171], v[6:7], -v[8:9]
	scratch_load_b128 v[6:9], off, off offset:432
	v_add_f64 v[168:169], v[168:169], v[225:226]
	v_add_f64 v[174:175], v[174:175], v[223:224]
	v_fma_f64 v[199:200], v[4:5], v[10:11], v[199:200]
	v_fma_f64 v[223:224], v[2:3], v[10:11], -v[12:13]
	scratch_load_b128 v[10:13], off, off offset:448
	ds_load_b128 v[2:5], v1 offset:1168
	s_waitcnt vmcnt(9) lgkmcnt(1)
	v_mul_f64 v[221:222], v[217:218], v[16:17]
	v_mul_f64 v[16:17], v[219:220], v[16:17]
	v_add_f64 v[225:226], v[168:169], v[170:171]
	v_add_f64 v[172:173], v[174:175], v[172:173]
	s_waitcnt vmcnt(8) lgkmcnt(0)
	v_mul_f64 v[174:175], v[2:3], v[20:21]
	v_mul_f64 v[20:21], v[4:5], v[20:21]
	ds_load_b128 v[168:171], v1 offset:1184
	v_fma_f64 v[219:220], v[219:220], v[14:15], v[221:222]
	v_fma_f64 v[217:218], v[217:218], v[14:15], -v[16:17]
	scratch_load_b128 v[14:17], off, off offset:464
	v_add_f64 v[221:222], v[225:226], v[223:224]
	v_add_f64 v[172:173], v[172:173], v[199:200]
	;; [unrolled: 18-line block ×3, first 2 shown]
	v_fma_f64 v[221:222], v[4:5], v[26:27], v[221:222]
	v_fma_f64 v[223:224], v[2:3], v[26:27], -v[28:29]
	scratch_load_b128 v[26:29], off, off offset:512
	ds_load_b128 v[2:5], v1 offset:1232
	s_waitcnt vmcnt(9) lgkmcnt(1)
	v_mul_f64 v[219:220], v[172:173], v[32:33]
	v_mul_f64 v[32:33], v[174:175], v[32:33]
	s_waitcnt vmcnt(8) lgkmcnt(0)
	v_mul_f64 v[225:226], v[2:3], v[36:37]
	v_mul_f64 v[36:37], v[4:5], v[36:37]
	v_add_f64 v[199:200], v[199:200], v[168:169]
	v_add_f64 v[217:218], v[217:218], v[170:171]
	ds_load_b128 v[168:171], v1 offset:1248
	v_fma_f64 v[174:175], v[174:175], v[30:31], v[219:220]
	v_fma_f64 v[172:173], v[172:173], v[30:31], -v[32:33]
	scratch_load_b128 v[30:33], off, off offset:528
	v_add_f64 v[199:200], v[199:200], v[223:224]
	v_add_f64 v[217:218], v[217:218], v[221:222]
	v_fma_f64 v[221:222], v[4:5], v[34:35], v[225:226]
	v_fma_f64 v[223:224], v[2:3], v[34:35], -v[36:37]
	scratch_load_b128 v[34:37], off, off offset:544
	ds_load_b128 v[2:5], v1 offset:1264
	s_waitcnt vmcnt(9) lgkmcnt(1)
	v_mul_f64 v[219:220], v[168:169], v[166:167]
	v_mul_f64 v[166:167], v[170:171], v[166:167]
	s_waitcnt vmcnt(8) lgkmcnt(0)
	v_mul_f64 v[225:226], v[2:3], v[40:41]
	v_mul_f64 v[40:41], v[4:5], v[40:41]
	v_add_f64 v[199:200], v[199:200], v[172:173]
	v_add_f64 v[217:218], v[217:218], v[174:175]
	ds_load_b128 v[172:175], v1 offset:1280
	v_fma_f64 v[170:171], v[170:171], v[164:165], v[219:220]
	v_fma_f64 v[168:169], v[168:169], v[164:165], -v[166:167]
	scratch_load_b128 v[164:167], off, off offset:560
	v_add_f64 v[199:200], v[199:200], v[223:224]
	v_add_f64 v[217:218], v[217:218], v[221:222]
	;; [unrolled: 18-line block ×6, first 2 shown]
	v_fma_f64 v[223:224], v[4:5], v[34:35], v[225:226]
	v_fma_f64 v[225:226], v[2:3], v[34:35], -v[36:37]
	scratch_load_b128 v[34:37], off, off offset:704
	ds_load_b128 v[2:5], v1 offset:1424
	s_waitcnt vmcnt(9) lgkmcnt(1)
	v_mul_f64 v[219:220], v[172:173], v[166:167]
	v_mul_f64 v[221:222], v[174:175], v[166:167]
	v_add_f64 v[199:200], v[199:200], v[168:169]
	v_add_f64 v[170:171], v[217:218], v[170:171]
	s_waitcnt vmcnt(8) lgkmcnt(0)
	v_mul_f64 v[217:218], v[2:3], v[40:41]
	v_mul_f64 v[40:41], v[4:5], v[40:41]
	ds_load_b128 v[166:169], v1 offset:1440
	v_fma_f64 v[174:175], v[174:175], v[164:165], v[219:220]
	v_fma_f64 v[164:165], v[172:173], v[164:165], -v[221:222]
	v_add_f64 v[199:200], v[199:200], v[225:226]
	v_add_f64 v[219:220], v[170:171], v[223:224]
	scratch_load_b128 v[170:173], off, off offset:720
	v_fma_f64 v[223:224], v[4:5], v[38:39], v[217:218]
	v_fma_f64 v[225:226], v[2:3], v[38:39], -v[40:41]
	scratch_load_b128 v[38:41], off, off offset:736
	ds_load_b128 v[2:5], v1 offset:1456
	s_waitcnt vmcnt(9) lgkmcnt(1)
	v_mul_f64 v[221:222], v[166:167], v[8:9]
	v_mul_f64 v[8:9], v[168:169], v[8:9]
	v_add_f64 v[164:165], v[199:200], v[164:165]
	v_add_f64 v[174:175], v[219:220], v[174:175]
	s_waitcnt vmcnt(8) lgkmcnt(0)
	v_mul_f64 v[199:200], v[2:3], v[12:13]
	v_mul_f64 v[12:13], v[4:5], v[12:13]
	ds_load_b128 v[217:220], v1 offset:1472
	v_fma_f64 v[168:169], v[168:169], v[6:7], v[221:222]
	v_fma_f64 v[166:167], v[166:167], v[6:7], -v[8:9]
	scratch_load_b128 v[6:9], off, off offset:752
	v_add_f64 v[164:165], v[164:165], v[225:226]
	v_add_f64 v[174:175], v[174:175], v[223:224]
	v_fma_f64 v[199:200], v[4:5], v[10:11], v[199:200]
	v_fma_f64 v[223:224], v[2:3], v[10:11], -v[12:13]
	scratch_load_b128 v[10:13], off, off offset:768
	ds_load_b128 v[2:5], v1 offset:1488
	s_waitcnt vmcnt(9) lgkmcnt(1)
	v_mul_f64 v[221:222], v[217:218], v[16:17]
	v_mul_f64 v[16:17], v[219:220], v[16:17]
	v_add_f64 v[225:226], v[164:165], v[166:167]
	v_add_f64 v[168:169], v[174:175], v[168:169]
	s_waitcnt vmcnt(8) lgkmcnt(0)
	v_mul_f64 v[174:175], v[2:3], v[20:21]
	v_mul_f64 v[20:21], v[4:5], v[20:21]
	ds_load_b128 v[164:167], v1 offset:1504
	v_fma_f64 v[219:220], v[219:220], v[14:15], v[221:222]
	v_fma_f64 v[217:218], v[217:218], v[14:15], -v[16:17]
	scratch_load_b128 v[14:17], off, off offset:784
	v_add_f64 v[221:222], v[225:226], v[223:224]
	v_add_f64 v[168:169], v[168:169], v[199:200]
	v_fma_f64 v[174:175], v[4:5], v[18:19], v[174:175]
	v_fma_f64 v[223:224], v[2:3], v[18:19], -v[20:21]
	scratch_load_b128 v[18:21], off, off offset:800
	ds_load_b128 v[2:5], v1 offset:1520
	s_waitcnt vmcnt(9) lgkmcnt(1)
	v_mul_f64 v[199:200], v[164:165], v[24:25]
	v_mul_f64 v[24:25], v[166:167], v[24:25]
	s_waitcnt vmcnt(8) lgkmcnt(0)
	v_mul_f64 v[225:226], v[2:3], v[28:29]
	v_mul_f64 v[28:29], v[4:5], v[28:29]
	v_add_f64 v[221:222], v[221:222], v[217:218]
	v_add_f64 v[168:169], v[168:169], v[219:220]
	ds_load_b128 v[217:220], v1 offset:1536
	v_fma_f64 v[166:167], v[166:167], v[22:23], v[199:200]
	v_fma_f64 v[164:165], v[164:165], v[22:23], -v[24:25]
	scratch_load_b128 v[22:25], off, off offset:816
	v_add_f64 v[199:200], v[221:222], v[223:224]
	v_add_f64 v[168:169], v[168:169], v[174:175]
	v_fma_f64 v[221:222], v[4:5], v[26:27], v[225:226]
	v_fma_f64 v[223:224], v[2:3], v[26:27], -v[28:29]
	scratch_load_b128 v[26:29], off, off offset:832
	ds_load_b128 v[2:5], v1 offset:1552
	s_waitcnt vmcnt(9) lgkmcnt(1)
	v_mul_f64 v[174:175], v[217:218], v[32:33]
	v_mul_f64 v[32:33], v[219:220], v[32:33]
	s_waitcnt vmcnt(8) lgkmcnt(0)
	v_mul_f64 v[225:226], v[2:3], v[36:37]
	v_mul_f64 v[36:37], v[4:5], v[36:37]
	v_add_f64 v[199:200], v[199:200], v[164:165]
	v_add_f64 v[168:169], v[168:169], v[166:167]
	ds_load_b128 v[164:167], v1 offset:1568
	v_fma_f64 v[174:175], v[219:220], v[30:31], v[174:175]
	v_fma_f64 v[30:31], v[217:218], v[30:31], -v[32:33]
	v_fma_f64 v[217:218], v[4:5], v[34:35], v[225:226]
	v_fma_f64 v[34:35], v[2:3], v[34:35], -v[36:37]
	v_add_f64 v[32:33], v[199:200], v[223:224]
	v_add_f64 v[168:169], v[168:169], v[221:222]
	s_waitcnt vmcnt(7) lgkmcnt(0)
	v_mul_f64 v[199:200], v[164:165], v[172:173]
	v_mul_f64 v[172:173], v[166:167], v[172:173]
	s_delay_alu instid0(VALU_DEP_4) | instskip(NEXT) | instid1(VALU_DEP_4)
	v_add_f64 v[36:37], v[32:33], v[30:31]
	v_add_f64 v[168:169], v[168:169], v[174:175]
	ds_load_b128 v[2:5], v1 offset:1584
	ds_load_b128 v[30:33], v1 offset:1600
	v_fma_f64 v[166:167], v[166:167], v[170:171], v[199:200]
	v_fma_f64 v[164:165], v[164:165], v[170:171], -v[172:173]
	s_waitcnt vmcnt(6) lgkmcnt(1)
	v_mul_f64 v[174:175], v[2:3], v[40:41]
	v_mul_f64 v[40:41], v[4:5], v[40:41]
	v_add_f64 v[34:35], v[36:37], v[34:35]
	v_add_f64 v[36:37], v[168:169], v[217:218]
	s_waitcnt vmcnt(5) lgkmcnt(0)
	v_mul_f64 v[168:169], v[30:31], v[8:9]
	v_mul_f64 v[8:9], v[32:33], v[8:9]
	v_fma_f64 v[170:171], v[4:5], v[38:39], v[174:175]
	v_fma_f64 v[38:39], v[2:3], v[38:39], -v[40:41]
	v_add_f64 v[40:41], v[34:35], v[164:165]
	v_add_f64 v[164:165], v[36:37], v[166:167]
	ds_load_b128 v[2:5], v1 offset:1616
	ds_load_b128 v[34:37], v1 offset:1632
	v_fma_f64 v[32:33], v[32:33], v[6:7], v[168:169]
	v_fma_f64 v[6:7], v[30:31], v[6:7], -v[8:9]
	s_waitcnt vmcnt(4) lgkmcnt(1)
	v_mul_f64 v[166:167], v[2:3], v[12:13]
	v_mul_f64 v[12:13], v[4:5], v[12:13]
	v_add_f64 v[8:9], v[40:41], v[38:39]
	v_add_f64 v[30:31], v[164:165], v[170:171]
	s_waitcnt vmcnt(3) lgkmcnt(0)
	v_mul_f64 v[38:39], v[34:35], v[16:17]
	v_mul_f64 v[16:17], v[36:37], v[16:17]
	v_fma_f64 v[40:41], v[4:5], v[10:11], v[166:167]
	v_fma_f64 v[10:11], v[2:3], v[10:11], -v[12:13]
	v_add_f64 v[12:13], v[8:9], v[6:7]
	v_add_f64 v[30:31], v[30:31], v[32:33]
	ds_load_b128 v[2:5], v1 offset:1648
	ds_load_b128 v[6:9], v1 offset:1664
	v_fma_f64 v[36:37], v[36:37], v[14:15], v[38:39]
	v_fma_f64 v[14:15], v[34:35], v[14:15], -v[16:17]
	s_waitcnt vmcnt(2) lgkmcnt(1)
	v_mul_f64 v[32:33], v[2:3], v[20:21]
	v_mul_f64 v[20:21], v[4:5], v[20:21]
	s_waitcnt vmcnt(1) lgkmcnt(0)
	v_mul_f64 v[16:17], v[6:7], v[24:25]
	v_mul_f64 v[24:25], v[8:9], v[24:25]
	v_add_f64 v[10:11], v[12:13], v[10:11]
	v_add_f64 v[12:13], v[30:31], v[40:41]
	v_fma_f64 v[30:31], v[4:5], v[18:19], v[32:33]
	v_fma_f64 v[18:19], v[2:3], v[18:19], -v[20:21]
	ds_load_b128 v[2:5], v1 offset:1680
	v_fma_f64 v[8:9], v[8:9], v[22:23], v[16:17]
	v_fma_f64 v[6:7], v[6:7], v[22:23], -v[24:25]
	v_add_f64 v[10:11], v[10:11], v[14:15]
	v_add_f64 v[12:13], v[12:13], v[36:37]
	s_waitcnt vmcnt(0) lgkmcnt(0)
	v_mul_f64 v[14:15], v[2:3], v[28:29]
	v_mul_f64 v[20:21], v[4:5], v[28:29]
	s_delay_alu instid0(VALU_DEP_4) | instskip(NEXT) | instid1(VALU_DEP_4)
	v_add_f64 v[10:11], v[10:11], v[18:19]
	v_add_f64 v[12:13], v[12:13], v[30:31]
	s_delay_alu instid0(VALU_DEP_4) | instskip(NEXT) | instid1(VALU_DEP_4)
	v_fma_f64 v[4:5], v[4:5], v[26:27], v[14:15]
	v_fma_f64 v[2:3], v[2:3], v[26:27], -v[20:21]
	s_delay_alu instid0(VALU_DEP_4) | instskip(NEXT) | instid1(VALU_DEP_4)
	v_add_f64 v[6:7], v[10:11], v[6:7]
	v_add_f64 v[8:9], v[12:13], v[8:9]
	s_delay_alu instid0(VALU_DEP_2) | instskip(NEXT) | instid1(VALU_DEP_2)
	v_add_f64 v[2:3], v[6:7], v[2:3]
	v_add_f64 v[4:5], v[8:9], v[4:5]
	s_delay_alu instid0(VALU_DEP_2) | instskip(NEXT) | instid1(VALU_DEP_2)
	v_add_f64 v[2:3], v[42:43], -v[2:3]
	v_add_f64 v[4:5], v[44:45], -v[4:5]
	scratch_store_b128 off, v[2:5], off offset:80
	v_cmpx_lt_u32_e32 4, v152
	s_cbranch_execz .LBB116_323
; %bb.322:
	scratch_load_b128 v[5:8], v201, off
	v_mov_b32_e32 v2, v1
	v_mov_b32_e32 v3, v1
	v_mov_b32_e32 v4, v1
	scratch_store_b128 off, v[1:4], off offset:64
	s_waitcnt vmcnt(0)
	ds_store_b128 v205, v[5:8]
.LBB116_323:
	s_or_b32 exec_lo, exec_lo, s2
	s_waitcnt lgkmcnt(0)
	s_waitcnt_vscnt null, 0x0
	s_barrier
	buffer_gl0_inv
	s_clause 0x8
	scratch_load_b128 v[2:5], off, off offset:80
	scratch_load_b128 v[6:9], off, off offset:96
	scratch_load_b128 v[10:13], off, off offset:112
	scratch_load_b128 v[14:17], off, off offset:128
	scratch_load_b128 v[18:21], off, off offset:144
	scratch_load_b128 v[22:25], off, off offset:160
	scratch_load_b128 v[26:29], off, off offset:176
	scratch_load_b128 v[30:33], off, off offset:192
	scratch_load_b128 v[34:37], off, off offset:208
	ds_load_b128 v[42:45], v1 offset:928
	ds_load_b128 v[38:41], v1 offset:944
	s_clause 0x1
	scratch_load_b128 v[164:167], off, off offset:64
	scratch_load_b128 v[168:171], off, off offset:224
	s_mov_b32 s2, exec_lo
	s_waitcnt vmcnt(10) lgkmcnt(1)
	v_mul_f64 v[172:173], v[44:45], v[4:5]
	v_mul_f64 v[4:5], v[42:43], v[4:5]
	s_waitcnt vmcnt(9) lgkmcnt(0)
	v_mul_f64 v[199:200], v[38:39], v[8:9]
	v_mul_f64 v[8:9], v[40:41], v[8:9]
	s_delay_alu instid0(VALU_DEP_4) | instskip(NEXT) | instid1(VALU_DEP_4)
	v_fma_f64 v[217:218], v[42:43], v[2:3], -v[172:173]
	v_fma_f64 v[219:220], v[44:45], v[2:3], v[4:5]
	ds_load_b128 v[2:5], v1 offset:960
	ds_load_b128 v[172:175], v1 offset:976
	scratch_load_b128 v[42:45], off, off offset:240
	v_fma_f64 v[40:41], v[40:41], v[6:7], v[199:200]
	v_fma_f64 v[38:39], v[38:39], v[6:7], -v[8:9]
	scratch_load_b128 v[6:9], off, off offset:256
	s_waitcnt vmcnt(10) lgkmcnt(1)
	v_mul_f64 v[221:222], v[2:3], v[12:13]
	v_mul_f64 v[12:13], v[4:5], v[12:13]
	v_add_f64 v[199:200], v[217:218], 0
	v_add_f64 v[217:218], v[219:220], 0
	s_waitcnt vmcnt(9) lgkmcnt(0)
	v_mul_f64 v[219:220], v[172:173], v[16:17]
	v_mul_f64 v[16:17], v[174:175], v[16:17]
	v_fma_f64 v[221:222], v[4:5], v[10:11], v[221:222]
	v_fma_f64 v[223:224], v[2:3], v[10:11], -v[12:13]
	ds_load_b128 v[2:5], v1 offset:992
	scratch_load_b128 v[10:13], off, off offset:272
	v_add_f64 v[199:200], v[199:200], v[38:39]
	v_add_f64 v[217:218], v[217:218], v[40:41]
	ds_load_b128 v[38:41], v1 offset:1008
	v_fma_f64 v[174:175], v[174:175], v[14:15], v[219:220]
	v_fma_f64 v[172:173], v[172:173], v[14:15], -v[16:17]
	scratch_load_b128 v[14:17], off, off offset:288
	s_waitcnt vmcnt(10) lgkmcnt(1)
	v_mul_f64 v[225:226], v[2:3], v[20:21]
	v_mul_f64 v[20:21], v[4:5], v[20:21]
	s_waitcnt vmcnt(9) lgkmcnt(0)
	v_mul_f64 v[219:220], v[38:39], v[24:25]
	v_mul_f64 v[24:25], v[40:41], v[24:25]
	v_add_f64 v[199:200], v[199:200], v[223:224]
	v_add_f64 v[217:218], v[217:218], v[221:222]
	v_fma_f64 v[221:222], v[4:5], v[18:19], v[225:226]
	v_fma_f64 v[223:224], v[2:3], v[18:19], -v[20:21]
	ds_load_b128 v[2:5], v1 offset:1024
	scratch_load_b128 v[18:21], off, off offset:304
	v_fma_f64 v[40:41], v[40:41], v[22:23], v[219:220]
	v_fma_f64 v[38:39], v[38:39], v[22:23], -v[24:25]
	scratch_load_b128 v[22:25], off, off offset:320
	v_add_f64 v[199:200], v[199:200], v[172:173]
	v_add_f64 v[217:218], v[217:218], v[174:175]
	ds_load_b128 v[172:175], v1 offset:1040
	s_waitcnt vmcnt(10) lgkmcnt(1)
	v_mul_f64 v[225:226], v[2:3], v[28:29]
	v_mul_f64 v[28:29], v[4:5], v[28:29]
	s_waitcnt vmcnt(9) lgkmcnt(0)
	v_mul_f64 v[219:220], v[172:173], v[32:33]
	v_mul_f64 v[32:33], v[174:175], v[32:33]
	v_add_f64 v[199:200], v[199:200], v[223:224]
	v_add_f64 v[217:218], v[217:218], v[221:222]
	v_fma_f64 v[221:222], v[4:5], v[26:27], v[225:226]
	v_fma_f64 v[223:224], v[2:3], v[26:27], -v[28:29]
	ds_load_b128 v[2:5], v1 offset:1056
	scratch_load_b128 v[26:29], off, off offset:336
	v_fma_f64 v[174:175], v[174:175], v[30:31], v[219:220]
	v_fma_f64 v[172:173], v[172:173], v[30:31], -v[32:33]
	scratch_load_b128 v[30:33], off, off offset:352
	v_add_f64 v[199:200], v[199:200], v[38:39]
	v_add_f64 v[217:218], v[217:218], v[40:41]
	ds_load_b128 v[38:41], v1 offset:1072
	s_waitcnt vmcnt(10) lgkmcnt(1)
	v_mul_f64 v[225:226], v[2:3], v[36:37]
	v_mul_f64 v[36:37], v[4:5], v[36:37]
	s_waitcnt vmcnt(8) lgkmcnt(0)
	v_mul_f64 v[219:220], v[38:39], v[170:171]
	v_add_f64 v[199:200], v[199:200], v[223:224]
	v_add_f64 v[217:218], v[217:218], v[221:222]
	v_mul_f64 v[221:222], v[40:41], v[170:171]
	v_fma_f64 v[223:224], v[4:5], v[34:35], v[225:226]
	v_fma_f64 v[225:226], v[2:3], v[34:35], -v[36:37]
	ds_load_b128 v[2:5], v1 offset:1088
	scratch_load_b128 v[34:37], off, off offset:368
	v_fma_f64 v[219:220], v[40:41], v[168:169], v[219:220]
	v_add_f64 v[199:200], v[199:200], v[172:173]
	v_add_f64 v[174:175], v[217:218], v[174:175]
	ds_load_b128 v[170:173], v1 offset:1104
	v_fma_f64 v[168:169], v[38:39], v[168:169], -v[221:222]
	scratch_load_b128 v[38:41], off, off offset:384
	s_waitcnt vmcnt(9) lgkmcnt(1)
	v_mul_f64 v[217:218], v[2:3], v[44:45]
	v_mul_f64 v[44:45], v[4:5], v[44:45]
	s_waitcnt vmcnt(8) lgkmcnt(0)
	v_mul_f64 v[221:222], v[170:171], v[8:9]
	v_mul_f64 v[8:9], v[172:173], v[8:9]
	v_add_f64 v[199:200], v[199:200], v[225:226]
	v_add_f64 v[174:175], v[174:175], v[223:224]
	v_fma_f64 v[223:224], v[4:5], v[42:43], v[217:218]
	v_fma_f64 v[225:226], v[2:3], v[42:43], -v[44:45]
	ds_load_b128 v[2:5], v1 offset:1120
	scratch_load_b128 v[42:45], off, off offset:400
	v_fma_f64 v[172:173], v[172:173], v[6:7], v[221:222]
	v_fma_f64 v[170:171], v[170:171], v[6:7], -v[8:9]
	scratch_load_b128 v[6:9], off, off offset:416
	v_add_f64 v[168:169], v[199:200], v[168:169]
	v_add_f64 v[174:175], v[174:175], v[219:220]
	ds_load_b128 v[217:220], v1 offset:1136
	s_waitcnt vmcnt(9) lgkmcnt(1)
	v_mul_f64 v[199:200], v[2:3], v[12:13]
	v_mul_f64 v[12:13], v[4:5], v[12:13]
	s_waitcnt vmcnt(8) lgkmcnt(0)
	v_mul_f64 v[221:222], v[217:218], v[16:17]
	v_mul_f64 v[16:17], v[219:220], v[16:17]
	v_add_f64 v[168:169], v[168:169], v[225:226]
	v_add_f64 v[174:175], v[174:175], v[223:224]
	v_fma_f64 v[199:200], v[4:5], v[10:11], v[199:200]
	v_fma_f64 v[223:224], v[2:3], v[10:11], -v[12:13]
	ds_load_b128 v[2:5], v1 offset:1152
	scratch_load_b128 v[10:13], off, off offset:432
	v_fma_f64 v[219:220], v[219:220], v[14:15], v[221:222]
	v_fma_f64 v[217:218], v[217:218], v[14:15], -v[16:17]
	scratch_load_b128 v[14:17], off, off offset:448
	v_add_f64 v[225:226], v[168:169], v[170:171]
	v_add_f64 v[172:173], v[174:175], v[172:173]
	ds_load_b128 v[168:171], v1 offset:1168
	s_waitcnt vmcnt(9) lgkmcnt(1)
	v_mul_f64 v[174:175], v[2:3], v[20:21]
	v_mul_f64 v[20:21], v[4:5], v[20:21]
	v_add_f64 v[221:222], v[225:226], v[223:224]
	v_add_f64 v[172:173], v[172:173], v[199:200]
	s_waitcnt vmcnt(8) lgkmcnt(0)
	v_mul_f64 v[199:200], v[168:169], v[24:25]
	v_mul_f64 v[24:25], v[170:171], v[24:25]
	v_fma_f64 v[223:224], v[4:5], v[18:19], v[174:175]
	v_fma_f64 v[225:226], v[2:3], v[18:19], -v[20:21]
	ds_load_b128 v[2:5], v1 offset:1184
	scratch_load_b128 v[18:21], off, off offset:464
	v_add_f64 v[217:218], v[221:222], v[217:218]
	v_add_f64 v[219:220], v[172:173], v[219:220]
	ds_load_b128 v[172:175], v1 offset:1200
	s_waitcnt vmcnt(8) lgkmcnt(1)
	v_mul_f64 v[221:222], v[2:3], v[28:29]
	v_mul_f64 v[28:29], v[4:5], v[28:29]
	v_fma_f64 v[170:171], v[170:171], v[22:23], v[199:200]
	v_fma_f64 v[168:169], v[168:169], v[22:23], -v[24:25]
	scratch_load_b128 v[22:25], off, off offset:480
	v_add_f64 v[199:200], v[217:218], v[225:226]
	v_add_f64 v[217:218], v[219:220], v[223:224]
	s_waitcnt vmcnt(8) lgkmcnt(0)
	v_mul_f64 v[219:220], v[172:173], v[32:33]
	v_mul_f64 v[32:33], v[174:175], v[32:33]
	v_fma_f64 v[221:222], v[4:5], v[26:27], v[221:222]
	v_fma_f64 v[223:224], v[2:3], v[26:27], -v[28:29]
	ds_load_b128 v[2:5], v1 offset:1216
	scratch_load_b128 v[26:29], off, off offset:496
	v_add_f64 v[199:200], v[199:200], v[168:169]
	v_add_f64 v[217:218], v[217:218], v[170:171]
	ds_load_b128 v[168:171], v1 offset:1232
	s_waitcnt vmcnt(8) lgkmcnt(1)
	v_mul_f64 v[225:226], v[2:3], v[36:37]
	v_mul_f64 v[36:37], v[4:5], v[36:37]
	v_fma_f64 v[174:175], v[174:175], v[30:31], v[219:220]
	v_fma_f64 v[172:173], v[172:173], v[30:31], -v[32:33]
	scratch_load_b128 v[30:33], off, off offset:512
	s_waitcnt vmcnt(8) lgkmcnt(0)
	v_mul_f64 v[219:220], v[168:169], v[40:41]
	v_mul_f64 v[40:41], v[170:171], v[40:41]
	v_add_f64 v[199:200], v[199:200], v[223:224]
	v_add_f64 v[217:218], v[217:218], v[221:222]
	v_fma_f64 v[221:222], v[4:5], v[34:35], v[225:226]
	v_fma_f64 v[223:224], v[2:3], v[34:35], -v[36:37]
	ds_load_b128 v[2:5], v1 offset:1248
	scratch_load_b128 v[34:37], off, off offset:528
	v_fma_f64 v[170:171], v[170:171], v[38:39], v[219:220]
	v_fma_f64 v[168:169], v[168:169], v[38:39], -v[40:41]
	scratch_load_b128 v[38:41], off, off offset:544
	v_add_f64 v[199:200], v[199:200], v[172:173]
	v_add_f64 v[217:218], v[217:218], v[174:175]
	ds_load_b128 v[172:175], v1 offset:1264
	s_waitcnt vmcnt(9) lgkmcnt(1)
	v_mul_f64 v[225:226], v[2:3], v[44:45]
	v_mul_f64 v[44:45], v[4:5], v[44:45]
	s_waitcnt vmcnt(8) lgkmcnt(0)
	v_mul_f64 v[219:220], v[172:173], v[8:9]
	v_mul_f64 v[8:9], v[174:175], v[8:9]
	v_add_f64 v[199:200], v[199:200], v[223:224]
	v_add_f64 v[217:218], v[217:218], v[221:222]
	v_fma_f64 v[221:222], v[4:5], v[42:43], v[225:226]
	v_fma_f64 v[223:224], v[2:3], v[42:43], -v[44:45]
	ds_load_b128 v[2:5], v1 offset:1280
	scratch_load_b128 v[42:45], off, off offset:560
	v_fma_f64 v[174:175], v[174:175], v[6:7], v[219:220]
	v_fma_f64 v[172:173], v[172:173], v[6:7], -v[8:9]
	scratch_load_b128 v[6:9], off, off offset:576
	v_add_f64 v[199:200], v[199:200], v[168:169]
	v_add_f64 v[217:218], v[217:218], v[170:171]
	ds_load_b128 v[168:171], v1 offset:1296
	s_waitcnt vmcnt(9) lgkmcnt(1)
	v_mul_f64 v[225:226], v[2:3], v[12:13]
	v_mul_f64 v[12:13], v[4:5], v[12:13]
	;; [unrolled: 18-line block ×10, first 2 shown]
	s_waitcnt vmcnt(8) lgkmcnt(0)
	v_mul_f64 v[219:220], v[168:169], v[40:41]
	v_mul_f64 v[40:41], v[170:171], v[40:41]
	v_add_f64 v[199:200], v[199:200], v[223:224]
	v_add_f64 v[217:218], v[217:218], v[221:222]
	v_fma_f64 v[221:222], v[4:5], v[34:35], v[225:226]
	v_fma_f64 v[223:224], v[2:3], v[34:35], -v[36:37]
	ds_load_b128 v[2:5], v1 offset:1568
	ds_load_b128 v[34:37], v1 offset:1584
	v_fma_f64 v[170:171], v[170:171], v[38:39], v[219:220]
	v_fma_f64 v[38:39], v[168:169], v[38:39], -v[40:41]
	v_add_f64 v[172:173], v[199:200], v[172:173]
	v_add_f64 v[174:175], v[217:218], v[174:175]
	s_waitcnt vmcnt(7) lgkmcnt(1)
	v_mul_f64 v[199:200], v[2:3], v[44:45]
	v_mul_f64 v[44:45], v[4:5], v[44:45]
	s_delay_alu instid0(VALU_DEP_4) | instskip(NEXT) | instid1(VALU_DEP_4)
	v_add_f64 v[40:41], v[172:173], v[223:224]
	v_add_f64 v[168:169], v[174:175], v[221:222]
	s_waitcnt vmcnt(6) lgkmcnt(0)
	v_mul_f64 v[172:173], v[34:35], v[8:9]
	v_mul_f64 v[8:9], v[36:37], v[8:9]
	v_fma_f64 v[174:175], v[4:5], v[42:43], v[199:200]
	v_fma_f64 v[42:43], v[2:3], v[42:43], -v[44:45]
	v_add_f64 v[44:45], v[40:41], v[38:39]
	v_add_f64 v[168:169], v[168:169], v[170:171]
	ds_load_b128 v[2:5], v1 offset:1600
	ds_load_b128 v[38:41], v1 offset:1616
	v_fma_f64 v[36:37], v[36:37], v[6:7], v[172:173]
	v_fma_f64 v[6:7], v[34:35], v[6:7], -v[8:9]
	s_waitcnt vmcnt(5) lgkmcnt(1)
	v_mul_f64 v[170:171], v[2:3], v[12:13]
	v_mul_f64 v[12:13], v[4:5], v[12:13]
	v_add_f64 v[8:9], v[44:45], v[42:43]
	v_add_f64 v[34:35], v[168:169], v[174:175]
	s_waitcnt vmcnt(4) lgkmcnt(0)
	v_mul_f64 v[42:43], v[38:39], v[16:17]
	v_mul_f64 v[16:17], v[40:41], v[16:17]
	v_fma_f64 v[44:45], v[4:5], v[10:11], v[170:171]
	v_fma_f64 v[10:11], v[2:3], v[10:11], -v[12:13]
	v_add_f64 v[12:13], v[8:9], v[6:7]
	v_add_f64 v[34:35], v[34:35], v[36:37]
	ds_load_b128 v[2:5], v1 offset:1632
	ds_load_b128 v[6:9], v1 offset:1648
	v_fma_f64 v[40:41], v[40:41], v[14:15], v[42:43]
	v_fma_f64 v[14:15], v[38:39], v[14:15], -v[16:17]
	s_waitcnt vmcnt(3) lgkmcnt(1)
	v_mul_f64 v[36:37], v[2:3], v[20:21]
	v_mul_f64 v[20:21], v[4:5], v[20:21]
	s_waitcnt vmcnt(2) lgkmcnt(0)
	v_mul_f64 v[16:17], v[6:7], v[24:25]
	v_mul_f64 v[24:25], v[8:9], v[24:25]
	v_add_f64 v[10:11], v[12:13], v[10:11]
	v_add_f64 v[12:13], v[34:35], v[44:45]
	v_fma_f64 v[34:35], v[4:5], v[18:19], v[36:37]
	v_fma_f64 v[18:19], v[2:3], v[18:19], -v[20:21]
	v_fma_f64 v[8:9], v[8:9], v[22:23], v[16:17]
	v_fma_f64 v[6:7], v[6:7], v[22:23], -v[24:25]
	v_add_f64 v[14:15], v[10:11], v[14:15]
	v_add_f64 v[20:21], v[12:13], v[40:41]
	ds_load_b128 v[2:5], v1 offset:1664
	ds_load_b128 v[10:13], v1 offset:1680
	s_waitcnt vmcnt(1) lgkmcnt(1)
	v_mul_f64 v[36:37], v[2:3], v[28:29]
	v_mul_f64 v[28:29], v[4:5], v[28:29]
	v_add_f64 v[14:15], v[14:15], v[18:19]
	v_add_f64 v[16:17], v[20:21], v[34:35]
	s_waitcnt vmcnt(0) lgkmcnt(0)
	v_mul_f64 v[18:19], v[10:11], v[32:33]
	v_mul_f64 v[20:21], v[12:13], v[32:33]
	v_fma_f64 v[4:5], v[4:5], v[26:27], v[36:37]
	v_fma_f64 v[1:2], v[2:3], v[26:27], -v[28:29]
	v_add_f64 v[6:7], v[14:15], v[6:7]
	v_add_f64 v[8:9], v[16:17], v[8:9]
	v_fma_f64 v[12:13], v[12:13], v[30:31], v[18:19]
	v_fma_f64 v[10:11], v[10:11], v[30:31], -v[20:21]
	s_delay_alu instid0(VALU_DEP_4) | instskip(NEXT) | instid1(VALU_DEP_4)
	v_add_f64 v[1:2], v[6:7], v[1:2]
	v_add_f64 v[3:4], v[8:9], v[4:5]
	s_delay_alu instid0(VALU_DEP_2) | instskip(NEXT) | instid1(VALU_DEP_2)
	v_add_f64 v[1:2], v[1:2], v[10:11]
	v_add_f64 v[3:4], v[3:4], v[12:13]
	s_delay_alu instid0(VALU_DEP_2) | instskip(NEXT) | instid1(VALU_DEP_2)
	v_add_f64 v[1:2], v[164:165], -v[1:2]
	v_add_f64 v[3:4], v[166:167], -v[3:4]
	scratch_store_b128 off, v[1:4], off offset:64
	v_cmpx_lt_u32_e32 3, v152
	s_cbranch_execz .LBB116_325
; %bb.324:
	scratch_load_b128 v[1:4], v202, off
	v_mov_b32_e32 v5, 0
	s_delay_alu instid0(VALU_DEP_1)
	v_mov_b32_e32 v6, v5
	v_mov_b32_e32 v7, v5
	v_mov_b32_e32 v8, v5
	scratch_store_b128 off, v[5:8], off offset:48
	s_waitcnt vmcnt(0)
	ds_store_b128 v205, v[1:4]
.LBB116_325:
	s_or_b32 exec_lo, exec_lo, s2
	s_waitcnt lgkmcnt(0)
	s_waitcnt_vscnt null, 0x0
	s_barrier
	buffer_gl0_inv
	s_clause 0x7
	scratch_load_b128 v[2:5], off, off offset:64
	scratch_load_b128 v[6:9], off, off offset:80
	;; [unrolled: 1-line block ×8, first 2 shown]
	v_mov_b32_e32 v1, 0
	s_mov_b32 s2, exec_lo
	ds_load_b128 v[38:41], v1 offset:912
	s_clause 0x1
	scratch_load_b128 v[34:37], off, off offset:192
	scratch_load_b128 v[42:45], off, off offset:48
	ds_load_b128 v[164:167], v1 offset:928
	scratch_load_b128 v[168:171], off, off offset:208
	s_waitcnt vmcnt(10) lgkmcnt(1)
	v_mul_f64 v[172:173], v[40:41], v[4:5]
	v_mul_f64 v[4:5], v[38:39], v[4:5]
	s_delay_alu instid0(VALU_DEP_2) | instskip(NEXT) | instid1(VALU_DEP_2)
	v_fma_f64 v[217:218], v[38:39], v[2:3], -v[172:173]
	v_fma_f64 v[219:220], v[40:41], v[2:3], v[4:5]
	scratch_load_b128 v[38:41], off, off offset:224
	ds_load_b128 v[2:5], v1 offset:944
	s_waitcnt vmcnt(10) lgkmcnt(1)
	v_mul_f64 v[199:200], v[164:165], v[8:9]
	v_mul_f64 v[8:9], v[166:167], v[8:9]
	ds_load_b128 v[172:175], v1 offset:960
	s_waitcnt vmcnt(9) lgkmcnt(1)
	v_mul_f64 v[221:222], v[2:3], v[12:13]
	v_mul_f64 v[12:13], v[4:5], v[12:13]
	v_fma_f64 v[166:167], v[166:167], v[6:7], v[199:200]
	v_fma_f64 v[164:165], v[164:165], v[6:7], -v[8:9]
	v_add_f64 v[199:200], v[217:218], 0
	v_add_f64 v[217:218], v[219:220], 0
	scratch_load_b128 v[6:9], off, off offset:240
	v_fma_f64 v[221:222], v[4:5], v[10:11], v[221:222]
	v_fma_f64 v[223:224], v[2:3], v[10:11], -v[12:13]
	scratch_load_b128 v[10:13], off, off offset:256
	ds_load_b128 v[2:5], v1 offset:976
	s_waitcnt vmcnt(10) lgkmcnt(1)
	v_mul_f64 v[219:220], v[172:173], v[16:17]
	v_mul_f64 v[16:17], v[174:175], v[16:17]
	v_add_f64 v[199:200], v[199:200], v[164:165]
	v_add_f64 v[217:218], v[217:218], v[166:167]
	s_waitcnt vmcnt(9) lgkmcnt(0)
	v_mul_f64 v[225:226], v[2:3], v[20:21]
	v_mul_f64 v[20:21], v[4:5], v[20:21]
	ds_load_b128 v[164:167], v1 offset:992
	v_fma_f64 v[174:175], v[174:175], v[14:15], v[219:220]
	v_fma_f64 v[172:173], v[172:173], v[14:15], -v[16:17]
	scratch_load_b128 v[14:17], off, off offset:272
	v_add_f64 v[199:200], v[199:200], v[223:224]
	v_add_f64 v[217:218], v[217:218], v[221:222]
	v_fma_f64 v[221:222], v[4:5], v[18:19], v[225:226]
	v_fma_f64 v[223:224], v[2:3], v[18:19], -v[20:21]
	scratch_load_b128 v[18:21], off, off offset:288
	ds_load_b128 v[2:5], v1 offset:1008
	s_waitcnt vmcnt(10) lgkmcnt(1)
	v_mul_f64 v[219:220], v[164:165], v[24:25]
	v_mul_f64 v[24:25], v[166:167], v[24:25]
	s_waitcnt vmcnt(9) lgkmcnt(0)
	v_mul_f64 v[225:226], v[2:3], v[28:29]
	v_mul_f64 v[28:29], v[4:5], v[28:29]
	v_add_f64 v[199:200], v[199:200], v[172:173]
	v_add_f64 v[217:218], v[217:218], v[174:175]
	ds_load_b128 v[172:175], v1 offset:1024
	v_fma_f64 v[166:167], v[166:167], v[22:23], v[219:220]
	v_fma_f64 v[164:165], v[164:165], v[22:23], -v[24:25]
	scratch_load_b128 v[22:25], off, off offset:304
	v_add_f64 v[199:200], v[199:200], v[223:224]
	v_add_f64 v[217:218], v[217:218], v[221:222]
	v_fma_f64 v[221:222], v[4:5], v[26:27], v[225:226]
	v_fma_f64 v[223:224], v[2:3], v[26:27], -v[28:29]
	scratch_load_b128 v[26:29], off, off offset:320
	ds_load_b128 v[2:5], v1 offset:1040
	s_waitcnt vmcnt(10) lgkmcnt(1)
	v_mul_f64 v[219:220], v[172:173], v[32:33]
	v_mul_f64 v[32:33], v[174:175], v[32:33]
	s_waitcnt vmcnt(9) lgkmcnt(0)
	v_mul_f64 v[225:226], v[2:3], v[36:37]
	v_mul_f64 v[36:37], v[4:5], v[36:37]
	v_add_f64 v[199:200], v[199:200], v[164:165]
	v_add_f64 v[217:218], v[217:218], v[166:167]
	ds_load_b128 v[164:167], v1 offset:1056
	v_fma_f64 v[174:175], v[174:175], v[30:31], v[219:220]
	v_fma_f64 v[172:173], v[172:173], v[30:31], -v[32:33]
	scratch_load_b128 v[30:33], off, off offset:336
	v_add_f64 v[199:200], v[199:200], v[223:224]
	v_add_f64 v[217:218], v[217:218], v[221:222]
	v_fma_f64 v[223:224], v[4:5], v[34:35], v[225:226]
	v_fma_f64 v[225:226], v[2:3], v[34:35], -v[36:37]
	scratch_load_b128 v[34:37], off, off offset:352
	ds_load_b128 v[2:5], v1 offset:1072
	s_waitcnt vmcnt(9) lgkmcnt(1)
	v_mul_f64 v[219:220], v[164:165], v[170:171]
	v_mul_f64 v[221:222], v[166:167], v[170:171]
	v_add_f64 v[199:200], v[199:200], v[172:173]
	v_add_f64 v[174:175], v[217:218], v[174:175]
	ds_load_b128 v[170:173], v1 offset:1088
	v_fma_f64 v[219:220], v[166:167], v[168:169], v[219:220]
	v_fma_f64 v[168:169], v[164:165], v[168:169], -v[221:222]
	scratch_load_b128 v[164:167], off, off offset:368
	s_waitcnt vmcnt(9) lgkmcnt(1)
	v_mul_f64 v[217:218], v[2:3], v[40:41]
	v_mul_f64 v[40:41], v[4:5], v[40:41]
	v_add_f64 v[199:200], v[199:200], v[225:226]
	v_add_f64 v[174:175], v[174:175], v[223:224]
	s_delay_alu instid0(VALU_DEP_4) | instskip(NEXT) | instid1(VALU_DEP_4)
	v_fma_f64 v[223:224], v[4:5], v[38:39], v[217:218]
	v_fma_f64 v[225:226], v[2:3], v[38:39], -v[40:41]
	scratch_load_b128 v[38:41], off, off offset:384
	ds_load_b128 v[2:5], v1 offset:1104
	s_waitcnt vmcnt(9) lgkmcnt(1)
	v_mul_f64 v[221:222], v[170:171], v[8:9]
	v_mul_f64 v[8:9], v[172:173], v[8:9]
	v_add_f64 v[168:169], v[199:200], v[168:169]
	v_add_f64 v[174:175], v[174:175], v[219:220]
	s_waitcnt vmcnt(8) lgkmcnt(0)
	v_mul_f64 v[199:200], v[2:3], v[12:13]
	v_mul_f64 v[12:13], v[4:5], v[12:13]
	ds_load_b128 v[217:220], v1 offset:1120
	v_fma_f64 v[172:173], v[172:173], v[6:7], v[221:222]
	v_fma_f64 v[170:171], v[170:171], v[6:7], -v[8:9]
	scratch_load_b128 v[6:9], off, off offset:400
	v_add_f64 v[168:169], v[168:169], v[225:226]
	v_add_f64 v[174:175], v[174:175], v[223:224]
	v_fma_f64 v[199:200], v[4:5], v[10:11], v[199:200]
	v_fma_f64 v[223:224], v[2:3], v[10:11], -v[12:13]
	scratch_load_b128 v[10:13], off, off offset:416
	ds_load_b128 v[2:5], v1 offset:1136
	s_waitcnt vmcnt(9) lgkmcnt(1)
	v_mul_f64 v[221:222], v[217:218], v[16:17]
	v_mul_f64 v[16:17], v[219:220], v[16:17]
	v_add_f64 v[225:226], v[168:169], v[170:171]
	v_add_f64 v[172:173], v[174:175], v[172:173]
	s_waitcnt vmcnt(8) lgkmcnt(0)
	v_mul_f64 v[174:175], v[2:3], v[20:21]
	v_mul_f64 v[20:21], v[4:5], v[20:21]
	ds_load_b128 v[168:171], v1 offset:1152
	v_fma_f64 v[219:220], v[219:220], v[14:15], v[221:222]
	v_fma_f64 v[217:218], v[217:218], v[14:15], -v[16:17]
	scratch_load_b128 v[14:17], off, off offset:432
	v_add_f64 v[221:222], v[225:226], v[223:224]
	v_add_f64 v[172:173], v[172:173], v[199:200]
	;; [unrolled: 18-line block ×3, first 2 shown]
	v_fma_f64 v[221:222], v[4:5], v[26:27], v[221:222]
	v_fma_f64 v[223:224], v[2:3], v[26:27], -v[28:29]
	scratch_load_b128 v[26:29], off, off offset:480
	ds_load_b128 v[2:5], v1 offset:1200
	s_waitcnt vmcnt(9) lgkmcnt(1)
	v_mul_f64 v[219:220], v[172:173], v[32:33]
	v_mul_f64 v[32:33], v[174:175], v[32:33]
	s_waitcnt vmcnt(8) lgkmcnt(0)
	v_mul_f64 v[225:226], v[2:3], v[36:37]
	v_mul_f64 v[36:37], v[4:5], v[36:37]
	v_add_f64 v[199:200], v[199:200], v[168:169]
	v_add_f64 v[217:218], v[217:218], v[170:171]
	ds_load_b128 v[168:171], v1 offset:1216
	v_fma_f64 v[174:175], v[174:175], v[30:31], v[219:220]
	v_fma_f64 v[172:173], v[172:173], v[30:31], -v[32:33]
	scratch_load_b128 v[30:33], off, off offset:496
	v_add_f64 v[199:200], v[199:200], v[223:224]
	v_add_f64 v[217:218], v[217:218], v[221:222]
	v_fma_f64 v[221:222], v[4:5], v[34:35], v[225:226]
	v_fma_f64 v[223:224], v[2:3], v[34:35], -v[36:37]
	scratch_load_b128 v[34:37], off, off offset:512
	ds_load_b128 v[2:5], v1 offset:1232
	s_waitcnt vmcnt(9) lgkmcnt(1)
	v_mul_f64 v[219:220], v[168:169], v[166:167]
	v_mul_f64 v[166:167], v[170:171], v[166:167]
	s_waitcnt vmcnt(8) lgkmcnt(0)
	v_mul_f64 v[225:226], v[2:3], v[40:41]
	v_mul_f64 v[40:41], v[4:5], v[40:41]
	v_add_f64 v[199:200], v[199:200], v[172:173]
	v_add_f64 v[217:218], v[217:218], v[174:175]
	ds_load_b128 v[172:175], v1 offset:1248
	v_fma_f64 v[170:171], v[170:171], v[164:165], v[219:220]
	v_fma_f64 v[168:169], v[168:169], v[164:165], -v[166:167]
	scratch_load_b128 v[164:167], off, off offset:528
	v_add_f64 v[199:200], v[199:200], v[223:224]
	v_add_f64 v[217:218], v[217:218], v[221:222]
	;; [unrolled: 18-line block ×6, first 2 shown]
	v_fma_f64 v[223:224], v[4:5], v[34:35], v[225:226]
	v_fma_f64 v[225:226], v[2:3], v[34:35], -v[36:37]
	scratch_load_b128 v[34:37], off, off offset:672
	ds_load_b128 v[2:5], v1 offset:1392
	s_waitcnt vmcnt(9) lgkmcnt(1)
	v_mul_f64 v[219:220], v[172:173], v[166:167]
	v_mul_f64 v[221:222], v[174:175], v[166:167]
	v_add_f64 v[199:200], v[199:200], v[168:169]
	v_add_f64 v[170:171], v[217:218], v[170:171]
	s_waitcnt vmcnt(8) lgkmcnt(0)
	v_mul_f64 v[217:218], v[2:3], v[40:41]
	v_mul_f64 v[40:41], v[4:5], v[40:41]
	ds_load_b128 v[166:169], v1 offset:1408
	v_fma_f64 v[174:175], v[174:175], v[164:165], v[219:220]
	v_fma_f64 v[164:165], v[172:173], v[164:165], -v[221:222]
	v_add_f64 v[199:200], v[199:200], v[225:226]
	v_add_f64 v[219:220], v[170:171], v[223:224]
	scratch_load_b128 v[170:173], off, off offset:688
	v_fma_f64 v[223:224], v[4:5], v[38:39], v[217:218]
	v_fma_f64 v[225:226], v[2:3], v[38:39], -v[40:41]
	scratch_load_b128 v[38:41], off, off offset:704
	ds_load_b128 v[2:5], v1 offset:1424
	s_waitcnt vmcnt(9) lgkmcnt(1)
	v_mul_f64 v[221:222], v[166:167], v[8:9]
	v_mul_f64 v[8:9], v[168:169], v[8:9]
	v_add_f64 v[164:165], v[199:200], v[164:165]
	v_add_f64 v[174:175], v[219:220], v[174:175]
	s_waitcnt vmcnt(8) lgkmcnt(0)
	v_mul_f64 v[199:200], v[2:3], v[12:13]
	v_mul_f64 v[12:13], v[4:5], v[12:13]
	ds_load_b128 v[217:220], v1 offset:1440
	v_fma_f64 v[168:169], v[168:169], v[6:7], v[221:222]
	v_fma_f64 v[166:167], v[166:167], v[6:7], -v[8:9]
	scratch_load_b128 v[6:9], off, off offset:720
	v_add_f64 v[164:165], v[164:165], v[225:226]
	v_add_f64 v[174:175], v[174:175], v[223:224]
	v_fma_f64 v[199:200], v[4:5], v[10:11], v[199:200]
	v_fma_f64 v[223:224], v[2:3], v[10:11], -v[12:13]
	scratch_load_b128 v[10:13], off, off offset:736
	ds_load_b128 v[2:5], v1 offset:1456
	s_waitcnt vmcnt(9) lgkmcnt(1)
	v_mul_f64 v[221:222], v[217:218], v[16:17]
	v_mul_f64 v[16:17], v[219:220], v[16:17]
	v_add_f64 v[225:226], v[164:165], v[166:167]
	v_add_f64 v[168:169], v[174:175], v[168:169]
	s_waitcnt vmcnt(8) lgkmcnt(0)
	v_mul_f64 v[174:175], v[2:3], v[20:21]
	v_mul_f64 v[20:21], v[4:5], v[20:21]
	ds_load_b128 v[164:167], v1 offset:1472
	v_fma_f64 v[219:220], v[219:220], v[14:15], v[221:222]
	v_fma_f64 v[217:218], v[217:218], v[14:15], -v[16:17]
	scratch_load_b128 v[14:17], off, off offset:752
	v_add_f64 v[221:222], v[225:226], v[223:224]
	v_add_f64 v[168:169], v[168:169], v[199:200]
	v_fma_f64 v[174:175], v[4:5], v[18:19], v[174:175]
	v_fma_f64 v[223:224], v[2:3], v[18:19], -v[20:21]
	scratch_load_b128 v[18:21], off, off offset:768
	ds_load_b128 v[2:5], v1 offset:1488
	s_waitcnt vmcnt(9) lgkmcnt(1)
	v_mul_f64 v[199:200], v[164:165], v[24:25]
	v_mul_f64 v[24:25], v[166:167], v[24:25]
	s_waitcnt vmcnt(8) lgkmcnt(0)
	v_mul_f64 v[225:226], v[2:3], v[28:29]
	v_mul_f64 v[28:29], v[4:5], v[28:29]
	v_add_f64 v[221:222], v[221:222], v[217:218]
	v_add_f64 v[168:169], v[168:169], v[219:220]
	ds_load_b128 v[217:220], v1 offset:1504
	v_fma_f64 v[166:167], v[166:167], v[22:23], v[199:200]
	v_fma_f64 v[164:165], v[164:165], v[22:23], -v[24:25]
	scratch_load_b128 v[22:25], off, off offset:784
	v_add_f64 v[199:200], v[221:222], v[223:224]
	v_add_f64 v[168:169], v[168:169], v[174:175]
	v_fma_f64 v[221:222], v[4:5], v[26:27], v[225:226]
	v_fma_f64 v[223:224], v[2:3], v[26:27], -v[28:29]
	scratch_load_b128 v[26:29], off, off offset:800
	ds_load_b128 v[2:5], v1 offset:1520
	s_waitcnt vmcnt(9) lgkmcnt(1)
	v_mul_f64 v[174:175], v[217:218], v[32:33]
	v_mul_f64 v[32:33], v[219:220], v[32:33]
	s_waitcnt vmcnt(8) lgkmcnt(0)
	v_mul_f64 v[225:226], v[2:3], v[36:37]
	v_mul_f64 v[36:37], v[4:5], v[36:37]
	v_add_f64 v[199:200], v[199:200], v[164:165]
	v_add_f64 v[168:169], v[168:169], v[166:167]
	ds_load_b128 v[164:167], v1 offset:1536
	v_fma_f64 v[174:175], v[219:220], v[30:31], v[174:175]
	v_fma_f64 v[217:218], v[217:218], v[30:31], -v[32:33]
	scratch_load_b128 v[30:33], off, off offset:816
	v_add_f64 v[199:200], v[199:200], v[223:224]
	v_add_f64 v[168:169], v[168:169], v[221:222]
	v_fma_f64 v[223:224], v[4:5], v[34:35], v[225:226]
	v_fma_f64 v[225:226], v[2:3], v[34:35], -v[36:37]
	scratch_load_b128 v[34:37], off, off offset:832
	ds_load_b128 v[2:5], v1 offset:1552
	s_waitcnt vmcnt(9) lgkmcnt(1)
	v_mul_f64 v[219:220], v[164:165], v[172:173]
	v_mul_f64 v[221:222], v[166:167], v[172:173]
	v_add_f64 v[199:200], v[199:200], v[217:218]
	v_add_f64 v[168:169], v[168:169], v[174:175]
	s_waitcnt vmcnt(8) lgkmcnt(0)
	v_mul_f64 v[217:218], v[2:3], v[40:41]
	v_mul_f64 v[40:41], v[4:5], v[40:41]
	ds_load_b128 v[172:175], v1 offset:1568
	v_fma_f64 v[166:167], v[166:167], v[170:171], v[219:220]
	v_fma_f64 v[164:165], v[164:165], v[170:171], -v[221:222]
	v_add_f64 v[170:171], v[199:200], v[225:226]
	v_add_f64 v[168:169], v[168:169], v[223:224]
	s_waitcnt vmcnt(7) lgkmcnt(0)
	v_mul_f64 v[199:200], v[172:173], v[8:9]
	v_mul_f64 v[8:9], v[174:175], v[8:9]
	v_fma_f64 v[217:218], v[4:5], v[38:39], v[217:218]
	v_fma_f64 v[219:220], v[2:3], v[38:39], -v[40:41]
	ds_load_b128 v[2:5], v1 offset:1584
	ds_load_b128 v[38:41], v1 offset:1600
	v_add_f64 v[164:165], v[170:171], v[164:165]
	v_add_f64 v[166:167], v[168:169], v[166:167]
	s_waitcnt vmcnt(6) lgkmcnt(1)
	v_mul_f64 v[168:169], v[2:3], v[12:13]
	v_mul_f64 v[12:13], v[4:5], v[12:13]
	v_fma_f64 v[170:171], v[174:175], v[6:7], v[199:200]
	v_fma_f64 v[6:7], v[172:173], v[6:7], -v[8:9]
	v_add_f64 v[8:9], v[164:165], v[219:220]
	v_add_f64 v[164:165], v[166:167], v[217:218]
	s_waitcnt vmcnt(5) lgkmcnt(0)
	v_mul_f64 v[166:167], v[38:39], v[16:17]
	v_mul_f64 v[16:17], v[40:41], v[16:17]
	v_fma_f64 v[168:169], v[4:5], v[10:11], v[168:169]
	v_fma_f64 v[10:11], v[2:3], v[10:11], -v[12:13]
	v_add_f64 v[12:13], v[8:9], v[6:7]
	v_add_f64 v[164:165], v[164:165], v[170:171]
	ds_load_b128 v[2:5], v1 offset:1616
	ds_load_b128 v[6:9], v1 offset:1632
	v_fma_f64 v[40:41], v[40:41], v[14:15], v[166:167]
	v_fma_f64 v[14:15], v[38:39], v[14:15], -v[16:17]
	s_waitcnt vmcnt(4) lgkmcnt(1)
	v_mul_f64 v[170:171], v[2:3], v[20:21]
	v_mul_f64 v[20:21], v[4:5], v[20:21]
	s_waitcnt vmcnt(3) lgkmcnt(0)
	v_mul_f64 v[16:17], v[6:7], v[24:25]
	v_mul_f64 v[24:25], v[8:9], v[24:25]
	v_add_f64 v[10:11], v[12:13], v[10:11]
	v_add_f64 v[12:13], v[164:165], v[168:169]
	v_fma_f64 v[38:39], v[4:5], v[18:19], v[170:171]
	v_fma_f64 v[18:19], v[2:3], v[18:19], -v[20:21]
	v_fma_f64 v[8:9], v[8:9], v[22:23], v[16:17]
	v_fma_f64 v[6:7], v[6:7], v[22:23], -v[24:25]
	v_add_f64 v[14:15], v[10:11], v[14:15]
	v_add_f64 v[20:21], v[12:13], v[40:41]
	ds_load_b128 v[2:5], v1 offset:1648
	ds_load_b128 v[10:13], v1 offset:1664
	s_waitcnt vmcnt(2) lgkmcnt(1)
	v_mul_f64 v[40:41], v[2:3], v[28:29]
	v_mul_f64 v[28:29], v[4:5], v[28:29]
	v_add_f64 v[14:15], v[14:15], v[18:19]
	v_add_f64 v[16:17], v[20:21], v[38:39]
	s_waitcnt vmcnt(1) lgkmcnt(0)
	v_mul_f64 v[18:19], v[10:11], v[32:33]
	v_mul_f64 v[20:21], v[12:13], v[32:33]
	v_fma_f64 v[22:23], v[4:5], v[26:27], v[40:41]
	v_fma_f64 v[24:25], v[2:3], v[26:27], -v[28:29]
	ds_load_b128 v[2:5], v1 offset:1680
	v_add_f64 v[6:7], v[14:15], v[6:7]
	v_add_f64 v[8:9], v[16:17], v[8:9]
	v_fma_f64 v[12:13], v[12:13], v[30:31], v[18:19]
	v_fma_f64 v[10:11], v[10:11], v[30:31], -v[20:21]
	s_waitcnt vmcnt(0) lgkmcnt(0)
	v_mul_f64 v[14:15], v[2:3], v[36:37]
	v_mul_f64 v[16:17], v[4:5], v[36:37]
	v_add_f64 v[6:7], v[6:7], v[24:25]
	v_add_f64 v[8:9], v[8:9], v[22:23]
	s_delay_alu instid0(VALU_DEP_4) | instskip(NEXT) | instid1(VALU_DEP_4)
	v_fma_f64 v[4:5], v[4:5], v[34:35], v[14:15]
	v_fma_f64 v[2:3], v[2:3], v[34:35], -v[16:17]
	s_delay_alu instid0(VALU_DEP_4) | instskip(NEXT) | instid1(VALU_DEP_4)
	v_add_f64 v[6:7], v[6:7], v[10:11]
	v_add_f64 v[8:9], v[8:9], v[12:13]
	s_delay_alu instid0(VALU_DEP_2) | instskip(NEXT) | instid1(VALU_DEP_2)
	v_add_f64 v[2:3], v[6:7], v[2:3]
	v_add_f64 v[4:5], v[8:9], v[4:5]
	s_delay_alu instid0(VALU_DEP_2) | instskip(NEXT) | instid1(VALU_DEP_2)
	v_add_f64 v[2:3], v[42:43], -v[2:3]
	v_add_f64 v[4:5], v[44:45], -v[4:5]
	scratch_store_b128 off, v[2:5], off offset:48
	v_cmpx_lt_u32_e32 2, v152
	s_cbranch_execz .LBB116_327
; %bb.326:
	scratch_load_b128 v[5:8], v203, off
	v_mov_b32_e32 v2, v1
	v_mov_b32_e32 v3, v1
	;; [unrolled: 1-line block ×3, first 2 shown]
	scratch_store_b128 off, v[1:4], off offset:32
	s_waitcnt vmcnt(0)
	ds_store_b128 v205, v[5:8]
.LBB116_327:
	s_or_b32 exec_lo, exec_lo, s2
	s_waitcnt lgkmcnt(0)
	s_waitcnt_vscnt null, 0x0
	s_barrier
	buffer_gl0_inv
	s_clause 0x8
	scratch_load_b128 v[2:5], off, off offset:48
	scratch_load_b128 v[6:9], off, off offset:64
	;; [unrolled: 1-line block ×9, first 2 shown]
	ds_load_b128 v[42:45], v1 offset:896
	ds_load_b128 v[38:41], v1 offset:912
	s_clause 0x1
	scratch_load_b128 v[164:167], off, off offset:32
	scratch_load_b128 v[168:171], off, off offset:192
	s_mov_b32 s2, exec_lo
	s_waitcnt vmcnt(10) lgkmcnt(1)
	v_mul_f64 v[172:173], v[44:45], v[4:5]
	v_mul_f64 v[4:5], v[42:43], v[4:5]
	s_waitcnt vmcnt(9) lgkmcnt(0)
	v_mul_f64 v[199:200], v[38:39], v[8:9]
	v_mul_f64 v[8:9], v[40:41], v[8:9]
	s_delay_alu instid0(VALU_DEP_4) | instskip(NEXT) | instid1(VALU_DEP_4)
	v_fma_f64 v[217:218], v[42:43], v[2:3], -v[172:173]
	v_fma_f64 v[219:220], v[44:45], v[2:3], v[4:5]
	ds_load_b128 v[2:5], v1 offset:928
	ds_load_b128 v[172:175], v1 offset:944
	scratch_load_b128 v[42:45], off, off offset:208
	v_fma_f64 v[40:41], v[40:41], v[6:7], v[199:200]
	v_fma_f64 v[38:39], v[38:39], v[6:7], -v[8:9]
	scratch_load_b128 v[6:9], off, off offset:224
	s_waitcnt vmcnt(10) lgkmcnt(1)
	v_mul_f64 v[221:222], v[2:3], v[12:13]
	v_mul_f64 v[12:13], v[4:5], v[12:13]
	v_add_f64 v[199:200], v[217:218], 0
	v_add_f64 v[217:218], v[219:220], 0
	s_waitcnt vmcnt(9) lgkmcnt(0)
	v_mul_f64 v[219:220], v[172:173], v[16:17]
	v_mul_f64 v[16:17], v[174:175], v[16:17]
	v_fma_f64 v[221:222], v[4:5], v[10:11], v[221:222]
	v_fma_f64 v[223:224], v[2:3], v[10:11], -v[12:13]
	ds_load_b128 v[2:5], v1 offset:960
	scratch_load_b128 v[10:13], off, off offset:240
	v_add_f64 v[199:200], v[199:200], v[38:39]
	v_add_f64 v[217:218], v[217:218], v[40:41]
	ds_load_b128 v[38:41], v1 offset:976
	v_fma_f64 v[174:175], v[174:175], v[14:15], v[219:220]
	v_fma_f64 v[172:173], v[172:173], v[14:15], -v[16:17]
	scratch_load_b128 v[14:17], off, off offset:256
	s_waitcnt vmcnt(10) lgkmcnt(1)
	v_mul_f64 v[225:226], v[2:3], v[20:21]
	v_mul_f64 v[20:21], v[4:5], v[20:21]
	s_waitcnt vmcnt(9) lgkmcnt(0)
	v_mul_f64 v[219:220], v[38:39], v[24:25]
	v_mul_f64 v[24:25], v[40:41], v[24:25]
	v_add_f64 v[199:200], v[199:200], v[223:224]
	v_add_f64 v[217:218], v[217:218], v[221:222]
	v_fma_f64 v[221:222], v[4:5], v[18:19], v[225:226]
	v_fma_f64 v[223:224], v[2:3], v[18:19], -v[20:21]
	ds_load_b128 v[2:5], v1 offset:992
	scratch_load_b128 v[18:21], off, off offset:272
	v_fma_f64 v[40:41], v[40:41], v[22:23], v[219:220]
	v_fma_f64 v[38:39], v[38:39], v[22:23], -v[24:25]
	scratch_load_b128 v[22:25], off, off offset:288
	v_add_f64 v[199:200], v[199:200], v[172:173]
	v_add_f64 v[217:218], v[217:218], v[174:175]
	ds_load_b128 v[172:175], v1 offset:1008
	s_waitcnt vmcnt(10) lgkmcnt(1)
	v_mul_f64 v[225:226], v[2:3], v[28:29]
	v_mul_f64 v[28:29], v[4:5], v[28:29]
	s_waitcnt vmcnt(9) lgkmcnt(0)
	v_mul_f64 v[219:220], v[172:173], v[32:33]
	v_mul_f64 v[32:33], v[174:175], v[32:33]
	v_add_f64 v[199:200], v[199:200], v[223:224]
	v_add_f64 v[217:218], v[217:218], v[221:222]
	v_fma_f64 v[221:222], v[4:5], v[26:27], v[225:226]
	v_fma_f64 v[223:224], v[2:3], v[26:27], -v[28:29]
	ds_load_b128 v[2:5], v1 offset:1024
	scratch_load_b128 v[26:29], off, off offset:304
	v_fma_f64 v[174:175], v[174:175], v[30:31], v[219:220]
	v_fma_f64 v[172:173], v[172:173], v[30:31], -v[32:33]
	scratch_load_b128 v[30:33], off, off offset:320
	v_add_f64 v[199:200], v[199:200], v[38:39]
	v_add_f64 v[217:218], v[217:218], v[40:41]
	ds_load_b128 v[38:41], v1 offset:1040
	s_waitcnt vmcnt(10) lgkmcnt(1)
	v_mul_f64 v[225:226], v[2:3], v[36:37]
	v_mul_f64 v[36:37], v[4:5], v[36:37]
	s_waitcnt vmcnt(8) lgkmcnt(0)
	v_mul_f64 v[219:220], v[38:39], v[170:171]
	v_add_f64 v[199:200], v[199:200], v[223:224]
	v_add_f64 v[217:218], v[217:218], v[221:222]
	v_mul_f64 v[221:222], v[40:41], v[170:171]
	v_fma_f64 v[223:224], v[4:5], v[34:35], v[225:226]
	v_fma_f64 v[225:226], v[2:3], v[34:35], -v[36:37]
	ds_load_b128 v[2:5], v1 offset:1056
	scratch_load_b128 v[34:37], off, off offset:336
	v_fma_f64 v[219:220], v[40:41], v[168:169], v[219:220]
	v_add_f64 v[199:200], v[199:200], v[172:173]
	v_add_f64 v[174:175], v[217:218], v[174:175]
	ds_load_b128 v[170:173], v1 offset:1072
	v_fma_f64 v[168:169], v[38:39], v[168:169], -v[221:222]
	scratch_load_b128 v[38:41], off, off offset:352
	s_waitcnt vmcnt(9) lgkmcnt(1)
	v_mul_f64 v[217:218], v[2:3], v[44:45]
	v_mul_f64 v[44:45], v[4:5], v[44:45]
	s_waitcnt vmcnt(8) lgkmcnt(0)
	v_mul_f64 v[221:222], v[170:171], v[8:9]
	v_mul_f64 v[8:9], v[172:173], v[8:9]
	v_add_f64 v[199:200], v[199:200], v[225:226]
	v_add_f64 v[174:175], v[174:175], v[223:224]
	v_fma_f64 v[223:224], v[4:5], v[42:43], v[217:218]
	v_fma_f64 v[225:226], v[2:3], v[42:43], -v[44:45]
	ds_load_b128 v[2:5], v1 offset:1088
	scratch_load_b128 v[42:45], off, off offset:368
	v_fma_f64 v[172:173], v[172:173], v[6:7], v[221:222]
	v_fma_f64 v[170:171], v[170:171], v[6:7], -v[8:9]
	scratch_load_b128 v[6:9], off, off offset:384
	v_add_f64 v[168:169], v[199:200], v[168:169]
	v_add_f64 v[174:175], v[174:175], v[219:220]
	ds_load_b128 v[217:220], v1 offset:1104
	s_waitcnt vmcnt(9) lgkmcnt(1)
	v_mul_f64 v[199:200], v[2:3], v[12:13]
	v_mul_f64 v[12:13], v[4:5], v[12:13]
	s_waitcnt vmcnt(8) lgkmcnt(0)
	v_mul_f64 v[221:222], v[217:218], v[16:17]
	v_mul_f64 v[16:17], v[219:220], v[16:17]
	v_add_f64 v[168:169], v[168:169], v[225:226]
	v_add_f64 v[174:175], v[174:175], v[223:224]
	v_fma_f64 v[199:200], v[4:5], v[10:11], v[199:200]
	v_fma_f64 v[223:224], v[2:3], v[10:11], -v[12:13]
	ds_load_b128 v[2:5], v1 offset:1120
	scratch_load_b128 v[10:13], off, off offset:400
	v_fma_f64 v[219:220], v[219:220], v[14:15], v[221:222]
	v_fma_f64 v[217:218], v[217:218], v[14:15], -v[16:17]
	scratch_load_b128 v[14:17], off, off offset:416
	v_add_f64 v[225:226], v[168:169], v[170:171]
	v_add_f64 v[172:173], v[174:175], v[172:173]
	ds_load_b128 v[168:171], v1 offset:1136
	s_waitcnt vmcnt(9) lgkmcnt(1)
	v_mul_f64 v[174:175], v[2:3], v[20:21]
	v_mul_f64 v[20:21], v[4:5], v[20:21]
	v_add_f64 v[221:222], v[225:226], v[223:224]
	v_add_f64 v[172:173], v[172:173], v[199:200]
	s_waitcnt vmcnt(8) lgkmcnt(0)
	v_mul_f64 v[199:200], v[168:169], v[24:25]
	v_mul_f64 v[24:25], v[170:171], v[24:25]
	v_fma_f64 v[223:224], v[4:5], v[18:19], v[174:175]
	v_fma_f64 v[225:226], v[2:3], v[18:19], -v[20:21]
	ds_load_b128 v[2:5], v1 offset:1152
	scratch_load_b128 v[18:21], off, off offset:432
	v_add_f64 v[217:218], v[221:222], v[217:218]
	v_add_f64 v[219:220], v[172:173], v[219:220]
	ds_load_b128 v[172:175], v1 offset:1168
	s_waitcnt vmcnt(8) lgkmcnt(1)
	v_mul_f64 v[221:222], v[2:3], v[28:29]
	v_mul_f64 v[28:29], v[4:5], v[28:29]
	v_fma_f64 v[170:171], v[170:171], v[22:23], v[199:200]
	v_fma_f64 v[168:169], v[168:169], v[22:23], -v[24:25]
	scratch_load_b128 v[22:25], off, off offset:448
	v_add_f64 v[199:200], v[217:218], v[225:226]
	v_add_f64 v[217:218], v[219:220], v[223:224]
	s_waitcnt vmcnt(8) lgkmcnt(0)
	v_mul_f64 v[219:220], v[172:173], v[32:33]
	v_mul_f64 v[32:33], v[174:175], v[32:33]
	v_fma_f64 v[221:222], v[4:5], v[26:27], v[221:222]
	v_fma_f64 v[223:224], v[2:3], v[26:27], -v[28:29]
	ds_load_b128 v[2:5], v1 offset:1184
	scratch_load_b128 v[26:29], off, off offset:464
	v_add_f64 v[199:200], v[199:200], v[168:169]
	v_add_f64 v[217:218], v[217:218], v[170:171]
	ds_load_b128 v[168:171], v1 offset:1200
	s_waitcnt vmcnt(8) lgkmcnt(1)
	v_mul_f64 v[225:226], v[2:3], v[36:37]
	v_mul_f64 v[36:37], v[4:5], v[36:37]
	v_fma_f64 v[174:175], v[174:175], v[30:31], v[219:220]
	v_fma_f64 v[172:173], v[172:173], v[30:31], -v[32:33]
	scratch_load_b128 v[30:33], off, off offset:480
	s_waitcnt vmcnt(8) lgkmcnt(0)
	v_mul_f64 v[219:220], v[168:169], v[40:41]
	v_mul_f64 v[40:41], v[170:171], v[40:41]
	v_add_f64 v[199:200], v[199:200], v[223:224]
	v_add_f64 v[217:218], v[217:218], v[221:222]
	v_fma_f64 v[221:222], v[4:5], v[34:35], v[225:226]
	v_fma_f64 v[223:224], v[2:3], v[34:35], -v[36:37]
	ds_load_b128 v[2:5], v1 offset:1216
	scratch_load_b128 v[34:37], off, off offset:496
	v_fma_f64 v[170:171], v[170:171], v[38:39], v[219:220]
	v_fma_f64 v[168:169], v[168:169], v[38:39], -v[40:41]
	scratch_load_b128 v[38:41], off, off offset:512
	v_add_f64 v[199:200], v[199:200], v[172:173]
	v_add_f64 v[217:218], v[217:218], v[174:175]
	ds_load_b128 v[172:175], v1 offset:1232
	s_waitcnt vmcnt(9) lgkmcnt(1)
	v_mul_f64 v[225:226], v[2:3], v[44:45]
	v_mul_f64 v[44:45], v[4:5], v[44:45]
	s_waitcnt vmcnt(8) lgkmcnt(0)
	v_mul_f64 v[219:220], v[172:173], v[8:9]
	v_mul_f64 v[8:9], v[174:175], v[8:9]
	v_add_f64 v[199:200], v[199:200], v[223:224]
	v_add_f64 v[217:218], v[217:218], v[221:222]
	v_fma_f64 v[221:222], v[4:5], v[42:43], v[225:226]
	v_fma_f64 v[223:224], v[2:3], v[42:43], -v[44:45]
	ds_load_b128 v[2:5], v1 offset:1248
	scratch_load_b128 v[42:45], off, off offset:528
	v_fma_f64 v[174:175], v[174:175], v[6:7], v[219:220]
	v_fma_f64 v[172:173], v[172:173], v[6:7], -v[8:9]
	scratch_load_b128 v[6:9], off, off offset:544
	v_add_f64 v[199:200], v[199:200], v[168:169]
	v_add_f64 v[217:218], v[217:218], v[170:171]
	ds_load_b128 v[168:171], v1 offset:1264
	s_waitcnt vmcnt(9) lgkmcnt(1)
	v_mul_f64 v[225:226], v[2:3], v[12:13]
	v_mul_f64 v[12:13], v[4:5], v[12:13]
	;; [unrolled: 18-line block ×11, first 2 shown]
	s_waitcnt vmcnt(8) lgkmcnt(0)
	v_mul_f64 v[219:220], v[172:173], v[8:9]
	v_mul_f64 v[8:9], v[174:175], v[8:9]
	v_add_f64 v[199:200], v[199:200], v[223:224]
	v_add_f64 v[217:218], v[217:218], v[221:222]
	v_fma_f64 v[221:222], v[4:5], v[42:43], v[225:226]
	v_fma_f64 v[223:224], v[2:3], v[42:43], -v[44:45]
	ds_load_b128 v[2:5], v1 offset:1568
	ds_load_b128 v[42:45], v1 offset:1584
	v_fma_f64 v[174:175], v[174:175], v[6:7], v[219:220]
	v_fma_f64 v[6:7], v[172:173], v[6:7], -v[8:9]
	v_add_f64 v[168:169], v[199:200], v[168:169]
	v_add_f64 v[170:171], v[217:218], v[170:171]
	s_waitcnt vmcnt(7) lgkmcnt(1)
	v_mul_f64 v[199:200], v[2:3], v[12:13]
	v_mul_f64 v[12:13], v[4:5], v[12:13]
	s_delay_alu instid0(VALU_DEP_4) | instskip(NEXT) | instid1(VALU_DEP_4)
	v_add_f64 v[8:9], v[168:169], v[223:224]
	v_add_f64 v[168:169], v[170:171], v[221:222]
	s_waitcnt vmcnt(6) lgkmcnt(0)
	v_mul_f64 v[170:171], v[42:43], v[16:17]
	v_mul_f64 v[16:17], v[44:45], v[16:17]
	v_fma_f64 v[172:173], v[4:5], v[10:11], v[199:200]
	v_fma_f64 v[10:11], v[2:3], v[10:11], -v[12:13]
	v_add_f64 v[12:13], v[8:9], v[6:7]
	v_add_f64 v[168:169], v[168:169], v[174:175]
	ds_load_b128 v[2:5], v1 offset:1600
	ds_load_b128 v[6:9], v1 offset:1616
	v_fma_f64 v[44:45], v[44:45], v[14:15], v[170:171]
	v_fma_f64 v[14:15], v[42:43], v[14:15], -v[16:17]
	s_waitcnt vmcnt(5) lgkmcnt(1)
	v_mul_f64 v[174:175], v[2:3], v[20:21]
	v_mul_f64 v[20:21], v[4:5], v[20:21]
	s_waitcnt vmcnt(4) lgkmcnt(0)
	v_mul_f64 v[16:17], v[6:7], v[24:25]
	v_mul_f64 v[24:25], v[8:9], v[24:25]
	v_add_f64 v[10:11], v[12:13], v[10:11]
	v_add_f64 v[12:13], v[168:169], v[172:173]
	v_fma_f64 v[42:43], v[4:5], v[18:19], v[174:175]
	v_fma_f64 v[18:19], v[2:3], v[18:19], -v[20:21]
	v_fma_f64 v[8:9], v[8:9], v[22:23], v[16:17]
	v_fma_f64 v[6:7], v[6:7], v[22:23], -v[24:25]
	v_add_f64 v[14:15], v[10:11], v[14:15]
	v_add_f64 v[20:21], v[12:13], v[44:45]
	ds_load_b128 v[2:5], v1 offset:1632
	ds_load_b128 v[10:13], v1 offset:1648
	s_waitcnt vmcnt(3) lgkmcnt(1)
	v_mul_f64 v[44:45], v[2:3], v[28:29]
	v_mul_f64 v[28:29], v[4:5], v[28:29]
	v_add_f64 v[14:15], v[14:15], v[18:19]
	v_add_f64 v[16:17], v[20:21], v[42:43]
	s_waitcnt vmcnt(2) lgkmcnt(0)
	v_mul_f64 v[18:19], v[10:11], v[32:33]
	v_mul_f64 v[20:21], v[12:13], v[32:33]
	v_fma_f64 v[22:23], v[4:5], v[26:27], v[44:45]
	v_fma_f64 v[24:25], v[2:3], v[26:27], -v[28:29]
	v_add_f64 v[14:15], v[14:15], v[6:7]
	v_add_f64 v[16:17], v[16:17], v[8:9]
	ds_load_b128 v[2:5], v1 offset:1664
	ds_load_b128 v[6:9], v1 offset:1680
	v_fma_f64 v[12:13], v[12:13], v[30:31], v[18:19]
	v_fma_f64 v[10:11], v[10:11], v[30:31], -v[20:21]
	s_waitcnt vmcnt(1) lgkmcnt(1)
	v_mul_f64 v[26:27], v[2:3], v[36:37]
	v_mul_f64 v[28:29], v[4:5], v[36:37]
	s_waitcnt vmcnt(0) lgkmcnt(0)
	v_mul_f64 v[18:19], v[6:7], v[40:41]
	v_mul_f64 v[20:21], v[8:9], v[40:41]
	v_add_f64 v[14:15], v[14:15], v[24:25]
	v_add_f64 v[16:17], v[16:17], v[22:23]
	v_fma_f64 v[4:5], v[4:5], v[34:35], v[26:27]
	v_fma_f64 v[1:2], v[2:3], v[34:35], -v[28:29]
	v_fma_f64 v[8:9], v[8:9], v[38:39], v[18:19]
	v_fma_f64 v[6:7], v[6:7], v[38:39], -v[20:21]
	v_add_f64 v[10:11], v[14:15], v[10:11]
	v_add_f64 v[12:13], v[16:17], v[12:13]
	s_delay_alu instid0(VALU_DEP_2) | instskip(NEXT) | instid1(VALU_DEP_2)
	v_add_f64 v[1:2], v[10:11], v[1:2]
	v_add_f64 v[3:4], v[12:13], v[4:5]
	s_delay_alu instid0(VALU_DEP_2) | instskip(NEXT) | instid1(VALU_DEP_2)
	;; [unrolled: 3-line block ×3, first 2 shown]
	v_add_f64 v[1:2], v[164:165], -v[1:2]
	v_add_f64 v[3:4], v[166:167], -v[3:4]
	scratch_store_b128 off, v[1:4], off offset:32
	v_cmpx_lt_u32_e32 1, v152
	s_cbranch_execz .LBB116_329
; %bb.328:
	scratch_load_b128 v[1:4], v204, off
	v_mov_b32_e32 v5, 0
	s_delay_alu instid0(VALU_DEP_1)
	v_mov_b32_e32 v6, v5
	v_mov_b32_e32 v7, v5
	;; [unrolled: 1-line block ×3, first 2 shown]
	scratch_store_b128 off, v[5:8], off offset:16
	s_waitcnt vmcnt(0)
	ds_store_b128 v205, v[1:4]
.LBB116_329:
	s_or_b32 exec_lo, exec_lo, s2
	s_waitcnt lgkmcnt(0)
	s_waitcnt_vscnt null, 0x0
	s_barrier
	buffer_gl0_inv
	s_clause 0x7
	scratch_load_b128 v[2:5], off, off offset:32
	scratch_load_b128 v[6:9], off, off offset:48
	;; [unrolled: 1-line block ×8, first 2 shown]
	v_mov_b32_e32 v1, 0
	s_mov_b32 s2, exec_lo
	ds_load_b128 v[38:41], v1 offset:880
	s_clause 0x1
	scratch_load_b128 v[34:37], off, off offset:160
	scratch_load_b128 v[42:45], off, off offset:16
	ds_load_b128 v[164:167], v1 offset:896
	scratch_load_b128 v[168:171], off, off offset:176
	s_waitcnt vmcnt(10) lgkmcnt(1)
	v_mul_f64 v[172:173], v[40:41], v[4:5]
	v_mul_f64 v[4:5], v[38:39], v[4:5]
	s_delay_alu instid0(VALU_DEP_2) | instskip(NEXT) | instid1(VALU_DEP_2)
	v_fma_f64 v[217:218], v[38:39], v[2:3], -v[172:173]
	v_fma_f64 v[219:220], v[40:41], v[2:3], v[4:5]
	scratch_load_b128 v[38:41], off, off offset:192
	ds_load_b128 v[2:5], v1 offset:912
	s_waitcnt vmcnt(10) lgkmcnt(1)
	v_mul_f64 v[199:200], v[164:165], v[8:9]
	v_mul_f64 v[8:9], v[166:167], v[8:9]
	ds_load_b128 v[172:175], v1 offset:928
	s_waitcnt vmcnt(9) lgkmcnt(1)
	v_mul_f64 v[221:222], v[2:3], v[12:13]
	v_mul_f64 v[12:13], v[4:5], v[12:13]
	v_fma_f64 v[166:167], v[166:167], v[6:7], v[199:200]
	v_fma_f64 v[164:165], v[164:165], v[6:7], -v[8:9]
	v_add_f64 v[199:200], v[217:218], 0
	v_add_f64 v[217:218], v[219:220], 0
	scratch_load_b128 v[6:9], off, off offset:208
	v_fma_f64 v[221:222], v[4:5], v[10:11], v[221:222]
	v_fma_f64 v[223:224], v[2:3], v[10:11], -v[12:13]
	scratch_load_b128 v[10:13], off, off offset:224
	ds_load_b128 v[2:5], v1 offset:944
	s_waitcnt vmcnt(10) lgkmcnt(1)
	v_mul_f64 v[219:220], v[172:173], v[16:17]
	v_mul_f64 v[16:17], v[174:175], v[16:17]
	v_add_f64 v[199:200], v[199:200], v[164:165]
	v_add_f64 v[217:218], v[217:218], v[166:167]
	s_waitcnt vmcnt(9) lgkmcnt(0)
	v_mul_f64 v[225:226], v[2:3], v[20:21]
	v_mul_f64 v[20:21], v[4:5], v[20:21]
	ds_load_b128 v[164:167], v1 offset:960
	v_fma_f64 v[174:175], v[174:175], v[14:15], v[219:220]
	v_fma_f64 v[172:173], v[172:173], v[14:15], -v[16:17]
	scratch_load_b128 v[14:17], off, off offset:240
	v_add_f64 v[199:200], v[199:200], v[223:224]
	v_add_f64 v[217:218], v[217:218], v[221:222]
	v_fma_f64 v[221:222], v[4:5], v[18:19], v[225:226]
	v_fma_f64 v[223:224], v[2:3], v[18:19], -v[20:21]
	scratch_load_b128 v[18:21], off, off offset:256
	ds_load_b128 v[2:5], v1 offset:976
	s_waitcnt vmcnt(10) lgkmcnt(1)
	v_mul_f64 v[219:220], v[164:165], v[24:25]
	v_mul_f64 v[24:25], v[166:167], v[24:25]
	s_waitcnt vmcnt(9) lgkmcnt(0)
	v_mul_f64 v[225:226], v[2:3], v[28:29]
	v_mul_f64 v[28:29], v[4:5], v[28:29]
	v_add_f64 v[199:200], v[199:200], v[172:173]
	v_add_f64 v[217:218], v[217:218], v[174:175]
	ds_load_b128 v[172:175], v1 offset:992
	v_fma_f64 v[166:167], v[166:167], v[22:23], v[219:220]
	v_fma_f64 v[164:165], v[164:165], v[22:23], -v[24:25]
	scratch_load_b128 v[22:25], off, off offset:272
	v_add_f64 v[199:200], v[199:200], v[223:224]
	v_add_f64 v[217:218], v[217:218], v[221:222]
	v_fma_f64 v[221:222], v[4:5], v[26:27], v[225:226]
	v_fma_f64 v[223:224], v[2:3], v[26:27], -v[28:29]
	scratch_load_b128 v[26:29], off, off offset:288
	ds_load_b128 v[2:5], v1 offset:1008
	s_waitcnt vmcnt(10) lgkmcnt(1)
	v_mul_f64 v[219:220], v[172:173], v[32:33]
	v_mul_f64 v[32:33], v[174:175], v[32:33]
	s_waitcnt vmcnt(9) lgkmcnt(0)
	v_mul_f64 v[225:226], v[2:3], v[36:37]
	v_mul_f64 v[36:37], v[4:5], v[36:37]
	v_add_f64 v[199:200], v[199:200], v[164:165]
	v_add_f64 v[217:218], v[217:218], v[166:167]
	ds_load_b128 v[164:167], v1 offset:1024
	v_fma_f64 v[174:175], v[174:175], v[30:31], v[219:220]
	v_fma_f64 v[172:173], v[172:173], v[30:31], -v[32:33]
	scratch_load_b128 v[30:33], off, off offset:304
	v_add_f64 v[199:200], v[199:200], v[223:224]
	v_add_f64 v[217:218], v[217:218], v[221:222]
	v_fma_f64 v[223:224], v[4:5], v[34:35], v[225:226]
	v_fma_f64 v[225:226], v[2:3], v[34:35], -v[36:37]
	scratch_load_b128 v[34:37], off, off offset:320
	ds_load_b128 v[2:5], v1 offset:1040
	s_waitcnt vmcnt(9) lgkmcnt(1)
	v_mul_f64 v[219:220], v[164:165], v[170:171]
	v_mul_f64 v[221:222], v[166:167], v[170:171]
	v_add_f64 v[199:200], v[199:200], v[172:173]
	v_add_f64 v[174:175], v[217:218], v[174:175]
	ds_load_b128 v[170:173], v1 offset:1056
	v_fma_f64 v[219:220], v[166:167], v[168:169], v[219:220]
	v_fma_f64 v[168:169], v[164:165], v[168:169], -v[221:222]
	scratch_load_b128 v[164:167], off, off offset:336
	s_waitcnt vmcnt(9) lgkmcnt(1)
	v_mul_f64 v[217:218], v[2:3], v[40:41]
	v_mul_f64 v[40:41], v[4:5], v[40:41]
	v_add_f64 v[199:200], v[199:200], v[225:226]
	v_add_f64 v[174:175], v[174:175], v[223:224]
	s_delay_alu instid0(VALU_DEP_4) | instskip(NEXT) | instid1(VALU_DEP_4)
	v_fma_f64 v[223:224], v[4:5], v[38:39], v[217:218]
	v_fma_f64 v[225:226], v[2:3], v[38:39], -v[40:41]
	scratch_load_b128 v[38:41], off, off offset:352
	ds_load_b128 v[2:5], v1 offset:1072
	s_waitcnt vmcnt(9) lgkmcnt(1)
	v_mul_f64 v[221:222], v[170:171], v[8:9]
	v_mul_f64 v[8:9], v[172:173], v[8:9]
	v_add_f64 v[168:169], v[199:200], v[168:169]
	v_add_f64 v[174:175], v[174:175], v[219:220]
	s_waitcnt vmcnt(8) lgkmcnt(0)
	v_mul_f64 v[199:200], v[2:3], v[12:13]
	v_mul_f64 v[12:13], v[4:5], v[12:13]
	ds_load_b128 v[217:220], v1 offset:1088
	v_fma_f64 v[172:173], v[172:173], v[6:7], v[221:222]
	v_fma_f64 v[170:171], v[170:171], v[6:7], -v[8:9]
	scratch_load_b128 v[6:9], off, off offset:368
	v_add_f64 v[168:169], v[168:169], v[225:226]
	v_add_f64 v[174:175], v[174:175], v[223:224]
	v_fma_f64 v[199:200], v[4:5], v[10:11], v[199:200]
	v_fma_f64 v[223:224], v[2:3], v[10:11], -v[12:13]
	scratch_load_b128 v[10:13], off, off offset:384
	ds_load_b128 v[2:5], v1 offset:1104
	s_waitcnt vmcnt(9) lgkmcnt(1)
	v_mul_f64 v[221:222], v[217:218], v[16:17]
	v_mul_f64 v[16:17], v[219:220], v[16:17]
	v_add_f64 v[225:226], v[168:169], v[170:171]
	v_add_f64 v[172:173], v[174:175], v[172:173]
	s_waitcnt vmcnt(8) lgkmcnt(0)
	v_mul_f64 v[174:175], v[2:3], v[20:21]
	v_mul_f64 v[20:21], v[4:5], v[20:21]
	ds_load_b128 v[168:171], v1 offset:1120
	v_fma_f64 v[219:220], v[219:220], v[14:15], v[221:222]
	v_fma_f64 v[217:218], v[217:218], v[14:15], -v[16:17]
	scratch_load_b128 v[14:17], off, off offset:400
	v_add_f64 v[221:222], v[225:226], v[223:224]
	v_add_f64 v[172:173], v[172:173], v[199:200]
	;; [unrolled: 18-line block ×3, first 2 shown]
	v_fma_f64 v[221:222], v[4:5], v[26:27], v[221:222]
	v_fma_f64 v[223:224], v[2:3], v[26:27], -v[28:29]
	scratch_load_b128 v[26:29], off, off offset:448
	ds_load_b128 v[2:5], v1 offset:1168
	s_waitcnt vmcnt(9) lgkmcnt(1)
	v_mul_f64 v[219:220], v[172:173], v[32:33]
	v_mul_f64 v[32:33], v[174:175], v[32:33]
	s_waitcnt vmcnt(8) lgkmcnt(0)
	v_mul_f64 v[225:226], v[2:3], v[36:37]
	v_mul_f64 v[36:37], v[4:5], v[36:37]
	v_add_f64 v[199:200], v[199:200], v[168:169]
	v_add_f64 v[217:218], v[217:218], v[170:171]
	ds_load_b128 v[168:171], v1 offset:1184
	v_fma_f64 v[174:175], v[174:175], v[30:31], v[219:220]
	v_fma_f64 v[172:173], v[172:173], v[30:31], -v[32:33]
	scratch_load_b128 v[30:33], off, off offset:464
	v_add_f64 v[199:200], v[199:200], v[223:224]
	v_add_f64 v[217:218], v[217:218], v[221:222]
	v_fma_f64 v[221:222], v[4:5], v[34:35], v[225:226]
	v_fma_f64 v[223:224], v[2:3], v[34:35], -v[36:37]
	scratch_load_b128 v[34:37], off, off offset:480
	ds_load_b128 v[2:5], v1 offset:1200
	s_waitcnt vmcnt(9) lgkmcnt(1)
	v_mul_f64 v[219:220], v[168:169], v[166:167]
	v_mul_f64 v[166:167], v[170:171], v[166:167]
	s_waitcnt vmcnt(8) lgkmcnt(0)
	v_mul_f64 v[225:226], v[2:3], v[40:41]
	v_mul_f64 v[40:41], v[4:5], v[40:41]
	v_add_f64 v[199:200], v[199:200], v[172:173]
	v_add_f64 v[217:218], v[217:218], v[174:175]
	ds_load_b128 v[172:175], v1 offset:1216
	v_fma_f64 v[170:171], v[170:171], v[164:165], v[219:220]
	v_fma_f64 v[168:169], v[168:169], v[164:165], -v[166:167]
	scratch_load_b128 v[164:167], off, off offset:496
	v_add_f64 v[199:200], v[199:200], v[223:224]
	v_add_f64 v[217:218], v[217:218], v[221:222]
	;; [unrolled: 18-line block ×6, first 2 shown]
	v_fma_f64 v[223:224], v[4:5], v[34:35], v[225:226]
	v_fma_f64 v[225:226], v[2:3], v[34:35], -v[36:37]
	scratch_load_b128 v[34:37], off, off offset:640
	ds_load_b128 v[2:5], v1 offset:1360
	s_waitcnt vmcnt(9) lgkmcnt(1)
	v_mul_f64 v[219:220], v[172:173], v[166:167]
	v_mul_f64 v[221:222], v[174:175], v[166:167]
	v_add_f64 v[199:200], v[199:200], v[168:169]
	v_add_f64 v[170:171], v[217:218], v[170:171]
	s_waitcnt vmcnt(8) lgkmcnt(0)
	v_mul_f64 v[217:218], v[2:3], v[40:41]
	v_mul_f64 v[40:41], v[4:5], v[40:41]
	ds_load_b128 v[166:169], v1 offset:1376
	v_fma_f64 v[174:175], v[174:175], v[164:165], v[219:220]
	v_fma_f64 v[164:165], v[172:173], v[164:165], -v[221:222]
	v_add_f64 v[199:200], v[199:200], v[225:226]
	v_add_f64 v[219:220], v[170:171], v[223:224]
	scratch_load_b128 v[170:173], off, off offset:656
	v_fma_f64 v[223:224], v[4:5], v[38:39], v[217:218]
	v_fma_f64 v[225:226], v[2:3], v[38:39], -v[40:41]
	scratch_load_b128 v[38:41], off, off offset:672
	ds_load_b128 v[2:5], v1 offset:1392
	s_waitcnt vmcnt(9) lgkmcnt(1)
	v_mul_f64 v[221:222], v[166:167], v[8:9]
	v_mul_f64 v[8:9], v[168:169], v[8:9]
	v_add_f64 v[164:165], v[199:200], v[164:165]
	v_add_f64 v[174:175], v[219:220], v[174:175]
	s_waitcnt vmcnt(8) lgkmcnt(0)
	v_mul_f64 v[199:200], v[2:3], v[12:13]
	v_mul_f64 v[12:13], v[4:5], v[12:13]
	ds_load_b128 v[217:220], v1 offset:1408
	v_fma_f64 v[168:169], v[168:169], v[6:7], v[221:222]
	v_fma_f64 v[166:167], v[166:167], v[6:7], -v[8:9]
	scratch_load_b128 v[6:9], off, off offset:688
	v_add_f64 v[164:165], v[164:165], v[225:226]
	v_add_f64 v[174:175], v[174:175], v[223:224]
	v_fma_f64 v[199:200], v[4:5], v[10:11], v[199:200]
	v_fma_f64 v[223:224], v[2:3], v[10:11], -v[12:13]
	scratch_load_b128 v[10:13], off, off offset:704
	ds_load_b128 v[2:5], v1 offset:1424
	s_waitcnt vmcnt(9) lgkmcnt(1)
	v_mul_f64 v[221:222], v[217:218], v[16:17]
	v_mul_f64 v[16:17], v[219:220], v[16:17]
	v_add_f64 v[225:226], v[164:165], v[166:167]
	v_add_f64 v[168:169], v[174:175], v[168:169]
	s_waitcnt vmcnt(8) lgkmcnt(0)
	v_mul_f64 v[174:175], v[2:3], v[20:21]
	v_mul_f64 v[20:21], v[4:5], v[20:21]
	ds_load_b128 v[164:167], v1 offset:1440
	v_fma_f64 v[219:220], v[219:220], v[14:15], v[221:222]
	v_fma_f64 v[217:218], v[217:218], v[14:15], -v[16:17]
	scratch_load_b128 v[14:17], off, off offset:720
	v_add_f64 v[221:222], v[225:226], v[223:224]
	v_add_f64 v[168:169], v[168:169], v[199:200]
	v_fma_f64 v[174:175], v[4:5], v[18:19], v[174:175]
	v_fma_f64 v[223:224], v[2:3], v[18:19], -v[20:21]
	scratch_load_b128 v[18:21], off, off offset:736
	ds_load_b128 v[2:5], v1 offset:1456
	s_waitcnt vmcnt(9) lgkmcnt(1)
	v_mul_f64 v[199:200], v[164:165], v[24:25]
	v_mul_f64 v[24:25], v[166:167], v[24:25]
	s_waitcnt vmcnt(8) lgkmcnt(0)
	v_mul_f64 v[225:226], v[2:3], v[28:29]
	v_mul_f64 v[28:29], v[4:5], v[28:29]
	v_add_f64 v[221:222], v[221:222], v[217:218]
	v_add_f64 v[168:169], v[168:169], v[219:220]
	ds_load_b128 v[217:220], v1 offset:1472
	v_fma_f64 v[166:167], v[166:167], v[22:23], v[199:200]
	v_fma_f64 v[164:165], v[164:165], v[22:23], -v[24:25]
	scratch_load_b128 v[22:25], off, off offset:752
	v_add_f64 v[199:200], v[221:222], v[223:224]
	v_add_f64 v[168:169], v[168:169], v[174:175]
	v_fma_f64 v[221:222], v[4:5], v[26:27], v[225:226]
	v_fma_f64 v[223:224], v[2:3], v[26:27], -v[28:29]
	scratch_load_b128 v[26:29], off, off offset:768
	ds_load_b128 v[2:5], v1 offset:1488
	s_waitcnt vmcnt(9) lgkmcnt(1)
	v_mul_f64 v[174:175], v[217:218], v[32:33]
	v_mul_f64 v[32:33], v[219:220], v[32:33]
	s_waitcnt vmcnt(8) lgkmcnt(0)
	v_mul_f64 v[225:226], v[2:3], v[36:37]
	v_mul_f64 v[36:37], v[4:5], v[36:37]
	v_add_f64 v[199:200], v[199:200], v[164:165]
	v_add_f64 v[168:169], v[168:169], v[166:167]
	ds_load_b128 v[164:167], v1 offset:1504
	v_fma_f64 v[174:175], v[219:220], v[30:31], v[174:175]
	v_fma_f64 v[217:218], v[217:218], v[30:31], -v[32:33]
	scratch_load_b128 v[30:33], off, off offset:784
	v_add_f64 v[199:200], v[199:200], v[223:224]
	v_add_f64 v[168:169], v[168:169], v[221:222]
	v_fma_f64 v[223:224], v[4:5], v[34:35], v[225:226]
	v_fma_f64 v[225:226], v[2:3], v[34:35], -v[36:37]
	scratch_load_b128 v[34:37], off, off offset:800
	ds_load_b128 v[2:5], v1 offset:1520
	s_waitcnt vmcnt(9) lgkmcnt(1)
	v_mul_f64 v[219:220], v[164:165], v[172:173]
	v_mul_f64 v[221:222], v[166:167], v[172:173]
	v_add_f64 v[199:200], v[199:200], v[217:218]
	v_add_f64 v[168:169], v[168:169], v[174:175]
	s_waitcnt vmcnt(8) lgkmcnt(0)
	v_mul_f64 v[217:218], v[2:3], v[40:41]
	v_mul_f64 v[40:41], v[4:5], v[40:41]
	ds_load_b128 v[172:175], v1 offset:1536
	v_fma_f64 v[219:220], v[166:167], v[170:171], v[219:220]
	v_fma_f64 v[170:171], v[164:165], v[170:171], -v[221:222]
	scratch_load_b128 v[164:167], off, off offset:816
	v_add_f64 v[199:200], v[199:200], v[225:226]
	v_add_f64 v[168:169], v[168:169], v[223:224]
	v_fma_f64 v[217:218], v[4:5], v[38:39], v[217:218]
	v_fma_f64 v[223:224], v[2:3], v[38:39], -v[40:41]
	scratch_load_b128 v[38:41], off, off offset:832
	ds_load_b128 v[2:5], v1 offset:1552
	s_waitcnt vmcnt(9) lgkmcnt(1)
	v_mul_f64 v[221:222], v[172:173], v[8:9]
	v_mul_f64 v[8:9], v[174:175], v[8:9]
	s_waitcnt vmcnt(8) lgkmcnt(0)
	v_mul_f64 v[225:226], v[2:3], v[12:13]
	v_mul_f64 v[12:13], v[4:5], v[12:13]
	v_add_f64 v[199:200], v[199:200], v[170:171]
	v_add_f64 v[219:220], v[168:169], v[219:220]
	ds_load_b128 v[168:171], v1 offset:1568
	v_fma_f64 v[174:175], v[174:175], v[6:7], v[221:222]
	v_fma_f64 v[6:7], v[172:173], v[6:7], -v[8:9]
	v_add_f64 v[8:9], v[199:200], v[223:224]
	v_add_f64 v[172:173], v[219:220], v[217:218]
	s_waitcnt vmcnt(7) lgkmcnt(0)
	v_mul_f64 v[199:200], v[168:169], v[16:17]
	v_mul_f64 v[16:17], v[170:171], v[16:17]
	v_fma_f64 v[217:218], v[4:5], v[10:11], v[225:226]
	v_fma_f64 v[10:11], v[2:3], v[10:11], -v[12:13]
	v_add_f64 v[12:13], v[8:9], v[6:7]
	v_add_f64 v[172:173], v[172:173], v[174:175]
	ds_load_b128 v[2:5], v1 offset:1584
	ds_load_b128 v[6:9], v1 offset:1600
	v_fma_f64 v[170:171], v[170:171], v[14:15], v[199:200]
	v_fma_f64 v[14:15], v[168:169], v[14:15], -v[16:17]
	s_waitcnt vmcnt(6) lgkmcnt(1)
	v_mul_f64 v[174:175], v[2:3], v[20:21]
	v_mul_f64 v[20:21], v[4:5], v[20:21]
	s_waitcnt vmcnt(5) lgkmcnt(0)
	v_mul_f64 v[16:17], v[6:7], v[24:25]
	v_mul_f64 v[24:25], v[8:9], v[24:25]
	v_add_f64 v[10:11], v[12:13], v[10:11]
	v_add_f64 v[12:13], v[172:173], v[217:218]
	v_fma_f64 v[168:169], v[4:5], v[18:19], v[174:175]
	v_fma_f64 v[18:19], v[2:3], v[18:19], -v[20:21]
	v_fma_f64 v[8:9], v[8:9], v[22:23], v[16:17]
	v_fma_f64 v[6:7], v[6:7], v[22:23], -v[24:25]
	v_add_f64 v[14:15], v[10:11], v[14:15]
	v_add_f64 v[20:21], v[12:13], v[170:171]
	ds_load_b128 v[2:5], v1 offset:1616
	ds_load_b128 v[10:13], v1 offset:1632
	s_waitcnt vmcnt(4) lgkmcnt(1)
	v_mul_f64 v[170:171], v[2:3], v[28:29]
	v_mul_f64 v[28:29], v[4:5], v[28:29]
	v_add_f64 v[14:15], v[14:15], v[18:19]
	v_add_f64 v[16:17], v[20:21], v[168:169]
	s_waitcnt vmcnt(3) lgkmcnt(0)
	v_mul_f64 v[18:19], v[10:11], v[32:33]
	v_mul_f64 v[20:21], v[12:13], v[32:33]
	v_fma_f64 v[22:23], v[4:5], v[26:27], v[170:171]
	v_fma_f64 v[24:25], v[2:3], v[26:27], -v[28:29]
	v_add_f64 v[14:15], v[14:15], v[6:7]
	v_add_f64 v[16:17], v[16:17], v[8:9]
	ds_load_b128 v[2:5], v1 offset:1648
	ds_load_b128 v[6:9], v1 offset:1664
	v_fma_f64 v[12:13], v[12:13], v[30:31], v[18:19]
	v_fma_f64 v[10:11], v[10:11], v[30:31], -v[20:21]
	s_waitcnt vmcnt(2) lgkmcnt(1)
	v_mul_f64 v[26:27], v[2:3], v[36:37]
	v_mul_f64 v[28:29], v[4:5], v[36:37]
	s_waitcnt vmcnt(1) lgkmcnt(0)
	v_mul_f64 v[18:19], v[6:7], v[166:167]
	v_mul_f64 v[20:21], v[8:9], v[166:167]
	v_add_f64 v[14:15], v[14:15], v[24:25]
	v_add_f64 v[16:17], v[16:17], v[22:23]
	v_fma_f64 v[22:23], v[4:5], v[34:35], v[26:27]
	v_fma_f64 v[24:25], v[2:3], v[34:35], -v[28:29]
	ds_load_b128 v[2:5], v1 offset:1680
	v_fma_f64 v[8:9], v[8:9], v[164:165], v[18:19]
	v_fma_f64 v[6:7], v[6:7], v[164:165], -v[20:21]
	v_add_f64 v[10:11], v[14:15], v[10:11]
	v_add_f64 v[12:13], v[16:17], v[12:13]
	s_waitcnt vmcnt(0) lgkmcnt(0)
	v_mul_f64 v[14:15], v[2:3], v[40:41]
	v_mul_f64 v[16:17], v[4:5], v[40:41]
	s_delay_alu instid0(VALU_DEP_4) | instskip(NEXT) | instid1(VALU_DEP_4)
	v_add_f64 v[10:11], v[10:11], v[24:25]
	v_add_f64 v[12:13], v[12:13], v[22:23]
	s_delay_alu instid0(VALU_DEP_4) | instskip(NEXT) | instid1(VALU_DEP_4)
	v_fma_f64 v[4:5], v[4:5], v[38:39], v[14:15]
	v_fma_f64 v[2:3], v[2:3], v[38:39], -v[16:17]
	s_delay_alu instid0(VALU_DEP_4) | instskip(NEXT) | instid1(VALU_DEP_4)
	v_add_f64 v[6:7], v[10:11], v[6:7]
	v_add_f64 v[8:9], v[12:13], v[8:9]
	s_delay_alu instid0(VALU_DEP_2) | instskip(NEXT) | instid1(VALU_DEP_2)
	v_add_f64 v[2:3], v[6:7], v[2:3]
	v_add_f64 v[4:5], v[8:9], v[4:5]
	s_delay_alu instid0(VALU_DEP_2) | instskip(NEXT) | instid1(VALU_DEP_2)
	v_add_f64 v[2:3], v[42:43], -v[2:3]
	v_add_f64 v[4:5], v[44:45], -v[4:5]
	scratch_store_b128 off, v[2:5], off offset:16
	v_cmpx_ne_u32_e32 0, v152
	s_cbranch_execz .LBB116_331
; %bb.330:
	scratch_load_b128 v[5:8], off, off
	v_mov_b32_e32 v2, v1
	v_mov_b32_e32 v3, v1
	;; [unrolled: 1-line block ×3, first 2 shown]
	scratch_store_b128 off, v[1:4], off
	s_waitcnt vmcnt(0)
	ds_store_b128 v205, v[5:8]
.LBB116_331:
	s_or_b32 exec_lo, exec_lo, s2
	s_waitcnt lgkmcnt(0)
	s_waitcnt_vscnt null, 0x0
	s_barrier
	buffer_gl0_inv
	s_clause 0x8
	scratch_load_b128 v[2:5], off, off offset:16
	scratch_load_b128 v[6:9], off, off offset:32
	;; [unrolled: 1-line block ×9, first 2 shown]
	ds_load_b128 v[42:45], v1 offset:864
	ds_load_b128 v[38:41], v1 offset:880
	s_clause 0x1
	scratch_load_b128 v[164:167], off, off
	scratch_load_b128 v[168:171], off, off offset:160
	s_and_b32 vcc_lo, exec_lo, s14
	s_waitcnt vmcnt(10) lgkmcnt(1)
	v_mul_f64 v[172:173], v[44:45], v[4:5]
	v_mul_f64 v[4:5], v[42:43], v[4:5]
	s_waitcnt vmcnt(9) lgkmcnt(0)
	v_mul_f64 v[199:200], v[38:39], v[8:9]
	v_mul_f64 v[8:9], v[40:41], v[8:9]
	s_delay_alu instid0(VALU_DEP_4) | instskip(NEXT) | instid1(VALU_DEP_4)
	v_fma_f64 v[217:218], v[42:43], v[2:3], -v[172:173]
	v_fma_f64 v[219:220], v[44:45], v[2:3], v[4:5]
	ds_load_b128 v[2:5], v1 offset:896
	ds_load_b128 v[172:175], v1 offset:912
	scratch_load_b128 v[42:45], off, off offset:176
	v_fma_f64 v[40:41], v[40:41], v[6:7], v[199:200]
	v_fma_f64 v[38:39], v[38:39], v[6:7], -v[8:9]
	scratch_load_b128 v[6:9], off, off offset:192
	s_waitcnt vmcnt(10) lgkmcnt(1)
	v_mul_f64 v[221:222], v[2:3], v[12:13]
	v_mul_f64 v[12:13], v[4:5], v[12:13]
	v_add_f64 v[199:200], v[217:218], 0
	v_add_f64 v[217:218], v[219:220], 0
	s_waitcnt vmcnt(9) lgkmcnt(0)
	v_mul_f64 v[219:220], v[172:173], v[16:17]
	v_mul_f64 v[16:17], v[174:175], v[16:17]
	v_fma_f64 v[221:222], v[4:5], v[10:11], v[221:222]
	v_fma_f64 v[223:224], v[2:3], v[10:11], -v[12:13]
	ds_load_b128 v[2:5], v1 offset:928
	scratch_load_b128 v[10:13], off, off offset:208
	v_add_f64 v[199:200], v[199:200], v[38:39]
	v_add_f64 v[217:218], v[217:218], v[40:41]
	ds_load_b128 v[38:41], v1 offset:944
	v_fma_f64 v[174:175], v[174:175], v[14:15], v[219:220]
	v_fma_f64 v[172:173], v[172:173], v[14:15], -v[16:17]
	scratch_load_b128 v[14:17], off, off offset:224
	s_waitcnt vmcnt(10) lgkmcnt(1)
	v_mul_f64 v[225:226], v[2:3], v[20:21]
	v_mul_f64 v[20:21], v[4:5], v[20:21]
	s_waitcnt vmcnt(9) lgkmcnt(0)
	v_mul_f64 v[219:220], v[38:39], v[24:25]
	v_mul_f64 v[24:25], v[40:41], v[24:25]
	v_add_f64 v[199:200], v[199:200], v[223:224]
	v_add_f64 v[217:218], v[217:218], v[221:222]
	v_fma_f64 v[221:222], v[4:5], v[18:19], v[225:226]
	v_fma_f64 v[223:224], v[2:3], v[18:19], -v[20:21]
	ds_load_b128 v[2:5], v1 offset:960
	scratch_load_b128 v[18:21], off, off offset:240
	v_fma_f64 v[40:41], v[40:41], v[22:23], v[219:220]
	v_fma_f64 v[38:39], v[38:39], v[22:23], -v[24:25]
	scratch_load_b128 v[22:25], off, off offset:256
	v_add_f64 v[199:200], v[199:200], v[172:173]
	v_add_f64 v[217:218], v[217:218], v[174:175]
	ds_load_b128 v[172:175], v1 offset:976
	s_waitcnt vmcnt(10) lgkmcnt(1)
	v_mul_f64 v[225:226], v[2:3], v[28:29]
	v_mul_f64 v[28:29], v[4:5], v[28:29]
	s_waitcnt vmcnt(9) lgkmcnt(0)
	v_mul_f64 v[219:220], v[172:173], v[32:33]
	v_mul_f64 v[32:33], v[174:175], v[32:33]
	v_add_f64 v[199:200], v[199:200], v[223:224]
	v_add_f64 v[217:218], v[217:218], v[221:222]
	v_fma_f64 v[221:222], v[4:5], v[26:27], v[225:226]
	v_fma_f64 v[223:224], v[2:3], v[26:27], -v[28:29]
	ds_load_b128 v[2:5], v1 offset:992
	scratch_load_b128 v[26:29], off, off offset:272
	v_fma_f64 v[174:175], v[174:175], v[30:31], v[219:220]
	v_fma_f64 v[172:173], v[172:173], v[30:31], -v[32:33]
	scratch_load_b128 v[30:33], off, off offset:288
	v_add_f64 v[199:200], v[199:200], v[38:39]
	v_add_f64 v[217:218], v[217:218], v[40:41]
	ds_load_b128 v[38:41], v1 offset:1008
	s_waitcnt vmcnt(10) lgkmcnt(1)
	v_mul_f64 v[225:226], v[2:3], v[36:37]
	v_mul_f64 v[36:37], v[4:5], v[36:37]
	s_waitcnt vmcnt(8) lgkmcnt(0)
	v_mul_f64 v[219:220], v[38:39], v[170:171]
	v_add_f64 v[199:200], v[199:200], v[223:224]
	v_add_f64 v[217:218], v[217:218], v[221:222]
	v_mul_f64 v[221:222], v[40:41], v[170:171]
	v_fma_f64 v[223:224], v[4:5], v[34:35], v[225:226]
	v_fma_f64 v[225:226], v[2:3], v[34:35], -v[36:37]
	ds_load_b128 v[2:5], v1 offset:1024
	scratch_load_b128 v[34:37], off, off offset:304
	v_fma_f64 v[219:220], v[40:41], v[168:169], v[219:220]
	v_add_f64 v[199:200], v[199:200], v[172:173]
	v_add_f64 v[174:175], v[217:218], v[174:175]
	ds_load_b128 v[170:173], v1 offset:1040
	v_fma_f64 v[168:169], v[38:39], v[168:169], -v[221:222]
	scratch_load_b128 v[38:41], off, off offset:320
	s_waitcnt vmcnt(9) lgkmcnt(1)
	v_mul_f64 v[217:218], v[2:3], v[44:45]
	v_mul_f64 v[44:45], v[4:5], v[44:45]
	s_waitcnt vmcnt(8) lgkmcnt(0)
	v_mul_f64 v[221:222], v[170:171], v[8:9]
	v_mul_f64 v[8:9], v[172:173], v[8:9]
	v_add_f64 v[199:200], v[199:200], v[225:226]
	v_add_f64 v[174:175], v[174:175], v[223:224]
	v_fma_f64 v[223:224], v[4:5], v[42:43], v[217:218]
	v_fma_f64 v[225:226], v[2:3], v[42:43], -v[44:45]
	ds_load_b128 v[2:5], v1 offset:1056
	scratch_load_b128 v[42:45], off, off offset:336
	v_fma_f64 v[172:173], v[172:173], v[6:7], v[221:222]
	v_fma_f64 v[170:171], v[170:171], v[6:7], -v[8:9]
	scratch_load_b128 v[6:9], off, off offset:352
	v_add_f64 v[168:169], v[199:200], v[168:169]
	v_add_f64 v[174:175], v[174:175], v[219:220]
	ds_load_b128 v[217:220], v1 offset:1072
	s_waitcnt vmcnt(9) lgkmcnt(1)
	v_mul_f64 v[199:200], v[2:3], v[12:13]
	v_mul_f64 v[12:13], v[4:5], v[12:13]
	s_waitcnt vmcnt(8) lgkmcnt(0)
	v_mul_f64 v[221:222], v[217:218], v[16:17]
	v_mul_f64 v[16:17], v[219:220], v[16:17]
	v_add_f64 v[168:169], v[168:169], v[225:226]
	v_add_f64 v[174:175], v[174:175], v[223:224]
	v_fma_f64 v[199:200], v[4:5], v[10:11], v[199:200]
	v_fma_f64 v[223:224], v[2:3], v[10:11], -v[12:13]
	ds_load_b128 v[2:5], v1 offset:1088
	scratch_load_b128 v[10:13], off, off offset:368
	v_fma_f64 v[219:220], v[219:220], v[14:15], v[221:222]
	v_fma_f64 v[217:218], v[217:218], v[14:15], -v[16:17]
	scratch_load_b128 v[14:17], off, off offset:384
	v_add_f64 v[225:226], v[168:169], v[170:171]
	v_add_f64 v[172:173], v[174:175], v[172:173]
	ds_load_b128 v[168:171], v1 offset:1104
	s_waitcnt vmcnt(9) lgkmcnt(1)
	v_mul_f64 v[174:175], v[2:3], v[20:21]
	v_mul_f64 v[20:21], v[4:5], v[20:21]
	v_add_f64 v[221:222], v[225:226], v[223:224]
	v_add_f64 v[172:173], v[172:173], v[199:200]
	s_waitcnt vmcnt(8) lgkmcnt(0)
	v_mul_f64 v[199:200], v[168:169], v[24:25]
	v_mul_f64 v[24:25], v[170:171], v[24:25]
	v_fma_f64 v[223:224], v[4:5], v[18:19], v[174:175]
	v_fma_f64 v[225:226], v[2:3], v[18:19], -v[20:21]
	ds_load_b128 v[2:5], v1 offset:1120
	scratch_load_b128 v[18:21], off, off offset:400
	v_add_f64 v[217:218], v[221:222], v[217:218]
	v_add_f64 v[219:220], v[172:173], v[219:220]
	ds_load_b128 v[172:175], v1 offset:1136
	s_waitcnt vmcnt(8) lgkmcnt(1)
	v_mul_f64 v[221:222], v[2:3], v[28:29]
	v_mul_f64 v[28:29], v[4:5], v[28:29]
	v_fma_f64 v[170:171], v[170:171], v[22:23], v[199:200]
	v_fma_f64 v[168:169], v[168:169], v[22:23], -v[24:25]
	scratch_load_b128 v[22:25], off, off offset:416
	v_add_f64 v[199:200], v[217:218], v[225:226]
	v_add_f64 v[217:218], v[219:220], v[223:224]
	s_waitcnt vmcnt(8) lgkmcnt(0)
	v_mul_f64 v[219:220], v[172:173], v[32:33]
	v_mul_f64 v[32:33], v[174:175], v[32:33]
	v_fma_f64 v[221:222], v[4:5], v[26:27], v[221:222]
	v_fma_f64 v[223:224], v[2:3], v[26:27], -v[28:29]
	ds_load_b128 v[2:5], v1 offset:1152
	scratch_load_b128 v[26:29], off, off offset:432
	v_add_f64 v[199:200], v[199:200], v[168:169]
	v_add_f64 v[217:218], v[217:218], v[170:171]
	ds_load_b128 v[168:171], v1 offset:1168
	s_waitcnt vmcnt(8) lgkmcnt(1)
	v_mul_f64 v[225:226], v[2:3], v[36:37]
	v_mul_f64 v[36:37], v[4:5], v[36:37]
	v_fma_f64 v[174:175], v[174:175], v[30:31], v[219:220]
	v_fma_f64 v[172:173], v[172:173], v[30:31], -v[32:33]
	scratch_load_b128 v[30:33], off, off offset:448
	s_waitcnt vmcnt(8) lgkmcnt(0)
	v_mul_f64 v[219:220], v[168:169], v[40:41]
	v_mul_f64 v[40:41], v[170:171], v[40:41]
	v_add_f64 v[199:200], v[199:200], v[223:224]
	v_add_f64 v[217:218], v[217:218], v[221:222]
	v_fma_f64 v[221:222], v[4:5], v[34:35], v[225:226]
	v_fma_f64 v[223:224], v[2:3], v[34:35], -v[36:37]
	ds_load_b128 v[2:5], v1 offset:1184
	scratch_load_b128 v[34:37], off, off offset:464
	v_fma_f64 v[170:171], v[170:171], v[38:39], v[219:220]
	v_fma_f64 v[168:169], v[168:169], v[38:39], -v[40:41]
	scratch_load_b128 v[38:41], off, off offset:480
	v_add_f64 v[199:200], v[199:200], v[172:173]
	v_add_f64 v[217:218], v[217:218], v[174:175]
	ds_load_b128 v[172:175], v1 offset:1200
	s_waitcnt vmcnt(9) lgkmcnt(1)
	v_mul_f64 v[225:226], v[2:3], v[44:45]
	v_mul_f64 v[44:45], v[4:5], v[44:45]
	s_waitcnt vmcnt(8) lgkmcnt(0)
	v_mul_f64 v[219:220], v[172:173], v[8:9]
	v_mul_f64 v[8:9], v[174:175], v[8:9]
	v_add_f64 v[199:200], v[199:200], v[223:224]
	v_add_f64 v[217:218], v[217:218], v[221:222]
	v_fma_f64 v[221:222], v[4:5], v[42:43], v[225:226]
	v_fma_f64 v[223:224], v[2:3], v[42:43], -v[44:45]
	ds_load_b128 v[2:5], v1 offset:1216
	scratch_load_b128 v[42:45], off, off offset:496
	v_fma_f64 v[174:175], v[174:175], v[6:7], v[219:220]
	v_fma_f64 v[172:173], v[172:173], v[6:7], -v[8:9]
	scratch_load_b128 v[6:9], off, off offset:512
	v_add_f64 v[199:200], v[199:200], v[168:169]
	v_add_f64 v[217:218], v[217:218], v[170:171]
	ds_load_b128 v[168:171], v1 offset:1232
	s_waitcnt vmcnt(9) lgkmcnt(1)
	v_mul_f64 v[225:226], v[2:3], v[12:13]
	v_mul_f64 v[12:13], v[4:5], v[12:13]
	;; [unrolled: 18-line block ×12, first 2 shown]
	s_waitcnt vmcnt(8) lgkmcnt(0)
	v_mul_f64 v[219:220], v[168:169], v[16:17]
	v_mul_f64 v[16:17], v[170:171], v[16:17]
	v_add_f64 v[199:200], v[199:200], v[223:224]
	v_add_f64 v[217:218], v[217:218], v[221:222]
	v_fma_f64 v[221:222], v[4:5], v[10:11], v[225:226]
	v_fma_f64 v[223:224], v[2:3], v[10:11], -v[12:13]
	ds_load_b128 v[2:5], v1 offset:1568
	ds_load_b128 v[10:13], v1 offset:1584
	v_fma_f64 v[170:171], v[170:171], v[14:15], v[219:220]
	v_fma_f64 v[14:15], v[168:169], v[14:15], -v[16:17]
	v_add_f64 v[172:173], v[199:200], v[172:173]
	v_add_f64 v[174:175], v[217:218], v[174:175]
	s_waitcnt vmcnt(7) lgkmcnt(1)
	v_mul_f64 v[199:200], v[2:3], v[20:21]
	v_mul_f64 v[20:21], v[4:5], v[20:21]
	s_delay_alu instid0(VALU_DEP_4) | instskip(NEXT) | instid1(VALU_DEP_4)
	v_add_f64 v[16:17], v[172:173], v[223:224]
	v_add_f64 v[168:169], v[174:175], v[221:222]
	s_waitcnt vmcnt(6) lgkmcnt(0)
	v_mul_f64 v[172:173], v[10:11], v[24:25]
	v_mul_f64 v[24:25], v[12:13], v[24:25]
	v_fma_f64 v[174:175], v[4:5], v[18:19], v[199:200]
	v_fma_f64 v[18:19], v[2:3], v[18:19], -v[20:21]
	v_add_f64 v[20:21], v[16:17], v[14:15]
	v_add_f64 v[168:169], v[168:169], v[170:171]
	ds_load_b128 v[2:5], v1 offset:1600
	ds_load_b128 v[14:17], v1 offset:1616
	v_fma_f64 v[12:13], v[12:13], v[22:23], v[172:173]
	v_fma_f64 v[10:11], v[10:11], v[22:23], -v[24:25]
	s_waitcnt vmcnt(5) lgkmcnt(1)
	v_mul_f64 v[170:171], v[2:3], v[28:29]
	v_mul_f64 v[28:29], v[4:5], v[28:29]
	s_waitcnt vmcnt(4) lgkmcnt(0)
	v_mul_f64 v[22:23], v[14:15], v[32:33]
	v_mul_f64 v[24:25], v[16:17], v[32:33]
	v_add_f64 v[18:19], v[20:21], v[18:19]
	v_add_f64 v[20:21], v[168:169], v[174:175]
	v_fma_f64 v[32:33], v[4:5], v[26:27], v[170:171]
	v_fma_f64 v[26:27], v[2:3], v[26:27], -v[28:29]
	v_fma_f64 v[16:17], v[16:17], v[30:31], v[22:23]
	v_fma_f64 v[14:15], v[14:15], v[30:31], -v[24:25]
	v_add_f64 v[18:19], v[18:19], v[10:11]
	v_add_f64 v[20:21], v[20:21], v[12:13]
	ds_load_b128 v[2:5], v1 offset:1632
	ds_load_b128 v[10:13], v1 offset:1648
	s_waitcnt vmcnt(3) lgkmcnt(1)
	v_mul_f64 v[28:29], v[2:3], v[36:37]
	v_mul_f64 v[36:37], v[4:5], v[36:37]
	s_waitcnt vmcnt(2) lgkmcnt(0)
	v_mul_f64 v[22:23], v[10:11], v[40:41]
	v_mul_f64 v[24:25], v[12:13], v[40:41]
	v_add_f64 v[18:19], v[18:19], v[26:27]
	v_add_f64 v[20:21], v[20:21], v[32:33]
	v_fma_f64 v[26:27], v[4:5], v[34:35], v[28:29]
	v_fma_f64 v[28:29], v[2:3], v[34:35], -v[36:37]
	v_fma_f64 v[12:13], v[12:13], v[38:39], v[22:23]
	v_fma_f64 v[10:11], v[10:11], v[38:39], -v[24:25]
	v_add_f64 v[18:19], v[18:19], v[14:15]
	v_add_f64 v[20:21], v[20:21], v[16:17]
	ds_load_b128 v[2:5], v1 offset:1664
	ds_load_b128 v[14:17], v1 offset:1680
	s_waitcnt vmcnt(1) lgkmcnt(1)
	v_mul_f64 v[30:31], v[2:3], v[44:45]
	v_mul_f64 v[32:33], v[4:5], v[44:45]
	s_waitcnt vmcnt(0) lgkmcnt(0)
	v_mul_f64 v[22:23], v[14:15], v[8:9]
	v_mul_f64 v[8:9], v[16:17], v[8:9]
	v_add_f64 v[18:19], v[18:19], v[28:29]
	v_add_f64 v[20:21], v[20:21], v[26:27]
	v_fma_f64 v[4:5], v[4:5], v[42:43], v[30:31]
	v_fma_f64 v[1:2], v[2:3], v[42:43], -v[32:33]
	v_fma_f64 v[16:17], v[16:17], v[6:7], v[22:23]
	v_fma_f64 v[6:7], v[14:15], v[6:7], -v[8:9]
	v_add_f64 v[10:11], v[18:19], v[10:11]
	v_add_f64 v[12:13], v[20:21], v[12:13]
	s_delay_alu instid0(VALU_DEP_2) | instskip(NEXT) | instid1(VALU_DEP_2)
	v_add_f64 v[1:2], v[10:11], v[1:2]
	v_add_f64 v[3:4], v[12:13], v[4:5]
	s_delay_alu instid0(VALU_DEP_2) | instskip(NEXT) | instid1(VALU_DEP_2)
	;; [unrolled: 3-line block ×3, first 2 shown]
	v_add_f64 v[1:2], v[164:165], -v[1:2]
	v_add_f64 v[3:4], v[166:167], -v[3:4]
	scratch_store_b128 off, v[1:4], off
	s_cbranch_vccz .LBB116_437
; %bb.332:
	v_dual_mov_b32 v1, s8 :: v_dual_mov_b32 v2, s9
	s_load_b64 s[0:1], s[0:1], 0x4
	flat_load_b32 v1, v[1:2] offset:204
	v_bfe_u32 v2, v0, 10, 10
	v_bfe_u32 v0, v0, 20, 10
	s_waitcnt lgkmcnt(0)
	s_lshr_b32 s0, s0, 16
	s_delay_alu instid0(VALU_DEP_2) | instskip(SKIP_1) | instid1(SALU_CYCLE_1)
	v_mul_u32_u24_e32 v2, s1, v2
	s_mul_i32 s0, s0, s1
	v_mul_u32_u24_e32 v3, s0, v152
	s_mov_b32 s0, exec_lo
	s_delay_alu instid0(VALU_DEP_1) | instskip(NEXT) | instid1(VALU_DEP_1)
	v_add3_u32 v0, v3, v2, v0
	v_lshl_add_u32 v0, v0, 4, 0x6a8
	s_waitcnt vmcnt(0)
	v_cmpx_ne_u32_e32 52, v1
	s_cbranch_execz .LBB116_334
; %bb.333:
	v_lshl_add_u32 v9, v1, 4, 0
	s_clause 0x1
	scratch_load_b128 v[1:4], v157, off
	scratch_load_b128 v[5:8], v9, off offset:-16
	s_waitcnt vmcnt(1)
	ds_store_2addr_b64 v0, v[1:2], v[3:4] offset1:1
	s_waitcnt vmcnt(0)
	s_clause 0x1
	scratch_store_b128 v157, v[5:8], off
	scratch_store_b128 v9, v[1:4], off offset:-16
.LBB116_334:
	s_or_b32 exec_lo, exec_lo, s0
	v_dual_mov_b32 v1, s8 :: v_dual_mov_b32 v2, s9
	s_mov_b32 s0, exec_lo
	flat_load_b32 v1, v[1:2] offset:200
	s_waitcnt vmcnt(0) lgkmcnt(0)
	v_cmpx_ne_u32_e32 51, v1
	s_cbranch_execz .LBB116_336
; %bb.335:
	v_lshl_add_u32 v9, v1, 4, 0
	s_clause 0x1
	scratch_load_b128 v[1:4], v159, off
	scratch_load_b128 v[5:8], v9, off offset:-16
	s_waitcnt vmcnt(1)
	ds_store_2addr_b64 v0, v[1:2], v[3:4] offset1:1
	s_waitcnt vmcnt(0)
	s_clause 0x1
	scratch_store_b128 v159, v[5:8], off
	scratch_store_b128 v9, v[1:4], off offset:-16
.LBB116_336:
	s_or_b32 exec_lo, exec_lo, s0
	v_dual_mov_b32 v1, s8 :: v_dual_mov_b32 v2, s9
	s_mov_b32 s0, exec_lo
	flat_load_b32 v1, v[1:2] offset:196
	s_waitcnt vmcnt(0) lgkmcnt(0)
	;; [unrolled: 19-line block ×50, first 2 shown]
	v_cmpx_ne_u32_e32 2, v1
	s_cbranch_execz .LBB116_434
; %bb.433:
	v_lshl_add_u32 v9, v1, 4, 0
	s_clause 0x1
	scratch_load_b128 v[1:4], v204, off
	scratch_load_b128 v[5:8], v9, off offset:-16
	s_waitcnt vmcnt(1)
	ds_store_2addr_b64 v0, v[1:2], v[3:4] offset1:1
	s_waitcnt vmcnt(0)
	s_clause 0x1
	scratch_store_b128 v204, v[5:8], off
	scratch_store_b128 v9, v[1:4], off offset:-16
.LBB116_434:
	s_or_b32 exec_lo, exec_lo, s0
	v_dual_mov_b32 v1, s8 :: v_dual_mov_b32 v2, s9
	s_mov_b32 s0, exec_lo
	flat_load_b32 v1, v[1:2]
	s_waitcnt vmcnt(0) lgkmcnt(0)
	v_cmpx_ne_u32_e32 1, v1
	s_cbranch_execz .LBB116_436
; %bb.435:
	v_lshl_add_u32 v9, v1, 4, 0
	scratch_load_b128 v[1:4], off, off
	scratch_load_b128 v[5:8], v9, off offset:-16
	s_waitcnt vmcnt(1)
	ds_store_2addr_b64 v0, v[1:2], v[3:4] offset1:1
	s_waitcnt vmcnt(0)
	scratch_store_b128 off, v[5:8], off
	scratch_store_b128 v9, v[1:4], off offset:-16
.LBB116_436:
	s_or_b32 exec_lo, exec_lo, s0
.LBB116_437:
	scratch_load_b128 v[0:3], off, off
	s_clause 0x17
	scratch_load_b128 v[4:7], v204, off
	scratch_load_b128 v[8:11], v203, off
	;; [unrolled: 1-line block ×24, first 2 shown]
	s_waitcnt vmcnt(24)
	global_store_b128 v[46:47], v[0:3], off
	s_clause 0x1
	scratch_load_b128 v[0:3], v180, off
	scratch_load_b128 v[44:47], v179, off
	s_waitcnt vmcnt(25)
	global_store_b128 v[48:49], v[4:7], off
	s_clause 0x1
	scratch_load_b128 v[4:7], v178, off
	scratch_load_b128 v[178:181], v176, off
	;; [unrolled: 5-line block ×14, first 2 shown]
	s_waitcnt vmcnt(38)
	global_store_b128 v[74:75], v[191:194], off
	s_waitcnt vmcnt(37)
	global_store_b128 v[76:77], v[199:202], off
	;; [unrolled: 2-line block ×39, first 2 shown]
	s_endpgm
	.section	.rodata,"a",@progbits
	.p2align	6, 0x0
	.amdhsa_kernel _ZN9rocsolver6v33100L18getri_kernel_smallILi53E19rocblas_complex_numIdEPKPS3_EEvT1_iilPiilS8_bb
		.amdhsa_group_segment_fixed_size 2728
		.amdhsa_private_segment_fixed_size 864
		.amdhsa_kernarg_size 60
		.amdhsa_user_sgpr_count 15
		.amdhsa_user_sgpr_dispatch_ptr 1
		.amdhsa_user_sgpr_queue_ptr 0
		.amdhsa_user_sgpr_kernarg_segment_ptr 1
		.amdhsa_user_sgpr_dispatch_id 0
		.amdhsa_user_sgpr_private_segment_size 0
		.amdhsa_wavefront_size32 1
		.amdhsa_uses_dynamic_stack 0
		.amdhsa_enable_private_segment 1
		.amdhsa_system_sgpr_workgroup_id_x 1
		.amdhsa_system_sgpr_workgroup_id_y 0
		.amdhsa_system_sgpr_workgroup_id_z 0
		.amdhsa_system_sgpr_workgroup_info 0
		.amdhsa_system_vgpr_workitem_id 2
		.amdhsa_next_free_vgpr 256
		.amdhsa_next_free_sgpr 59
		.amdhsa_reserve_vcc 1
		.amdhsa_float_round_mode_32 0
		.amdhsa_float_round_mode_16_64 0
		.amdhsa_float_denorm_mode_32 3
		.amdhsa_float_denorm_mode_16_64 3
		.amdhsa_dx10_clamp 1
		.amdhsa_ieee_mode 1
		.amdhsa_fp16_overflow 0
		.amdhsa_workgroup_processor_mode 1
		.amdhsa_memory_ordered 1
		.amdhsa_forward_progress 0
		.amdhsa_shared_vgpr_count 0
		.amdhsa_exception_fp_ieee_invalid_op 0
		.amdhsa_exception_fp_denorm_src 0
		.amdhsa_exception_fp_ieee_div_zero 0
		.amdhsa_exception_fp_ieee_overflow 0
		.amdhsa_exception_fp_ieee_underflow 0
		.amdhsa_exception_fp_ieee_inexact 0
		.amdhsa_exception_int_div_zero 0
	.end_amdhsa_kernel
	.section	.text._ZN9rocsolver6v33100L18getri_kernel_smallILi53E19rocblas_complex_numIdEPKPS3_EEvT1_iilPiilS8_bb,"axG",@progbits,_ZN9rocsolver6v33100L18getri_kernel_smallILi53E19rocblas_complex_numIdEPKPS3_EEvT1_iilPiilS8_bb,comdat
.Lfunc_end116:
	.size	_ZN9rocsolver6v33100L18getri_kernel_smallILi53E19rocblas_complex_numIdEPKPS3_EEvT1_iilPiilS8_bb, .Lfunc_end116-_ZN9rocsolver6v33100L18getri_kernel_smallILi53E19rocblas_complex_numIdEPKPS3_EEvT1_iilPiilS8_bb
                                        ; -- End function
	.section	.AMDGPU.csdata,"",@progbits
; Kernel info:
; codeLenInByte = 126560
; NumSgprs: 61
; NumVgprs: 256
; ScratchSize: 864
; MemoryBound: 0
; FloatMode: 240
; IeeeMode: 1
; LDSByteSize: 2728 bytes/workgroup (compile time only)
; SGPRBlocks: 7
; VGPRBlocks: 31
; NumSGPRsForWavesPerEU: 61
; NumVGPRsForWavesPerEU: 256
; Occupancy: 5
; WaveLimiterHint : 1
; COMPUTE_PGM_RSRC2:SCRATCH_EN: 1
; COMPUTE_PGM_RSRC2:USER_SGPR: 15
; COMPUTE_PGM_RSRC2:TRAP_HANDLER: 0
; COMPUTE_PGM_RSRC2:TGID_X_EN: 1
; COMPUTE_PGM_RSRC2:TGID_Y_EN: 0
; COMPUTE_PGM_RSRC2:TGID_Z_EN: 0
; COMPUTE_PGM_RSRC2:TIDIG_COMP_CNT: 2
	.section	.text._ZN9rocsolver6v33100L18getri_kernel_smallILi54E19rocblas_complex_numIdEPKPS3_EEvT1_iilPiilS8_bb,"axG",@progbits,_ZN9rocsolver6v33100L18getri_kernel_smallILi54E19rocblas_complex_numIdEPKPS3_EEvT1_iilPiilS8_bb,comdat
	.globl	_ZN9rocsolver6v33100L18getri_kernel_smallILi54E19rocblas_complex_numIdEPKPS3_EEvT1_iilPiilS8_bb ; -- Begin function _ZN9rocsolver6v33100L18getri_kernel_smallILi54E19rocblas_complex_numIdEPKPS3_EEvT1_iilPiilS8_bb
	.p2align	8
	.type	_ZN9rocsolver6v33100L18getri_kernel_smallILi54E19rocblas_complex_numIdEPKPS3_EEvT1_iilPiilS8_bb,@function
_ZN9rocsolver6v33100L18getri_kernel_smallILi54E19rocblas_complex_numIdEPKPS3_EEvT1_iilPiilS8_bb: ; @_ZN9rocsolver6v33100L18getri_kernel_smallILi54E19rocblas_complex_numIdEPKPS3_EEvT1_iilPiilS8_bb
; %bb.0:
	v_and_b32_e32 v154, 0x3ff, v0
	s_mov_b32 s4, exec_lo
	s_delay_alu instid0(VALU_DEP_1)
	v_cmpx_gt_u32_e32 54, v154
	s_cbranch_execz .LBB117_230
; %bb.1:
	s_mov_b32 s10, s15
	s_clause 0x2
	s_load_b32 s15, s[2:3], 0x38
	s_load_b64 s[8:9], s[2:3], 0x0
	s_load_b128 s[4:7], s[2:3], 0x28
	s_waitcnt lgkmcnt(0)
	s_bitcmp1_b32 s15, 8
	s_cselect_b32 s14, -1, 0
	s_ashr_i32 s11, s10, 31
	s_delay_alu instid0(SALU_CYCLE_1) | instskip(NEXT) | instid1(SALU_CYCLE_1)
	s_lshl_b64 s[12:13], s[10:11], 3
	s_add_u32 s8, s8, s12
	s_addc_u32 s9, s9, s13
	s_load_b64 s[12:13], s[8:9], 0x0
	s_bfe_u32 s8, s15, 0x10008
	s_delay_alu instid0(SALU_CYCLE_1)
	s_cmp_eq_u32 s8, 0
                                        ; implicit-def: $sgpr8_sgpr9
	s_cbranch_scc1 .LBB117_3
; %bb.2:
	s_clause 0x1
	s_load_b32 s8, s[2:3], 0x20
	s_load_b64 s[16:17], s[2:3], 0x18
	s_mul_i32 s5, s10, s5
	s_mul_hi_u32 s9, s10, s4
	s_mul_i32 s18, s11, s4
	s_add_i32 s5, s9, s5
	s_mul_i32 s4, s10, s4
	s_add_i32 s5, s5, s18
	s_delay_alu instid0(SALU_CYCLE_1)
	s_lshl_b64 s[4:5], s[4:5], 2
	s_waitcnt lgkmcnt(0)
	s_ashr_i32 s9, s8, 31
	s_add_u32 s16, s16, s4
	s_addc_u32 s17, s17, s5
	s_lshl_b64 s[4:5], s[8:9], 2
	s_delay_alu instid0(SALU_CYCLE_1)
	s_add_u32 s8, s16, s4
	s_addc_u32 s9, s17, s5
.LBB117_3:
	s_load_b64 s[2:3], s[2:3], 0x8
	v_lshlrev_b32_e32 v13, 4, v154
	s_movk_i32 s18, 0xd0
	s_movk_i32 s19, 0xe0
	;; [unrolled: 1-line block ×18, first 2 shown]
	s_waitcnt lgkmcnt(0)
	v_add3_u32 v1, s3, s3, v154
	s_ashr_i32 s5, s2, 31
	s_mov_b32 s4, s2
	s_mov_b32 s16, s3
	s_lshl_b64 s[4:5], s[4:5], 4
	v_add_nc_u32_e32 v7, s3, v1
	v_ashrrev_i32_e32 v2, 31, v1
	s_add_u32 s4, s12, s4
	s_addc_u32 s5, s13, s5
	v_add_co_u32 v46, s2, s4, v13
	v_add_nc_u32_e32 v9, s3, v7
	s_ashr_i32 s17, s3, 31
	v_add_co_ci_u32_e64 v47, null, s5, 0, s2
	v_lshlrev_b64 v[1:2], 4, v[1:2]
	s_lshl_b64 s[12:13], s[16:17], 4
	v_add_nc_u32_e32 v11, s3, v9
	v_add_co_u32 v14, vcc_lo, v46, s12
	v_ashrrev_i32_e32 v8, 31, v7
	v_add_co_ci_u32_e32 v15, vcc_lo, s13, v47, vcc_lo
	v_add_co_u32 v16, vcc_lo, s4, v1
	v_add_nc_u32_e32 v1, s3, v11
	v_ashrrev_i32_e32 v10, 31, v9
	v_lshlrev_b64 v[18:19], 4, v[7:8]
	v_ashrrev_i32_e32 v12, 31, v11
	v_add_co_ci_u32_e32 v17, vcc_lo, s5, v2, vcc_lo
	v_add_nc_u32_e32 v26, s3, v1
	v_lshlrev_b64 v[20:21], 4, v[9:10]
	v_add_co_u32 v52, vcc_lo, s4, v18
	v_lshlrev_b64 v[11:12], 4, v[11:12]
	v_ashrrev_i32_e32 v2, 31, v1
	v_add_nc_u32_e32 v28, s3, v26
	v_add_co_ci_u32_e32 v53, vcc_lo, s5, v19, vcc_lo
	v_add_co_u32 v54, vcc_lo, s4, v20
	v_add_co_ci_u32_e32 v55, vcc_lo, s5, v21, vcc_lo
	v_lshlrev_b64 v[1:2], 4, v[1:2]
	v_add_co_u32 v56, vcc_lo, s4, v11
	v_add_nc_u32_e32 v11, s3, v28
	v_ashrrev_i32_e32 v27, 31, v26
	v_add_co_ci_u32_e32 v57, vcc_lo, s5, v12, vcc_lo
	v_add_co_u32 v58, vcc_lo, s4, v1
	s_delay_alu instid0(VALU_DEP_4)
	v_add_nc_u32_e32 v1, s3, v11
	v_ashrrev_i32_e32 v29, 31, v28
	v_lshlrev_b64 v[34:35], 4, v[26:27]
	v_ashrrev_i32_e32 v12, 31, v11
	v_add_co_ci_u32_e32 v59, vcc_lo, s5, v2, vcc_lo
	v_add_nc_u32_e32 v42, s3, v1
	v_lshlrev_b64 v[36:37], 4, v[28:29]
	v_add_co_u32 v60, vcc_lo, s4, v34
	v_lshlrev_b64 v[11:12], 4, v[11:12]
	v_ashrrev_i32_e32 v2, 31, v1
	v_add_nc_u32_e32 v44, s3, v42
	v_add_co_ci_u32_e32 v61, vcc_lo, s5, v35, vcc_lo
	v_add_co_u32 v62, vcc_lo, s4, v36
	v_add_co_ci_u32_e32 v63, vcc_lo, s5, v37, vcc_lo
	v_lshlrev_b64 v[1:2], 4, v[1:2]
	v_add_co_u32 v64, vcc_lo, s4, v11
	v_add_nc_u32_e32 v11, s3, v44
	v_ashrrev_i32_e32 v43, 31, v42
	v_add_co_ci_u32_e32 v65, vcc_lo, s5, v12, vcc_lo
	v_add_co_u32 v66, vcc_lo, s4, v1
	s_delay_alu instid0(VALU_DEP_4)
	v_add_nc_u32_e32 v1, s3, v11
	v_ashrrev_i32_e32 v45, 31, v44
	v_lshlrev_b64 v[68:69], 4, v[42:43]
	v_ashrrev_i32_e32 v12, 31, v11
	v_add_co_ci_u32_e32 v67, vcc_lo, s5, v2, vcc_lo
	v_add_nc_u32_e32 v74, s3, v1
	v_lshlrev_b64 v[70:71], 4, v[44:45]
	v_add_co_u32 v68, vcc_lo, s4, v68
	v_lshlrev_b64 v[11:12], 4, v[11:12]
	v_ashrrev_i32_e32 v2, 31, v1
	v_add_nc_u32_e32 v76, s3, v74
	v_add_co_ci_u32_e32 v69, vcc_lo, s5, v69, vcc_lo
	v_add_co_u32 v70, vcc_lo, s4, v70
	s_clause 0x1
	global_load_b128 v[3:6], v13, s[4:5]
	global_load_b128 v[7:10], v[14:15], off
	v_add_co_ci_u32_e32 v71, vcc_lo, s5, v71, vcc_lo
	v_lshlrev_b64 v[1:2], 4, v[1:2]
	s_clause 0x1
	scratch_store_b64 off, v[14:15], off offset:864
	scratch_store_b64 off, v[16:17], off offset:872
	v_ashrrev_i32_e32 v75, 31, v74
	v_add_co_u32 v72, vcc_lo, s4, v11
	v_add_nc_u32_e32 v11, s3, v76
	s_clause 0x8
	global_load_b128 v[14:17], v[16:17], off
	global_load_b128 v[18:21], v[52:53], off
	;; [unrolled: 1-line block ×9, first 2 shown]
	v_add_co_ci_u32_e32 v73, vcc_lo, s5, v12, vcc_lo
	v_lshlrev_b64 v[78:79], 4, v[74:75]
	v_add_co_u32 v74, vcc_lo, s4, v1
	v_add_nc_u32_e32 v1, s3, v11
	v_ashrrev_i32_e32 v77, 31, v76
	v_ashrrev_i32_e32 v12, 31, v11
	s_clause 0x1
	global_load_b128 v[134:137], v[68:69], off
	global_load_b128 v[138:141], v[70:71], off
	v_add_co_ci_u32_e32 v75, vcc_lo, s5, v2, vcc_lo
	v_add_nc_u32_e32 v82, s3, v1
	v_lshlrev_b64 v[80:81], 4, v[76:77]
	v_add_co_u32 v76, vcc_lo, s4, v78
	v_lshlrev_b64 v[11:12], 4, v[11:12]
	v_ashrrev_i32_e32 v2, 31, v1
	v_add_nc_u32_e32 v84, s3, v82
	v_add_co_ci_u32_e32 v77, vcc_lo, s5, v79, vcc_lo
	v_add_co_u32 v78, vcc_lo, s4, v80
	v_ashrrev_i32_e32 v83, 31, v82
	s_clause 0x1
	global_load_b128 v[142:145], v[72:73], off
	global_load_b128 v[146:149], v[74:75], off
	v_add_co_ci_u32_e32 v79, vcc_lo, s5, v81, vcc_lo
	v_lshlrev_b64 v[1:2], 4, v[1:2]
	v_add_nc_u32_e32 v86, s3, v84
	v_add_co_u32 v80, vcc_lo, s4, v11
	v_add_co_ci_u32_e32 v81, vcc_lo, s5, v12, vcc_lo
	v_lshlrev_b64 v[11:12], 4, v[82:83]
	v_ashrrev_i32_e32 v85, 31, v84
	v_add_co_u32 v82, vcc_lo, s4, v1
	v_ashrrev_i32_e32 v87, 31, v86
	v_add_nc_u32_e32 v88, s3, v86
	v_add_co_ci_u32_e32 v83, vcc_lo, s5, v2, vcc_lo
	v_lshlrev_b64 v[90:91], 4, v[84:85]
	v_add_co_u32 v84, vcc_lo, s4, v11
	v_add_co_ci_u32_e32 v85, vcc_lo, s5, v12, vcc_lo
	v_lshlrev_b64 v[11:12], 4, v[86:87]
	v_ashrrev_i32_e32 v89, 31, v88
	v_add_co_u32 v86, vcc_lo, s4, v90
	v_add_co_ci_u32_e32 v87, vcc_lo, s5, v91, vcc_lo
	s_clause 0x1
	global_load_b128 v[150:153], v[76:77], off
	global_load_b128 v[155:158], v[78:79], off
	v_add_nc_u32_e32 v92, s3, v88
	v_lshlrev_b64 v[90:91], 4, v[88:89]
	v_add_co_u32 v88, vcc_lo, s4, v11
	v_add_co_ci_u32_e32 v89, vcc_lo, s5, v12, vcc_lo
	s_clause 0x4
	global_load_b128 v[159:162], v[80:81], off
	global_load_b128 v[163:166], v[82:83], off
	global_load_b128 v[167:170], v[84:85], off
	global_load_b128 v[171:174], v[86:87], off
	global_load_b128 v[175:178], v[88:89], off
	v_add_nc_u32_e32 v1, s3, v92
	v_ashrrev_i32_e32 v93, 31, v92
	v_add_co_u32 v90, vcc_lo, s4, v90
	v_add_co_ci_u32_e32 v91, vcc_lo, s5, v91, vcc_lo
	s_delay_alu instid0(VALU_DEP_4)
	v_add_nc_u32_e32 v94, s3, v1
	v_ashrrev_i32_e32 v2, 31, v1
	v_lshlrev_b64 v[92:93], 4, v[92:93]
	global_load_b128 v[179:182], v[90:91], off
	s_movk_i32 s2, 0x50
	v_add_nc_u32_e32 v96, s3, v94
	v_lshlrev_b64 v[1:2], 4, v[1:2]
	v_ashrrev_i32_e32 v95, 31, v94
	v_add_co_u32 v92, vcc_lo, s4, v92
	s_delay_alu instid0(VALU_DEP_4) | instskip(SKIP_3) | instid1(VALU_DEP_4)
	v_add_nc_u32_e32 v98, s3, v96
	v_ashrrev_i32_e32 v97, 31, v96
	v_add_co_ci_u32_e32 v93, vcc_lo, s5, v93, vcc_lo
	v_lshlrev_b64 v[100:101], 4, v[94:95]
	v_add_nc_u32_e32 v11, s3, v98
	v_add_co_u32 v94, vcc_lo, s4, v1
	v_add_co_ci_u32_e32 v95, vcc_lo, s5, v2, vcc_lo
	s_delay_alu instid0(VALU_DEP_3) | instskip(SKIP_3) | instid1(VALU_DEP_4)
	v_add_nc_u32_e32 v102, s3, v11
	v_lshlrev_b64 v[1:2], 4, v[96:97]
	v_ashrrev_i32_e32 v99, 31, v98
	v_add_co_u32 v96, vcc_lo, s4, v100
	v_add_nc_u32_e32 v106, s3, v102
	v_ashrrev_i32_e32 v12, 31, v11
	v_ashrrev_i32_e32 v103, 31, v102
	v_add_co_ci_u32_e32 v97, vcc_lo, s5, v101, vcc_lo
	s_delay_alu instid0(VALU_DEP_4) | instskip(SKIP_3) | instid1(VALU_DEP_4)
	v_add_nc_u32_e32 v108, s3, v106
	v_lshlrev_b64 v[100:101], 4, v[98:99]
	v_add_co_u32 v98, vcc_lo, s4, v1
	v_add_co_ci_u32_e32 v99, vcc_lo, s5, v2, vcc_lo
	v_add_nc_u32_e32 v110, s3, v108
	v_lshlrev_b64 v[1:2], 4, v[11:12]
	v_lshlrev_b64 v[11:12], 4, v[102:103]
	v_add_co_u32 v100, vcc_lo, s4, v100
	s_delay_alu instid0(VALU_DEP_4) | instskip(SKIP_3) | instid1(VALU_DEP_4)
	v_add_nc_u32_e32 v112, s3, v110
	v_ashrrev_i32_e32 v107, 31, v106
	v_add_co_ci_u32_e32 v101, vcc_lo, s5, v101, vcc_lo
	v_add_co_u32 v104, vcc_lo, s4, v1
	v_add_nc_u32_e32 v114, s3, v112
	v_ashrrev_i32_e32 v109, 31, v108
	v_add_co_ci_u32_e32 v105, vcc_lo, s5, v2, vcc_lo
	v_lshlrev_b64 v[1:2], 4, v[106:107]
	s_delay_alu instid0(VALU_DEP_4) | instskip(SKIP_3) | instid1(VALU_DEP_4)
	v_add_nc_u32_e32 v116, s3, v114
	v_add_co_u32 v106, vcc_lo, s4, v11
	v_ashrrev_i32_e32 v111, 31, v110
	v_add_co_ci_u32_e32 v107, vcc_lo, s5, v12, vcc_lo
	v_add_nc_u32_e32 v118, s3, v116
	v_lshlrev_b64 v[11:12], 4, v[108:109]
	v_ashrrev_i32_e32 v113, 31, v112
	v_lshlrev_b64 v[206:207], 4, v[110:111]
	v_ashrrev_i32_e32 v115, 31, v114
	v_add_nc_u32_e32 v120, s3, v118
	v_ashrrev_i32_e32 v117, 31, v116
	v_lshlrev_b64 v[228:229], 4, v[112:113]
	v_ashrrev_i32_e32 v119, 31, v118
	s_clause 0x1
	global_load_b128 v[183:186], v[92:93], off
	global_load_b128 v[187:190], v[94:95], off
	v_add_nc_u32_e32 v122, s3, v120
	v_ashrrev_i32_e32 v121, 31, v120
	s_clause 0x3
	global_load_b128 v[191:194], v[96:97], off
	global_load_b128 v[208:211], v[98:99], off
	;; [unrolled: 1-line block ×4, first 2 shown]
	s_movk_i32 s12, 0x90
	v_add_nc_u32_e32 v124, s3, v122
	v_ashrrev_i32_e32 v123, 31, v122
	s_movk_i32 s13, 0xa0
	s_movk_i32 s16, 0xb0
	s_movk_i32 s17, 0xc0
	v_add_nc_u32_e32 v126, s3, v124
	v_ashrrev_i32_e32 v125, 31, v124
	s_movk_i32 s37, 0x1f0
	s_movk_i32 s38, 0x200
	;; [unrolled: 5-line block ×5, first 2 shown]
	s_movk_i32 s48, 0x2a0
	v_add_nc_u32_e32 v199, s3, v197
	v_lshlrev_b64 v[195:196], 4, v[195:196]
	v_ashrrev_i32_e32 v198, 31, v197
	s_movk_i32 s49, 0x2b0
	s_movk_i32 s50, 0x2c0
	v_add_nc_u32_e32 v201, s3, v199
	v_ashrrev_i32_e32 v200, 31, v199
	v_lshlrev_b64 v[197:198], 4, v[197:198]
	s_movk_i32 s51, 0x2d0
	s_movk_i32 s52, 0x2e0
	v_add_nc_u32_e32 v203, s3, v201
	v_ashrrev_i32_e32 v202, 31, v201
	s_movk_i32 s53, 0x2f0
	s_movk_i32 s54, 0x300
	s_movk_i32 s55, 0x310
	v_add_nc_u32_e32 v205, s3, v203
	v_ashrrev_i32_e32 v204, 31, v203
	s_movk_i32 s56, 0x320
	s_movk_i32 s57, 0x330
	;; [unrolled: 1-line block ×3, first 2 shown]
	v_add_nc_u32_e32 v244, s3, v205
	s_movk_i32 s59, 0x350
	s_bitcmp0_b32 s15, 0
	s_delay_alu instid0(VALU_DEP_1) | instskip(SKIP_1) | instid1(VALU_DEP_2)
	v_add_nc_u32_e32 v252, s3, v244
	v_ashrrev_i32_e32 v245, 31, v244
	v_add_nc_u32_e32 v254, s3, v252
	v_ashrrev_i32_e32 v253, 31, v252
	s_delay_alu instid0(VALU_DEP_2) | instskip(SKIP_1) | instid1(VALU_DEP_2)
	v_add_nc_u32_e32 v48, s3, v254
	v_ashrrev_i32_e32 v255, 31, v254
	v_add_nc_u32_e32 v50, s3, v48
	v_ashrrev_i32_e32 v49, 31, v48
	s_delay_alu instid0(VALU_DEP_2) | instskip(SKIP_1) | instid1(VALU_DEP_3)
	v_add_nc_u32_e32 v102, s3, v50
	v_ashrrev_i32_e32 v51, 31, v50
	v_lshlrev_b64 v[48:49], 4, v[48:49]
	s_movk_i32 s3, 0x60
	s_delay_alu instid0(VALU_DEP_3) | instskip(NEXT) | instid1(VALU_DEP_3)
	v_ashrrev_i32_e32 v103, 31, v102
	v_lshlrev_b64 v[50:51], 4, v[50:51]
	s_delay_alu instid0(VALU_DEP_2) | instskip(NEXT) | instid1(VALU_DEP_1)
	v_lshlrev_b64 v[102:103], 4, v[102:103]
	v_add_co_u32 v102, vcc_lo, s4, v102
	s_delay_alu instid0(VALU_DEP_2)
	v_add_co_ci_u32_e32 v103, vcc_lo, s5, v103, vcc_lo
	v_add_co_u32 v108, vcc_lo, s4, v1
	v_add_co_ci_u32_e32 v109, vcc_lo, s5, v2, vcc_lo
	v_add_co_u32 v110, vcc_lo, s4, v11
	;; [unrolled: 2-line block ×3, first 2 shown]
	v_add_co_ci_u32_e32 v113, vcc_lo, s5, v207, vcc_lo
	v_lshlrev_b64 v[206:207], 4, v[114:115]
	v_add_co_u32 v114, vcc_lo, s4, v228
	v_add_co_ci_u32_e32 v115, vcc_lo, s5, v229, vcc_lo
	v_lshlrev_b64 v[228:229], 4, v[116:117]
	s_delay_alu instid0(VALU_DEP_4) | instskip(SKIP_2) | instid1(VALU_DEP_4)
	v_add_co_u32 v116, vcc_lo, s4, v206
	v_add_co_ci_u32_e32 v117, vcc_lo, s5, v207, vcc_lo
	v_lshlrev_b64 v[206:207], 4, v[118:119]
	v_add_co_u32 v118, vcc_lo, s4, v228
	v_add_co_ci_u32_e32 v119, vcc_lo, s5, v229, vcc_lo
	v_lshlrev_b64 v[228:229], 4, v[120:121]
	s_delay_alu instid0(VALU_DEP_4) | instskip(SKIP_2) | instid1(VALU_DEP_4)
	v_add_co_u32 v120, vcc_lo, s4, v206
	v_add_co_ci_u32_e32 v121, vcc_lo, s5, v207, vcc_lo
	v_lshlrev_b64 v[206:207], 4, v[122:123]
	v_add_co_u32 v122, vcc_lo, s4, v228
	v_add_co_ci_u32_e32 v123, vcc_lo, s5, v229, vcc_lo
	v_lshlrev_b64 v[228:229], 4, v[124:125]
	s_delay_alu instid0(VALU_DEP_4) | instskip(SKIP_2) | instid1(VALU_DEP_4)
	v_add_co_u32 v124, vcc_lo, s4, v206
	v_add_co_ci_u32_e32 v125, vcc_lo, s5, v207, vcc_lo
	v_lshlrev_b64 v[206:207], 4, v[126:127]
	v_add_co_u32 v126, vcc_lo, s4, v228
	v_add_co_ci_u32_e32 v127, vcc_lo, s5, v229, vcc_lo
	v_lshlrev_b64 v[228:229], 4, v[128:129]
	global_load_b128 v[220:223], v[102:103], off
	v_add_co_u32 v128, vcc_lo, s4, v206
	v_add_co_ci_u32_e32 v129, vcc_lo, s5, v207, vcc_lo
	v_ashrrev_i32_e32 v206, 31, v205
	v_add_nc_u32_e64 v207, 0, 16
	s_waitcnt vmcnt(29)
	scratch_store_b128 off, v[3:6], off
	s_clause 0x1
	global_load_b128 v[1:4], v[106:107], off
	global_load_b128 v[224:227], v[108:109], off
	s_waitcnt vmcnt(30)
	scratch_store_b128 off, v[7:10], off offset:16
	s_waitcnt vmcnt(29)
	scratch_store_b128 off, v[14:17], off offset:32
	s_clause 0x1
	global_load_b128 v[5:8], v[110:111], off
	global_load_b128 v[9:12], v[112:113], off
	s_waitcnt vmcnt(30)
	scratch_store_b128 off, v[18:21], off offset:48
	s_waitcnt vmcnt(29)
	scratch_store_b128 off, v[22:25], off offset:64
	s_clause 0x1
	global_load_b128 v[14:17], v[114:115], off
	global_load_b128 v[18:21], v[116:117], off
	s_waitcnt vmcnt(30)
	scratch_store_b128 off, v[26:29], off offset:80
	s_waitcnt vmcnt(29)
	scratch_store_b128 off, v[30:33], off offset:96
	s_clause 0x1
	global_load_b128 v[22:25], v[118:119], off
	global_load_b128 v[26:29], v[120:121], off
	s_waitcnt vmcnt(30)
	scratch_store_b128 off, v[34:37], off offset:112
	s_waitcnt vmcnt(29)
	scratch_store_b128 off, v[38:41], off offset:128
	s_clause 0x1
	global_load_b128 v[30:33], v[122:123], off
	global_load_b128 v[34:37], v[124:125], off
	s_waitcnt vmcnt(30)
	scratch_store_b128 off, v[42:45], off offset:144
	s_waitcnt vmcnt(29)
	scratch_store_b128 off, v[130:133], off offset:160
	v_add_co_u32 v130, vcc_lo, s4, v228
	v_add_co_ci_u32_e32 v131, vcc_lo, s5, v229, vcc_lo
	v_add_co_u32 v132, vcc_lo, s4, v195
	v_add_co_ci_u32_e32 v133, vcc_lo, s5, v196, vcc_lo
	v_lshlrev_b64 v[195:196], 4, v[199:200]
	s_clause 0x1
	global_load_b128 v[38:41], v[126:127], off
	global_load_b128 v[42:45], v[128:129], off
	s_waitcnt vmcnt(30)
	scratch_store_b128 off, v[134:137], off offset:176
	s_waitcnt vmcnt(29)
	scratch_store_b128 off, v[138:141], off offset:192
	v_add_co_u32 v134, vcc_lo, s4, v197
	v_lshlrev_b64 v[138:139], 4, v[201:202]
	v_add_co_ci_u32_e32 v135, vcc_lo, s5, v198, vcc_lo
	v_add_co_u32 v136, vcc_lo, s4, v195
	v_lshlrev_b64 v[140:141], 4, v[203:204]
	v_add_co_ci_u32_e32 v137, vcc_lo, s5, v196, vcc_lo
	s_clause 0x1
	global_load_b128 v[228:231], v[130:131], off
	global_load_b128 v[232:235], v[132:133], off
	s_waitcnt vmcnt(30)
	scratch_store_b128 off, v[142:145], off offset:208
	s_waitcnt vmcnt(29)
	scratch_store_b128 off, v[146:149], off offset:224
	v_add_co_u32 v138, vcc_lo, s4, v138
	v_lshlrev_b64 v[142:143], 4, v[205:206]
	v_add_co_ci_u32_e32 v139, vcc_lo, s5, v139, vcc_lo
	v_add_co_u32 v140, vcc_lo, s4, v140
	v_lshlrev_b64 v[144:145], 4, v[244:245]
	v_add_co_ci_u32_e32 v141, vcc_lo, s5, v141, vcc_lo
	;; [unrolled: 3-line block ×4, first 2 shown]
	v_add_co_u32 v146, vcc_lo, s4, v146
	v_add_co_ci_u32_e32 v147, vcc_lo, s5, v147, vcc_lo
	s_delay_alu instid0(VALU_DEP_4)
	v_add_co_u32 v148, vcc_lo, s4, v148
	v_add_co_ci_u32_e32 v149, vcc_lo, s5, v149, vcc_lo
	s_clause 0x1
	global_load_b128 v[236:239], v[134:135], off
	global_load_b128 v[240:243], v[136:137], off
	s_waitcnt vmcnt(30)
	scratch_store_b128 off, v[150:153], off offset:240
	s_waitcnt vmcnt(29)
	scratch_store_b128 off, v[155:158], off offset:256
	v_add_co_u32 v150, vcc_lo, s4, v48
	v_add_co_ci_u32_e32 v151, vcc_lo, s5, v49, vcc_lo
	s_clause 0x1
	global_load_b128 v[244:247], v[138:139], off
	global_load_b128 v[248:251], v[140:141], off
	s_waitcnt vmcnt(30)
	scratch_store_b128 off, v[159:162], off offset:272
	s_waitcnt vmcnt(29)
	scratch_store_b128 off, v[163:166], off offset:288
	v_add_co_u32 v152, vcc_lo, s4, v50
	s_clause 0x1
	global_load_b128 v[252:255], v[142:143], off
	global_load_b128 v[155:158], v[144:145], off
	s_waitcnt vmcnt(30)
	scratch_store_b128 off, v[167:170], off offset:304
	s_waitcnt vmcnt(29)
	scratch_store_b128 off, v[171:174], off offset:320
	s_clause 0x1
	global_load_b128 v[159:162], v[146:147], off
	global_load_b128 v[163:166], v[148:149], off
	v_add_co_ci_u32_e32 v153, vcc_lo, s5, v51, vcc_lo
	global_load_b128 v[167:170], v[150:151], off
	s_movk_i32 s4, 0x70
	s_movk_i32 s5, 0x80
	global_load_b128 v[171:174], v[152:153], off
	s_waitcnt vmcnt(32)
	scratch_store_b128 off, v[175:178], off offset:336
	s_waitcnt vmcnt(31)
	scratch_store_b128 off, v[179:182], off offset:352
	v_add_nc_u32_e64 v206, 0, 32
	v_add_nc_u32_e64 v205, 0, 48
	;; [unrolled: 1-line block ×20, first 2 shown]
	s_mov_b32 s3, -1
	s_waitcnt vmcnt(30)
	scratch_store_b128 off, v[183:186], off offset:368
	s_waitcnt vmcnt(29)
	scratch_store_b128 off, v[187:190], off offset:384
	v_add_nc_u32_e64 v190, s23, 0
	s_waitcnt vmcnt(28)
	scratch_store_b128 off, v[191:194], off offset:400
	s_waitcnt vmcnt(27)
	scratch_store_b128 off, v[208:211], off offset:416
	v_add_nc_u32_e64 v194, s19, 0
	v_add_nc_u32_e64 v193, s20, 0
	;; [unrolled: 1-line block ×4, first 2 shown]
	s_waitcnt vmcnt(26)
	scratch_store_b128 off, v[212:215], off offset:432
	s_waitcnt vmcnt(25)
	scratch_store_b128 off, v[216:219], off offset:448
	v_add_nc_u32_e64 v189, s24, 0
	v_add_nc_u32_e64 v188, s25, 0
	;; [unrolled: 1-line block ×18, first 2 shown]
	s_waitcnt vmcnt(23)
	scratch_store_b128 off, v[1:4], off offset:464
	s_waitcnt vmcnt(22)
	scratch_store_b128 off, v[224:227], off offset:480
	v_add_nc_u32_e64 v225, s40, 0
	v_add_nc_u32_e64 v224, s41, 0
	s_waitcnt vmcnt(21)
	scratch_store_b128 off, v[5:8], off offset:496
	s_waitcnt vmcnt(20)
	scratch_store_b128 off, v[9:12], off offset:512
	;; [unrolled: 2-line block ×21, first 2 shown]
	v_add_nc_u32_e64 v156, s53, 0
	v_add_nc_u32_e64 v155, s54, 0
	;; [unrolled: 1-line block ×7, first 2 shown]
	s_waitcnt vmcnt(0)
	s_clause 0x1
	scratch_store_b128 off, v[171:174], off offset:832
	scratch_store_b128 off, v[220:223], off offset:848
	s_cbranch_scc1 .LBB117_228
; %bb.4:
	v_cmp_eq_u32_e64 s2, 0, v154
	s_delay_alu instid0(VALU_DEP_1)
	s_and_saveexec_b32 s3, s2
	s_cbranch_execz .LBB117_6
; %bb.5:
	v_mov_b32_e32 v1, 0
	ds_store_b32 v1, v1 offset:1728
.LBB117_6:
	s_or_b32 exec_lo, exec_lo, s3
	s_waitcnt lgkmcnt(0)
	s_waitcnt_vscnt null, 0x0
	s_barrier
	buffer_gl0_inv
	scratch_load_b128 v[1:4], v13, off
	s_waitcnt vmcnt(0)
	v_cmp_eq_f64_e32 vcc_lo, 0, v[1:2]
	v_cmp_eq_f64_e64 s3, 0, v[3:4]
	s_delay_alu instid0(VALU_DEP_1) | instskip(NEXT) | instid1(SALU_CYCLE_1)
	s_and_b32 s3, vcc_lo, s3
	s_and_saveexec_b32 s4, s3
	s_cbranch_execz .LBB117_10
; %bb.7:
	v_mov_b32_e32 v1, 0
	s_mov_b32 s5, 0
	ds_load_b32 v2, v1 offset:1728
	s_waitcnt lgkmcnt(0)
	v_readfirstlane_b32 s3, v2
	v_add_nc_u32_e32 v2, 1, v154
	s_delay_alu instid0(VALU_DEP_2) | instskip(NEXT) | instid1(VALU_DEP_1)
	s_cmp_eq_u32 s3, 0
	v_cmp_gt_i32_e32 vcc_lo, s3, v2
	s_cselect_b32 s12, -1, 0
	s_delay_alu instid0(SALU_CYCLE_1) | instskip(NEXT) | instid1(SALU_CYCLE_1)
	s_or_b32 s12, s12, vcc_lo
	s_and_b32 exec_lo, exec_lo, s12
	s_cbranch_execz .LBB117_10
; %bb.8:
	v_mov_b32_e32 v3, s3
.LBB117_9:                              ; =>This Inner Loop Header: Depth=1
	ds_cmpstore_rtn_b32 v3, v1, v2, v3 offset:1728
	s_waitcnt lgkmcnt(0)
	v_cmp_ne_u32_e32 vcc_lo, 0, v3
	v_cmp_le_i32_e64 s3, v3, v2
	s_delay_alu instid0(VALU_DEP_1) | instskip(NEXT) | instid1(SALU_CYCLE_1)
	s_and_b32 s3, vcc_lo, s3
	s_and_b32 s3, exec_lo, s3
	s_delay_alu instid0(SALU_CYCLE_1) | instskip(NEXT) | instid1(SALU_CYCLE_1)
	s_or_b32 s5, s3, s5
	s_and_not1_b32 exec_lo, exec_lo, s5
	s_cbranch_execnz .LBB117_9
.LBB117_10:
	s_or_b32 exec_lo, exec_lo, s4
	v_mov_b32_e32 v1, 0
	s_barrier
	buffer_gl0_inv
	ds_load_b32 v2, v1 offset:1728
	s_and_saveexec_b32 s3, s2
	s_cbranch_execz .LBB117_12
; %bb.11:
	s_lshl_b64 s[4:5], s[10:11], 2
	s_delay_alu instid0(SALU_CYCLE_1)
	s_add_u32 s4, s6, s4
	s_addc_u32 s5, s7, s5
	s_waitcnt lgkmcnt(0)
	global_store_b32 v1, v2, s[4:5]
.LBB117_12:
	s_or_b32 exec_lo, exec_lo, s3
	s_waitcnt lgkmcnt(0)
	v_cmp_ne_u32_e32 vcc_lo, 0, v2
	s_mov_b32 s3, 0
	s_cbranch_vccnz .LBB117_228
; %bb.13:
	v_add_nc_u32_e32 v14, 0, v13
                                        ; implicit-def: $vgpr9_vgpr10
	scratch_load_b128 v[1:4], v14, off
	s_waitcnt vmcnt(0)
	v_mov_b32_e32 v5, v1
	v_cmp_gt_f64_e32 vcc_lo, 0, v[1:2]
	v_xor_b32_e32 v6, 0x80000000, v2
	v_xor_b32_e32 v7, 0x80000000, v4
	s_delay_alu instid0(VALU_DEP_2) | instskip(SKIP_1) | instid1(VALU_DEP_3)
	v_cndmask_b32_e32 v6, v2, v6, vcc_lo
	v_cmp_gt_f64_e32 vcc_lo, 0, v[3:4]
	v_dual_cndmask_b32 v8, v4, v7 :: v_dual_mov_b32 v7, v3
	s_delay_alu instid0(VALU_DEP_1) | instskip(SKIP_1) | instid1(SALU_CYCLE_1)
	v_cmp_ngt_f64_e32 vcc_lo, v[5:6], v[7:8]
                                        ; implicit-def: $vgpr5_vgpr6
	s_and_saveexec_b32 s3, vcc_lo
	s_xor_b32 s3, exec_lo, s3
	s_cbranch_execz .LBB117_15
; %bb.14:
	v_div_scale_f64 v[5:6], null, v[3:4], v[3:4], v[1:2]
	v_div_scale_f64 v[11:12], vcc_lo, v[1:2], v[3:4], v[1:2]
	s_delay_alu instid0(VALU_DEP_2) | instskip(SKIP_2) | instid1(VALU_DEP_1)
	v_rcp_f64_e32 v[7:8], v[5:6]
	s_waitcnt_depctr 0xfff
	v_fma_f64 v[9:10], -v[5:6], v[7:8], 1.0
	v_fma_f64 v[7:8], v[7:8], v[9:10], v[7:8]
	s_delay_alu instid0(VALU_DEP_1) | instskip(NEXT) | instid1(VALU_DEP_1)
	v_fma_f64 v[9:10], -v[5:6], v[7:8], 1.0
	v_fma_f64 v[7:8], v[7:8], v[9:10], v[7:8]
	s_delay_alu instid0(VALU_DEP_1) | instskip(NEXT) | instid1(VALU_DEP_1)
	v_mul_f64 v[9:10], v[11:12], v[7:8]
	v_fma_f64 v[5:6], -v[5:6], v[9:10], v[11:12]
	s_delay_alu instid0(VALU_DEP_1) | instskip(NEXT) | instid1(VALU_DEP_1)
	v_div_fmas_f64 v[5:6], v[5:6], v[7:8], v[9:10]
	v_div_fixup_f64 v[5:6], v[5:6], v[3:4], v[1:2]
	s_delay_alu instid0(VALU_DEP_1) | instskip(NEXT) | instid1(VALU_DEP_1)
	v_fma_f64 v[1:2], v[1:2], v[5:6], v[3:4]
	v_div_scale_f64 v[3:4], null, v[1:2], v[1:2], 1.0
	v_div_scale_f64 v[11:12], vcc_lo, 1.0, v[1:2], 1.0
	s_delay_alu instid0(VALU_DEP_2) | instskip(SKIP_2) | instid1(VALU_DEP_1)
	v_rcp_f64_e32 v[7:8], v[3:4]
	s_waitcnt_depctr 0xfff
	v_fma_f64 v[9:10], -v[3:4], v[7:8], 1.0
	v_fma_f64 v[7:8], v[7:8], v[9:10], v[7:8]
	s_delay_alu instid0(VALU_DEP_1) | instskip(NEXT) | instid1(VALU_DEP_1)
	v_fma_f64 v[9:10], -v[3:4], v[7:8], 1.0
	v_fma_f64 v[7:8], v[7:8], v[9:10], v[7:8]
	s_delay_alu instid0(VALU_DEP_1) | instskip(NEXT) | instid1(VALU_DEP_1)
	v_mul_f64 v[9:10], v[11:12], v[7:8]
	v_fma_f64 v[3:4], -v[3:4], v[9:10], v[11:12]
	s_delay_alu instid0(VALU_DEP_1) | instskip(NEXT) | instid1(VALU_DEP_1)
	v_div_fmas_f64 v[3:4], v[3:4], v[7:8], v[9:10]
	v_div_fixup_f64 v[7:8], v[3:4], v[1:2], 1.0
                                        ; implicit-def: $vgpr1_vgpr2
	s_delay_alu instid0(VALU_DEP_1) | instskip(SKIP_1) | instid1(VALU_DEP_2)
	v_mul_f64 v[5:6], v[5:6], v[7:8]
	v_xor_b32_e32 v8, 0x80000000, v8
	v_xor_b32_e32 v10, 0x80000000, v6
	s_delay_alu instid0(VALU_DEP_3)
	v_mov_b32_e32 v9, v5
.LBB117_15:
	s_and_not1_saveexec_b32 s3, s3
	s_cbranch_execz .LBB117_17
; %bb.16:
	v_div_scale_f64 v[5:6], null, v[1:2], v[1:2], v[3:4]
	v_div_scale_f64 v[11:12], vcc_lo, v[3:4], v[1:2], v[3:4]
	s_delay_alu instid0(VALU_DEP_2) | instskip(SKIP_2) | instid1(VALU_DEP_1)
	v_rcp_f64_e32 v[7:8], v[5:6]
	s_waitcnt_depctr 0xfff
	v_fma_f64 v[9:10], -v[5:6], v[7:8], 1.0
	v_fma_f64 v[7:8], v[7:8], v[9:10], v[7:8]
	s_delay_alu instid0(VALU_DEP_1) | instskip(NEXT) | instid1(VALU_DEP_1)
	v_fma_f64 v[9:10], -v[5:6], v[7:8], 1.0
	v_fma_f64 v[7:8], v[7:8], v[9:10], v[7:8]
	s_delay_alu instid0(VALU_DEP_1) | instskip(NEXT) | instid1(VALU_DEP_1)
	v_mul_f64 v[9:10], v[11:12], v[7:8]
	v_fma_f64 v[5:6], -v[5:6], v[9:10], v[11:12]
	s_delay_alu instid0(VALU_DEP_1) | instskip(NEXT) | instid1(VALU_DEP_1)
	v_div_fmas_f64 v[5:6], v[5:6], v[7:8], v[9:10]
	v_div_fixup_f64 v[7:8], v[5:6], v[1:2], v[3:4]
	s_delay_alu instid0(VALU_DEP_1) | instskip(NEXT) | instid1(VALU_DEP_1)
	v_fma_f64 v[1:2], v[3:4], v[7:8], v[1:2]
	v_div_scale_f64 v[3:4], null, v[1:2], v[1:2], 1.0
	s_delay_alu instid0(VALU_DEP_1) | instskip(SKIP_2) | instid1(VALU_DEP_1)
	v_rcp_f64_e32 v[5:6], v[3:4]
	s_waitcnt_depctr 0xfff
	v_fma_f64 v[9:10], -v[3:4], v[5:6], 1.0
	v_fma_f64 v[5:6], v[5:6], v[9:10], v[5:6]
	s_delay_alu instid0(VALU_DEP_1) | instskip(NEXT) | instid1(VALU_DEP_1)
	v_fma_f64 v[9:10], -v[3:4], v[5:6], 1.0
	v_fma_f64 v[5:6], v[5:6], v[9:10], v[5:6]
	v_div_scale_f64 v[9:10], vcc_lo, 1.0, v[1:2], 1.0
	s_delay_alu instid0(VALU_DEP_1) | instskip(NEXT) | instid1(VALU_DEP_1)
	v_mul_f64 v[11:12], v[9:10], v[5:6]
	v_fma_f64 v[3:4], -v[3:4], v[11:12], v[9:10]
	s_delay_alu instid0(VALU_DEP_1) | instskip(NEXT) | instid1(VALU_DEP_1)
	v_div_fmas_f64 v[3:4], v[3:4], v[5:6], v[11:12]
	v_div_fixup_f64 v[5:6], v[3:4], v[1:2], 1.0
	s_delay_alu instid0(VALU_DEP_1)
	v_mul_f64 v[7:8], v[7:8], -v[5:6]
	v_xor_b32_e32 v10, 0x80000000, v6
	v_mov_b32_e32 v9, v5
.LBB117_17:
	s_or_b32 exec_lo, exec_lo, s3
	scratch_store_b128 v14, v[5:8], off
	scratch_load_b128 v[1:4], v207, off
	v_xor_b32_e32 v12, 0x80000000, v8
	v_mov_b32_e32 v11, v7
	v_add_nc_u32_e32 v5, 0x360, v13
	ds_store_b128 v13, v[9:12]
	s_waitcnt vmcnt(0)
	ds_store_b128 v13, v[1:4] offset:864
	s_waitcnt lgkmcnt(0)
	s_waitcnt_vscnt null, 0x0
	s_barrier
	buffer_gl0_inv
	s_and_saveexec_b32 s3, s2
	s_cbranch_execz .LBB117_19
; %bb.18:
	scratch_load_b128 v[1:4], v14, off
	ds_load_b128 v[6:9], v5
	v_mov_b32_e32 v10, 0
	ds_load_b128 v[15:18], v10 offset:16
	s_waitcnt vmcnt(0) lgkmcnt(1)
	v_mul_f64 v[10:11], v[6:7], v[3:4]
	v_mul_f64 v[3:4], v[8:9], v[3:4]
	s_delay_alu instid0(VALU_DEP_2) | instskip(NEXT) | instid1(VALU_DEP_2)
	v_fma_f64 v[8:9], v[8:9], v[1:2], v[10:11]
	v_fma_f64 v[1:2], v[6:7], v[1:2], -v[3:4]
	s_delay_alu instid0(VALU_DEP_2) | instskip(NEXT) | instid1(VALU_DEP_2)
	v_add_f64 v[3:4], v[8:9], 0
	v_add_f64 v[1:2], v[1:2], 0
	s_waitcnt lgkmcnt(0)
	s_delay_alu instid0(VALU_DEP_2) | instskip(NEXT) | instid1(VALU_DEP_2)
	v_mul_f64 v[6:7], v[3:4], v[17:18]
	v_mul_f64 v[8:9], v[1:2], v[17:18]
	s_delay_alu instid0(VALU_DEP_2) | instskip(NEXT) | instid1(VALU_DEP_2)
	v_fma_f64 v[1:2], v[1:2], v[15:16], -v[6:7]
	v_fma_f64 v[3:4], v[3:4], v[15:16], v[8:9]
	scratch_store_b128 off, v[1:4], off offset:16
.LBB117_19:
	s_or_b32 exec_lo, exec_lo, s3
	s_waitcnt_vscnt null, 0x0
	s_barrier
	buffer_gl0_inv
	scratch_load_b128 v[1:4], v206, off
	s_mov_b32 s3, exec_lo
	s_waitcnt vmcnt(0)
	ds_store_b128 v5, v[1:4]
	s_waitcnt lgkmcnt(0)
	s_barrier
	buffer_gl0_inv
	v_cmpx_gt_u32_e32 2, v154
	s_cbranch_execz .LBB117_23
; %bb.20:
	scratch_load_b128 v[1:4], v14, off
	ds_load_b128 v[6:9], v5
	s_waitcnt vmcnt(0) lgkmcnt(0)
	v_mul_f64 v[10:11], v[8:9], v[3:4]
	v_mul_f64 v[3:4], v[6:7], v[3:4]
	s_delay_alu instid0(VALU_DEP_2) | instskip(NEXT) | instid1(VALU_DEP_2)
	v_fma_f64 v[6:7], v[6:7], v[1:2], -v[10:11]
	v_fma_f64 v[3:4], v[8:9], v[1:2], v[3:4]
	s_delay_alu instid0(VALU_DEP_2) | instskip(NEXT) | instid1(VALU_DEP_2)
	v_add_f64 v[1:2], v[6:7], 0
	v_add_f64 v[3:4], v[3:4], 0
	s_and_saveexec_b32 s4, s2
	s_cbranch_execz .LBB117_22
; %bb.21:
	scratch_load_b128 v[6:9], off, off offset:16
	v_mov_b32_e32 v10, 0
	ds_load_b128 v[15:18], v10 offset:880
	s_waitcnt vmcnt(0) lgkmcnt(0)
	v_mul_f64 v[10:11], v[15:16], v[8:9]
	v_mul_f64 v[8:9], v[17:18], v[8:9]
	s_delay_alu instid0(VALU_DEP_2) | instskip(NEXT) | instid1(VALU_DEP_2)
	v_fma_f64 v[10:11], v[17:18], v[6:7], v[10:11]
	v_fma_f64 v[6:7], v[15:16], v[6:7], -v[8:9]
	s_delay_alu instid0(VALU_DEP_2) | instskip(NEXT) | instid1(VALU_DEP_2)
	v_add_f64 v[3:4], v[3:4], v[10:11]
	v_add_f64 v[1:2], v[1:2], v[6:7]
.LBB117_22:
	s_or_b32 exec_lo, exec_lo, s4
	v_mov_b32_e32 v6, 0
	ds_load_b128 v[6:9], v6 offset:32
	s_waitcnt lgkmcnt(0)
	v_mul_f64 v[10:11], v[3:4], v[8:9]
	v_mul_f64 v[8:9], v[1:2], v[8:9]
	s_delay_alu instid0(VALU_DEP_2) | instskip(NEXT) | instid1(VALU_DEP_2)
	v_fma_f64 v[1:2], v[1:2], v[6:7], -v[10:11]
	v_fma_f64 v[3:4], v[3:4], v[6:7], v[8:9]
	scratch_store_b128 off, v[1:4], off offset:32
.LBB117_23:
	s_or_b32 exec_lo, exec_lo, s3
	s_waitcnt_vscnt null, 0x0
	s_barrier
	buffer_gl0_inv
	scratch_load_b128 v[1:4], v205, off
	v_add_nc_u32_e32 v6, -1, v154
	s_mov_b32 s2, exec_lo
	s_waitcnt vmcnt(0)
	ds_store_b128 v5, v[1:4]
	s_waitcnt lgkmcnt(0)
	s_barrier
	buffer_gl0_inv
	v_cmpx_gt_u32_e32 3, v154
	s_cbranch_execz .LBB117_27
; %bb.24:
	v_dual_mov_b32 v1, 0 :: v_dual_add_nc_u32 v8, 0x360, v13
	v_dual_mov_b32 v2, 0 :: v_dual_add_nc_u32 v7, -1, v154
	v_or_b32_e32 v9, 8, v14
	s_mov_b32 s3, 0
	s_delay_alu instid0(VALU_DEP_2)
	v_dual_mov_b32 v4, v2 :: v_dual_mov_b32 v3, v1
	.p2align	6
.LBB117_25:                             ; =>This Inner Loop Header: Depth=1
	scratch_load_b128 v[15:18], v9, off offset:-8
	ds_load_b128 v[19:22], v8
	v_add_nc_u32_e32 v7, 1, v7
	v_add_nc_u32_e32 v8, 16, v8
	;; [unrolled: 1-line block ×3, first 2 shown]
	s_delay_alu instid0(VALU_DEP_3) | instskip(SKIP_4) | instid1(VALU_DEP_2)
	v_cmp_lt_u32_e32 vcc_lo, 1, v7
	s_or_b32 s3, vcc_lo, s3
	s_waitcnt vmcnt(0) lgkmcnt(0)
	v_mul_f64 v[10:11], v[21:22], v[17:18]
	v_mul_f64 v[17:18], v[19:20], v[17:18]
	v_fma_f64 v[10:11], v[19:20], v[15:16], -v[10:11]
	s_delay_alu instid0(VALU_DEP_2) | instskip(NEXT) | instid1(VALU_DEP_2)
	v_fma_f64 v[15:16], v[21:22], v[15:16], v[17:18]
	v_add_f64 v[3:4], v[3:4], v[10:11]
	s_delay_alu instid0(VALU_DEP_2)
	v_add_f64 v[1:2], v[1:2], v[15:16]
	s_and_not1_b32 exec_lo, exec_lo, s3
	s_cbranch_execnz .LBB117_25
; %bb.26:
	s_or_b32 exec_lo, exec_lo, s3
	v_mov_b32_e32 v7, 0
	ds_load_b128 v[7:10], v7 offset:48
	s_waitcnt lgkmcnt(0)
	v_mul_f64 v[11:12], v[1:2], v[9:10]
	v_mul_f64 v[15:16], v[3:4], v[9:10]
	s_delay_alu instid0(VALU_DEP_2) | instskip(NEXT) | instid1(VALU_DEP_2)
	v_fma_f64 v[9:10], v[3:4], v[7:8], -v[11:12]
	v_fma_f64 v[11:12], v[1:2], v[7:8], v[15:16]
	scratch_store_b128 off, v[9:12], off offset:48
.LBB117_27:
	s_or_b32 exec_lo, exec_lo, s2
	s_waitcnt_vscnt null, 0x0
	s_barrier
	buffer_gl0_inv
	scratch_load_b128 v[1:4], v204, off
	s_mov_b32 s2, exec_lo
	s_waitcnt vmcnt(0)
	ds_store_b128 v5, v[1:4]
	s_waitcnt lgkmcnt(0)
	s_barrier
	buffer_gl0_inv
	v_cmpx_gt_u32_e32 4, v154
	s_cbranch_execz .LBB117_31
; %bb.28:
	v_dual_mov_b32 v1, 0 :: v_dual_add_nc_u32 v8, 0x360, v13
	v_dual_mov_b32 v2, 0 :: v_dual_add_nc_u32 v7, -1, v154
	v_or_b32_e32 v9, 8, v14
	s_mov_b32 s3, 0
	s_delay_alu instid0(VALU_DEP_2)
	v_dual_mov_b32 v4, v2 :: v_dual_mov_b32 v3, v1
	.p2align	6
.LBB117_29:                             ; =>This Inner Loop Header: Depth=1
	scratch_load_b128 v[15:18], v9, off offset:-8
	ds_load_b128 v[19:22], v8
	v_add_nc_u32_e32 v7, 1, v7
	v_add_nc_u32_e32 v8, 16, v8
	;; [unrolled: 1-line block ×3, first 2 shown]
	s_delay_alu instid0(VALU_DEP_3) | instskip(SKIP_4) | instid1(VALU_DEP_2)
	v_cmp_lt_u32_e32 vcc_lo, 2, v7
	s_or_b32 s3, vcc_lo, s3
	s_waitcnt vmcnt(0) lgkmcnt(0)
	v_mul_f64 v[10:11], v[21:22], v[17:18]
	v_mul_f64 v[17:18], v[19:20], v[17:18]
	v_fma_f64 v[10:11], v[19:20], v[15:16], -v[10:11]
	s_delay_alu instid0(VALU_DEP_2) | instskip(NEXT) | instid1(VALU_DEP_2)
	v_fma_f64 v[15:16], v[21:22], v[15:16], v[17:18]
	v_add_f64 v[3:4], v[3:4], v[10:11]
	s_delay_alu instid0(VALU_DEP_2)
	v_add_f64 v[1:2], v[1:2], v[15:16]
	s_and_not1_b32 exec_lo, exec_lo, s3
	s_cbranch_execnz .LBB117_29
; %bb.30:
	s_or_b32 exec_lo, exec_lo, s3
	v_mov_b32_e32 v7, 0
	ds_load_b128 v[7:10], v7 offset:64
	s_waitcnt lgkmcnt(0)
	v_mul_f64 v[11:12], v[1:2], v[9:10]
	v_mul_f64 v[15:16], v[3:4], v[9:10]
	s_delay_alu instid0(VALU_DEP_2) | instskip(NEXT) | instid1(VALU_DEP_2)
	v_fma_f64 v[9:10], v[3:4], v[7:8], -v[11:12]
	v_fma_f64 v[11:12], v[1:2], v[7:8], v[15:16]
	scratch_store_b128 off, v[9:12], off offset:64
.LBB117_31:
	s_or_b32 exec_lo, exec_lo, s2
	s_waitcnt_vscnt null, 0x0
	s_barrier
	buffer_gl0_inv
	scratch_load_b128 v[1:4], v203, off
	s_mov_b32 s2, exec_lo
	s_waitcnt vmcnt(0)
	ds_store_b128 v5, v[1:4]
	s_waitcnt lgkmcnt(0)
	s_barrier
	buffer_gl0_inv
	v_cmpx_gt_u32_e32 5, v154
	s_cbranch_execz .LBB117_35
; %bb.32:
	v_dual_mov_b32 v1, 0 :: v_dual_add_nc_u32 v8, 0x360, v13
	v_dual_mov_b32 v2, 0 :: v_dual_add_nc_u32 v7, -1, v154
	v_or_b32_e32 v9, 8, v14
	s_mov_b32 s3, 0
	s_delay_alu instid0(VALU_DEP_2)
	v_dual_mov_b32 v4, v2 :: v_dual_mov_b32 v3, v1
	.p2align	6
.LBB117_33:                             ; =>This Inner Loop Header: Depth=1
	scratch_load_b128 v[15:18], v9, off offset:-8
	ds_load_b128 v[19:22], v8
	v_add_nc_u32_e32 v7, 1, v7
	v_add_nc_u32_e32 v8, 16, v8
	;; [unrolled: 1-line block ×3, first 2 shown]
	s_delay_alu instid0(VALU_DEP_3) | instskip(SKIP_4) | instid1(VALU_DEP_2)
	v_cmp_lt_u32_e32 vcc_lo, 3, v7
	s_or_b32 s3, vcc_lo, s3
	s_waitcnt vmcnt(0) lgkmcnt(0)
	v_mul_f64 v[10:11], v[21:22], v[17:18]
	v_mul_f64 v[17:18], v[19:20], v[17:18]
	v_fma_f64 v[10:11], v[19:20], v[15:16], -v[10:11]
	s_delay_alu instid0(VALU_DEP_2) | instskip(NEXT) | instid1(VALU_DEP_2)
	v_fma_f64 v[15:16], v[21:22], v[15:16], v[17:18]
	v_add_f64 v[3:4], v[3:4], v[10:11]
	s_delay_alu instid0(VALU_DEP_2)
	v_add_f64 v[1:2], v[1:2], v[15:16]
	s_and_not1_b32 exec_lo, exec_lo, s3
	s_cbranch_execnz .LBB117_33
; %bb.34:
	s_or_b32 exec_lo, exec_lo, s3
	v_mov_b32_e32 v7, 0
	ds_load_b128 v[7:10], v7 offset:80
	s_waitcnt lgkmcnt(0)
	v_mul_f64 v[11:12], v[1:2], v[9:10]
	v_mul_f64 v[15:16], v[3:4], v[9:10]
	s_delay_alu instid0(VALU_DEP_2) | instskip(NEXT) | instid1(VALU_DEP_2)
	v_fma_f64 v[9:10], v[3:4], v[7:8], -v[11:12]
	v_fma_f64 v[11:12], v[1:2], v[7:8], v[15:16]
	scratch_store_b128 off, v[9:12], off offset:80
.LBB117_35:
	s_or_b32 exec_lo, exec_lo, s2
	s_waitcnt_vscnt null, 0x0
	s_barrier
	buffer_gl0_inv
	scratch_load_b128 v[1:4], v202, off
	s_mov_b32 s2, exec_lo
	s_waitcnt vmcnt(0)
	ds_store_b128 v5, v[1:4]
	s_waitcnt lgkmcnt(0)
	s_barrier
	buffer_gl0_inv
	v_cmpx_gt_u32_e32 6, v154
	s_cbranch_execz .LBB117_39
; %bb.36:
	v_dual_mov_b32 v1, 0 :: v_dual_add_nc_u32 v8, 0x360, v13
	v_dual_mov_b32 v2, 0 :: v_dual_add_nc_u32 v7, -1, v154
	v_or_b32_e32 v9, 8, v14
	s_mov_b32 s3, 0
	s_delay_alu instid0(VALU_DEP_2)
	v_dual_mov_b32 v4, v2 :: v_dual_mov_b32 v3, v1
	.p2align	6
.LBB117_37:                             ; =>This Inner Loop Header: Depth=1
	scratch_load_b128 v[15:18], v9, off offset:-8
	ds_load_b128 v[19:22], v8
	v_add_nc_u32_e32 v7, 1, v7
	v_add_nc_u32_e32 v8, 16, v8
	v_add_nc_u32_e32 v9, 16, v9
	s_delay_alu instid0(VALU_DEP_3) | instskip(SKIP_4) | instid1(VALU_DEP_2)
	v_cmp_lt_u32_e32 vcc_lo, 4, v7
	s_or_b32 s3, vcc_lo, s3
	s_waitcnt vmcnt(0) lgkmcnt(0)
	v_mul_f64 v[10:11], v[21:22], v[17:18]
	v_mul_f64 v[17:18], v[19:20], v[17:18]
	v_fma_f64 v[10:11], v[19:20], v[15:16], -v[10:11]
	s_delay_alu instid0(VALU_DEP_2) | instskip(NEXT) | instid1(VALU_DEP_2)
	v_fma_f64 v[15:16], v[21:22], v[15:16], v[17:18]
	v_add_f64 v[3:4], v[3:4], v[10:11]
	s_delay_alu instid0(VALU_DEP_2)
	v_add_f64 v[1:2], v[1:2], v[15:16]
	s_and_not1_b32 exec_lo, exec_lo, s3
	s_cbranch_execnz .LBB117_37
; %bb.38:
	s_or_b32 exec_lo, exec_lo, s3
	v_mov_b32_e32 v7, 0
	ds_load_b128 v[7:10], v7 offset:96
	s_waitcnt lgkmcnt(0)
	v_mul_f64 v[11:12], v[1:2], v[9:10]
	v_mul_f64 v[15:16], v[3:4], v[9:10]
	s_delay_alu instid0(VALU_DEP_2) | instskip(NEXT) | instid1(VALU_DEP_2)
	v_fma_f64 v[9:10], v[3:4], v[7:8], -v[11:12]
	v_fma_f64 v[11:12], v[1:2], v[7:8], v[15:16]
	scratch_store_b128 off, v[9:12], off offset:96
.LBB117_39:
	s_or_b32 exec_lo, exec_lo, s2
	s_waitcnt_vscnt null, 0x0
	s_barrier
	buffer_gl0_inv
	scratch_load_b128 v[1:4], v201, off
	s_mov_b32 s2, exec_lo
	s_waitcnt vmcnt(0)
	ds_store_b128 v5, v[1:4]
	s_waitcnt lgkmcnt(0)
	s_barrier
	buffer_gl0_inv
	v_cmpx_gt_u32_e32 7, v154
	s_cbranch_execz .LBB117_43
; %bb.40:
	v_dual_mov_b32 v1, 0 :: v_dual_add_nc_u32 v8, 0x360, v13
	v_dual_mov_b32 v2, 0 :: v_dual_add_nc_u32 v7, -1, v154
	v_or_b32_e32 v9, 8, v14
	s_mov_b32 s3, 0
	s_delay_alu instid0(VALU_DEP_2)
	v_dual_mov_b32 v4, v2 :: v_dual_mov_b32 v3, v1
	.p2align	6
.LBB117_41:                             ; =>This Inner Loop Header: Depth=1
	scratch_load_b128 v[15:18], v9, off offset:-8
	ds_load_b128 v[19:22], v8
	v_add_nc_u32_e32 v7, 1, v7
	v_add_nc_u32_e32 v8, 16, v8
	;; [unrolled: 1-line block ×3, first 2 shown]
	s_delay_alu instid0(VALU_DEP_3) | instskip(SKIP_4) | instid1(VALU_DEP_2)
	v_cmp_lt_u32_e32 vcc_lo, 5, v7
	s_or_b32 s3, vcc_lo, s3
	s_waitcnt vmcnt(0) lgkmcnt(0)
	v_mul_f64 v[10:11], v[21:22], v[17:18]
	v_mul_f64 v[17:18], v[19:20], v[17:18]
	v_fma_f64 v[10:11], v[19:20], v[15:16], -v[10:11]
	s_delay_alu instid0(VALU_DEP_2) | instskip(NEXT) | instid1(VALU_DEP_2)
	v_fma_f64 v[15:16], v[21:22], v[15:16], v[17:18]
	v_add_f64 v[3:4], v[3:4], v[10:11]
	s_delay_alu instid0(VALU_DEP_2)
	v_add_f64 v[1:2], v[1:2], v[15:16]
	s_and_not1_b32 exec_lo, exec_lo, s3
	s_cbranch_execnz .LBB117_41
; %bb.42:
	s_or_b32 exec_lo, exec_lo, s3
	v_mov_b32_e32 v7, 0
	ds_load_b128 v[7:10], v7 offset:112
	s_waitcnt lgkmcnt(0)
	v_mul_f64 v[11:12], v[1:2], v[9:10]
	v_mul_f64 v[15:16], v[3:4], v[9:10]
	s_delay_alu instid0(VALU_DEP_2) | instskip(NEXT) | instid1(VALU_DEP_2)
	v_fma_f64 v[9:10], v[3:4], v[7:8], -v[11:12]
	v_fma_f64 v[11:12], v[1:2], v[7:8], v[15:16]
	scratch_store_b128 off, v[9:12], off offset:112
.LBB117_43:
	s_or_b32 exec_lo, exec_lo, s2
	s_waitcnt_vscnt null, 0x0
	s_barrier
	buffer_gl0_inv
	scratch_load_b128 v[1:4], v200, off
	s_mov_b32 s2, exec_lo
	s_waitcnt vmcnt(0)
	ds_store_b128 v5, v[1:4]
	s_waitcnt lgkmcnt(0)
	s_barrier
	buffer_gl0_inv
	v_cmpx_gt_u32_e32 8, v154
	s_cbranch_execz .LBB117_47
; %bb.44:
	v_dual_mov_b32 v1, 0 :: v_dual_add_nc_u32 v8, 0x360, v13
	v_dual_mov_b32 v2, 0 :: v_dual_add_nc_u32 v7, -1, v154
	v_or_b32_e32 v9, 8, v14
	s_mov_b32 s3, 0
	s_delay_alu instid0(VALU_DEP_2)
	v_dual_mov_b32 v4, v2 :: v_dual_mov_b32 v3, v1
	.p2align	6
.LBB117_45:                             ; =>This Inner Loop Header: Depth=1
	scratch_load_b128 v[15:18], v9, off offset:-8
	ds_load_b128 v[19:22], v8
	v_add_nc_u32_e32 v7, 1, v7
	v_add_nc_u32_e32 v8, 16, v8
	;; [unrolled: 1-line block ×3, first 2 shown]
	s_delay_alu instid0(VALU_DEP_3) | instskip(SKIP_4) | instid1(VALU_DEP_2)
	v_cmp_lt_u32_e32 vcc_lo, 6, v7
	s_or_b32 s3, vcc_lo, s3
	s_waitcnt vmcnt(0) lgkmcnt(0)
	v_mul_f64 v[10:11], v[21:22], v[17:18]
	v_mul_f64 v[17:18], v[19:20], v[17:18]
	v_fma_f64 v[10:11], v[19:20], v[15:16], -v[10:11]
	s_delay_alu instid0(VALU_DEP_2) | instskip(NEXT) | instid1(VALU_DEP_2)
	v_fma_f64 v[15:16], v[21:22], v[15:16], v[17:18]
	v_add_f64 v[3:4], v[3:4], v[10:11]
	s_delay_alu instid0(VALU_DEP_2)
	v_add_f64 v[1:2], v[1:2], v[15:16]
	s_and_not1_b32 exec_lo, exec_lo, s3
	s_cbranch_execnz .LBB117_45
; %bb.46:
	s_or_b32 exec_lo, exec_lo, s3
	v_mov_b32_e32 v7, 0
	ds_load_b128 v[7:10], v7 offset:128
	s_waitcnt lgkmcnt(0)
	v_mul_f64 v[11:12], v[1:2], v[9:10]
	v_mul_f64 v[15:16], v[3:4], v[9:10]
	s_delay_alu instid0(VALU_DEP_2) | instskip(NEXT) | instid1(VALU_DEP_2)
	v_fma_f64 v[9:10], v[3:4], v[7:8], -v[11:12]
	v_fma_f64 v[11:12], v[1:2], v[7:8], v[15:16]
	scratch_store_b128 off, v[9:12], off offset:128
.LBB117_47:
	s_or_b32 exec_lo, exec_lo, s2
	s_waitcnt_vscnt null, 0x0
	s_barrier
	buffer_gl0_inv
	scratch_load_b128 v[1:4], v199, off
	s_mov_b32 s2, exec_lo
	s_waitcnt vmcnt(0)
	ds_store_b128 v5, v[1:4]
	s_waitcnt lgkmcnt(0)
	s_barrier
	buffer_gl0_inv
	v_cmpx_gt_u32_e32 9, v154
	s_cbranch_execz .LBB117_51
; %bb.48:
	v_dual_mov_b32 v1, 0 :: v_dual_add_nc_u32 v8, 0x360, v13
	v_dual_mov_b32 v2, 0 :: v_dual_add_nc_u32 v7, -1, v154
	v_or_b32_e32 v9, 8, v14
	s_mov_b32 s3, 0
	s_delay_alu instid0(VALU_DEP_2)
	v_dual_mov_b32 v4, v2 :: v_dual_mov_b32 v3, v1
	.p2align	6
.LBB117_49:                             ; =>This Inner Loop Header: Depth=1
	scratch_load_b128 v[15:18], v9, off offset:-8
	ds_load_b128 v[19:22], v8
	v_add_nc_u32_e32 v7, 1, v7
	v_add_nc_u32_e32 v8, 16, v8
	;; [unrolled: 1-line block ×3, first 2 shown]
	s_delay_alu instid0(VALU_DEP_3) | instskip(SKIP_4) | instid1(VALU_DEP_2)
	v_cmp_lt_u32_e32 vcc_lo, 7, v7
	s_or_b32 s3, vcc_lo, s3
	s_waitcnt vmcnt(0) lgkmcnt(0)
	v_mul_f64 v[10:11], v[21:22], v[17:18]
	v_mul_f64 v[17:18], v[19:20], v[17:18]
	v_fma_f64 v[10:11], v[19:20], v[15:16], -v[10:11]
	s_delay_alu instid0(VALU_DEP_2) | instskip(NEXT) | instid1(VALU_DEP_2)
	v_fma_f64 v[15:16], v[21:22], v[15:16], v[17:18]
	v_add_f64 v[3:4], v[3:4], v[10:11]
	s_delay_alu instid0(VALU_DEP_2)
	v_add_f64 v[1:2], v[1:2], v[15:16]
	s_and_not1_b32 exec_lo, exec_lo, s3
	s_cbranch_execnz .LBB117_49
; %bb.50:
	s_or_b32 exec_lo, exec_lo, s3
	v_mov_b32_e32 v7, 0
	ds_load_b128 v[7:10], v7 offset:144
	s_waitcnt lgkmcnt(0)
	v_mul_f64 v[11:12], v[1:2], v[9:10]
	v_mul_f64 v[15:16], v[3:4], v[9:10]
	s_delay_alu instid0(VALU_DEP_2) | instskip(NEXT) | instid1(VALU_DEP_2)
	v_fma_f64 v[9:10], v[3:4], v[7:8], -v[11:12]
	v_fma_f64 v[11:12], v[1:2], v[7:8], v[15:16]
	scratch_store_b128 off, v[9:12], off offset:144
.LBB117_51:
	s_or_b32 exec_lo, exec_lo, s2
	s_waitcnt_vscnt null, 0x0
	s_barrier
	buffer_gl0_inv
	scratch_load_b128 v[1:4], v198, off
	s_mov_b32 s2, exec_lo
	s_waitcnt vmcnt(0)
	ds_store_b128 v5, v[1:4]
	s_waitcnt lgkmcnt(0)
	s_barrier
	buffer_gl0_inv
	v_cmpx_gt_u32_e32 10, v154
	s_cbranch_execz .LBB117_55
; %bb.52:
	v_dual_mov_b32 v1, 0 :: v_dual_add_nc_u32 v8, 0x360, v13
	v_dual_mov_b32 v2, 0 :: v_dual_add_nc_u32 v7, -1, v154
	v_or_b32_e32 v9, 8, v14
	s_mov_b32 s3, 0
	s_delay_alu instid0(VALU_DEP_2)
	v_dual_mov_b32 v4, v2 :: v_dual_mov_b32 v3, v1
	.p2align	6
.LBB117_53:                             ; =>This Inner Loop Header: Depth=1
	scratch_load_b128 v[15:18], v9, off offset:-8
	ds_load_b128 v[19:22], v8
	v_add_nc_u32_e32 v7, 1, v7
	v_add_nc_u32_e32 v8, 16, v8
	;; [unrolled: 1-line block ×3, first 2 shown]
	s_delay_alu instid0(VALU_DEP_3) | instskip(SKIP_4) | instid1(VALU_DEP_2)
	v_cmp_lt_u32_e32 vcc_lo, 8, v7
	s_or_b32 s3, vcc_lo, s3
	s_waitcnt vmcnt(0) lgkmcnt(0)
	v_mul_f64 v[10:11], v[21:22], v[17:18]
	v_mul_f64 v[17:18], v[19:20], v[17:18]
	v_fma_f64 v[10:11], v[19:20], v[15:16], -v[10:11]
	s_delay_alu instid0(VALU_DEP_2) | instskip(NEXT) | instid1(VALU_DEP_2)
	v_fma_f64 v[15:16], v[21:22], v[15:16], v[17:18]
	v_add_f64 v[3:4], v[3:4], v[10:11]
	s_delay_alu instid0(VALU_DEP_2)
	v_add_f64 v[1:2], v[1:2], v[15:16]
	s_and_not1_b32 exec_lo, exec_lo, s3
	s_cbranch_execnz .LBB117_53
; %bb.54:
	s_or_b32 exec_lo, exec_lo, s3
	v_mov_b32_e32 v7, 0
	ds_load_b128 v[7:10], v7 offset:160
	s_waitcnt lgkmcnt(0)
	v_mul_f64 v[11:12], v[1:2], v[9:10]
	v_mul_f64 v[15:16], v[3:4], v[9:10]
	s_delay_alu instid0(VALU_DEP_2) | instskip(NEXT) | instid1(VALU_DEP_2)
	v_fma_f64 v[9:10], v[3:4], v[7:8], -v[11:12]
	v_fma_f64 v[11:12], v[1:2], v[7:8], v[15:16]
	scratch_store_b128 off, v[9:12], off offset:160
.LBB117_55:
	s_or_b32 exec_lo, exec_lo, s2
	s_waitcnt_vscnt null, 0x0
	s_barrier
	buffer_gl0_inv
	scratch_load_b128 v[1:4], v197, off
	s_mov_b32 s2, exec_lo
	s_waitcnt vmcnt(0)
	ds_store_b128 v5, v[1:4]
	s_waitcnt lgkmcnt(0)
	s_barrier
	buffer_gl0_inv
	v_cmpx_gt_u32_e32 11, v154
	s_cbranch_execz .LBB117_59
; %bb.56:
	v_dual_mov_b32 v1, 0 :: v_dual_add_nc_u32 v8, 0x360, v13
	v_dual_mov_b32 v2, 0 :: v_dual_add_nc_u32 v7, -1, v154
	v_or_b32_e32 v9, 8, v14
	s_mov_b32 s3, 0
	s_delay_alu instid0(VALU_DEP_2)
	v_dual_mov_b32 v4, v2 :: v_dual_mov_b32 v3, v1
	.p2align	6
.LBB117_57:                             ; =>This Inner Loop Header: Depth=1
	scratch_load_b128 v[15:18], v9, off offset:-8
	ds_load_b128 v[19:22], v8
	v_add_nc_u32_e32 v7, 1, v7
	v_add_nc_u32_e32 v8, 16, v8
	;; [unrolled: 1-line block ×3, first 2 shown]
	s_delay_alu instid0(VALU_DEP_3) | instskip(SKIP_4) | instid1(VALU_DEP_2)
	v_cmp_lt_u32_e32 vcc_lo, 9, v7
	s_or_b32 s3, vcc_lo, s3
	s_waitcnt vmcnt(0) lgkmcnt(0)
	v_mul_f64 v[10:11], v[21:22], v[17:18]
	v_mul_f64 v[17:18], v[19:20], v[17:18]
	v_fma_f64 v[10:11], v[19:20], v[15:16], -v[10:11]
	s_delay_alu instid0(VALU_DEP_2) | instskip(NEXT) | instid1(VALU_DEP_2)
	v_fma_f64 v[15:16], v[21:22], v[15:16], v[17:18]
	v_add_f64 v[3:4], v[3:4], v[10:11]
	s_delay_alu instid0(VALU_DEP_2)
	v_add_f64 v[1:2], v[1:2], v[15:16]
	s_and_not1_b32 exec_lo, exec_lo, s3
	s_cbranch_execnz .LBB117_57
; %bb.58:
	s_or_b32 exec_lo, exec_lo, s3
	v_mov_b32_e32 v7, 0
	ds_load_b128 v[7:10], v7 offset:176
	s_waitcnt lgkmcnt(0)
	v_mul_f64 v[11:12], v[1:2], v[9:10]
	v_mul_f64 v[15:16], v[3:4], v[9:10]
	s_delay_alu instid0(VALU_DEP_2) | instskip(NEXT) | instid1(VALU_DEP_2)
	v_fma_f64 v[9:10], v[3:4], v[7:8], -v[11:12]
	v_fma_f64 v[11:12], v[1:2], v[7:8], v[15:16]
	scratch_store_b128 off, v[9:12], off offset:176
.LBB117_59:
	s_or_b32 exec_lo, exec_lo, s2
	s_waitcnt_vscnt null, 0x0
	s_barrier
	buffer_gl0_inv
	scratch_load_b128 v[1:4], v196, off
	s_mov_b32 s2, exec_lo
	s_waitcnt vmcnt(0)
	ds_store_b128 v5, v[1:4]
	s_waitcnt lgkmcnt(0)
	s_barrier
	buffer_gl0_inv
	v_cmpx_gt_u32_e32 12, v154
	s_cbranch_execz .LBB117_63
; %bb.60:
	v_dual_mov_b32 v1, 0 :: v_dual_add_nc_u32 v8, 0x360, v13
	v_dual_mov_b32 v2, 0 :: v_dual_add_nc_u32 v7, -1, v154
	v_or_b32_e32 v9, 8, v14
	s_mov_b32 s3, 0
	s_delay_alu instid0(VALU_DEP_2)
	v_dual_mov_b32 v4, v2 :: v_dual_mov_b32 v3, v1
	.p2align	6
.LBB117_61:                             ; =>This Inner Loop Header: Depth=1
	scratch_load_b128 v[15:18], v9, off offset:-8
	ds_load_b128 v[19:22], v8
	v_add_nc_u32_e32 v7, 1, v7
	v_add_nc_u32_e32 v8, 16, v8
	;; [unrolled: 1-line block ×3, first 2 shown]
	s_delay_alu instid0(VALU_DEP_3) | instskip(SKIP_4) | instid1(VALU_DEP_2)
	v_cmp_lt_u32_e32 vcc_lo, 10, v7
	s_or_b32 s3, vcc_lo, s3
	s_waitcnt vmcnt(0) lgkmcnt(0)
	v_mul_f64 v[10:11], v[21:22], v[17:18]
	v_mul_f64 v[17:18], v[19:20], v[17:18]
	v_fma_f64 v[10:11], v[19:20], v[15:16], -v[10:11]
	s_delay_alu instid0(VALU_DEP_2) | instskip(NEXT) | instid1(VALU_DEP_2)
	v_fma_f64 v[15:16], v[21:22], v[15:16], v[17:18]
	v_add_f64 v[3:4], v[3:4], v[10:11]
	s_delay_alu instid0(VALU_DEP_2)
	v_add_f64 v[1:2], v[1:2], v[15:16]
	s_and_not1_b32 exec_lo, exec_lo, s3
	s_cbranch_execnz .LBB117_61
; %bb.62:
	s_or_b32 exec_lo, exec_lo, s3
	v_mov_b32_e32 v7, 0
	ds_load_b128 v[7:10], v7 offset:192
	s_waitcnt lgkmcnt(0)
	v_mul_f64 v[11:12], v[1:2], v[9:10]
	v_mul_f64 v[15:16], v[3:4], v[9:10]
	s_delay_alu instid0(VALU_DEP_2) | instskip(NEXT) | instid1(VALU_DEP_2)
	v_fma_f64 v[9:10], v[3:4], v[7:8], -v[11:12]
	v_fma_f64 v[11:12], v[1:2], v[7:8], v[15:16]
	scratch_store_b128 off, v[9:12], off offset:192
.LBB117_63:
	s_or_b32 exec_lo, exec_lo, s2
	s_waitcnt_vscnt null, 0x0
	s_barrier
	buffer_gl0_inv
	scratch_load_b128 v[1:4], v195, off
	s_mov_b32 s2, exec_lo
	s_waitcnt vmcnt(0)
	ds_store_b128 v5, v[1:4]
	s_waitcnt lgkmcnt(0)
	s_barrier
	buffer_gl0_inv
	v_cmpx_gt_u32_e32 13, v154
	s_cbranch_execz .LBB117_67
; %bb.64:
	v_dual_mov_b32 v1, 0 :: v_dual_add_nc_u32 v8, 0x360, v13
	v_dual_mov_b32 v2, 0 :: v_dual_add_nc_u32 v7, -1, v154
	v_or_b32_e32 v9, 8, v14
	s_mov_b32 s3, 0
	s_delay_alu instid0(VALU_DEP_2)
	v_dual_mov_b32 v4, v2 :: v_dual_mov_b32 v3, v1
	.p2align	6
.LBB117_65:                             ; =>This Inner Loop Header: Depth=1
	scratch_load_b128 v[15:18], v9, off offset:-8
	ds_load_b128 v[19:22], v8
	v_add_nc_u32_e32 v7, 1, v7
	v_add_nc_u32_e32 v8, 16, v8
	;; [unrolled: 1-line block ×3, first 2 shown]
	s_delay_alu instid0(VALU_DEP_3) | instskip(SKIP_4) | instid1(VALU_DEP_2)
	v_cmp_lt_u32_e32 vcc_lo, 11, v7
	s_or_b32 s3, vcc_lo, s3
	s_waitcnt vmcnt(0) lgkmcnt(0)
	v_mul_f64 v[10:11], v[21:22], v[17:18]
	v_mul_f64 v[17:18], v[19:20], v[17:18]
	v_fma_f64 v[10:11], v[19:20], v[15:16], -v[10:11]
	s_delay_alu instid0(VALU_DEP_2) | instskip(NEXT) | instid1(VALU_DEP_2)
	v_fma_f64 v[15:16], v[21:22], v[15:16], v[17:18]
	v_add_f64 v[3:4], v[3:4], v[10:11]
	s_delay_alu instid0(VALU_DEP_2)
	v_add_f64 v[1:2], v[1:2], v[15:16]
	s_and_not1_b32 exec_lo, exec_lo, s3
	s_cbranch_execnz .LBB117_65
; %bb.66:
	s_or_b32 exec_lo, exec_lo, s3
	v_mov_b32_e32 v7, 0
	ds_load_b128 v[7:10], v7 offset:208
	s_waitcnt lgkmcnt(0)
	v_mul_f64 v[11:12], v[1:2], v[9:10]
	v_mul_f64 v[15:16], v[3:4], v[9:10]
	s_delay_alu instid0(VALU_DEP_2) | instskip(NEXT) | instid1(VALU_DEP_2)
	v_fma_f64 v[9:10], v[3:4], v[7:8], -v[11:12]
	v_fma_f64 v[11:12], v[1:2], v[7:8], v[15:16]
	scratch_store_b128 off, v[9:12], off offset:208
.LBB117_67:
	s_or_b32 exec_lo, exec_lo, s2
	s_waitcnt_vscnt null, 0x0
	s_barrier
	buffer_gl0_inv
	scratch_load_b128 v[1:4], v194, off
	s_mov_b32 s2, exec_lo
	s_waitcnt vmcnt(0)
	ds_store_b128 v5, v[1:4]
	s_waitcnt lgkmcnt(0)
	s_barrier
	buffer_gl0_inv
	v_cmpx_gt_u32_e32 14, v154
	s_cbranch_execz .LBB117_71
; %bb.68:
	v_dual_mov_b32 v1, 0 :: v_dual_add_nc_u32 v8, 0x360, v13
	v_dual_mov_b32 v2, 0 :: v_dual_add_nc_u32 v7, -1, v154
	v_or_b32_e32 v9, 8, v14
	s_mov_b32 s3, 0
	s_delay_alu instid0(VALU_DEP_2)
	v_dual_mov_b32 v4, v2 :: v_dual_mov_b32 v3, v1
	.p2align	6
.LBB117_69:                             ; =>This Inner Loop Header: Depth=1
	scratch_load_b128 v[15:18], v9, off offset:-8
	ds_load_b128 v[19:22], v8
	v_add_nc_u32_e32 v7, 1, v7
	v_add_nc_u32_e32 v8, 16, v8
	;; [unrolled: 1-line block ×3, first 2 shown]
	s_delay_alu instid0(VALU_DEP_3) | instskip(SKIP_4) | instid1(VALU_DEP_2)
	v_cmp_lt_u32_e32 vcc_lo, 12, v7
	s_or_b32 s3, vcc_lo, s3
	s_waitcnt vmcnt(0) lgkmcnt(0)
	v_mul_f64 v[10:11], v[21:22], v[17:18]
	v_mul_f64 v[17:18], v[19:20], v[17:18]
	v_fma_f64 v[10:11], v[19:20], v[15:16], -v[10:11]
	s_delay_alu instid0(VALU_DEP_2) | instskip(NEXT) | instid1(VALU_DEP_2)
	v_fma_f64 v[15:16], v[21:22], v[15:16], v[17:18]
	v_add_f64 v[3:4], v[3:4], v[10:11]
	s_delay_alu instid0(VALU_DEP_2)
	v_add_f64 v[1:2], v[1:2], v[15:16]
	s_and_not1_b32 exec_lo, exec_lo, s3
	s_cbranch_execnz .LBB117_69
; %bb.70:
	s_or_b32 exec_lo, exec_lo, s3
	v_mov_b32_e32 v7, 0
	ds_load_b128 v[7:10], v7 offset:224
	s_waitcnt lgkmcnt(0)
	v_mul_f64 v[11:12], v[1:2], v[9:10]
	v_mul_f64 v[15:16], v[3:4], v[9:10]
	s_delay_alu instid0(VALU_DEP_2) | instskip(NEXT) | instid1(VALU_DEP_2)
	v_fma_f64 v[9:10], v[3:4], v[7:8], -v[11:12]
	v_fma_f64 v[11:12], v[1:2], v[7:8], v[15:16]
	scratch_store_b128 off, v[9:12], off offset:224
.LBB117_71:
	s_or_b32 exec_lo, exec_lo, s2
	s_waitcnt_vscnt null, 0x0
	s_barrier
	buffer_gl0_inv
	scratch_load_b128 v[1:4], v193, off
	s_mov_b32 s2, exec_lo
	s_waitcnt vmcnt(0)
	ds_store_b128 v5, v[1:4]
	s_waitcnt lgkmcnt(0)
	s_barrier
	buffer_gl0_inv
	v_cmpx_gt_u32_e32 15, v154
	s_cbranch_execz .LBB117_75
; %bb.72:
	v_dual_mov_b32 v1, 0 :: v_dual_add_nc_u32 v8, 0x360, v13
	v_dual_mov_b32 v2, 0 :: v_dual_add_nc_u32 v7, -1, v154
	v_or_b32_e32 v9, 8, v14
	s_mov_b32 s3, 0
	s_delay_alu instid0(VALU_DEP_2)
	v_dual_mov_b32 v4, v2 :: v_dual_mov_b32 v3, v1
	.p2align	6
.LBB117_73:                             ; =>This Inner Loop Header: Depth=1
	scratch_load_b128 v[15:18], v9, off offset:-8
	ds_load_b128 v[19:22], v8
	v_add_nc_u32_e32 v7, 1, v7
	v_add_nc_u32_e32 v8, 16, v8
	;; [unrolled: 1-line block ×3, first 2 shown]
	s_delay_alu instid0(VALU_DEP_3) | instskip(SKIP_4) | instid1(VALU_DEP_2)
	v_cmp_lt_u32_e32 vcc_lo, 13, v7
	s_or_b32 s3, vcc_lo, s3
	s_waitcnt vmcnt(0) lgkmcnt(0)
	v_mul_f64 v[10:11], v[21:22], v[17:18]
	v_mul_f64 v[17:18], v[19:20], v[17:18]
	v_fma_f64 v[10:11], v[19:20], v[15:16], -v[10:11]
	s_delay_alu instid0(VALU_DEP_2) | instskip(NEXT) | instid1(VALU_DEP_2)
	v_fma_f64 v[15:16], v[21:22], v[15:16], v[17:18]
	v_add_f64 v[3:4], v[3:4], v[10:11]
	s_delay_alu instid0(VALU_DEP_2)
	v_add_f64 v[1:2], v[1:2], v[15:16]
	s_and_not1_b32 exec_lo, exec_lo, s3
	s_cbranch_execnz .LBB117_73
; %bb.74:
	s_or_b32 exec_lo, exec_lo, s3
	v_mov_b32_e32 v7, 0
	ds_load_b128 v[7:10], v7 offset:240
	s_waitcnt lgkmcnt(0)
	v_mul_f64 v[11:12], v[1:2], v[9:10]
	v_mul_f64 v[15:16], v[3:4], v[9:10]
	s_delay_alu instid0(VALU_DEP_2) | instskip(NEXT) | instid1(VALU_DEP_2)
	v_fma_f64 v[9:10], v[3:4], v[7:8], -v[11:12]
	v_fma_f64 v[11:12], v[1:2], v[7:8], v[15:16]
	scratch_store_b128 off, v[9:12], off offset:240
.LBB117_75:
	s_or_b32 exec_lo, exec_lo, s2
	s_waitcnt_vscnt null, 0x0
	s_barrier
	buffer_gl0_inv
	scratch_load_b128 v[1:4], v192, off
	s_mov_b32 s2, exec_lo
	s_waitcnt vmcnt(0)
	ds_store_b128 v5, v[1:4]
	s_waitcnt lgkmcnt(0)
	s_barrier
	buffer_gl0_inv
	v_cmpx_gt_u32_e32 16, v154
	s_cbranch_execz .LBB117_79
; %bb.76:
	v_dual_mov_b32 v1, 0 :: v_dual_add_nc_u32 v8, 0x360, v13
	v_dual_mov_b32 v2, 0 :: v_dual_add_nc_u32 v7, -1, v154
	v_or_b32_e32 v9, 8, v14
	s_mov_b32 s3, 0
	s_delay_alu instid0(VALU_DEP_2)
	v_dual_mov_b32 v4, v2 :: v_dual_mov_b32 v3, v1
	.p2align	6
.LBB117_77:                             ; =>This Inner Loop Header: Depth=1
	scratch_load_b128 v[15:18], v9, off offset:-8
	ds_load_b128 v[19:22], v8
	v_add_nc_u32_e32 v7, 1, v7
	v_add_nc_u32_e32 v8, 16, v8
	;; [unrolled: 1-line block ×3, first 2 shown]
	s_delay_alu instid0(VALU_DEP_3) | instskip(SKIP_4) | instid1(VALU_DEP_2)
	v_cmp_lt_u32_e32 vcc_lo, 14, v7
	s_or_b32 s3, vcc_lo, s3
	s_waitcnt vmcnt(0) lgkmcnt(0)
	v_mul_f64 v[10:11], v[21:22], v[17:18]
	v_mul_f64 v[17:18], v[19:20], v[17:18]
	v_fma_f64 v[10:11], v[19:20], v[15:16], -v[10:11]
	s_delay_alu instid0(VALU_DEP_2) | instskip(NEXT) | instid1(VALU_DEP_2)
	v_fma_f64 v[15:16], v[21:22], v[15:16], v[17:18]
	v_add_f64 v[3:4], v[3:4], v[10:11]
	s_delay_alu instid0(VALU_DEP_2)
	v_add_f64 v[1:2], v[1:2], v[15:16]
	s_and_not1_b32 exec_lo, exec_lo, s3
	s_cbranch_execnz .LBB117_77
; %bb.78:
	s_or_b32 exec_lo, exec_lo, s3
	v_mov_b32_e32 v7, 0
	ds_load_b128 v[7:10], v7 offset:256
	s_waitcnt lgkmcnt(0)
	v_mul_f64 v[11:12], v[1:2], v[9:10]
	v_mul_f64 v[15:16], v[3:4], v[9:10]
	s_delay_alu instid0(VALU_DEP_2) | instskip(NEXT) | instid1(VALU_DEP_2)
	v_fma_f64 v[9:10], v[3:4], v[7:8], -v[11:12]
	v_fma_f64 v[11:12], v[1:2], v[7:8], v[15:16]
	scratch_store_b128 off, v[9:12], off offset:256
.LBB117_79:
	s_or_b32 exec_lo, exec_lo, s2
	s_waitcnt_vscnt null, 0x0
	s_barrier
	buffer_gl0_inv
	scratch_load_b128 v[1:4], v191, off
	s_mov_b32 s2, exec_lo
	s_waitcnt vmcnt(0)
	ds_store_b128 v5, v[1:4]
	s_waitcnt lgkmcnt(0)
	s_barrier
	buffer_gl0_inv
	v_cmpx_gt_u32_e32 17, v154
	s_cbranch_execz .LBB117_83
; %bb.80:
	v_dual_mov_b32 v1, 0 :: v_dual_add_nc_u32 v8, 0x360, v13
	v_dual_mov_b32 v2, 0 :: v_dual_add_nc_u32 v7, -1, v154
	v_or_b32_e32 v9, 8, v14
	s_mov_b32 s3, 0
	s_delay_alu instid0(VALU_DEP_2)
	v_dual_mov_b32 v4, v2 :: v_dual_mov_b32 v3, v1
	.p2align	6
.LBB117_81:                             ; =>This Inner Loop Header: Depth=1
	scratch_load_b128 v[15:18], v9, off offset:-8
	ds_load_b128 v[19:22], v8
	v_add_nc_u32_e32 v7, 1, v7
	v_add_nc_u32_e32 v8, 16, v8
	;; [unrolled: 1-line block ×3, first 2 shown]
	s_delay_alu instid0(VALU_DEP_3) | instskip(SKIP_4) | instid1(VALU_DEP_2)
	v_cmp_lt_u32_e32 vcc_lo, 15, v7
	s_or_b32 s3, vcc_lo, s3
	s_waitcnt vmcnt(0) lgkmcnt(0)
	v_mul_f64 v[10:11], v[21:22], v[17:18]
	v_mul_f64 v[17:18], v[19:20], v[17:18]
	v_fma_f64 v[10:11], v[19:20], v[15:16], -v[10:11]
	s_delay_alu instid0(VALU_DEP_2) | instskip(NEXT) | instid1(VALU_DEP_2)
	v_fma_f64 v[15:16], v[21:22], v[15:16], v[17:18]
	v_add_f64 v[3:4], v[3:4], v[10:11]
	s_delay_alu instid0(VALU_DEP_2)
	v_add_f64 v[1:2], v[1:2], v[15:16]
	s_and_not1_b32 exec_lo, exec_lo, s3
	s_cbranch_execnz .LBB117_81
; %bb.82:
	s_or_b32 exec_lo, exec_lo, s3
	v_mov_b32_e32 v7, 0
	ds_load_b128 v[7:10], v7 offset:272
	s_waitcnt lgkmcnt(0)
	v_mul_f64 v[11:12], v[1:2], v[9:10]
	v_mul_f64 v[15:16], v[3:4], v[9:10]
	s_delay_alu instid0(VALU_DEP_2) | instskip(NEXT) | instid1(VALU_DEP_2)
	v_fma_f64 v[9:10], v[3:4], v[7:8], -v[11:12]
	v_fma_f64 v[11:12], v[1:2], v[7:8], v[15:16]
	scratch_store_b128 off, v[9:12], off offset:272
.LBB117_83:
	s_or_b32 exec_lo, exec_lo, s2
	s_waitcnt_vscnt null, 0x0
	s_barrier
	buffer_gl0_inv
	scratch_load_b128 v[1:4], v190, off
	s_mov_b32 s2, exec_lo
	s_waitcnt vmcnt(0)
	ds_store_b128 v5, v[1:4]
	s_waitcnt lgkmcnt(0)
	s_barrier
	buffer_gl0_inv
	v_cmpx_gt_u32_e32 18, v154
	s_cbranch_execz .LBB117_87
; %bb.84:
	v_dual_mov_b32 v1, 0 :: v_dual_add_nc_u32 v8, 0x360, v13
	v_dual_mov_b32 v2, 0 :: v_dual_add_nc_u32 v7, -1, v154
	v_or_b32_e32 v9, 8, v14
	s_mov_b32 s3, 0
	s_delay_alu instid0(VALU_DEP_2)
	v_dual_mov_b32 v4, v2 :: v_dual_mov_b32 v3, v1
	.p2align	6
.LBB117_85:                             ; =>This Inner Loop Header: Depth=1
	scratch_load_b128 v[15:18], v9, off offset:-8
	ds_load_b128 v[19:22], v8
	v_add_nc_u32_e32 v7, 1, v7
	v_add_nc_u32_e32 v8, 16, v8
	;; [unrolled: 1-line block ×3, first 2 shown]
	s_delay_alu instid0(VALU_DEP_3) | instskip(SKIP_4) | instid1(VALU_DEP_2)
	v_cmp_lt_u32_e32 vcc_lo, 16, v7
	s_or_b32 s3, vcc_lo, s3
	s_waitcnt vmcnt(0) lgkmcnt(0)
	v_mul_f64 v[10:11], v[21:22], v[17:18]
	v_mul_f64 v[17:18], v[19:20], v[17:18]
	v_fma_f64 v[10:11], v[19:20], v[15:16], -v[10:11]
	s_delay_alu instid0(VALU_DEP_2) | instskip(NEXT) | instid1(VALU_DEP_2)
	v_fma_f64 v[15:16], v[21:22], v[15:16], v[17:18]
	v_add_f64 v[3:4], v[3:4], v[10:11]
	s_delay_alu instid0(VALU_DEP_2)
	v_add_f64 v[1:2], v[1:2], v[15:16]
	s_and_not1_b32 exec_lo, exec_lo, s3
	s_cbranch_execnz .LBB117_85
; %bb.86:
	s_or_b32 exec_lo, exec_lo, s3
	v_mov_b32_e32 v7, 0
	ds_load_b128 v[7:10], v7 offset:288
	s_waitcnt lgkmcnt(0)
	v_mul_f64 v[11:12], v[1:2], v[9:10]
	v_mul_f64 v[15:16], v[3:4], v[9:10]
	s_delay_alu instid0(VALU_DEP_2) | instskip(NEXT) | instid1(VALU_DEP_2)
	v_fma_f64 v[9:10], v[3:4], v[7:8], -v[11:12]
	v_fma_f64 v[11:12], v[1:2], v[7:8], v[15:16]
	scratch_store_b128 off, v[9:12], off offset:288
.LBB117_87:
	s_or_b32 exec_lo, exec_lo, s2
	s_waitcnt_vscnt null, 0x0
	s_barrier
	buffer_gl0_inv
	scratch_load_b128 v[1:4], v189, off
	s_mov_b32 s2, exec_lo
	s_waitcnt vmcnt(0)
	ds_store_b128 v5, v[1:4]
	s_waitcnt lgkmcnt(0)
	s_barrier
	buffer_gl0_inv
	v_cmpx_gt_u32_e32 19, v154
	s_cbranch_execz .LBB117_91
; %bb.88:
	v_dual_mov_b32 v1, 0 :: v_dual_add_nc_u32 v8, 0x360, v13
	v_dual_mov_b32 v2, 0 :: v_dual_add_nc_u32 v7, -1, v154
	v_or_b32_e32 v9, 8, v14
	s_mov_b32 s3, 0
	s_delay_alu instid0(VALU_DEP_2)
	v_dual_mov_b32 v4, v2 :: v_dual_mov_b32 v3, v1
	.p2align	6
.LBB117_89:                             ; =>This Inner Loop Header: Depth=1
	scratch_load_b128 v[15:18], v9, off offset:-8
	ds_load_b128 v[19:22], v8
	v_add_nc_u32_e32 v7, 1, v7
	v_add_nc_u32_e32 v8, 16, v8
	;; [unrolled: 1-line block ×3, first 2 shown]
	s_delay_alu instid0(VALU_DEP_3) | instskip(SKIP_4) | instid1(VALU_DEP_2)
	v_cmp_lt_u32_e32 vcc_lo, 17, v7
	s_or_b32 s3, vcc_lo, s3
	s_waitcnt vmcnt(0) lgkmcnt(0)
	v_mul_f64 v[10:11], v[21:22], v[17:18]
	v_mul_f64 v[17:18], v[19:20], v[17:18]
	v_fma_f64 v[10:11], v[19:20], v[15:16], -v[10:11]
	s_delay_alu instid0(VALU_DEP_2) | instskip(NEXT) | instid1(VALU_DEP_2)
	v_fma_f64 v[15:16], v[21:22], v[15:16], v[17:18]
	v_add_f64 v[3:4], v[3:4], v[10:11]
	s_delay_alu instid0(VALU_DEP_2)
	v_add_f64 v[1:2], v[1:2], v[15:16]
	s_and_not1_b32 exec_lo, exec_lo, s3
	s_cbranch_execnz .LBB117_89
; %bb.90:
	s_or_b32 exec_lo, exec_lo, s3
	v_mov_b32_e32 v7, 0
	ds_load_b128 v[7:10], v7 offset:304
	s_waitcnt lgkmcnt(0)
	v_mul_f64 v[11:12], v[1:2], v[9:10]
	v_mul_f64 v[15:16], v[3:4], v[9:10]
	s_delay_alu instid0(VALU_DEP_2) | instskip(NEXT) | instid1(VALU_DEP_2)
	v_fma_f64 v[9:10], v[3:4], v[7:8], -v[11:12]
	v_fma_f64 v[11:12], v[1:2], v[7:8], v[15:16]
	scratch_store_b128 off, v[9:12], off offset:304
.LBB117_91:
	s_or_b32 exec_lo, exec_lo, s2
	s_waitcnt_vscnt null, 0x0
	s_barrier
	buffer_gl0_inv
	scratch_load_b128 v[1:4], v188, off
	s_mov_b32 s2, exec_lo
	s_waitcnt vmcnt(0)
	ds_store_b128 v5, v[1:4]
	s_waitcnt lgkmcnt(0)
	s_barrier
	buffer_gl0_inv
	v_cmpx_gt_u32_e32 20, v154
	s_cbranch_execz .LBB117_95
; %bb.92:
	v_dual_mov_b32 v1, 0 :: v_dual_add_nc_u32 v8, 0x360, v13
	v_dual_mov_b32 v2, 0 :: v_dual_add_nc_u32 v7, -1, v154
	v_or_b32_e32 v9, 8, v14
	s_mov_b32 s3, 0
	s_delay_alu instid0(VALU_DEP_2)
	v_dual_mov_b32 v4, v2 :: v_dual_mov_b32 v3, v1
	.p2align	6
.LBB117_93:                             ; =>This Inner Loop Header: Depth=1
	scratch_load_b128 v[15:18], v9, off offset:-8
	ds_load_b128 v[19:22], v8
	v_add_nc_u32_e32 v7, 1, v7
	v_add_nc_u32_e32 v8, 16, v8
	;; [unrolled: 1-line block ×3, first 2 shown]
	s_delay_alu instid0(VALU_DEP_3) | instskip(SKIP_4) | instid1(VALU_DEP_2)
	v_cmp_lt_u32_e32 vcc_lo, 18, v7
	s_or_b32 s3, vcc_lo, s3
	s_waitcnt vmcnt(0) lgkmcnt(0)
	v_mul_f64 v[10:11], v[21:22], v[17:18]
	v_mul_f64 v[17:18], v[19:20], v[17:18]
	v_fma_f64 v[10:11], v[19:20], v[15:16], -v[10:11]
	s_delay_alu instid0(VALU_DEP_2) | instskip(NEXT) | instid1(VALU_DEP_2)
	v_fma_f64 v[15:16], v[21:22], v[15:16], v[17:18]
	v_add_f64 v[3:4], v[3:4], v[10:11]
	s_delay_alu instid0(VALU_DEP_2)
	v_add_f64 v[1:2], v[1:2], v[15:16]
	s_and_not1_b32 exec_lo, exec_lo, s3
	s_cbranch_execnz .LBB117_93
; %bb.94:
	s_or_b32 exec_lo, exec_lo, s3
	v_mov_b32_e32 v7, 0
	ds_load_b128 v[7:10], v7 offset:320
	s_waitcnt lgkmcnt(0)
	v_mul_f64 v[11:12], v[1:2], v[9:10]
	v_mul_f64 v[15:16], v[3:4], v[9:10]
	s_delay_alu instid0(VALU_DEP_2) | instskip(NEXT) | instid1(VALU_DEP_2)
	v_fma_f64 v[9:10], v[3:4], v[7:8], -v[11:12]
	v_fma_f64 v[11:12], v[1:2], v[7:8], v[15:16]
	scratch_store_b128 off, v[9:12], off offset:320
.LBB117_95:
	s_or_b32 exec_lo, exec_lo, s2
	s_waitcnt_vscnt null, 0x0
	s_barrier
	buffer_gl0_inv
	scratch_load_b128 v[1:4], v187, off
	s_mov_b32 s2, exec_lo
	s_waitcnt vmcnt(0)
	ds_store_b128 v5, v[1:4]
	s_waitcnt lgkmcnt(0)
	s_barrier
	buffer_gl0_inv
	v_cmpx_gt_u32_e32 21, v154
	s_cbranch_execz .LBB117_99
; %bb.96:
	v_dual_mov_b32 v1, 0 :: v_dual_add_nc_u32 v8, 0x360, v13
	v_dual_mov_b32 v2, 0 :: v_dual_add_nc_u32 v7, -1, v154
	v_or_b32_e32 v9, 8, v14
	s_mov_b32 s3, 0
	s_delay_alu instid0(VALU_DEP_2)
	v_dual_mov_b32 v4, v2 :: v_dual_mov_b32 v3, v1
	.p2align	6
.LBB117_97:                             ; =>This Inner Loop Header: Depth=1
	scratch_load_b128 v[15:18], v9, off offset:-8
	ds_load_b128 v[19:22], v8
	v_add_nc_u32_e32 v7, 1, v7
	v_add_nc_u32_e32 v8, 16, v8
	;; [unrolled: 1-line block ×3, first 2 shown]
	s_delay_alu instid0(VALU_DEP_3) | instskip(SKIP_4) | instid1(VALU_DEP_2)
	v_cmp_lt_u32_e32 vcc_lo, 19, v7
	s_or_b32 s3, vcc_lo, s3
	s_waitcnt vmcnt(0) lgkmcnt(0)
	v_mul_f64 v[10:11], v[21:22], v[17:18]
	v_mul_f64 v[17:18], v[19:20], v[17:18]
	v_fma_f64 v[10:11], v[19:20], v[15:16], -v[10:11]
	s_delay_alu instid0(VALU_DEP_2) | instskip(NEXT) | instid1(VALU_DEP_2)
	v_fma_f64 v[15:16], v[21:22], v[15:16], v[17:18]
	v_add_f64 v[3:4], v[3:4], v[10:11]
	s_delay_alu instid0(VALU_DEP_2)
	v_add_f64 v[1:2], v[1:2], v[15:16]
	s_and_not1_b32 exec_lo, exec_lo, s3
	s_cbranch_execnz .LBB117_97
; %bb.98:
	s_or_b32 exec_lo, exec_lo, s3
	v_mov_b32_e32 v7, 0
	ds_load_b128 v[7:10], v7 offset:336
	s_waitcnt lgkmcnt(0)
	v_mul_f64 v[11:12], v[1:2], v[9:10]
	v_mul_f64 v[15:16], v[3:4], v[9:10]
	s_delay_alu instid0(VALU_DEP_2) | instskip(NEXT) | instid1(VALU_DEP_2)
	v_fma_f64 v[9:10], v[3:4], v[7:8], -v[11:12]
	v_fma_f64 v[11:12], v[1:2], v[7:8], v[15:16]
	scratch_store_b128 off, v[9:12], off offset:336
.LBB117_99:
	s_or_b32 exec_lo, exec_lo, s2
	s_waitcnt_vscnt null, 0x0
	s_barrier
	buffer_gl0_inv
	scratch_load_b128 v[1:4], v186, off
	s_mov_b32 s2, exec_lo
	s_waitcnt vmcnt(0)
	ds_store_b128 v5, v[1:4]
	s_waitcnt lgkmcnt(0)
	s_barrier
	buffer_gl0_inv
	v_cmpx_gt_u32_e32 22, v154
	s_cbranch_execz .LBB117_103
; %bb.100:
	v_dual_mov_b32 v1, 0 :: v_dual_add_nc_u32 v8, 0x360, v13
	v_dual_mov_b32 v2, 0 :: v_dual_add_nc_u32 v7, -1, v154
	v_or_b32_e32 v9, 8, v14
	s_mov_b32 s3, 0
	s_delay_alu instid0(VALU_DEP_2)
	v_dual_mov_b32 v4, v2 :: v_dual_mov_b32 v3, v1
	.p2align	6
.LBB117_101:                            ; =>This Inner Loop Header: Depth=1
	scratch_load_b128 v[15:18], v9, off offset:-8
	ds_load_b128 v[19:22], v8
	v_add_nc_u32_e32 v7, 1, v7
	v_add_nc_u32_e32 v8, 16, v8
	;; [unrolled: 1-line block ×3, first 2 shown]
	s_delay_alu instid0(VALU_DEP_3) | instskip(SKIP_4) | instid1(VALU_DEP_2)
	v_cmp_lt_u32_e32 vcc_lo, 20, v7
	s_or_b32 s3, vcc_lo, s3
	s_waitcnt vmcnt(0) lgkmcnt(0)
	v_mul_f64 v[10:11], v[21:22], v[17:18]
	v_mul_f64 v[17:18], v[19:20], v[17:18]
	v_fma_f64 v[10:11], v[19:20], v[15:16], -v[10:11]
	s_delay_alu instid0(VALU_DEP_2) | instskip(NEXT) | instid1(VALU_DEP_2)
	v_fma_f64 v[15:16], v[21:22], v[15:16], v[17:18]
	v_add_f64 v[3:4], v[3:4], v[10:11]
	s_delay_alu instid0(VALU_DEP_2)
	v_add_f64 v[1:2], v[1:2], v[15:16]
	s_and_not1_b32 exec_lo, exec_lo, s3
	s_cbranch_execnz .LBB117_101
; %bb.102:
	s_or_b32 exec_lo, exec_lo, s3
	v_mov_b32_e32 v7, 0
	ds_load_b128 v[7:10], v7 offset:352
	s_waitcnt lgkmcnt(0)
	v_mul_f64 v[11:12], v[1:2], v[9:10]
	v_mul_f64 v[15:16], v[3:4], v[9:10]
	s_delay_alu instid0(VALU_DEP_2) | instskip(NEXT) | instid1(VALU_DEP_2)
	v_fma_f64 v[9:10], v[3:4], v[7:8], -v[11:12]
	v_fma_f64 v[11:12], v[1:2], v[7:8], v[15:16]
	scratch_store_b128 off, v[9:12], off offset:352
.LBB117_103:
	s_or_b32 exec_lo, exec_lo, s2
	s_waitcnt_vscnt null, 0x0
	s_barrier
	buffer_gl0_inv
	scratch_load_b128 v[1:4], v185, off
	s_mov_b32 s2, exec_lo
	s_waitcnt vmcnt(0)
	ds_store_b128 v5, v[1:4]
	s_waitcnt lgkmcnt(0)
	s_barrier
	buffer_gl0_inv
	v_cmpx_gt_u32_e32 23, v154
	s_cbranch_execz .LBB117_107
; %bb.104:
	v_dual_mov_b32 v1, 0 :: v_dual_add_nc_u32 v8, 0x360, v13
	v_dual_mov_b32 v2, 0 :: v_dual_add_nc_u32 v7, -1, v154
	v_or_b32_e32 v9, 8, v14
	s_mov_b32 s3, 0
	s_delay_alu instid0(VALU_DEP_2)
	v_dual_mov_b32 v4, v2 :: v_dual_mov_b32 v3, v1
	.p2align	6
.LBB117_105:                            ; =>This Inner Loop Header: Depth=1
	scratch_load_b128 v[15:18], v9, off offset:-8
	ds_load_b128 v[19:22], v8
	v_add_nc_u32_e32 v7, 1, v7
	v_add_nc_u32_e32 v8, 16, v8
	;; [unrolled: 1-line block ×3, first 2 shown]
	s_delay_alu instid0(VALU_DEP_3) | instskip(SKIP_4) | instid1(VALU_DEP_2)
	v_cmp_lt_u32_e32 vcc_lo, 21, v7
	s_or_b32 s3, vcc_lo, s3
	s_waitcnt vmcnt(0) lgkmcnt(0)
	v_mul_f64 v[10:11], v[21:22], v[17:18]
	v_mul_f64 v[17:18], v[19:20], v[17:18]
	v_fma_f64 v[10:11], v[19:20], v[15:16], -v[10:11]
	s_delay_alu instid0(VALU_DEP_2) | instskip(NEXT) | instid1(VALU_DEP_2)
	v_fma_f64 v[15:16], v[21:22], v[15:16], v[17:18]
	v_add_f64 v[3:4], v[3:4], v[10:11]
	s_delay_alu instid0(VALU_DEP_2)
	v_add_f64 v[1:2], v[1:2], v[15:16]
	s_and_not1_b32 exec_lo, exec_lo, s3
	s_cbranch_execnz .LBB117_105
; %bb.106:
	s_or_b32 exec_lo, exec_lo, s3
	v_mov_b32_e32 v7, 0
	ds_load_b128 v[7:10], v7 offset:368
	s_waitcnt lgkmcnt(0)
	v_mul_f64 v[11:12], v[1:2], v[9:10]
	v_mul_f64 v[15:16], v[3:4], v[9:10]
	s_delay_alu instid0(VALU_DEP_2) | instskip(NEXT) | instid1(VALU_DEP_2)
	v_fma_f64 v[9:10], v[3:4], v[7:8], -v[11:12]
	v_fma_f64 v[11:12], v[1:2], v[7:8], v[15:16]
	scratch_store_b128 off, v[9:12], off offset:368
.LBB117_107:
	s_or_b32 exec_lo, exec_lo, s2
	s_waitcnt_vscnt null, 0x0
	s_barrier
	buffer_gl0_inv
	scratch_load_b128 v[1:4], v184, off
	s_mov_b32 s2, exec_lo
	s_waitcnt vmcnt(0)
	ds_store_b128 v5, v[1:4]
	s_waitcnt lgkmcnt(0)
	s_barrier
	buffer_gl0_inv
	v_cmpx_gt_u32_e32 24, v154
	s_cbranch_execz .LBB117_111
; %bb.108:
	v_dual_mov_b32 v1, 0 :: v_dual_add_nc_u32 v8, 0x360, v13
	v_dual_mov_b32 v2, 0 :: v_dual_add_nc_u32 v7, -1, v154
	v_or_b32_e32 v9, 8, v14
	s_mov_b32 s3, 0
	s_delay_alu instid0(VALU_DEP_2)
	v_dual_mov_b32 v4, v2 :: v_dual_mov_b32 v3, v1
	.p2align	6
.LBB117_109:                            ; =>This Inner Loop Header: Depth=1
	scratch_load_b128 v[15:18], v9, off offset:-8
	ds_load_b128 v[19:22], v8
	v_add_nc_u32_e32 v7, 1, v7
	v_add_nc_u32_e32 v8, 16, v8
	;; [unrolled: 1-line block ×3, first 2 shown]
	s_delay_alu instid0(VALU_DEP_3) | instskip(SKIP_4) | instid1(VALU_DEP_2)
	v_cmp_lt_u32_e32 vcc_lo, 22, v7
	s_or_b32 s3, vcc_lo, s3
	s_waitcnt vmcnt(0) lgkmcnt(0)
	v_mul_f64 v[10:11], v[21:22], v[17:18]
	v_mul_f64 v[17:18], v[19:20], v[17:18]
	v_fma_f64 v[10:11], v[19:20], v[15:16], -v[10:11]
	s_delay_alu instid0(VALU_DEP_2) | instskip(NEXT) | instid1(VALU_DEP_2)
	v_fma_f64 v[15:16], v[21:22], v[15:16], v[17:18]
	v_add_f64 v[3:4], v[3:4], v[10:11]
	s_delay_alu instid0(VALU_DEP_2)
	v_add_f64 v[1:2], v[1:2], v[15:16]
	s_and_not1_b32 exec_lo, exec_lo, s3
	s_cbranch_execnz .LBB117_109
; %bb.110:
	s_or_b32 exec_lo, exec_lo, s3
	v_mov_b32_e32 v7, 0
	ds_load_b128 v[7:10], v7 offset:384
	s_waitcnt lgkmcnt(0)
	v_mul_f64 v[11:12], v[1:2], v[9:10]
	v_mul_f64 v[15:16], v[3:4], v[9:10]
	s_delay_alu instid0(VALU_DEP_2) | instskip(NEXT) | instid1(VALU_DEP_2)
	v_fma_f64 v[9:10], v[3:4], v[7:8], -v[11:12]
	v_fma_f64 v[11:12], v[1:2], v[7:8], v[15:16]
	scratch_store_b128 off, v[9:12], off offset:384
.LBB117_111:
	s_or_b32 exec_lo, exec_lo, s2
	s_waitcnt_vscnt null, 0x0
	s_barrier
	buffer_gl0_inv
	scratch_load_b128 v[1:4], v183, off
	s_mov_b32 s2, exec_lo
	s_waitcnt vmcnt(0)
	ds_store_b128 v5, v[1:4]
	s_waitcnt lgkmcnt(0)
	s_barrier
	buffer_gl0_inv
	v_cmpx_gt_u32_e32 25, v154
	s_cbranch_execz .LBB117_115
; %bb.112:
	v_dual_mov_b32 v1, 0 :: v_dual_add_nc_u32 v8, 0x360, v13
	v_dual_mov_b32 v2, 0 :: v_dual_add_nc_u32 v7, -1, v154
	v_or_b32_e32 v9, 8, v14
	s_mov_b32 s3, 0
	s_delay_alu instid0(VALU_DEP_2)
	v_dual_mov_b32 v4, v2 :: v_dual_mov_b32 v3, v1
	.p2align	6
.LBB117_113:                            ; =>This Inner Loop Header: Depth=1
	scratch_load_b128 v[15:18], v9, off offset:-8
	ds_load_b128 v[19:22], v8
	v_add_nc_u32_e32 v7, 1, v7
	v_add_nc_u32_e32 v8, 16, v8
	;; [unrolled: 1-line block ×3, first 2 shown]
	s_delay_alu instid0(VALU_DEP_3) | instskip(SKIP_4) | instid1(VALU_DEP_2)
	v_cmp_lt_u32_e32 vcc_lo, 23, v7
	s_or_b32 s3, vcc_lo, s3
	s_waitcnt vmcnt(0) lgkmcnt(0)
	v_mul_f64 v[10:11], v[21:22], v[17:18]
	v_mul_f64 v[17:18], v[19:20], v[17:18]
	v_fma_f64 v[10:11], v[19:20], v[15:16], -v[10:11]
	s_delay_alu instid0(VALU_DEP_2) | instskip(NEXT) | instid1(VALU_DEP_2)
	v_fma_f64 v[15:16], v[21:22], v[15:16], v[17:18]
	v_add_f64 v[3:4], v[3:4], v[10:11]
	s_delay_alu instid0(VALU_DEP_2)
	v_add_f64 v[1:2], v[1:2], v[15:16]
	s_and_not1_b32 exec_lo, exec_lo, s3
	s_cbranch_execnz .LBB117_113
; %bb.114:
	s_or_b32 exec_lo, exec_lo, s3
	v_mov_b32_e32 v7, 0
	ds_load_b128 v[7:10], v7 offset:400
	s_waitcnt lgkmcnt(0)
	v_mul_f64 v[11:12], v[1:2], v[9:10]
	v_mul_f64 v[15:16], v[3:4], v[9:10]
	s_delay_alu instid0(VALU_DEP_2) | instskip(NEXT) | instid1(VALU_DEP_2)
	v_fma_f64 v[9:10], v[3:4], v[7:8], -v[11:12]
	v_fma_f64 v[11:12], v[1:2], v[7:8], v[15:16]
	scratch_store_b128 off, v[9:12], off offset:400
.LBB117_115:
	s_or_b32 exec_lo, exec_lo, s2
	s_waitcnt_vscnt null, 0x0
	s_barrier
	buffer_gl0_inv
	scratch_load_b128 v[1:4], v182, off
	s_mov_b32 s2, exec_lo
	s_waitcnt vmcnt(0)
	ds_store_b128 v5, v[1:4]
	s_waitcnt lgkmcnt(0)
	s_barrier
	buffer_gl0_inv
	v_cmpx_gt_u32_e32 26, v154
	s_cbranch_execz .LBB117_119
; %bb.116:
	v_dual_mov_b32 v1, 0 :: v_dual_add_nc_u32 v8, 0x360, v13
	v_dual_mov_b32 v2, 0 :: v_dual_add_nc_u32 v7, -1, v154
	v_or_b32_e32 v9, 8, v14
	s_mov_b32 s3, 0
	s_delay_alu instid0(VALU_DEP_2)
	v_dual_mov_b32 v4, v2 :: v_dual_mov_b32 v3, v1
	.p2align	6
.LBB117_117:                            ; =>This Inner Loop Header: Depth=1
	scratch_load_b128 v[15:18], v9, off offset:-8
	ds_load_b128 v[19:22], v8
	v_add_nc_u32_e32 v7, 1, v7
	v_add_nc_u32_e32 v8, 16, v8
	;; [unrolled: 1-line block ×3, first 2 shown]
	s_delay_alu instid0(VALU_DEP_3) | instskip(SKIP_4) | instid1(VALU_DEP_2)
	v_cmp_lt_u32_e32 vcc_lo, 24, v7
	s_or_b32 s3, vcc_lo, s3
	s_waitcnt vmcnt(0) lgkmcnt(0)
	v_mul_f64 v[10:11], v[21:22], v[17:18]
	v_mul_f64 v[17:18], v[19:20], v[17:18]
	v_fma_f64 v[10:11], v[19:20], v[15:16], -v[10:11]
	s_delay_alu instid0(VALU_DEP_2) | instskip(NEXT) | instid1(VALU_DEP_2)
	v_fma_f64 v[15:16], v[21:22], v[15:16], v[17:18]
	v_add_f64 v[3:4], v[3:4], v[10:11]
	s_delay_alu instid0(VALU_DEP_2)
	v_add_f64 v[1:2], v[1:2], v[15:16]
	s_and_not1_b32 exec_lo, exec_lo, s3
	s_cbranch_execnz .LBB117_117
; %bb.118:
	s_or_b32 exec_lo, exec_lo, s3
	v_mov_b32_e32 v7, 0
	ds_load_b128 v[7:10], v7 offset:416
	s_waitcnt lgkmcnt(0)
	v_mul_f64 v[11:12], v[1:2], v[9:10]
	v_mul_f64 v[15:16], v[3:4], v[9:10]
	s_delay_alu instid0(VALU_DEP_2) | instskip(NEXT) | instid1(VALU_DEP_2)
	v_fma_f64 v[9:10], v[3:4], v[7:8], -v[11:12]
	v_fma_f64 v[11:12], v[1:2], v[7:8], v[15:16]
	scratch_store_b128 off, v[9:12], off offset:416
.LBB117_119:
	s_or_b32 exec_lo, exec_lo, s2
	s_waitcnt_vscnt null, 0x0
	s_barrier
	buffer_gl0_inv
	scratch_load_b128 v[1:4], v181, off
	s_mov_b32 s2, exec_lo
	s_waitcnt vmcnt(0)
	ds_store_b128 v5, v[1:4]
	s_waitcnt lgkmcnt(0)
	s_barrier
	buffer_gl0_inv
	v_cmpx_gt_u32_e32 27, v154
	s_cbranch_execz .LBB117_123
; %bb.120:
	v_dual_mov_b32 v1, 0 :: v_dual_add_nc_u32 v8, 0x360, v13
	v_dual_mov_b32 v2, 0 :: v_dual_add_nc_u32 v7, -1, v154
	v_or_b32_e32 v9, 8, v14
	s_mov_b32 s3, 0
	s_delay_alu instid0(VALU_DEP_2)
	v_dual_mov_b32 v4, v2 :: v_dual_mov_b32 v3, v1
	.p2align	6
.LBB117_121:                            ; =>This Inner Loop Header: Depth=1
	scratch_load_b128 v[15:18], v9, off offset:-8
	ds_load_b128 v[19:22], v8
	v_add_nc_u32_e32 v7, 1, v7
	v_add_nc_u32_e32 v8, 16, v8
	;; [unrolled: 1-line block ×3, first 2 shown]
	s_delay_alu instid0(VALU_DEP_3) | instskip(SKIP_4) | instid1(VALU_DEP_2)
	v_cmp_lt_u32_e32 vcc_lo, 25, v7
	s_or_b32 s3, vcc_lo, s3
	s_waitcnt vmcnt(0) lgkmcnt(0)
	v_mul_f64 v[10:11], v[21:22], v[17:18]
	v_mul_f64 v[17:18], v[19:20], v[17:18]
	v_fma_f64 v[10:11], v[19:20], v[15:16], -v[10:11]
	s_delay_alu instid0(VALU_DEP_2) | instskip(NEXT) | instid1(VALU_DEP_2)
	v_fma_f64 v[15:16], v[21:22], v[15:16], v[17:18]
	v_add_f64 v[3:4], v[3:4], v[10:11]
	s_delay_alu instid0(VALU_DEP_2)
	v_add_f64 v[1:2], v[1:2], v[15:16]
	s_and_not1_b32 exec_lo, exec_lo, s3
	s_cbranch_execnz .LBB117_121
; %bb.122:
	s_or_b32 exec_lo, exec_lo, s3
	v_mov_b32_e32 v7, 0
	ds_load_b128 v[7:10], v7 offset:432
	s_waitcnt lgkmcnt(0)
	v_mul_f64 v[11:12], v[1:2], v[9:10]
	v_mul_f64 v[15:16], v[3:4], v[9:10]
	s_delay_alu instid0(VALU_DEP_2) | instskip(NEXT) | instid1(VALU_DEP_2)
	v_fma_f64 v[9:10], v[3:4], v[7:8], -v[11:12]
	v_fma_f64 v[11:12], v[1:2], v[7:8], v[15:16]
	scratch_store_b128 off, v[9:12], off offset:432
.LBB117_123:
	s_or_b32 exec_lo, exec_lo, s2
	s_waitcnt_vscnt null, 0x0
	s_barrier
	buffer_gl0_inv
	scratch_load_b128 v[1:4], v180, off
	s_mov_b32 s2, exec_lo
	s_waitcnt vmcnt(0)
	ds_store_b128 v5, v[1:4]
	s_waitcnt lgkmcnt(0)
	s_barrier
	buffer_gl0_inv
	v_cmpx_gt_u32_e32 28, v154
	s_cbranch_execz .LBB117_127
; %bb.124:
	v_dual_mov_b32 v1, 0 :: v_dual_add_nc_u32 v8, 0x360, v13
	v_dual_mov_b32 v2, 0 :: v_dual_add_nc_u32 v7, -1, v154
	v_or_b32_e32 v9, 8, v14
	s_mov_b32 s3, 0
	s_delay_alu instid0(VALU_DEP_2)
	v_dual_mov_b32 v4, v2 :: v_dual_mov_b32 v3, v1
	.p2align	6
.LBB117_125:                            ; =>This Inner Loop Header: Depth=1
	scratch_load_b128 v[15:18], v9, off offset:-8
	ds_load_b128 v[19:22], v8
	v_add_nc_u32_e32 v7, 1, v7
	v_add_nc_u32_e32 v8, 16, v8
	v_add_nc_u32_e32 v9, 16, v9
	s_delay_alu instid0(VALU_DEP_3) | instskip(SKIP_4) | instid1(VALU_DEP_2)
	v_cmp_lt_u32_e32 vcc_lo, 26, v7
	s_or_b32 s3, vcc_lo, s3
	s_waitcnt vmcnt(0) lgkmcnt(0)
	v_mul_f64 v[10:11], v[21:22], v[17:18]
	v_mul_f64 v[17:18], v[19:20], v[17:18]
	v_fma_f64 v[10:11], v[19:20], v[15:16], -v[10:11]
	s_delay_alu instid0(VALU_DEP_2) | instskip(NEXT) | instid1(VALU_DEP_2)
	v_fma_f64 v[15:16], v[21:22], v[15:16], v[17:18]
	v_add_f64 v[3:4], v[3:4], v[10:11]
	s_delay_alu instid0(VALU_DEP_2)
	v_add_f64 v[1:2], v[1:2], v[15:16]
	s_and_not1_b32 exec_lo, exec_lo, s3
	s_cbranch_execnz .LBB117_125
; %bb.126:
	s_or_b32 exec_lo, exec_lo, s3
	v_mov_b32_e32 v7, 0
	ds_load_b128 v[7:10], v7 offset:448
	s_waitcnt lgkmcnt(0)
	v_mul_f64 v[11:12], v[1:2], v[9:10]
	v_mul_f64 v[15:16], v[3:4], v[9:10]
	s_delay_alu instid0(VALU_DEP_2) | instskip(NEXT) | instid1(VALU_DEP_2)
	v_fma_f64 v[9:10], v[3:4], v[7:8], -v[11:12]
	v_fma_f64 v[11:12], v[1:2], v[7:8], v[15:16]
	scratch_store_b128 off, v[9:12], off offset:448
.LBB117_127:
	s_or_b32 exec_lo, exec_lo, s2
	s_waitcnt_vscnt null, 0x0
	s_barrier
	buffer_gl0_inv
	scratch_load_b128 v[1:4], v179, off
	s_mov_b32 s2, exec_lo
	s_waitcnt vmcnt(0)
	ds_store_b128 v5, v[1:4]
	s_waitcnt lgkmcnt(0)
	s_barrier
	buffer_gl0_inv
	v_cmpx_gt_u32_e32 29, v154
	s_cbranch_execz .LBB117_131
; %bb.128:
	v_dual_mov_b32 v1, 0 :: v_dual_add_nc_u32 v8, 0x360, v13
	v_dual_mov_b32 v2, 0 :: v_dual_add_nc_u32 v7, -1, v154
	v_or_b32_e32 v9, 8, v14
	s_mov_b32 s3, 0
	s_delay_alu instid0(VALU_DEP_2)
	v_dual_mov_b32 v4, v2 :: v_dual_mov_b32 v3, v1
	.p2align	6
.LBB117_129:                            ; =>This Inner Loop Header: Depth=1
	scratch_load_b128 v[15:18], v9, off offset:-8
	ds_load_b128 v[19:22], v8
	v_add_nc_u32_e32 v7, 1, v7
	v_add_nc_u32_e32 v8, 16, v8
	;; [unrolled: 1-line block ×3, first 2 shown]
	s_delay_alu instid0(VALU_DEP_3) | instskip(SKIP_4) | instid1(VALU_DEP_2)
	v_cmp_lt_u32_e32 vcc_lo, 27, v7
	s_or_b32 s3, vcc_lo, s3
	s_waitcnt vmcnt(0) lgkmcnt(0)
	v_mul_f64 v[10:11], v[21:22], v[17:18]
	v_mul_f64 v[17:18], v[19:20], v[17:18]
	v_fma_f64 v[10:11], v[19:20], v[15:16], -v[10:11]
	s_delay_alu instid0(VALU_DEP_2) | instskip(NEXT) | instid1(VALU_DEP_2)
	v_fma_f64 v[15:16], v[21:22], v[15:16], v[17:18]
	v_add_f64 v[3:4], v[3:4], v[10:11]
	s_delay_alu instid0(VALU_DEP_2)
	v_add_f64 v[1:2], v[1:2], v[15:16]
	s_and_not1_b32 exec_lo, exec_lo, s3
	s_cbranch_execnz .LBB117_129
; %bb.130:
	s_or_b32 exec_lo, exec_lo, s3
	v_mov_b32_e32 v7, 0
	ds_load_b128 v[7:10], v7 offset:464
	s_waitcnt lgkmcnt(0)
	v_mul_f64 v[11:12], v[1:2], v[9:10]
	v_mul_f64 v[15:16], v[3:4], v[9:10]
	s_delay_alu instid0(VALU_DEP_2) | instskip(NEXT) | instid1(VALU_DEP_2)
	v_fma_f64 v[9:10], v[3:4], v[7:8], -v[11:12]
	v_fma_f64 v[11:12], v[1:2], v[7:8], v[15:16]
	scratch_store_b128 off, v[9:12], off offset:464
.LBB117_131:
	s_or_b32 exec_lo, exec_lo, s2
	s_waitcnt_vscnt null, 0x0
	s_barrier
	buffer_gl0_inv
	scratch_load_b128 v[1:4], v178, off
	s_mov_b32 s2, exec_lo
	s_waitcnt vmcnt(0)
	ds_store_b128 v5, v[1:4]
	s_waitcnt lgkmcnt(0)
	s_barrier
	buffer_gl0_inv
	v_cmpx_gt_u32_e32 30, v154
	s_cbranch_execz .LBB117_135
; %bb.132:
	v_dual_mov_b32 v1, 0 :: v_dual_add_nc_u32 v8, 0x360, v13
	v_dual_mov_b32 v2, 0 :: v_dual_add_nc_u32 v7, -1, v154
	v_or_b32_e32 v9, 8, v14
	s_mov_b32 s3, 0
	s_delay_alu instid0(VALU_DEP_2)
	v_dual_mov_b32 v4, v2 :: v_dual_mov_b32 v3, v1
	.p2align	6
.LBB117_133:                            ; =>This Inner Loop Header: Depth=1
	scratch_load_b128 v[15:18], v9, off offset:-8
	ds_load_b128 v[19:22], v8
	v_add_nc_u32_e32 v7, 1, v7
	v_add_nc_u32_e32 v8, 16, v8
	;; [unrolled: 1-line block ×3, first 2 shown]
	s_delay_alu instid0(VALU_DEP_3) | instskip(SKIP_4) | instid1(VALU_DEP_2)
	v_cmp_lt_u32_e32 vcc_lo, 28, v7
	s_or_b32 s3, vcc_lo, s3
	s_waitcnt vmcnt(0) lgkmcnt(0)
	v_mul_f64 v[10:11], v[21:22], v[17:18]
	v_mul_f64 v[17:18], v[19:20], v[17:18]
	v_fma_f64 v[10:11], v[19:20], v[15:16], -v[10:11]
	s_delay_alu instid0(VALU_DEP_2) | instskip(NEXT) | instid1(VALU_DEP_2)
	v_fma_f64 v[15:16], v[21:22], v[15:16], v[17:18]
	v_add_f64 v[3:4], v[3:4], v[10:11]
	s_delay_alu instid0(VALU_DEP_2)
	v_add_f64 v[1:2], v[1:2], v[15:16]
	s_and_not1_b32 exec_lo, exec_lo, s3
	s_cbranch_execnz .LBB117_133
; %bb.134:
	s_or_b32 exec_lo, exec_lo, s3
	v_mov_b32_e32 v7, 0
	ds_load_b128 v[7:10], v7 offset:480
	s_waitcnt lgkmcnt(0)
	v_mul_f64 v[11:12], v[1:2], v[9:10]
	v_mul_f64 v[15:16], v[3:4], v[9:10]
	s_delay_alu instid0(VALU_DEP_2) | instskip(NEXT) | instid1(VALU_DEP_2)
	v_fma_f64 v[9:10], v[3:4], v[7:8], -v[11:12]
	v_fma_f64 v[11:12], v[1:2], v[7:8], v[15:16]
	scratch_store_b128 off, v[9:12], off offset:480
.LBB117_135:
	s_or_b32 exec_lo, exec_lo, s2
	s_waitcnt_vscnt null, 0x0
	s_barrier
	buffer_gl0_inv
	scratch_load_b128 v[1:4], v177, off
	s_mov_b32 s2, exec_lo
	s_waitcnt vmcnt(0)
	ds_store_b128 v5, v[1:4]
	s_waitcnt lgkmcnt(0)
	s_barrier
	buffer_gl0_inv
	v_cmpx_gt_u32_e32 31, v154
	s_cbranch_execz .LBB117_139
; %bb.136:
	v_dual_mov_b32 v1, 0 :: v_dual_add_nc_u32 v8, 0x360, v13
	v_dual_mov_b32 v2, 0 :: v_dual_add_nc_u32 v7, -1, v154
	v_or_b32_e32 v9, 8, v14
	s_mov_b32 s3, 0
	s_delay_alu instid0(VALU_DEP_2)
	v_dual_mov_b32 v4, v2 :: v_dual_mov_b32 v3, v1
	.p2align	6
.LBB117_137:                            ; =>This Inner Loop Header: Depth=1
	scratch_load_b128 v[15:18], v9, off offset:-8
	ds_load_b128 v[19:22], v8
	v_add_nc_u32_e32 v7, 1, v7
	v_add_nc_u32_e32 v8, 16, v8
	;; [unrolled: 1-line block ×3, first 2 shown]
	s_delay_alu instid0(VALU_DEP_3) | instskip(SKIP_4) | instid1(VALU_DEP_2)
	v_cmp_lt_u32_e32 vcc_lo, 29, v7
	s_or_b32 s3, vcc_lo, s3
	s_waitcnt vmcnt(0) lgkmcnt(0)
	v_mul_f64 v[10:11], v[21:22], v[17:18]
	v_mul_f64 v[17:18], v[19:20], v[17:18]
	v_fma_f64 v[10:11], v[19:20], v[15:16], -v[10:11]
	s_delay_alu instid0(VALU_DEP_2) | instskip(NEXT) | instid1(VALU_DEP_2)
	v_fma_f64 v[15:16], v[21:22], v[15:16], v[17:18]
	v_add_f64 v[3:4], v[3:4], v[10:11]
	s_delay_alu instid0(VALU_DEP_2)
	v_add_f64 v[1:2], v[1:2], v[15:16]
	s_and_not1_b32 exec_lo, exec_lo, s3
	s_cbranch_execnz .LBB117_137
; %bb.138:
	s_or_b32 exec_lo, exec_lo, s3
	v_mov_b32_e32 v7, 0
	ds_load_b128 v[7:10], v7 offset:496
	s_waitcnt lgkmcnt(0)
	v_mul_f64 v[11:12], v[1:2], v[9:10]
	v_mul_f64 v[15:16], v[3:4], v[9:10]
	s_delay_alu instid0(VALU_DEP_2) | instskip(NEXT) | instid1(VALU_DEP_2)
	v_fma_f64 v[9:10], v[3:4], v[7:8], -v[11:12]
	v_fma_f64 v[11:12], v[1:2], v[7:8], v[15:16]
	scratch_store_b128 off, v[9:12], off offset:496
.LBB117_139:
	s_or_b32 exec_lo, exec_lo, s2
	s_waitcnt_vscnt null, 0x0
	s_barrier
	buffer_gl0_inv
	scratch_load_b128 v[1:4], v176, off
	s_mov_b32 s2, exec_lo
	s_waitcnt vmcnt(0)
	ds_store_b128 v5, v[1:4]
	s_waitcnt lgkmcnt(0)
	s_barrier
	buffer_gl0_inv
	v_cmpx_gt_u32_e32 32, v154
	s_cbranch_execz .LBB117_143
; %bb.140:
	v_dual_mov_b32 v1, 0 :: v_dual_add_nc_u32 v8, 0x360, v13
	v_dual_mov_b32 v2, 0 :: v_dual_add_nc_u32 v7, -1, v154
	v_or_b32_e32 v9, 8, v14
	s_mov_b32 s3, 0
	s_delay_alu instid0(VALU_DEP_2)
	v_dual_mov_b32 v4, v2 :: v_dual_mov_b32 v3, v1
	.p2align	6
.LBB117_141:                            ; =>This Inner Loop Header: Depth=1
	scratch_load_b128 v[15:18], v9, off offset:-8
	ds_load_b128 v[19:22], v8
	v_add_nc_u32_e32 v7, 1, v7
	v_add_nc_u32_e32 v8, 16, v8
	;; [unrolled: 1-line block ×3, first 2 shown]
	s_delay_alu instid0(VALU_DEP_3) | instskip(SKIP_4) | instid1(VALU_DEP_2)
	v_cmp_lt_u32_e32 vcc_lo, 30, v7
	s_or_b32 s3, vcc_lo, s3
	s_waitcnt vmcnt(0) lgkmcnt(0)
	v_mul_f64 v[10:11], v[21:22], v[17:18]
	v_mul_f64 v[17:18], v[19:20], v[17:18]
	v_fma_f64 v[10:11], v[19:20], v[15:16], -v[10:11]
	s_delay_alu instid0(VALU_DEP_2) | instskip(NEXT) | instid1(VALU_DEP_2)
	v_fma_f64 v[15:16], v[21:22], v[15:16], v[17:18]
	v_add_f64 v[3:4], v[3:4], v[10:11]
	s_delay_alu instid0(VALU_DEP_2)
	v_add_f64 v[1:2], v[1:2], v[15:16]
	s_and_not1_b32 exec_lo, exec_lo, s3
	s_cbranch_execnz .LBB117_141
; %bb.142:
	s_or_b32 exec_lo, exec_lo, s3
	v_mov_b32_e32 v7, 0
	ds_load_b128 v[7:10], v7 offset:512
	s_waitcnt lgkmcnt(0)
	v_mul_f64 v[11:12], v[1:2], v[9:10]
	v_mul_f64 v[15:16], v[3:4], v[9:10]
	s_delay_alu instid0(VALU_DEP_2) | instskip(NEXT) | instid1(VALU_DEP_2)
	v_fma_f64 v[9:10], v[3:4], v[7:8], -v[11:12]
	v_fma_f64 v[11:12], v[1:2], v[7:8], v[15:16]
	scratch_store_b128 off, v[9:12], off offset:512
.LBB117_143:
	s_or_b32 exec_lo, exec_lo, s2
	s_waitcnt_vscnt null, 0x0
	s_barrier
	buffer_gl0_inv
	scratch_load_b128 v[1:4], v175, off
	s_mov_b32 s2, exec_lo
	s_waitcnt vmcnt(0)
	ds_store_b128 v5, v[1:4]
	s_waitcnt lgkmcnt(0)
	s_barrier
	buffer_gl0_inv
	v_cmpx_gt_u32_e32 33, v154
	s_cbranch_execz .LBB117_147
; %bb.144:
	v_dual_mov_b32 v1, 0 :: v_dual_add_nc_u32 v8, 0x360, v13
	v_dual_mov_b32 v2, 0 :: v_dual_add_nc_u32 v7, -1, v154
	v_or_b32_e32 v9, 8, v14
	s_mov_b32 s3, 0
	s_delay_alu instid0(VALU_DEP_2)
	v_dual_mov_b32 v4, v2 :: v_dual_mov_b32 v3, v1
	.p2align	6
.LBB117_145:                            ; =>This Inner Loop Header: Depth=1
	scratch_load_b128 v[15:18], v9, off offset:-8
	ds_load_b128 v[19:22], v8
	v_add_nc_u32_e32 v7, 1, v7
	v_add_nc_u32_e32 v8, 16, v8
	;; [unrolled: 1-line block ×3, first 2 shown]
	s_delay_alu instid0(VALU_DEP_3) | instskip(SKIP_4) | instid1(VALU_DEP_2)
	v_cmp_lt_u32_e32 vcc_lo, 31, v7
	s_or_b32 s3, vcc_lo, s3
	s_waitcnt vmcnt(0) lgkmcnt(0)
	v_mul_f64 v[10:11], v[21:22], v[17:18]
	v_mul_f64 v[17:18], v[19:20], v[17:18]
	v_fma_f64 v[10:11], v[19:20], v[15:16], -v[10:11]
	s_delay_alu instid0(VALU_DEP_2) | instskip(NEXT) | instid1(VALU_DEP_2)
	v_fma_f64 v[15:16], v[21:22], v[15:16], v[17:18]
	v_add_f64 v[3:4], v[3:4], v[10:11]
	s_delay_alu instid0(VALU_DEP_2)
	v_add_f64 v[1:2], v[1:2], v[15:16]
	s_and_not1_b32 exec_lo, exec_lo, s3
	s_cbranch_execnz .LBB117_145
; %bb.146:
	s_or_b32 exec_lo, exec_lo, s3
	v_mov_b32_e32 v7, 0
	ds_load_b128 v[7:10], v7 offset:528
	s_waitcnt lgkmcnt(0)
	v_mul_f64 v[11:12], v[1:2], v[9:10]
	v_mul_f64 v[15:16], v[3:4], v[9:10]
	s_delay_alu instid0(VALU_DEP_2) | instskip(NEXT) | instid1(VALU_DEP_2)
	v_fma_f64 v[9:10], v[3:4], v[7:8], -v[11:12]
	v_fma_f64 v[11:12], v[1:2], v[7:8], v[15:16]
	scratch_store_b128 off, v[9:12], off offset:528
.LBB117_147:
	s_or_b32 exec_lo, exec_lo, s2
	s_waitcnt_vscnt null, 0x0
	s_barrier
	buffer_gl0_inv
	scratch_load_b128 v[1:4], v225, off
	s_mov_b32 s2, exec_lo
	s_waitcnt vmcnt(0)
	ds_store_b128 v5, v[1:4]
	s_waitcnt lgkmcnt(0)
	s_barrier
	buffer_gl0_inv
	v_cmpx_gt_u32_e32 34, v154
	s_cbranch_execz .LBB117_151
; %bb.148:
	v_dual_mov_b32 v1, 0 :: v_dual_add_nc_u32 v8, 0x360, v13
	v_dual_mov_b32 v2, 0 :: v_dual_add_nc_u32 v7, -1, v154
	v_or_b32_e32 v9, 8, v14
	s_mov_b32 s3, 0
	s_delay_alu instid0(VALU_DEP_2)
	v_dual_mov_b32 v4, v2 :: v_dual_mov_b32 v3, v1
	.p2align	6
.LBB117_149:                            ; =>This Inner Loop Header: Depth=1
	scratch_load_b128 v[15:18], v9, off offset:-8
	ds_load_b128 v[19:22], v8
	v_add_nc_u32_e32 v7, 1, v7
	v_add_nc_u32_e32 v8, 16, v8
	;; [unrolled: 1-line block ×3, first 2 shown]
	s_delay_alu instid0(VALU_DEP_3) | instskip(SKIP_4) | instid1(VALU_DEP_2)
	v_cmp_lt_u32_e32 vcc_lo, 32, v7
	s_or_b32 s3, vcc_lo, s3
	s_waitcnt vmcnt(0) lgkmcnt(0)
	v_mul_f64 v[10:11], v[21:22], v[17:18]
	v_mul_f64 v[17:18], v[19:20], v[17:18]
	v_fma_f64 v[10:11], v[19:20], v[15:16], -v[10:11]
	s_delay_alu instid0(VALU_DEP_2) | instskip(NEXT) | instid1(VALU_DEP_2)
	v_fma_f64 v[15:16], v[21:22], v[15:16], v[17:18]
	v_add_f64 v[3:4], v[3:4], v[10:11]
	s_delay_alu instid0(VALU_DEP_2)
	v_add_f64 v[1:2], v[1:2], v[15:16]
	s_and_not1_b32 exec_lo, exec_lo, s3
	s_cbranch_execnz .LBB117_149
; %bb.150:
	s_or_b32 exec_lo, exec_lo, s3
	v_mov_b32_e32 v7, 0
	ds_load_b128 v[7:10], v7 offset:544
	s_waitcnt lgkmcnt(0)
	v_mul_f64 v[11:12], v[1:2], v[9:10]
	v_mul_f64 v[15:16], v[3:4], v[9:10]
	s_delay_alu instid0(VALU_DEP_2) | instskip(NEXT) | instid1(VALU_DEP_2)
	v_fma_f64 v[9:10], v[3:4], v[7:8], -v[11:12]
	v_fma_f64 v[11:12], v[1:2], v[7:8], v[15:16]
	scratch_store_b128 off, v[9:12], off offset:544
.LBB117_151:
	s_or_b32 exec_lo, exec_lo, s2
	s_waitcnt_vscnt null, 0x0
	s_barrier
	buffer_gl0_inv
	scratch_load_b128 v[1:4], v224, off
	s_mov_b32 s2, exec_lo
	s_waitcnt vmcnt(0)
	ds_store_b128 v5, v[1:4]
	s_waitcnt lgkmcnt(0)
	s_barrier
	buffer_gl0_inv
	v_cmpx_gt_u32_e32 35, v154
	s_cbranch_execz .LBB117_155
; %bb.152:
	v_dual_mov_b32 v1, 0 :: v_dual_add_nc_u32 v8, 0x360, v13
	v_dual_mov_b32 v2, 0 :: v_dual_add_nc_u32 v7, -1, v154
	v_or_b32_e32 v9, 8, v14
	s_mov_b32 s3, 0
	s_delay_alu instid0(VALU_DEP_2)
	v_dual_mov_b32 v4, v2 :: v_dual_mov_b32 v3, v1
	.p2align	6
.LBB117_153:                            ; =>This Inner Loop Header: Depth=1
	scratch_load_b128 v[15:18], v9, off offset:-8
	ds_load_b128 v[19:22], v8
	v_add_nc_u32_e32 v7, 1, v7
	v_add_nc_u32_e32 v8, 16, v8
	;; [unrolled: 1-line block ×3, first 2 shown]
	s_delay_alu instid0(VALU_DEP_3) | instskip(SKIP_4) | instid1(VALU_DEP_2)
	v_cmp_lt_u32_e32 vcc_lo, 33, v7
	s_or_b32 s3, vcc_lo, s3
	s_waitcnt vmcnt(0) lgkmcnt(0)
	v_mul_f64 v[10:11], v[21:22], v[17:18]
	v_mul_f64 v[17:18], v[19:20], v[17:18]
	v_fma_f64 v[10:11], v[19:20], v[15:16], -v[10:11]
	s_delay_alu instid0(VALU_DEP_2) | instskip(NEXT) | instid1(VALU_DEP_2)
	v_fma_f64 v[15:16], v[21:22], v[15:16], v[17:18]
	v_add_f64 v[3:4], v[3:4], v[10:11]
	s_delay_alu instid0(VALU_DEP_2)
	v_add_f64 v[1:2], v[1:2], v[15:16]
	s_and_not1_b32 exec_lo, exec_lo, s3
	s_cbranch_execnz .LBB117_153
; %bb.154:
	s_or_b32 exec_lo, exec_lo, s3
	v_mov_b32_e32 v7, 0
	ds_load_b128 v[7:10], v7 offset:560
	s_waitcnt lgkmcnt(0)
	v_mul_f64 v[11:12], v[1:2], v[9:10]
	v_mul_f64 v[15:16], v[3:4], v[9:10]
	s_delay_alu instid0(VALU_DEP_2) | instskip(NEXT) | instid1(VALU_DEP_2)
	v_fma_f64 v[9:10], v[3:4], v[7:8], -v[11:12]
	v_fma_f64 v[11:12], v[1:2], v[7:8], v[15:16]
	scratch_store_b128 off, v[9:12], off offset:560
.LBB117_155:
	s_or_b32 exec_lo, exec_lo, s2
	s_waitcnt_vscnt null, 0x0
	s_barrier
	buffer_gl0_inv
	scratch_load_b128 v[1:4], v219, off
	s_mov_b32 s2, exec_lo
	s_waitcnt vmcnt(0)
	ds_store_b128 v5, v[1:4]
	s_waitcnt lgkmcnt(0)
	s_barrier
	buffer_gl0_inv
	v_cmpx_gt_u32_e32 36, v154
	s_cbranch_execz .LBB117_159
; %bb.156:
	v_dual_mov_b32 v1, 0 :: v_dual_add_nc_u32 v8, 0x360, v13
	v_dual_mov_b32 v2, 0 :: v_dual_add_nc_u32 v7, -1, v154
	v_or_b32_e32 v9, 8, v14
	s_mov_b32 s3, 0
	s_delay_alu instid0(VALU_DEP_2)
	v_dual_mov_b32 v4, v2 :: v_dual_mov_b32 v3, v1
	.p2align	6
.LBB117_157:                            ; =>This Inner Loop Header: Depth=1
	scratch_load_b128 v[15:18], v9, off offset:-8
	ds_load_b128 v[19:22], v8
	v_add_nc_u32_e32 v7, 1, v7
	v_add_nc_u32_e32 v8, 16, v8
	;; [unrolled: 1-line block ×3, first 2 shown]
	s_delay_alu instid0(VALU_DEP_3) | instskip(SKIP_4) | instid1(VALU_DEP_2)
	v_cmp_lt_u32_e32 vcc_lo, 34, v7
	s_or_b32 s3, vcc_lo, s3
	s_waitcnt vmcnt(0) lgkmcnt(0)
	v_mul_f64 v[10:11], v[21:22], v[17:18]
	v_mul_f64 v[17:18], v[19:20], v[17:18]
	v_fma_f64 v[10:11], v[19:20], v[15:16], -v[10:11]
	s_delay_alu instid0(VALU_DEP_2) | instskip(NEXT) | instid1(VALU_DEP_2)
	v_fma_f64 v[15:16], v[21:22], v[15:16], v[17:18]
	v_add_f64 v[3:4], v[3:4], v[10:11]
	s_delay_alu instid0(VALU_DEP_2)
	v_add_f64 v[1:2], v[1:2], v[15:16]
	s_and_not1_b32 exec_lo, exec_lo, s3
	s_cbranch_execnz .LBB117_157
; %bb.158:
	s_or_b32 exec_lo, exec_lo, s3
	v_mov_b32_e32 v7, 0
	ds_load_b128 v[7:10], v7 offset:576
	s_waitcnt lgkmcnt(0)
	v_mul_f64 v[11:12], v[1:2], v[9:10]
	v_mul_f64 v[15:16], v[3:4], v[9:10]
	s_delay_alu instid0(VALU_DEP_2) | instskip(NEXT) | instid1(VALU_DEP_2)
	v_fma_f64 v[9:10], v[3:4], v[7:8], -v[11:12]
	v_fma_f64 v[11:12], v[1:2], v[7:8], v[15:16]
	scratch_store_b128 off, v[9:12], off offset:576
.LBB117_159:
	s_or_b32 exec_lo, exec_lo, s2
	s_waitcnt_vscnt null, 0x0
	s_barrier
	buffer_gl0_inv
	scratch_load_b128 v[1:4], v218, off
	s_mov_b32 s2, exec_lo
	s_waitcnt vmcnt(0)
	ds_store_b128 v5, v[1:4]
	s_waitcnt lgkmcnt(0)
	s_barrier
	buffer_gl0_inv
	v_cmpx_gt_u32_e32 37, v154
	s_cbranch_execz .LBB117_163
; %bb.160:
	v_dual_mov_b32 v1, 0 :: v_dual_add_nc_u32 v8, 0x360, v13
	v_dual_mov_b32 v2, 0 :: v_dual_add_nc_u32 v7, -1, v154
	v_or_b32_e32 v9, 8, v14
	s_mov_b32 s3, 0
	s_delay_alu instid0(VALU_DEP_2)
	v_dual_mov_b32 v4, v2 :: v_dual_mov_b32 v3, v1
	.p2align	6
.LBB117_161:                            ; =>This Inner Loop Header: Depth=1
	scratch_load_b128 v[15:18], v9, off offset:-8
	ds_load_b128 v[19:22], v8
	v_add_nc_u32_e32 v7, 1, v7
	v_add_nc_u32_e32 v8, 16, v8
	;; [unrolled: 1-line block ×3, first 2 shown]
	s_delay_alu instid0(VALU_DEP_3) | instskip(SKIP_4) | instid1(VALU_DEP_2)
	v_cmp_lt_u32_e32 vcc_lo, 35, v7
	s_or_b32 s3, vcc_lo, s3
	s_waitcnt vmcnt(0) lgkmcnt(0)
	v_mul_f64 v[10:11], v[21:22], v[17:18]
	v_mul_f64 v[17:18], v[19:20], v[17:18]
	v_fma_f64 v[10:11], v[19:20], v[15:16], -v[10:11]
	s_delay_alu instid0(VALU_DEP_2) | instskip(NEXT) | instid1(VALU_DEP_2)
	v_fma_f64 v[15:16], v[21:22], v[15:16], v[17:18]
	v_add_f64 v[3:4], v[3:4], v[10:11]
	s_delay_alu instid0(VALU_DEP_2)
	v_add_f64 v[1:2], v[1:2], v[15:16]
	s_and_not1_b32 exec_lo, exec_lo, s3
	s_cbranch_execnz .LBB117_161
; %bb.162:
	s_or_b32 exec_lo, exec_lo, s3
	v_mov_b32_e32 v7, 0
	ds_load_b128 v[7:10], v7 offset:592
	s_waitcnt lgkmcnt(0)
	v_mul_f64 v[11:12], v[1:2], v[9:10]
	v_mul_f64 v[15:16], v[3:4], v[9:10]
	s_delay_alu instid0(VALU_DEP_2) | instskip(NEXT) | instid1(VALU_DEP_2)
	v_fma_f64 v[9:10], v[3:4], v[7:8], -v[11:12]
	v_fma_f64 v[11:12], v[1:2], v[7:8], v[15:16]
	scratch_store_b128 off, v[9:12], off offset:592
.LBB117_163:
	s_or_b32 exec_lo, exec_lo, s2
	s_waitcnt_vscnt null, 0x0
	s_barrier
	buffer_gl0_inv
	scratch_load_b128 v[1:4], v217, off
	s_mov_b32 s2, exec_lo
	s_waitcnt vmcnt(0)
	ds_store_b128 v5, v[1:4]
	s_waitcnt lgkmcnt(0)
	s_barrier
	buffer_gl0_inv
	v_cmpx_gt_u32_e32 38, v154
	s_cbranch_execz .LBB117_167
; %bb.164:
	v_dual_mov_b32 v1, 0 :: v_dual_add_nc_u32 v8, 0x360, v13
	v_dual_mov_b32 v2, 0 :: v_dual_add_nc_u32 v7, -1, v154
	v_or_b32_e32 v9, 8, v14
	s_mov_b32 s3, 0
	s_delay_alu instid0(VALU_DEP_2)
	v_dual_mov_b32 v4, v2 :: v_dual_mov_b32 v3, v1
	.p2align	6
.LBB117_165:                            ; =>This Inner Loop Header: Depth=1
	scratch_load_b128 v[15:18], v9, off offset:-8
	ds_load_b128 v[19:22], v8
	v_add_nc_u32_e32 v7, 1, v7
	v_add_nc_u32_e32 v8, 16, v8
	v_add_nc_u32_e32 v9, 16, v9
	s_delay_alu instid0(VALU_DEP_3) | instskip(SKIP_4) | instid1(VALU_DEP_2)
	v_cmp_lt_u32_e32 vcc_lo, 36, v7
	s_or_b32 s3, vcc_lo, s3
	s_waitcnt vmcnt(0) lgkmcnt(0)
	v_mul_f64 v[10:11], v[21:22], v[17:18]
	v_mul_f64 v[17:18], v[19:20], v[17:18]
	v_fma_f64 v[10:11], v[19:20], v[15:16], -v[10:11]
	s_delay_alu instid0(VALU_DEP_2) | instskip(NEXT) | instid1(VALU_DEP_2)
	v_fma_f64 v[15:16], v[21:22], v[15:16], v[17:18]
	v_add_f64 v[3:4], v[3:4], v[10:11]
	s_delay_alu instid0(VALU_DEP_2)
	v_add_f64 v[1:2], v[1:2], v[15:16]
	s_and_not1_b32 exec_lo, exec_lo, s3
	s_cbranch_execnz .LBB117_165
; %bb.166:
	s_or_b32 exec_lo, exec_lo, s3
	v_mov_b32_e32 v7, 0
	ds_load_b128 v[7:10], v7 offset:608
	s_waitcnt lgkmcnt(0)
	v_mul_f64 v[11:12], v[1:2], v[9:10]
	v_mul_f64 v[15:16], v[3:4], v[9:10]
	s_delay_alu instid0(VALU_DEP_2) | instskip(NEXT) | instid1(VALU_DEP_2)
	v_fma_f64 v[9:10], v[3:4], v[7:8], -v[11:12]
	v_fma_f64 v[11:12], v[1:2], v[7:8], v[15:16]
	scratch_store_b128 off, v[9:12], off offset:608
.LBB117_167:
	s_or_b32 exec_lo, exec_lo, s2
	s_waitcnt_vscnt null, 0x0
	s_barrier
	buffer_gl0_inv
	scratch_load_b128 v[1:4], v216, off
	s_mov_b32 s2, exec_lo
	s_waitcnt vmcnt(0)
	ds_store_b128 v5, v[1:4]
	s_waitcnt lgkmcnt(0)
	s_barrier
	buffer_gl0_inv
	v_cmpx_gt_u32_e32 39, v154
	s_cbranch_execz .LBB117_171
; %bb.168:
	v_dual_mov_b32 v1, 0 :: v_dual_add_nc_u32 v8, 0x360, v13
	v_dual_mov_b32 v2, 0 :: v_dual_add_nc_u32 v7, -1, v154
	v_or_b32_e32 v9, 8, v14
	s_mov_b32 s3, 0
	s_delay_alu instid0(VALU_DEP_2)
	v_dual_mov_b32 v4, v2 :: v_dual_mov_b32 v3, v1
	.p2align	6
.LBB117_169:                            ; =>This Inner Loop Header: Depth=1
	scratch_load_b128 v[15:18], v9, off offset:-8
	ds_load_b128 v[19:22], v8
	v_add_nc_u32_e32 v7, 1, v7
	v_add_nc_u32_e32 v8, 16, v8
	;; [unrolled: 1-line block ×3, first 2 shown]
	s_delay_alu instid0(VALU_DEP_3) | instskip(SKIP_4) | instid1(VALU_DEP_2)
	v_cmp_lt_u32_e32 vcc_lo, 37, v7
	s_or_b32 s3, vcc_lo, s3
	s_waitcnt vmcnt(0) lgkmcnt(0)
	v_mul_f64 v[10:11], v[21:22], v[17:18]
	v_mul_f64 v[17:18], v[19:20], v[17:18]
	v_fma_f64 v[10:11], v[19:20], v[15:16], -v[10:11]
	s_delay_alu instid0(VALU_DEP_2) | instskip(NEXT) | instid1(VALU_DEP_2)
	v_fma_f64 v[15:16], v[21:22], v[15:16], v[17:18]
	v_add_f64 v[3:4], v[3:4], v[10:11]
	s_delay_alu instid0(VALU_DEP_2)
	v_add_f64 v[1:2], v[1:2], v[15:16]
	s_and_not1_b32 exec_lo, exec_lo, s3
	s_cbranch_execnz .LBB117_169
; %bb.170:
	s_or_b32 exec_lo, exec_lo, s3
	v_mov_b32_e32 v7, 0
	ds_load_b128 v[7:10], v7 offset:624
	s_waitcnt lgkmcnt(0)
	v_mul_f64 v[11:12], v[1:2], v[9:10]
	v_mul_f64 v[15:16], v[3:4], v[9:10]
	s_delay_alu instid0(VALU_DEP_2) | instskip(NEXT) | instid1(VALU_DEP_2)
	v_fma_f64 v[9:10], v[3:4], v[7:8], -v[11:12]
	v_fma_f64 v[11:12], v[1:2], v[7:8], v[15:16]
	scratch_store_b128 off, v[9:12], off offset:624
.LBB117_171:
	s_or_b32 exec_lo, exec_lo, s2
	s_waitcnt_vscnt null, 0x0
	s_barrier
	buffer_gl0_inv
	scratch_load_b128 v[1:4], v215, off
	s_mov_b32 s2, exec_lo
	s_waitcnt vmcnt(0)
	ds_store_b128 v5, v[1:4]
	s_waitcnt lgkmcnt(0)
	s_barrier
	buffer_gl0_inv
	v_cmpx_gt_u32_e32 40, v154
	s_cbranch_execz .LBB117_175
; %bb.172:
	v_dual_mov_b32 v1, 0 :: v_dual_add_nc_u32 v8, 0x360, v13
	v_dual_mov_b32 v2, 0 :: v_dual_add_nc_u32 v7, -1, v154
	v_or_b32_e32 v9, 8, v14
	s_mov_b32 s3, 0
	s_delay_alu instid0(VALU_DEP_2)
	v_dual_mov_b32 v4, v2 :: v_dual_mov_b32 v3, v1
	.p2align	6
.LBB117_173:                            ; =>This Inner Loop Header: Depth=1
	scratch_load_b128 v[15:18], v9, off offset:-8
	ds_load_b128 v[19:22], v8
	v_add_nc_u32_e32 v7, 1, v7
	v_add_nc_u32_e32 v8, 16, v8
	v_add_nc_u32_e32 v9, 16, v9
	s_delay_alu instid0(VALU_DEP_3) | instskip(SKIP_4) | instid1(VALU_DEP_2)
	v_cmp_lt_u32_e32 vcc_lo, 38, v7
	s_or_b32 s3, vcc_lo, s3
	s_waitcnt vmcnt(0) lgkmcnt(0)
	v_mul_f64 v[10:11], v[21:22], v[17:18]
	v_mul_f64 v[17:18], v[19:20], v[17:18]
	v_fma_f64 v[10:11], v[19:20], v[15:16], -v[10:11]
	s_delay_alu instid0(VALU_DEP_2) | instskip(NEXT) | instid1(VALU_DEP_2)
	v_fma_f64 v[15:16], v[21:22], v[15:16], v[17:18]
	v_add_f64 v[3:4], v[3:4], v[10:11]
	s_delay_alu instid0(VALU_DEP_2)
	v_add_f64 v[1:2], v[1:2], v[15:16]
	s_and_not1_b32 exec_lo, exec_lo, s3
	s_cbranch_execnz .LBB117_173
; %bb.174:
	s_or_b32 exec_lo, exec_lo, s3
	v_mov_b32_e32 v7, 0
	ds_load_b128 v[7:10], v7 offset:640
	s_waitcnt lgkmcnt(0)
	v_mul_f64 v[11:12], v[1:2], v[9:10]
	v_mul_f64 v[15:16], v[3:4], v[9:10]
	s_delay_alu instid0(VALU_DEP_2) | instskip(NEXT) | instid1(VALU_DEP_2)
	v_fma_f64 v[9:10], v[3:4], v[7:8], -v[11:12]
	v_fma_f64 v[11:12], v[1:2], v[7:8], v[15:16]
	scratch_store_b128 off, v[9:12], off offset:640
.LBB117_175:
	s_or_b32 exec_lo, exec_lo, s2
	s_waitcnt_vscnt null, 0x0
	s_barrier
	buffer_gl0_inv
	scratch_load_b128 v[1:4], v214, off
	s_mov_b32 s2, exec_lo
	s_waitcnt vmcnt(0)
	ds_store_b128 v5, v[1:4]
	s_waitcnt lgkmcnt(0)
	s_barrier
	buffer_gl0_inv
	v_cmpx_gt_u32_e32 41, v154
	s_cbranch_execz .LBB117_179
; %bb.176:
	v_dual_mov_b32 v1, 0 :: v_dual_add_nc_u32 v8, 0x360, v13
	v_dual_mov_b32 v2, 0 :: v_dual_add_nc_u32 v7, -1, v154
	v_or_b32_e32 v9, 8, v14
	s_mov_b32 s3, 0
	s_delay_alu instid0(VALU_DEP_2)
	v_dual_mov_b32 v4, v2 :: v_dual_mov_b32 v3, v1
	.p2align	6
.LBB117_177:                            ; =>This Inner Loop Header: Depth=1
	scratch_load_b128 v[15:18], v9, off offset:-8
	ds_load_b128 v[19:22], v8
	v_add_nc_u32_e32 v7, 1, v7
	v_add_nc_u32_e32 v8, 16, v8
	;; [unrolled: 1-line block ×3, first 2 shown]
	s_delay_alu instid0(VALU_DEP_3) | instskip(SKIP_4) | instid1(VALU_DEP_2)
	v_cmp_lt_u32_e32 vcc_lo, 39, v7
	s_or_b32 s3, vcc_lo, s3
	s_waitcnt vmcnt(0) lgkmcnt(0)
	v_mul_f64 v[10:11], v[21:22], v[17:18]
	v_mul_f64 v[17:18], v[19:20], v[17:18]
	v_fma_f64 v[10:11], v[19:20], v[15:16], -v[10:11]
	s_delay_alu instid0(VALU_DEP_2) | instskip(NEXT) | instid1(VALU_DEP_2)
	v_fma_f64 v[15:16], v[21:22], v[15:16], v[17:18]
	v_add_f64 v[3:4], v[3:4], v[10:11]
	s_delay_alu instid0(VALU_DEP_2)
	v_add_f64 v[1:2], v[1:2], v[15:16]
	s_and_not1_b32 exec_lo, exec_lo, s3
	s_cbranch_execnz .LBB117_177
; %bb.178:
	s_or_b32 exec_lo, exec_lo, s3
	v_mov_b32_e32 v7, 0
	ds_load_b128 v[7:10], v7 offset:656
	s_waitcnt lgkmcnt(0)
	v_mul_f64 v[11:12], v[1:2], v[9:10]
	v_mul_f64 v[15:16], v[3:4], v[9:10]
	s_delay_alu instid0(VALU_DEP_2) | instskip(NEXT) | instid1(VALU_DEP_2)
	v_fma_f64 v[9:10], v[3:4], v[7:8], -v[11:12]
	v_fma_f64 v[11:12], v[1:2], v[7:8], v[15:16]
	scratch_store_b128 off, v[9:12], off offset:656
.LBB117_179:
	s_or_b32 exec_lo, exec_lo, s2
	s_waitcnt_vscnt null, 0x0
	s_barrier
	buffer_gl0_inv
	scratch_load_b128 v[1:4], v213, off
	s_mov_b32 s2, exec_lo
	s_waitcnt vmcnt(0)
	ds_store_b128 v5, v[1:4]
	s_waitcnt lgkmcnt(0)
	s_barrier
	buffer_gl0_inv
	v_cmpx_gt_u32_e32 42, v154
	s_cbranch_execz .LBB117_183
; %bb.180:
	v_dual_mov_b32 v1, 0 :: v_dual_add_nc_u32 v8, 0x360, v13
	v_dual_mov_b32 v2, 0 :: v_dual_add_nc_u32 v7, -1, v154
	v_or_b32_e32 v9, 8, v14
	s_mov_b32 s3, 0
	s_delay_alu instid0(VALU_DEP_2)
	v_dual_mov_b32 v4, v2 :: v_dual_mov_b32 v3, v1
	.p2align	6
.LBB117_181:                            ; =>This Inner Loop Header: Depth=1
	scratch_load_b128 v[15:18], v9, off offset:-8
	ds_load_b128 v[19:22], v8
	v_add_nc_u32_e32 v7, 1, v7
	v_add_nc_u32_e32 v8, 16, v8
	;; [unrolled: 1-line block ×3, first 2 shown]
	s_delay_alu instid0(VALU_DEP_3) | instskip(SKIP_4) | instid1(VALU_DEP_2)
	v_cmp_lt_u32_e32 vcc_lo, 40, v7
	s_or_b32 s3, vcc_lo, s3
	s_waitcnt vmcnt(0) lgkmcnt(0)
	v_mul_f64 v[10:11], v[21:22], v[17:18]
	v_mul_f64 v[17:18], v[19:20], v[17:18]
	v_fma_f64 v[10:11], v[19:20], v[15:16], -v[10:11]
	s_delay_alu instid0(VALU_DEP_2) | instskip(NEXT) | instid1(VALU_DEP_2)
	v_fma_f64 v[15:16], v[21:22], v[15:16], v[17:18]
	v_add_f64 v[3:4], v[3:4], v[10:11]
	s_delay_alu instid0(VALU_DEP_2)
	v_add_f64 v[1:2], v[1:2], v[15:16]
	s_and_not1_b32 exec_lo, exec_lo, s3
	s_cbranch_execnz .LBB117_181
; %bb.182:
	s_or_b32 exec_lo, exec_lo, s3
	v_mov_b32_e32 v7, 0
	ds_load_b128 v[7:10], v7 offset:672
	s_waitcnt lgkmcnt(0)
	v_mul_f64 v[11:12], v[1:2], v[9:10]
	v_mul_f64 v[15:16], v[3:4], v[9:10]
	s_delay_alu instid0(VALU_DEP_2) | instskip(NEXT) | instid1(VALU_DEP_2)
	v_fma_f64 v[9:10], v[3:4], v[7:8], -v[11:12]
	v_fma_f64 v[11:12], v[1:2], v[7:8], v[15:16]
	scratch_store_b128 off, v[9:12], off offset:672
.LBB117_183:
	s_or_b32 exec_lo, exec_lo, s2
	s_waitcnt_vscnt null, 0x0
	s_barrier
	buffer_gl0_inv
	scratch_load_b128 v[1:4], v212, off
	s_mov_b32 s2, exec_lo
	s_waitcnt vmcnt(0)
	ds_store_b128 v5, v[1:4]
	s_waitcnt lgkmcnt(0)
	s_barrier
	buffer_gl0_inv
	v_cmpx_gt_u32_e32 43, v154
	s_cbranch_execz .LBB117_187
; %bb.184:
	v_dual_mov_b32 v1, 0 :: v_dual_add_nc_u32 v8, 0x360, v13
	v_dual_mov_b32 v2, 0 :: v_dual_add_nc_u32 v7, -1, v154
	v_or_b32_e32 v9, 8, v14
	s_mov_b32 s3, 0
	s_delay_alu instid0(VALU_DEP_2)
	v_dual_mov_b32 v4, v2 :: v_dual_mov_b32 v3, v1
	.p2align	6
.LBB117_185:                            ; =>This Inner Loop Header: Depth=1
	scratch_load_b128 v[15:18], v9, off offset:-8
	ds_load_b128 v[19:22], v8
	v_add_nc_u32_e32 v7, 1, v7
	v_add_nc_u32_e32 v8, 16, v8
	;; [unrolled: 1-line block ×3, first 2 shown]
	s_delay_alu instid0(VALU_DEP_3) | instskip(SKIP_4) | instid1(VALU_DEP_2)
	v_cmp_lt_u32_e32 vcc_lo, 41, v7
	s_or_b32 s3, vcc_lo, s3
	s_waitcnt vmcnt(0) lgkmcnt(0)
	v_mul_f64 v[10:11], v[21:22], v[17:18]
	v_mul_f64 v[17:18], v[19:20], v[17:18]
	v_fma_f64 v[10:11], v[19:20], v[15:16], -v[10:11]
	s_delay_alu instid0(VALU_DEP_2) | instskip(NEXT) | instid1(VALU_DEP_2)
	v_fma_f64 v[15:16], v[21:22], v[15:16], v[17:18]
	v_add_f64 v[3:4], v[3:4], v[10:11]
	s_delay_alu instid0(VALU_DEP_2)
	v_add_f64 v[1:2], v[1:2], v[15:16]
	s_and_not1_b32 exec_lo, exec_lo, s3
	s_cbranch_execnz .LBB117_185
; %bb.186:
	s_or_b32 exec_lo, exec_lo, s3
	v_mov_b32_e32 v7, 0
	ds_load_b128 v[7:10], v7 offset:688
	s_waitcnt lgkmcnt(0)
	v_mul_f64 v[11:12], v[1:2], v[9:10]
	v_mul_f64 v[15:16], v[3:4], v[9:10]
	s_delay_alu instid0(VALU_DEP_2) | instskip(NEXT) | instid1(VALU_DEP_2)
	v_fma_f64 v[9:10], v[3:4], v[7:8], -v[11:12]
	v_fma_f64 v[11:12], v[1:2], v[7:8], v[15:16]
	scratch_store_b128 off, v[9:12], off offset:688
.LBB117_187:
	s_or_b32 exec_lo, exec_lo, s2
	s_waitcnt_vscnt null, 0x0
	s_barrier
	buffer_gl0_inv
	scratch_load_b128 v[1:4], v211, off
	s_mov_b32 s2, exec_lo
	s_waitcnt vmcnt(0)
	ds_store_b128 v5, v[1:4]
	s_waitcnt lgkmcnt(0)
	s_barrier
	buffer_gl0_inv
	v_cmpx_gt_u32_e32 44, v154
	s_cbranch_execz .LBB117_191
; %bb.188:
	v_dual_mov_b32 v1, 0 :: v_dual_add_nc_u32 v8, 0x360, v13
	v_dual_mov_b32 v2, 0 :: v_dual_add_nc_u32 v7, -1, v154
	v_or_b32_e32 v9, 8, v14
	s_mov_b32 s3, 0
	s_delay_alu instid0(VALU_DEP_2)
	v_dual_mov_b32 v4, v2 :: v_dual_mov_b32 v3, v1
	.p2align	6
.LBB117_189:                            ; =>This Inner Loop Header: Depth=1
	scratch_load_b128 v[15:18], v9, off offset:-8
	ds_load_b128 v[19:22], v8
	v_add_nc_u32_e32 v7, 1, v7
	v_add_nc_u32_e32 v8, 16, v8
	v_add_nc_u32_e32 v9, 16, v9
	s_delay_alu instid0(VALU_DEP_3) | instskip(SKIP_4) | instid1(VALU_DEP_2)
	v_cmp_lt_u32_e32 vcc_lo, 42, v7
	s_or_b32 s3, vcc_lo, s3
	s_waitcnt vmcnt(0) lgkmcnt(0)
	v_mul_f64 v[10:11], v[21:22], v[17:18]
	v_mul_f64 v[17:18], v[19:20], v[17:18]
	v_fma_f64 v[10:11], v[19:20], v[15:16], -v[10:11]
	s_delay_alu instid0(VALU_DEP_2) | instskip(NEXT) | instid1(VALU_DEP_2)
	v_fma_f64 v[15:16], v[21:22], v[15:16], v[17:18]
	v_add_f64 v[3:4], v[3:4], v[10:11]
	s_delay_alu instid0(VALU_DEP_2)
	v_add_f64 v[1:2], v[1:2], v[15:16]
	s_and_not1_b32 exec_lo, exec_lo, s3
	s_cbranch_execnz .LBB117_189
; %bb.190:
	s_or_b32 exec_lo, exec_lo, s3
	v_mov_b32_e32 v7, 0
	ds_load_b128 v[7:10], v7 offset:704
	s_waitcnt lgkmcnt(0)
	v_mul_f64 v[11:12], v[1:2], v[9:10]
	v_mul_f64 v[15:16], v[3:4], v[9:10]
	s_delay_alu instid0(VALU_DEP_2) | instskip(NEXT) | instid1(VALU_DEP_2)
	v_fma_f64 v[9:10], v[3:4], v[7:8], -v[11:12]
	v_fma_f64 v[11:12], v[1:2], v[7:8], v[15:16]
	scratch_store_b128 off, v[9:12], off offset:704
.LBB117_191:
	s_or_b32 exec_lo, exec_lo, s2
	s_waitcnt_vscnt null, 0x0
	s_barrier
	buffer_gl0_inv
	scratch_load_b128 v[1:4], v210, off
	s_mov_b32 s2, exec_lo
	s_waitcnt vmcnt(0)
	ds_store_b128 v5, v[1:4]
	s_waitcnt lgkmcnt(0)
	s_barrier
	buffer_gl0_inv
	v_cmpx_gt_u32_e32 45, v154
	s_cbranch_execz .LBB117_195
; %bb.192:
	v_dual_mov_b32 v1, 0 :: v_dual_add_nc_u32 v8, 0x360, v13
	v_dual_mov_b32 v2, 0 :: v_dual_add_nc_u32 v7, -1, v154
	v_or_b32_e32 v9, 8, v14
	s_mov_b32 s3, 0
	s_delay_alu instid0(VALU_DEP_2)
	v_dual_mov_b32 v4, v2 :: v_dual_mov_b32 v3, v1
	.p2align	6
.LBB117_193:                            ; =>This Inner Loop Header: Depth=1
	scratch_load_b128 v[15:18], v9, off offset:-8
	ds_load_b128 v[19:22], v8
	v_add_nc_u32_e32 v7, 1, v7
	v_add_nc_u32_e32 v8, 16, v8
	v_add_nc_u32_e32 v9, 16, v9
	s_delay_alu instid0(VALU_DEP_3) | instskip(SKIP_4) | instid1(VALU_DEP_2)
	v_cmp_lt_u32_e32 vcc_lo, 43, v7
	s_or_b32 s3, vcc_lo, s3
	s_waitcnt vmcnt(0) lgkmcnt(0)
	v_mul_f64 v[10:11], v[21:22], v[17:18]
	v_mul_f64 v[17:18], v[19:20], v[17:18]
	v_fma_f64 v[10:11], v[19:20], v[15:16], -v[10:11]
	s_delay_alu instid0(VALU_DEP_2) | instskip(NEXT) | instid1(VALU_DEP_2)
	v_fma_f64 v[15:16], v[21:22], v[15:16], v[17:18]
	v_add_f64 v[3:4], v[3:4], v[10:11]
	s_delay_alu instid0(VALU_DEP_2)
	v_add_f64 v[1:2], v[1:2], v[15:16]
	s_and_not1_b32 exec_lo, exec_lo, s3
	s_cbranch_execnz .LBB117_193
; %bb.194:
	s_or_b32 exec_lo, exec_lo, s3
	v_mov_b32_e32 v7, 0
	ds_load_b128 v[7:10], v7 offset:720
	s_waitcnt lgkmcnt(0)
	v_mul_f64 v[11:12], v[1:2], v[9:10]
	v_mul_f64 v[15:16], v[3:4], v[9:10]
	s_delay_alu instid0(VALU_DEP_2) | instskip(NEXT) | instid1(VALU_DEP_2)
	v_fma_f64 v[9:10], v[3:4], v[7:8], -v[11:12]
	v_fma_f64 v[11:12], v[1:2], v[7:8], v[15:16]
	scratch_store_b128 off, v[9:12], off offset:720
.LBB117_195:
	s_or_b32 exec_lo, exec_lo, s2
	s_waitcnt_vscnt null, 0x0
	s_barrier
	buffer_gl0_inv
	scratch_load_b128 v[1:4], v209, off
	s_mov_b32 s2, exec_lo
	s_waitcnt vmcnt(0)
	ds_store_b128 v5, v[1:4]
	s_waitcnt lgkmcnt(0)
	s_barrier
	buffer_gl0_inv
	v_cmpx_gt_u32_e32 46, v154
	s_cbranch_execz .LBB117_199
; %bb.196:
	v_dual_mov_b32 v1, 0 :: v_dual_add_nc_u32 v8, 0x360, v13
	v_dual_mov_b32 v2, 0 :: v_dual_add_nc_u32 v7, -1, v154
	v_or_b32_e32 v9, 8, v14
	s_mov_b32 s3, 0
	s_delay_alu instid0(VALU_DEP_2)
	v_dual_mov_b32 v4, v2 :: v_dual_mov_b32 v3, v1
	.p2align	6
.LBB117_197:                            ; =>This Inner Loop Header: Depth=1
	scratch_load_b128 v[15:18], v9, off offset:-8
	ds_load_b128 v[19:22], v8
	v_add_nc_u32_e32 v7, 1, v7
	v_add_nc_u32_e32 v8, 16, v8
	;; [unrolled: 1-line block ×3, first 2 shown]
	s_delay_alu instid0(VALU_DEP_3) | instskip(SKIP_4) | instid1(VALU_DEP_2)
	v_cmp_lt_u32_e32 vcc_lo, 44, v7
	s_or_b32 s3, vcc_lo, s3
	s_waitcnt vmcnt(0) lgkmcnt(0)
	v_mul_f64 v[10:11], v[21:22], v[17:18]
	v_mul_f64 v[17:18], v[19:20], v[17:18]
	v_fma_f64 v[10:11], v[19:20], v[15:16], -v[10:11]
	s_delay_alu instid0(VALU_DEP_2) | instskip(NEXT) | instid1(VALU_DEP_2)
	v_fma_f64 v[15:16], v[21:22], v[15:16], v[17:18]
	v_add_f64 v[3:4], v[3:4], v[10:11]
	s_delay_alu instid0(VALU_DEP_2)
	v_add_f64 v[1:2], v[1:2], v[15:16]
	s_and_not1_b32 exec_lo, exec_lo, s3
	s_cbranch_execnz .LBB117_197
; %bb.198:
	s_or_b32 exec_lo, exec_lo, s3
	v_mov_b32_e32 v7, 0
	ds_load_b128 v[7:10], v7 offset:736
	s_waitcnt lgkmcnt(0)
	v_mul_f64 v[11:12], v[1:2], v[9:10]
	v_mul_f64 v[15:16], v[3:4], v[9:10]
	s_delay_alu instid0(VALU_DEP_2) | instskip(NEXT) | instid1(VALU_DEP_2)
	v_fma_f64 v[9:10], v[3:4], v[7:8], -v[11:12]
	v_fma_f64 v[11:12], v[1:2], v[7:8], v[15:16]
	scratch_store_b128 off, v[9:12], off offset:736
.LBB117_199:
	s_or_b32 exec_lo, exec_lo, s2
	s_waitcnt_vscnt null, 0x0
	s_barrier
	buffer_gl0_inv
	scratch_load_b128 v[1:4], v156, off
	s_mov_b32 s2, exec_lo
	s_waitcnt vmcnt(0)
	ds_store_b128 v5, v[1:4]
	s_waitcnt lgkmcnt(0)
	s_barrier
	buffer_gl0_inv
	v_cmpx_gt_u32_e32 47, v154
	s_cbranch_execz .LBB117_203
; %bb.200:
	v_dual_mov_b32 v1, 0 :: v_dual_add_nc_u32 v8, 0x360, v13
	v_dual_mov_b32 v2, 0 :: v_dual_add_nc_u32 v7, -1, v154
	v_or_b32_e32 v9, 8, v14
	s_mov_b32 s3, 0
	s_delay_alu instid0(VALU_DEP_2)
	v_dual_mov_b32 v4, v2 :: v_dual_mov_b32 v3, v1
	.p2align	6
.LBB117_201:                            ; =>This Inner Loop Header: Depth=1
	scratch_load_b128 v[15:18], v9, off offset:-8
	ds_load_b128 v[19:22], v8
	v_add_nc_u32_e32 v7, 1, v7
	v_add_nc_u32_e32 v8, 16, v8
	;; [unrolled: 1-line block ×3, first 2 shown]
	s_delay_alu instid0(VALU_DEP_3) | instskip(SKIP_4) | instid1(VALU_DEP_2)
	v_cmp_lt_u32_e32 vcc_lo, 45, v7
	s_or_b32 s3, vcc_lo, s3
	s_waitcnt vmcnt(0) lgkmcnt(0)
	v_mul_f64 v[10:11], v[21:22], v[17:18]
	v_mul_f64 v[17:18], v[19:20], v[17:18]
	v_fma_f64 v[10:11], v[19:20], v[15:16], -v[10:11]
	s_delay_alu instid0(VALU_DEP_2) | instskip(NEXT) | instid1(VALU_DEP_2)
	v_fma_f64 v[15:16], v[21:22], v[15:16], v[17:18]
	v_add_f64 v[3:4], v[3:4], v[10:11]
	s_delay_alu instid0(VALU_DEP_2)
	v_add_f64 v[1:2], v[1:2], v[15:16]
	s_and_not1_b32 exec_lo, exec_lo, s3
	s_cbranch_execnz .LBB117_201
; %bb.202:
	s_or_b32 exec_lo, exec_lo, s3
	v_mov_b32_e32 v7, 0
	ds_load_b128 v[7:10], v7 offset:752
	s_waitcnt lgkmcnt(0)
	v_mul_f64 v[11:12], v[1:2], v[9:10]
	v_mul_f64 v[15:16], v[3:4], v[9:10]
	s_delay_alu instid0(VALU_DEP_2) | instskip(NEXT) | instid1(VALU_DEP_2)
	v_fma_f64 v[9:10], v[3:4], v[7:8], -v[11:12]
	v_fma_f64 v[11:12], v[1:2], v[7:8], v[15:16]
	scratch_store_b128 off, v[9:12], off offset:752
.LBB117_203:
	s_or_b32 exec_lo, exec_lo, s2
	s_waitcnt_vscnt null, 0x0
	s_barrier
	buffer_gl0_inv
	scratch_load_b128 v[1:4], v155, off
	s_mov_b32 s2, exec_lo
	s_waitcnt vmcnt(0)
	ds_store_b128 v5, v[1:4]
	s_waitcnt lgkmcnt(0)
	s_barrier
	buffer_gl0_inv
	v_cmpx_gt_u32_e32 48, v154
	s_cbranch_execz .LBB117_207
; %bb.204:
	v_dual_mov_b32 v1, 0 :: v_dual_add_nc_u32 v8, 0x360, v13
	v_dual_mov_b32 v2, 0 :: v_dual_add_nc_u32 v7, -1, v154
	v_or_b32_e32 v9, 8, v14
	s_mov_b32 s3, 0
	s_delay_alu instid0(VALU_DEP_2)
	v_dual_mov_b32 v4, v2 :: v_dual_mov_b32 v3, v1
	.p2align	6
.LBB117_205:                            ; =>This Inner Loop Header: Depth=1
	scratch_load_b128 v[15:18], v9, off offset:-8
	ds_load_b128 v[19:22], v8
	v_add_nc_u32_e32 v7, 1, v7
	v_add_nc_u32_e32 v8, 16, v8
	;; [unrolled: 1-line block ×3, first 2 shown]
	s_delay_alu instid0(VALU_DEP_3) | instskip(SKIP_4) | instid1(VALU_DEP_2)
	v_cmp_lt_u32_e32 vcc_lo, 46, v7
	s_or_b32 s3, vcc_lo, s3
	s_waitcnt vmcnt(0) lgkmcnt(0)
	v_mul_f64 v[10:11], v[21:22], v[17:18]
	v_mul_f64 v[17:18], v[19:20], v[17:18]
	v_fma_f64 v[10:11], v[19:20], v[15:16], -v[10:11]
	s_delay_alu instid0(VALU_DEP_2) | instskip(NEXT) | instid1(VALU_DEP_2)
	v_fma_f64 v[15:16], v[21:22], v[15:16], v[17:18]
	v_add_f64 v[3:4], v[3:4], v[10:11]
	s_delay_alu instid0(VALU_DEP_2)
	v_add_f64 v[1:2], v[1:2], v[15:16]
	s_and_not1_b32 exec_lo, exec_lo, s3
	s_cbranch_execnz .LBB117_205
; %bb.206:
	s_or_b32 exec_lo, exec_lo, s3
	v_mov_b32_e32 v7, 0
	ds_load_b128 v[7:10], v7 offset:768
	s_waitcnt lgkmcnt(0)
	v_mul_f64 v[11:12], v[1:2], v[9:10]
	v_mul_f64 v[15:16], v[3:4], v[9:10]
	s_delay_alu instid0(VALU_DEP_2) | instskip(NEXT) | instid1(VALU_DEP_2)
	v_fma_f64 v[9:10], v[3:4], v[7:8], -v[11:12]
	v_fma_f64 v[11:12], v[1:2], v[7:8], v[15:16]
	scratch_store_b128 off, v[9:12], off offset:768
.LBB117_207:
	s_or_b32 exec_lo, exec_lo, s2
	s_waitcnt_vscnt null, 0x0
	s_barrier
	buffer_gl0_inv
	scratch_load_b128 v[1:4], v170, off
	s_mov_b32 s2, exec_lo
	s_waitcnt vmcnt(0)
	ds_store_b128 v5, v[1:4]
	s_waitcnt lgkmcnt(0)
	s_barrier
	buffer_gl0_inv
	v_cmpx_gt_u32_e32 49, v154
	s_cbranch_execz .LBB117_211
; %bb.208:
	v_dual_mov_b32 v1, 0 :: v_dual_add_nc_u32 v8, 0x360, v13
	v_dual_mov_b32 v2, 0 :: v_dual_add_nc_u32 v7, -1, v154
	v_or_b32_e32 v9, 8, v14
	s_mov_b32 s3, 0
	s_delay_alu instid0(VALU_DEP_2)
	v_dual_mov_b32 v4, v2 :: v_dual_mov_b32 v3, v1
	.p2align	6
.LBB117_209:                            ; =>This Inner Loop Header: Depth=1
	scratch_load_b128 v[15:18], v9, off offset:-8
	ds_load_b128 v[19:22], v8
	v_add_nc_u32_e32 v7, 1, v7
	v_add_nc_u32_e32 v8, 16, v8
	;; [unrolled: 1-line block ×3, first 2 shown]
	s_delay_alu instid0(VALU_DEP_3) | instskip(SKIP_4) | instid1(VALU_DEP_2)
	v_cmp_lt_u32_e32 vcc_lo, 47, v7
	s_or_b32 s3, vcc_lo, s3
	s_waitcnt vmcnt(0) lgkmcnt(0)
	v_mul_f64 v[10:11], v[21:22], v[17:18]
	v_mul_f64 v[17:18], v[19:20], v[17:18]
	v_fma_f64 v[10:11], v[19:20], v[15:16], -v[10:11]
	s_delay_alu instid0(VALU_DEP_2) | instskip(NEXT) | instid1(VALU_DEP_2)
	v_fma_f64 v[15:16], v[21:22], v[15:16], v[17:18]
	v_add_f64 v[3:4], v[3:4], v[10:11]
	s_delay_alu instid0(VALU_DEP_2)
	v_add_f64 v[1:2], v[1:2], v[15:16]
	s_and_not1_b32 exec_lo, exec_lo, s3
	s_cbranch_execnz .LBB117_209
; %bb.210:
	s_or_b32 exec_lo, exec_lo, s3
	v_mov_b32_e32 v7, 0
	ds_load_b128 v[7:10], v7 offset:784
	s_waitcnt lgkmcnt(0)
	v_mul_f64 v[11:12], v[1:2], v[9:10]
	v_mul_f64 v[15:16], v[3:4], v[9:10]
	s_delay_alu instid0(VALU_DEP_2) | instskip(NEXT) | instid1(VALU_DEP_2)
	v_fma_f64 v[9:10], v[3:4], v[7:8], -v[11:12]
	v_fma_f64 v[11:12], v[1:2], v[7:8], v[15:16]
	scratch_store_b128 off, v[9:12], off offset:784
.LBB117_211:
	s_or_b32 exec_lo, exec_lo, s2
	s_waitcnt_vscnt null, 0x0
	s_barrier
	buffer_gl0_inv
	scratch_load_b128 v[1:4], v167, off
	s_mov_b32 s2, exec_lo
	s_waitcnt vmcnt(0)
	ds_store_b128 v5, v[1:4]
	s_waitcnt lgkmcnt(0)
	s_barrier
	buffer_gl0_inv
	v_cmpx_gt_u32_e32 50, v154
	s_cbranch_execz .LBB117_215
; %bb.212:
	v_dual_mov_b32 v1, 0 :: v_dual_add_nc_u32 v8, 0x360, v13
	v_dual_mov_b32 v2, 0 :: v_dual_add_nc_u32 v7, -1, v154
	v_or_b32_e32 v9, 8, v14
	s_mov_b32 s3, 0
	s_delay_alu instid0(VALU_DEP_2)
	v_dual_mov_b32 v4, v2 :: v_dual_mov_b32 v3, v1
	.p2align	6
.LBB117_213:                            ; =>This Inner Loop Header: Depth=1
	scratch_load_b128 v[15:18], v9, off offset:-8
	ds_load_b128 v[19:22], v8
	v_add_nc_u32_e32 v7, 1, v7
	v_add_nc_u32_e32 v8, 16, v8
	;; [unrolled: 1-line block ×3, first 2 shown]
	s_delay_alu instid0(VALU_DEP_3) | instskip(SKIP_4) | instid1(VALU_DEP_2)
	v_cmp_lt_u32_e32 vcc_lo, 48, v7
	s_or_b32 s3, vcc_lo, s3
	s_waitcnt vmcnt(0) lgkmcnt(0)
	v_mul_f64 v[10:11], v[21:22], v[17:18]
	v_mul_f64 v[17:18], v[19:20], v[17:18]
	v_fma_f64 v[10:11], v[19:20], v[15:16], -v[10:11]
	s_delay_alu instid0(VALU_DEP_2) | instskip(NEXT) | instid1(VALU_DEP_2)
	v_fma_f64 v[15:16], v[21:22], v[15:16], v[17:18]
	v_add_f64 v[3:4], v[3:4], v[10:11]
	s_delay_alu instid0(VALU_DEP_2)
	v_add_f64 v[1:2], v[1:2], v[15:16]
	s_and_not1_b32 exec_lo, exec_lo, s3
	s_cbranch_execnz .LBB117_213
; %bb.214:
	s_or_b32 exec_lo, exec_lo, s3
	v_mov_b32_e32 v7, 0
	ds_load_b128 v[7:10], v7 offset:800
	s_waitcnt lgkmcnt(0)
	v_mul_f64 v[11:12], v[1:2], v[9:10]
	v_mul_f64 v[15:16], v[3:4], v[9:10]
	s_delay_alu instid0(VALU_DEP_2) | instskip(NEXT) | instid1(VALU_DEP_2)
	v_fma_f64 v[9:10], v[3:4], v[7:8], -v[11:12]
	v_fma_f64 v[11:12], v[1:2], v[7:8], v[15:16]
	scratch_store_b128 off, v[9:12], off offset:800
.LBB117_215:
	s_or_b32 exec_lo, exec_lo, s2
	s_waitcnt_vscnt null, 0x0
	s_barrier
	buffer_gl0_inv
	scratch_load_b128 v[1:4], v166, off
	s_mov_b32 s2, exec_lo
	s_waitcnt vmcnt(0)
	ds_store_b128 v5, v[1:4]
	s_waitcnt lgkmcnt(0)
	s_barrier
	buffer_gl0_inv
	v_cmpx_gt_u32_e32 51, v154
	s_cbranch_execz .LBB117_219
; %bb.216:
	v_dual_mov_b32 v1, 0 :: v_dual_add_nc_u32 v8, 0x360, v13
	v_dual_mov_b32 v2, 0 :: v_dual_add_nc_u32 v7, -1, v154
	v_or_b32_e32 v9, 8, v14
	s_mov_b32 s3, 0
	s_delay_alu instid0(VALU_DEP_2)
	v_dual_mov_b32 v4, v2 :: v_dual_mov_b32 v3, v1
	.p2align	6
.LBB117_217:                            ; =>This Inner Loop Header: Depth=1
	scratch_load_b128 v[15:18], v9, off offset:-8
	ds_load_b128 v[19:22], v8
	v_add_nc_u32_e32 v7, 1, v7
	v_add_nc_u32_e32 v8, 16, v8
	;; [unrolled: 1-line block ×3, first 2 shown]
	s_delay_alu instid0(VALU_DEP_3) | instskip(SKIP_4) | instid1(VALU_DEP_2)
	v_cmp_lt_u32_e32 vcc_lo, 49, v7
	s_or_b32 s3, vcc_lo, s3
	s_waitcnt vmcnt(0) lgkmcnt(0)
	v_mul_f64 v[10:11], v[21:22], v[17:18]
	v_mul_f64 v[17:18], v[19:20], v[17:18]
	v_fma_f64 v[10:11], v[19:20], v[15:16], -v[10:11]
	s_delay_alu instid0(VALU_DEP_2) | instskip(NEXT) | instid1(VALU_DEP_2)
	v_fma_f64 v[15:16], v[21:22], v[15:16], v[17:18]
	v_add_f64 v[3:4], v[3:4], v[10:11]
	s_delay_alu instid0(VALU_DEP_2)
	v_add_f64 v[1:2], v[1:2], v[15:16]
	s_and_not1_b32 exec_lo, exec_lo, s3
	s_cbranch_execnz .LBB117_217
; %bb.218:
	s_or_b32 exec_lo, exec_lo, s3
	v_mov_b32_e32 v7, 0
	ds_load_b128 v[7:10], v7 offset:816
	s_waitcnt lgkmcnt(0)
	v_mul_f64 v[11:12], v[1:2], v[9:10]
	v_mul_f64 v[15:16], v[3:4], v[9:10]
	s_delay_alu instid0(VALU_DEP_2) | instskip(NEXT) | instid1(VALU_DEP_2)
	v_fma_f64 v[9:10], v[3:4], v[7:8], -v[11:12]
	v_fma_f64 v[11:12], v[1:2], v[7:8], v[15:16]
	scratch_store_b128 off, v[9:12], off offset:816
.LBB117_219:
	s_or_b32 exec_lo, exec_lo, s2
	s_waitcnt_vscnt null, 0x0
	s_barrier
	buffer_gl0_inv
	scratch_load_b128 v[1:4], v163, off
	s_mov_b32 s2, exec_lo
	s_waitcnt vmcnt(0)
	ds_store_b128 v5, v[1:4]
	s_waitcnt lgkmcnt(0)
	s_barrier
	buffer_gl0_inv
	v_cmpx_gt_u32_e32 52, v154
	s_cbranch_execz .LBB117_223
; %bb.220:
	v_dual_mov_b32 v1, 0 :: v_dual_add_nc_u32 v8, 0x360, v13
	v_dual_mov_b32 v2, 0 :: v_dual_add_nc_u32 v7, -1, v154
	v_or_b32_e32 v9, 8, v14
	s_mov_b32 s3, 0
	s_delay_alu instid0(VALU_DEP_2)
	v_dual_mov_b32 v4, v2 :: v_dual_mov_b32 v3, v1
	.p2align	6
.LBB117_221:                            ; =>This Inner Loop Header: Depth=1
	scratch_load_b128 v[10:13], v9, off offset:-8
	ds_load_b128 v[15:18], v8
	v_add_nc_u32_e32 v7, 1, v7
	v_add_nc_u32_e32 v8, 16, v8
	;; [unrolled: 1-line block ×3, first 2 shown]
	s_delay_alu instid0(VALU_DEP_3) | instskip(SKIP_4) | instid1(VALU_DEP_2)
	v_cmp_lt_u32_e32 vcc_lo, 50, v7
	s_or_b32 s3, vcc_lo, s3
	s_waitcnt vmcnt(0) lgkmcnt(0)
	v_mul_f64 v[19:20], v[17:18], v[12:13]
	v_mul_f64 v[12:13], v[15:16], v[12:13]
	v_fma_f64 v[15:16], v[15:16], v[10:11], -v[19:20]
	s_delay_alu instid0(VALU_DEP_2) | instskip(NEXT) | instid1(VALU_DEP_2)
	v_fma_f64 v[10:11], v[17:18], v[10:11], v[12:13]
	v_add_f64 v[3:4], v[3:4], v[15:16]
	s_delay_alu instid0(VALU_DEP_2)
	v_add_f64 v[1:2], v[1:2], v[10:11]
	s_and_not1_b32 exec_lo, exec_lo, s3
	s_cbranch_execnz .LBB117_221
; %bb.222:
	s_or_b32 exec_lo, exec_lo, s3
	v_mov_b32_e32 v7, 0
	ds_load_b128 v[7:10], v7 offset:832
	s_waitcnt lgkmcnt(0)
	v_mul_f64 v[11:12], v[1:2], v[9:10]
	v_mul_f64 v[15:16], v[3:4], v[9:10]
	s_delay_alu instid0(VALU_DEP_2) | instskip(NEXT) | instid1(VALU_DEP_2)
	v_fma_f64 v[9:10], v[3:4], v[7:8], -v[11:12]
	v_fma_f64 v[11:12], v[1:2], v[7:8], v[15:16]
	scratch_store_b128 off, v[9:12], off offset:832
.LBB117_223:
	s_or_b32 exec_lo, exec_lo, s2
	s_waitcnt_vscnt null, 0x0
	s_barrier
	buffer_gl0_inv
	scratch_load_b128 v[1:4], v161, off
	s_mov_b32 s2, exec_lo
	s_waitcnt vmcnt(0)
	ds_store_b128 v5, v[1:4]
	s_waitcnt lgkmcnt(0)
	s_barrier
	buffer_gl0_inv
	v_cmpx_ne_u32_e32 53, v154
	s_cbranch_execz .LBB117_227
; %bb.224:
	v_mov_b32_e32 v1, 0
	v_mov_b32_e32 v2, 0
	v_or_b32_e32 v7, 8, v14
	s_mov_b32 s3, 0
	s_delay_alu instid0(VALU_DEP_2)
	v_dual_mov_b32 v4, v2 :: v_dual_mov_b32 v3, v1
	.p2align	6
.LBB117_225:                            ; =>This Inner Loop Header: Depth=1
	scratch_load_b128 v[8:11], v7, off offset:-8
	ds_load_b128 v[12:15], v5
	v_add_nc_u32_e32 v6, 1, v6
	v_add_nc_u32_e32 v5, 16, v5
	;; [unrolled: 1-line block ×3, first 2 shown]
	s_delay_alu instid0(VALU_DEP_3) | instskip(SKIP_4) | instid1(VALU_DEP_2)
	v_cmp_lt_u32_e32 vcc_lo, 51, v6
	s_or_b32 s3, vcc_lo, s3
	s_waitcnt vmcnt(0) lgkmcnt(0)
	v_mul_f64 v[16:17], v[14:15], v[10:11]
	v_mul_f64 v[10:11], v[12:13], v[10:11]
	v_fma_f64 v[12:13], v[12:13], v[8:9], -v[16:17]
	s_delay_alu instid0(VALU_DEP_2) | instskip(NEXT) | instid1(VALU_DEP_2)
	v_fma_f64 v[8:9], v[14:15], v[8:9], v[10:11]
	v_add_f64 v[3:4], v[3:4], v[12:13]
	s_delay_alu instid0(VALU_DEP_2)
	v_add_f64 v[1:2], v[1:2], v[8:9]
	s_and_not1_b32 exec_lo, exec_lo, s3
	s_cbranch_execnz .LBB117_225
; %bb.226:
	s_or_b32 exec_lo, exec_lo, s3
	v_mov_b32_e32 v5, 0
	ds_load_b128 v[5:8], v5 offset:848
	s_waitcnt lgkmcnt(0)
	v_mul_f64 v[9:10], v[1:2], v[7:8]
	v_mul_f64 v[7:8], v[3:4], v[7:8]
	s_delay_alu instid0(VALU_DEP_2) | instskip(NEXT) | instid1(VALU_DEP_2)
	v_fma_f64 v[3:4], v[3:4], v[5:6], -v[9:10]
	v_fma_f64 v[5:6], v[1:2], v[5:6], v[7:8]
	scratch_store_b128 off, v[3:6], off offset:848
.LBB117_227:
	s_or_b32 exec_lo, exec_lo, s2
	s_mov_b32 s3, -1
	s_waitcnt_vscnt null, 0x0
	s_barrier
	buffer_gl0_inv
.LBB117_228:
	s_and_b32 vcc_lo, exec_lo, s3
	s_cbranch_vccz .LBB117_230
; %bb.229:
	s_lshl_b64 s[2:3], s[10:11], 2
	v_mov_b32_e32 v1, 0
	s_add_u32 s2, s6, s2
	s_addc_u32 s3, s7, s3
	global_load_b32 v1, v1, s[2:3]
	s_waitcnt vmcnt(0)
	v_cmp_ne_u32_e32 vcc_lo, 0, v1
	s_cbranch_vccz .LBB117_231
.LBB117_230:
	s_endpgm
.LBB117_231:
	v_lshl_add_u32 v208, v154, 4, 0x360
	s_mov_b32 s2, exec_lo
	v_cmpx_eq_u32_e32 53, v154
	s_cbranch_execz .LBB117_233
; %bb.232:
	scratch_load_b128 v[1:4], v163, off
	v_mov_b32_e32 v5, 0
	s_delay_alu instid0(VALU_DEP_1)
	v_mov_b32_e32 v6, v5
	v_mov_b32_e32 v7, v5
	;; [unrolled: 1-line block ×3, first 2 shown]
	scratch_store_b128 off, v[5:8], off offset:832
	s_waitcnt vmcnt(0)
	ds_store_b128 v208, v[1:4]
.LBB117_233:
	s_or_b32 exec_lo, exec_lo, s2
	s_waitcnt lgkmcnt(0)
	s_waitcnt_vscnt null, 0x0
	s_barrier
	buffer_gl0_inv
	s_clause 0x1
	scratch_load_b128 v[2:5], off, off offset:848
	scratch_load_b128 v[6:9], off, off offset:832
	v_mov_b32_e32 v1, 0
	s_mov_b32 s2, exec_lo
	ds_load_b128 v[10:13], v1 offset:1712
	s_waitcnt vmcnt(1) lgkmcnt(0)
	v_mul_f64 v[14:15], v[12:13], v[4:5]
	v_mul_f64 v[4:5], v[10:11], v[4:5]
	s_delay_alu instid0(VALU_DEP_2) | instskip(NEXT) | instid1(VALU_DEP_2)
	v_fma_f64 v[10:11], v[10:11], v[2:3], -v[14:15]
	v_fma_f64 v[2:3], v[12:13], v[2:3], v[4:5]
	s_delay_alu instid0(VALU_DEP_2) | instskip(NEXT) | instid1(VALU_DEP_2)
	v_add_f64 v[4:5], v[10:11], 0
	v_add_f64 v[10:11], v[2:3], 0
	s_waitcnt vmcnt(0)
	s_delay_alu instid0(VALU_DEP_2) | instskip(NEXT) | instid1(VALU_DEP_2)
	v_add_f64 v[2:3], v[6:7], -v[4:5]
	v_add_f64 v[4:5], v[8:9], -v[10:11]
	scratch_store_b128 off, v[2:5], off offset:832
	v_cmpx_lt_u32_e32 51, v154
	s_cbranch_execz .LBB117_235
; %bb.234:
	scratch_load_b128 v[5:8], v166, off
	v_mov_b32_e32 v2, v1
	v_mov_b32_e32 v3, v1
	;; [unrolled: 1-line block ×3, first 2 shown]
	scratch_store_b128 off, v[1:4], off offset:816
	s_waitcnt vmcnt(0)
	ds_store_b128 v208, v[5:8]
.LBB117_235:
	s_or_b32 exec_lo, exec_lo, s2
	s_waitcnt lgkmcnt(0)
	s_waitcnt_vscnt null, 0x0
	s_barrier
	buffer_gl0_inv
	s_clause 0x2
	scratch_load_b128 v[2:5], off, off offset:832
	scratch_load_b128 v[6:9], off, off offset:848
	;; [unrolled: 1-line block ×3, first 2 shown]
	ds_load_b128 v[14:17], v1 offset:1696
	ds_load_b128 v[18:21], v1 offset:1712
	s_mov_b32 s2, exec_lo
	s_waitcnt vmcnt(2) lgkmcnt(1)
	v_mul_f64 v[22:23], v[16:17], v[4:5]
	v_mul_f64 v[4:5], v[14:15], v[4:5]
	s_waitcnt vmcnt(1) lgkmcnt(0)
	v_mul_f64 v[24:25], v[18:19], v[8:9]
	v_mul_f64 v[8:9], v[20:21], v[8:9]
	s_delay_alu instid0(VALU_DEP_4) | instskip(NEXT) | instid1(VALU_DEP_4)
	v_fma_f64 v[14:15], v[14:15], v[2:3], -v[22:23]
	v_fma_f64 v[1:2], v[16:17], v[2:3], v[4:5]
	s_delay_alu instid0(VALU_DEP_4) | instskip(NEXT) | instid1(VALU_DEP_4)
	v_fma_f64 v[3:4], v[20:21], v[6:7], v[24:25]
	v_fma_f64 v[5:6], v[18:19], v[6:7], -v[8:9]
	s_delay_alu instid0(VALU_DEP_4) | instskip(NEXT) | instid1(VALU_DEP_4)
	v_add_f64 v[7:8], v[14:15], 0
	v_add_f64 v[1:2], v[1:2], 0
	s_delay_alu instid0(VALU_DEP_2) | instskip(NEXT) | instid1(VALU_DEP_2)
	v_add_f64 v[5:6], v[7:8], v[5:6]
	v_add_f64 v[3:4], v[1:2], v[3:4]
	s_waitcnt vmcnt(0)
	s_delay_alu instid0(VALU_DEP_2) | instskip(NEXT) | instid1(VALU_DEP_2)
	v_add_f64 v[1:2], v[10:11], -v[5:6]
	v_add_f64 v[3:4], v[12:13], -v[3:4]
	scratch_store_b128 off, v[1:4], off offset:816
	v_cmpx_lt_u32_e32 50, v154
	s_cbranch_execz .LBB117_237
; %bb.236:
	scratch_load_b128 v[1:4], v167, off
	v_mov_b32_e32 v5, 0
	s_delay_alu instid0(VALU_DEP_1)
	v_mov_b32_e32 v6, v5
	v_mov_b32_e32 v7, v5
	;; [unrolled: 1-line block ×3, first 2 shown]
	scratch_store_b128 off, v[5:8], off offset:800
	s_waitcnt vmcnt(0)
	ds_store_b128 v208, v[1:4]
.LBB117_237:
	s_or_b32 exec_lo, exec_lo, s2
	s_waitcnt lgkmcnt(0)
	s_waitcnt_vscnt null, 0x0
	s_barrier
	buffer_gl0_inv
	s_clause 0x3
	scratch_load_b128 v[2:5], off, off offset:816
	scratch_load_b128 v[6:9], off, off offset:832
	;; [unrolled: 1-line block ×4, first 2 shown]
	v_mov_b32_e32 v1, 0
	ds_load_b128 v[18:21], v1 offset:1680
	ds_load_b128 v[22:25], v1 offset:1696
	s_mov_b32 s2, exec_lo
	s_waitcnt vmcnt(3) lgkmcnt(1)
	v_mul_f64 v[26:27], v[20:21], v[4:5]
	v_mul_f64 v[4:5], v[18:19], v[4:5]
	s_waitcnt vmcnt(2) lgkmcnt(0)
	v_mul_f64 v[28:29], v[22:23], v[8:9]
	v_mul_f64 v[8:9], v[24:25], v[8:9]
	s_delay_alu instid0(VALU_DEP_4) | instskip(NEXT) | instid1(VALU_DEP_4)
	v_fma_f64 v[18:19], v[18:19], v[2:3], -v[26:27]
	v_fma_f64 v[20:21], v[20:21], v[2:3], v[4:5]
	ds_load_b128 v[2:5], v1 offset:1712
	v_fma_f64 v[24:25], v[24:25], v[6:7], v[28:29]
	v_fma_f64 v[6:7], v[22:23], v[6:7], -v[8:9]
	s_waitcnt vmcnt(1) lgkmcnt(0)
	v_mul_f64 v[26:27], v[2:3], v[12:13]
	v_mul_f64 v[12:13], v[4:5], v[12:13]
	v_add_f64 v[8:9], v[18:19], 0
	v_add_f64 v[18:19], v[20:21], 0
	s_delay_alu instid0(VALU_DEP_4) | instskip(NEXT) | instid1(VALU_DEP_4)
	v_fma_f64 v[4:5], v[4:5], v[10:11], v[26:27]
	v_fma_f64 v[2:3], v[2:3], v[10:11], -v[12:13]
	s_delay_alu instid0(VALU_DEP_4) | instskip(NEXT) | instid1(VALU_DEP_4)
	v_add_f64 v[6:7], v[8:9], v[6:7]
	v_add_f64 v[8:9], v[18:19], v[24:25]
	s_delay_alu instid0(VALU_DEP_2) | instskip(NEXT) | instid1(VALU_DEP_2)
	v_add_f64 v[2:3], v[6:7], v[2:3]
	v_add_f64 v[4:5], v[8:9], v[4:5]
	s_waitcnt vmcnt(0)
	s_delay_alu instid0(VALU_DEP_2) | instskip(NEXT) | instid1(VALU_DEP_2)
	v_add_f64 v[2:3], v[14:15], -v[2:3]
	v_add_f64 v[4:5], v[16:17], -v[4:5]
	scratch_store_b128 off, v[2:5], off offset:800
	v_cmpx_lt_u32_e32 49, v154
	s_cbranch_execz .LBB117_239
; %bb.238:
	scratch_load_b128 v[5:8], v170, off
	v_mov_b32_e32 v2, v1
	v_mov_b32_e32 v3, v1
	;; [unrolled: 1-line block ×3, first 2 shown]
	scratch_store_b128 off, v[1:4], off offset:784
	s_waitcnt vmcnt(0)
	ds_store_b128 v208, v[5:8]
.LBB117_239:
	s_or_b32 exec_lo, exec_lo, s2
	s_waitcnt lgkmcnt(0)
	s_waitcnt_vscnt null, 0x0
	s_barrier
	buffer_gl0_inv
	s_clause 0x4
	scratch_load_b128 v[2:5], off, off offset:800
	scratch_load_b128 v[6:9], off, off offset:816
	;; [unrolled: 1-line block ×5, first 2 shown]
	ds_load_b128 v[22:25], v1 offset:1664
	ds_load_b128 v[26:29], v1 offset:1680
	s_mov_b32 s2, exec_lo
	s_waitcnt vmcnt(4) lgkmcnt(1)
	v_mul_f64 v[30:31], v[24:25], v[4:5]
	v_mul_f64 v[4:5], v[22:23], v[4:5]
	s_waitcnt vmcnt(3) lgkmcnt(0)
	v_mul_f64 v[32:33], v[26:27], v[8:9]
	v_mul_f64 v[8:9], v[28:29], v[8:9]
	s_delay_alu instid0(VALU_DEP_4) | instskip(NEXT) | instid1(VALU_DEP_4)
	v_fma_f64 v[30:31], v[22:23], v[2:3], -v[30:31]
	v_fma_f64 v[34:35], v[24:25], v[2:3], v[4:5]
	ds_load_b128 v[2:5], v1 offset:1696
	ds_load_b128 v[22:25], v1 offset:1712
	v_fma_f64 v[28:29], v[28:29], v[6:7], v[32:33]
	v_fma_f64 v[6:7], v[26:27], v[6:7], -v[8:9]
	s_waitcnt vmcnt(2) lgkmcnt(1)
	v_mul_f64 v[36:37], v[2:3], v[12:13]
	v_mul_f64 v[12:13], v[4:5], v[12:13]
	v_add_f64 v[8:9], v[30:31], 0
	v_add_f64 v[26:27], v[34:35], 0
	s_waitcnt vmcnt(1) lgkmcnt(0)
	v_mul_f64 v[30:31], v[22:23], v[16:17]
	v_mul_f64 v[16:17], v[24:25], v[16:17]
	v_fma_f64 v[4:5], v[4:5], v[10:11], v[36:37]
	v_fma_f64 v[1:2], v[2:3], v[10:11], -v[12:13]
	v_add_f64 v[6:7], v[8:9], v[6:7]
	v_add_f64 v[8:9], v[26:27], v[28:29]
	v_fma_f64 v[10:11], v[24:25], v[14:15], v[30:31]
	v_fma_f64 v[12:13], v[22:23], v[14:15], -v[16:17]
	s_delay_alu instid0(VALU_DEP_4) | instskip(NEXT) | instid1(VALU_DEP_4)
	v_add_f64 v[1:2], v[6:7], v[1:2]
	v_add_f64 v[3:4], v[8:9], v[4:5]
	s_delay_alu instid0(VALU_DEP_2) | instskip(NEXT) | instid1(VALU_DEP_2)
	v_add_f64 v[1:2], v[1:2], v[12:13]
	v_add_f64 v[3:4], v[3:4], v[10:11]
	s_waitcnt vmcnt(0)
	s_delay_alu instid0(VALU_DEP_2) | instskip(NEXT) | instid1(VALU_DEP_2)
	v_add_f64 v[1:2], v[18:19], -v[1:2]
	v_add_f64 v[3:4], v[20:21], -v[3:4]
	scratch_store_b128 off, v[1:4], off offset:784
	v_cmpx_lt_u32_e32 48, v154
	s_cbranch_execz .LBB117_241
; %bb.240:
	scratch_load_b128 v[1:4], v155, off
	v_mov_b32_e32 v5, 0
	s_delay_alu instid0(VALU_DEP_1)
	v_mov_b32_e32 v6, v5
	v_mov_b32_e32 v7, v5
	;; [unrolled: 1-line block ×3, first 2 shown]
	scratch_store_b128 off, v[5:8], off offset:768
	s_waitcnt vmcnt(0)
	ds_store_b128 v208, v[1:4]
.LBB117_241:
	s_or_b32 exec_lo, exec_lo, s2
	s_waitcnt lgkmcnt(0)
	s_waitcnt_vscnt null, 0x0
	s_barrier
	buffer_gl0_inv
	s_clause 0x5
	scratch_load_b128 v[2:5], off, off offset:784
	scratch_load_b128 v[6:9], off, off offset:800
	;; [unrolled: 1-line block ×6, first 2 shown]
	v_mov_b32_e32 v1, 0
	ds_load_b128 v[26:29], v1 offset:1648
	ds_load_b128 v[30:33], v1 offset:1664
	s_mov_b32 s2, exec_lo
	s_waitcnt vmcnt(5) lgkmcnt(1)
	v_mul_f64 v[34:35], v[28:29], v[4:5]
	v_mul_f64 v[4:5], v[26:27], v[4:5]
	s_waitcnt vmcnt(4) lgkmcnt(0)
	v_mul_f64 v[36:37], v[30:31], v[8:9]
	v_mul_f64 v[8:9], v[32:33], v[8:9]
	s_delay_alu instid0(VALU_DEP_4) | instskip(NEXT) | instid1(VALU_DEP_4)
	v_fma_f64 v[34:35], v[26:27], v[2:3], -v[34:35]
	v_fma_f64 v[38:39], v[28:29], v[2:3], v[4:5]
	ds_load_b128 v[2:5], v1 offset:1680
	ds_load_b128 v[26:29], v1 offset:1696
	v_fma_f64 v[32:33], v[32:33], v[6:7], v[36:37]
	v_fma_f64 v[6:7], v[30:31], v[6:7], -v[8:9]
	s_waitcnt vmcnt(3) lgkmcnt(1)
	v_mul_f64 v[40:41], v[2:3], v[12:13]
	v_mul_f64 v[12:13], v[4:5], v[12:13]
	v_add_f64 v[8:9], v[34:35], 0
	v_add_f64 v[30:31], v[38:39], 0
	s_waitcnt vmcnt(2) lgkmcnt(0)
	v_mul_f64 v[34:35], v[26:27], v[16:17]
	v_mul_f64 v[16:17], v[28:29], v[16:17]
	v_fma_f64 v[36:37], v[4:5], v[10:11], v[40:41]
	v_fma_f64 v[10:11], v[2:3], v[10:11], -v[12:13]
	ds_load_b128 v[2:5], v1 offset:1712
	v_add_f64 v[6:7], v[8:9], v[6:7]
	v_add_f64 v[8:9], v[30:31], v[32:33]
	v_fma_f64 v[28:29], v[28:29], v[14:15], v[34:35]
	v_fma_f64 v[14:15], v[26:27], v[14:15], -v[16:17]
	s_waitcnt vmcnt(1) lgkmcnt(0)
	v_mul_f64 v[12:13], v[2:3], v[20:21]
	v_mul_f64 v[20:21], v[4:5], v[20:21]
	v_add_f64 v[6:7], v[6:7], v[10:11]
	v_add_f64 v[8:9], v[8:9], v[36:37]
	s_delay_alu instid0(VALU_DEP_4) | instskip(NEXT) | instid1(VALU_DEP_4)
	v_fma_f64 v[4:5], v[4:5], v[18:19], v[12:13]
	v_fma_f64 v[2:3], v[2:3], v[18:19], -v[20:21]
	s_delay_alu instid0(VALU_DEP_4) | instskip(NEXT) | instid1(VALU_DEP_4)
	v_add_f64 v[6:7], v[6:7], v[14:15]
	v_add_f64 v[8:9], v[8:9], v[28:29]
	s_delay_alu instid0(VALU_DEP_2) | instskip(NEXT) | instid1(VALU_DEP_2)
	v_add_f64 v[2:3], v[6:7], v[2:3]
	v_add_f64 v[4:5], v[8:9], v[4:5]
	s_waitcnt vmcnt(0)
	s_delay_alu instid0(VALU_DEP_2) | instskip(NEXT) | instid1(VALU_DEP_2)
	v_add_f64 v[2:3], v[22:23], -v[2:3]
	v_add_f64 v[4:5], v[24:25], -v[4:5]
	scratch_store_b128 off, v[2:5], off offset:768
	v_cmpx_lt_u32_e32 47, v154
	s_cbranch_execz .LBB117_243
; %bb.242:
	scratch_load_b128 v[5:8], v156, off
	v_mov_b32_e32 v2, v1
	v_mov_b32_e32 v3, v1
	;; [unrolled: 1-line block ×3, first 2 shown]
	scratch_store_b128 off, v[1:4], off offset:752
	s_waitcnt vmcnt(0)
	ds_store_b128 v208, v[5:8]
.LBB117_243:
	s_or_b32 exec_lo, exec_lo, s2
	s_waitcnt lgkmcnt(0)
	s_waitcnt_vscnt null, 0x0
	s_barrier
	buffer_gl0_inv
	s_clause 0x5
	scratch_load_b128 v[2:5], off, off offset:768
	scratch_load_b128 v[6:9], off, off offset:784
	;; [unrolled: 1-line block ×6, first 2 shown]
	ds_load_b128 v[26:29], v1 offset:1632
	ds_load_b128 v[34:37], v1 offset:1648
	scratch_load_b128 v[30:33], off, off offset:752
	s_mov_b32 s2, exec_lo
	s_waitcnt vmcnt(6) lgkmcnt(1)
	v_mul_f64 v[38:39], v[28:29], v[4:5]
	v_mul_f64 v[4:5], v[26:27], v[4:5]
	s_waitcnt vmcnt(5) lgkmcnt(0)
	v_mul_f64 v[40:41], v[34:35], v[8:9]
	v_mul_f64 v[8:9], v[36:37], v[8:9]
	s_delay_alu instid0(VALU_DEP_4) | instskip(NEXT) | instid1(VALU_DEP_4)
	v_fma_f64 v[38:39], v[26:27], v[2:3], -v[38:39]
	v_fma_f64 v[42:43], v[28:29], v[2:3], v[4:5]
	ds_load_b128 v[2:5], v1 offset:1664
	ds_load_b128 v[26:29], v1 offset:1680
	v_fma_f64 v[36:37], v[36:37], v[6:7], v[40:41]
	v_fma_f64 v[6:7], v[34:35], v[6:7], -v[8:9]
	s_waitcnt vmcnt(4) lgkmcnt(1)
	v_mul_f64 v[44:45], v[2:3], v[12:13]
	v_mul_f64 v[12:13], v[4:5], v[12:13]
	v_add_f64 v[8:9], v[38:39], 0
	v_add_f64 v[34:35], v[42:43], 0
	s_waitcnt vmcnt(3) lgkmcnt(0)
	v_mul_f64 v[38:39], v[26:27], v[16:17]
	v_mul_f64 v[16:17], v[28:29], v[16:17]
	v_fma_f64 v[40:41], v[4:5], v[10:11], v[44:45]
	v_fma_f64 v[10:11], v[2:3], v[10:11], -v[12:13]
	v_add_f64 v[12:13], v[8:9], v[6:7]
	v_add_f64 v[34:35], v[34:35], v[36:37]
	ds_load_b128 v[2:5], v1 offset:1696
	ds_load_b128 v[6:9], v1 offset:1712
	v_fma_f64 v[28:29], v[28:29], v[14:15], v[38:39]
	v_fma_f64 v[14:15], v[26:27], v[14:15], -v[16:17]
	s_waitcnt vmcnt(2) lgkmcnt(1)
	v_mul_f64 v[36:37], v[2:3], v[20:21]
	v_mul_f64 v[20:21], v[4:5], v[20:21]
	s_waitcnt vmcnt(1) lgkmcnt(0)
	v_mul_f64 v[16:17], v[6:7], v[24:25]
	v_mul_f64 v[24:25], v[8:9], v[24:25]
	v_add_f64 v[10:11], v[12:13], v[10:11]
	v_add_f64 v[12:13], v[34:35], v[40:41]
	v_fma_f64 v[4:5], v[4:5], v[18:19], v[36:37]
	v_fma_f64 v[1:2], v[2:3], v[18:19], -v[20:21]
	v_fma_f64 v[8:9], v[8:9], v[22:23], v[16:17]
	v_fma_f64 v[6:7], v[6:7], v[22:23], -v[24:25]
	v_add_f64 v[10:11], v[10:11], v[14:15]
	v_add_f64 v[12:13], v[12:13], v[28:29]
	s_delay_alu instid0(VALU_DEP_2) | instskip(NEXT) | instid1(VALU_DEP_2)
	v_add_f64 v[1:2], v[10:11], v[1:2]
	v_add_f64 v[3:4], v[12:13], v[4:5]
	s_delay_alu instid0(VALU_DEP_2) | instskip(NEXT) | instid1(VALU_DEP_2)
	v_add_f64 v[1:2], v[1:2], v[6:7]
	v_add_f64 v[3:4], v[3:4], v[8:9]
	s_waitcnt vmcnt(0)
	s_delay_alu instid0(VALU_DEP_2) | instskip(NEXT) | instid1(VALU_DEP_2)
	v_add_f64 v[1:2], v[30:31], -v[1:2]
	v_add_f64 v[3:4], v[32:33], -v[3:4]
	scratch_store_b128 off, v[1:4], off offset:752
	v_cmpx_lt_u32_e32 46, v154
	s_cbranch_execz .LBB117_245
; %bb.244:
	scratch_load_b128 v[1:4], v209, off
	v_mov_b32_e32 v5, 0
	s_delay_alu instid0(VALU_DEP_1)
	v_mov_b32_e32 v6, v5
	v_mov_b32_e32 v7, v5
	;; [unrolled: 1-line block ×3, first 2 shown]
	scratch_store_b128 off, v[5:8], off offset:736
	s_waitcnt vmcnt(0)
	ds_store_b128 v208, v[1:4]
.LBB117_245:
	s_or_b32 exec_lo, exec_lo, s2
	s_waitcnt lgkmcnt(0)
	s_waitcnt_vscnt null, 0x0
	s_barrier
	buffer_gl0_inv
	s_clause 0x6
	scratch_load_b128 v[2:5], off, off offset:752
	scratch_load_b128 v[6:9], off, off offset:768
	;; [unrolled: 1-line block ×7, first 2 shown]
	v_mov_b32_e32 v1, 0
	scratch_load_b128 v[34:37], off, off offset:736
	s_mov_b32 s2, exec_lo
	ds_load_b128 v[30:33], v1 offset:1616
	ds_load_b128 v[38:41], v1 offset:1632
	s_waitcnt vmcnt(7) lgkmcnt(1)
	v_mul_f64 v[42:43], v[32:33], v[4:5]
	v_mul_f64 v[4:5], v[30:31], v[4:5]
	s_waitcnt vmcnt(6) lgkmcnt(0)
	v_mul_f64 v[44:45], v[38:39], v[8:9]
	v_mul_f64 v[8:9], v[40:41], v[8:9]
	s_delay_alu instid0(VALU_DEP_4) | instskip(NEXT) | instid1(VALU_DEP_4)
	v_fma_f64 v[42:43], v[30:31], v[2:3], -v[42:43]
	v_fma_f64 v[48:49], v[32:33], v[2:3], v[4:5]
	ds_load_b128 v[2:5], v1 offset:1648
	ds_load_b128 v[30:33], v1 offset:1664
	v_fma_f64 v[40:41], v[40:41], v[6:7], v[44:45]
	v_fma_f64 v[6:7], v[38:39], v[6:7], -v[8:9]
	s_waitcnt vmcnt(5) lgkmcnt(1)
	v_mul_f64 v[50:51], v[2:3], v[12:13]
	v_mul_f64 v[12:13], v[4:5], v[12:13]
	v_add_f64 v[8:9], v[42:43], 0
	v_add_f64 v[38:39], v[48:49], 0
	s_waitcnt vmcnt(4) lgkmcnt(0)
	v_mul_f64 v[42:43], v[30:31], v[16:17]
	v_mul_f64 v[16:17], v[32:33], v[16:17]
	v_fma_f64 v[44:45], v[4:5], v[10:11], v[50:51]
	v_fma_f64 v[10:11], v[2:3], v[10:11], -v[12:13]
	v_add_f64 v[12:13], v[8:9], v[6:7]
	v_add_f64 v[38:39], v[38:39], v[40:41]
	ds_load_b128 v[2:5], v1 offset:1680
	ds_load_b128 v[6:9], v1 offset:1696
	v_fma_f64 v[32:33], v[32:33], v[14:15], v[42:43]
	v_fma_f64 v[14:15], v[30:31], v[14:15], -v[16:17]
	s_waitcnt vmcnt(3) lgkmcnt(1)
	v_mul_f64 v[40:41], v[2:3], v[20:21]
	v_mul_f64 v[20:21], v[4:5], v[20:21]
	s_waitcnt vmcnt(2) lgkmcnt(0)
	v_mul_f64 v[16:17], v[6:7], v[24:25]
	v_mul_f64 v[24:25], v[8:9], v[24:25]
	v_add_f64 v[10:11], v[12:13], v[10:11]
	v_add_f64 v[12:13], v[38:39], v[44:45]
	v_fma_f64 v[30:31], v[4:5], v[18:19], v[40:41]
	v_fma_f64 v[18:19], v[2:3], v[18:19], -v[20:21]
	ds_load_b128 v[2:5], v1 offset:1712
	v_fma_f64 v[8:9], v[8:9], v[22:23], v[16:17]
	v_fma_f64 v[6:7], v[6:7], v[22:23], -v[24:25]
	v_add_f64 v[10:11], v[10:11], v[14:15]
	v_add_f64 v[12:13], v[12:13], v[32:33]
	s_waitcnt vmcnt(1) lgkmcnt(0)
	v_mul_f64 v[14:15], v[2:3], v[28:29]
	v_mul_f64 v[20:21], v[4:5], v[28:29]
	s_delay_alu instid0(VALU_DEP_4) | instskip(NEXT) | instid1(VALU_DEP_4)
	v_add_f64 v[10:11], v[10:11], v[18:19]
	v_add_f64 v[12:13], v[12:13], v[30:31]
	s_delay_alu instid0(VALU_DEP_4) | instskip(NEXT) | instid1(VALU_DEP_4)
	v_fma_f64 v[4:5], v[4:5], v[26:27], v[14:15]
	v_fma_f64 v[2:3], v[2:3], v[26:27], -v[20:21]
	s_delay_alu instid0(VALU_DEP_4) | instskip(NEXT) | instid1(VALU_DEP_4)
	v_add_f64 v[6:7], v[10:11], v[6:7]
	v_add_f64 v[8:9], v[12:13], v[8:9]
	s_delay_alu instid0(VALU_DEP_2) | instskip(NEXT) | instid1(VALU_DEP_2)
	v_add_f64 v[2:3], v[6:7], v[2:3]
	v_add_f64 v[4:5], v[8:9], v[4:5]
	s_waitcnt vmcnt(0)
	s_delay_alu instid0(VALU_DEP_2) | instskip(NEXT) | instid1(VALU_DEP_2)
	v_add_f64 v[2:3], v[34:35], -v[2:3]
	v_add_f64 v[4:5], v[36:37], -v[4:5]
	scratch_store_b128 off, v[2:5], off offset:736
	v_cmpx_lt_u32_e32 45, v154
	s_cbranch_execz .LBB117_247
; %bb.246:
	scratch_load_b128 v[5:8], v210, off
	v_mov_b32_e32 v2, v1
	v_mov_b32_e32 v3, v1
	;; [unrolled: 1-line block ×3, first 2 shown]
	scratch_store_b128 off, v[1:4], off offset:720
	s_waitcnt vmcnt(0)
	ds_store_b128 v208, v[5:8]
.LBB117_247:
	s_or_b32 exec_lo, exec_lo, s2
	s_waitcnt lgkmcnt(0)
	s_waitcnt_vscnt null, 0x0
	s_barrier
	buffer_gl0_inv
	s_clause 0x7
	scratch_load_b128 v[2:5], off, off offset:736
	scratch_load_b128 v[6:9], off, off offset:752
	scratch_load_b128 v[10:13], off, off offset:768
	scratch_load_b128 v[14:17], off, off offset:784
	scratch_load_b128 v[18:21], off, off offset:800
	scratch_load_b128 v[22:25], off, off offset:816
	scratch_load_b128 v[26:29], off, off offset:832
	scratch_load_b128 v[30:33], off, off offset:848
	ds_load_b128 v[34:37], v1 offset:1600
	ds_load_b128 v[38:41], v1 offset:1616
	s_mov_b32 s2, exec_lo
	s_waitcnt vmcnt(7) lgkmcnt(1)
	v_mul_f64 v[42:43], v[36:37], v[4:5]
	v_mul_f64 v[4:5], v[34:35], v[4:5]
	s_waitcnt vmcnt(6) lgkmcnt(0)
	v_mul_f64 v[44:45], v[38:39], v[8:9]
	v_mul_f64 v[8:9], v[40:41], v[8:9]
	s_delay_alu instid0(VALU_DEP_4) | instskip(NEXT) | instid1(VALU_DEP_4)
	v_fma_f64 v[42:43], v[34:35], v[2:3], -v[42:43]
	v_fma_f64 v[48:49], v[36:37], v[2:3], v[4:5]
	ds_load_b128 v[2:5], v1 offset:1632
	scratch_load_b128 v[34:37], off, off offset:720
	v_fma_f64 v[40:41], v[40:41], v[6:7], v[44:45]
	v_fma_f64 v[38:39], v[38:39], v[6:7], -v[8:9]
	ds_load_b128 v[6:9], v1 offset:1648
	s_waitcnt vmcnt(6) lgkmcnt(1)
	v_mul_f64 v[50:51], v[2:3], v[12:13]
	v_mul_f64 v[12:13], v[4:5], v[12:13]
	v_add_f64 v[42:43], v[42:43], 0
	v_add_f64 v[44:45], v[48:49], 0
	s_waitcnt vmcnt(5) lgkmcnt(0)
	v_mul_f64 v[48:49], v[6:7], v[16:17]
	v_mul_f64 v[16:17], v[8:9], v[16:17]
	v_fma_f64 v[50:51], v[4:5], v[10:11], v[50:51]
	v_fma_f64 v[10:11], v[2:3], v[10:11], -v[12:13]
	ds_load_b128 v[2:5], v1 offset:1664
	v_add_f64 v[12:13], v[42:43], v[38:39]
	v_add_f64 v[38:39], v[44:45], v[40:41]
	v_fma_f64 v[42:43], v[8:9], v[14:15], v[48:49]
	v_fma_f64 v[14:15], v[6:7], v[14:15], -v[16:17]
	ds_load_b128 v[6:9], v1 offset:1680
	s_waitcnt vmcnt(4) lgkmcnt(1)
	v_mul_f64 v[40:41], v[2:3], v[20:21]
	v_mul_f64 v[20:21], v[4:5], v[20:21]
	s_waitcnt vmcnt(3) lgkmcnt(0)
	v_mul_f64 v[16:17], v[6:7], v[24:25]
	v_mul_f64 v[24:25], v[8:9], v[24:25]
	v_add_f64 v[10:11], v[12:13], v[10:11]
	v_add_f64 v[12:13], v[38:39], v[50:51]
	v_fma_f64 v[38:39], v[4:5], v[18:19], v[40:41]
	v_fma_f64 v[18:19], v[2:3], v[18:19], -v[20:21]
	ds_load_b128 v[2:5], v1 offset:1696
	v_fma_f64 v[16:17], v[8:9], v[22:23], v[16:17]
	v_fma_f64 v[22:23], v[6:7], v[22:23], -v[24:25]
	ds_load_b128 v[6:9], v1 offset:1712
	s_waitcnt vmcnt(2) lgkmcnt(1)
	v_mul_f64 v[20:21], v[4:5], v[28:29]
	v_add_f64 v[10:11], v[10:11], v[14:15]
	v_add_f64 v[12:13], v[12:13], v[42:43]
	v_mul_f64 v[14:15], v[2:3], v[28:29]
	s_waitcnt vmcnt(1) lgkmcnt(0)
	v_mul_f64 v[24:25], v[8:9], v[32:33]
	v_fma_f64 v[1:2], v[2:3], v[26:27], -v[20:21]
	v_add_f64 v[10:11], v[10:11], v[18:19]
	v_add_f64 v[12:13], v[12:13], v[38:39]
	v_mul_f64 v[18:19], v[6:7], v[32:33]
	v_fma_f64 v[4:5], v[4:5], v[26:27], v[14:15]
	v_fma_f64 v[6:7], v[6:7], v[30:31], -v[24:25]
	v_add_f64 v[10:11], v[10:11], v[22:23]
	v_add_f64 v[12:13], v[12:13], v[16:17]
	v_fma_f64 v[8:9], v[8:9], v[30:31], v[18:19]
	s_delay_alu instid0(VALU_DEP_3) | instskip(NEXT) | instid1(VALU_DEP_3)
	v_add_f64 v[1:2], v[10:11], v[1:2]
	v_add_f64 v[3:4], v[12:13], v[4:5]
	s_delay_alu instid0(VALU_DEP_2) | instskip(NEXT) | instid1(VALU_DEP_2)
	v_add_f64 v[1:2], v[1:2], v[6:7]
	v_add_f64 v[3:4], v[3:4], v[8:9]
	s_waitcnt vmcnt(0)
	s_delay_alu instid0(VALU_DEP_2) | instskip(NEXT) | instid1(VALU_DEP_2)
	v_add_f64 v[1:2], v[34:35], -v[1:2]
	v_add_f64 v[3:4], v[36:37], -v[3:4]
	scratch_store_b128 off, v[1:4], off offset:720
	v_cmpx_lt_u32_e32 44, v154
	s_cbranch_execz .LBB117_249
; %bb.248:
	scratch_load_b128 v[1:4], v211, off
	v_mov_b32_e32 v5, 0
	s_delay_alu instid0(VALU_DEP_1)
	v_mov_b32_e32 v6, v5
	v_mov_b32_e32 v7, v5
	;; [unrolled: 1-line block ×3, first 2 shown]
	scratch_store_b128 off, v[5:8], off offset:704
	s_waitcnt vmcnt(0)
	ds_store_b128 v208, v[1:4]
.LBB117_249:
	s_or_b32 exec_lo, exec_lo, s2
	s_waitcnt lgkmcnt(0)
	s_waitcnt_vscnt null, 0x0
	s_barrier
	buffer_gl0_inv
	s_clause 0x7
	scratch_load_b128 v[2:5], off, off offset:720
	scratch_load_b128 v[6:9], off, off offset:736
	;; [unrolled: 1-line block ×8, first 2 shown]
	v_mov_b32_e32 v1, 0
	scratch_load_b128 v[38:41], off, off offset:848
	s_mov_b32 s2, exec_lo
	ds_load_b128 v[34:37], v1 offset:1584
	ds_load_b128 v[42:45], v1 offset:1600
	s_waitcnt vmcnt(8) lgkmcnt(1)
	v_mul_f64 v[48:49], v[36:37], v[4:5]
	v_mul_f64 v[4:5], v[34:35], v[4:5]
	s_waitcnt vmcnt(7) lgkmcnt(0)
	v_mul_f64 v[50:51], v[42:43], v[8:9]
	v_mul_f64 v[8:9], v[44:45], v[8:9]
	s_delay_alu instid0(VALU_DEP_4) | instskip(NEXT) | instid1(VALU_DEP_4)
	v_fma_f64 v[34:35], v[34:35], v[2:3], -v[48:49]
	v_fma_f64 v[36:37], v[36:37], v[2:3], v[4:5]
	ds_load_b128 v[2:5], v1 offset:1616
	v_fma_f64 v[44:45], v[44:45], v[6:7], v[50:51]
	v_fma_f64 v[42:43], v[42:43], v[6:7], -v[8:9]
	ds_load_b128 v[6:9], v1 offset:1632
	s_waitcnt vmcnt(6) lgkmcnt(1)
	v_mul_f64 v[48:49], v[2:3], v[12:13]
	v_mul_f64 v[12:13], v[4:5], v[12:13]
	s_waitcnt vmcnt(5) lgkmcnt(0)
	v_mul_f64 v[159:160], v[6:7], v[16:17]
	v_mul_f64 v[16:17], v[8:9], v[16:17]
	v_add_f64 v[50:51], v[34:35], 0
	v_add_f64 v[157:158], v[36:37], 0
	scratch_load_b128 v[34:37], off, off offset:704
	v_fma_f64 v[48:49], v[4:5], v[10:11], v[48:49]
	v_fma_f64 v[10:11], v[2:3], v[10:11], -v[12:13]
	ds_load_b128 v[2:5], v1 offset:1648
	v_add_f64 v[12:13], v[50:51], v[42:43]
	v_add_f64 v[42:43], v[157:158], v[44:45]
	v_fma_f64 v[50:51], v[8:9], v[14:15], v[159:160]
	v_fma_f64 v[14:15], v[6:7], v[14:15], -v[16:17]
	ds_load_b128 v[6:9], v1 offset:1664
	s_waitcnt vmcnt(5) lgkmcnt(1)
	v_mul_f64 v[44:45], v[2:3], v[20:21]
	v_mul_f64 v[20:21], v[4:5], v[20:21]
	s_waitcnt vmcnt(4) lgkmcnt(0)
	v_mul_f64 v[16:17], v[6:7], v[24:25]
	v_mul_f64 v[24:25], v[8:9], v[24:25]
	v_add_f64 v[10:11], v[12:13], v[10:11]
	v_add_f64 v[12:13], v[42:43], v[48:49]
	v_fma_f64 v[42:43], v[4:5], v[18:19], v[44:45]
	v_fma_f64 v[18:19], v[2:3], v[18:19], -v[20:21]
	ds_load_b128 v[2:5], v1 offset:1680
	v_fma_f64 v[16:17], v[8:9], v[22:23], v[16:17]
	v_fma_f64 v[22:23], v[6:7], v[22:23], -v[24:25]
	ds_load_b128 v[6:9], v1 offset:1696
	s_waitcnt vmcnt(3) lgkmcnt(1)
	v_mul_f64 v[20:21], v[4:5], v[28:29]
	v_add_f64 v[10:11], v[10:11], v[14:15]
	v_add_f64 v[12:13], v[12:13], v[50:51]
	v_mul_f64 v[14:15], v[2:3], v[28:29]
	s_waitcnt vmcnt(2) lgkmcnt(0)
	v_mul_f64 v[24:25], v[8:9], v[32:33]
	v_fma_f64 v[20:21], v[2:3], v[26:27], -v[20:21]
	v_add_f64 v[10:11], v[10:11], v[18:19]
	v_add_f64 v[12:13], v[12:13], v[42:43]
	v_mul_f64 v[18:19], v[6:7], v[32:33]
	v_fma_f64 v[14:15], v[4:5], v[26:27], v[14:15]
	ds_load_b128 v[2:5], v1 offset:1712
	v_fma_f64 v[6:7], v[6:7], v[30:31], -v[24:25]
	v_add_f64 v[10:11], v[10:11], v[22:23]
	v_add_f64 v[12:13], v[12:13], v[16:17]
	s_waitcnt vmcnt(1) lgkmcnt(0)
	v_mul_f64 v[16:17], v[2:3], v[40:41]
	v_mul_f64 v[22:23], v[4:5], v[40:41]
	v_fma_f64 v[8:9], v[8:9], v[30:31], v[18:19]
	v_add_f64 v[10:11], v[10:11], v[20:21]
	v_add_f64 v[12:13], v[12:13], v[14:15]
	v_fma_f64 v[4:5], v[4:5], v[38:39], v[16:17]
	v_fma_f64 v[2:3], v[2:3], v[38:39], -v[22:23]
	s_delay_alu instid0(VALU_DEP_4) | instskip(NEXT) | instid1(VALU_DEP_4)
	v_add_f64 v[6:7], v[10:11], v[6:7]
	v_add_f64 v[8:9], v[12:13], v[8:9]
	s_delay_alu instid0(VALU_DEP_2) | instskip(NEXT) | instid1(VALU_DEP_2)
	v_add_f64 v[2:3], v[6:7], v[2:3]
	v_add_f64 v[4:5], v[8:9], v[4:5]
	s_waitcnt vmcnt(0)
	s_delay_alu instid0(VALU_DEP_2) | instskip(NEXT) | instid1(VALU_DEP_2)
	v_add_f64 v[2:3], v[34:35], -v[2:3]
	v_add_f64 v[4:5], v[36:37], -v[4:5]
	scratch_store_b128 off, v[2:5], off offset:704
	v_cmpx_lt_u32_e32 43, v154
	s_cbranch_execz .LBB117_251
; %bb.250:
	scratch_load_b128 v[5:8], v212, off
	v_mov_b32_e32 v2, v1
	v_mov_b32_e32 v3, v1
	;; [unrolled: 1-line block ×3, first 2 shown]
	scratch_store_b128 off, v[1:4], off offset:688
	s_waitcnt vmcnt(0)
	ds_store_b128 v208, v[5:8]
.LBB117_251:
	s_or_b32 exec_lo, exec_lo, s2
	s_waitcnt lgkmcnt(0)
	s_waitcnt_vscnt null, 0x0
	s_barrier
	buffer_gl0_inv
	s_clause 0x8
	scratch_load_b128 v[2:5], off, off offset:704
	scratch_load_b128 v[6:9], off, off offset:720
	;; [unrolled: 1-line block ×9, first 2 shown]
	ds_load_b128 v[38:41], v1 offset:1568
	ds_load_b128 v[42:45], v1 offset:1584
	s_clause 0x1
	scratch_load_b128 v[157:160], off, off offset:688
	scratch_load_b128 v[171:174], off, off offset:848
	s_mov_b32 s2, exec_lo
	s_waitcnt vmcnt(10) lgkmcnt(1)
	v_mul_f64 v[48:49], v[40:41], v[4:5]
	v_mul_f64 v[4:5], v[38:39], v[4:5]
	s_waitcnt vmcnt(9) lgkmcnt(0)
	v_mul_f64 v[50:51], v[42:43], v[8:9]
	v_mul_f64 v[8:9], v[44:45], v[8:9]
	s_delay_alu instid0(VALU_DEP_4) | instskip(NEXT) | instid1(VALU_DEP_4)
	v_fma_f64 v[48:49], v[38:39], v[2:3], -v[48:49]
	v_fma_f64 v[164:165], v[40:41], v[2:3], v[4:5]
	ds_load_b128 v[2:5], v1 offset:1600
	ds_load_b128 v[38:41], v1 offset:1616
	v_fma_f64 v[44:45], v[44:45], v[6:7], v[50:51]
	v_fma_f64 v[6:7], v[42:43], v[6:7], -v[8:9]
	s_waitcnt vmcnt(8) lgkmcnt(1)
	v_mul_f64 v[168:169], v[2:3], v[12:13]
	v_mul_f64 v[12:13], v[4:5], v[12:13]
	v_add_f64 v[8:9], v[48:49], 0
	v_add_f64 v[42:43], v[164:165], 0
	s_waitcnt vmcnt(7) lgkmcnt(0)
	v_mul_f64 v[48:49], v[38:39], v[16:17]
	v_mul_f64 v[16:17], v[40:41], v[16:17]
	v_fma_f64 v[50:51], v[4:5], v[10:11], v[168:169]
	v_fma_f64 v[10:11], v[2:3], v[10:11], -v[12:13]
	v_add_f64 v[12:13], v[8:9], v[6:7]
	v_add_f64 v[42:43], v[42:43], v[44:45]
	ds_load_b128 v[2:5], v1 offset:1632
	ds_load_b128 v[6:9], v1 offset:1648
	v_fma_f64 v[40:41], v[40:41], v[14:15], v[48:49]
	v_fma_f64 v[14:15], v[38:39], v[14:15], -v[16:17]
	s_waitcnt vmcnt(6) lgkmcnt(1)
	v_mul_f64 v[44:45], v[2:3], v[20:21]
	v_mul_f64 v[20:21], v[4:5], v[20:21]
	s_waitcnt vmcnt(5) lgkmcnt(0)
	v_mul_f64 v[16:17], v[6:7], v[24:25]
	v_mul_f64 v[24:25], v[8:9], v[24:25]
	v_add_f64 v[10:11], v[12:13], v[10:11]
	v_add_f64 v[12:13], v[42:43], v[50:51]
	v_fma_f64 v[38:39], v[4:5], v[18:19], v[44:45]
	v_fma_f64 v[18:19], v[2:3], v[18:19], -v[20:21]
	v_fma_f64 v[8:9], v[8:9], v[22:23], v[16:17]
	v_fma_f64 v[6:7], v[6:7], v[22:23], -v[24:25]
	v_add_f64 v[14:15], v[10:11], v[14:15]
	v_add_f64 v[20:21], v[12:13], v[40:41]
	ds_load_b128 v[2:5], v1 offset:1664
	ds_load_b128 v[10:13], v1 offset:1680
	s_waitcnt vmcnt(4) lgkmcnt(1)
	v_mul_f64 v[40:41], v[2:3], v[28:29]
	v_mul_f64 v[28:29], v[4:5], v[28:29]
	v_add_f64 v[14:15], v[14:15], v[18:19]
	v_add_f64 v[16:17], v[20:21], v[38:39]
	s_waitcnt vmcnt(3) lgkmcnt(0)
	v_mul_f64 v[18:19], v[10:11], v[32:33]
	v_mul_f64 v[20:21], v[12:13], v[32:33]
	v_fma_f64 v[22:23], v[4:5], v[26:27], v[40:41]
	v_fma_f64 v[24:25], v[2:3], v[26:27], -v[28:29]
	v_add_f64 v[14:15], v[14:15], v[6:7]
	v_add_f64 v[16:17], v[16:17], v[8:9]
	ds_load_b128 v[2:5], v1 offset:1696
	ds_load_b128 v[6:9], v1 offset:1712
	v_fma_f64 v[12:13], v[12:13], v[30:31], v[18:19]
	v_fma_f64 v[10:11], v[10:11], v[30:31], -v[20:21]
	s_waitcnt vmcnt(2) lgkmcnt(1)
	v_mul_f64 v[26:27], v[2:3], v[36:37]
	v_mul_f64 v[28:29], v[4:5], v[36:37]
	s_waitcnt vmcnt(0) lgkmcnt(0)
	v_mul_f64 v[18:19], v[6:7], v[173:174]
	v_mul_f64 v[20:21], v[8:9], v[173:174]
	v_add_f64 v[14:15], v[14:15], v[24:25]
	v_add_f64 v[16:17], v[16:17], v[22:23]
	v_fma_f64 v[4:5], v[4:5], v[34:35], v[26:27]
	v_fma_f64 v[1:2], v[2:3], v[34:35], -v[28:29]
	v_fma_f64 v[8:9], v[8:9], v[171:172], v[18:19]
	v_fma_f64 v[6:7], v[6:7], v[171:172], -v[20:21]
	v_add_f64 v[10:11], v[14:15], v[10:11]
	v_add_f64 v[12:13], v[16:17], v[12:13]
	s_delay_alu instid0(VALU_DEP_2) | instskip(NEXT) | instid1(VALU_DEP_2)
	v_add_f64 v[1:2], v[10:11], v[1:2]
	v_add_f64 v[3:4], v[12:13], v[4:5]
	s_delay_alu instid0(VALU_DEP_2) | instskip(NEXT) | instid1(VALU_DEP_2)
	;; [unrolled: 3-line block ×3, first 2 shown]
	v_add_f64 v[1:2], v[157:158], -v[1:2]
	v_add_f64 v[3:4], v[159:160], -v[3:4]
	scratch_store_b128 off, v[1:4], off offset:688
	v_cmpx_lt_u32_e32 42, v154
	s_cbranch_execz .LBB117_253
; %bb.252:
	scratch_load_b128 v[1:4], v213, off
	v_mov_b32_e32 v5, 0
	s_delay_alu instid0(VALU_DEP_1)
	v_mov_b32_e32 v6, v5
	v_mov_b32_e32 v7, v5
	;; [unrolled: 1-line block ×3, first 2 shown]
	scratch_store_b128 off, v[5:8], off offset:672
	s_waitcnt vmcnt(0)
	ds_store_b128 v208, v[1:4]
.LBB117_253:
	s_or_b32 exec_lo, exec_lo, s2
	s_waitcnt lgkmcnt(0)
	s_waitcnt_vscnt null, 0x0
	s_barrier
	buffer_gl0_inv
	s_clause 0x7
	scratch_load_b128 v[2:5], off, off offset:688
	scratch_load_b128 v[6:9], off, off offset:704
	;; [unrolled: 1-line block ×8, first 2 shown]
	v_mov_b32_e32 v1, 0
	s_mov_b32 s2, exec_lo
	ds_load_b128 v[34:37], v1 offset:1552
	s_clause 0x1
	scratch_load_b128 v[38:41], off, off offset:816
	scratch_load_b128 v[42:45], off, off offset:672
	ds_load_b128 v[157:160], v1 offset:1568
	scratch_load_b128 v[171:174], off, off offset:832
	ds_load_b128 v[220:223], v1 offset:1600
	s_waitcnt vmcnt(10) lgkmcnt(2)
	v_mul_f64 v[48:49], v[36:37], v[4:5]
	v_mul_f64 v[4:5], v[34:35], v[4:5]
	s_delay_alu instid0(VALU_DEP_2) | instskip(NEXT) | instid1(VALU_DEP_2)
	v_fma_f64 v[48:49], v[34:35], v[2:3], -v[48:49]
	v_fma_f64 v[164:165], v[36:37], v[2:3], v[4:5]
	scratch_load_b128 v[34:37], off, off offset:848
	ds_load_b128 v[2:5], v1 offset:1584
	s_waitcnt vmcnt(10) lgkmcnt(2)
	v_mul_f64 v[50:51], v[157:158], v[8:9]
	v_mul_f64 v[8:9], v[159:160], v[8:9]
	s_waitcnt vmcnt(9) lgkmcnt(0)
	v_mul_f64 v[168:169], v[2:3], v[12:13]
	v_mul_f64 v[12:13], v[4:5], v[12:13]
	s_delay_alu instid0(VALU_DEP_4) | instskip(NEXT) | instid1(VALU_DEP_4)
	v_fma_f64 v[50:51], v[159:160], v[6:7], v[50:51]
	v_fma_f64 v[6:7], v[157:158], v[6:7], -v[8:9]
	v_add_f64 v[8:9], v[48:49], 0
	v_add_f64 v[48:49], v[164:165], 0
	s_waitcnt vmcnt(8)
	v_mul_f64 v[157:158], v[220:221], v[16:17]
	v_mul_f64 v[16:17], v[222:223], v[16:17]
	v_fma_f64 v[159:160], v[4:5], v[10:11], v[168:169]
	v_fma_f64 v[10:11], v[2:3], v[10:11], -v[12:13]
	v_add_f64 v[12:13], v[8:9], v[6:7]
	v_add_f64 v[48:49], v[48:49], v[50:51]
	ds_load_b128 v[2:5], v1 offset:1616
	ds_load_b128 v[6:9], v1 offset:1632
	v_fma_f64 v[157:158], v[222:223], v[14:15], v[157:158]
	v_fma_f64 v[14:15], v[220:221], v[14:15], -v[16:17]
	s_waitcnt vmcnt(7) lgkmcnt(1)
	v_mul_f64 v[50:51], v[2:3], v[20:21]
	v_mul_f64 v[20:21], v[4:5], v[20:21]
	s_waitcnt vmcnt(6) lgkmcnt(0)
	v_mul_f64 v[16:17], v[6:7], v[24:25]
	v_mul_f64 v[24:25], v[8:9], v[24:25]
	v_add_f64 v[10:11], v[12:13], v[10:11]
	v_add_f64 v[12:13], v[48:49], v[159:160]
	v_fma_f64 v[48:49], v[4:5], v[18:19], v[50:51]
	v_fma_f64 v[18:19], v[2:3], v[18:19], -v[20:21]
	v_fma_f64 v[8:9], v[8:9], v[22:23], v[16:17]
	v_fma_f64 v[6:7], v[6:7], v[22:23], -v[24:25]
	v_add_f64 v[14:15], v[10:11], v[14:15]
	v_add_f64 v[20:21], v[12:13], v[157:158]
	ds_load_b128 v[2:5], v1 offset:1648
	ds_load_b128 v[10:13], v1 offset:1664
	s_waitcnt vmcnt(5) lgkmcnt(1)
	v_mul_f64 v[50:51], v[2:3], v[28:29]
	v_mul_f64 v[28:29], v[4:5], v[28:29]
	v_add_f64 v[14:15], v[14:15], v[18:19]
	v_add_f64 v[16:17], v[20:21], v[48:49]
	s_waitcnt vmcnt(4) lgkmcnt(0)
	v_mul_f64 v[18:19], v[10:11], v[32:33]
	v_mul_f64 v[20:21], v[12:13], v[32:33]
	v_fma_f64 v[22:23], v[4:5], v[26:27], v[50:51]
	v_fma_f64 v[24:25], v[2:3], v[26:27], -v[28:29]
	v_add_f64 v[14:15], v[14:15], v[6:7]
	v_add_f64 v[16:17], v[16:17], v[8:9]
	ds_load_b128 v[2:5], v1 offset:1680
	ds_load_b128 v[6:9], v1 offset:1696
	v_fma_f64 v[12:13], v[12:13], v[30:31], v[18:19]
	v_fma_f64 v[10:11], v[10:11], v[30:31], -v[20:21]
	s_waitcnt vmcnt(3) lgkmcnt(1)
	v_mul_f64 v[26:27], v[2:3], v[40:41]
	v_mul_f64 v[28:29], v[4:5], v[40:41]
	s_waitcnt vmcnt(1) lgkmcnt(0)
	v_mul_f64 v[18:19], v[6:7], v[173:174]
	v_mul_f64 v[20:21], v[8:9], v[173:174]
	v_add_f64 v[14:15], v[14:15], v[24:25]
	v_add_f64 v[16:17], v[16:17], v[22:23]
	v_fma_f64 v[22:23], v[4:5], v[38:39], v[26:27]
	v_fma_f64 v[24:25], v[2:3], v[38:39], -v[28:29]
	ds_load_b128 v[2:5], v1 offset:1712
	v_fma_f64 v[8:9], v[8:9], v[171:172], v[18:19]
	v_fma_f64 v[6:7], v[6:7], v[171:172], -v[20:21]
	v_add_f64 v[10:11], v[14:15], v[10:11]
	v_add_f64 v[12:13], v[16:17], v[12:13]
	s_waitcnt vmcnt(0) lgkmcnt(0)
	v_mul_f64 v[14:15], v[2:3], v[36:37]
	v_mul_f64 v[16:17], v[4:5], v[36:37]
	s_delay_alu instid0(VALU_DEP_4) | instskip(NEXT) | instid1(VALU_DEP_4)
	v_add_f64 v[10:11], v[10:11], v[24:25]
	v_add_f64 v[12:13], v[12:13], v[22:23]
	s_delay_alu instid0(VALU_DEP_4) | instskip(NEXT) | instid1(VALU_DEP_4)
	v_fma_f64 v[4:5], v[4:5], v[34:35], v[14:15]
	v_fma_f64 v[2:3], v[2:3], v[34:35], -v[16:17]
	s_delay_alu instid0(VALU_DEP_4) | instskip(NEXT) | instid1(VALU_DEP_4)
	v_add_f64 v[6:7], v[10:11], v[6:7]
	v_add_f64 v[8:9], v[12:13], v[8:9]
	s_delay_alu instid0(VALU_DEP_2) | instskip(NEXT) | instid1(VALU_DEP_2)
	v_add_f64 v[2:3], v[6:7], v[2:3]
	v_add_f64 v[4:5], v[8:9], v[4:5]
	s_delay_alu instid0(VALU_DEP_2) | instskip(NEXT) | instid1(VALU_DEP_2)
	v_add_f64 v[2:3], v[42:43], -v[2:3]
	v_add_f64 v[4:5], v[44:45], -v[4:5]
	scratch_store_b128 off, v[2:5], off offset:672
	v_cmpx_lt_u32_e32 41, v154
	s_cbranch_execz .LBB117_255
; %bb.254:
	scratch_load_b128 v[5:8], v214, off
	v_mov_b32_e32 v2, v1
	v_mov_b32_e32 v3, v1
	;; [unrolled: 1-line block ×3, first 2 shown]
	scratch_store_b128 off, v[1:4], off offset:656
	s_waitcnt vmcnt(0)
	ds_store_b128 v208, v[5:8]
.LBB117_255:
	s_or_b32 exec_lo, exec_lo, s2
	s_waitcnt lgkmcnt(0)
	s_waitcnt_vscnt null, 0x0
	s_barrier
	buffer_gl0_inv
	s_clause 0x8
	scratch_load_b128 v[2:5], off, off offset:672
	scratch_load_b128 v[6:9], off, off offset:688
	scratch_load_b128 v[10:13], off, off offset:704
	scratch_load_b128 v[14:17], off, off offset:720
	scratch_load_b128 v[18:21], off, off offset:736
	scratch_load_b128 v[22:25], off, off offset:752
	scratch_load_b128 v[26:29], off, off offset:768
	scratch_load_b128 v[30:33], off, off offset:784
	scratch_load_b128 v[34:37], off, off offset:800
	ds_load_b128 v[38:41], v1 offset:1536
	ds_load_b128 v[42:45], v1 offset:1552
	s_clause 0x1
	scratch_load_b128 v[157:160], off, off offset:656
	scratch_load_b128 v[171:174], off, off offset:816
	s_mov_b32 s2, exec_lo
	ds_load_b128 v[220:223], v1 offset:1584
	s_waitcnt vmcnt(10) lgkmcnt(2)
	v_mul_f64 v[48:49], v[40:41], v[4:5]
	v_mul_f64 v[4:5], v[38:39], v[4:5]
	s_waitcnt vmcnt(9) lgkmcnt(1)
	v_mul_f64 v[50:51], v[42:43], v[8:9]
	v_mul_f64 v[8:9], v[44:45], v[8:9]
	s_delay_alu instid0(VALU_DEP_4) | instskip(NEXT) | instid1(VALU_DEP_4)
	v_fma_f64 v[48:49], v[38:39], v[2:3], -v[48:49]
	v_fma_f64 v[164:165], v[40:41], v[2:3], v[4:5]
	ds_load_b128 v[2:5], v1 offset:1568
	scratch_load_b128 v[38:41], off, off offset:832
	v_fma_f64 v[44:45], v[44:45], v[6:7], v[50:51]
	v_fma_f64 v[42:43], v[42:43], v[6:7], -v[8:9]
	scratch_load_b128 v[6:9], off, off offset:848
	s_waitcnt vmcnt(10) lgkmcnt(0)
	v_mul_f64 v[168:169], v[2:3], v[12:13]
	v_mul_f64 v[12:13], v[4:5], v[12:13]
	v_add_f64 v[48:49], v[48:49], 0
	v_add_f64 v[50:51], v[164:165], 0
	s_waitcnt vmcnt(9)
	v_mul_f64 v[164:165], v[220:221], v[16:17]
	v_mul_f64 v[16:17], v[222:223], v[16:17]
	v_fma_f64 v[168:169], v[4:5], v[10:11], v[168:169]
	v_fma_f64 v[226:227], v[2:3], v[10:11], -v[12:13]
	ds_load_b128 v[2:5], v1 offset:1600
	ds_load_b128 v[10:13], v1 offset:1616
	v_add_f64 v[42:43], v[48:49], v[42:43]
	v_add_f64 v[44:45], v[50:51], v[44:45]
	v_fma_f64 v[50:51], v[222:223], v[14:15], v[164:165]
	v_fma_f64 v[14:15], v[220:221], v[14:15], -v[16:17]
	s_waitcnt vmcnt(8) lgkmcnt(1)
	v_mul_f64 v[48:49], v[2:3], v[20:21]
	v_mul_f64 v[20:21], v[4:5], v[20:21]
	v_add_f64 v[16:17], v[42:43], v[226:227]
	v_add_f64 v[42:43], v[44:45], v[168:169]
	s_waitcnt vmcnt(7) lgkmcnt(0)
	v_mul_f64 v[44:45], v[10:11], v[24:25]
	v_mul_f64 v[24:25], v[12:13], v[24:25]
	v_fma_f64 v[48:49], v[4:5], v[18:19], v[48:49]
	v_fma_f64 v[18:19], v[2:3], v[18:19], -v[20:21]
	v_add_f64 v[20:21], v[16:17], v[14:15]
	v_add_f64 v[42:43], v[42:43], v[50:51]
	ds_load_b128 v[2:5], v1 offset:1632
	ds_load_b128 v[14:17], v1 offset:1648
	v_fma_f64 v[12:13], v[12:13], v[22:23], v[44:45]
	v_fma_f64 v[10:11], v[10:11], v[22:23], -v[24:25]
	s_waitcnt vmcnt(6) lgkmcnt(1)
	v_mul_f64 v[50:51], v[2:3], v[28:29]
	v_mul_f64 v[28:29], v[4:5], v[28:29]
	s_waitcnt vmcnt(5) lgkmcnt(0)
	v_mul_f64 v[22:23], v[14:15], v[32:33]
	v_mul_f64 v[24:25], v[16:17], v[32:33]
	v_add_f64 v[18:19], v[20:21], v[18:19]
	v_add_f64 v[20:21], v[42:43], v[48:49]
	v_fma_f64 v[32:33], v[4:5], v[26:27], v[50:51]
	v_fma_f64 v[26:27], v[2:3], v[26:27], -v[28:29]
	v_fma_f64 v[16:17], v[16:17], v[30:31], v[22:23]
	v_fma_f64 v[14:15], v[14:15], v[30:31], -v[24:25]
	v_add_f64 v[18:19], v[18:19], v[10:11]
	v_add_f64 v[20:21], v[20:21], v[12:13]
	ds_load_b128 v[2:5], v1 offset:1664
	ds_load_b128 v[10:13], v1 offset:1680
	s_waitcnt vmcnt(4) lgkmcnt(1)
	v_mul_f64 v[28:29], v[2:3], v[36:37]
	v_mul_f64 v[36:37], v[4:5], v[36:37]
	s_waitcnt vmcnt(2) lgkmcnt(0)
	v_mul_f64 v[22:23], v[10:11], v[173:174]
	v_mul_f64 v[24:25], v[12:13], v[173:174]
	v_add_f64 v[18:19], v[18:19], v[26:27]
	v_add_f64 v[20:21], v[20:21], v[32:33]
	v_fma_f64 v[26:27], v[4:5], v[34:35], v[28:29]
	v_fma_f64 v[28:29], v[2:3], v[34:35], -v[36:37]
	v_fma_f64 v[12:13], v[12:13], v[171:172], v[22:23]
	v_fma_f64 v[10:11], v[10:11], v[171:172], -v[24:25]
	v_add_f64 v[18:19], v[18:19], v[14:15]
	v_add_f64 v[20:21], v[20:21], v[16:17]
	ds_load_b128 v[2:5], v1 offset:1696
	ds_load_b128 v[14:17], v1 offset:1712
	s_waitcnt vmcnt(1) lgkmcnt(1)
	v_mul_f64 v[30:31], v[2:3], v[40:41]
	v_mul_f64 v[32:33], v[4:5], v[40:41]
	s_waitcnt vmcnt(0) lgkmcnt(0)
	v_mul_f64 v[22:23], v[14:15], v[8:9]
	v_mul_f64 v[8:9], v[16:17], v[8:9]
	v_add_f64 v[18:19], v[18:19], v[28:29]
	v_add_f64 v[20:21], v[20:21], v[26:27]
	v_fma_f64 v[4:5], v[4:5], v[38:39], v[30:31]
	v_fma_f64 v[1:2], v[2:3], v[38:39], -v[32:33]
	v_fma_f64 v[16:17], v[16:17], v[6:7], v[22:23]
	v_fma_f64 v[6:7], v[14:15], v[6:7], -v[8:9]
	v_add_f64 v[10:11], v[18:19], v[10:11]
	v_add_f64 v[12:13], v[20:21], v[12:13]
	s_delay_alu instid0(VALU_DEP_2) | instskip(NEXT) | instid1(VALU_DEP_2)
	v_add_f64 v[1:2], v[10:11], v[1:2]
	v_add_f64 v[3:4], v[12:13], v[4:5]
	s_delay_alu instid0(VALU_DEP_2) | instskip(NEXT) | instid1(VALU_DEP_2)
	;; [unrolled: 3-line block ×3, first 2 shown]
	v_add_f64 v[1:2], v[157:158], -v[1:2]
	v_add_f64 v[3:4], v[159:160], -v[3:4]
	scratch_store_b128 off, v[1:4], off offset:656
	v_cmpx_lt_u32_e32 40, v154
	s_cbranch_execz .LBB117_257
; %bb.256:
	scratch_load_b128 v[1:4], v215, off
	v_mov_b32_e32 v5, 0
	s_delay_alu instid0(VALU_DEP_1)
	v_mov_b32_e32 v6, v5
	v_mov_b32_e32 v7, v5
	;; [unrolled: 1-line block ×3, first 2 shown]
	scratch_store_b128 off, v[5:8], off offset:640
	s_waitcnt vmcnt(0)
	ds_store_b128 v208, v[1:4]
.LBB117_257:
	s_or_b32 exec_lo, exec_lo, s2
	s_waitcnt lgkmcnt(0)
	s_waitcnt_vscnt null, 0x0
	s_barrier
	buffer_gl0_inv
	s_clause 0x7
	scratch_load_b128 v[2:5], off, off offset:656
	scratch_load_b128 v[6:9], off, off offset:672
	scratch_load_b128 v[10:13], off, off offset:688
	scratch_load_b128 v[14:17], off, off offset:704
	scratch_load_b128 v[18:21], off, off offset:720
	scratch_load_b128 v[22:25], off, off offset:736
	scratch_load_b128 v[26:29], off, off offset:752
	scratch_load_b128 v[30:33], off, off offset:768
	v_mov_b32_e32 v1, 0
	s_mov_b32 s2, exec_lo
	ds_load_b128 v[34:37], v1 offset:1520
	s_clause 0x1
	scratch_load_b128 v[38:41], off, off offset:784
	scratch_load_b128 v[42:45], off, off offset:640
	ds_load_b128 v[157:160], v1 offset:1536
	scratch_load_b128 v[171:174], off, off offset:800
	ds_load_b128 v[220:223], v1 offset:1568
	s_waitcnt vmcnt(10) lgkmcnt(2)
	v_mul_f64 v[48:49], v[36:37], v[4:5]
	v_mul_f64 v[4:5], v[34:35], v[4:5]
	s_delay_alu instid0(VALU_DEP_2) | instskip(NEXT) | instid1(VALU_DEP_2)
	v_fma_f64 v[48:49], v[34:35], v[2:3], -v[48:49]
	v_fma_f64 v[164:165], v[36:37], v[2:3], v[4:5]
	ds_load_b128 v[2:5], v1 offset:1552
	s_waitcnt vmcnt(9) lgkmcnt(2)
	v_mul_f64 v[50:51], v[157:158], v[8:9]
	v_mul_f64 v[8:9], v[159:160], v[8:9]
	scratch_load_b128 v[34:37], off, off offset:816
	s_waitcnt vmcnt(9) lgkmcnt(0)
	v_mul_f64 v[168:169], v[2:3], v[12:13]
	v_mul_f64 v[12:13], v[4:5], v[12:13]
	v_add_f64 v[48:49], v[48:49], 0
	v_fma_f64 v[50:51], v[159:160], v[6:7], v[50:51]
	v_fma_f64 v[157:158], v[157:158], v[6:7], -v[8:9]
	v_add_f64 v[159:160], v[164:165], 0
	scratch_load_b128 v[6:9], off, off offset:832
	v_fma_f64 v[168:169], v[4:5], v[10:11], v[168:169]
	v_fma_f64 v[226:227], v[2:3], v[10:11], -v[12:13]
	scratch_load_b128 v[10:13], off, off offset:848
	ds_load_b128 v[2:5], v1 offset:1584
	s_waitcnt vmcnt(10)
	v_mul_f64 v[164:165], v[220:221], v[16:17]
	v_mul_f64 v[16:17], v[222:223], v[16:17]
	v_add_f64 v[48:49], v[48:49], v[157:158]
	v_add_f64 v[50:51], v[159:160], v[50:51]
	ds_load_b128 v[157:160], v1 offset:1600
	s_waitcnt vmcnt(9) lgkmcnt(1)
	v_mul_f64 v[228:229], v[2:3], v[20:21]
	v_mul_f64 v[20:21], v[4:5], v[20:21]
	v_fma_f64 v[164:165], v[222:223], v[14:15], v[164:165]
	v_fma_f64 v[14:15], v[220:221], v[14:15], -v[16:17]
	v_add_f64 v[16:17], v[48:49], v[226:227]
	v_add_f64 v[48:49], v[50:51], v[168:169]
	s_waitcnt vmcnt(8) lgkmcnt(0)
	v_mul_f64 v[50:51], v[157:158], v[24:25]
	v_mul_f64 v[24:25], v[159:160], v[24:25]
	v_fma_f64 v[168:169], v[4:5], v[18:19], v[228:229]
	v_fma_f64 v[18:19], v[2:3], v[18:19], -v[20:21]
	v_add_f64 v[20:21], v[16:17], v[14:15]
	v_add_f64 v[48:49], v[48:49], v[164:165]
	ds_load_b128 v[2:5], v1 offset:1616
	ds_load_b128 v[14:17], v1 offset:1632
	v_fma_f64 v[50:51], v[159:160], v[22:23], v[50:51]
	v_fma_f64 v[22:23], v[157:158], v[22:23], -v[24:25]
	s_waitcnt vmcnt(7) lgkmcnt(1)
	v_mul_f64 v[164:165], v[2:3], v[28:29]
	v_mul_f64 v[28:29], v[4:5], v[28:29]
	s_waitcnt vmcnt(6) lgkmcnt(0)
	v_mul_f64 v[24:25], v[14:15], v[32:33]
	v_mul_f64 v[32:33], v[16:17], v[32:33]
	v_add_f64 v[18:19], v[20:21], v[18:19]
	v_add_f64 v[20:21], v[48:49], v[168:169]
	v_fma_f64 v[48:49], v[4:5], v[26:27], v[164:165]
	v_fma_f64 v[26:27], v[2:3], v[26:27], -v[28:29]
	v_fma_f64 v[16:17], v[16:17], v[30:31], v[24:25]
	v_fma_f64 v[14:15], v[14:15], v[30:31], -v[32:33]
	v_add_f64 v[22:23], v[18:19], v[22:23]
	v_add_f64 v[28:29], v[20:21], v[50:51]
	ds_load_b128 v[2:5], v1 offset:1648
	ds_load_b128 v[18:21], v1 offset:1664
	s_waitcnt vmcnt(5) lgkmcnt(1)
	v_mul_f64 v[50:51], v[2:3], v[40:41]
	v_mul_f64 v[40:41], v[4:5], v[40:41]
	v_add_f64 v[22:23], v[22:23], v[26:27]
	v_add_f64 v[24:25], v[28:29], v[48:49]
	s_waitcnt vmcnt(3) lgkmcnt(0)
	v_mul_f64 v[26:27], v[18:19], v[173:174]
	v_mul_f64 v[28:29], v[20:21], v[173:174]
	v_fma_f64 v[30:31], v[4:5], v[38:39], v[50:51]
	v_fma_f64 v[32:33], v[2:3], v[38:39], -v[40:41]
	v_add_f64 v[22:23], v[22:23], v[14:15]
	v_add_f64 v[24:25], v[24:25], v[16:17]
	ds_load_b128 v[2:5], v1 offset:1680
	ds_load_b128 v[14:17], v1 offset:1696
	v_fma_f64 v[20:21], v[20:21], v[171:172], v[26:27]
	v_fma_f64 v[18:19], v[18:19], v[171:172], -v[28:29]
	s_waitcnt vmcnt(2) lgkmcnt(1)
	v_mul_f64 v[38:39], v[2:3], v[36:37]
	v_mul_f64 v[36:37], v[4:5], v[36:37]
	v_add_f64 v[22:23], v[22:23], v[32:33]
	v_add_f64 v[24:25], v[24:25], v[30:31]
	s_waitcnt vmcnt(1) lgkmcnt(0)
	v_mul_f64 v[26:27], v[14:15], v[8:9]
	v_mul_f64 v[8:9], v[16:17], v[8:9]
	v_fma_f64 v[28:29], v[4:5], v[34:35], v[38:39]
	v_fma_f64 v[30:31], v[2:3], v[34:35], -v[36:37]
	ds_load_b128 v[2:5], v1 offset:1712
	v_add_f64 v[18:19], v[22:23], v[18:19]
	v_add_f64 v[20:21], v[24:25], v[20:21]
	s_waitcnt vmcnt(0) lgkmcnt(0)
	v_mul_f64 v[22:23], v[2:3], v[12:13]
	v_mul_f64 v[12:13], v[4:5], v[12:13]
	v_fma_f64 v[16:17], v[16:17], v[6:7], v[26:27]
	v_fma_f64 v[6:7], v[14:15], v[6:7], -v[8:9]
	v_add_f64 v[8:9], v[18:19], v[30:31]
	v_add_f64 v[14:15], v[20:21], v[28:29]
	v_fma_f64 v[4:5], v[4:5], v[10:11], v[22:23]
	v_fma_f64 v[2:3], v[2:3], v[10:11], -v[12:13]
	s_delay_alu instid0(VALU_DEP_4) | instskip(NEXT) | instid1(VALU_DEP_4)
	v_add_f64 v[6:7], v[8:9], v[6:7]
	v_add_f64 v[8:9], v[14:15], v[16:17]
	s_delay_alu instid0(VALU_DEP_2) | instskip(NEXT) | instid1(VALU_DEP_2)
	v_add_f64 v[2:3], v[6:7], v[2:3]
	v_add_f64 v[4:5], v[8:9], v[4:5]
	s_delay_alu instid0(VALU_DEP_2) | instskip(NEXT) | instid1(VALU_DEP_2)
	v_add_f64 v[2:3], v[42:43], -v[2:3]
	v_add_f64 v[4:5], v[44:45], -v[4:5]
	scratch_store_b128 off, v[2:5], off offset:640
	v_cmpx_lt_u32_e32 39, v154
	s_cbranch_execz .LBB117_259
; %bb.258:
	scratch_load_b128 v[5:8], v216, off
	v_mov_b32_e32 v2, v1
	v_mov_b32_e32 v3, v1
	;; [unrolled: 1-line block ×3, first 2 shown]
	scratch_store_b128 off, v[1:4], off offset:624
	s_waitcnt vmcnt(0)
	ds_store_b128 v208, v[5:8]
.LBB117_259:
	s_or_b32 exec_lo, exec_lo, s2
	s_waitcnt lgkmcnt(0)
	s_waitcnt_vscnt null, 0x0
	s_barrier
	buffer_gl0_inv
	s_clause 0x8
	scratch_load_b128 v[2:5], off, off offset:640
	scratch_load_b128 v[6:9], off, off offset:656
	;; [unrolled: 1-line block ×9, first 2 shown]
	ds_load_b128 v[38:41], v1 offset:1504
	ds_load_b128 v[42:45], v1 offset:1520
	s_clause 0x1
	scratch_load_b128 v[157:160], off, off offset:624
	scratch_load_b128 v[171:174], off, off offset:784
	s_mov_b32 s2, exec_lo
	ds_load_b128 v[220:223], v1 offset:1552
	s_waitcnt vmcnt(10) lgkmcnt(2)
	v_mul_f64 v[48:49], v[40:41], v[4:5]
	v_mul_f64 v[4:5], v[38:39], v[4:5]
	s_waitcnt vmcnt(9) lgkmcnt(1)
	v_mul_f64 v[50:51], v[42:43], v[8:9]
	v_mul_f64 v[8:9], v[44:45], v[8:9]
	s_delay_alu instid0(VALU_DEP_4) | instskip(NEXT) | instid1(VALU_DEP_4)
	v_fma_f64 v[48:49], v[38:39], v[2:3], -v[48:49]
	v_fma_f64 v[164:165], v[40:41], v[2:3], v[4:5]
	ds_load_b128 v[2:5], v1 offset:1536
	scratch_load_b128 v[38:41], off, off offset:800
	v_fma_f64 v[44:45], v[44:45], v[6:7], v[50:51]
	v_fma_f64 v[42:43], v[42:43], v[6:7], -v[8:9]
	scratch_load_b128 v[6:9], off, off offset:816
	s_waitcnt vmcnt(10) lgkmcnt(0)
	v_mul_f64 v[168:169], v[2:3], v[12:13]
	v_mul_f64 v[12:13], v[4:5], v[12:13]
	v_add_f64 v[48:49], v[48:49], 0
	v_add_f64 v[50:51], v[164:165], 0
	s_waitcnt vmcnt(9)
	v_mul_f64 v[164:165], v[220:221], v[16:17]
	v_mul_f64 v[16:17], v[222:223], v[16:17]
	v_fma_f64 v[168:169], v[4:5], v[10:11], v[168:169]
	v_fma_f64 v[226:227], v[2:3], v[10:11], -v[12:13]
	ds_load_b128 v[2:5], v1 offset:1568
	scratch_load_b128 v[10:13], off, off offset:832
	v_add_f64 v[48:49], v[48:49], v[42:43]
	v_add_f64 v[50:51], v[50:51], v[44:45]
	ds_load_b128 v[42:45], v1 offset:1584
	v_fma_f64 v[164:165], v[222:223], v[14:15], v[164:165]
	v_fma_f64 v[220:221], v[220:221], v[14:15], -v[16:17]
	scratch_load_b128 v[14:17], off, off offset:848
	s_waitcnt vmcnt(10) lgkmcnt(1)
	v_mul_f64 v[228:229], v[2:3], v[20:21]
	v_mul_f64 v[20:21], v[4:5], v[20:21]
	v_add_f64 v[48:49], v[48:49], v[226:227]
	v_add_f64 v[50:51], v[50:51], v[168:169]
	s_waitcnt vmcnt(9) lgkmcnt(0)
	v_mul_f64 v[168:169], v[42:43], v[24:25]
	v_mul_f64 v[24:25], v[44:45], v[24:25]
	v_fma_f64 v[222:223], v[4:5], v[18:19], v[228:229]
	v_fma_f64 v[226:227], v[2:3], v[18:19], -v[20:21]
	ds_load_b128 v[2:5], v1 offset:1600
	ds_load_b128 v[18:21], v1 offset:1616
	v_add_f64 v[48:49], v[48:49], v[220:221]
	v_add_f64 v[50:51], v[50:51], v[164:165]
	s_waitcnt vmcnt(8) lgkmcnt(1)
	v_mul_f64 v[164:165], v[2:3], v[28:29]
	v_mul_f64 v[28:29], v[4:5], v[28:29]
	v_fma_f64 v[44:45], v[44:45], v[22:23], v[168:169]
	v_fma_f64 v[22:23], v[42:43], v[22:23], -v[24:25]
	v_add_f64 v[24:25], v[48:49], v[226:227]
	v_add_f64 v[42:43], v[50:51], v[222:223]
	s_waitcnt vmcnt(7) lgkmcnt(0)
	v_mul_f64 v[48:49], v[18:19], v[32:33]
	v_mul_f64 v[32:33], v[20:21], v[32:33]
	v_fma_f64 v[50:51], v[4:5], v[26:27], v[164:165]
	v_fma_f64 v[26:27], v[2:3], v[26:27], -v[28:29]
	v_add_f64 v[28:29], v[24:25], v[22:23]
	v_add_f64 v[42:43], v[42:43], v[44:45]
	ds_load_b128 v[2:5], v1 offset:1632
	ds_load_b128 v[22:25], v1 offset:1648
	v_fma_f64 v[20:21], v[20:21], v[30:31], v[48:49]
	v_fma_f64 v[18:19], v[18:19], v[30:31], -v[32:33]
	s_waitcnt vmcnt(6) lgkmcnt(1)
	v_mul_f64 v[44:45], v[2:3], v[36:37]
	v_mul_f64 v[36:37], v[4:5], v[36:37]
	s_waitcnt vmcnt(4) lgkmcnt(0)
	v_mul_f64 v[30:31], v[22:23], v[173:174]
	v_mul_f64 v[32:33], v[24:25], v[173:174]
	v_add_f64 v[26:27], v[28:29], v[26:27]
	v_add_f64 v[28:29], v[42:43], v[50:51]
	v_fma_f64 v[42:43], v[4:5], v[34:35], v[44:45]
	v_fma_f64 v[34:35], v[2:3], v[34:35], -v[36:37]
	v_fma_f64 v[24:25], v[24:25], v[171:172], v[30:31]
	v_fma_f64 v[22:23], v[22:23], v[171:172], -v[32:33]
	v_add_f64 v[26:27], v[26:27], v[18:19]
	v_add_f64 v[28:29], v[28:29], v[20:21]
	ds_load_b128 v[2:5], v1 offset:1664
	ds_load_b128 v[18:21], v1 offset:1680
	s_waitcnt vmcnt(3) lgkmcnt(1)
	v_mul_f64 v[36:37], v[2:3], v[40:41]
	v_mul_f64 v[40:41], v[4:5], v[40:41]
	s_waitcnt vmcnt(2) lgkmcnt(0)
	v_mul_f64 v[30:31], v[18:19], v[8:9]
	v_mul_f64 v[8:9], v[20:21], v[8:9]
	v_add_f64 v[26:27], v[26:27], v[34:35]
	v_add_f64 v[28:29], v[28:29], v[42:43]
	v_fma_f64 v[32:33], v[4:5], v[38:39], v[36:37]
	v_fma_f64 v[34:35], v[2:3], v[38:39], -v[40:41]
	v_fma_f64 v[20:21], v[20:21], v[6:7], v[30:31]
	v_fma_f64 v[6:7], v[18:19], v[6:7], -v[8:9]
	v_add_f64 v[26:27], v[26:27], v[22:23]
	v_add_f64 v[28:29], v[28:29], v[24:25]
	ds_load_b128 v[2:5], v1 offset:1696
	ds_load_b128 v[22:25], v1 offset:1712
	s_waitcnt vmcnt(1) lgkmcnt(1)
	v_mul_f64 v[36:37], v[2:3], v[12:13]
	v_mul_f64 v[12:13], v[4:5], v[12:13]
	v_add_f64 v[8:9], v[26:27], v[34:35]
	v_add_f64 v[18:19], v[28:29], v[32:33]
	s_waitcnt vmcnt(0) lgkmcnt(0)
	v_mul_f64 v[26:27], v[22:23], v[16:17]
	v_mul_f64 v[16:17], v[24:25], v[16:17]
	v_fma_f64 v[4:5], v[4:5], v[10:11], v[36:37]
	v_fma_f64 v[1:2], v[2:3], v[10:11], -v[12:13]
	v_add_f64 v[6:7], v[8:9], v[6:7]
	v_add_f64 v[8:9], v[18:19], v[20:21]
	v_fma_f64 v[10:11], v[24:25], v[14:15], v[26:27]
	v_fma_f64 v[12:13], v[22:23], v[14:15], -v[16:17]
	s_delay_alu instid0(VALU_DEP_4) | instskip(NEXT) | instid1(VALU_DEP_4)
	v_add_f64 v[1:2], v[6:7], v[1:2]
	v_add_f64 v[3:4], v[8:9], v[4:5]
	s_delay_alu instid0(VALU_DEP_2) | instskip(NEXT) | instid1(VALU_DEP_2)
	v_add_f64 v[1:2], v[1:2], v[12:13]
	v_add_f64 v[3:4], v[3:4], v[10:11]
	s_delay_alu instid0(VALU_DEP_2) | instskip(NEXT) | instid1(VALU_DEP_2)
	v_add_f64 v[1:2], v[157:158], -v[1:2]
	v_add_f64 v[3:4], v[159:160], -v[3:4]
	scratch_store_b128 off, v[1:4], off offset:624
	v_cmpx_lt_u32_e32 38, v154
	s_cbranch_execz .LBB117_261
; %bb.260:
	scratch_load_b128 v[1:4], v217, off
	v_mov_b32_e32 v5, 0
	s_delay_alu instid0(VALU_DEP_1)
	v_mov_b32_e32 v6, v5
	v_mov_b32_e32 v7, v5
	;; [unrolled: 1-line block ×3, first 2 shown]
	scratch_store_b128 off, v[5:8], off offset:608
	s_waitcnt vmcnt(0)
	ds_store_b128 v208, v[1:4]
.LBB117_261:
	s_or_b32 exec_lo, exec_lo, s2
	s_waitcnt lgkmcnt(0)
	s_waitcnt_vscnt null, 0x0
	s_barrier
	buffer_gl0_inv
	s_clause 0x7
	scratch_load_b128 v[2:5], off, off offset:624
	scratch_load_b128 v[6:9], off, off offset:640
	;; [unrolled: 1-line block ×8, first 2 shown]
	v_mov_b32_e32 v1, 0
	s_mov_b32 s2, exec_lo
	ds_load_b128 v[34:37], v1 offset:1488
	s_clause 0x1
	scratch_load_b128 v[38:41], off, off offset:752
	scratch_load_b128 v[42:45], off, off offset:608
	ds_load_b128 v[157:160], v1 offset:1504
	scratch_load_b128 v[171:174], off, off offset:768
	ds_load_b128 v[220:223], v1 offset:1536
	s_waitcnt vmcnt(10) lgkmcnt(2)
	v_mul_f64 v[48:49], v[36:37], v[4:5]
	v_mul_f64 v[4:5], v[34:35], v[4:5]
	s_delay_alu instid0(VALU_DEP_2) | instskip(NEXT) | instid1(VALU_DEP_2)
	v_fma_f64 v[48:49], v[34:35], v[2:3], -v[48:49]
	v_fma_f64 v[164:165], v[36:37], v[2:3], v[4:5]
	ds_load_b128 v[2:5], v1 offset:1520
	s_waitcnt vmcnt(9) lgkmcnt(2)
	v_mul_f64 v[50:51], v[157:158], v[8:9]
	v_mul_f64 v[8:9], v[159:160], v[8:9]
	scratch_load_b128 v[34:37], off, off offset:784
	s_waitcnt vmcnt(9) lgkmcnt(0)
	v_mul_f64 v[168:169], v[2:3], v[12:13]
	v_mul_f64 v[12:13], v[4:5], v[12:13]
	v_add_f64 v[48:49], v[48:49], 0
	v_fma_f64 v[50:51], v[159:160], v[6:7], v[50:51]
	v_fma_f64 v[157:158], v[157:158], v[6:7], -v[8:9]
	v_add_f64 v[159:160], v[164:165], 0
	scratch_load_b128 v[6:9], off, off offset:800
	v_fma_f64 v[168:169], v[4:5], v[10:11], v[168:169]
	v_fma_f64 v[226:227], v[2:3], v[10:11], -v[12:13]
	scratch_load_b128 v[10:13], off, off offset:816
	ds_load_b128 v[2:5], v1 offset:1552
	s_waitcnt vmcnt(10)
	v_mul_f64 v[164:165], v[220:221], v[16:17]
	v_mul_f64 v[16:17], v[222:223], v[16:17]
	v_add_f64 v[48:49], v[48:49], v[157:158]
	v_add_f64 v[50:51], v[159:160], v[50:51]
	ds_load_b128 v[157:160], v1 offset:1568
	s_waitcnt vmcnt(9) lgkmcnt(1)
	v_mul_f64 v[228:229], v[2:3], v[20:21]
	v_mul_f64 v[20:21], v[4:5], v[20:21]
	v_fma_f64 v[164:165], v[222:223], v[14:15], v[164:165]
	v_fma_f64 v[220:221], v[220:221], v[14:15], -v[16:17]
	scratch_load_b128 v[14:17], off, off offset:832
	v_add_f64 v[48:49], v[48:49], v[226:227]
	v_add_f64 v[50:51], v[50:51], v[168:169]
	v_fma_f64 v[226:227], v[4:5], v[18:19], v[228:229]
	v_fma_f64 v[228:229], v[2:3], v[18:19], -v[20:21]
	scratch_load_b128 v[18:21], off, off offset:848
	ds_load_b128 v[2:5], v1 offset:1584
	s_waitcnt vmcnt(10) lgkmcnt(1)
	v_mul_f64 v[168:169], v[157:158], v[24:25]
	v_mul_f64 v[24:25], v[159:160], v[24:25]
	v_add_f64 v[48:49], v[48:49], v[220:221]
	v_add_f64 v[50:51], v[50:51], v[164:165]
	s_waitcnt vmcnt(9) lgkmcnt(0)
	v_mul_f64 v[164:165], v[2:3], v[28:29]
	v_mul_f64 v[28:29], v[4:5], v[28:29]
	ds_load_b128 v[220:223], v1 offset:1600
	v_fma_f64 v[159:160], v[159:160], v[22:23], v[168:169]
	v_fma_f64 v[22:23], v[157:158], v[22:23], -v[24:25]
	v_add_f64 v[24:25], v[48:49], v[228:229]
	v_add_f64 v[48:49], v[50:51], v[226:227]
	s_waitcnt vmcnt(8) lgkmcnt(0)
	v_mul_f64 v[50:51], v[220:221], v[32:33]
	v_mul_f64 v[32:33], v[222:223], v[32:33]
	v_fma_f64 v[157:158], v[4:5], v[26:27], v[164:165]
	v_fma_f64 v[26:27], v[2:3], v[26:27], -v[28:29]
	v_add_f64 v[28:29], v[24:25], v[22:23]
	v_add_f64 v[48:49], v[48:49], v[159:160]
	ds_load_b128 v[2:5], v1 offset:1616
	ds_load_b128 v[22:25], v1 offset:1632
	v_fma_f64 v[50:51], v[222:223], v[30:31], v[50:51]
	v_fma_f64 v[30:31], v[220:221], v[30:31], -v[32:33]
	s_waitcnt vmcnt(7) lgkmcnt(1)
	v_mul_f64 v[159:160], v[2:3], v[40:41]
	v_mul_f64 v[40:41], v[4:5], v[40:41]
	s_waitcnt vmcnt(5) lgkmcnt(0)
	v_mul_f64 v[32:33], v[22:23], v[173:174]
	v_add_f64 v[26:27], v[28:29], v[26:27]
	v_add_f64 v[28:29], v[48:49], v[157:158]
	v_mul_f64 v[48:49], v[24:25], v[173:174]
	v_fma_f64 v[157:158], v[4:5], v[38:39], v[159:160]
	v_fma_f64 v[38:39], v[2:3], v[38:39], -v[40:41]
	v_fma_f64 v[24:25], v[24:25], v[171:172], v[32:33]
	v_add_f64 v[30:31], v[26:27], v[30:31]
	v_add_f64 v[40:41], v[28:29], v[50:51]
	ds_load_b128 v[2:5], v1 offset:1648
	ds_load_b128 v[26:29], v1 offset:1664
	v_fma_f64 v[22:23], v[22:23], v[171:172], -v[48:49]
	s_waitcnt vmcnt(4) lgkmcnt(1)
	v_mul_f64 v[50:51], v[2:3], v[36:37]
	v_mul_f64 v[36:37], v[4:5], v[36:37]
	v_add_f64 v[30:31], v[30:31], v[38:39]
	v_add_f64 v[32:33], v[40:41], v[157:158]
	s_waitcnt vmcnt(3) lgkmcnt(0)
	v_mul_f64 v[38:39], v[26:27], v[8:9]
	v_mul_f64 v[8:9], v[28:29], v[8:9]
	v_fma_f64 v[40:41], v[4:5], v[34:35], v[50:51]
	v_fma_f64 v[34:35], v[2:3], v[34:35], -v[36:37]
	v_add_f64 v[30:31], v[30:31], v[22:23]
	v_add_f64 v[32:33], v[32:33], v[24:25]
	ds_load_b128 v[2:5], v1 offset:1680
	ds_load_b128 v[22:25], v1 offset:1696
	v_fma_f64 v[28:29], v[28:29], v[6:7], v[38:39]
	v_fma_f64 v[6:7], v[26:27], v[6:7], -v[8:9]
	s_waitcnt vmcnt(2) lgkmcnt(1)
	v_mul_f64 v[36:37], v[2:3], v[12:13]
	v_mul_f64 v[12:13], v[4:5], v[12:13]
	v_add_f64 v[8:9], v[30:31], v[34:35]
	v_add_f64 v[26:27], v[32:33], v[40:41]
	s_waitcnt vmcnt(1) lgkmcnt(0)
	v_mul_f64 v[30:31], v[22:23], v[16:17]
	v_mul_f64 v[16:17], v[24:25], v[16:17]
	v_fma_f64 v[32:33], v[4:5], v[10:11], v[36:37]
	v_fma_f64 v[10:11], v[2:3], v[10:11], -v[12:13]
	ds_load_b128 v[2:5], v1 offset:1712
	v_add_f64 v[6:7], v[8:9], v[6:7]
	v_add_f64 v[8:9], v[26:27], v[28:29]
	v_fma_f64 v[24:25], v[24:25], v[14:15], v[30:31]
	v_fma_f64 v[14:15], v[22:23], v[14:15], -v[16:17]
	s_waitcnt vmcnt(0) lgkmcnt(0)
	v_mul_f64 v[12:13], v[2:3], v[20:21]
	v_mul_f64 v[20:21], v[4:5], v[20:21]
	v_add_f64 v[6:7], v[6:7], v[10:11]
	v_add_f64 v[8:9], v[8:9], v[32:33]
	s_delay_alu instid0(VALU_DEP_4) | instskip(NEXT) | instid1(VALU_DEP_4)
	v_fma_f64 v[4:5], v[4:5], v[18:19], v[12:13]
	v_fma_f64 v[2:3], v[2:3], v[18:19], -v[20:21]
	s_delay_alu instid0(VALU_DEP_4) | instskip(NEXT) | instid1(VALU_DEP_4)
	v_add_f64 v[6:7], v[6:7], v[14:15]
	v_add_f64 v[8:9], v[8:9], v[24:25]
	s_delay_alu instid0(VALU_DEP_2) | instskip(NEXT) | instid1(VALU_DEP_2)
	v_add_f64 v[2:3], v[6:7], v[2:3]
	v_add_f64 v[4:5], v[8:9], v[4:5]
	s_delay_alu instid0(VALU_DEP_2) | instskip(NEXT) | instid1(VALU_DEP_2)
	v_add_f64 v[2:3], v[42:43], -v[2:3]
	v_add_f64 v[4:5], v[44:45], -v[4:5]
	scratch_store_b128 off, v[2:5], off offset:608
	v_cmpx_lt_u32_e32 37, v154
	s_cbranch_execz .LBB117_263
; %bb.262:
	scratch_load_b128 v[5:8], v218, off
	v_mov_b32_e32 v2, v1
	v_mov_b32_e32 v3, v1
	;; [unrolled: 1-line block ×3, first 2 shown]
	scratch_store_b128 off, v[1:4], off offset:592
	s_waitcnt vmcnt(0)
	ds_store_b128 v208, v[5:8]
.LBB117_263:
	s_or_b32 exec_lo, exec_lo, s2
	s_waitcnt lgkmcnt(0)
	s_waitcnt_vscnt null, 0x0
	s_barrier
	buffer_gl0_inv
	s_clause 0x8
	scratch_load_b128 v[2:5], off, off offset:608
	scratch_load_b128 v[6:9], off, off offset:624
	;; [unrolled: 1-line block ×9, first 2 shown]
	ds_load_b128 v[38:41], v1 offset:1472
	ds_load_b128 v[42:45], v1 offset:1488
	s_clause 0x1
	scratch_load_b128 v[157:160], off, off offset:592
	scratch_load_b128 v[171:174], off, off offset:752
	s_mov_b32 s2, exec_lo
	ds_load_b128 v[220:223], v1 offset:1520
	s_waitcnt vmcnt(10) lgkmcnt(2)
	v_mul_f64 v[48:49], v[40:41], v[4:5]
	v_mul_f64 v[4:5], v[38:39], v[4:5]
	s_waitcnt vmcnt(9) lgkmcnt(1)
	v_mul_f64 v[50:51], v[42:43], v[8:9]
	v_mul_f64 v[8:9], v[44:45], v[8:9]
	s_delay_alu instid0(VALU_DEP_4) | instskip(NEXT) | instid1(VALU_DEP_4)
	v_fma_f64 v[48:49], v[38:39], v[2:3], -v[48:49]
	v_fma_f64 v[164:165], v[40:41], v[2:3], v[4:5]
	ds_load_b128 v[2:5], v1 offset:1504
	scratch_load_b128 v[38:41], off, off offset:768
	v_fma_f64 v[44:45], v[44:45], v[6:7], v[50:51]
	v_fma_f64 v[42:43], v[42:43], v[6:7], -v[8:9]
	scratch_load_b128 v[6:9], off, off offset:784
	s_waitcnt vmcnt(10) lgkmcnt(0)
	v_mul_f64 v[168:169], v[2:3], v[12:13]
	v_mul_f64 v[12:13], v[4:5], v[12:13]
	v_add_f64 v[48:49], v[48:49], 0
	v_add_f64 v[50:51], v[164:165], 0
	s_waitcnt vmcnt(9)
	v_mul_f64 v[164:165], v[220:221], v[16:17]
	v_mul_f64 v[16:17], v[222:223], v[16:17]
	v_fma_f64 v[168:169], v[4:5], v[10:11], v[168:169]
	v_fma_f64 v[226:227], v[2:3], v[10:11], -v[12:13]
	ds_load_b128 v[2:5], v1 offset:1536
	scratch_load_b128 v[10:13], off, off offset:800
	v_add_f64 v[48:49], v[48:49], v[42:43]
	v_add_f64 v[50:51], v[50:51], v[44:45]
	ds_load_b128 v[42:45], v1 offset:1552
	v_fma_f64 v[164:165], v[222:223], v[14:15], v[164:165]
	v_fma_f64 v[220:221], v[220:221], v[14:15], -v[16:17]
	scratch_load_b128 v[14:17], off, off offset:816
	s_waitcnt vmcnt(10) lgkmcnt(1)
	v_mul_f64 v[228:229], v[2:3], v[20:21]
	v_mul_f64 v[20:21], v[4:5], v[20:21]
	v_add_f64 v[48:49], v[48:49], v[226:227]
	v_add_f64 v[50:51], v[50:51], v[168:169]
	s_waitcnt vmcnt(9) lgkmcnt(0)
	v_mul_f64 v[168:169], v[42:43], v[24:25]
	v_mul_f64 v[24:25], v[44:45], v[24:25]
	v_fma_f64 v[226:227], v[4:5], v[18:19], v[228:229]
	v_fma_f64 v[228:229], v[2:3], v[18:19], -v[20:21]
	ds_load_b128 v[2:5], v1 offset:1568
	scratch_load_b128 v[18:21], off, off offset:832
	v_add_f64 v[48:49], v[48:49], v[220:221]
	v_add_f64 v[50:51], v[50:51], v[164:165]
	ds_load_b128 v[220:223], v1 offset:1584
	s_waitcnt vmcnt(9) lgkmcnt(1)
	v_mul_f64 v[164:165], v[2:3], v[28:29]
	v_mul_f64 v[28:29], v[4:5], v[28:29]
	v_fma_f64 v[44:45], v[44:45], v[22:23], v[168:169]
	v_fma_f64 v[42:43], v[42:43], v[22:23], -v[24:25]
	scratch_load_b128 v[22:25], off, off offset:848
	s_waitcnt vmcnt(9) lgkmcnt(0)
	v_mul_f64 v[168:169], v[220:221], v[32:33]
	v_mul_f64 v[32:33], v[222:223], v[32:33]
	v_add_f64 v[48:49], v[48:49], v[228:229]
	v_add_f64 v[50:51], v[50:51], v[226:227]
	v_fma_f64 v[164:165], v[4:5], v[26:27], v[164:165]
	v_fma_f64 v[226:227], v[2:3], v[26:27], -v[28:29]
	ds_load_b128 v[2:5], v1 offset:1600
	ds_load_b128 v[26:29], v1 offset:1616
	v_add_f64 v[42:43], v[48:49], v[42:43]
	v_add_f64 v[44:45], v[50:51], v[44:45]
	s_waitcnt vmcnt(8) lgkmcnt(1)
	v_mul_f64 v[48:49], v[2:3], v[36:37]
	v_mul_f64 v[36:37], v[4:5], v[36:37]
	v_fma_f64 v[50:51], v[222:223], v[30:31], v[168:169]
	v_fma_f64 v[30:31], v[220:221], v[30:31], -v[32:33]
	v_add_f64 v[32:33], v[42:43], v[226:227]
	v_add_f64 v[42:43], v[44:45], v[164:165]
	s_waitcnt vmcnt(6) lgkmcnt(0)
	v_mul_f64 v[44:45], v[26:27], v[173:174]
	v_mul_f64 v[164:165], v[28:29], v[173:174]
	v_fma_f64 v[48:49], v[4:5], v[34:35], v[48:49]
	v_fma_f64 v[34:35], v[2:3], v[34:35], -v[36:37]
	v_add_f64 v[36:37], v[32:33], v[30:31]
	v_add_f64 v[42:43], v[42:43], v[50:51]
	ds_load_b128 v[2:5], v1 offset:1632
	ds_load_b128 v[30:33], v1 offset:1648
	v_fma_f64 v[28:29], v[28:29], v[171:172], v[44:45]
	v_fma_f64 v[26:27], v[26:27], v[171:172], -v[164:165]
	s_waitcnt vmcnt(5) lgkmcnt(1)
	v_mul_f64 v[50:51], v[2:3], v[40:41]
	v_mul_f64 v[40:41], v[4:5], v[40:41]
	v_add_f64 v[34:35], v[36:37], v[34:35]
	v_add_f64 v[36:37], v[42:43], v[48:49]
	s_waitcnt vmcnt(4) lgkmcnt(0)
	v_mul_f64 v[42:43], v[30:31], v[8:9]
	v_mul_f64 v[8:9], v[32:33], v[8:9]
	v_fma_f64 v[44:45], v[4:5], v[38:39], v[50:51]
	v_fma_f64 v[38:39], v[2:3], v[38:39], -v[40:41]
	v_add_f64 v[34:35], v[34:35], v[26:27]
	v_add_f64 v[36:37], v[36:37], v[28:29]
	ds_load_b128 v[2:5], v1 offset:1664
	ds_load_b128 v[26:29], v1 offset:1680
	v_fma_f64 v[32:33], v[32:33], v[6:7], v[42:43]
	v_fma_f64 v[6:7], v[30:31], v[6:7], -v[8:9]
	s_waitcnt vmcnt(3) lgkmcnt(1)
	v_mul_f64 v[40:41], v[2:3], v[12:13]
	v_mul_f64 v[12:13], v[4:5], v[12:13]
	;; [unrolled: 16-line block ×3, first 2 shown]
	s_waitcnt vmcnt(0) lgkmcnt(0)
	v_mul_f64 v[16:17], v[6:7], v[24:25]
	v_mul_f64 v[24:25], v[8:9], v[24:25]
	v_add_f64 v[10:11], v[12:13], v[10:11]
	v_add_f64 v[12:13], v[30:31], v[36:37]
	v_fma_f64 v[4:5], v[4:5], v[18:19], v[32:33]
	v_fma_f64 v[1:2], v[2:3], v[18:19], -v[20:21]
	v_fma_f64 v[8:9], v[8:9], v[22:23], v[16:17]
	v_fma_f64 v[6:7], v[6:7], v[22:23], -v[24:25]
	v_add_f64 v[10:11], v[10:11], v[14:15]
	v_add_f64 v[12:13], v[12:13], v[28:29]
	s_delay_alu instid0(VALU_DEP_2) | instskip(NEXT) | instid1(VALU_DEP_2)
	v_add_f64 v[1:2], v[10:11], v[1:2]
	v_add_f64 v[3:4], v[12:13], v[4:5]
	s_delay_alu instid0(VALU_DEP_2) | instskip(NEXT) | instid1(VALU_DEP_2)
	;; [unrolled: 3-line block ×3, first 2 shown]
	v_add_f64 v[1:2], v[157:158], -v[1:2]
	v_add_f64 v[3:4], v[159:160], -v[3:4]
	scratch_store_b128 off, v[1:4], off offset:592
	v_cmpx_lt_u32_e32 36, v154
	s_cbranch_execz .LBB117_265
; %bb.264:
	scratch_load_b128 v[1:4], v219, off
	v_mov_b32_e32 v5, 0
	s_delay_alu instid0(VALU_DEP_1)
	v_mov_b32_e32 v6, v5
	v_mov_b32_e32 v7, v5
	;; [unrolled: 1-line block ×3, first 2 shown]
	scratch_store_b128 off, v[5:8], off offset:576
	s_waitcnt vmcnt(0)
	ds_store_b128 v208, v[1:4]
.LBB117_265:
	s_or_b32 exec_lo, exec_lo, s2
	s_waitcnt lgkmcnt(0)
	s_waitcnt_vscnt null, 0x0
	s_barrier
	buffer_gl0_inv
	s_clause 0x7
	scratch_load_b128 v[2:5], off, off offset:592
	scratch_load_b128 v[6:9], off, off offset:608
	;; [unrolled: 1-line block ×8, first 2 shown]
	v_mov_b32_e32 v1, 0
	s_mov_b32 s2, exec_lo
	ds_load_b128 v[34:37], v1 offset:1456
	s_clause 0x1
	scratch_load_b128 v[38:41], off, off offset:720
	scratch_load_b128 v[42:45], off, off offset:576
	ds_load_b128 v[157:160], v1 offset:1472
	scratch_load_b128 v[171:174], off, off offset:736
	ds_load_b128 v[220:223], v1 offset:1504
	s_waitcnt vmcnt(10) lgkmcnt(2)
	v_mul_f64 v[48:49], v[36:37], v[4:5]
	v_mul_f64 v[4:5], v[34:35], v[4:5]
	s_delay_alu instid0(VALU_DEP_2) | instskip(NEXT) | instid1(VALU_DEP_2)
	v_fma_f64 v[48:49], v[34:35], v[2:3], -v[48:49]
	v_fma_f64 v[164:165], v[36:37], v[2:3], v[4:5]
	ds_load_b128 v[2:5], v1 offset:1488
	s_waitcnt vmcnt(9) lgkmcnt(2)
	v_mul_f64 v[50:51], v[157:158], v[8:9]
	v_mul_f64 v[8:9], v[159:160], v[8:9]
	scratch_load_b128 v[34:37], off, off offset:752
	s_waitcnt vmcnt(9) lgkmcnt(0)
	v_mul_f64 v[168:169], v[2:3], v[12:13]
	v_mul_f64 v[12:13], v[4:5], v[12:13]
	v_add_f64 v[48:49], v[48:49], 0
	v_fma_f64 v[50:51], v[159:160], v[6:7], v[50:51]
	v_fma_f64 v[157:158], v[157:158], v[6:7], -v[8:9]
	v_add_f64 v[159:160], v[164:165], 0
	scratch_load_b128 v[6:9], off, off offset:768
	v_fma_f64 v[168:169], v[4:5], v[10:11], v[168:169]
	v_fma_f64 v[226:227], v[2:3], v[10:11], -v[12:13]
	scratch_load_b128 v[10:13], off, off offset:784
	ds_load_b128 v[2:5], v1 offset:1520
	s_waitcnt vmcnt(10)
	v_mul_f64 v[164:165], v[220:221], v[16:17]
	v_mul_f64 v[16:17], v[222:223], v[16:17]
	v_add_f64 v[48:49], v[48:49], v[157:158]
	v_add_f64 v[50:51], v[159:160], v[50:51]
	ds_load_b128 v[157:160], v1 offset:1536
	s_waitcnt vmcnt(9) lgkmcnt(1)
	v_mul_f64 v[228:229], v[2:3], v[20:21]
	v_mul_f64 v[20:21], v[4:5], v[20:21]
	v_fma_f64 v[164:165], v[222:223], v[14:15], v[164:165]
	v_fma_f64 v[220:221], v[220:221], v[14:15], -v[16:17]
	scratch_load_b128 v[14:17], off, off offset:800
	v_add_f64 v[48:49], v[48:49], v[226:227]
	v_add_f64 v[50:51], v[50:51], v[168:169]
	v_fma_f64 v[226:227], v[4:5], v[18:19], v[228:229]
	v_fma_f64 v[228:229], v[2:3], v[18:19], -v[20:21]
	scratch_load_b128 v[18:21], off, off offset:816
	ds_load_b128 v[2:5], v1 offset:1552
	s_waitcnt vmcnt(10) lgkmcnt(1)
	v_mul_f64 v[168:169], v[157:158], v[24:25]
	v_mul_f64 v[24:25], v[159:160], v[24:25]
	v_add_f64 v[48:49], v[48:49], v[220:221]
	v_add_f64 v[50:51], v[50:51], v[164:165]
	s_waitcnt vmcnt(9) lgkmcnt(0)
	v_mul_f64 v[164:165], v[2:3], v[28:29]
	v_mul_f64 v[28:29], v[4:5], v[28:29]
	ds_load_b128 v[220:223], v1 offset:1568
	v_fma_f64 v[159:160], v[159:160], v[22:23], v[168:169]
	v_fma_f64 v[157:158], v[157:158], v[22:23], -v[24:25]
	scratch_load_b128 v[22:25], off, off offset:832
	v_add_f64 v[48:49], v[48:49], v[228:229]
	v_add_f64 v[50:51], v[50:51], v[226:227]
	v_fma_f64 v[164:165], v[4:5], v[26:27], v[164:165]
	v_fma_f64 v[226:227], v[2:3], v[26:27], -v[28:29]
	scratch_load_b128 v[26:29], off, off offset:848
	ds_load_b128 v[2:5], v1 offset:1584
	s_waitcnt vmcnt(10) lgkmcnt(1)
	v_mul_f64 v[168:169], v[220:221], v[32:33]
	v_mul_f64 v[32:33], v[222:223], v[32:33]
	s_waitcnt vmcnt(9) lgkmcnt(0)
	v_mul_f64 v[228:229], v[2:3], v[40:41]
	v_mul_f64 v[40:41], v[4:5], v[40:41]
	v_add_f64 v[48:49], v[48:49], v[157:158]
	v_add_f64 v[50:51], v[50:51], v[159:160]
	ds_load_b128 v[157:160], v1 offset:1600
	v_fma_f64 v[168:169], v[222:223], v[30:31], v[168:169]
	v_fma_f64 v[30:31], v[220:221], v[30:31], -v[32:33]
	v_add_f64 v[32:33], v[48:49], v[226:227]
	v_add_f64 v[48:49], v[50:51], v[164:165]
	s_waitcnt vmcnt(7) lgkmcnt(0)
	v_mul_f64 v[50:51], v[157:158], v[173:174]
	v_mul_f64 v[164:165], v[159:160], v[173:174]
	v_fma_f64 v[173:174], v[4:5], v[38:39], v[228:229]
	v_fma_f64 v[38:39], v[2:3], v[38:39], -v[40:41]
	v_add_f64 v[40:41], v[32:33], v[30:31]
	v_add_f64 v[48:49], v[48:49], v[168:169]
	ds_load_b128 v[2:5], v1 offset:1616
	ds_load_b128 v[30:33], v1 offset:1632
	v_fma_f64 v[50:51], v[159:160], v[171:172], v[50:51]
	v_fma_f64 v[157:158], v[157:158], v[171:172], -v[164:165]
	s_waitcnt vmcnt(6) lgkmcnt(1)
	v_mul_f64 v[168:169], v[2:3], v[36:37]
	v_mul_f64 v[36:37], v[4:5], v[36:37]
	v_add_f64 v[38:39], v[40:41], v[38:39]
	v_add_f64 v[40:41], v[48:49], v[173:174]
	s_waitcnt vmcnt(5) lgkmcnt(0)
	v_mul_f64 v[48:49], v[30:31], v[8:9]
	v_mul_f64 v[8:9], v[32:33], v[8:9]
	v_fma_f64 v[159:160], v[4:5], v[34:35], v[168:169]
	v_fma_f64 v[164:165], v[2:3], v[34:35], -v[36:37]
	ds_load_b128 v[2:5], v1 offset:1648
	ds_load_b128 v[34:37], v1 offset:1664
	v_add_f64 v[38:39], v[38:39], v[157:158]
	v_add_f64 v[40:41], v[40:41], v[50:51]
	s_waitcnt vmcnt(4) lgkmcnt(1)
	v_mul_f64 v[50:51], v[2:3], v[12:13]
	v_mul_f64 v[12:13], v[4:5], v[12:13]
	v_fma_f64 v[32:33], v[32:33], v[6:7], v[48:49]
	v_fma_f64 v[6:7], v[30:31], v[6:7], -v[8:9]
	v_add_f64 v[8:9], v[38:39], v[164:165]
	v_add_f64 v[30:31], v[40:41], v[159:160]
	s_waitcnt vmcnt(3) lgkmcnt(0)
	v_mul_f64 v[38:39], v[34:35], v[16:17]
	v_mul_f64 v[16:17], v[36:37], v[16:17]
	v_fma_f64 v[40:41], v[4:5], v[10:11], v[50:51]
	v_fma_f64 v[10:11], v[2:3], v[10:11], -v[12:13]
	v_add_f64 v[12:13], v[8:9], v[6:7]
	v_add_f64 v[30:31], v[30:31], v[32:33]
	ds_load_b128 v[2:5], v1 offset:1680
	ds_load_b128 v[6:9], v1 offset:1696
	v_fma_f64 v[36:37], v[36:37], v[14:15], v[38:39]
	v_fma_f64 v[14:15], v[34:35], v[14:15], -v[16:17]
	s_waitcnt vmcnt(2) lgkmcnt(1)
	v_mul_f64 v[32:33], v[2:3], v[20:21]
	v_mul_f64 v[20:21], v[4:5], v[20:21]
	s_waitcnt vmcnt(1) lgkmcnt(0)
	v_mul_f64 v[16:17], v[6:7], v[24:25]
	v_mul_f64 v[24:25], v[8:9], v[24:25]
	v_add_f64 v[10:11], v[12:13], v[10:11]
	v_add_f64 v[12:13], v[30:31], v[40:41]
	v_fma_f64 v[30:31], v[4:5], v[18:19], v[32:33]
	v_fma_f64 v[18:19], v[2:3], v[18:19], -v[20:21]
	ds_load_b128 v[2:5], v1 offset:1712
	v_fma_f64 v[8:9], v[8:9], v[22:23], v[16:17]
	v_fma_f64 v[6:7], v[6:7], v[22:23], -v[24:25]
	v_add_f64 v[10:11], v[10:11], v[14:15]
	v_add_f64 v[12:13], v[12:13], v[36:37]
	s_waitcnt vmcnt(0) lgkmcnt(0)
	v_mul_f64 v[14:15], v[2:3], v[28:29]
	v_mul_f64 v[20:21], v[4:5], v[28:29]
	s_delay_alu instid0(VALU_DEP_4) | instskip(NEXT) | instid1(VALU_DEP_4)
	v_add_f64 v[10:11], v[10:11], v[18:19]
	v_add_f64 v[12:13], v[12:13], v[30:31]
	s_delay_alu instid0(VALU_DEP_4) | instskip(NEXT) | instid1(VALU_DEP_4)
	v_fma_f64 v[4:5], v[4:5], v[26:27], v[14:15]
	v_fma_f64 v[2:3], v[2:3], v[26:27], -v[20:21]
	s_delay_alu instid0(VALU_DEP_4) | instskip(NEXT) | instid1(VALU_DEP_4)
	v_add_f64 v[6:7], v[10:11], v[6:7]
	v_add_f64 v[8:9], v[12:13], v[8:9]
	s_delay_alu instid0(VALU_DEP_2) | instskip(NEXT) | instid1(VALU_DEP_2)
	v_add_f64 v[2:3], v[6:7], v[2:3]
	v_add_f64 v[4:5], v[8:9], v[4:5]
	s_delay_alu instid0(VALU_DEP_2) | instskip(NEXT) | instid1(VALU_DEP_2)
	v_add_f64 v[2:3], v[42:43], -v[2:3]
	v_add_f64 v[4:5], v[44:45], -v[4:5]
	scratch_store_b128 off, v[2:5], off offset:576
	v_cmpx_lt_u32_e32 35, v154
	s_cbranch_execz .LBB117_267
; %bb.266:
	scratch_load_b128 v[5:8], v224, off
	v_mov_b32_e32 v2, v1
	v_mov_b32_e32 v3, v1
	;; [unrolled: 1-line block ×3, first 2 shown]
	scratch_store_b128 off, v[1:4], off offset:560
	s_waitcnt vmcnt(0)
	ds_store_b128 v208, v[5:8]
.LBB117_267:
	s_or_b32 exec_lo, exec_lo, s2
	s_waitcnt lgkmcnt(0)
	s_waitcnt_vscnt null, 0x0
	s_barrier
	buffer_gl0_inv
	s_clause 0x8
	scratch_load_b128 v[2:5], off, off offset:576
	scratch_load_b128 v[6:9], off, off offset:592
	;; [unrolled: 1-line block ×9, first 2 shown]
	ds_load_b128 v[38:41], v1 offset:1440
	ds_load_b128 v[42:45], v1 offset:1456
	s_clause 0x1
	scratch_load_b128 v[157:160], off, off offset:560
	scratch_load_b128 v[171:174], off, off offset:720
	s_mov_b32 s2, exec_lo
	ds_load_b128 v[220:223], v1 offset:1488
	s_waitcnt vmcnt(10) lgkmcnt(2)
	v_mul_f64 v[48:49], v[40:41], v[4:5]
	v_mul_f64 v[4:5], v[38:39], v[4:5]
	s_waitcnt vmcnt(9) lgkmcnt(1)
	v_mul_f64 v[50:51], v[42:43], v[8:9]
	v_mul_f64 v[8:9], v[44:45], v[8:9]
	s_delay_alu instid0(VALU_DEP_4) | instskip(NEXT) | instid1(VALU_DEP_4)
	v_fma_f64 v[48:49], v[38:39], v[2:3], -v[48:49]
	v_fma_f64 v[164:165], v[40:41], v[2:3], v[4:5]
	ds_load_b128 v[2:5], v1 offset:1472
	scratch_load_b128 v[38:41], off, off offset:736
	v_fma_f64 v[44:45], v[44:45], v[6:7], v[50:51]
	v_fma_f64 v[42:43], v[42:43], v[6:7], -v[8:9]
	scratch_load_b128 v[6:9], off, off offset:752
	s_waitcnt vmcnt(10) lgkmcnt(0)
	v_mul_f64 v[168:169], v[2:3], v[12:13]
	v_mul_f64 v[12:13], v[4:5], v[12:13]
	v_add_f64 v[48:49], v[48:49], 0
	v_add_f64 v[50:51], v[164:165], 0
	s_waitcnt vmcnt(9)
	v_mul_f64 v[164:165], v[220:221], v[16:17]
	v_mul_f64 v[16:17], v[222:223], v[16:17]
	v_fma_f64 v[168:169], v[4:5], v[10:11], v[168:169]
	v_fma_f64 v[226:227], v[2:3], v[10:11], -v[12:13]
	ds_load_b128 v[2:5], v1 offset:1504
	scratch_load_b128 v[10:13], off, off offset:768
	v_add_f64 v[48:49], v[48:49], v[42:43]
	v_add_f64 v[50:51], v[50:51], v[44:45]
	ds_load_b128 v[42:45], v1 offset:1520
	v_fma_f64 v[164:165], v[222:223], v[14:15], v[164:165]
	v_fma_f64 v[220:221], v[220:221], v[14:15], -v[16:17]
	scratch_load_b128 v[14:17], off, off offset:784
	s_waitcnt vmcnt(10) lgkmcnt(1)
	v_mul_f64 v[228:229], v[2:3], v[20:21]
	v_mul_f64 v[20:21], v[4:5], v[20:21]
	v_add_f64 v[48:49], v[48:49], v[226:227]
	v_add_f64 v[50:51], v[50:51], v[168:169]
	s_waitcnt vmcnt(9) lgkmcnt(0)
	v_mul_f64 v[168:169], v[42:43], v[24:25]
	v_mul_f64 v[24:25], v[44:45], v[24:25]
	v_fma_f64 v[226:227], v[4:5], v[18:19], v[228:229]
	v_fma_f64 v[228:229], v[2:3], v[18:19], -v[20:21]
	ds_load_b128 v[2:5], v1 offset:1536
	scratch_load_b128 v[18:21], off, off offset:800
	v_add_f64 v[48:49], v[48:49], v[220:221]
	v_add_f64 v[50:51], v[50:51], v[164:165]
	ds_load_b128 v[220:223], v1 offset:1552
	s_waitcnt vmcnt(9) lgkmcnt(1)
	v_mul_f64 v[164:165], v[2:3], v[28:29]
	v_mul_f64 v[28:29], v[4:5], v[28:29]
	v_fma_f64 v[44:45], v[44:45], v[22:23], v[168:169]
	v_fma_f64 v[42:43], v[42:43], v[22:23], -v[24:25]
	scratch_load_b128 v[22:25], off, off offset:816
	s_waitcnt vmcnt(9) lgkmcnt(0)
	v_mul_f64 v[168:169], v[220:221], v[32:33]
	v_mul_f64 v[32:33], v[222:223], v[32:33]
	v_add_f64 v[48:49], v[48:49], v[228:229]
	v_add_f64 v[50:51], v[50:51], v[226:227]
	v_fma_f64 v[164:165], v[4:5], v[26:27], v[164:165]
	v_fma_f64 v[226:227], v[2:3], v[26:27], -v[28:29]
	ds_load_b128 v[2:5], v1 offset:1568
	scratch_load_b128 v[26:29], off, off offset:832
	v_fma_f64 v[168:169], v[222:223], v[30:31], v[168:169]
	v_fma_f64 v[220:221], v[220:221], v[30:31], -v[32:33]
	scratch_load_b128 v[30:33], off, off offset:848
	v_add_f64 v[48:49], v[48:49], v[42:43]
	v_add_f64 v[50:51], v[50:51], v[44:45]
	ds_load_b128 v[42:45], v1 offset:1584
	s_waitcnt vmcnt(10) lgkmcnt(1)
	v_mul_f64 v[228:229], v[2:3], v[36:37]
	v_mul_f64 v[36:37], v[4:5], v[36:37]
	v_add_f64 v[48:49], v[48:49], v[226:227]
	v_add_f64 v[50:51], v[50:51], v[164:165]
	s_waitcnt vmcnt(8) lgkmcnt(0)
	v_mul_f64 v[164:165], v[42:43], v[173:174]
	v_mul_f64 v[173:174], v[44:45], v[173:174]
	v_fma_f64 v[222:223], v[4:5], v[34:35], v[228:229]
	v_fma_f64 v[226:227], v[2:3], v[34:35], -v[36:37]
	ds_load_b128 v[2:5], v1 offset:1600
	ds_load_b128 v[34:37], v1 offset:1616
	v_add_f64 v[48:49], v[48:49], v[220:221]
	v_add_f64 v[50:51], v[50:51], v[168:169]
	v_fma_f64 v[44:45], v[44:45], v[171:172], v[164:165]
	v_fma_f64 v[42:43], v[42:43], v[171:172], -v[173:174]
	s_waitcnt vmcnt(7) lgkmcnt(1)
	v_mul_f64 v[168:169], v[2:3], v[40:41]
	v_mul_f64 v[40:41], v[4:5], v[40:41]
	s_waitcnt vmcnt(6) lgkmcnt(0)
	v_mul_f64 v[164:165], v[34:35], v[8:9]
	v_mul_f64 v[8:9], v[36:37], v[8:9]
	v_add_f64 v[48:49], v[48:49], v[226:227]
	v_add_f64 v[50:51], v[50:51], v[222:223]
	v_fma_f64 v[168:169], v[4:5], v[38:39], v[168:169]
	v_fma_f64 v[171:172], v[2:3], v[38:39], -v[40:41]
	ds_load_b128 v[2:5], v1 offset:1632
	ds_load_b128 v[38:41], v1 offset:1648
	v_fma_f64 v[36:37], v[36:37], v[6:7], v[164:165]
	v_fma_f64 v[6:7], v[34:35], v[6:7], -v[8:9]
	v_add_f64 v[42:43], v[48:49], v[42:43]
	v_add_f64 v[44:45], v[50:51], v[44:45]
	s_waitcnt vmcnt(5) lgkmcnt(1)
	v_mul_f64 v[48:49], v[2:3], v[12:13]
	v_mul_f64 v[12:13], v[4:5], v[12:13]
	s_delay_alu instid0(VALU_DEP_4) | instskip(NEXT) | instid1(VALU_DEP_4)
	v_add_f64 v[8:9], v[42:43], v[171:172]
	v_add_f64 v[34:35], v[44:45], v[168:169]
	s_waitcnt vmcnt(4) lgkmcnt(0)
	v_mul_f64 v[42:43], v[38:39], v[16:17]
	v_mul_f64 v[16:17], v[40:41], v[16:17]
	v_fma_f64 v[44:45], v[4:5], v[10:11], v[48:49]
	v_fma_f64 v[10:11], v[2:3], v[10:11], -v[12:13]
	v_add_f64 v[12:13], v[8:9], v[6:7]
	v_add_f64 v[34:35], v[34:35], v[36:37]
	ds_load_b128 v[2:5], v1 offset:1664
	ds_load_b128 v[6:9], v1 offset:1680
	v_fma_f64 v[40:41], v[40:41], v[14:15], v[42:43]
	v_fma_f64 v[14:15], v[38:39], v[14:15], -v[16:17]
	s_waitcnt vmcnt(3) lgkmcnt(1)
	v_mul_f64 v[36:37], v[2:3], v[20:21]
	v_mul_f64 v[20:21], v[4:5], v[20:21]
	s_waitcnt vmcnt(2) lgkmcnt(0)
	v_mul_f64 v[16:17], v[6:7], v[24:25]
	v_mul_f64 v[24:25], v[8:9], v[24:25]
	v_add_f64 v[10:11], v[12:13], v[10:11]
	v_add_f64 v[12:13], v[34:35], v[44:45]
	v_fma_f64 v[34:35], v[4:5], v[18:19], v[36:37]
	v_fma_f64 v[18:19], v[2:3], v[18:19], -v[20:21]
	v_fma_f64 v[8:9], v[8:9], v[22:23], v[16:17]
	v_fma_f64 v[6:7], v[6:7], v[22:23], -v[24:25]
	v_add_f64 v[14:15], v[10:11], v[14:15]
	v_add_f64 v[20:21], v[12:13], v[40:41]
	ds_load_b128 v[2:5], v1 offset:1696
	ds_load_b128 v[10:13], v1 offset:1712
	s_waitcnt vmcnt(1) lgkmcnt(1)
	v_mul_f64 v[36:37], v[2:3], v[28:29]
	v_mul_f64 v[28:29], v[4:5], v[28:29]
	v_add_f64 v[14:15], v[14:15], v[18:19]
	v_add_f64 v[16:17], v[20:21], v[34:35]
	s_waitcnt vmcnt(0) lgkmcnt(0)
	v_mul_f64 v[18:19], v[10:11], v[32:33]
	v_mul_f64 v[20:21], v[12:13], v[32:33]
	v_fma_f64 v[4:5], v[4:5], v[26:27], v[36:37]
	v_fma_f64 v[1:2], v[2:3], v[26:27], -v[28:29]
	v_add_f64 v[6:7], v[14:15], v[6:7]
	v_add_f64 v[8:9], v[16:17], v[8:9]
	v_fma_f64 v[12:13], v[12:13], v[30:31], v[18:19]
	v_fma_f64 v[10:11], v[10:11], v[30:31], -v[20:21]
	s_delay_alu instid0(VALU_DEP_4) | instskip(NEXT) | instid1(VALU_DEP_4)
	v_add_f64 v[1:2], v[6:7], v[1:2]
	v_add_f64 v[3:4], v[8:9], v[4:5]
	s_delay_alu instid0(VALU_DEP_2) | instskip(NEXT) | instid1(VALU_DEP_2)
	v_add_f64 v[1:2], v[1:2], v[10:11]
	v_add_f64 v[3:4], v[3:4], v[12:13]
	s_delay_alu instid0(VALU_DEP_2) | instskip(NEXT) | instid1(VALU_DEP_2)
	v_add_f64 v[1:2], v[157:158], -v[1:2]
	v_add_f64 v[3:4], v[159:160], -v[3:4]
	scratch_store_b128 off, v[1:4], off offset:560
	v_cmpx_lt_u32_e32 34, v154
	s_cbranch_execz .LBB117_269
; %bb.268:
	scratch_load_b128 v[1:4], v225, off
	v_mov_b32_e32 v5, 0
	s_delay_alu instid0(VALU_DEP_1)
	v_mov_b32_e32 v6, v5
	v_mov_b32_e32 v7, v5
	;; [unrolled: 1-line block ×3, first 2 shown]
	scratch_store_b128 off, v[5:8], off offset:544
	s_waitcnt vmcnt(0)
	ds_store_b128 v208, v[1:4]
.LBB117_269:
	s_or_b32 exec_lo, exec_lo, s2
	s_waitcnt lgkmcnt(0)
	s_waitcnt_vscnt null, 0x0
	s_barrier
	buffer_gl0_inv
	s_clause 0x7
	scratch_load_b128 v[2:5], off, off offset:560
	scratch_load_b128 v[6:9], off, off offset:576
	;; [unrolled: 1-line block ×8, first 2 shown]
	v_mov_b32_e32 v1, 0
	s_mov_b32 s2, exec_lo
	ds_load_b128 v[34:37], v1 offset:1424
	s_clause 0x1
	scratch_load_b128 v[38:41], off, off offset:688
	scratch_load_b128 v[42:45], off, off offset:544
	ds_load_b128 v[157:160], v1 offset:1440
	scratch_load_b128 v[171:174], off, off offset:704
	ds_load_b128 v[220:223], v1 offset:1472
	s_waitcnt vmcnt(10) lgkmcnt(2)
	v_mul_f64 v[48:49], v[36:37], v[4:5]
	v_mul_f64 v[4:5], v[34:35], v[4:5]
	s_delay_alu instid0(VALU_DEP_2) | instskip(NEXT) | instid1(VALU_DEP_2)
	v_fma_f64 v[48:49], v[34:35], v[2:3], -v[48:49]
	v_fma_f64 v[164:165], v[36:37], v[2:3], v[4:5]
	ds_load_b128 v[2:5], v1 offset:1456
	s_waitcnt vmcnt(9) lgkmcnt(2)
	v_mul_f64 v[50:51], v[157:158], v[8:9]
	v_mul_f64 v[8:9], v[159:160], v[8:9]
	scratch_load_b128 v[34:37], off, off offset:720
	s_waitcnt vmcnt(9) lgkmcnt(0)
	v_mul_f64 v[168:169], v[2:3], v[12:13]
	v_mul_f64 v[12:13], v[4:5], v[12:13]
	v_add_f64 v[48:49], v[48:49], 0
	v_fma_f64 v[50:51], v[159:160], v[6:7], v[50:51]
	v_fma_f64 v[157:158], v[157:158], v[6:7], -v[8:9]
	v_add_f64 v[159:160], v[164:165], 0
	scratch_load_b128 v[6:9], off, off offset:736
	v_fma_f64 v[168:169], v[4:5], v[10:11], v[168:169]
	v_fma_f64 v[226:227], v[2:3], v[10:11], -v[12:13]
	scratch_load_b128 v[10:13], off, off offset:752
	ds_load_b128 v[2:5], v1 offset:1488
	s_waitcnt vmcnt(10)
	v_mul_f64 v[164:165], v[220:221], v[16:17]
	v_mul_f64 v[16:17], v[222:223], v[16:17]
	v_add_f64 v[48:49], v[48:49], v[157:158]
	v_add_f64 v[50:51], v[159:160], v[50:51]
	ds_load_b128 v[157:160], v1 offset:1504
	s_waitcnt vmcnt(9) lgkmcnt(1)
	v_mul_f64 v[228:229], v[2:3], v[20:21]
	v_mul_f64 v[20:21], v[4:5], v[20:21]
	v_fma_f64 v[164:165], v[222:223], v[14:15], v[164:165]
	v_fma_f64 v[220:221], v[220:221], v[14:15], -v[16:17]
	scratch_load_b128 v[14:17], off, off offset:768
	v_add_f64 v[48:49], v[48:49], v[226:227]
	v_add_f64 v[50:51], v[50:51], v[168:169]
	v_fma_f64 v[226:227], v[4:5], v[18:19], v[228:229]
	v_fma_f64 v[228:229], v[2:3], v[18:19], -v[20:21]
	scratch_load_b128 v[18:21], off, off offset:784
	ds_load_b128 v[2:5], v1 offset:1520
	s_waitcnt vmcnt(10) lgkmcnt(1)
	v_mul_f64 v[168:169], v[157:158], v[24:25]
	v_mul_f64 v[24:25], v[159:160], v[24:25]
	v_add_f64 v[48:49], v[48:49], v[220:221]
	v_add_f64 v[50:51], v[50:51], v[164:165]
	s_waitcnt vmcnt(9) lgkmcnt(0)
	v_mul_f64 v[164:165], v[2:3], v[28:29]
	v_mul_f64 v[28:29], v[4:5], v[28:29]
	ds_load_b128 v[220:223], v1 offset:1536
	v_fma_f64 v[159:160], v[159:160], v[22:23], v[168:169]
	v_fma_f64 v[157:158], v[157:158], v[22:23], -v[24:25]
	scratch_load_b128 v[22:25], off, off offset:800
	v_add_f64 v[48:49], v[48:49], v[228:229]
	v_add_f64 v[50:51], v[50:51], v[226:227]
	v_fma_f64 v[164:165], v[4:5], v[26:27], v[164:165]
	v_fma_f64 v[226:227], v[2:3], v[26:27], -v[28:29]
	scratch_load_b128 v[26:29], off, off offset:816
	ds_load_b128 v[2:5], v1 offset:1552
	s_waitcnt vmcnt(10) lgkmcnt(1)
	v_mul_f64 v[168:169], v[220:221], v[32:33]
	v_mul_f64 v[32:33], v[222:223], v[32:33]
	s_waitcnt vmcnt(9) lgkmcnt(0)
	v_mul_f64 v[228:229], v[2:3], v[40:41]
	v_mul_f64 v[40:41], v[4:5], v[40:41]
	v_add_f64 v[48:49], v[48:49], v[157:158]
	v_add_f64 v[50:51], v[50:51], v[159:160]
	ds_load_b128 v[157:160], v1 offset:1568
	v_fma_f64 v[168:169], v[222:223], v[30:31], v[168:169]
	v_fma_f64 v[220:221], v[220:221], v[30:31], -v[32:33]
	scratch_load_b128 v[30:33], off, off offset:832
	v_add_f64 v[48:49], v[48:49], v[226:227]
	v_add_f64 v[50:51], v[50:51], v[164:165]
	v_fma_f64 v[226:227], v[4:5], v[38:39], v[228:229]
	v_fma_f64 v[228:229], v[2:3], v[38:39], -v[40:41]
	scratch_load_b128 v[38:41], off, off offset:848
	ds_load_b128 v[2:5], v1 offset:1584
	s_waitcnt vmcnt(9) lgkmcnt(1)
	v_mul_f64 v[164:165], v[157:158], v[173:174]
	v_mul_f64 v[173:174], v[159:160], v[173:174]
	v_add_f64 v[48:49], v[48:49], v[220:221]
	v_add_f64 v[50:51], v[50:51], v[168:169]
	ds_load_b128 v[220:223], v1 offset:1600
	v_fma_f64 v[159:160], v[159:160], v[171:172], v[164:165]
	v_fma_f64 v[157:158], v[157:158], v[171:172], -v[173:174]
	s_waitcnt vmcnt(8) lgkmcnt(1)
	v_mul_f64 v[168:169], v[2:3], v[36:37]
	v_mul_f64 v[36:37], v[4:5], v[36:37]
	v_add_f64 v[48:49], v[48:49], v[228:229]
	v_add_f64 v[50:51], v[50:51], v[226:227]
	s_delay_alu instid0(VALU_DEP_4)
	v_fma_f64 v[168:169], v[4:5], v[34:35], v[168:169]
	s_waitcnt vmcnt(7) lgkmcnt(0)
	v_mul_f64 v[164:165], v[220:221], v[8:9]
	v_mul_f64 v[8:9], v[222:223], v[8:9]
	v_fma_f64 v[171:172], v[2:3], v[34:35], -v[36:37]
	ds_load_b128 v[2:5], v1 offset:1616
	ds_load_b128 v[34:37], v1 offset:1632
	v_add_f64 v[48:49], v[48:49], v[157:158]
	v_add_f64 v[50:51], v[50:51], v[159:160]
	s_waitcnt vmcnt(6) lgkmcnt(1)
	v_mul_f64 v[157:158], v[2:3], v[12:13]
	v_mul_f64 v[12:13], v[4:5], v[12:13]
	v_fma_f64 v[159:160], v[222:223], v[6:7], v[164:165]
	v_fma_f64 v[6:7], v[220:221], v[6:7], -v[8:9]
	v_add_f64 v[8:9], v[48:49], v[171:172]
	v_add_f64 v[48:49], v[50:51], v[168:169]
	s_waitcnt vmcnt(5) lgkmcnt(0)
	v_mul_f64 v[50:51], v[34:35], v[16:17]
	v_mul_f64 v[16:17], v[36:37], v[16:17]
	v_fma_f64 v[157:158], v[4:5], v[10:11], v[157:158]
	v_fma_f64 v[10:11], v[2:3], v[10:11], -v[12:13]
	v_add_f64 v[12:13], v[8:9], v[6:7]
	v_add_f64 v[48:49], v[48:49], v[159:160]
	ds_load_b128 v[2:5], v1 offset:1648
	ds_load_b128 v[6:9], v1 offset:1664
	v_fma_f64 v[36:37], v[36:37], v[14:15], v[50:51]
	v_fma_f64 v[14:15], v[34:35], v[14:15], -v[16:17]
	s_waitcnt vmcnt(4) lgkmcnt(1)
	v_mul_f64 v[159:160], v[2:3], v[20:21]
	v_mul_f64 v[20:21], v[4:5], v[20:21]
	s_waitcnt vmcnt(3) lgkmcnt(0)
	v_mul_f64 v[16:17], v[6:7], v[24:25]
	v_mul_f64 v[24:25], v[8:9], v[24:25]
	v_add_f64 v[10:11], v[12:13], v[10:11]
	v_add_f64 v[12:13], v[48:49], v[157:158]
	v_fma_f64 v[34:35], v[4:5], v[18:19], v[159:160]
	v_fma_f64 v[18:19], v[2:3], v[18:19], -v[20:21]
	v_fma_f64 v[8:9], v[8:9], v[22:23], v[16:17]
	v_fma_f64 v[6:7], v[6:7], v[22:23], -v[24:25]
	v_add_f64 v[14:15], v[10:11], v[14:15]
	v_add_f64 v[20:21], v[12:13], v[36:37]
	ds_load_b128 v[2:5], v1 offset:1680
	ds_load_b128 v[10:13], v1 offset:1696
	s_waitcnt vmcnt(2) lgkmcnt(1)
	v_mul_f64 v[36:37], v[2:3], v[28:29]
	v_mul_f64 v[28:29], v[4:5], v[28:29]
	v_add_f64 v[14:15], v[14:15], v[18:19]
	v_add_f64 v[16:17], v[20:21], v[34:35]
	s_waitcnt vmcnt(1) lgkmcnt(0)
	v_mul_f64 v[18:19], v[10:11], v[32:33]
	v_mul_f64 v[20:21], v[12:13], v[32:33]
	v_fma_f64 v[22:23], v[4:5], v[26:27], v[36:37]
	v_fma_f64 v[24:25], v[2:3], v[26:27], -v[28:29]
	ds_load_b128 v[2:5], v1 offset:1712
	v_add_f64 v[6:7], v[14:15], v[6:7]
	v_add_f64 v[8:9], v[16:17], v[8:9]
	v_fma_f64 v[12:13], v[12:13], v[30:31], v[18:19]
	v_fma_f64 v[10:11], v[10:11], v[30:31], -v[20:21]
	s_waitcnt vmcnt(0) lgkmcnt(0)
	v_mul_f64 v[14:15], v[2:3], v[40:41]
	v_mul_f64 v[16:17], v[4:5], v[40:41]
	v_add_f64 v[6:7], v[6:7], v[24:25]
	v_add_f64 v[8:9], v[8:9], v[22:23]
	s_delay_alu instid0(VALU_DEP_4) | instskip(NEXT) | instid1(VALU_DEP_4)
	v_fma_f64 v[4:5], v[4:5], v[38:39], v[14:15]
	v_fma_f64 v[2:3], v[2:3], v[38:39], -v[16:17]
	s_delay_alu instid0(VALU_DEP_4) | instskip(NEXT) | instid1(VALU_DEP_4)
	v_add_f64 v[6:7], v[6:7], v[10:11]
	v_add_f64 v[8:9], v[8:9], v[12:13]
	s_delay_alu instid0(VALU_DEP_2) | instskip(NEXT) | instid1(VALU_DEP_2)
	v_add_f64 v[2:3], v[6:7], v[2:3]
	v_add_f64 v[4:5], v[8:9], v[4:5]
	s_delay_alu instid0(VALU_DEP_2) | instskip(NEXT) | instid1(VALU_DEP_2)
	v_add_f64 v[2:3], v[42:43], -v[2:3]
	v_add_f64 v[4:5], v[44:45], -v[4:5]
	scratch_store_b128 off, v[2:5], off offset:544
	v_cmpx_lt_u32_e32 33, v154
	s_cbranch_execz .LBB117_271
; %bb.270:
	scratch_load_b128 v[5:8], v175, off
	v_mov_b32_e32 v2, v1
	v_mov_b32_e32 v3, v1
	;; [unrolled: 1-line block ×3, first 2 shown]
	scratch_store_b128 off, v[1:4], off offset:528
	s_waitcnt vmcnt(0)
	ds_store_b128 v208, v[5:8]
.LBB117_271:
	s_or_b32 exec_lo, exec_lo, s2
	s_waitcnt lgkmcnt(0)
	s_waitcnt_vscnt null, 0x0
	s_barrier
	buffer_gl0_inv
	s_clause 0x8
	scratch_load_b128 v[2:5], off, off offset:544
	scratch_load_b128 v[6:9], off, off offset:560
	;; [unrolled: 1-line block ×9, first 2 shown]
	ds_load_b128 v[38:41], v1 offset:1408
	ds_load_b128 v[42:45], v1 offset:1424
	s_clause 0x1
	scratch_load_b128 v[157:160], off, off offset:528
	scratch_load_b128 v[171:174], off, off offset:688
	s_mov_b32 s2, exec_lo
	ds_load_b128 v[220:223], v1 offset:1456
	s_waitcnt vmcnt(10) lgkmcnt(2)
	v_mul_f64 v[48:49], v[40:41], v[4:5]
	v_mul_f64 v[4:5], v[38:39], v[4:5]
	s_waitcnt vmcnt(9) lgkmcnt(1)
	v_mul_f64 v[50:51], v[42:43], v[8:9]
	v_mul_f64 v[8:9], v[44:45], v[8:9]
	s_delay_alu instid0(VALU_DEP_4) | instskip(NEXT) | instid1(VALU_DEP_4)
	v_fma_f64 v[48:49], v[38:39], v[2:3], -v[48:49]
	v_fma_f64 v[164:165], v[40:41], v[2:3], v[4:5]
	ds_load_b128 v[2:5], v1 offset:1440
	scratch_load_b128 v[38:41], off, off offset:704
	v_fma_f64 v[44:45], v[44:45], v[6:7], v[50:51]
	v_fma_f64 v[42:43], v[42:43], v[6:7], -v[8:9]
	scratch_load_b128 v[6:9], off, off offset:720
	s_waitcnt vmcnt(10) lgkmcnt(0)
	v_mul_f64 v[168:169], v[2:3], v[12:13]
	v_mul_f64 v[12:13], v[4:5], v[12:13]
	v_add_f64 v[48:49], v[48:49], 0
	v_add_f64 v[50:51], v[164:165], 0
	s_waitcnt vmcnt(9)
	v_mul_f64 v[164:165], v[220:221], v[16:17]
	v_mul_f64 v[16:17], v[222:223], v[16:17]
	v_fma_f64 v[168:169], v[4:5], v[10:11], v[168:169]
	v_fma_f64 v[226:227], v[2:3], v[10:11], -v[12:13]
	ds_load_b128 v[2:5], v1 offset:1472
	scratch_load_b128 v[10:13], off, off offset:736
	v_add_f64 v[48:49], v[48:49], v[42:43]
	v_add_f64 v[50:51], v[50:51], v[44:45]
	ds_load_b128 v[42:45], v1 offset:1488
	v_fma_f64 v[164:165], v[222:223], v[14:15], v[164:165]
	v_fma_f64 v[220:221], v[220:221], v[14:15], -v[16:17]
	scratch_load_b128 v[14:17], off, off offset:752
	s_waitcnt vmcnt(10) lgkmcnt(1)
	v_mul_f64 v[228:229], v[2:3], v[20:21]
	v_mul_f64 v[20:21], v[4:5], v[20:21]
	v_add_f64 v[48:49], v[48:49], v[226:227]
	v_add_f64 v[50:51], v[50:51], v[168:169]
	s_waitcnt vmcnt(9) lgkmcnt(0)
	v_mul_f64 v[168:169], v[42:43], v[24:25]
	v_mul_f64 v[24:25], v[44:45], v[24:25]
	v_fma_f64 v[226:227], v[4:5], v[18:19], v[228:229]
	v_fma_f64 v[228:229], v[2:3], v[18:19], -v[20:21]
	ds_load_b128 v[2:5], v1 offset:1504
	scratch_load_b128 v[18:21], off, off offset:768
	v_add_f64 v[48:49], v[48:49], v[220:221]
	v_add_f64 v[50:51], v[50:51], v[164:165]
	ds_load_b128 v[220:223], v1 offset:1520
	s_waitcnt vmcnt(9) lgkmcnt(1)
	v_mul_f64 v[164:165], v[2:3], v[28:29]
	v_mul_f64 v[28:29], v[4:5], v[28:29]
	v_fma_f64 v[44:45], v[44:45], v[22:23], v[168:169]
	v_fma_f64 v[42:43], v[42:43], v[22:23], -v[24:25]
	scratch_load_b128 v[22:25], off, off offset:784
	s_waitcnt vmcnt(9) lgkmcnt(0)
	v_mul_f64 v[168:169], v[220:221], v[32:33]
	v_mul_f64 v[32:33], v[222:223], v[32:33]
	v_add_f64 v[48:49], v[48:49], v[228:229]
	v_add_f64 v[50:51], v[50:51], v[226:227]
	v_fma_f64 v[164:165], v[4:5], v[26:27], v[164:165]
	v_fma_f64 v[226:227], v[2:3], v[26:27], -v[28:29]
	ds_load_b128 v[2:5], v1 offset:1536
	scratch_load_b128 v[26:29], off, off offset:800
	v_fma_f64 v[168:169], v[222:223], v[30:31], v[168:169]
	v_fma_f64 v[220:221], v[220:221], v[30:31], -v[32:33]
	scratch_load_b128 v[30:33], off, off offset:816
	v_add_f64 v[48:49], v[48:49], v[42:43]
	v_add_f64 v[50:51], v[50:51], v[44:45]
	ds_load_b128 v[42:45], v1 offset:1552
	s_waitcnt vmcnt(10) lgkmcnt(1)
	v_mul_f64 v[228:229], v[2:3], v[36:37]
	v_mul_f64 v[36:37], v[4:5], v[36:37]
	v_add_f64 v[48:49], v[48:49], v[226:227]
	v_add_f64 v[50:51], v[50:51], v[164:165]
	s_waitcnt vmcnt(8) lgkmcnt(0)
	v_mul_f64 v[164:165], v[42:43], v[173:174]
	v_mul_f64 v[173:174], v[44:45], v[173:174]
	v_fma_f64 v[226:227], v[4:5], v[34:35], v[228:229]
	v_fma_f64 v[228:229], v[2:3], v[34:35], -v[36:37]
	ds_load_b128 v[2:5], v1 offset:1568
	scratch_load_b128 v[34:37], off, off offset:832
	v_add_f64 v[48:49], v[48:49], v[220:221]
	v_add_f64 v[50:51], v[50:51], v[168:169]
	ds_load_b128 v[220:223], v1 offset:1584
	v_fma_f64 v[44:45], v[44:45], v[171:172], v[164:165]
	v_fma_f64 v[164:165], v[42:43], v[171:172], -v[173:174]
	s_waitcnt vmcnt(8) lgkmcnt(1)
	v_mul_f64 v[168:169], v[2:3], v[40:41]
	v_mul_f64 v[230:231], v[4:5], v[40:41]
	scratch_load_b128 v[40:43], off, off offset:848
	v_add_f64 v[48:49], v[48:49], v[228:229]
	v_add_f64 v[50:51], v[50:51], v[226:227]
	s_waitcnt vmcnt(8) lgkmcnt(0)
	v_mul_f64 v[226:227], v[220:221], v[8:9]
	v_mul_f64 v[8:9], v[222:223], v[8:9]
	v_fma_f64 v[168:169], v[4:5], v[38:39], v[168:169]
	v_fma_f64 v[38:39], v[2:3], v[38:39], -v[230:231]
	ds_load_b128 v[2:5], v1 offset:1600
	ds_load_b128 v[171:174], v1 offset:1616
	v_add_f64 v[48:49], v[48:49], v[164:165]
	v_add_f64 v[44:45], v[50:51], v[44:45]
	v_fma_f64 v[164:165], v[222:223], v[6:7], v[226:227]
	s_waitcnt vmcnt(7) lgkmcnt(1)
	v_mul_f64 v[50:51], v[2:3], v[12:13]
	v_mul_f64 v[12:13], v[4:5], v[12:13]
	v_fma_f64 v[6:7], v[220:221], v[6:7], -v[8:9]
	v_add_f64 v[8:9], v[48:49], v[38:39]
	v_add_f64 v[38:39], v[44:45], v[168:169]
	s_waitcnt vmcnt(6) lgkmcnt(0)
	v_mul_f64 v[44:45], v[171:172], v[16:17]
	v_mul_f64 v[16:17], v[173:174], v[16:17]
	v_fma_f64 v[48:49], v[4:5], v[10:11], v[50:51]
	v_fma_f64 v[10:11], v[2:3], v[10:11], -v[12:13]
	v_add_f64 v[12:13], v[8:9], v[6:7]
	v_add_f64 v[38:39], v[38:39], v[164:165]
	ds_load_b128 v[2:5], v1 offset:1632
	ds_load_b128 v[6:9], v1 offset:1648
	v_fma_f64 v[44:45], v[173:174], v[14:15], v[44:45]
	v_fma_f64 v[14:15], v[171:172], v[14:15], -v[16:17]
	s_waitcnt vmcnt(5) lgkmcnt(1)
	v_mul_f64 v[50:51], v[2:3], v[20:21]
	v_mul_f64 v[20:21], v[4:5], v[20:21]
	s_waitcnt vmcnt(4) lgkmcnt(0)
	v_mul_f64 v[16:17], v[6:7], v[24:25]
	v_mul_f64 v[24:25], v[8:9], v[24:25]
	v_add_f64 v[10:11], v[12:13], v[10:11]
	v_add_f64 v[12:13], v[38:39], v[48:49]
	v_fma_f64 v[38:39], v[4:5], v[18:19], v[50:51]
	v_fma_f64 v[18:19], v[2:3], v[18:19], -v[20:21]
	v_fma_f64 v[8:9], v[8:9], v[22:23], v[16:17]
	v_fma_f64 v[6:7], v[6:7], v[22:23], -v[24:25]
	v_add_f64 v[14:15], v[10:11], v[14:15]
	v_add_f64 v[20:21], v[12:13], v[44:45]
	ds_load_b128 v[2:5], v1 offset:1664
	ds_load_b128 v[10:13], v1 offset:1680
	s_waitcnt vmcnt(3) lgkmcnt(1)
	v_mul_f64 v[44:45], v[2:3], v[28:29]
	v_mul_f64 v[28:29], v[4:5], v[28:29]
	v_add_f64 v[14:15], v[14:15], v[18:19]
	v_add_f64 v[16:17], v[20:21], v[38:39]
	s_waitcnt vmcnt(2) lgkmcnt(0)
	v_mul_f64 v[18:19], v[10:11], v[32:33]
	v_mul_f64 v[20:21], v[12:13], v[32:33]
	v_fma_f64 v[22:23], v[4:5], v[26:27], v[44:45]
	v_fma_f64 v[24:25], v[2:3], v[26:27], -v[28:29]
	v_add_f64 v[14:15], v[14:15], v[6:7]
	v_add_f64 v[16:17], v[16:17], v[8:9]
	ds_load_b128 v[2:5], v1 offset:1696
	ds_load_b128 v[6:9], v1 offset:1712
	v_fma_f64 v[12:13], v[12:13], v[30:31], v[18:19]
	v_fma_f64 v[10:11], v[10:11], v[30:31], -v[20:21]
	s_waitcnt vmcnt(1) lgkmcnt(1)
	v_mul_f64 v[26:27], v[2:3], v[36:37]
	v_mul_f64 v[28:29], v[4:5], v[36:37]
	s_waitcnt vmcnt(0) lgkmcnt(0)
	v_mul_f64 v[18:19], v[6:7], v[42:43]
	v_add_f64 v[14:15], v[14:15], v[24:25]
	v_add_f64 v[16:17], v[16:17], v[22:23]
	v_mul_f64 v[20:21], v[8:9], v[42:43]
	v_fma_f64 v[4:5], v[4:5], v[34:35], v[26:27]
	v_fma_f64 v[1:2], v[2:3], v[34:35], -v[28:29]
	v_fma_f64 v[8:9], v[8:9], v[40:41], v[18:19]
	v_add_f64 v[10:11], v[14:15], v[10:11]
	v_add_f64 v[12:13], v[16:17], v[12:13]
	v_fma_f64 v[6:7], v[6:7], v[40:41], -v[20:21]
	s_delay_alu instid0(VALU_DEP_3) | instskip(NEXT) | instid1(VALU_DEP_3)
	v_add_f64 v[1:2], v[10:11], v[1:2]
	v_add_f64 v[3:4], v[12:13], v[4:5]
	s_delay_alu instid0(VALU_DEP_2) | instskip(NEXT) | instid1(VALU_DEP_2)
	v_add_f64 v[1:2], v[1:2], v[6:7]
	v_add_f64 v[3:4], v[3:4], v[8:9]
	s_delay_alu instid0(VALU_DEP_2) | instskip(NEXT) | instid1(VALU_DEP_2)
	v_add_f64 v[1:2], v[157:158], -v[1:2]
	v_add_f64 v[3:4], v[159:160], -v[3:4]
	scratch_store_b128 off, v[1:4], off offset:528
	v_cmpx_lt_u32_e32 32, v154
	s_cbranch_execz .LBB117_273
; %bb.272:
	scratch_load_b128 v[1:4], v176, off
	v_mov_b32_e32 v5, 0
	s_delay_alu instid0(VALU_DEP_1)
	v_mov_b32_e32 v6, v5
	v_mov_b32_e32 v7, v5
	;; [unrolled: 1-line block ×3, first 2 shown]
	scratch_store_b128 off, v[5:8], off offset:512
	s_waitcnt vmcnt(0)
	ds_store_b128 v208, v[1:4]
.LBB117_273:
	s_or_b32 exec_lo, exec_lo, s2
	s_waitcnt lgkmcnt(0)
	s_waitcnt_vscnt null, 0x0
	s_barrier
	buffer_gl0_inv
	s_clause 0x7
	scratch_load_b128 v[2:5], off, off offset:528
	scratch_load_b128 v[6:9], off, off offset:544
	;; [unrolled: 1-line block ×8, first 2 shown]
	v_mov_b32_e32 v1, 0
	s_mov_b32 s2, exec_lo
	ds_load_b128 v[34:37], v1 offset:1392
	s_clause 0x1
	scratch_load_b128 v[38:41], off, off offset:656
	scratch_load_b128 v[42:45], off, off offset:512
	ds_load_b128 v[157:160], v1 offset:1408
	scratch_load_b128 v[171:174], off, off offset:672
	ds_load_b128 v[220:223], v1 offset:1440
	s_waitcnt vmcnt(10) lgkmcnt(2)
	v_mul_f64 v[48:49], v[36:37], v[4:5]
	v_mul_f64 v[4:5], v[34:35], v[4:5]
	s_delay_alu instid0(VALU_DEP_2) | instskip(NEXT) | instid1(VALU_DEP_2)
	v_fma_f64 v[48:49], v[34:35], v[2:3], -v[48:49]
	v_fma_f64 v[164:165], v[36:37], v[2:3], v[4:5]
	ds_load_b128 v[2:5], v1 offset:1424
	s_waitcnt vmcnt(9) lgkmcnt(2)
	v_mul_f64 v[50:51], v[157:158], v[8:9]
	v_mul_f64 v[8:9], v[159:160], v[8:9]
	scratch_load_b128 v[34:37], off, off offset:688
	s_waitcnt vmcnt(9) lgkmcnt(0)
	v_mul_f64 v[168:169], v[2:3], v[12:13]
	v_mul_f64 v[12:13], v[4:5], v[12:13]
	v_add_f64 v[48:49], v[48:49], 0
	v_fma_f64 v[50:51], v[159:160], v[6:7], v[50:51]
	v_fma_f64 v[157:158], v[157:158], v[6:7], -v[8:9]
	v_add_f64 v[159:160], v[164:165], 0
	scratch_load_b128 v[6:9], off, off offset:704
	v_fma_f64 v[168:169], v[4:5], v[10:11], v[168:169]
	v_fma_f64 v[226:227], v[2:3], v[10:11], -v[12:13]
	scratch_load_b128 v[10:13], off, off offset:720
	ds_load_b128 v[2:5], v1 offset:1456
	s_waitcnt vmcnt(10)
	v_mul_f64 v[164:165], v[220:221], v[16:17]
	v_mul_f64 v[16:17], v[222:223], v[16:17]
	v_add_f64 v[48:49], v[48:49], v[157:158]
	v_add_f64 v[50:51], v[159:160], v[50:51]
	ds_load_b128 v[157:160], v1 offset:1472
	s_waitcnt vmcnt(9) lgkmcnt(1)
	v_mul_f64 v[228:229], v[2:3], v[20:21]
	v_mul_f64 v[20:21], v[4:5], v[20:21]
	v_fma_f64 v[164:165], v[222:223], v[14:15], v[164:165]
	v_fma_f64 v[220:221], v[220:221], v[14:15], -v[16:17]
	scratch_load_b128 v[14:17], off, off offset:736
	v_add_f64 v[48:49], v[48:49], v[226:227]
	v_add_f64 v[50:51], v[50:51], v[168:169]
	v_fma_f64 v[226:227], v[4:5], v[18:19], v[228:229]
	v_fma_f64 v[228:229], v[2:3], v[18:19], -v[20:21]
	scratch_load_b128 v[18:21], off, off offset:752
	ds_load_b128 v[2:5], v1 offset:1488
	s_waitcnt vmcnt(10) lgkmcnt(1)
	v_mul_f64 v[168:169], v[157:158], v[24:25]
	v_mul_f64 v[24:25], v[159:160], v[24:25]
	v_add_f64 v[48:49], v[48:49], v[220:221]
	v_add_f64 v[50:51], v[50:51], v[164:165]
	s_waitcnt vmcnt(9) lgkmcnt(0)
	v_mul_f64 v[164:165], v[2:3], v[28:29]
	v_mul_f64 v[28:29], v[4:5], v[28:29]
	ds_load_b128 v[220:223], v1 offset:1504
	v_fma_f64 v[159:160], v[159:160], v[22:23], v[168:169]
	v_fma_f64 v[157:158], v[157:158], v[22:23], -v[24:25]
	scratch_load_b128 v[22:25], off, off offset:768
	v_add_f64 v[48:49], v[48:49], v[228:229]
	v_add_f64 v[50:51], v[50:51], v[226:227]
	v_fma_f64 v[164:165], v[4:5], v[26:27], v[164:165]
	v_fma_f64 v[226:227], v[2:3], v[26:27], -v[28:29]
	scratch_load_b128 v[26:29], off, off offset:784
	ds_load_b128 v[2:5], v1 offset:1520
	s_waitcnt vmcnt(10) lgkmcnt(1)
	v_mul_f64 v[168:169], v[220:221], v[32:33]
	v_mul_f64 v[32:33], v[222:223], v[32:33]
	s_waitcnt vmcnt(9) lgkmcnt(0)
	v_mul_f64 v[228:229], v[2:3], v[40:41]
	v_mul_f64 v[40:41], v[4:5], v[40:41]
	v_add_f64 v[48:49], v[48:49], v[157:158]
	v_add_f64 v[50:51], v[50:51], v[159:160]
	ds_load_b128 v[157:160], v1 offset:1536
	v_fma_f64 v[168:169], v[222:223], v[30:31], v[168:169]
	v_fma_f64 v[220:221], v[220:221], v[30:31], -v[32:33]
	scratch_load_b128 v[30:33], off, off offset:800
	v_add_f64 v[48:49], v[48:49], v[226:227]
	v_add_f64 v[50:51], v[50:51], v[164:165]
	v_fma_f64 v[226:227], v[4:5], v[38:39], v[228:229]
	v_fma_f64 v[228:229], v[2:3], v[38:39], -v[40:41]
	scratch_load_b128 v[38:41], off, off offset:816
	ds_load_b128 v[2:5], v1 offset:1552
	s_waitcnt vmcnt(9) lgkmcnt(1)
	v_mul_f64 v[164:165], v[157:158], v[173:174]
	v_mul_f64 v[173:174], v[159:160], v[173:174]
	v_add_f64 v[48:49], v[48:49], v[220:221]
	v_add_f64 v[50:51], v[50:51], v[168:169]
	ds_load_b128 v[220:223], v1 offset:1568
	v_fma_f64 v[164:165], v[159:160], v[171:172], v[164:165]
	v_fma_f64 v[171:172], v[157:158], v[171:172], -v[173:174]
	scratch_load_b128 v[157:160], off, off offset:832
	s_waitcnt vmcnt(9) lgkmcnt(1)
	v_mul_f64 v[168:169], v[2:3], v[36:37]
	v_mul_f64 v[36:37], v[4:5], v[36:37]
	v_add_f64 v[48:49], v[48:49], v[228:229]
	v_add_f64 v[50:51], v[50:51], v[226:227]
	s_delay_alu instid0(VALU_DEP_4) | instskip(NEXT) | instid1(VALU_DEP_4)
	v_fma_f64 v[168:169], v[4:5], v[34:35], v[168:169]
	v_fma_f64 v[228:229], v[2:3], v[34:35], -v[36:37]
	scratch_load_b128 v[34:37], off, off offset:848
	ds_load_b128 v[2:5], v1 offset:1584
	s_waitcnt vmcnt(9) lgkmcnt(1)
	v_mul_f64 v[226:227], v[220:221], v[8:9]
	v_mul_f64 v[8:9], v[222:223], v[8:9]
	v_add_f64 v[48:49], v[48:49], v[171:172]
	v_add_f64 v[50:51], v[50:51], v[164:165]
	s_waitcnt vmcnt(8) lgkmcnt(0)
	v_mul_f64 v[164:165], v[2:3], v[12:13]
	v_mul_f64 v[12:13], v[4:5], v[12:13]
	ds_load_b128 v[171:174], v1 offset:1600
	v_fma_f64 v[222:223], v[222:223], v[6:7], v[226:227]
	v_fma_f64 v[6:7], v[220:221], v[6:7], -v[8:9]
	v_add_f64 v[8:9], v[48:49], v[228:229]
	v_add_f64 v[48:49], v[50:51], v[168:169]
	s_waitcnt vmcnt(7) lgkmcnt(0)
	v_mul_f64 v[50:51], v[171:172], v[16:17]
	v_mul_f64 v[16:17], v[173:174], v[16:17]
	v_fma_f64 v[164:165], v[4:5], v[10:11], v[164:165]
	v_fma_f64 v[10:11], v[2:3], v[10:11], -v[12:13]
	v_add_f64 v[12:13], v[8:9], v[6:7]
	v_add_f64 v[48:49], v[48:49], v[222:223]
	ds_load_b128 v[2:5], v1 offset:1616
	ds_load_b128 v[6:9], v1 offset:1632
	v_fma_f64 v[50:51], v[173:174], v[14:15], v[50:51]
	v_fma_f64 v[14:15], v[171:172], v[14:15], -v[16:17]
	s_waitcnt vmcnt(6) lgkmcnt(1)
	v_mul_f64 v[168:169], v[2:3], v[20:21]
	v_mul_f64 v[20:21], v[4:5], v[20:21]
	s_waitcnt vmcnt(5) lgkmcnt(0)
	v_mul_f64 v[16:17], v[6:7], v[24:25]
	v_mul_f64 v[24:25], v[8:9], v[24:25]
	v_add_f64 v[10:11], v[12:13], v[10:11]
	v_add_f64 v[12:13], v[48:49], v[164:165]
	v_fma_f64 v[48:49], v[4:5], v[18:19], v[168:169]
	v_fma_f64 v[18:19], v[2:3], v[18:19], -v[20:21]
	v_fma_f64 v[8:9], v[8:9], v[22:23], v[16:17]
	v_fma_f64 v[6:7], v[6:7], v[22:23], -v[24:25]
	v_add_f64 v[14:15], v[10:11], v[14:15]
	v_add_f64 v[20:21], v[12:13], v[50:51]
	ds_load_b128 v[2:5], v1 offset:1648
	ds_load_b128 v[10:13], v1 offset:1664
	s_waitcnt vmcnt(4) lgkmcnt(1)
	v_mul_f64 v[50:51], v[2:3], v[28:29]
	v_mul_f64 v[28:29], v[4:5], v[28:29]
	v_add_f64 v[14:15], v[14:15], v[18:19]
	v_add_f64 v[16:17], v[20:21], v[48:49]
	s_waitcnt vmcnt(3) lgkmcnt(0)
	v_mul_f64 v[18:19], v[10:11], v[32:33]
	v_mul_f64 v[20:21], v[12:13], v[32:33]
	v_fma_f64 v[22:23], v[4:5], v[26:27], v[50:51]
	v_fma_f64 v[24:25], v[2:3], v[26:27], -v[28:29]
	v_add_f64 v[14:15], v[14:15], v[6:7]
	v_add_f64 v[16:17], v[16:17], v[8:9]
	ds_load_b128 v[2:5], v1 offset:1680
	ds_load_b128 v[6:9], v1 offset:1696
	v_fma_f64 v[12:13], v[12:13], v[30:31], v[18:19]
	v_fma_f64 v[10:11], v[10:11], v[30:31], -v[20:21]
	s_waitcnt vmcnt(2) lgkmcnt(1)
	v_mul_f64 v[26:27], v[2:3], v[40:41]
	v_mul_f64 v[28:29], v[4:5], v[40:41]
	s_waitcnt vmcnt(1) lgkmcnt(0)
	v_mul_f64 v[18:19], v[6:7], v[159:160]
	v_mul_f64 v[20:21], v[8:9], v[159:160]
	v_add_f64 v[14:15], v[14:15], v[24:25]
	v_add_f64 v[16:17], v[16:17], v[22:23]
	v_fma_f64 v[22:23], v[4:5], v[38:39], v[26:27]
	v_fma_f64 v[24:25], v[2:3], v[38:39], -v[28:29]
	ds_load_b128 v[2:5], v1 offset:1712
	v_fma_f64 v[8:9], v[8:9], v[157:158], v[18:19]
	v_fma_f64 v[6:7], v[6:7], v[157:158], -v[20:21]
	v_add_f64 v[10:11], v[14:15], v[10:11]
	v_add_f64 v[12:13], v[16:17], v[12:13]
	s_waitcnt vmcnt(0) lgkmcnt(0)
	v_mul_f64 v[14:15], v[2:3], v[36:37]
	v_mul_f64 v[16:17], v[4:5], v[36:37]
	s_delay_alu instid0(VALU_DEP_4) | instskip(NEXT) | instid1(VALU_DEP_4)
	v_add_f64 v[10:11], v[10:11], v[24:25]
	v_add_f64 v[12:13], v[12:13], v[22:23]
	s_delay_alu instid0(VALU_DEP_4) | instskip(NEXT) | instid1(VALU_DEP_4)
	v_fma_f64 v[4:5], v[4:5], v[34:35], v[14:15]
	v_fma_f64 v[2:3], v[2:3], v[34:35], -v[16:17]
	s_delay_alu instid0(VALU_DEP_4) | instskip(NEXT) | instid1(VALU_DEP_4)
	v_add_f64 v[6:7], v[10:11], v[6:7]
	v_add_f64 v[8:9], v[12:13], v[8:9]
	s_delay_alu instid0(VALU_DEP_2) | instskip(NEXT) | instid1(VALU_DEP_2)
	v_add_f64 v[2:3], v[6:7], v[2:3]
	v_add_f64 v[4:5], v[8:9], v[4:5]
	s_delay_alu instid0(VALU_DEP_2) | instskip(NEXT) | instid1(VALU_DEP_2)
	v_add_f64 v[2:3], v[42:43], -v[2:3]
	v_add_f64 v[4:5], v[44:45], -v[4:5]
	scratch_store_b128 off, v[2:5], off offset:512
	v_cmpx_lt_u32_e32 31, v154
	s_cbranch_execz .LBB117_275
; %bb.274:
	scratch_load_b128 v[5:8], v177, off
	v_mov_b32_e32 v2, v1
	v_mov_b32_e32 v3, v1
	;; [unrolled: 1-line block ×3, first 2 shown]
	scratch_store_b128 off, v[1:4], off offset:496
	s_waitcnt vmcnt(0)
	ds_store_b128 v208, v[5:8]
.LBB117_275:
	s_or_b32 exec_lo, exec_lo, s2
	s_waitcnt lgkmcnt(0)
	s_waitcnt_vscnt null, 0x0
	s_barrier
	buffer_gl0_inv
	s_clause 0x8
	scratch_load_b128 v[2:5], off, off offset:512
	scratch_load_b128 v[6:9], off, off offset:528
	;; [unrolled: 1-line block ×9, first 2 shown]
	ds_load_b128 v[38:41], v1 offset:1376
	ds_load_b128 v[42:45], v1 offset:1392
	s_clause 0x1
	scratch_load_b128 v[157:160], off, off offset:496
	scratch_load_b128 v[171:174], off, off offset:656
	s_mov_b32 s2, exec_lo
	ds_load_b128 v[220:223], v1 offset:1424
	s_waitcnt vmcnt(10) lgkmcnt(2)
	v_mul_f64 v[48:49], v[40:41], v[4:5]
	v_mul_f64 v[4:5], v[38:39], v[4:5]
	s_waitcnt vmcnt(9) lgkmcnt(1)
	v_mul_f64 v[50:51], v[42:43], v[8:9]
	v_mul_f64 v[8:9], v[44:45], v[8:9]
	s_delay_alu instid0(VALU_DEP_4) | instskip(NEXT) | instid1(VALU_DEP_4)
	v_fma_f64 v[48:49], v[38:39], v[2:3], -v[48:49]
	v_fma_f64 v[164:165], v[40:41], v[2:3], v[4:5]
	ds_load_b128 v[2:5], v1 offset:1408
	scratch_load_b128 v[38:41], off, off offset:672
	v_fma_f64 v[44:45], v[44:45], v[6:7], v[50:51]
	v_fma_f64 v[42:43], v[42:43], v[6:7], -v[8:9]
	scratch_load_b128 v[6:9], off, off offset:688
	s_waitcnt vmcnt(10) lgkmcnt(0)
	v_mul_f64 v[168:169], v[2:3], v[12:13]
	v_mul_f64 v[12:13], v[4:5], v[12:13]
	v_add_f64 v[48:49], v[48:49], 0
	v_add_f64 v[50:51], v[164:165], 0
	s_waitcnt vmcnt(9)
	v_mul_f64 v[164:165], v[220:221], v[16:17]
	v_mul_f64 v[16:17], v[222:223], v[16:17]
	v_fma_f64 v[168:169], v[4:5], v[10:11], v[168:169]
	v_fma_f64 v[226:227], v[2:3], v[10:11], -v[12:13]
	ds_load_b128 v[2:5], v1 offset:1440
	scratch_load_b128 v[10:13], off, off offset:704
	v_add_f64 v[48:49], v[48:49], v[42:43]
	v_add_f64 v[50:51], v[50:51], v[44:45]
	ds_load_b128 v[42:45], v1 offset:1456
	v_fma_f64 v[164:165], v[222:223], v[14:15], v[164:165]
	v_fma_f64 v[220:221], v[220:221], v[14:15], -v[16:17]
	scratch_load_b128 v[14:17], off, off offset:720
	s_waitcnt vmcnt(10) lgkmcnt(1)
	v_mul_f64 v[228:229], v[2:3], v[20:21]
	v_mul_f64 v[20:21], v[4:5], v[20:21]
	v_add_f64 v[48:49], v[48:49], v[226:227]
	v_add_f64 v[50:51], v[50:51], v[168:169]
	s_waitcnt vmcnt(9) lgkmcnt(0)
	v_mul_f64 v[168:169], v[42:43], v[24:25]
	v_mul_f64 v[24:25], v[44:45], v[24:25]
	v_fma_f64 v[226:227], v[4:5], v[18:19], v[228:229]
	v_fma_f64 v[228:229], v[2:3], v[18:19], -v[20:21]
	ds_load_b128 v[2:5], v1 offset:1472
	scratch_load_b128 v[18:21], off, off offset:736
	v_add_f64 v[48:49], v[48:49], v[220:221]
	v_add_f64 v[50:51], v[50:51], v[164:165]
	ds_load_b128 v[220:223], v1 offset:1488
	s_waitcnt vmcnt(9) lgkmcnt(1)
	v_mul_f64 v[164:165], v[2:3], v[28:29]
	v_mul_f64 v[28:29], v[4:5], v[28:29]
	v_fma_f64 v[44:45], v[44:45], v[22:23], v[168:169]
	v_fma_f64 v[42:43], v[42:43], v[22:23], -v[24:25]
	scratch_load_b128 v[22:25], off, off offset:752
	s_waitcnt vmcnt(9) lgkmcnt(0)
	v_mul_f64 v[168:169], v[220:221], v[32:33]
	v_mul_f64 v[32:33], v[222:223], v[32:33]
	v_add_f64 v[48:49], v[48:49], v[228:229]
	v_add_f64 v[50:51], v[50:51], v[226:227]
	v_fma_f64 v[164:165], v[4:5], v[26:27], v[164:165]
	v_fma_f64 v[226:227], v[2:3], v[26:27], -v[28:29]
	ds_load_b128 v[2:5], v1 offset:1504
	scratch_load_b128 v[26:29], off, off offset:768
	v_fma_f64 v[168:169], v[222:223], v[30:31], v[168:169]
	v_fma_f64 v[220:221], v[220:221], v[30:31], -v[32:33]
	scratch_load_b128 v[30:33], off, off offset:784
	v_add_f64 v[48:49], v[48:49], v[42:43]
	v_add_f64 v[50:51], v[50:51], v[44:45]
	ds_load_b128 v[42:45], v1 offset:1520
	s_waitcnt vmcnt(10) lgkmcnt(1)
	v_mul_f64 v[228:229], v[2:3], v[36:37]
	v_mul_f64 v[36:37], v[4:5], v[36:37]
	v_add_f64 v[48:49], v[48:49], v[226:227]
	v_add_f64 v[50:51], v[50:51], v[164:165]
	s_waitcnt vmcnt(8) lgkmcnt(0)
	v_mul_f64 v[164:165], v[42:43], v[173:174]
	v_mul_f64 v[173:174], v[44:45], v[173:174]
	v_fma_f64 v[226:227], v[4:5], v[34:35], v[228:229]
	v_fma_f64 v[228:229], v[2:3], v[34:35], -v[36:37]
	ds_load_b128 v[2:5], v1 offset:1536
	scratch_load_b128 v[34:37], off, off offset:800
	v_add_f64 v[48:49], v[48:49], v[220:221]
	v_add_f64 v[50:51], v[50:51], v[168:169]
	ds_load_b128 v[220:223], v1 offset:1552
	v_fma_f64 v[44:45], v[44:45], v[171:172], v[164:165]
	v_fma_f64 v[164:165], v[42:43], v[171:172], -v[173:174]
	scratch_load_b128 v[171:174], off, off offset:832
	s_waitcnt vmcnt(9) lgkmcnt(1)
	v_mul_f64 v[168:169], v[2:3], v[40:41]
	v_mul_f64 v[230:231], v[4:5], v[40:41]
	scratch_load_b128 v[40:43], off, off offset:816
	s_waitcnt vmcnt(9) lgkmcnt(0)
	v_mul_f64 v[232:233], v[220:221], v[8:9]
	v_mul_f64 v[8:9], v[222:223], v[8:9]
	v_add_f64 v[48:49], v[48:49], v[228:229]
	v_add_f64 v[50:51], v[50:51], v[226:227]
	ds_load_b128 v[226:229], v1 offset:1584
	v_fma_f64 v[168:169], v[4:5], v[38:39], v[168:169]
	v_fma_f64 v[38:39], v[2:3], v[38:39], -v[230:231]
	ds_load_b128 v[2:5], v1 offset:1568
	v_fma_f64 v[220:221], v[220:221], v[6:7], -v[8:9]
	v_add_f64 v[48:49], v[48:49], v[164:165]
	v_add_f64 v[44:45], v[50:51], v[44:45]
	v_fma_f64 v[164:165], v[222:223], v[6:7], v[232:233]
	s_waitcnt vmcnt(8) lgkmcnt(0)
	v_mul_f64 v[50:51], v[2:3], v[12:13]
	v_mul_f64 v[12:13], v[4:5], v[12:13]
	scratch_load_b128 v[6:9], off, off offset:848
	v_add_f64 v[38:39], v[48:49], v[38:39]
	v_add_f64 v[44:45], v[44:45], v[168:169]
	s_waitcnt vmcnt(8)
	v_mul_f64 v[48:49], v[226:227], v[16:17]
	v_mul_f64 v[16:17], v[228:229], v[16:17]
	v_fma_f64 v[50:51], v[4:5], v[10:11], v[50:51]
	v_fma_f64 v[168:169], v[2:3], v[10:11], -v[12:13]
	ds_load_b128 v[2:5], v1 offset:1600
	ds_load_b128 v[10:13], v1 offset:1616
	v_add_f64 v[38:39], v[38:39], v[220:221]
	v_add_f64 v[44:45], v[44:45], v[164:165]
	s_waitcnt vmcnt(7) lgkmcnt(1)
	v_mul_f64 v[164:165], v[2:3], v[20:21]
	v_mul_f64 v[20:21], v[4:5], v[20:21]
	v_fma_f64 v[48:49], v[228:229], v[14:15], v[48:49]
	v_fma_f64 v[14:15], v[226:227], v[14:15], -v[16:17]
	v_add_f64 v[16:17], v[38:39], v[168:169]
	v_add_f64 v[38:39], v[44:45], v[50:51]
	s_waitcnt vmcnt(6) lgkmcnt(0)
	v_mul_f64 v[44:45], v[10:11], v[24:25]
	v_mul_f64 v[24:25], v[12:13], v[24:25]
	v_fma_f64 v[50:51], v[4:5], v[18:19], v[164:165]
	v_fma_f64 v[18:19], v[2:3], v[18:19], -v[20:21]
	v_add_f64 v[20:21], v[16:17], v[14:15]
	v_add_f64 v[38:39], v[38:39], v[48:49]
	ds_load_b128 v[2:5], v1 offset:1632
	ds_load_b128 v[14:17], v1 offset:1648
	v_fma_f64 v[12:13], v[12:13], v[22:23], v[44:45]
	v_fma_f64 v[10:11], v[10:11], v[22:23], -v[24:25]
	s_waitcnt vmcnt(5) lgkmcnt(1)
	v_mul_f64 v[48:49], v[2:3], v[28:29]
	v_mul_f64 v[28:29], v[4:5], v[28:29]
	s_waitcnt vmcnt(4) lgkmcnt(0)
	v_mul_f64 v[22:23], v[14:15], v[32:33]
	v_mul_f64 v[24:25], v[16:17], v[32:33]
	v_add_f64 v[18:19], v[20:21], v[18:19]
	v_add_f64 v[20:21], v[38:39], v[50:51]
	v_fma_f64 v[32:33], v[4:5], v[26:27], v[48:49]
	v_fma_f64 v[26:27], v[2:3], v[26:27], -v[28:29]
	v_fma_f64 v[16:17], v[16:17], v[30:31], v[22:23]
	v_fma_f64 v[14:15], v[14:15], v[30:31], -v[24:25]
	v_add_f64 v[18:19], v[18:19], v[10:11]
	v_add_f64 v[20:21], v[20:21], v[12:13]
	ds_load_b128 v[2:5], v1 offset:1664
	ds_load_b128 v[10:13], v1 offset:1680
	s_waitcnt vmcnt(3) lgkmcnt(1)
	v_mul_f64 v[28:29], v[2:3], v[36:37]
	v_mul_f64 v[36:37], v[4:5], v[36:37]
	s_waitcnt vmcnt(1) lgkmcnt(0)
	v_mul_f64 v[22:23], v[10:11], v[42:43]
	v_add_f64 v[18:19], v[18:19], v[26:27]
	v_add_f64 v[20:21], v[20:21], v[32:33]
	v_mul_f64 v[24:25], v[12:13], v[42:43]
	v_fma_f64 v[26:27], v[4:5], v[34:35], v[28:29]
	v_fma_f64 v[28:29], v[2:3], v[34:35], -v[36:37]
	v_fma_f64 v[12:13], v[12:13], v[40:41], v[22:23]
	v_add_f64 v[18:19], v[18:19], v[14:15]
	v_add_f64 v[20:21], v[20:21], v[16:17]
	ds_load_b128 v[2:5], v1 offset:1696
	ds_load_b128 v[14:17], v1 offset:1712
	v_fma_f64 v[10:11], v[10:11], v[40:41], -v[24:25]
	s_waitcnt lgkmcnt(1)
	v_mul_f64 v[30:31], v[2:3], v[173:174]
	v_mul_f64 v[32:33], v[4:5], v[173:174]
	s_waitcnt vmcnt(0) lgkmcnt(0)
	v_mul_f64 v[22:23], v[14:15], v[8:9]
	v_mul_f64 v[8:9], v[16:17], v[8:9]
	v_add_f64 v[18:19], v[18:19], v[28:29]
	v_add_f64 v[20:21], v[20:21], v[26:27]
	v_fma_f64 v[4:5], v[4:5], v[171:172], v[30:31]
	v_fma_f64 v[1:2], v[2:3], v[171:172], -v[32:33]
	v_fma_f64 v[16:17], v[16:17], v[6:7], v[22:23]
	v_fma_f64 v[6:7], v[14:15], v[6:7], -v[8:9]
	v_add_f64 v[10:11], v[18:19], v[10:11]
	v_add_f64 v[12:13], v[20:21], v[12:13]
	s_delay_alu instid0(VALU_DEP_2) | instskip(NEXT) | instid1(VALU_DEP_2)
	v_add_f64 v[1:2], v[10:11], v[1:2]
	v_add_f64 v[3:4], v[12:13], v[4:5]
	s_delay_alu instid0(VALU_DEP_2) | instskip(NEXT) | instid1(VALU_DEP_2)
	;; [unrolled: 3-line block ×3, first 2 shown]
	v_add_f64 v[1:2], v[157:158], -v[1:2]
	v_add_f64 v[3:4], v[159:160], -v[3:4]
	scratch_store_b128 off, v[1:4], off offset:496
	v_cmpx_lt_u32_e32 30, v154
	s_cbranch_execz .LBB117_277
; %bb.276:
	scratch_load_b128 v[1:4], v178, off
	v_mov_b32_e32 v5, 0
	s_delay_alu instid0(VALU_DEP_1)
	v_mov_b32_e32 v6, v5
	v_mov_b32_e32 v7, v5
	v_mov_b32_e32 v8, v5
	scratch_store_b128 off, v[5:8], off offset:480
	s_waitcnt vmcnt(0)
	ds_store_b128 v208, v[1:4]
.LBB117_277:
	s_or_b32 exec_lo, exec_lo, s2
	s_waitcnt lgkmcnt(0)
	s_waitcnt_vscnt null, 0x0
	s_barrier
	buffer_gl0_inv
	s_clause 0x7
	scratch_load_b128 v[2:5], off, off offset:496
	scratch_load_b128 v[6:9], off, off offset:512
	;; [unrolled: 1-line block ×8, first 2 shown]
	v_mov_b32_e32 v1, 0
	s_mov_b32 s2, exec_lo
	ds_load_b128 v[34:37], v1 offset:1360
	s_clause 0x1
	scratch_load_b128 v[38:41], off, off offset:624
	scratch_load_b128 v[42:45], off, off offset:480
	ds_load_b128 v[157:160], v1 offset:1376
	scratch_load_b128 v[171:174], off, off offset:640
	ds_load_b128 v[220:223], v1 offset:1408
	s_waitcnt vmcnt(10) lgkmcnt(2)
	v_mul_f64 v[48:49], v[36:37], v[4:5]
	v_mul_f64 v[4:5], v[34:35], v[4:5]
	s_delay_alu instid0(VALU_DEP_2) | instskip(NEXT) | instid1(VALU_DEP_2)
	v_fma_f64 v[48:49], v[34:35], v[2:3], -v[48:49]
	v_fma_f64 v[164:165], v[36:37], v[2:3], v[4:5]
	ds_load_b128 v[2:5], v1 offset:1392
	s_waitcnt vmcnt(9) lgkmcnt(2)
	v_mul_f64 v[50:51], v[157:158], v[8:9]
	v_mul_f64 v[8:9], v[159:160], v[8:9]
	scratch_load_b128 v[34:37], off, off offset:656
	s_waitcnt vmcnt(9) lgkmcnt(0)
	v_mul_f64 v[168:169], v[2:3], v[12:13]
	v_mul_f64 v[12:13], v[4:5], v[12:13]
	v_add_f64 v[48:49], v[48:49], 0
	v_fma_f64 v[50:51], v[159:160], v[6:7], v[50:51]
	v_fma_f64 v[157:158], v[157:158], v[6:7], -v[8:9]
	v_add_f64 v[159:160], v[164:165], 0
	scratch_load_b128 v[6:9], off, off offset:672
	v_fma_f64 v[168:169], v[4:5], v[10:11], v[168:169]
	v_fma_f64 v[226:227], v[2:3], v[10:11], -v[12:13]
	scratch_load_b128 v[10:13], off, off offset:688
	ds_load_b128 v[2:5], v1 offset:1424
	s_waitcnt vmcnt(10)
	v_mul_f64 v[164:165], v[220:221], v[16:17]
	v_mul_f64 v[16:17], v[222:223], v[16:17]
	v_add_f64 v[48:49], v[48:49], v[157:158]
	v_add_f64 v[50:51], v[159:160], v[50:51]
	ds_load_b128 v[157:160], v1 offset:1440
	s_waitcnt vmcnt(9) lgkmcnt(1)
	v_mul_f64 v[228:229], v[2:3], v[20:21]
	v_mul_f64 v[20:21], v[4:5], v[20:21]
	v_fma_f64 v[164:165], v[222:223], v[14:15], v[164:165]
	v_fma_f64 v[220:221], v[220:221], v[14:15], -v[16:17]
	scratch_load_b128 v[14:17], off, off offset:704
	v_add_f64 v[48:49], v[48:49], v[226:227]
	v_add_f64 v[50:51], v[50:51], v[168:169]
	v_fma_f64 v[226:227], v[4:5], v[18:19], v[228:229]
	v_fma_f64 v[228:229], v[2:3], v[18:19], -v[20:21]
	scratch_load_b128 v[18:21], off, off offset:720
	ds_load_b128 v[2:5], v1 offset:1456
	s_waitcnt vmcnt(10) lgkmcnt(1)
	v_mul_f64 v[168:169], v[157:158], v[24:25]
	v_mul_f64 v[24:25], v[159:160], v[24:25]
	v_add_f64 v[48:49], v[48:49], v[220:221]
	v_add_f64 v[50:51], v[50:51], v[164:165]
	s_waitcnt vmcnt(9) lgkmcnt(0)
	v_mul_f64 v[164:165], v[2:3], v[28:29]
	v_mul_f64 v[28:29], v[4:5], v[28:29]
	ds_load_b128 v[220:223], v1 offset:1472
	v_fma_f64 v[159:160], v[159:160], v[22:23], v[168:169]
	v_fma_f64 v[157:158], v[157:158], v[22:23], -v[24:25]
	scratch_load_b128 v[22:25], off, off offset:736
	v_add_f64 v[48:49], v[48:49], v[228:229]
	v_add_f64 v[50:51], v[50:51], v[226:227]
	v_fma_f64 v[164:165], v[4:5], v[26:27], v[164:165]
	v_fma_f64 v[226:227], v[2:3], v[26:27], -v[28:29]
	scratch_load_b128 v[26:29], off, off offset:752
	ds_load_b128 v[2:5], v1 offset:1488
	s_waitcnt vmcnt(10) lgkmcnt(1)
	v_mul_f64 v[168:169], v[220:221], v[32:33]
	v_mul_f64 v[32:33], v[222:223], v[32:33]
	s_waitcnt vmcnt(9) lgkmcnt(0)
	v_mul_f64 v[228:229], v[2:3], v[40:41]
	v_mul_f64 v[40:41], v[4:5], v[40:41]
	v_add_f64 v[48:49], v[48:49], v[157:158]
	v_add_f64 v[50:51], v[50:51], v[159:160]
	ds_load_b128 v[157:160], v1 offset:1504
	v_fma_f64 v[168:169], v[222:223], v[30:31], v[168:169]
	v_fma_f64 v[220:221], v[220:221], v[30:31], -v[32:33]
	scratch_load_b128 v[30:33], off, off offset:768
	v_add_f64 v[48:49], v[48:49], v[226:227]
	v_add_f64 v[50:51], v[50:51], v[164:165]
	v_fma_f64 v[226:227], v[4:5], v[38:39], v[228:229]
	v_fma_f64 v[228:229], v[2:3], v[38:39], -v[40:41]
	scratch_load_b128 v[38:41], off, off offset:784
	ds_load_b128 v[2:5], v1 offset:1520
	s_waitcnt vmcnt(9) lgkmcnt(1)
	v_mul_f64 v[164:165], v[157:158], v[173:174]
	v_mul_f64 v[173:174], v[159:160], v[173:174]
	v_add_f64 v[48:49], v[48:49], v[220:221]
	v_add_f64 v[50:51], v[50:51], v[168:169]
	ds_load_b128 v[220:223], v1 offset:1536
	v_fma_f64 v[164:165], v[159:160], v[171:172], v[164:165]
	v_fma_f64 v[171:172], v[157:158], v[171:172], -v[173:174]
	scratch_load_b128 v[157:160], off, off offset:800
	s_waitcnt vmcnt(9) lgkmcnt(1)
	v_mul_f64 v[168:169], v[2:3], v[36:37]
	v_mul_f64 v[36:37], v[4:5], v[36:37]
	v_add_f64 v[48:49], v[48:49], v[228:229]
	v_add_f64 v[50:51], v[50:51], v[226:227]
	s_delay_alu instid0(VALU_DEP_4) | instskip(NEXT) | instid1(VALU_DEP_4)
	v_fma_f64 v[168:169], v[4:5], v[34:35], v[168:169]
	v_fma_f64 v[228:229], v[2:3], v[34:35], -v[36:37]
	scratch_load_b128 v[34:37], off, off offset:816
	ds_load_b128 v[2:5], v1 offset:1552
	s_waitcnt vmcnt(9) lgkmcnt(1)
	v_mul_f64 v[226:227], v[220:221], v[8:9]
	v_mul_f64 v[8:9], v[222:223], v[8:9]
	v_add_f64 v[48:49], v[48:49], v[171:172]
	v_add_f64 v[50:51], v[50:51], v[164:165]
	s_waitcnt vmcnt(8) lgkmcnt(0)
	v_mul_f64 v[164:165], v[2:3], v[12:13]
	v_mul_f64 v[12:13], v[4:5], v[12:13]
	ds_load_b128 v[171:174], v1 offset:1568
	v_fma_f64 v[222:223], v[222:223], v[6:7], v[226:227]
	v_fma_f64 v[220:221], v[220:221], v[6:7], -v[8:9]
	scratch_load_b128 v[6:9], off, off offset:832
	v_add_f64 v[48:49], v[48:49], v[228:229]
	v_add_f64 v[50:51], v[50:51], v[168:169]
	v_fma_f64 v[164:165], v[4:5], v[10:11], v[164:165]
	v_fma_f64 v[226:227], v[2:3], v[10:11], -v[12:13]
	scratch_load_b128 v[10:13], off, off offset:848
	ds_load_b128 v[2:5], v1 offset:1584
	s_waitcnt vmcnt(9) lgkmcnt(1)
	v_mul_f64 v[168:169], v[171:172], v[16:17]
	v_mul_f64 v[16:17], v[173:174], v[16:17]
	s_waitcnt vmcnt(8) lgkmcnt(0)
	v_mul_f64 v[228:229], v[2:3], v[20:21]
	v_mul_f64 v[20:21], v[4:5], v[20:21]
	v_add_f64 v[48:49], v[48:49], v[220:221]
	v_add_f64 v[50:51], v[50:51], v[222:223]
	ds_load_b128 v[220:223], v1 offset:1600
	v_fma_f64 v[168:169], v[173:174], v[14:15], v[168:169]
	v_fma_f64 v[14:15], v[171:172], v[14:15], -v[16:17]
	v_add_f64 v[16:17], v[48:49], v[226:227]
	v_add_f64 v[48:49], v[50:51], v[164:165]
	s_waitcnt vmcnt(7) lgkmcnt(0)
	v_mul_f64 v[50:51], v[220:221], v[24:25]
	v_mul_f64 v[24:25], v[222:223], v[24:25]
	v_fma_f64 v[164:165], v[4:5], v[18:19], v[228:229]
	v_fma_f64 v[18:19], v[2:3], v[18:19], -v[20:21]
	v_add_f64 v[20:21], v[16:17], v[14:15]
	v_add_f64 v[48:49], v[48:49], v[168:169]
	ds_load_b128 v[2:5], v1 offset:1616
	ds_load_b128 v[14:17], v1 offset:1632
	v_fma_f64 v[50:51], v[222:223], v[22:23], v[50:51]
	v_fma_f64 v[22:23], v[220:221], v[22:23], -v[24:25]
	s_waitcnt vmcnt(6) lgkmcnt(1)
	v_mul_f64 v[168:169], v[2:3], v[28:29]
	v_mul_f64 v[28:29], v[4:5], v[28:29]
	s_waitcnt vmcnt(5) lgkmcnt(0)
	v_mul_f64 v[24:25], v[14:15], v[32:33]
	v_mul_f64 v[32:33], v[16:17], v[32:33]
	v_add_f64 v[18:19], v[20:21], v[18:19]
	v_add_f64 v[20:21], v[48:49], v[164:165]
	v_fma_f64 v[48:49], v[4:5], v[26:27], v[168:169]
	v_fma_f64 v[26:27], v[2:3], v[26:27], -v[28:29]
	v_fma_f64 v[16:17], v[16:17], v[30:31], v[24:25]
	v_fma_f64 v[14:15], v[14:15], v[30:31], -v[32:33]
	v_add_f64 v[22:23], v[18:19], v[22:23]
	v_add_f64 v[28:29], v[20:21], v[50:51]
	ds_load_b128 v[2:5], v1 offset:1648
	ds_load_b128 v[18:21], v1 offset:1664
	s_waitcnt vmcnt(4) lgkmcnt(1)
	v_mul_f64 v[50:51], v[2:3], v[40:41]
	v_mul_f64 v[40:41], v[4:5], v[40:41]
	v_add_f64 v[22:23], v[22:23], v[26:27]
	v_add_f64 v[24:25], v[28:29], v[48:49]
	s_waitcnt vmcnt(3) lgkmcnt(0)
	v_mul_f64 v[26:27], v[18:19], v[159:160]
	v_mul_f64 v[28:29], v[20:21], v[159:160]
	v_fma_f64 v[30:31], v[4:5], v[38:39], v[50:51]
	v_fma_f64 v[32:33], v[2:3], v[38:39], -v[40:41]
	v_add_f64 v[22:23], v[22:23], v[14:15]
	v_add_f64 v[24:25], v[24:25], v[16:17]
	ds_load_b128 v[2:5], v1 offset:1680
	ds_load_b128 v[14:17], v1 offset:1696
	v_fma_f64 v[20:21], v[20:21], v[157:158], v[26:27]
	v_fma_f64 v[18:19], v[18:19], v[157:158], -v[28:29]
	s_waitcnt vmcnt(2) lgkmcnt(1)
	v_mul_f64 v[38:39], v[2:3], v[36:37]
	v_mul_f64 v[36:37], v[4:5], v[36:37]
	v_add_f64 v[22:23], v[22:23], v[32:33]
	v_add_f64 v[24:25], v[24:25], v[30:31]
	s_waitcnt vmcnt(1) lgkmcnt(0)
	v_mul_f64 v[26:27], v[14:15], v[8:9]
	v_mul_f64 v[8:9], v[16:17], v[8:9]
	v_fma_f64 v[28:29], v[4:5], v[34:35], v[38:39]
	v_fma_f64 v[30:31], v[2:3], v[34:35], -v[36:37]
	ds_load_b128 v[2:5], v1 offset:1712
	v_add_f64 v[18:19], v[22:23], v[18:19]
	v_add_f64 v[20:21], v[24:25], v[20:21]
	v_fma_f64 v[16:17], v[16:17], v[6:7], v[26:27]
	v_fma_f64 v[6:7], v[14:15], v[6:7], -v[8:9]
	s_waitcnt vmcnt(0) lgkmcnt(0)
	v_mul_f64 v[22:23], v[2:3], v[12:13]
	v_mul_f64 v[12:13], v[4:5], v[12:13]
	v_add_f64 v[8:9], v[18:19], v[30:31]
	v_add_f64 v[14:15], v[20:21], v[28:29]
	s_delay_alu instid0(VALU_DEP_4) | instskip(NEXT) | instid1(VALU_DEP_4)
	v_fma_f64 v[4:5], v[4:5], v[10:11], v[22:23]
	v_fma_f64 v[2:3], v[2:3], v[10:11], -v[12:13]
	s_delay_alu instid0(VALU_DEP_4) | instskip(NEXT) | instid1(VALU_DEP_4)
	v_add_f64 v[6:7], v[8:9], v[6:7]
	v_add_f64 v[8:9], v[14:15], v[16:17]
	s_delay_alu instid0(VALU_DEP_2) | instskip(NEXT) | instid1(VALU_DEP_2)
	v_add_f64 v[2:3], v[6:7], v[2:3]
	v_add_f64 v[4:5], v[8:9], v[4:5]
	s_delay_alu instid0(VALU_DEP_2) | instskip(NEXT) | instid1(VALU_DEP_2)
	v_add_f64 v[2:3], v[42:43], -v[2:3]
	v_add_f64 v[4:5], v[44:45], -v[4:5]
	scratch_store_b128 off, v[2:5], off offset:480
	v_cmpx_lt_u32_e32 29, v154
	s_cbranch_execz .LBB117_279
; %bb.278:
	scratch_load_b128 v[5:8], v179, off
	v_mov_b32_e32 v2, v1
	v_mov_b32_e32 v3, v1
	;; [unrolled: 1-line block ×3, first 2 shown]
	scratch_store_b128 off, v[1:4], off offset:464
	s_waitcnt vmcnt(0)
	ds_store_b128 v208, v[5:8]
.LBB117_279:
	s_or_b32 exec_lo, exec_lo, s2
	s_waitcnt lgkmcnt(0)
	s_waitcnt_vscnt null, 0x0
	s_barrier
	buffer_gl0_inv
	s_clause 0x8
	scratch_load_b128 v[2:5], off, off offset:480
	scratch_load_b128 v[6:9], off, off offset:496
	;; [unrolled: 1-line block ×9, first 2 shown]
	ds_load_b128 v[38:41], v1 offset:1344
	ds_load_b128 v[42:45], v1 offset:1360
	s_clause 0x1
	scratch_load_b128 v[157:160], off, off offset:464
	scratch_load_b128 v[171:174], off, off offset:624
	s_mov_b32 s2, exec_lo
	ds_load_b128 v[220:223], v1 offset:1392
	s_waitcnt vmcnt(10) lgkmcnt(2)
	v_mul_f64 v[48:49], v[40:41], v[4:5]
	v_mul_f64 v[4:5], v[38:39], v[4:5]
	s_waitcnt vmcnt(9) lgkmcnt(1)
	v_mul_f64 v[50:51], v[42:43], v[8:9]
	v_mul_f64 v[8:9], v[44:45], v[8:9]
	s_delay_alu instid0(VALU_DEP_4) | instskip(NEXT) | instid1(VALU_DEP_4)
	v_fma_f64 v[48:49], v[38:39], v[2:3], -v[48:49]
	v_fma_f64 v[164:165], v[40:41], v[2:3], v[4:5]
	ds_load_b128 v[2:5], v1 offset:1376
	scratch_load_b128 v[38:41], off, off offset:640
	v_fma_f64 v[44:45], v[44:45], v[6:7], v[50:51]
	v_fma_f64 v[42:43], v[42:43], v[6:7], -v[8:9]
	scratch_load_b128 v[6:9], off, off offset:656
	s_waitcnt vmcnt(10) lgkmcnt(0)
	v_mul_f64 v[168:169], v[2:3], v[12:13]
	v_mul_f64 v[12:13], v[4:5], v[12:13]
	v_add_f64 v[48:49], v[48:49], 0
	v_add_f64 v[50:51], v[164:165], 0
	s_waitcnt vmcnt(9)
	v_mul_f64 v[164:165], v[220:221], v[16:17]
	v_mul_f64 v[16:17], v[222:223], v[16:17]
	v_fma_f64 v[168:169], v[4:5], v[10:11], v[168:169]
	v_fma_f64 v[226:227], v[2:3], v[10:11], -v[12:13]
	ds_load_b128 v[2:5], v1 offset:1408
	scratch_load_b128 v[10:13], off, off offset:672
	v_add_f64 v[48:49], v[48:49], v[42:43]
	v_add_f64 v[50:51], v[50:51], v[44:45]
	ds_load_b128 v[42:45], v1 offset:1424
	v_fma_f64 v[164:165], v[222:223], v[14:15], v[164:165]
	v_fma_f64 v[220:221], v[220:221], v[14:15], -v[16:17]
	scratch_load_b128 v[14:17], off, off offset:688
	s_waitcnt vmcnt(10) lgkmcnt(1)
	v_mul_f64 v[228:229], v[2:3], v[20:21]
	v_mul_f64 v[20:21], v[4:5], v[20:21]
	v_add_f64 v[48:49], v[48:49], v[226:227]
	v_add_f64 v[50:51], v[50:51], v[168:169]
	s_waitcnt vmcnt(9) lgkmcnt(0)
	v_mul_f64 v[168:169], v[42:43], v[24:25]
	v_mul_f64 v[24:25], v[44:45], v[24:25]
	v_fma_f64 v[226:227], v[4:5], v[18:19], v[228:229]
	v_fma_f64 v[228:229], v[2:3], v[18:19], -v[20:21]
	ds_load_b128 v[2:5], v1 offset:1440
	scratch_load_b128 v[18:21], off, off offset:704
	v_add_f64 v[48:49], v[48:49], v[220:221]
	v_add_f64 v[50:51], v[50:51], v[164:165]
	ds_load_b128 v[220:223], v1 offset:1456
	s_waitcnt vmcnt(9) lgkmcnt(1)
	v_mul_f64 v[164:165], v[2:3], v[28:29]
	v_mul_f64 v[28:29], v[4:5], v[28:29]
	v_fma_f64 v[44:45], v[44:45], v[22:23], v[168:169]
	v_fma_f64 v[42:43], v[42:43], v[22:23], -v[24:25]
	scratch_load_b128 v[22:25], off, off offset:720
	s_waitcnt vmcnt(9) lgkmcnt(0)
	v_mul_f64 v[168:169], v[220:221], v[32:33]
	v_mul_f64 v[32:33], v[222:223], v[32:33]
	v_add_f64 v[48:49], v[48:49], v[228:229]
	v_add_f64 v[50:51], v[50:51], v[226:227]
	v_fma_f64 v[164:165], v[4:5], v[26:27], v[164:165]
	v_fma_f64 v[226:227], v[2:3], v[26:27], -v[28:29]
	ds_load_b128 v[2:5], v1 offset:1472
	scratch_load_b128 v[26:29], off, off offset:736
	v_fma_f64 v[168:169], v[222:223], v[30:31], v[168:169]
	v_fma_f64 v[220:221], v[220:221], v[30:31], -v[32:33]
	scratch_load_b128 v[30:33], off, off offset:752
	v_add_f64 v[48:49], v[48:49], v[42:43]
	v_add_f64 v[50:51], v[50:51], v[44:45]
	ds_load_b128 v[42:45], v1 offset:1488
	s_waitcnt vmcnt(10) lgkmcnt(1)
	v_mul_f64 v[228:229], v[2:3], v[36:37]
	v_mul_f64 v[36:37], v[4:5], v[36:37]
	v_add_f64 v[48:49], v[48:49], v[226:227]
	v_add_f64 v[50:51], v[50:51], v[164:165]
	s_waitcnt vmcnt(8) lgkmcnt(0)
	v_mul_f64 v[164:165], v[42:43], v[173:174]
	v_mul_f64 v[173:174], v[44:45], v[173:174]
	v_fma_f64 v[226:227], v[4:5], v[34:35], v[228:229]
	v_fma_f64 v[228:229], v[2:3], v[34:35], -v[36:37]
	ds_load_b128 v[2:5], v1 offset:1504
	scratch_load_b128 v[34:37], off, off offset:768
	v_add_f64 v[48:49], v[48:49], v[220:221]
	v_add_f64 v[50:51], v[50:51], v[168:169]
	ds_load_b128 v[220:223], v1 offset:1520
	v_fma_f64 v[44:45], v[44:45], v[171:172], v[164:165]
	v_fma_f64 v[164:165], v[42:43], v[171:172], -v[173:174]
	scratch_load_b128 v[171:174], off, off offset:800
	s_waitcnt vmcnt(9) lgkmcnt(1)
	v_mul_f64 v[168:169], v[2:3], v[40:41]
	v_mul_f64 v[230:231], v[4:5], v[40:41]
	scratch_load_b128 v[40:43], off, off offset:784
	s_waitcnt vmcnt(9) lgkmcnt(0)
	v_mul_f64 v[232:233], v[220:221], v[8:9]
	v_mul_f64 v[8:9], v[222:223], v[8:9]
	v_add_f64 v[48:49], v[48:49], v[228:229]
	v_add_f64 v[50:51], v[50:51], v[226:227]
	ds_load_b128 v[226:229], v1 offset:1552
	v_fma_f64 v[168:169], v[4:5], v[38:39], v[168:169]
	v_fma_f64 v[38:39], v[2:3], v[38:39], -v[230:231]
	ds_load_b128 v[2:5], v1 offset:1536
	v_fma_f64 v[220:221], v[220:221], v[6:7], -v[8:9]
	v_add_f64 v[48:49], v[48:49], v[164:165]
	v_add_f64 v[44:45], v[50:51], v[44:45]
	v_fma_f64 v[164:165], v[222:223], v[6:7], v[232:233]
	s_waitcnt vmcnt(8) lgkmcnt(0)
	v_mul_f64 v[50:51], v[2:3], v[12:13]
	v_mul_f64 v[12:13], v[4:5], v[12:13]
	scratch_load_b128 v[6:9], off, off offset:816
	v_add_f64 v[38:39], v[48:49], v[38:39]
	v_add_f64 v[44:45], v[44:45], v[168:169]
	s_waitcnt vmcnt(8)
	v_mul_f64 v[48:49], v[226:227], v[16:17]
	v_mul_f64 v[16:17], v[228:229], v[16:17]
	v_fma_f64 v[50:51], v[4:5], v[10:11], v[50:51]
	v_fma_f64 v[168:169], v[2:3], v[10:11], -v[12:13]
	ds_load_b128 v[2:5], v1 offset:1568
	scratch_load_b128 v[10:13], off, off offset:832
	v_add_f64 v[38:39], v[38:39], v[220:221]
	v_add_f64 v[44:45], v[44:45], v[164:165]
	ds_load_b128 v[220:223], v1 offset:1584
	s_waitcnt vmcnt(8) lgkmcnt(1)
	v_mul_f64 v[164:165], v[2:3], v[20:21]
	v_mul_f64 v[20:21], v[4:5], v[20:21]
	v_fma_f64 v[48:49], v[228:229], v[14:15], v[48:49]
	v_fma_f64 v[226:227], v[226:227], v[14:15], -v[16:17]
	scratch_load_b128 v[14:17], off, off offset:848
	v_add_f64 v[38:39], v[38:39], v[168:169]
	v_add_f64 v[44:45], v[44:45], v[50:51]
	s_waitcnt vmcnt(8) lgkmcnt(0)
	v_mul_f64 v[50:51], v[220:221], v[24:25]
	v_mul_f64 v[24:25], v[222:223], v[24:25]
	v_fma_f64 v[164:165], v[4:5], v[18:19], v[164:165]
	v_fma_f64 v[168:169], v[2:3], v[18:19], -v[20:21]
	ds_load_b128 v[2:5], v1 offset:1600
	ds_load_b128 v[18:21], v1 offset:1616
	v_add_f64 v[38:39], v[38:39], v[226:227]
	v_add_f64 v[44:45], v[44:45], v[48:49]
	s_waitcnt vmcnt(7) lgkmcnt(1)
	v_mul_f64 v[48:49], v[2:3], v[28:29]
	v_mul_f64 v[28:29], v[4:5], v[28:29]
	v_fma_f64 v[50:51], v[222:223], v[22:23], v[50:51]
	v_fma_f64 v[22:23], v[220:221], v[22:23], -v[24:25]
	v_add_f64 v[24:25], v[38:39], v[168:169]
	v_add_f64 v[38:39], v[44:45], v[164:165]
	s_waitcnt vmcnt(6) lgkmcnt(0)
	v_mul_f64 v[44:45], v[18:19], v[32:33]
	v_mul_f64 v[32:33], v[20:21], v[32:33]
	v_fma_f64 v[48:49], v[4:5], v[26:27], v[48:49]
	v_fma_f64 v[26:27], v[2:3], v[26:27], -v[28:29]
	v_add_f64 v[28:29], v[24:25], v[22:23]
	v_add_f64 v[38:39], v[38:39], v[50:51]
	ds_load_b128 v[2:5], v1 offset:1632
	ds_load_b128 v[22:25], v1 offset:1648
	v_fma_f64 v[20:21], v[20:21], v[30:31], v[44:45]
	v_fma_f64 v[18:19], v[18:19], v[30:31], -v[32:33]
	s_waitcnt vmcnt(5) lgkmcnt(1)
	v_mul_f64 v[50:51], v[2:3], v[36:37]
	v_mul_f64 v[36:37], v[4:5], v[36:37]
	s_waitcnt vmcnt(3) lgkmcnt(0)
	v_mul_f64 v[30:31], v[22:23], v[42:43]
	v_add_f64 v[26:27], v[28:29], v[26:27]
	v_add_f64 v[28:29], v[38:39], v[48:49]
	v_mul_f64 v[32:33], v[24:25], v[42:43]
	v_fma_f64 v[38:39], v[4:5], v[34:35], v[50:51]
	v_fma_f64 v[34:35], v[2:3], v[34:35], -v[36:37]
	v_fma_f64 v[24:25], v[24:25], v[40:41], v[30:31]
	v_add_f64 v[26:27], v[26:27], v[18:19]
	v_add_f64 v[28:29], v[28:29], v[20:21]
	ds_load_b128 v[2:5], v1 offset:1664
	ds_load_b128 v[18:21], v1 offset:1680
	v_fma_f64 v[22:23], v[22:23], v[40:41], -v[32:33]
	s_waitcnt lgkmcnt(1)
	v_mul_f64 v[36:37], v[2:3], v[173:174]
	v_mul_f64 v[42:43], v[4:5], v[173:174]
	s_waitcnt vmcnt(2) lgkmcnt(0)
	v_mul_f64 v[30:31], v[18:19], v[8:9]
	v_mul_f64 v[8:9], v[20:21], v[8:9]
	v_add_f64 v[26:27], v[26:27], v[34:35]
	v_add_f64 v[28:29], v[28:29], v[38:39]
	v_fma_f64 v[32:33], v[4:5], v[171:172], v[36:37]
	v_fma_f64 v[34:35], v[2:3], v[171:172], -v[42:43]
	v_fma_f64 v[20:21], v[20:21], v[6:7], v[30:31]
	v_fma_f64 v[6:7], v[18:19], v[6:7], -v[8:9]
	v_add_f64 v[26:27], v[26:27], v[22:23]
	v_add_f64 v[28:29], v[28:29], v[24:25]
	ds_load_b128 v[2:5], v1 offset:1696
	ds_load_b128 v[22:25], v1 offset:1712
	s_waitcnt vmcnt(1) lgkmcnt(1)
	v_mul_f64 v[36:37], v[2:3], v[12:13]
	v_mul_f64 v[12:13], v[4:5], v[12:13]
	v_add_f64 v[8:9], v[26:27], v[34:35]
	v_add_f64 v[18:19], v[28:29], v[32:33]
	s_waitcnt vmcnt(0) lgkmcnt(0)
	v_mul_f64 v[26:27], v[22:23], v[16:17]
	v_mul_f64 v[16:17], v[24:25], v[16:17]
	v_fma_f64 v[4:5], v[4:5], v[10:11], v[36:37]
	v_fma_f64 v[1:2], v[2:3], v[10:11], -v[12:13]
	v_add_f64 v[6:7], v[8:9], v[6:7]
	v_add_f64 v[8:9], v[18:19], v[20:21]
	v_fma_f64 v[10:11], v[24:25], v[14:15], v[26:27]
	v_fma_f64 v[12:13], v[22:23], v[14:15], -v[16:17]
	s_delay_alu instid0(VALU_DEP_4) | instskip(NEXT) | instid1(VALU_DEP_4)
	v_add_f64 v[1:2], v[6:7], v[1:2]
	v_add_f64 v[3:4], v[8:9], v[4:5]
	s_delay_alu instid0(VALU_DEP_2) | instskip(NEXT) | instid1(VALU_DEP_2)
	v_add_f64 v[1:2], v[1:2], v[12:13]
	v_add_f64 v[3:4], v[3:4], v[10:11]
	s_delay_alu instid0(VALU_DEP_2) | instskip(NEXT) | instid1(VALU_DEP_2)
	v_add_f64 v[1:2], v[157:158], -v[1:2]
	v_add_f64 v[3:4], v[159:160], -v[3:4]
	scratch_store_b128 off, v[1:4], off offset:464
	v_cmpx_lt_u32_e32 28, v154
	s_cbranch_execz .LBB117_281
; %bb.280:
	scratch_load_b128 v[1:4], v180, off
	v_mov_b32_e32 v5, 0
	s_delay_alu instid0(VALU_DEP_1)
	v_mov_b32_e32 v6, v5
	v_mov_b32_e32 v7, v5
	;; [unrolled: 1-line block ×3, first 2 shown]
	scratch_store_b128 off, v[5:8], off offset:448
	s_waitcnt vmcnt(0)
	ds_store_b128 v208, v[1:4]
.LBB117_281:
	s_or_b32 exec_lo, exec_lo, s2
	s_waitcnt lgkmcnt(0)
	s_waitcnt_vscnt null, 0x0
	s_barrier
	buffer_gl0_inv
	s_clause 0x7
	scratch_load_b128 v[2:5], off, off offset:464
	scratch_load_b128 v[6:9], off, off offset:480
	;; [unrolled: 1-line block ×8, first 2 shown]
	v_mov_b32_e32 v1, 0
	s_mov_b32 s2, exec_lo
	ds_load_b128 v[34:37], v1 offset:1328
	s_clause 0x1
	scratch_load_b128 v[38:41], off, off offset:592
	scratch_load_b128 v[42:45], off, off offset:448
	ds_load_b128 v[157:160], v1 offset:1344
	scratch_load_b128 v[171:174], off, off offset:608
	ds_load_b128 v[220:223], v1 offset:1376
	s_waitcnt vmcnt(10) lgkmcnt(2)
	v_mul_f64 v[48:49], v[36:37], v[4:5]
	v_mul_f64 v[4:5], v[34:35], v[4:5]
	s_delay_alu instid0(VALU_DEP_2) | instskip(NEXT) | instid1(VALU_DEP_2)
	v_fma_f64 v[48:49], v[34:35], v[2:3], -v[48:49]
	v_fma_f64 v[164:165], v[36:37], v[2:3], v[4:5]
	ds_load_b128 v[2:5], v1 offset:1360
	s_waitcnt vmcnt(9) lgkmcnt(2)
	v_mul_f64 v[50:51], v[157:158], v[8:9]
	v_mul_f64 v[8:9], v[159:160], v[8:9]
	scratch_load_b128 v[34:37], off, off offset:624
	s_waitcnt vmcnt(9) lgkmcnt(0)
	v_mul_f64 v[168:169], v[2:3], v[12:13]
	v_mul_f64 v[12:13], v[4:5], v[12:13]
	v_add_f64 v[48:49], v[48:49], 0
	v_fma_f64 v[50:51], v[159:160], v[6:7], v[50:51]
	v_fma_f64 v[157:158], v[157:158], v[6:7], -v[8:9]
	v_add_f64 v[159:160], v[164:165], 0
	scratch_load_b128 v[6:9], off, off offset:640
	v_fma_f64 v[168:169], v[4:5], v[10:11], v[168:169]
	v_fma_f64 v[226:227], v[2:3], v[10:11], -v[12:13]
	scratch_load_b128 v[10:13], off, off offset:656
	ds_load_b128 v[2:5], v1 offset:1392
	s_waitcnt vmcnt(10)
	v_mul_f64 v[164:165], v[220:221], v[16:17]
	v_mul_f64 v[16:17], v[222:223], v[16:17]
	v_add_f64 v[48:49], v[48:49], v[157:158]
	v_add_f64 v[50:51], v[159:160], v[50:51]
	ds_load_b128 v[157:160], v1 offset:1408
	s_waitcnt vmcnt(9) lgkmcnt(1)
	v_mul_f64 v[228:229], v[2:3], v[20:21]
	v_mul_f64 v[20:21], v[4:5], v[20:21]
	v_fma_f64 v[164:165], v[222:223], v[14:15], v[164:165]
	v_fma_f64 v[220:221], v[220:221], v[14:15], -v[16:17]
	scratch_load_b128 v[14:17], off, off offset:672
	v_add_f64 v[48:49], v[48:49], v[226:227]
	v_add_f64 v[50:51], v[50:51], v[168:169]
	v_fma_f64 v[226:227], v[4:5], v[18:19], v[228:229]
	v_fma_f64 v[228:229], v[2:3], v[18:19], -v[20:21]
	scratch_load_b128 v[18:21], off, off offset:688
	ds_load_b128 v[2:5], v1 offset:1424
	s_waitcnt vmcnt(10) lgkmcnt(1)
	v_mul_f64 v[168:169], v[157:158], v[24:25]
	v_mul_f64 v[24:25], v[159:160], v[24:25]
	v_add_f64 v[48:49], v[48:49], v[220:221]
	v_add_f64 v[50:51], v[50:51], v[164:165]
	s_waitcnt vmcnt(9) lgkmcnt(0)
	v_mul_f64 v[164:165], v[2:3], v[28:29]
	v_mul_f64 v[28:29], v[4:5], v[28:29]
	ds_load_b128 v[220:223], v1 offset:1440
	v_fma_f64 v[159:160], v[159:160], v[22:23], v[168:169]
	v_fma_f64 v[157:158], v[157:158], v[22:23], -v[24:25]
	scratch_load_b128 v[22:25], off, off offset:704
	v_add_f64 v[48:49], v[48:49], v[228:229]
	v_add_f64 v[50:51], v[50:51], v[226:227]
	v_fma_f64 v[164:165], v[4:5], v[26:27], v[164:165]
	v_fma_f64 v[226:227], v[2:3], v[26:27], -v[28:29]
	scratch_load_b128 v[26:29], off, off offset:720
	ds_load_b128 v[2:5], v1 offset:1456
	s_waitcnt vmcnt(10) lgkmcnt(1)
	v_mul_f64 v[168:169], v[220:221], v[32:33]
	v_mul_f64 v[32:33], v[222:223], v[32:33]
	s_waitcnt vmcnt(9) lgkmcnt(0)
	v_mul_f64 v[228:229], v[2:3], v[40:41]
	v_mul_f64 v[40:41], v[4:5], v[40:41]
	v_add_f64 v[48:49], v[48:49], v[157:158]
	v_add_f64 v[50:51], v[50:51], v[159:160]
	ds_load_b128 v[157:160], v1 offset:1472
	v_fma_f64 v[168:169], v[222:223], v[30:31], v[168:169]
	v_fma_f64 v[220:221], v[220:221], v[30:31], -v[32:33]
	scratch_load_b128 v[30:33], off, off offset:736
	v_add_f64 v[48:49], v[48:49], v[226:227]
	v_add_f64 v[50:51], v[50:51], v[164:165]
	v_fma_f64 v[226:227], v[4:5], v[38:39], v[228:229]
	v_fma_f64 v[228:229], v[2:3], v[38:39], -v[40:41]
	scratch_load_b128 v[38:41], off, off offset:752
	ds_load_b128 v[2:5], v1 offset:1488
	s_waitcnt vmcnt(9) lgkmcnt(1)
	v_mul_f64 v[164:165], v[157:158], v[173:174]
	v_mul_f64 v[173:174], v[159:160], v[173:174]
	v_add_f64 v[48:49], v[48:49], v[220:221]
	v_add_f64 v[50:51], v[50:51], v[168:169]
	ds_load_b128 v[220:223], v1 offset:1504
	v_fma_f64 v[164:165], v[159:160], v[171:172], v[164:165]
	v_fma_f64 v[171:172], v[157:158], v[171:172], -v[173:174]
	scratch_load_b128 v[157:160], off, off offset:768
	s_waitcnt vmcnt(9) lgkmcnt(1)
	v_mul_f64 v[168:169], v[2:3], v[36:37]
	v_mul_f64 v[36:37], v[4:5], v[36:37]
	v_add_f64 v[48:49], v[48:49], v[228:229]
	v_add_f64 v[50:51], v[50:51], v[226:227]
	s_delay_alu instid0(VALU_DEP_4) | instskip(NEXT) | instid1(VALU_DEP_4)
	v_fma_f64 v[168:169], v[4:5], v[34:35], v[168:169]
	v_fma_f64 v[228:229], v[2:3], v[34:35], -v[36:37]
	scratch_load_b128 v[34:37], off, off offset:784
	ds_load_b128 v[2:5], v1 offset:1520
	s_waitcnt vmcnt(9) lgkmcnt(1)
	v_mul_f64 v[226:227], v[220:221], v[8:9]
	v_mul_f64 v[8:9], v[222:223], v[8:9]
	v_add_f64 v[48:49], v[48:49], v[171:172]
	v_add_f64 v[50:51], v[50:51], v[164:165]
	s_waitcnt vmcnt(8) lgkmcnt(0)
	v_mul_f64 v[164:165], v[2:3], v[12:13]
	v_mul_f64 v[12:13], v[4:5], v[12:13]
	ds_load_b128 v[171:174], v1 offset:1536
	v_fma_f64 v[222:223], v[222:223], v[6:7], v[226:227]
	v_fma_f64 v[220:221], v[220:221], v[6:7], -v[8:9]
	scratch_load_b128 v[6:9], off, off offset:800
	v_add_f64 v[48:49], v[48:49], v[228:229]
	v_add_f64 v[50:51], v[50:51], v[168:169]
	v_fma_f64 v[164:165], v[4:5], v[10:11], v[164:165]
	v_fma_f64 v[226:227], v[2:3], v[10:11], -v[12:13]
	scratch_load_b128 v[10:13], off, off offset:816
	ds_load_b128 v[2:5], v1 offset:1552
	s_waitcnt vmcnt(9) lgkmcnt(1)
	v_mul_f64 v[168:169], v[171:172], v[16:17]
	v_mul_f64 v[16:17], v[173:174], v[16:17]
	s_waitcnt vmcnt(8) lgkmcnt(0)
	v_mul_f64 v[228:229], v[2:3], v[20:21]
	v_mul_f64 v[20:21], v[4:5], v[20:21]
	v_add_f64 v[48:49], v[48:49], v[220:221]
	v_add_f64 v[50:51], v[50:51], v[222:223]
	ds_load_b128 v[220:223], v1 offset:1568
	v_fma_f64 v[168:169], v[173:174], v[14:15], v[168:169]
	v_fma_f64 v[171:172], v[171:172], v[14:15], -v[16:17]
	scratch_load_b128 v[14:17], off, off offset:832
	v_add_f64 v[48:49], v[48:49], v[226:227]
	v_add_f64 v[50:51], v[50:51], v[164:165]
	v_fma_f64 v[226:227], v[4:5], v[18:19], v[228:229]
	v_fma_f64 v[228:229], v[2:3], v[18:19], -v[20:21]
	scratch_load_b128 v[18:21], off, off offset:848
	ds_load_b128 v[2:5], v1 offset:1584
	s_waitcnt vmcnt(9) lgkmcnt(1)
	v_mul_f64 v[164:165], v[220:221], v[24:25]
	v_mul_f64 v[24:25], v[222:223], v[24:25]
	v_add_f64 v[48:49], v[48:49], v[171:172]
	v_add_f64 v[50:51], v[50:51], v[168:169]
	s_waitcnt vmcnt(8) lgkmcnt(0)
	v_mul_f64 v[168:169], v[2:3], v[28:29]
	v_mul_f64 v[28:29], v[4:5], v[28:29]
	ds_load_b128 v[171:174], v1 offset:1600
	v_fma_f64 v[164:165], v[222:223], v[22:23], v[164:165]
	v_fma_f64 v[22:23], v[220:221], v[22:23], -v[24:25]
	v_add_f64 v[24:25], v[48:49], v[228:229]
	v_add_f64 v[48:49], v[50:51], v[226:227]
	s_waitcnt vmcnt(7) lgkmcnt(0)
	v_mul_f64 v[50:51], v[171:172], v[32:33]
	v_mul_f64 v[32:33], v[173:174], v[32:33]
	v_fma_f64 v[168:169], v[4:5], v[26:27], v[168:169]
	v_fma_f64 v[26:27], v[2:3], v[26:27], -v[28:29]
	v_add_f64 v[28:29], v[24:25], v[22:23]
	v_add_f64 v[48:49], v[48:49], v[164:165]
	ds_load_b128 v[2:5], v1 offset:1616
	ds_load_b128 v[22:25], v1 offset:1632
	v_fma_f64 v[50:51], v[173:174], v[30:31], v[50:51]
	v_fma_f64 v[30:31], v[171:172], v[30:31], -v[32:33]
	s_waitcnt vmcnt(6) lgkmcnt(1)
	v_mul_f64 v[164:165], v[2:3], v[40:41]
	v_mul_f64 v[40:41], v[4:5], v[40:41]
	s_waitcnt vmcnt(5) lgkmcnt(0)
	v_mul_f64 v[32:33], v[22:23], v[159:160]
	v_add_f64 v[26:27], v[28:29], v[26:27]
	v_add_f64 v[28:29], v[48:49], v[168:169]
	v_mul_f64 v[48:49], v[24:25], v[159:160]
	v_fma_f64 v[159:160], v[4:5], v[38:39], v[164:165]
	v_fma_f64 v[38:39], v[2:3], v[38:39], -v[40:41]
	v_fma_f64 v[24:25], v[24:25], v[157:158], v[32:33]
	v_add_f64 v[30:31], v[26:27], v[30:31]
	v_add_f64 v[40:41], v[28:29], v[50:51]
	ds_load_b128 v[2:5], v1 offset:1648
	ds_load_b128 v[26:29], v1 offset:1664
	v_fma_f64 v[22:23], v[22:23], v[157:158], -v[48:49]
	s_waitcnt vmcnt(4) lgkmcnt(1)
	v_mul_f64 v[50:51], v[2:3], v[36:37]
	v_mul_f64 v[36:37], v[4:5], v[36:37]
	v_add_f64 v[30:31], v[30:31], v[38:39]
	v_add_f64 v[32:33], v[40:41], v[159:160]
	s_waitcnt vmcnt(3) lgkmcnt(0)
	v_mul_f64 v[38:39], v[26:27], v[8:9]
	v_mul_f64 v[8:9], v[28:29], v[8:9]
	v_fma_f64 v[40:41], v[4:5], v[34:35], v[50:51]
	v_fma_f64 v[34:35], v[2:3], v[34:35], -v[36:37]
	v_add_f64 v[30:31], v[30:31], v[22:23]
	v_add_f64 v[32:33], v[32:33], v[24:25]
	ds_load_b128 v[2:5], v1 offset:1680
	ds_load_b128 v[22:25], v1 offset:1696
	v_fma_f64 v[28:29], v[28:29], v[6:7], v[38:39]
	v_fma_f64 v[6:7], v[26:27], v[6:7], -v[8:9]
	s_waitcnt vmcnt(2) lgkmcnt(1)
	v_mul_f64 v[36:37], v[2:3], v[12:13]
	v_mul_f64 v[12:13], v[4:5], v[12:13]
	v_add_f64 v[8:9], v[30:31], v[34:35]
	v_add_f64 v[26:27], v[32:33], v[40:41]
	s_waitcnt vmcnt(1) lgkmcnt(0)
	v_mul_f64 v[30:31], v[22:23], v[16:17]
	v_mul_f64 v[16:17], v[24:25], v[16:17]
	v_fma_f64 v[32:33], v[4:5], v[10:11], v[36:37]
	v_fma_f64 v[10:11], v[2:3], v[10:11], -v[12:13]
	ds_load_b128 v[2:5], v1 offset:1712
	v_add_f64 v[6:7], v[8:9], v[6:7]
	v_add_f64 v[8:9], v[26:27], v[28:29]
	v_fma_f64 v[24:25], v[24:25], v[14:15], v[30:31]
	v_fma_f64 v[14:15], v[22:23], v[14:15], -v[16:17]
	s_waitcnt vmcnt(0) lgkmcnt(0)
	v_mul_f64 v[12:13], v[2:3], v[20:21]
	v_mul_f64 v[20:21], v[4:5], v[20:21]
	v_add_f64 v[6:7], v[6:7], v[10:11]
	v_add_f64 v[8:9], v[8:9], v[32:33]
	s_delay_alu instid0(VALU_DEP_4) | instskip(NEXT) | instid1(VALU_DEP_4)
	v_fma_f64 v[4:5], v[4:5], v[18:19], v[12:13]
	v_fma_f64 v[2:3], v[2:3], v[18:19], -v[20:21]
	s_delay_alu instid0(VALU_DEP_4) | instskip(NEXT) | instid1(VALU_DEP_4)
	v_add_f64 v[6:7], v[6:7], v[14:15]
	v_add_f64 v[8:9], v[8:9], v[24:25]
	s_delay_alu instid0(VALU_DEP_2) | instskip(NEXT) | instid1(VALU_DEP_2)
	v_add_f64 v[2:3], v[6:7], v[2:3]
	v_add_f64 v[4:5], v[8:9], v[4:5]
	s_delay_alu instid0(VALU_DEP_2) | instskip(NEXT) | instid1(VALU_DEP_2)
	v_add_f64 v[2:3], v[42:43], -v[2:3]
	v_add_f64 v[4:5], v[44:45], -v[4:5]
	scratch_store_b128 off, v[2:5], off offset:448
	v_cmpx_lt_u32_e32 27, v154
	s_cbranch_execz .LBB117_283
; %bb.282:
	scratch_load_b128 v[5:8], v181, off
	v_mov_b32_e32 v2, v1
	v_mov_b32_e32 v3, v1
	;; [unrolled: 1-line block ×3, first 2 shown]
	scratch_store_b128 off, v[1:4], off offset:432
	s_waitcnt vmcnt(0)
	ds_store_b128 v208, v[5:8]
.LBB117_283:
	s_or_b32 exec_lo, exec_lo, s2
	s_waitcnt lgkmcnt(0)
	s_waitcnt_vscnt null, 0x0
	s_barrier
	buffer_gl0_inv
	s_clause 0x8
	scratch_load_b128 v[2:5], off, off offset:448
	scratch_load_b128 v[6:9], off, off offset:464
	;; [unrolled: 1-line block ×9, first 2 shown]
	ds_load_b128 v[38:41], v1 offset:1312
	ds_load_b128 v[42:45], v1 offset:1328
	s_clause 0x1
	scratch_load_b128 v[157:160], off, off offset:432
	scratch_load_b128 v[171:174], off, off offset:592
	s_mov_b32 s2, exec_lo
	ds_load_b128 v[220:223], v1 offset:1360
	s_waitcnt vmcnt(10) lgkmcnt(2)
	v_mul_f64 v[48:49], v[40:41], v[4:5]
	v_mul_f64 v[4:5], v[38:39], v[4:5]
	s_waitcnt vmcnt(9) lgkmcnt(1)
	v_mul_f64 v[50:51], v[42:43], v[8:9]
	v_mul_f64 v[8:9], v[44:45], v[8:9]
	s_delay_alu instid0(VALU_DEP_4) | instskip(NEXT) | instid1(VALU_DEP_4)
	v_fma_f64 v[48:49], v[38:39], v[2:3], -v[48:49]
	v_fma_f64 v[164:165], v[40:41], v[2:3], v[4:5]
	ds_load_b128 v[2:5], v1 offset:1344
	scratch_load_b128 v[38:41], off, off offset:608
	v_fma_f64 v[44:45], v[44:45], v[6:7], v[50:51]
	v_fma_f64 v[42:43], v[42:43], v[6:7], -v[8:9]
	scratch_load_b128 v[6:9], off, off offset:624
	s_waitcnt vmcnt(10) lgkmcnt(0)
	v_mul_f64 v[168:169], v[2:3], v[12:13]
	v_mul_f64 v[12:13], v[4:5], v[12:13]
	v_add_f64 v[48:49], v[48:49], 0
	v_add_f64 v[50:51], v[164:165], 0
	s_waitcnt vmcnt(9)
	v_mul_f64 v[164:165], v[220:221], v[16:17]
	v_mul_f64 v[16:17], v[222:223], v[16:17]
	v_fma_f64 v[168:169], v[4:5], v[10:11], v[168:169]
	v_fma_f64 v[226:227], v[2:3], v[10:11], -v[12:13]
	ds_load_b128 v[2:5], v1 offset:1376
	scratch_load_b128 v[10:13], off, off offset:640
	v_add_f64 v[48:49], v[48:49], v[42:43]
	v_add_f64 v[50:51], v[50:51], v[44:45]
	ds_load_b128 v[42:45], v1 offset:1392
	v_fma_f64 v[164:165], v[222:223], v[14:15], v[164:165]
	v_fma_f64 v[220:221], v[220:221], v[14:15], -v[16:17]
	scratch_load_b128 v[14:17], off, off offset:656
	s_waitcnt vmcnt(10) lgkmcnt(1)
	v_mul_f64 v[228:229], v[2:3], v[20:21]
	v_mul_f64 v[20:21], v[4:5], v[20:21]
	v_add_f64 v[48:49], v[48:49], v[226:227]
	v_add_f64 v[50:51], v[50:51], v[168:169]
	s_waitcnt vmcnt(9) lgkmcnt(0)
	v_mul_f64 v[168:169], v[42:43], v[24:25]
	v_mul_f64 v[24:25], v[44:45], v[24:25]
	v_fma_f64 v[226:227], v[4:5], v[18:19], v[228:229]
	v_fma_f64 v[228:229], v[2:3], v[18:19], -v[20:21]
	ds_load_b128 v[2:5], v1 offset:1408
	scratch_load_b128 v[18:21], off, off offset:672
	v_add_f64 v[48:49], v[48:49], v[220:221]
	v_add_f64 v[50:51], v[50:51], v[164:165]
	ds_load_b128 v[220:223], v1 offset:1424
	s_waitcnt vmcnt(9) lgkmcnt(1)
	v_mul_f64 v[164:165], v[2:3], v[28:29]
	v_mul_f64 v[28:29], v[4:5], v[28:29]
	v_fma_f64 v[44:45], v[44:45], v[22:23], v[168:169]
	v_fma_f64 v[42:43], v[42:43], v[22:23], -v[24:25]
	scratch_load_b128 v[22:25], off, off offset:688
	s_waitcnt vmcnt(9) lgkmcnt(0)
	v_mul_f64 v[168:169], v[220:221], v[32:33]
	v_mul_f64 v[32:33], v[222:223], v[32:33]
	v_add_f64 v[48:49], v[48:49], v[228:229]
	v_add_f64 v[50:51], v[50:51], v[226:227]
	v_fma_f64 v[164:165], v[4:5], v[26:27], v[164:165]
	v_fma_f64 v[226:227], v[2:3], v[26:27], -v[28:29]
	ds_load_b128 v[2:5], v1 offset:1440
	scratch_load_b128 v[26:29], off, off offset:704
	v_fma_f64 v[168:169], v[222:223], v[30:31], v[168:169]
	v_fma_f64 v[220:221], v[220:221], v[30:31], -v[32:33]
	scratch_load_b128 v[30:33], off, off offset:720
	v_add_f64 v[48:49], v[48:49], v[42:43]
	v_add_f64 v[50:51], v[50:51], v[44:45]
	ds_load_b128 v[42:45], v1 offset:1456
	s_waitcnt vmcnt(10) lgkmcnt(1)
	v_mul_f64 v[228:229], v[2:3], v[36:37]
	v_mul_f64 v[36:37], v[4:5], v[36:37]
	v_add_f64 v[48:49], v[48:49], v[226:227]
	v_add_f64 v[50:51], v[50:51], v[164:165]
	s_waitcnt vmcnt(8) lgkmcnt(0)
	v_mul_f64 v[164:165], v[42:43], v[173:174]
	v_mul_f64 v[173:174], v[44:45], v[173:174]
	v_fma_f64 v[226:227], v[4:5], v[34:35], v[228:229]
	v_fma_f64 v[228:229], v[2:3], v[34:35], -v[36:37]
	ds_load_b128 v[2:5], v1 offset:1472
	scratch_load_b128 v[34:37], off, off offset:736
	v_add_f64 v[48:49], v[48:49], v[220:221]
	v_add_f64 v[50:51], v[50:51], v[168:169]
	ds_load_b128 v[220:223], v1 offset:1488
	v_fma_f64 v[44:45], v[44:45], v[171:172], v[164:165]
	v_fma_f64 v[164:165], v[42:43], v[171:172], -v[173:174]
	scratch_load_b128 v[171:174], off, off offset:768
	s_waitcnt vmcnt(9) lgkmcnt(1)
	v_mul_f64 v[168:169], v[2:3], v[40:41]
	v_mul_f64 v[230:231], v[4:5], v[40:41]
	scratch_load_b128 v[40:43], off, off offset:752
	s_waitcnt vmcnt(9) lgkmcnt(0)
	v_mul_f64 v[232:233], v[220:221], v[8:9]
	v_mul_f64 v[8:9], v[222:223], v[8:9]
	v_add_f64 v[48:49], v[48:49], v[228:229]
	v_add_f64 v[50:51], v[50:51], v[226:227]
	ds_load_b128 v[226:229], v1 offset:1520
	v_fma_f64 v[168:169], v[4:5], v[38:39], v[168:169]
	v_fma_f64 v[38:39], v[2:3], v[38:39], -v[230:231]
	ds_load_b128 v[2:5], v1 offset:1504
	v_fma_f64 v[220:221], v[220:221], v[6:7], -v[8:9]
	v_add_f64 v[48:49], v[48:49], v[164:165]
	v_add_f64 v[44:45], v[50:51], v[44:45]
	v_fma_f64 v[164:165], v[222:223], v[6:7], v[232:233]
	s_waitcnt vmcnt(8) lgkmcnt(0)
	v_mul_f64 v[50:51], v[2:3], v[12:13]
	v_mul_f64 v[12:13], v[4:5], v[12:13]
	scratch_load_b128 v[6:9], off, off offset:784
	v_add_f64 v[38:39], v[48:49], v[38:39]
	v_add_f64 v[44:45], v[44:45], v[168:169]
	s_waitcnt vmcnt(8)
	v_mul_f64 v[48:49], v[226:227], v[16:17]
	v_mul_f64 v[16:17], v[228:229], v[16:17]
	v_fma_f64 v[50:51], v[4:5], v[10:11], v[50:51]
	v_fma_f64 v[168:169], v[2:3], v[10:11], -v[12:13]
	ds_load_b128 v[2:5], v1 offset:1536
	scratch_load_b128 v[10:13], off, off offset:800
	v_add_f64 v[38:39], v[38:39], v[220:221]
	v_add_f64 v[44:45], v[44:45], v[164:165]
	ds_load_b128 v[220:223], v1 offset:1552
	s_waitcnt vmcnt(8) lgkmcnt(1)
	v_mul_f64 v[164:165], v[2:3], v[20:21]
	v_mul_f64 v[20:21], v[4:5], v[20:21]
	v_fma_f64 v[48:49], v[228:229], v[14:15], v[48:49]
	v_fma_f64 v[226:227], v[226:227], v[14:15], -v[16:17]
	scratch_load_b128 v[14:17], off, off offset:816
	v_add_f64 v[38:39], v[38:39], v[168:169]
	v_add_f64 v[44:45], v[44:45], v[50:51]
	s_waitcnt vmcnt(8) lgkmcnt(0)
	v_mul_f64 v[50:51], v[220:221], v[24:25]
	v_mul_f64 v[24:25], v[222:223], v[24:25]
	v_fma_f64 v[164:165], v[4:5], v[18:19], v[164:165]
	v_fma_f64 v[168:169], v[2:3], v[18:19], -v[20:21]
	ds_load_b128 v[2:5], v1 offset:1568
	scratch_load_b128 v[18:21], off, off offset:832
	v_add_f64 v[38:39], v[38:39], v[226:227]
	v_add_f64 v[44:45], v[44:45], v[48:49]
	ds_load_b128 v[226:229], v1 offset:1584
	s_waitcnt vmcnt(8) lgkmcnt(1)
	v_mul_f64 v[48:49], v[2:3], v[28:29]
	v_mul_f64 v[28:29], v[4:5], v[28:29]
	v_fma_f64 v[50:51], v[222:223], v[22:23], v[50:51]
	v_fma_f64 v[220:221], v[220:221], v[22:23], -v[24:25]
	scratch_load_b128 v[22:25], off, off offset:848
	v_add_f64 v[38:39], v[38:39], v[168:169]
	v_add_f64 v[44:45], v[44:45], v[164:165]
	s_waitcnt vmcnt(8) lgkmcnt(0)
	v_mul_f64 v[164:165], v[226:227], v[32:33]
	v_mul_f64 v[32:33], v[228:229], v[32:33]
	v_fma_f64 v[48:49], v[4:5], v[26:27], v[48:49]
	v_fma_f64 v[168:169], v[2:3], v[26:27], -v[28:29]
	ds_load_b128 v[2:5], v1 offset:1600
	ds_load_b128 v[26:29], v1 offset:1616
	v_add_f64 v[38:39], v[38:39], v[220:221]
	v_add_f64 v[44:45], v[44:45], v[50:51]
	s_waitcnt vmcnt(7) lgkmcnt(1)
	v_mul_f64 v[50:51], v[2:3], v[36:37]
	v_mul_f64 v[36:37], v[4:5], v[36:37]
	v_fma_f64 v[164:165], v[228:229], v[30:31], v[164:165]
	v_fma_f64 v[30:31], v[226:227], v[30:31], -v[32:33]
	v_add_f64 v[32:33], v[38:39], v[168:169]
	v_add_f64 v[38:39], v[44:45], v[48:49]
	s_waitcnt vmcnt(5) lgkmcnt(0)
	v_mul_f64 v[44:45], v[26:27], v[42:43]
	v_mul_f64 v[42:43], v[28:29], v[42:43]
	v_fma_f64 v[48:49], v[4:5], v[34:35], v[50:51]
	v_fma_f64 v[34:35], v[2:3], v[34:35], -v[36:37]
	v_add_f64 v[36:37], v[32:33], v[30:31]
	v_add_f64 v[38:39], v[38:39], v[164:165]
	ds_load_b128 v[2:5], v1 offset:1632
	ds_load_b128 v[30:33], v1 offset:1648
	v_fma_f64 v[28:29], v[28:29], v[40:41], v[44:45]
	v_fma_f64 v[26:27], v[26:27], v[40:41], -v[42:43]
	s_waitcnt lgkmcnt(1)
	v_mul_f64 v[50:51], v[2:3], v[173:174]
	v_mul_f64 v[164:165], v[4:5], v[173:174]
	v_add_f64 v[34:35], v[36:37], v[34:35]
	v_add_f64 v[36:37], v[38:39], v[48:49]
	s_waitcnt vmcnt(4) lgkmcnt(0)
	v_mul_f64 v[38:39], v[30:31], v[8:9]
	v_mul_f64 v[8:9], v[32:33], v[8:9]
	v_fma_f64 v[40:41], v[4:5], v[171:172], v[50:51]
	v_fma_f64 v[42:43], v[2:3], v[171:172], -v[164:165]
	v_add_f64 v[34:35], v[34:35], v[26:27]
	v_add_f64 v[36:37], v[36:37], v[28:29]
	ds_load_b128 v[2:5], v1 offset:1664
	ds_load_b128 v[26:29], v1 offset:1680
	v_fma_f64 v[32:33], v[32:33], v[6:7], v[38:39]
	v_fma_f64 v[6:7], v[30:31], v[6:7], -v[8:9]
	s_waitcnt vmcnt(3) lgkmcnt(1)
	v_mul_f64 v[44:45], v[2:3], v[12:13]
	v_mul_f64 v[12:13], v[4:5], v[12:13]
	v_add_f64 v[8:9], v[34:35], v[42:43]
	v_add_f64 v[30:31], v[36:37], v[40:41]
	s_waitcnt vmcnt(2) lgkmcnt(0)
	v_mul_f64 v[34:35], v[26:27], v[16:17]
	v_mul_f64 v[16:17], v[28:29], v[16:17]
	v_fma_f64 v[36:37], v[4:5], v[10:11], v[44:45]
	v_fma_f64 v[10:11], v[2:3], v[10:11], -v[12:13]
	v_add_f64 v[12:13], v[8:9], v[6:7]
	v_add_f64 v[30:31], v[30:31], v[32:33]
	ds_load_b128 v[2:5], v1 offset:1696
	ds_load_b128 v[6:9], v1 offset:1712
	v_fma_f64 v[28:29], v[28:29], v[14:15], v[34:35]
	v_fma_f64 v[14:15], v[26:27], v[14:15], -v[16:17]
	s_waitcnt vmcnt(1) lgkmcnt(1)
	v_mul_f64 v[32:33], v[2:3], v[20:21]
	v_mul_f64 v[20:21], v[4:5], v[20:21]
	s_waitcnt vmcnt(0) lgkmcnt(0)
	v_mul_f64 v[16:17], v[6:7], v[24:25]
	v_mul_f64 v[24:25], v[8:9], v[24:25]
	v_add_f64 v[10:11], v[12:13], v[10:11]
	v_add_f64 v[12:13], v[30:31], v[36:37]
	v_fma_f64 v[4:5], v[4:5], v[18:19], v[32:33]
	v_fma_f64 v[1:2], v[2:3], v[18:19], -v[20:21]
	v_fma_f64 v[8:9], v[8:9], v[22:23], v[16:17]
	v_fma_f64 v[6:7], v[6:7], v[22:23], -v[24:25]
	v_add_f64 v[10:11], v[10:11], v[14:15]
	v_add_f64 v[12:13], v[12:13], v[28:29]
	s_delay_alu instid0(VALU_DEP_2) | instskip(NEXT) | instid1(VALU_DEP_2)
	v_add_f64 v[1:2], v[10:11], v[1:2]
	v_add_f64 v[3:4], v[12:13], v[4:5]
	s_delay_alu instid0(VALU_DEP_2) | instskip(NEXT) | instid1(VALU_DEP_2)
	;; [unrolled: 3-line block ×3, first 2 shown]
	v_add_f64 v[1:2], v[157:158], -v[1:2]
	v_add_f64 v[3:4], v[159:160], -v[3:4]
	scratch_store_b128 off, v[1:4], off offset:432
	v_cmpx_lt_u32_e32 26, v154
	s_cbranch_execz .LBB117_285
; %bb.284:
	scratch_load_b128 v[1:4], v182, off
	v_mov_b32_e32 v5, 0
	s_delay_alu instid0(VALU_DEP_1)
	v_mov_b32_e32 v6, v5
	v_mov_b32_e32 v7, v5
	;; [unrolled: 1-line block ×3, first 2 shown]
	scratch_store_b128 off, v[5:8], off offset:416
	s_waitcnt vmcnt(0)
	ds_store_b128 v208, v[1:4]
.LBB117_285:
	s_or_b32 exec_lo, exec_lo, s2
	s_waitcnt lgkmcnt(0)
	s_waitcnt_vscnt null, 0x0
	s_barrier
	buffer_gl0_inv
	s_clause 0x7
	scratch_load_b128 v[2:5], off, off offset:432
	scratch_load_b128 v[6:9], off, off offset:448
	;; [unrolled: 1-line block ×8, first 2 shown]
	v_mov_b32_e32 v1, 0
	s_mov_b32 s2, exec_lo
	ds_load_b128 v[38:41], v1 offset:1296
	s_clause 0x1
	scratch_load_b128 v[34:37], off, off offset:560
	scratch_load_b128 v[42:45], off, off offset:416
	ds_load_b128 v[157:160], v1 offset:1312
	scratch_load_b128 v[171:174], off, off offset:576
	ds_load_b128 v[220:223], v1 offset:1344
	s_waitcnt vmcnt(10) lgkmcnt(2)
	v_mul_f64 v[48:49], v[40:41], v[4:5]
	v_mul_f64 v[4:5], v[38:39], v[4:5]
	s_delay_alu instid0(VALU_DEP_2) | instskip(NEXT) | instid1(VALU_DEP_2)
	v_fma_f64 v[48:49], v[38:39], v[2:3], -v[48:49]
	v_fma_f64 v[164:165], v[40:41], v[2:3], v[4:5]
	ds_load_b128 v[2:5], v1 offset:1328
	s_waitcnt vmcnt(9) lgkmcnt(2)
	v_mul_f64 v[50:51], v[157:158], v[8:9]
	v_mul_f64 v[8:9], v[159:160], v[8:9]
	scratch_load_b128 v[38:41], off, off offset:592
	s_waitcnt vmcnt(9) lgkmcnt(0)
	v_mul_f64 v[168:169], v[2:3], v[12:13]
	v_mul_f64 v[12:13], v[4:5], v[12:13]
	v_add_f64 v[48:49], v[48:49], 0
	v_fma_f64 v[50:51], v[159:160], v[6:7], v[50:51]
	v_fma_f64 v[157:158], v[157:158], v[6:7], -v[8:9]
	v_add_f64 v[159:160], v[164:165], 0
	scratch_load_b128 v[6:9], off, off offset:608
	v_fma_f64 v[168:169], v[4:5], v[10:11], v[168:169]
	v_fma_f64 v[226:227], v[2:3], v[10:11], -v[12:13]
	scratch_load_b128 v[10:13], off, off offset:624
	ds_load_b128 v[2:5], v1 offset:1360
	s_waitcnt vmcnt(10)
	v_mul_f64 v[164:165], v[220:221], v[16:17]
	v_mul_f64 v[16:17], v[222:223], v[16:17]
	v_add_f64 v[48:49], v[48:49], v[157:158]
	v_add_f64 v[50:51], v[159:160], v[50:51]
	ds_load_b128 v[157:160], v1 offset:1376
	s_waitcnt vmcnt(9) lgkmcnt(1)
	v_mul_f64 v[228:229], v[2:3], v[20:21]
	v_mul_f64 v[20:21], v[4:5], v[20:21]
	v_fma_f64 v[164:165], v[222:223], v[14:15], v[164:165]
	v_fma_f64 v[220:221], v[220:221], v[14:15], -v[16:17]
	scratch_load_b128 v[14:17], off, off offset:640
	v_add_f64 v[48:49], v[48:49], v[226:227]
	v_add_f64 v[50:51], v[50:51], v[168:169]
	v_fma_f64 v[226:227], v[4:5], v[18:19], v[228:229]
	v_fma_f64 v[228:229], v[2:3], v[18:19], -v[20:21]
	scratch_load_b128 v[18:21], off, off offset:656
	ds_load_b128 v[2:5], v1 offset:1392
	s_waitcnt vmcnt(10) lgkmcnt(1)
	v_mul_f64 v[168:169], v[157:158], v[24:25]
	v_mul_f64 v[24:25], v[159:160], v[24:25]
	v_add_f64 v[48:49], v[48:49], v[220:221]
	v_add_f64 v[50:51], v[50:51], v[164:165]
	s_waitcnt vmcnt(9) lgkmcnt(0)
	v_mul_f64 v[164:165], v[2:3], v[28:29]
	v_mul_f64 v[28:29], v[4:5], v[28:29]
	ds_load_b128 v[220:223], v1 offset:1408
	v_fma_f64 v[159:160], v[159:160], v[22:23], v[168:169]
	v_fma_f64 v[157:158], v[157:158], v[22:23], -v[24:25]
	scratch_load_b128 v[22:25], off, off offset:672
	v_add_f64 v[48:49], v[48:49], v[228:229]
	v_add_f64 v[50:51], v[50:51], v[226:227]
	v_fma_f64 v[164:165], v[4:5], v[26:27], v[164:165]
	v_fma_f64 v[226:227], v[2:3], v[26:27], -v[28:29]
	scratch_load_b128 v[26:29], off, off offset:688
	ds_load_b128 v[2:5], v1 offset:1424
	s_waitcnt vmcnt(10) lgkmcnt(1)
	v_mul_f64 v[168:169], v[220:221], v[32:33]
	v_mul_f64 v[32:33], v[222:223], v[32:33]
	s_waitcnt vmcnt(9) lgkmcnt(0)
	v_mul_f64 v[228:229], v[2:3], v[36:37]
	v_mul_f64 v[36:37], v[4:5], v[36:37]
	v_add_f64 v[48:49], v[48:49], v[157:158]
	v_add_f64 v[50:51], v[50:51], v[159:160]
	ds_load_b128 v[157:160], v1 offset:1440
	v_fma_f64 v[168:169], v[222:223], v[30:31], v[168:169]
	v_fma_f64 v[220:221], v[220:221], v[30:31], -v[32:33]
	scratch_load_b128 v[30:33], off, off offset:704
	v_add_f64 v[48:49], v[48:49], v[226:227]
	v_add_f64 v[50:51], v[50:51], v[164:165]
	v_fma_f64 v[226:227], v[4:5], v[34:35], v[228:229]
	v_fma_f64 v[228:229], v[2:3], v[34:35], -v[36:37]
	scratch_load_b128 v[34:37], off, off offset:720
	ds_load_b128 v[2:5], v1 offset:1456
	s_waitcnt vmcnt(9) lgkmcnt(1)
	v_mul_f64 v[164:165], v[157:158], v[173:174]
	v_mul_f64 v[173:174], v[159:160], v[173:174]
	v_add_f64 v[48:49], v[48:49], v[220:221]
	v_add_f64 v[50:51], v[50:51], v[168:169]
	ds_load_b128 v[220:223], v1 offset:1472
	v_fma_f64 v[164:165], v[159:160], v[171:172], v[164:165]
	v_fma_f64 v[171:172], v[157:158], v[171:172], -v[173:174]
	scratch_load_b128 v[157:160], off, off offset:736
	s_waitcnt vmcnt(9) lgkmcnt(1)
	v_mul_f64 v[168:169], v[2:3], v[40:41]
	v_mul_f64 v[40:41], v[4:5], v[40:41]
	v_add_f64 v[48:49], v[48:49], v[228:229]
	v_add_f64 v[50:51], v[50:51], v[226:227]
	s_delay_alu instid0(VALU_DEP_4) | instskip(NEXT) | instid1(VALU_DEP_4)
	v_fma_f64 v[168:169], v[4:5], v[38:39], v[168:169]
	v_fma_f64 v[228:229], v[2:3], v[38:39], -v[40:41]
	scratch_load_b128 v[38:41], off, off offset:752
	ds_load_b128 v[2:5], v1 offset:1488
	s_waitcnt vmcnt(9) lgkmcnt(1)
	v_mul_f64 v[226:227], v[220:221], v[8:9]
	v_mul_f64 v[8:9], v[222:223], v[8:9]
	v_add_f64 v[48:49], v[48:49], v[171:172]
	v_add_f64 v[50:51], v[50:51], v[164:165]
	s_waitcnt vmcnt(8) lgkmcnt(0)
	v_mul_f64 v[164:165], v[2:3], v[12:13]
	v_mul_f64 v[12:13], v[4:5], v[12:13]
	ds_load_b128 v[171:174], v1 offset:1504
	v_fma_f64 v[222:223], v[222:223], v[6:7], v[226:227]
	v_fma_f64 v[220:221], v[220:221], v[6:7], -v[8:9]
	scratch_load_b128 v[6:9], off, off offset:768
	v_add_f64 v[48:49], v[48:49], v[228:229]
	v_add_f64 v[50:51], v[50:51], v[168:169]
	v_fma_f64 v[164:165], v[4:5], v[10:11], v[164:165]
	v_fma_f64 v[226:227], v[2:3], v[10:11], -v[12:13]
	scratch_load_b128 v[10:13], off, off offset:784
	ds_load_b128 v[2:5], v1 offset:1520
	s_waitcnt vmcnt(9) lgkmcnt(1)
	v_mul_f64 v[168:169], v[171:172], v[16:17]
	v_mul_f64 v[16:17], v[173:174], v[16:17]
	s_waitcnt vmcnt(8) lgkmcnt(0)
	v_mul_f64 v[228:229], v[2:3], v[20:21]
	v_mul_f64 v[20:21], v[4:5], v[20:21]
	v_add_f64 v[48:49], v[48:49], v[220:221]
	v_add_f64 v[50:51], v[50:51], v[222:223]
	ds_load_b128 v[220:223], v1 offset:1536
	v_fma_f64 v[168:169], v[173:174], v[14:15], v[168:169]
	v_fma_f64 v[171:172], v[171:172], v[14:15], -v[16:17]
	scratch_load_b128 v[14:17], off, off offset:800
	v_add_f64 v[48:49], v[48:49], v[226:227]
	v_add_f64 v[50:51], v[50:51], v[164:165]
	v_fma_f64 v[226:227], v[4:5], v[18:19], v[228:229]
	v_fma_f64 v[228:229], v[2:3], v[18:19], -v[20:21]
	scratch_load_b128 v[18:21], off, off offset:816
	ds_load_b128 v[2:5], v1 offset:1552
	s_waitcnt vmcnt(9) lgkmcnt(1)
	v_mul_f64 v[164:165], v[220:221], v[24:25]
	v_mul_f64 v[24:25], v[222:223], v[24:25]
	v_add_f64 v[48:49], v[48:49], v[171:172]
	v_add_f64 v[50:51], v[50:51], v[168:169]
	s_waitcnt vmcnt(8) lgkmcnt(0)
	v_mul_f64 v[168:169], v[2:3], v[28:29]
	v_mul_f64 v[28:29], v[4:5], v[28:29]
	ds_load_b128 v[171:174], v1 offset:1568
	v_fma_f64 v[164:165], v[222:223], v[22:23], v[164:165]
	v_fma_f64 v[220:221], v[220:221], v[22:23], -v[24:25]
	scratch_load_b128 v[22:25], off, off offset:832
	v_add_f64 v[48:49], v[48:49], v[228:229]
	v_add_f64 v[50:51], v[50:51], v[226:227]
	v_fma_f64 v[168:169], v[4:5], v[26:27], v[168:169]
	v_fma_f64 v[228:229], v[2:3], v[26:27], -v[28:29]
	scratch_load_b128 v[26:29], off, off offset:848
	ds_load_b128 v[2:5], v1 offset:1584
	s_waitcnt vmcnt(9) lgkmcnt(1)
	v_mul_f64 v[226:227], v[171:172], v[32:33]
	v_mul_f64 v[32:33], v[173:174], v[32:33]
	v_add_f64 v[48:49], v[48:49], v[220:221]
	v_add_f64 v[50:51], v[50:51], v[164:165]
	s_waitcnt vmcnt(8) lgkmcnt(0)
	v_mul_f64 v[164:165], v[2:3], v[36:37]
	v_mul_f64 v[36:37], v[4:5], v[36:37]
	ds_load_b128 v[220:223], v1 offset:1600
	v_fma_f64 v[173:174], v[173:174], v[30:31], v[226:227]
	v_fma_f64 v[30:31], v[171:172], v[30:31], -v[32:33]
	v_add_f64 v[32:33], v[48:49], v[228:229]
	v_add_f64 v[48:49], v[50:51], v[168:169]
	s_waitcnt vmcnt(7) lgkmcnt(0)
	v_mul_f64 v[50:51], v[220:221], v[159:160]
	v_mul_f64 v[159:160], v[222:223], v[159:160]
	v_fma_f64 v[164:165], v[4:5], v[34:35], v[164:165]
	v_fma_f64 v[34:35], v[2:3], v[34:35], -v[36:37]
	v_add_f64 v[36:37], v[32:33], v[30:31]
	v_add_f64 v[48:49], v[48:49], v[173:174]
	ds_load_b128 v[2:5], v1 offset:1616
	ds_load_b128 v[30:33], v1 offset:1632
	v_fma_f64 v[50:51], v[222:223], v[157:158], v[50:51]
	v_fma_f64 v[157:158], v[220:221], v[157:158], -v[159:160]
	s_waitcnt vmcnt(6) lgkmcnt(1)
	v_mul_f64 v[168:169], v[2:3], v[40:41]
	v_mul_f64 v[40:41], v[4:5], v[40:41]
	v_add_f64 v[34:35], v[36:37], v[34:35]
	v_add_f64 v[36:37], v[48:49], v[164:165]
	s_waitcnt vmcnt(5) lgkmcnt(0)
	v_mul_f64 v[48:49], v[30:31], v[8:9]
	v_mul_f64 v[8:9], v[32:33], v[8:9]
	v_fma_f64 v[159:160], v[4:5], v[38:39], v[168:169]
	v_fma_f64 v[38:39], v[2:3], v[38:39], -v[40:41]
	v_add_f64 v[40:41], v[34:35], v[157:158]
	v_add_f64 v[50:51], v[36:37], v[50:51]
	ds_load_b128 v[2:5], v1 offset:1648
	ds_load_b128 v[34:37], v1 offset:1664
	v_fma_f64 v[32:33], v[32:33], v[6:7], v[48:49]
	v_fma_f64 v[6:7], v[30:31], v[6:7], -v[8:9]
	s_waitcnt vmcnt(4) lgkmcnt(1)
	v_mul_f64 v[157:158], v[2:3], v[12:13]
	v_mul_f64 v[12:13], v[4:5], v[12:13]
	;; [unrolled: 16-line block ×3, first 2 shown]
	s_waitcnt vmcnt(1) lgkmcnt(0)
	v_mul_f64 v[16:17], v[6:7], v[24:25]
	v_mul_f64 v[24:25], v[8:9], v[24:25]
	v_add_f64 v[10:11], v[12:13], v[10:11]
	v_add_f64 v[12:13], v[30:31], v[40:41]
	v_fma_f64 v[30:31], v[4:5], v[18:19], v[32:33]
	v_fma_f64 v[18:19], v[2:3], v[18:19], -v[20:21]
	ds_load_b128 v[2:5], v1 offset:1712
	v_fma_f64 v[8:9], v[8:9], v[22:23], v[16:17]
	v_fma_f64 v[6:7], v[6:7], v[22:23], -v[24:25]
	v_add_f64 v[10:11], v[10:11], v[14:15]
	v_add_f64 v[12:13], v[12:13], v[36:37]
	s_waitcnt vmcnt(0) lgkmcnt(0)
	v_mul_f64 v[14:15], v[2:3], v[28:29]
	v_mul_f64 v[20:21], v[4:5], v[28:29]
	s_delay_alu instid0(VALU_DEP_4) | instskip(NEXT) | instid1(VALU_DEP_4)
	v_add_f64 v[10:11], v[10:11], v[18:19]
	v_add_f64 v[12:13], v[12:13], v[30:31]
	s_delay_alu instid0(VALU_DEP_4) | instskip(NEXT) | instid1(VALU_DEP_4)
	v_fma_f64 v[4:5], v[4:5], v[26:27], v[14:15]
	v_fma_f64 v[2:3], v[2:3], v[26:27], -v[20:21]
	s_delay_alu instid0(VALU_DEP_4) | instskip(NEXT) | instid1(VALU_DEP_4)
	v_add_f64 v[6:7], v[10:11], v[6:7]
	v_add_f64 v[8:9], v[12:13], v[8:9]
	s_delay_alu instid0(VALU_DEP_2) | instskip(NEXT) | instid1(VALU_DEP_2)
	v_add_f64 v[2:3], v[6:7], v[2:3]
	v_add_f64 v[4:5], v[8:9], v[4:5]
	s_delay_alu instid0(VALU_DEP_2) | instskip(NEXT) | instid1(VALU_DEP_2)
	v_add_f64 v[2:3], v[42:43], -v[2:3]
	v_add_f64 v[4:5], v[44:45], -v[4:5]
	scratch_store_b128 off, v[2:5], off offset:416
	v_cmpx_lt_u32_e32 25, v154
	s_cbranch_execz .LBB117_287
; %bb.286:
	scratch_load_b128 v[5:8], v183, off
	v_mov_b32_e32 v2, v1
	v_mov_b32_e32 v3, v1
	;; [unrolled: 1-line block ×3, first 2 shown]
	scratch_store_b128 off, v[1:4], off offset:400
	s_waitcnt vmcnt(0)
	ds_store_b128 v208, v[5:8]
.LBB117_287:
	s_or_b32 exec_lo, exec_lo, s2
	s_waitcnt lgkmcnt(0)
	s_waitcnt_vscnt null, 0x0
	s_barrier
	buffer_gl0_inv
	s_clause 0x8
	scratch_load_b128 v[2:5], off, off offset:416
	scratch_load_b128 v[6:9], off, off offset:432
	;; [unrolled: 1-line block ×9, first 2 shown]
	ds_load_b128 v[42:45], v1 offset:1280
	ds_load_b128 v[38:41], v1 offset:1296
	s_clause 0x1
	scratch_load_b128 v[157:160], off, off offset:400
	scratch_load_b128 v[171:174], off, off offset:560
	s_mov_b32 s2, exec_lo
	ds_load_b128 v[220:223], v1 offset:1328
	s_waitcnt vmcnt(10) lgkmcnt(2)
	v_mul_f64 v[48:49], v[44:45], v[4:5]
	v_mul_f64 v[4:5], v[42:43], v[4:5]
	s_waitcnt vmcnt(9) lgkmcnt(1)
	v_mul_f64 v[50:51], v[38:39], v[8:9]
	v_mul_f64 v[8:9], v[40:41], v[8:9]
	s_delay_alu instid0(VALU_DEP_4) | instskip(NEXT) | instid1(VALU_DEP_4)
	v_fma_f64 v[48:49], v[42:43], v[2:3], -v[48:49]
	v_fma_f64 v[164:165], v[44:45], v[2:3], v[4:5]
	ds_load_b128 v[2:5], v1 offset:1312
	scratch_load_b128 v[42:45], off, off offset:576
	v_fma_f64 v[40:41], v[40:41], v[6:7], v[50:51]
	v_fma_f64 v[38:39], v[38:39], v[6:7], -v[8:9]
	scratch_load_b128 v[6:9], off, off offset:592
	s_waitcnt vmcnt(10) lgkmcnt(0)
	v_mul_f64 v[168:169], v[2:3], v[12:13]
	v_mul_f64 v[12:13], v[4:5], v[12:13]
	v_add_f64 v[48:49], v[48:49], 0
	v_add_f64 v[50:51], v[164:165], 0
	s_waitcnt vmcnt(9)
	v_mul_f64 v[164:165], v[220:221], v[16:17]
	v_mul_f64 v[16:17], v[222:223], v[16:17]
	v_fma_f64 v[168:169], v[4:5], v[10:11], v[168:169]
	v_fma_f64 v[226:227], v[2:3], v[10:11], -v[12:13]
	ds_load_b128 v[2:5], v1 offset:1344
	scratch_load_b128 v[10:13], off, off offset:608
	v_add_f64 v[48:49], v[48:49], v[38:39]
	v_add_f64 v[50:51], v[50:51], v[40:41]
	ds_load_b128 v[38:41], v1 offset:1360
	v_fma_f64 v[164:165], v[222:223], v[14:15], v[164:165]
	v_fma_f64 v[220:221], v[220:221], v[14:15], -v[16:17]
	scratch_load_b128 v[14:17], off, off offset:624
	s_waitcnt vmcnt(10) lgkmcnt(1)
	v_mul_f64 v[228:229], v[2:3], v[20:21]
	v_mul_f64 v[20:21], v[4:5], v[20:21]
	v_add_f64 v[48:49], v[48:49], v[226:227]
	v_add_f64 v[50:51], v[50:51], v[168:169]
	s_waitcnt vmcnt(9) lgkmcnt(0)
	v_mul_f64 v[168:169], v[38:39], v[24:25]
	v_mul_f64 v[24:25], v[40:41], v[24:25]
	v_fma_f64 v[226:227], v[4:5], v[18:19], v[228:229]
	v_fma_f64 v[228:229], v[2:3], v[18:19], -v[20:21]
	ds_load_b128 v[2:5], v1 offset:1376
	scratch_load_b128 v[18:21], off, off offset:640
	v_add_f64 v[48:49], v[48:49], v[220:221]
	v_add_f64 v[50:51], v[50:51], v[164:165]
	ds_load_b128 v[220:223], v1 offset:1392
	s_waitcnt vmcnt(9) lgkmcnt(1)
	v_mul_f64 v[164:165], v[2:3], v[28:29]
	v_mul_f64 v[28:29], v[4:5], v[28:29]
	v_fma_f64 v[40:41], v[40:41], v[22:23], v[168:169]
	v_fma_f64 v[38:39], v[38:39], v[22:23], -v[24:25]
	scratch_load_b128 v[22:25], off, off offset:656
	s_waitcnt vmcnt(9) lgkmcnt(0)
	v_mul_f64 v[168:169], v[220:221], v[32:33]
	v_mul_f64 v[32:33], v[222:223], v[32:33]
	v_add_f64 v[48:49], v[48:49], v[228:229]
	v_add_f64 v[50:51], v[50:51], v[226:227]
	v_fma_f64 v[164:165], v[4:5], v[26:27], v[164:165]
	v_fma_f64 v[226:227], v[2:3], v[26:27], -v[28:29]
	ds_load_b128 v[2:5], v1 offset:1408
	scratch_load_b128 v[26:29], off, off offset:672
	v_fma_f64 v[168:169], v[222:223], v[30:31], v[168:169]
	v_fma_f64 v[220:221], v[220:221], v[30:31], -v[32:33]
	scratch_load_b128 v[30:33], off, off offset:688
	v_add_f64 v[48:49], v[48:49], v[38:39]
	v_add_f64 v[50:51], v[50:51], v[40:41]
	ds_load_b128 v[38:41], v1 offset:1424
	s_waitcnt vmcnt(10) lgkmcnt(1)
	v_mul_f64 v[228:229], v[2:3], v[36:37]
	v_mul_f64 v[36:37], v[4:5], v[36:37]
	v_add_f64 v[48:49], v[48:49], v[226:227]
	v_add_f64 v[50:51], v[50:51], v[164:165]
	s_waitcnt vmcnt(8) lgkmcnt(0)
	v_mul_f64 v[164:165], v[38:39], v[173:174]
	v_mul_f64 v[173:174], v[40:41], v[173:174]
	v_fma_f64 v[226:227], v[4:5], v[34:35], v[228:229]
	v_fma_f64 v[228:229], v[2:3], v[34:35], -v[36:37]
	ds_load_b128 v[2:5], v1 offset:1440
	scratch_load_b128 v[34:37], off, off offset:704
	v_add_f64 v[48:49], v[48:49], v[220:221]
	v_add_f64 v[50:51], v[50:51], v[168:169]
	ds_load_b128 v[220:223], v1 offset:1456
	v_fma_f64 v[164:165], v[40:41], v[171:172], v[164:165]
	v_fma_f64 v[171:172], v[38:39], v[171:172], -v[173:174]
	scratch_load_b128 v[38:41], off, off offset:720
	s_waitcnt vmcnt(9) lgkmcnt(1)
	v_mul_f64 v[168:169], v[2:3], v[44:45]
	v_mul_f64 v[44:45], v[4:5], v[44:45]
	v_add_f64 v[48:49], v[48:49], v[228:229]
	v_add_f64 v[50:51], v[50:51], v[226:227]
	s_waitcnt vmcnt(8) lgkmcnt(0)
	v_mul_f64 v[226:227], v[220:221], v[8:9]
	v_mul_f64 v[8:9], v[222:223], v[8:9]
	v_fma_f64 v[168:169], v[4:5], v[42:43], v[168:169]
	v_fma_f64 v[228:229], v[2:3], v[42:43], -v[44:45]
	ds_load_b128 v[2:5], v1 offset:1472
	scratch_load_b128 v[42:45], off, off offset:736
	v_add_f64 v[48:49], v[48:49], v[171:172]
	v_add_f64 v[50:51], v[50:51], v[164:165]
	ds_load_b128 v[171:174], v1 offset:1488
	s_waitcnt vmcnt(8) lgkmcnt(1)
	v_mul_f64 v[164:165], v[2:3], v[12:13]
	v_mul_f64 v[12:13], v[4:5], v[12:13]
	v_fma_f64 v[222:223], v[222:223], v[6:7], v[226:227]
	v_fma_f64 v[220:221], v[220:221], v[6:7], -v[8:9]
	scratch_load_b128 v[6:9], off, off offset:752
	v_add_f64 v[48:49], v[48:49], v[228:229]
	v_add_f64 v[50:51], v[50:51], v[168:169]
	s_waitcnt vmcnt(8) lgkmcnt(0)
	v_mul_f64 v[168:169], v[171:172], v[16:17]
	v_mul_f64 v[16:17], v[173:174], v[16:17]
	v_fma_f64 v[164:165], v[4:5], v[10:11], v[164:165]
	v_fma_f64 v[226:227], v[2:3], v[10:11], -v[12:13]
	ds_load_b128 v[2:5], v1 offset:1504
	scratch_load_b128 v[10:13], off, off offset:768
	v_add_f64 v[48:49], v[48:49], v[220:221]
	v_add_f64 v[50:51], v[50:51], v[222:223]
	ds_load_b128 v[220:223], v1 offset:1520
	s_waitcnt vmcnt(8) lgkmcnt(1)
	v_mul_f64 v[228:229], v[2:3], v[20:21]
	v_mul_f64 v[20:21], v[4:5], v[20:21]
	v_fma_f64 v[168:169], v[173:174], v[14:15], v[168:169]
	v_fma_f64 v[171:172], v[171:172], v[14:15], -v[16:17]
	scratch_load_b128 v[14:17], off, off offset:784
	;; [unrolled: 18-line block ×4, first 2 shown]
	v_add_f64 v[48:49], v[48:49], v[228:229]
	v_add_f64 v[50:51], v[50:51], v[168:169]
	s_waitcnt vmcnt(8) lgkmcnt(0)
	v_mul_f64 v[168:169], v[220:221], v[40:41]
	v_mul_f64 v[40:41], v[222:223], v[40:41]
	v_fma_f64 v[164:165], v[4:5], v[34:35], v[164:165]
	v_fma_f64 v[226:227], v[2:3], v[34:35], -v[36:37]
	ds_load_b128 v[2:5], v1 offset:1600
	ds_load_b128 v[34:37], v1 offset:1616
	v_add_f64 v[48:49], v[48:49], v[171:172]
	v_add_f64 v[50:51], v[50:51], v[173:174]
	s_waitcnt vmcnt(7) lgkmcnt(1)
	v_mul_f64 v[171:172], v[2:3], v[44:45]
	v_mul_f64 v[44:45], v[4:5], v[44:45]
	v_fma_f64 v[168:169], v[222:223], v[38:39], v[168:169]
	v_fma_f64 v[38:39], v[220:221], v[38:39], -v[40:41]
	v_add_f64 v[40:41], v[48:49], v[226:227]
	v_add_f64 v[48:49], v[50:51], v[164:165]
	s_waitcnt vmcnt(6) lgkmcnt(0)
	v_mul_f64 v[50:51], v[34:35], v[8:9]
	v_mul_f64 v[8:9], v[36:37], v[8:9]
	v_fma_f64 v[164:165], v[4:5], v[42:43], v[171:172]
	v_fma_f64 v[42:43], v[2:3], v[42:43], -v[44:45]
	v_add_f64 v[44:45], v[40:41], v[38:39]
	v_add_f64 v[48:49], v[48:49], v[168:169]
	ds_load_b128 v[2:5], v1 offset:1632
	ds_load_b128 v[38:41], v1 offset:1648
	v_fma_f64 v[36:37], v[36:37], v[6:7], v[50:51]
	v_fma_f64 v[6:7], v[34:35], v[6:7], -v[8:9]
	s_waitcnt vmcnt(5) lgkmcnt(1)
	v_mul_f64 v[168:169], v[2:3], v[12:13]
	v_mul_f64 v[12:13], v[4:5], v[12:13]
	v_add_f64 v[8:9], v[44:45], v[42:43]
	v_add_f64 v[34:35], v[48:49], v[164:165]
	s_waitcnt vmcnt(4) lgkmcnt(0)
	v_mul_f64 v[42:43], v[38:39], v[16:17]
	v_mul_f64 v[16:17], v[40:41], v[16:17]
	v_fma_f64 v[44:45], v[4:5], v[10:11], v[168:169]
	v_fma_f64 v[10:11], v[2:3], v[10:11], -v[12:13]
	v_add_f64 v[12:13], v[8:9], v[6:7]
	v_add_f64 v[34:35], v[34:35], v[36:37]
	ds_load_b128 v[2:5], v1 offset:1664
	ds_load_b128 v[6:9], v1 offset:1680
	v_fma_f64 v[40:41], v[40:41], v[14:15], v[42:43]
	v_fma_f64 v[14:15], v[38:39], v[14:15], -v[16:17]
	s_waitcnt vmcnt(3) lgkmcnt(1)
	v_mul_f64 v[36:37], v[2:3], v[20:21]
	v_mul_f64 v[20:21], v[4:5], v[20:21]
	s_waitcnt vmcnt(2) lgkmcnt(0)
	v_mul_f64 v[16:17], v[6:7], v[24:25]
	v_mul_f64 v[24:25], v[8:9], v[24:25]
	v_add_f64 v[10:11], v[12:13], v[10:11]
	v_add_f64 v[12:13], v[34:35], v[44:45]
	v_fma_f64 v[34:35], v[4:5], v[18:19], v[36:37]
	v_fma_f64 v[18:19], v[2:3], v[18:19], -v[20:21]
	v_fma_f64 v[8:9], v[8:9], v[22:23], v[16:17]
	v_fma_f64 v[6:7], v[6:7], v[22:23], -v[24:25]
	v_add_f64 v[14:15], v[10:11], v[14:15]
	v_add_f64 v[20:21], v[12:13], v[40:41]
	ds_load_b128 v[2:5], v1 offset:1696
	ds_load_b128 v[10:13], v1 offset:1712
	s_waitcnt vmcnt(1) lgkmcnt(1)
	v_mul_f64 v[36:37], v[2:3], v[28:29]
	v_mul_f64 v[28:29], v[4:5], v[28:29]
	v_add_f64 v[14:15], v[14:15], v[18:19]
	v_add_f64 v[16:17], v[20:21], v[34:35]
	s_waitcnt vmcnt(0) lgkmcnt(0)
	v_mul_f64 v[18:19], v[10:11], v[32:33]
	v_mul_f64 v[20:21], v[12:13], v[32:33]
	v_fma_f64 v[4:5], v[4:5], v[26:27], v[36:37]
	v_fma_f64 v[1:2], v[2:3], v[26:27], -v[28:29]
	v_add_f64 v[6:7], v[14:15], v[6:7]
	v_add_f64 v[8:9], v[16:17], v[8:9]
	v_fma_f64 v[12:13], v[12:13], v[30:31], v[18:19]
	v_fma_f64 v[10:11], v[10:11], v[30:31], -v[20:21]
	s_delay_alu instid0(VALU_DEP_4) | instskip(NEXT) | instid1(VALU_DEP_4)
	v_add_f64 v[1:2], v[6:7], v[1:2]
	v_add_f64 v[3:4], v[8:9], v[4:5]
	s_delay_alu instid0(VALU_DEP_2) | instskip(NEXT) | instid1(VALU_DEP_2)
	v_add_f64 v[1:2], v[1:2], v[10:11]
	v_add_f64 v[3:4], v[3:4], v[12:13]
	s_delay_alu instid0(VALU_DEP_2) | instskip(NEXT) | instid1(VALU_DEP_2)
	v_add_f64 v[1:2], v[157:158], -v[1:2]
	v_add_f64 v[3:4], v[159:160], -v[3:4]
	scratch_store_b128 off, v[1:4], off offset:400
	v_cmpx_lt_u32_e32 24, v154
	s_cbranch_execz .LBB117_289
; %bb.288:
	scratch_load_b128 v[1:4], v184, off
	v_mov_b32_e32 v5, 0
	s_delay_alu instid0(VALU_DEP_1)
	v_mov_b32_e32 v6, v5
	v_mov_b32_e32 v7, v5
	;; [unrolled: 1-line block ×3, first 2 shown]
	scratch_store_b128 off, v[5:8], off offset:384
	s_waitcnt vmcnt(0)
	ds_store_b128 v208, v[1:4]
.LBB117_289:
	s_or_b32 exec_lo, exec_lo, s2
	s_waitcnt lgkmcnt(0)
	s_waitcnt_vscnt null, 0x0
	s_barrier
	buffer_gl0_inv
	s_clause 0x7
	scratch_load_b128 v[2:5], off, off offset:400
	scratch_load_b128 v[6:9], off, off offset:416
	;; [unrolled: 1-line block ×8, first 2 shown]
	v_mov_b32_e32 v1, 0
	s_mov_b32 s2, exec_lo
	ds_load_b128 v[38:41], v1 offset:1264
	s_clause 0x1
	scratch_load_b128 v[34:37], off, off offset:528
	scratch_load_b128 v[42:45], off, off offset:384
	ds_load_b128 v[157:160], v1 offset:1280
	scratch_load_b128 v[171:174], off, off offset:544
	ds_load_b128 v[220:223], v1 offset:1312
	s_waitcnt vmcnt(10) lgkmcnt(2)
	v_mul_f64 v[48:49], v[40:41], v[4:5]
	v_mul_f64 v[4:5], v[38:39], v[4:5]
	s_delay_alu instid0(VALU_DEP_2) | instskip(NEXT) | instid1(VALU_DEP_2)
	v_fma_f64 v[48:49], v[38:39], v[2:3], -v[48:49]
	v_fma_f64 v[164:165], v[40:41], v[2:3], v[4:5]
	ds_load_b128 v[2:5], v1 offset:1296
	s_waitcnt vmcnt(9) lgkmcnt(2)
	v_mul_f64 v[50:51], v[157:158], v[8:9]
	v_mul_f64 v[8:9], v[159:160], v[8:9]
	scratch_load_b128 v[38:41], off, off offset:560
	s_waitcnt vmcnt(9) lgkmcnt(0)
	v_mul_f64 v[168:169], v[2:3], v[12:13]
	v_mul_f64 v[12:13], v[4:5], v[12:13]
	v_add_f64 v[48:49], v[48:49], 0
	v_fma_f64 v[50:51], v[159:160], v[6:7], v[50:51]
	v_fma_f64 v[157:158], v[157:158], v[6:7], -v[8:9]
	v_add_f64 v[159:160], v[164:165], 0
	scratch_load_b128 v[6:9], off, off offset:576
	v_fma_f64 v[168:169], v[4:5], v[10:11], v[168:169]
	v_fma_f64 v[226:227], v[2:3], v[10:11], -v[12:13]
	scratch_load_b128 v[10:13], off, off offset:592
	ds_load_b128 v[2:5], v1 offset:1328
	s_waitcnt vmcnt(10)
	v_mul_f64 v[164:165], v[220:221], v[16:17]
	v_mul_f64 v[16:17], v[222:223], v[16:17]
	v_add_f64 v[48:49], v[48:49], v[157:158]
	v_add_f64 v[50:51], v[159:160], v[50:51]
	ds_load_b128 v[157:160], v1 offset:1344
	s_waitcnt vmcnt(9) lgkmcnt(1)
	v_mul_f64 v[228:229], v[2:3], v[20:21]
	v_mul_f64 v[20:21], v[4:5], v[20:21]
	v_fma_f64 v[164:165], v[222:223], v[14:15], v[164:165]
	v_fma_f64 v[220:221], v[220:221], v[14:15], -v[16:17]
	scratch_load_b128 v[14:17], off, off offset:608
	v_add_f64 v[48:49], v[48:49], v[226:227]
	v_add_f64 v[50:51], v[50:51], v[168:169]
	v_fma_f64 v[226:227], v[4:5], v[18:19], v[228:229]
	v_fma_f64 v[228:229], v[2:3], v[18:19], -v[20:21]
	scratch_load_b128 v[18:21], off, off offset:624
	ds_load_b128 v[2:5], v1 offset:1360
	s_waitcnt vmcnt(10) lgkmcnt(1)
	v_mul_f64 v[168:169], v[157:158], v[24:25]
	v_mul_f64 v[24:25], v[159:160], v[24:25]
	v_add_f64 v[48:49], v[48:49], v[220:221]
	v_add_f64 v[50:51], v[50:51], v[164:165]
	s_waitcnt vmcnt(9) lgkmcnt(0)
	v_mul_f64 v[164:165], v[2:3], v[28:29]
	v_mul_f64 v[28:29], v[4:5], v[28:29]
	ds_load_b128 v[220:223], v1 offset:1376
	v_fma_f64 v[159:160], v[159:160], v[22:23], v[168:169]
	v_fma_f64 v[157:158], v[157:158], v[22:23], -v[24:25]
	scratch_load_b128 v[22:25], off, off offset:640
	v_add_f64 v[48:49], v[48:49], v[228:229]
	v_add_f64 v[50:51], v[50:51], v[226:227]
	v_fma_f64 v[164:165], v[4:5], v[26:27], v[164:165]
	v_fma_f64 v[226:227], v[2:3], v[26:27], -v[28:29]
	scratch_load_b128 v[26:29], off, off offset:656
	ds_load_b128 v[2:5], v1 offset:1392
	s_waitcnt vmcnt(10) lgkmcnt(1)
	v_mul_f64 v[168:169], v[220:221], v[32:33]
	v_mul_f64 v[32:33], v[222:223], v[32:33]
	s_waitcnt vmcnt(9) lgkmcnt(0)
	v_mul_f64 v[228:229], v[2:3], v[36:37]
	v_mul_f64 v[36:37], v[4:5], v[36:37]
	v_add_f64 v[48:49], v[48:49], v[157:158]
	v_add_f64 v[50:51], v[50:51], v[159:160]
	ds_load_b128 v[157:160], v1 offset:1408
	v_fma_f64 v[168:169], v[222:223], v[30:31], v[168:169]
	v_fma_f64 v[220:221], v[220:221], v[30:31], -v[32:33]
	scratch_load_b128 v[30:33], off, off offset:672
	v_add_f64 v[48:49], v[48:49], v[226:227]
	v_add_f64 v[50:51], v[50:51], v[164:165]
	v_fma_f64 v[226:227], v[4:5], v[34:35], v[228:229]
	v_fma_f64 v[228:229], v[2:3], v[34:35], -v[36:37]
	scratch_load_b128 v[34:37], off, off offset:688
	ds_load_b128 v[2:5], v1 offset:1424
	s_waitcnt vmcnt(9) lgkmcnt(1)
	v_mul_f64 v[164:165], v[157:158], v[173:174]
	v_mul_f64 v[173:174], v[159:160], v[173:174]
	v_add_f64 v[48:49], v[48:49], v[220:221]
	v_add_f64 v[50:51], v[50:51], v[168:169]
	ds_load_b128 v[220:223], v1 offset:1440
	v_fma_f64 v[164:165], v[159:160], v[171:172], v[164:165]
	v_fma_f64 v[171:172], v[157:158], v[171:172], -v[173:174]
	scratch_load_b128 v[157:160], off, off offset:704
	s_waitcnt vmcnt(9) lgkmcnt(1)
	v_mul_f64 v[168:169], v[2:3], v[40:41]
	v_mul_f64 v[40:41], v[4:5], v[40:41]
	v_add_f64 v[48:49], v[48:49], v[228:229]
	v_add_f64 v[50:51], v[50:51], v[226:227]
	s_delay_alu instid0(VALU_DEP_4) | instskip(NEXT) | instid1(VALU_DEP_4)
	v_fma_f64 v[168:169], v[4:5], v[38:39], v[168:169]
	v_fma_f64 v[228:229], v[2:3], v[38:39], -v[40:41]
	scratch_load_b128 v[38:41], off, off offset:720
	ds_load_b128 v[2:5], v1 offset:1456
	s_waitcnt vmcnt(9) lgkmcnt(1)
	v_mul_f64 v[226:227], v[220:221], v[8:9]
	v_mul_f64 v[8:9], v[222:223], v[8:9]
	v_add_f64 v[48:49], v[48:49], v[171:172]
	v_add_f64 v[50:51], v[50:51], v[164:165]
	s_waitcnt vmcnt(8) lgkmcnt(0)
	v_mul_f64 v[164:165], v[2:3], v[12:13]
	v_mul_f64 v[12:13], v[4:5], v[12:13]
	ds_load_b128 v[171:174], v1 offset:1472
	v_fma_f64 v[222:223], v[222:223], v[6:7], v[226:227]
	v_fma_f64 v[220:221], v[220:221], v[6:7], -v[8:9]
	scratch_load_b128 v[6:9], off, off offset:736
	v_add_f64 v[48:49], v[48:49], v[228:229]
	v_add_f64 v[50:51], v[50:51], v[168:169]
	v_fma_f64 v[164:165], v[4:5], v[10:11], v[164:165]
	v_fma_f64 v[226:227], v[2:3], v[10:11], -v[12:13]
	scratch_load_b128 v[10:13], off, off offset:752
	ds_load_b128 v[2:5], v1 offset:1488
	s_waitcnt vmcnt(9) lgkmcnt(1)
	v_mul_f64 v[168:169], v[171:172], v[16:17]
	v_mul_f64 v[16:17], v[173:174], v[16:17]
	s_waitcnt vmcnt(8) lgkmcnt(0)
	v_mul_f64 v[228:229], v[2:3], v[20:21]
	v_mul_f64 v[20:21], v[4:5], v[20:21]
	v_add_f64 v[48:49], v[48:49], v[220:221]
	v_add_f64 v[50:51], v[50:51], v[222:223]
	ds_load_b128 v[220:223], v1 offset:1504
	v_fma_f64 v[168:169], v[173:174], v[14:15], v[168:169]
	v_fma_f64 v[171:172], v[171:172], v[14:15], -v[16:17]
	scratch_load_b128 v[14:17], off, off offset:768
	v_add_f64 v[48:49], v[48:49], v[226:227]
	v_add_f64 v[50:51], v[50:51], v[164:165]
	v_fma_f64 v[226:227], v[4:5], v[18:19], v[228:229]
	v_fma_f64 v[228:229], v[2:3], v[18:19], -v[20:21]
	scratch_load_b128 v[18:21], off, off offset:784
	ds_load_b128 v[2:5], v1 offset:1520
	s_waitcnt vmcnt(9) lgkmcnt(1)
	v_mul_f64 v[164:165], v[220:221], v[24:25]
	v_mul_f64 v[24:25], v[222:223], v[24:25]
	v_add_f64 v[48:49], v[48:49], v[171:172]
	v_add_f64 v[50:51], v[50:51], v[168:169]
	s_waitcnt vmcnt(8) lgkmcnt(0)
	v_mul_f64 v[168:169], v[2:3], v[28:29]
	v_mul_f64 v[28:29], v[4:5], v[28:29]
	ds_load_b128 v[171:174], v1 offset:1536
	v_fma_f64 v[164:165], v[222:223], v[22:23], v[164:165]
	v_fma_f64 v[220:221], v[220:221], v[22:23], -v[24:25]
	scratch_load_b128 v[22:25], off, off offset:800
	v_add_f64 v[48:49], v[48:49], v[228:229]
	v_add_f64 v[50:51], v[50:51], v[226:227]
	v_fma_f64 v[168:169], v[4:5], v[26:27], v[168:169]
	v_fma_f64 v[228:229], v[2:3], v[26:27], -v[28:29]
	scratch_load_b128 v[26:29], off, off offset:816
	ds_load_b128 v[2:5], v1 offset:1552
	s_waitcnt vmcnt(9) lgkmcnt(1)
	v_mul_f64 v[226:227], v[171:172], v[32:33]
	v_mul_f64 v[32:33], v[173:174], v[32:33]
	v_add_f64 v[48:49], v[48:49], v[220:221]
	v_add_f64 v[50:51], v[50:51], v[164:165]
	s_waitcnt vmcnt(8) lgkmcnt(0)
	v_mul_f64 v[164:165], v[2:3], v[36:37]
	v_mul_f64 v[36:37], v[4:5], v[36:37]
	ds_load_b128 v[220:223], v1 offset:1568
	v_fma_f64 v[173:174], v[173:174], v[30:31], v[226:227]
	v_fma_f64 v[171:172], v[171:172], v[30:31], -v[32:33]
	scratch_load_b128 v[30:33], off, off offset:832
	v_add_f64 v[48:49], v[48:49], v[228:229]
	v_add_f64 v[50:51], v[50:51], v[168:169]
	v_fma_f64 v[164:165], v[4:5], v[34:35], v[164:165]
	v_fma_f64 v[226:227], v[2:3], v[34:35], -v[36:37]
	scratch_load_b128 v[34:37], off, off offset:848
	ds_load_b128 v[2:5], v1 offset:1584
	s_waitcnt vmcnt(9) lgkmcnt(1)
	v_mul_f64 v[168:169], v[220:221], v[159:160]
	v_mul_f64 v[159:160], v[222:223], v[159:160]
	s_waitcnt vmcnt(8) lgkmcnt(0)
	v_mul_f64 v[228:229], v[2:3], v[40:41]
	v_mul_f64 v[40:41], v[4:5], v[40:41]
	v_add_f64 v[48:49], v[48:49], v[171:172]
	v_add_f64 v[50:51], v[50:51], v[173:174]
	ds_load_b128 v[171:174], v1 offset:1600
	v_fma_f64 v[168:169], v[222:223], v[157:158], v[168:169]
	v_fma_f64 v[157:158], v[220:221], v[157:158], -v[159:160]
	v_fma_f64 v[220:221], v[2:3], v[38:39], -v[40:41]
	v_add_f64 v[48:49], v[48:49], v[226:227]
	v_add_f64 v[50:51], v[50:51], v[164:165]
	s_waitcnt vmcnt(7) lgkmcnt(0)
	v_mul_f64 v[159:160], v[171:172], v[8:9]
	v_mul_f64 v[8:9], v[173:174], v[8:9]
	v_fma_f64 v[164:165], v[4:5], v[38:39], v[228:229]
	ds_load_b128 v[2:5], v1 offset:1616
	ds_load_b128 v[38:41], v1 offset:1632
	v_add_f64 v[48:49], v[48:49], v[157:158]
	v_add_f64 v[50:51], v[50:51], v[168:169]
	s_waitcnt vmcnt(6) lgkmcnt(1)
	v_mul_f64 v[157:158], v[2:3], v[12:13]
	v_mul_f64 v[12:13], v[4:5], v[12:13]
	v_fma_f64 v[159:160], v[173:174], v[6:7], v[159:160]
	v_fma_f64 v[6:7], v[171:172], v[6:7], -v[8:9]
	v_add_f64 v[8:9], v[48:49], v[220:221]
	v_add_f64 v[48:49], v[50:51], v[164:165]
	s_waitcnt vmcnt(5) lgkmcnt(0)
	v_mul_f64 v[50:51], v[38:39], v[16:17]
	v_mul_f64 v[16:17], v[40:41], v[16:17]
	v_fma_f64 v[157:158], v[4:5], v[10:11], v[157:158]
	v_fma_f64 v[10:11], v[2:3], v[10:11], -v[12:13]
	v_add_f64 v[12:13], v[8:9], v[6:7]
	v_add_f64 v[48:49], v[48:49], v[159:160]
	ds_load_b128 v[2:5], v1 offset:1648
	ds_load_b128 v[6:9], v1 offset:1664
	v_fma_f64 v[40:41], v[40:41], v[14:15], v[50:51]
	v_fma_f64 v[14:15], v[38:39], v[14:15], -v[16:17]
	s_waitcnt vmcnt(4) lgkmcnt(1)
	v_mul_f64 v[159:160], v[2:3], v[20:21]
	v_mul_f64 v[20:21], v[4:5], v[20:21]
	s_waitcnt vmcnt(3) lgkmcnt(0)
	v_mul_f64 v[16:17], v[6:7], v[24:25]
	v_mul_f64 v[24:25], v[8:9], v[24:25]
	v_add_f64 v[10:11], v[12:13], v[10:11]
	v_add_f64 v[12:13], v[48:49], v[157:158]
	v_fma_f64 v[38:39], v[4:5], v[18:19], v[159:160]
	v_fma_f64 v[18:19], v[2:3], v[18:19], -v[20:21]
	v_fma_f64 v[8:9], v[8:9], v[22:23], v[16:17]
	v_fma_f64 v[6:7], v[6:7], v[22:23], -v[24:25]
	v_add_f64 v[14:15], v[10:11], v[14:15]
	v_add_f64 v[20:21], v[12:13], v[40:41]
	ds_load_b128 v[2:5], v1 offset:1680
	ds_load_b128 v[10:13], v1 offset:1696
	s_waitcnt vmcnt(2) lgkmcnt(1)
	v_mul_f64 v[40:41], v[2:3], v[28:29]
	v_mul_f64 v[28:29], v[4:5], v[28:29]
	v_add_f64 v[14:15], v[14:15], v[18:19]
	v_add_f64 v[16:17], v[20:21], v[38:39]
	s_waitcnt vmcnt(1) lgkmcnt(0)
	v_mul_f64 v[18:19], v[10:11], v[32:33]
	v_mul_f64 v[20:21], v[12:13], v[32:33]
	v_fma_f64 v[22:23], v[4:5], v[26:27], v[40:41]
	v_fma_f64 v[24:25], v[2:3], v[26:27], -v[28:29]
	ds_load_b128 v[2:5], v1 offset:1712
	v_add_f64 v[6:7], v[14:15], v[6:7]
	v_add_f64 v[8:9], v[16:17], v[8:9]
	v_fma_f64 v[12:13], v[12:13], v[30:31], v[18:19]
	v_fma_f64 v[10:11], v[10:11], v[30:31], -v[20:21]
	s_waitcnt vmcnt(0) lgkmcnt(0)
	v_mul_f64 v[14:15], v[2:3], v[36:37]
	v_mul_f64 v[16:17], v[4:5], v[36:37]
	v_add_f64 v[6:7], v[6:7], v[24:25]
	v_add_f64 v[8:9], v[8:9], v[22:23]
	s_delay_alu instid0(VALU_DEP_4) | instskip(NEXT) | instid1(VALU_DEP_4)
	v_fma_f64 v[4:5], v[4:5], v[34:35], v[14:15]
	v_fma_f64 v[2:3], v[2:3], v[34:35], -v[16:17]
	s_delay_alu instid0(VALU_DEP_4) | instskip(NEXT) | instid1(VALU_DEP_4)
	v_add_f64 v[6:7], v[6:7], v[10:11]
	v_add_f64 v[8:9], v[8:9], v[12:13]
	s_delay_alu instid0(VALU_DEP_2) | instskip(NEXT) | instid1(VALU_DEP_2)
	v_add_f64 v[2:3], v[6:7], v[2:3]
	v_add_f64 v[4:5], v[8:9], v[4:5]
	s_delay_alu instid0(VALU_DEP_2) | instskip(NEXT) | instid1(VALU_DEP_2)
	v_add_f64 v[2:3], v[42:43], -v[2:3]
	v_add_f64 v[4:5], v[44:45], -v[4:5]
	scratch_store_b128 off, v[2:5], off offset:384
	v_cmpx_lt_u32_e32 23, v154
	s_cbranch_execz .LBB117_291
; %bb.290:
	scratch_load_b128 v[5:8], v185, off
	v_mov_b32_e32 v2, v1
	v_mov_b32_e32 v3, v1
	;; [unrolled: 1-line block ×3, first 2 shown]
	scratch_store_b128 off, v[1:4], off offset:368
	s_waitcnt vmcnt(0)
	ds_store_b128 v208, v[5:8]
.LBB117_291:
	s_or_b32 exec_lo, exec_lo, s2
	s_waitcnt lgkmcnt(0)
	s_waitcnt_vscnt null, 0x0
	s_barrier
	buffer_gl0_inv
	s_clause 0x8
	scratch_load_b128 v[2:5], off, off offset:384
	scratch_load_b128 v[6:9], off, off offset:400
	scratch_load_b128 v[10:13], off, off offset:416
	scratch_load_b128 v[14:17], off, off offset:432
	scratch_load_b128 v[18:21], off, off offset:448
	scratch_load_b128 v[22:25], off, off offset:464
	scratch_load_b128 v[26:29], off, off offset:480
	scratch_load_b128 v[30:33], off, off offset:496
	scratch_load_b128 v[34:37], off, off offset:512
	ds_load_b128 v[42:45], v1 offset:1248
	ds_load_b128 v[38:41], v1 offset:1264
	s_clause 0x1
	scratch_load_b128 v[157:160], off, off offset:368
	scratch_load_b128 v[171:174], off, off offset:528
	s_mov_b32 s2, exec_lo
	ds_load_b128 v[220:223], v1 offset:1296
	s_waitcnt vmcnt(10) lgkmcnt(2)
	v_mul_f64 v[48:49], v[44:45], v[4:5]
	v_mul_f64 v[4:5], v[42:43], v[4:5]
	s_waitcnt vmcnt(9) lgkmcnt(1)
	v_mul_f64 v[50:51], v[38:39], v[8:9]
	v_mul_f64 v[8:9], v[40:41], v[8:9]
	s_delay_alu instid0(VALU_DEP_4) | instskip(NEXT) | instid1(VALU_DEP_4)
	v_fma_f64 v[48:49], v[42:43], v[2:3], -v[48:49]
	v_fma_f64 v[164:165], v[44:45], v[2:3], v[4:5]
	ds_load_b128 v[2:5], v1 offset:1280
	scratch_load_b128 v[42:45], off, off offset:544
	v_fma_f64 v[40:41], v[40:41], v[6:7], v[50:51]
	v_fma_f64 v[38:39], v[38:39], v[6:7], -v[8:9]
	scratch_load_b128 v[6:9], off, off offset:560
	s_waitcnt vmcnt(10) lgkmcnt(0)
	v_mul_f64 v[168:169], v[2:3], v[12:13]
	v_mul_f64 v[12:13], v[4:5], v[12:13]
	v_add_f64 v[48:49], v[48:49], 0
	v_add_f64 v[50:51], v[164:165], 0
	s_waitcnt vmcnt(9)
	v_mul_f64 v[164:165], v[220:221], v[16:17]
	v_mul_f64 v[16:17], v[222:223], v[16:17]
	v_fma_f64 v[168:169], v[4:5], v[10:11], v[168:169]
	v_fma_f64 v[226:227], v[2:3], v[10:11], -v[12:13]
	ds_load_b128 v[2:5], v1 offset:1312
	scratch_load_b128 v[10:13], off, off offset:576
	v_add_f64 v[48:49], v[48:49], v[38:39]
	v_add_f64 v[50:51], v[50:51], v[40:41]
	ds_load_b128 v[38:41], v1 offset:1328
	v_fma_f64 v[164:165], v[222:223], v[14:15], v[164:165]
	v_fma_f64 v[220:221], v[220:221], v[14:15], -v[16:17]
	scratch_load_b128 v[14:17], off, off offset:592
	s_waitcnt vmcnt(10) lgkmcnt(1)
	v_mul_f64 v[228:229], v[2:3], v[20:21]
	v_mul_f64 v[20:21], v[4:5], v[20:21]
	v_add_f64 v[48:49], v[48:49], v[226:227]
	v_add_f64 v[50:51], v[50:51], v[168:169]
	s_waitcnt vmcnt(9) lgkmcnt(0)
	v_mul_f64 v[168:169], v[38:39], v[24:25]
	v_mul_f64 v[24:25], v[40:41], v[24:25]
	v_fma_f64 v[226:227], v[4:5], v[18:19], v[228:229]
	v_fma_f64 v[228:229], v[2:3], v[18:19], -v[20:21]
	ds_load_b128 v[2:5], v1 offset:1344
	scratch_load_b128 v[18:21], off, off offset:608
	v_add_f64 v[48:49], v[48:49], v[220:221]
	v_add_f64 v[50:51], v[50:51], v[164:165]
	ds_load_b128 v[220:223], v1 offset:1360
	s_waitcnt vmcnt(9) lgkmcnt(1)
	v_mul_f64 v[164:165], v[2:3], v[28:29]
	v_mul_f64 v[28:29], v[4:5], v[28:29]
	v_fma_f64 v[40:41], v[40:41], v[22:23], v[168:169]
	v_fma_f64 v[38:39], v[38:39], v[22:23], -v[24:25]
	scratch_load_b128 v[22:25], off, off offset:624
	s_waitcnt vmcnt(9) lgkmcnt(0)
	v_mul_f64 v[168:169], v[220:221], v[32:33]
	v_mul_f64 v[32:33], v[222:223], v[32:33]
	v_add_f64 v[48:49], v[48:49], v[228:229]
	v_add_f64 v[50:51], v[50:51], v[226:227]
	v_fma_f64 v[164:165], v[4:5], v[26:27], v[164:165]
	v_fma_f64 v[226:227], v[2:3], v[26:27], -v[28:29]
	ds_load_b128 v[2:5], v1 offset:1376
	scratch_load_b128 v[26:29], off, off offset:640
	v_fma_f64 v[168:169], v[222:223], v[30:31], v[168:169]
	v_fma_f64 v[220:221], v[220:221], v[30:31], -v[32:33]
	scratch_load_b128 v[30:33], off, off offset:656
	v_add_f64 v[48:49], v[48:49], v[38:39]
	v_add_f64 v[50:51], v[50:51], v[40:41]
	ds_load_b128 v[38:41], v1 offset:1392
	s_waitcnt vmcnt(10) lgkmcnt(1)
	v_mul_f64 v[228:229], v[2:3], v[36:37]
	v_mul_f64 v[36:37], v[4:5], v[36:37]
	v_add_f64 v[48:49], v[48:49], v[226:227]
	v_add_f64 v[50:51], v[50:51], v[164:165]
	s_waitcnt vmcnt(8) lgkmcnt(0)
	v_mul_f64 v[164:165], v[38:39], v[173:174]
	v_mul_f64 v[173:174], v[40:41], v[173:174]
	v_fma_f64 v[226:227], v[4:5], v[34:35], v[228:229]
	v_fma_f64 v[228:229], v[2:3], v[34:35], -v[36:37]
	ds_load_b128 v[2:5], v1 offset:1408
	scratch_load_b128 v[34:37], off, off offset:672
	v_add_f64 v[48:49], v[48:49], v[220:221]
	v_add_f64 v[50:51], v[50:51], v[168:169]
	ds_load_b128 v[220:223], v1 offset:1424
	v_fma_f64 v[164:165], v[40:41], v[171:172], v[164:165]
	v_fma_f64 v[171:172], v[38:39], v[171:172], -v[173:174]
	scratch_load_b128 v[38:41], off, off offset:688
	s_waitcnt vmcnt(9) lgkmcnt(1)
	v_mul_f64 v[168:169], v[2:3], v[44:45]
	v_mul_f64 v[44:45], v[4:5], v[44:45]
	v_add_f64 v[48:49], v[48:49], v[228:229]
	v_add_f64 v[50:51], v[50:51], v[226:227]
	s_waitcnt vmcnt(8) lgkmcnt(0)
	v_mul_f64 v[226:227], v[220:221], v[8:9]
	v_mul_f64 v[8:9], v[222:223], v[8:9]
	v_fma_f64 v[168:169], v[4:5], v[42:43], v[168:169]
	v_fma_f64 v[228:229], v[2:3], v[42:43], -v[44:45]
	ds_load_b128 v[2:5], v1 offset:1440
	scratch_load_b128 v[42:45], off, off offset:704
	v_add_f64 v[48:49], v[48:49], v[171:172]
	v_add_f64 v[50:51], v[50:51], v[164:165]
	ds_load_b128 v[171:174], v1 offset:1456
	s_waitcnt vmcnt(8) lgkmcnt(1)
	v_mul_f64 v[164:165], v[2:3], v[12:13]
	v_mul_f64 v[12:13], v[4:5], v[12:13]
	v_fma_f64 v[222:223], v[222:223], v[6:7], v[226:227]
	v_fma_f64 v[220:221], v[220:221], v[6:7], -v[8:9]
	scratch_load_b128 v[6:9], off, off offset:720
	v_add_f64 v[48:49], v[48:49], v[228:229]
	v_add_f64 v[50:51], v[50:51], v[168:169]
	s_waitcnt vmcnt(8) lgkmcnt(0)
	v_mul_f64 v[168:169], v[171:172], v[16:17]
	v_mul_f64 v[16:17], v[173:174], v[16:17]
	v_fma_f64 v[164:165], v[4:5], v[10:11], v[164:165]
	v_fma_f64 v[226:227], v[2:3], v[10:11], -v[12:13]
	ds_load_b128 v[2:5], v1 offset:1472
	scratch_load_b128 v[10:13], off, off offset:736
	v_add_f64 v[48:49], v[48:49], v[220:221]
	v_add_f64 v[50:51], v[50:51], v[222:223]
	ds_load_b128 v[220:223], v1 offset:1488
	s_waitcnt vmcnt(8) lgkmcnt(1)
	v_mul_f64 v[228:229], v[2:3], v[20:21]
	v_mul_f64 v[20:21], v[4:5], v[20:21]
	v_fma_f64 v[168:169], v[173:174], v[14:15], v[168:169]
	v_fma_f64 v[171:172], v[171:172], v[14:15], -v[16:17]
	scratch_load_b128 v[14:17], off, off offset:752
	;; [unrolled: 18-line block ×5, first 2 shown]
	v_add_f64 v[48:49], v[48:49], v[226:227]
	v_add_f64 v[50:51], v[50:51], v[164:165]
	s_waitcnt vmcnt(8) lgkmcnt(0)
	v_mul_f64 v[164:165], v[171:172], v[8:9]
	v_mul_f64 v[8:9], v[173:174], v[8:9]
	v_fma_f64 v[222:223], v[4:5], v[42:43], v[228:229]
	v_fma_f64 v[226:227], v[2:3], v[42:43], -v[44:45]
	ds_load_b128 v[2:5], v1 offset:1600
	ds_load_b128 v[42:45], v1 offset:1616
	v_add_f64 v[48:49], v[48:49], v[220:221]
	v_add_f64 v[50:51], v[50:51], v[168:169]
	s_waitcnt vmcnt(7) lgkmcnt(1)
	v_mul_f64 v[168:169], v[2:3], v[12:13]
	v_mul_f64 v[12:13], v[4:5], v[12:13]
	v_fma_f64 v[164:165], v[173:174], v[6:7], v[164:165]
	v_fma_f64 v[6:7], v[171:172], v[6:7], -v[8:9]
	v_add_f64 v[8:9], v[48:49], v[226:227]
	v_add_f64 v[48:49], v[50:51], v[222:223]
	s_waitcnt vmcnt(6) lgkmcnt(0)
	v_mul_f64 v[50:51], v[42:43], v[16:17]
	v_mul_f64 v[16:17], v[44:45], v[16:17]
	v_fma_f64 v[168:169], v[4:5], v[10:11], v[168:169]
	v_fma_f64 v[10:11], v[2:3], v[10:11], -v[12:13]
	v_add_f64 v[12:13], v[8:9], v[6:7]
	v_add_f64 v[48:49], v[48:49], v[164:165]
	ds_load_b128 v[2:5], v1 offset:1632
	ds_load_b128 v[6:9], v1 offset:1648
	v_fma_f64 v[44:45], v[44:45], v[14:15], v[50:51]
	v_fma_f64 v[14:15], v[42:43], v[14:15], -v[16:17]
	s_waitcnt vmcnt(5) lgkmcnt(1)
	v_mul_f64 v[164:165], v[2:3], v[20:21]
	v_mul_f64 v[20:21], v[4:5], v[20:21]
	s_waitcnt vmcnt(4) lgkmcnt(0)
	v_mul_f64 v[16:17], v[6:7], v[24:25]
	v_mul_f64 v[24:25], v[8:9], v[24:25]
	v_add_f64 v[10:11], v[12:13], v[10:11]
	v_add_f64 v[12:13], v[48:49], v[168:169]
	v_fma_f64 v[42:43], v[4:5], v[18:19], v[164:165]
	v_fma_f64 v[18:19], v[2:3], v[18:19], -v[20:21]
	v_fma_f64 v[8:9], v[8:9], v[22:23], v[16:17]
	v_fma_f64 v[6:7], v[6:7], v[22:23], -v[24:25]
	v_add_f64 v[14:15], v[10:11], v[14:15]
	v_add_f64 v[20:21], v[12:13], v[44:45]
	ds_load_b128 v[2:5], v1 offset:1664
	ds_load_b128 v[10:13], v1 offset:1680
	s_waitcnt vmcnt(3) lgkmcnt(1)
	v_mul_f64 v[44:45], v[2:3], v[28:29]
	v_mul_f64 v[28:29], v[4:5], v[28:29]
	v_add_f64 v[14:15], v[14:15], v[18:19]
	v_add_f64 v[16:17], v[20:21], v[42:43]
	s_waitcnt vmcnt(2) lgkmcnt(0)
	v_mul_f64 v[18:19], v[10:11], v[32:33]
	v_mul_f64 v[20:21], v[12:13], v[32:33]
	v_fma_f64 v[22:23], v[4:5], v[26:27], v[44:45]
	v_fma_f64 v[24:25], v[2:3], v[26:27], -v[28:29]
	v_add_f64 v[14:15], v[14:15], v[6:7]
	v_add_f64 v[16:17], v[16:17], v[8:9]
	ds_load_b128 v[2:5], v1 offset:1696
	ds_load_b128 v[6:9], v1 offset:1712
	v_fma_f64 v[12:13], v[12:13], v[30:31], v[18:19]
	v_fma_f64 v[10:11], v[10:11], v[30:31], -v[20:21]
	s_waitcnt vmcnt(1) lgkmcnt(1)
	v_mul_f64 v[26:27], v[2:3], v[36:37]
	v_mul_f64 v[28:29], v[4:5], v[36:37]
	s_waitcnt vmcnt(0) lgkmcnt(0)
	v_mul_f64 v[18:19], v[6:7], v[40:41]
	v_mul_f64 v[20:21], v[8:9], v[40:41]
	v_add_f64 v[14:15], v[14:15], v[24:25]
	v_add_f64 v[16:17], v[16:17], v[22:23]
	v_fma_f64 v[4:5], v[4:5], v[34:35], v[26:27]
	v_fma_f64 v[1:2], v[2:3], v[34:35], -v[28:29]
	v_fma_f64 v[8:9], v[8:9], v[38:39], v[18:19]
	v_fma_f64 v[6:7], v[6:7], v[38:39], -v[20:21]
	v_add_f64 v[10:11], v[14:15], v[10:11]
	v_add_f64 v[12:13], v[16:17], v[12:13]
	s_delay_alu instid0(VALU_DEP_2) | instskip(NEXT) | instid1(VALU_DEP_2)
	v_add_f64 v[1:2], v[10:11], v[1:2]
	v_add_f64 v[3:4], v[12:13], v[4:5]
	s_delay_alu instid0(VALU_DEP_2) | instskip(NEXT) | instid1(VALU_DEP_2)
	;; [unrolled: 3-line block ×3, first 2 shown]
	v_add_f64 v[1:2], v[157:158], -v[1:2]
	v_add_f64 v[3:4], v[159:160], -v[3:4]
	scratch_store_b128 off, v[1:4], off offset:368
	v_cmpx_lt_u32_e32 22, v154
	s_cbranch_execz .LBB117_293
; %bb.292:
	scratch_load_b128 v[1:4], v186, off
	v_mov_b32_e32 v5, 0
	s_delay_alu instid0(VALU_DEP_1)
	v_mov_b32_e32 v6, v5
	v_mov_b32_e32 v7, v5
	;; [unrolled: 1-line block ×3, first 2 shown]
	scratch_store_b128 off, v[5:8], off offset:352
	s_waitcnt vmcnt(0)
	ds_store_b128 v208, v[1:4]
.LBB117_293:
	s_or_b32 exec_lo, exec_lo, s2
	s_waitcnt lgkmcnt(0)
	s_waitcnt_vscnt null, 0x0
	s_barrier
	buffer_gl0_inv
	s_clause 0x7
	scratch_load_b128 v[2:5], off, off offset:368
	scratch_load_b128 v[6:9], off, off offset:384
	scratch_load_b128 v[10:13], off, off offset:400
	scratch_load_b128 v[14:17], off, off offset:416
	scratch_load_b128 v[18:21], off, off offset:432
	scratch_load_b128 v[22:25], off, off offset:448
	scratch_load_b128 v[26:29], off, off offset:464
	scratch_load_b128 v[30:33], off, off offset:480
	v_mov_b32_e32 v1, 0
	s_mov_b32 s2, exec_lo
	ds_load_b128 v[38:41], v1 offset:1232
	s_clause 0x1
	scratch_load_b128 v[34:37], off, off offset:496
	scratch_load_b128 v[42:45], off, off offset:352
	ds_load_b128 v[157:160], v1 offset:1248
	scratch_load_b128 v[171:174], off, off offset:512
	ds_load_b128 v[220:223], v1 offset:1280
	s_waitcnt vmcnt(10) lgkmcnt(2)
	v_mul_f64 v[48:49], v[40:41], v[4:5]
	v_mul_f64 v[4:5], v[38:39], v[4:5]
	s_delay_alu instid0(VALU_DEP_2) | instskip(NEXT) | instid1(VALU_DEP_2)
	v_fma_f64 v[48:49], v[38:39], v[2:3], -v[48:49]
	v_fma_f64 v[164:165], v[40:41], v[2:3], v[4:5]
	ds_load_b128 v[2:5], v1 offset:1264
	s_waitcnt vmcnt(9) lgkmcnt(2)
	v_mul_f64 v[50:51], v[157:158], v[8:9]
	v_mul_f64 v[8:9], v[159:160], v[8:9]
	scratch_load_b128 v[38:41], off, off offset:528
	s_waitcnt vmcnt(9) lgkmcnt(0)
	v_mul_f64 v[168:169], v[2:3], v[12:13]
	v_mul_f64 v[12:13], v[4:5], v[12:13]
	v_add_f64 v[48:49], v[48:49], 0
	v_fma_f64 v[50:51], v[159:160], v[6:7], v[50:51]
	v_fma_f64 v[157:158], v[157:158], v[6:7], -v[8:9]
	v_add_f64 v[159:160], v[164:165], 0
	scratch_load_b128 v[6:9], off, off offset:544
	v_fma_f64 v[168:169], v[4:5], v[10:11], v[168:169]
	v_fma_f64 v[226:227], v[2:3], v[10:11], -v[12:13]
	scratch_load_b128 v[10:13], off, off offset:560
	ds_load_b128 v[2:5], v1 offset:1296
	s_waitcnt vmcnt(10)
	v_mul_f64 v[164:165], v[220:221], v[16:17]
	v_mul_f64 v[16:17], v[222:223], v[16:17]
	v_add_f64 v[48:49], v[48:49], v[157:158]
	v_add_f64 v[50:51], v[159:160], v[50:51]
	ds_load_b128 v[157:160], v1 offset:1312
	s_waitcnt vmcnt(9) lgkmcnt(1)
	v_mul_f64 v[228:229], v[2:3], v[20:21]
	v_mul_f64 v[20:21], v[4:5], v[20:21]
	v_fma_f64 v[164:165], v[222:223], v[14:15], v[164:165]
	v_fma_f64 v[220:221], v[220:221], v[14:15], -v[16:17]
	scratch_load_b128 v[14:17], off, off offset:576
	v_add_f64 v[48:49], v[48:49], v[226:227]
	v_add_f64 v[50:51], v[50:51], v[168:169]
	v_fma_f64 v[226:227], v[4:5], v[18:19], v[228:229]
	v_fma_f64 v[228:229], v[2:3], v[18:19], -v[20:21]
	scratch_load_b128 v[18:21], off, off offset:592
	ds_load_b128 v[2:5], v1 offset:1328
	s_waitcnt vmcnt(10) lgkmcnt(1)
	v_mul_f64 v[168:169], v[157:158], v[24:25]
	v_mul_f64 v[24:25], v[159:160], v[24:25]
	v_add_f64 v[48:49], v[48:49], v[220:221]
	v_add_f64 v[50:51], v[50:51], v[164:165]
	s_waitcnt vmcnt(9) lgkmcnt(0)
	v_mul_f64 v[164:165], v[2:3], v[28:29]
	v_mul_f64 v[28:29], v[4:5], v[28:29]
	ds_load_b128 v[220:223], v1 offset:1344
	v_fma_f64 v[159:160], v[159:160], v[22:23], v[168:169]
	v_fma_f64 v[157:158], v[157:158], v[22:23], -v[24:25]
	scratch_load_b128 v[22:25], off, off offset:608
	v_add_f64 v[48:49], v[48:49], v[228:229]
	v_add_f64 v[50:51], v[50:51], v[226:227]
	v_fma_f64 v[164:165], v[4:5], v[26:27], v[164:165]
	v_fma_f64 v[226:227], v[2:3], v[26:27], -v[28:29]
	scratch_load_b128 v[26:29], off, off offset:624
	ds_load_b128 v[2:5], v1 offset:1360
	s_waitcnt vmcnt(10) lgkmcnt(1)
	v_mul_f64 v[168:169], v[220:221], v[32:33]
	v_mul_f64 v[32:33], v[222:223], v[32:33]
	s_waitcnt vmcnt(9) lgkmcnt(0)
	v_mul_f64 v[228:229], v[2:3], v[36:37]
	v_mul_f64 v[36:37], v[4:5], v[36:37]
	v_add_f64 v[48:49], v[48:49], v[157:158]
	v_add_f64 v[50:51], v[50:51], v[159:160]
	ds_load_b128 v[157:160], v1 offset:1376
	v_fma_f64 v[168:169], v[222:223], v[30:31], v[168:169]
	v_fma_f64 v[220:221], v[220:221], v[30:31], -v[32:33]
	scratch_load_b128 v[30:33], off, off offset:640
	v_add_f64 v[48:49], v[48:49], v[226:227]
	v_add_f64 v[50:51], v[50:51], v[164:165]
	v_fma_f64 v[226:227], v[4:5], v[34:35], v[228:229]
	v_fma_f64 v[228:229], v[2:3], v[34:35], -v[36:37]
	scratch_load_b128 v[34:37], off, off offset:656
	ds_load_b128 v[2:5], v1 offset:1392
	s_waitcnt vmcnt(9) lgkmcnt(1)
	v_mul_f64 v[164:165], v[157:158], v[173:174]
	v_mul_f64 v[173:174], v[159:160], v[173:174]
	v_add_f64 v[48:49], v[48:49], v[220:221]
	v_add_f64 v[50:51], v[50:51], v[168:169]
	ds_load_b128 v[220:223], v1 offset:1408
	v_fma_f64 v[164:165], v[159:160], v[171:172], v[164:165]
	v_fma_f64 v[171:172], v[157:158], v[171:172], -v[173:174]
	scratch_load_b128 v[157:160], off, off offset:672
	s_waitcnt vmcnt(9) lgkmcnt(1)
	v_mul_f64 v[168:169], v[2:3], v[40:41]
	v_mul_f64 v[40:41], v[4:5], v[40:41]
	v_add_f64 v[48:49], v[48:49], v[228:229]
	v_add_f64 v[50:51], v[50:51], v[226:227]
	s_delay_alu instid0(VALU_DEP_4) | instskip(NEXT) | instid1(VALU_DEP_4)
	v_fma_f64 v[168:169], v[4:5], v[38:39], v[168:169]
	v_fma_f64 v[228:229], v[2:3], v[38:39], -v[40:41]
	scratch_load_b128 v[38:41], off, off offset:688
	ds_load_b128 v[2:5], v1 offset:1424
	s_waitcnt vmcnt(9) lgkmcnt(1)
	v_mul_f64 v[226:227], v[220:221], v[8:9]
	v_mul_f64 v[8:9], v[222:223], v[8:9]
	v_add_f64 v[48:49], v[48:49], v[171:172]
	v_add_f64 v[50:51], v[50:51], v[164:165]
	s_waitcnt vmcnt(8) lgkmcnt(0)
	v_mul_f64 v[164:165], v[2:3], v[12:13]
	v_mul_f64 v[12:13], v[4:5], v[12:13]
	ds_load_b128 v[171:174], v1 offset:1440
	v_fma_f64 v[222:223], v[222:223], v[6:7], v[226:227]
	v_fma_f64 v[220:221], v[220:221], v[6:7], -v[8:9]
	scratch_load_b128 v[6:9], off, off offset:704
	v_add_f64 v[48:49], v[48:49], v[228:229]
	v_add_f64 v[50:51], v[50:51], v[168:169]
	v_fma_f64 v[164:165], v[4:5], v[10:11], v[164:165]
	v_fma_f64 v[226:227], v[2:3], v[10:11], -v[12:13]
	scratch_load_b128 v[10:13], off, off offset:720
	ds_load_b128 v[2:5], v1 offset:1456
	s_waitcnt vmcnt(9) lgkmcnt(1)
	v_mul_f64 v[168:169], v[171:172], v[16:17]
	v_mul_f64 v[16:17], v[173:174], v[16:17]
	s_waitcnt vmcnt(8) lgkmcnt(0)
	v_mul_f64 v[228:229], v[2:3], v[20:21]
	v_mul_f64 v[20:21], v[4:5], v[20:21]
	v_add_f64 v[48:49], v[48:49], v[220:221]
	v_add_f64 v[50:51], v[50:51], v[222:223]
	ds_load_b128 v[220:223], v1 offset:1472
	v_fma_f64 v[168:169], v[173:174], v[14:15], v[168:169]
	v_fma_f64 v[171:172], v[171:172], v[14:15], -v[16:17]
	scratch_load_b128 v[14:17], off, off offset:736
	v_add_f64 v[48:49], v[48:49], v[226:227]
	v_add_f64 v[50:51], v[50:51], v[164:165]
	v_fma_f64 v[226:227], v[4:5], v[18:19], v[228:229]
	v_fma_f64 v[228:229], v[2:3], v[18:19], -v[20:21]
	scratch_load_b128 v[18:21], off, off offset:752
	ds_load_b128 v[2:5], v1 offset:1488
	s_waitcnt vmcnt(9) lgkmcnt(1)
	v_mul_f64 v[164:165], v[220:221], v[24:25]
	v_mul_f64 v[24:25], v[222:223], v[24:25]
	v_add_f64 v[48:49], v[48:49], v[171:172]
	v_add_f64 v[50:51], v[50:51], v[168:169]
	s_waitcnt vmcnt(8) lgkmcnt(0)
	v_mul_f64 v[168:169], v[2:3], v[28:29]
	v_mul_f64 v[28:29], v[4:5], v[28:29]
	ds_load_b128 v[171:174], v1 offset:1504
	v_fma_f64 v[164:165], v[222:223], v[22:23], v[164:165]
	v_fma_f64 v[220:221], v[220:221], v[22:23], -v[24:25]
	scratch_load_b128 v[22:25], off, off offset:768
	v_add_f64 v[48:49], v[48:49], v[228:229]
	v_add_f64 v[50:51], v[50:51], v[226:227]
	v_fma_f64 v[168:169], v[4:5], v[26:27], v[168:169]
	v_fma_f64 v[228:229], v[2:3], v[26:27], -v[28:29]
	scratch_load_b128 v[26:29], off, off offset:784
	ds_load_b128 v[2:5], v1 offset:1520
	s_waitcnt vmcnt(9) lgkmcnt(1)
	v_mul_f64 v[226:227], v[171:172], v[32:33]
	v_mul_f64 v[32:33], v[173:174], v[32:33]
	v_add_f64 v[48:49], v[48:49], v[220:221]
	v_add_f64 v[50:51], v[50:51], v[164:165]
	s_waitcnt vmcnt(8) lgkmcnt(0)
	v_mul_f64 v[164:165], v[2:3], v[36:37]
	v_mul_f64 v[36:37], v[4:5], v[36:37]
	ds_load_b128 v[220:223], v1 offset:1536
	v_fma_f64 v[173:174], v[173:174], v[30:31], v[226:227]
	v_fma_f64 v[171:172], v[171:172], v[30:31], -v[32:33]
	scratch_load_b128 v[30:33], off, off offset:800
	v_add_f64 v[48:49], v[48:49], v[228:229]
	v_add_f64 v[50:51], v[50:51], v[168:169]
	v_fma_f64 v[164:165], v[4:5], v[34:35], v[164:165]
	v_fma_f64 v[226:227], v[2:3], v[34:35], -v[36:37]
	scratch_load_b128 v[34:37], off, off offset:816
	ds_load_b128 v[2:5], v1 offset:1552
	s_waitcnt vmcnt(9) lgkmcnt(1)
	v_mul_f64 v[168:169], v[220:221], v[159:160]
	v_mul_f64 v[159:160], v[222:223], v[159:160]
	s_waitcnt vmcnt(8) lgkmcnt(0)
	v_mul_f64 v[228:229], v[2:3], v[40:41]
	v_mul_f64 v[40:41], v[4:5], v[40:41]
	v_add_f64 v[48:49], v[48:49], v[171:172]
	v_add_f64 v[50:51], v[50:51], v[173:174]
	ds_load_b128 v[171:174], v1 offset:1568
	v_fma_f64 v[168:169], v[222:223], v[157:158], v[168:169]
	v_fma_f64 v[220:221], v[220:221], v[157:158], -v[159:160]
	scratch_load_b128 v[157:160], off, off offset:832
	v_add_f64 v[48:49], v[48:49], v[226:227]
	v_add_f64 v[50:51], v[50:51], v[164:165]
	v_fma_f64 v[226:227], v[4:5], v[38:39], v[228:229]
	v_fma_f64 v[228:229], v[2:3], v[38:39], -v[40:41]
	scratch_load_b128 v[38:41], off, off offset:848
	ds_load_b128 v[2:5], v1 offset:1584
	s_waitcnt vmcnt(9) lgkmcnt(1)
	v_mul_f64 v[164:165], v[171:172], v[8:9]
	v_mul_f64 v[8:9], v[173:174], v[8:9]
	v_add_f64 v[48:49], v[48:49], v[220:221]
	v_add_f64 v[50:51], v[50:51], v[168:169]
	s_waitcnt vmcnt(8) lgkmcnt(0)
	v_mul_f64 v[168:169], v[2:3], v[12:13]
	v_mul_f64 v[12:13], v[4:5], v[12:13]
	ds_load_b128 v[220:223], v1 offset:1600
	v_fma_f64 v[164:165], v[173:174], v[6:7], v[164:165]
	v_fma_f64 v[6:7], v[171:172], v[6:7], -v[8:9]
	v_add_f64 v[8:9], v[48:49], v[228:229]
	v_add_f64 v[48:49], v[50:51], v[226:227]
	s_waitcnt vmcnt(7) lgkmcnt(0)
	v_mul_f64 v[50:51], v[220:221], v[16:17]
	v_mul_f64 v[16:17], v[222:223], v[16:17]
	v_fma_f64 v[168:169], v[4:5], v[10:11], v[168:169]
	v_fma_f64 v[10:11], v[2:3], v[10:11], -v[12:13]
	v_add_f64 v[12:13], v[8:9], v[6:7]
	v_add_f64 v[48:49], v[48:49], v[164:165]
	ds_load_b128 v[2:5], v1 offset:1616
	ds_load_b128 v[6:9], v1 offset:1632
	v_fma_f64 v[50:51], v[222:223], v[14:15], v[50:51]
	v_fma_f64 v[14:15], v[220:221], v[14:15], -v[16:17]
	s_waitcnt vmcnt(6) lgkmcnt(1)
	v_mul_f64 v[164:165], v[2:3], v[20:21]
	v_mul_f64 v[20:21], v[4:5], v[20:21]
	s_waitcnt vmcnt(5) lgkmcnt(0)
	v_mul_f64 v[16:17], v[6:7], v[24:25]
	v_mul_f64 v[24:25], v[8:9], v[24:25]
	v_add_f64 v[10:11], v[12:13], v[10:11]
	v_add_f64 v[12:13], v[48:49], v[168:169]
	v_fma_f64 v[48:49], v[4:5], v[18:19], v[164:165]
	v_fma_f64 v[18:19], v[2:3], v[18:19], -v[20:21]
	v_fma_f64 v[8:9], v[8:9], v[22:23], v[16:17]
	v_fma_f64 v[6:7], v[6:7], v[22:23], -v[24:25]
	v_add_f64 v[14:15], v[10:11], v[14:15]
	v_add_f64 v[20:21], v[12:13], v[50:51]
	ds_load_b128 v[2:5], v1 offset:1648
	ds_load_b128 v[10:13], v1 offset:1664
	s_waitcnt vmcnt(4) lgkmcnt(1)
	v_mul_f64 v[50:51], v[2:3], v[28:29]
	v_mul_f64 v[28:29], v[4:5], v[28:29]
	v_add_f64 v[14:15], v[14:15], v[18:19]
	v_add_f64 v[16:17], v[20:21], v[48:49]
	s_waitcnt vmcnt(3) lgkmcnt(0)
	v_mul_f64 v[18:19], v[10:11], v[32:33]
	v_mul_f64 v[20:21], v[12:13], v[32:33]
	v_fma_f64 v[22:23], v[4:5], v[26:27], v[50:51]
	v_fma_f64 v[24:25], v[2:3], v[26:27], -v[28:29]
	v_add_f64 v[14:15], v[14:15], v[6:7]
	v_add_f64 v[16:17], v[16:17], v[8:9]
	ds_load_b128 v[2:5], v1 offset:1680
	ds_load_b128 v[6:9], v1 offset:1696
	v_fma_f64 v[12:13], v[12:13], v[30:31], v[18:19]
	v_fma_f64 v[10:11], v[10:11], v[30:31], -v[20:21]
	s_waitcnt vmcnt(2) lgkmcnt(1)
	v_mul_f64 v[26:27], v[2:3], v[36:37]
	v_mul_f64 v[28:29], v[4:5], v[36:37]
	s_waitcnt vmcnt(1) lgkmcnt(0)
	v_mul_f64 v[18:19], v[6:7], v[159:160]
	v_mul_f64 v[20:21], v[8:9], v[159:160]
	v_add_f64 v[14:15], v[14:15], v[24:25]
	v_add_f64 v[16:17], v[16:17], v[22:23]
	v_fma_f64 v[22:23], v[4:5], v[34:35], v[26:27]
	v_fma_f64 v[24:25], v[2:3], v[34:35], -v[28:29]
	ds_load_b128 v[2:5], v1 offset:1712
	v_fma_f64 v[8:9], v[8:9], v[157:158], v[18:19]
	v_fma_f64 v[6:7], v[6:7], v[157:158], -v[20:21]
	v_add_f64 v[10:11], v[14:15], v[10:11]
	v_add_f64 v[12:13], v[16:17], v[12:13]
	s_waitcnt vmcnt(0) lgkmcnt(0)
	v_mul_f64 v[14:15], v[2:3], v[40:41]
	v_mul_f64 v[16:17], v[4:5], v[40:41]
	s_delay_alu instid0(VALU_DEP_4) | instskip(NEXT) | instid1(VALU_DEP_4)
	v_add_f64 v[10:11], v[10:11], v[24:25]
	v_add_f64 v[12:13], v[12:13], v[22:23]
	s_delay_alu instid0(VALU_DEP_4) | instskip(NEXT) | instid1(VALU_DEP_4)
	v_fma_f64 v[4:5], v[4:5], v[38:39], v[14:15]
	v_fma_f64 v[2:3], v[2:3], v[38:39], -v[16:17]
	s_delay_alu instid0(VALU_DEP_4) | instskip(NEXT) | instid1(VALU_DEP_4)
	v_add_f64 v[6:7], v[10:11], v[6:7]
	v_add_f64 v[8:9], v[12:13], v[8:9]
	s_delay_alu instid0(VALU_DEP_2) | instskip(NEXT) | instid1(VALU_DEP_2)
	v_add_f64 v[2:3], v[6:7], v[2:3]
	v_add_f64 v[4:5], v[8:9], v[4:5]
	s_delay_alu instid0(VALU_DEP_2) | instskip(NEXT) | instid1(VALU_DEP_2)
	v_add_f64 v[2:3], v[42:43], -v[2:3]
	v_add_f64 v[4:5], v[44:45], -v[4:5]
	scratch_store_b128 off, v[2:5], off offset:352
	v_cmpx_lt_u32_e32 21, v154
	s_cbranch_execz .LBB117_295
; %bb.294:
	scratch_load_b128 v[5:8], v187, off
	v_mov_b32_e32 v2, v1
	v_mov_b32_e32 v3, v1
	;; [unrolled: 1-line block ×3, first 2 shown]
	scratch_store_b128 off, v[1:4], off offset:336
	s_waitcnt vmcnt(0)
	ds_store_b128 v208, v[5:8]
.LBB117_295:
	s_or_b32 exec_lo, exec_lo, s2
	s_waitcnt lgkmcnt(0)
	s_waitcnt_vscnt null, 0x0
	s_barrier
	buffer_gl0_inv
	s_clause 0x8
	scratch_load_b128 v[2:5], off, off offset:352
	scratch_load_b128 v[6:9], off, off offset:368
	scratch_load_b128 v[10:13], off, off offset:384
	scratch_load_b128 v[14:17], off, off offset:400
	scratch_load_b128 v[18:21], off, off offset:416
	scratch_load_b128 v[22:25], off, off offset:432
	scratch_load_b128 v[26:29], off, off offset:448
	scratch_load_b128 v[30:33], off, off offset:464
	scratch_load_b128 v[34:37], off, off offset:480
	ds_load_b128 v[42:45], v1 offset:1216
	ds_load_b128 v[38:41], v1 offset:1232
	s_clause 0x1
	scratch_load_b128 v[157:160], off, off offset:336
	scratch_load_b128 v[171:174], off, off offset:496
	s_mov_b32 s2, exec_lo
	ds_load_b128 v[220:223], v1 offset:1264
	s_waitcnt vmcnt(10) lgkmcnt(2)
	v_mul_f64 v[48:49], v[44:45], v[4:5]
	v_mul_f64 v[4:5], v[42:43], v[4:5]
	s_waitcnt vmcnt(9) lgkmcnt(1)
	v_mul_f64 v[50:51], v[38:39], v[8:9]
	v_mul_f64 v[8:9], v[40:41], v[8:9]
	s_delay_alu instid0(VALU_DEP_4) | instskip(NEXT) | instid1(VALU_DEP_4)
	v_fma_f64 v[48:49], v[42:43], v[2:3], -v[48:49]
	v_fma_f64 v[164:165], v[44:45], v[2:3], v[4:5]
	ds_load_b128 v[2:5], v1 offset:1248
	scratch_load_b128 v[42:45], off, off offset:512
	v_fma_f64 v[40:41], v[40:41], v[6:7], v[50:51]
	v_fma_f64 v[38:39], v[38:39], v[6:7], -v[8:9]
	scratch_load_b128 v[6:9], off, off offset:528
	s_waitcnt vmcnt(10) lgkmcnt(0)
	v_mul_f64 v[168:169], v[2:3], v[12:13]
	v_mul_f64 v[12:13], v[4:5], v[12:13]
	v_add_f64 v[48:49], v[48:49], 0
	v_add_f64 v[50:51], v[164:165], 0
	s_waitcnt vmcnt(9)
	v_mul_f64 v[164:165], v[220:221], v[16:17]
	v_mul_f64 v[16:17], v[222:223], v[16:17]
	v_fma_f64 v[168:169], v[4:5], v[10:11], v[168:169]
	v_fma_f64 v[226:227], v[2:3], v[10:11], -v[12:13]
	ds_load_b128 v[2:5], v1 offset:1280
	scratch_load_b128 v[10:13], off, off offset:544
	v_add_f64 v[48:49], v[48:49], v[38:39]
	v_add_f64 v[50:51], v[50:51], v[40:41]
	ds_load_b128 v[38:41], v1 offset:1296
	v_fma_f64 v[164:165], v[222:223], v[14:15], v[164:165]
	v_fma_f64 v[220:221], v[220:221], v[14:15], -v[16:17]
	scratch_load_b128 v[14:17], off, off offset:560
	s_waitcnt vmcnt(10) lgkmcnt(1)
	v_mul_f64 v[228:229], v[2:3], v[20:21]
	v_mul_f64 v[20:21], v[4:5], v[20:21]
	v_add_f64 v[48:49], v[48:49], v[226:227]
	v_add_f64 v[50:51], v[50:51], v[168:169]
	s_waitcnt vmcnt(9) lgkmcnt(0)
	v_mul_f64 v[168:169], v[38:39], v[24:25]
	v_mul_f64 v[24:25], v[40:41], v[24:25]
	v_fma_f64 v[226:227], v[4:5], v[18:19], v[228:229]
	v_fma_f64 v[228:229], v[2:3], v[18:19], -v[20:21]
	ds_load_b128 v[2:5], v1 offset:1312
	scratch_load_b128 v[18:21], off, off offset:576
	v_add_f64 v[48:49], v[48:49], v[220:221]
	v_add_f64 v[50:51], v[50:51], v[164:165]
	ds_load_b128 v[220:223], v1 offset:1328
	s_waitcnt vmcnt(9) lgkmcnt(1)
	v_mul_f64 v[164:165], v[2:3], v[28:29]
	v_mul_f64 v[28:29], v[4:5], v[28:29]
	v_fma_f64 v[40:41], v[40:41], v[22:23], v[168:169]
	v_fma_f64 v[38:39], v[38:39], v[22:23], -v[24:25]
	scratch_load_b128 v[22:25], off, off offset:592
	s_waitcnt vmcnt(9) lgkmcnt(0)
	v_mul_f64 v[168:169], v[220:221], v[32:33]
	v_mul_f64 v[32:33], v[222:223], v[32:33]
	v_add_f64 v[48:49], v[48:49], v[228:229]
	v_add_f64 v[50:51], v[50:51], v[226:227]
	v_fma_f64 v[164:165], v[4:5], v[26:27], v[164:165]
	v_fma_f64 v[226:227], v[2:3], v[26:27], -v[28:29]
	ds_load_b128 v[2:5], v1 offset:1344
	scratch_load_b128 v[26:29], off, off offset:608
	v_fma_f64 v[168:169], v[222:223], v[30:31], v[168:169]
	v_fma_f64 v[220:221], v[220:221], v[30:31], -v[32:33]
	scratch_load_b128 v[30:33], off, off offset:624
	v_add_f64 v[48:49], v[48:49], v[38:39]
	v_add_f64 v[50:51], v[50:51], v[40:41]
	ds_load_b128 v[38:41], v1 offset:1360
	s_waitcnt vmcnt(10) lgkmcnt(1)
	v_mul_f64 v[228:229], v[2:3], v[36:37]
	v_mul_f64 v[36:37], v[4:5], v[36:37]
	v_add_f64 v[48:49], v[48:49], v[226:227]
	v_add_f64 v[50:51], v[50:51], v[164:165]
	s_waitcnt vmcnt(8) lgkmcnt(0)
	v_mul_f64 v[164:165], v[38:39], v[173:174]
	v_mul_f64 v[173:174], v[40:41], v[173:174]
	v_fma_f64 v[226:227], v[4:5], v[34:35], v[228:229]
	v_fma_f64 v[228:229], v[2:3], v[34:35], -v[36:37]
	ds_load_b128 v[2:5], v1 offset:1376
	scratch_load_b128 v[34:37], off, off offset:640
	v_add_f64 v[48:49], v[48:49], v[220:221]
	v_add_f64 v[50:51], v[50:51], v[168:169]
	ds_load_b128 v[220:223], v1 offset:1392
	v_fma_f64 v[164:165], v[40:41], v[171:172], v[164:165]
	v_fma_f64 v[171:172], v[38:39], v[171:172], -v[173:174]
	scratch_load_b128 v[38:41], off, off offset:656
	s_waitcnt vmcnt(9) lgkmcnt(1)
	v_mul_f64 v[168:169], v[2:3], v[44:45]
	v_mul_f64 v[44:45], v[4:5], v[44:45]
	v_add_f64 v[48:49], v[48:49], v[228:229]
	v_add_f64 v[50:51], v[50:51], v[226:227]
	s_waitcnt vmcnt(8) lgkmcnt(0)
	v_mul_f64 v[226:227], v[220:221], v[8:9]
	v_mul_f64 v[8:9], v[222:223], v[8:9]
	v_fma_f64 v[168:169], v[4:5], v[42:43], v[168:169]
	v_fma_f64 v[228:229], v[2:3], v[42:43], -v[44:45]
	ds_load_b128 v[2:5], v1 offset:1408
	scratch_load_b128 v[42:45], off, off offset:672
	v_add_f64 v[48:49], v[48:49], v[171:172]
	v_add_f64 v[50:51], v[50:51], v[164:165]
	ds_load_b128 v[171:174], v1 offset:1424
	s_waitcnt vmcnt(8) lgkmcnt(1)
	v_mul_f64 v[164:165], v[2:3], v[12:13]
	v_mul_f64 v[12:13], v[4:5], v[12:13]
	v_fma_f64 v[222:223], v[222:223], v[6:7], v[226:227]
	v_fma_f64 v[220:221], v[220:221], v[6:7], -v[8:9]
	scratch_load_b128 v[6:9], off, off offset:688
	v_add_f64 v[48:49], v[48:49], v[228:229]
	v_add_f64 v[50:51], v[50:51], v[168:169]
	s_waitcnt vmcnt(8) lgkmcnt(0)
	v_mul_f64 v[168:169], v[171:172], v[16:17]
	v_mul_f64 v[16:17], v[173:174], v[16:17]
	v_fma_f64 v[164:165], v[4:5], v[10:11], v[164:165]
	v_fma_f64 v[226:227], v[2:3], v[10:11], -v[12:13]
	ds_load_b128 v[2:5], v1 offset:1440
	scratch_load_b128 v[10:13], off, off offset:704
	v_add_f64 v[48:49], v[48:49], v[220:221]
	v_add_f64 v[50:51], v[50:51], v[222:223]
	ds_load_b128 v[220:223], v1 offset:1456
	s_waitcnt vmcnt(8) lgkmcnt(1)
	v_mul_f64 v[228:229], v[2:3], v[20:21]
	v_mul_f64 v[20:21], v[4:5], v[20:21]
	v_fma_f64 v[168:169], v[173:174], v[14:15], v[168:169]
	v_fma_f64 v[171:172], v[171:172], v[14:15], -v[16:17]
	scratch_load_b128 v[14:17], off, off offset:720
	;; [unrolled: 18-line block ×6, first 2 shown]
	s_waitcnt vmcnt(8) lgkmcnt(0)
	v_mul_f64 v[173:174], v[220:221], v[16:17]
	v_mul_f64 v[16:17], v[222:223], v[16:17]
	v_add_f64 v[48:49], v[48:49], v[228:229]
	v_add_f64 v[50:51], v[50:51], v[226:227]
	v_fma_f64 v[168:169], v[4:5], v[10:11], v[168:169]
	v_fma_f64 v[226:227], v[2:3], v[10:11], -v[12:13]
	ds_load_b128 v[2:5], v1 offset:1600
	ds_load_b128 v[10:13], v1 offset:1616
	v_add_f64 v[48:49], v[48:49], v[171:172]
	v_add_f64 v[50:51], v[50:51], v[164:165]
	s_waitcnt vmcnt(7) lgkmcnt(1)
	v_mul_f64 v[164:165], v[2:3], v[20:21]
	v_mul_f64 v[20:21], v[4:5], v[20:21]
	v_fma_f64 v[171:172], v[222:223], v[14:15], v[173:174]
	v_fma_f64 v[14:15], v[220:221], v[14:15], -v[16:17]
	v_add_f64 v[16:17], v[48:49], v[226:227]
	v_add_f64 v[48:49], v[50:51], v[168:169]
	s_waitcnt vmcnt(6) lgkmcnt(0)
	v_mul_f64 v[50:51], v[10:11], v[24:25]
	v_mul_f64 v[24:25], v[12:13], v[24:25]
	v_fma_f64 v[164:165], v[4:5], v[18:19], v[164:165]
	v_fma_f64 v[18:19], v[2:3], v[18:19], -v[20:21]
	v_add_f64 v[20:21], v[16:17], v[14:15]
	v_add_f64 v[48:49], v[48:49], v[171:172]
	ds_load_b128 v[2:5], v1 offset:1632
	ds_load_b128 v[14:17], v1 offset:1648
	v_fma_f64 v[12:13], v[12:13], v[22:23], v[50:51]
	v_fma_f64 v[10:11], v[10:11], v[22:23], -v[24:25]
	s_waitcnt vmcnt(5) lgkmcnt(1)
	v_mul_f64 v[168:169], v[2:3], v[28:29]
	v_mul_f64 v[28:29], v[4:5], v[28:29]
	s_waitcnt vmcnt(4) lgkmcnt(0)
	v_mul_f64 v[22:23], v[14:15], v[32:33]
	v_mul_f64 v[24:25], v[16:17], v[32:33]
	v_add_f64 v[18:19], v[20:21], v[18:19]
	v_add_f64 v[20:21], v[48:49], v[164:165]
	v_fma_f64 v[32:33], v[4:5], v[26:27], v[168:169]
	v_fma_f64 v[26:27], v[2:3], v[26:27], -v[28:29]
	v_fma_f64 v[16:17], v[16:17], v[30:31], v[22:23]
	v_fma_f64 v[14:15], v[14:15], v[30:31], -v[24:25]
	v_add_f64 v[18:19], v[18:19], v[10:11]
	v_add_f64 v[20:21], v[20:21], v[12:13]
	ds_load_b128 v[2:5], v1 offset:1664
	ds_load_b128 v[10:13], v1 offset:1680
	s_waitcnt vmcnt(3) lgkmcnt(1)
	v_mul_f64 v[28:29], v[2:3], v[36:37]
	v_mul_f64 v[36:37], v[4:5], v[36:37]
	s_waitcnt vmcnt(2) lgkmcnt(0)
	v_mul_f64 v[22:23], v[10:11], v[40:41]
	v_mul_f64 v[24:25], v[12:13], v[40:41]
	v_add_f64 v[18:19], v[18:19], v[26:27]
	v_add_f64 v[20:21], v[20:21], v[32:33]
	v_fma_f64 v[26:27], v[4:5], v[34:35], v[28:29]
	v_fma_f64 v[28:29], v[2:3], v[34:35], -v[36:37]
	v_fma_f64 v[12:13], v[12:13], v[38:39], v[22:23]
	v_fma_f64 v[10:11], v[10:11], v[38:39], -v[24:25]
	v_add_f64 v[18:19], v[18:19], v[14:15]
	v_add_f64 v[20:21], v[20:21], v[16:17]
	ds_load_b128 v[2:5], v1 offset:1696
	ds_load_b128 v[14:17], v1 offset:1712
	s_waitcnt vmcnt(1) lgkmcnt(1)
	v_mul_f64 v[30:31], v[2:3], v[44:45]
	v_mul_f64 v[32:33], v[4:5], v[44:45]
	s_waitcnt vmcnt(0) lgkmcnt(0)
	v_mul_f64 v[22:23], v[14:15], v[8:9]
	v_mul_f64 v[8:9], v[16:17], v[8:9]
	v_add_f64 v[18:19], v[18:19], v[28:29]
	v_add_f64 v[20:21], v[20:21], v[26:27]
	v_fma_f64 v[4:5], v[4:5], v[42:43], v[30:31]
	v_fma_f64 v[1:2], v[2:3], v[42:43], -v[32:33]
	v_fma_f64 v[16:17], v[16:17], v[6:7], v[22:23]
	v_fma_f64 v[6:7], v[14:15], v[6:7], -v[8:9]
	v_add_f64 v[10:11], v[18:19], v[10:11]
	v_add_f64 v[12:13], v[20:21], v[12:13]
	s_delay_alu instid0(VALU_DEP_2) | instskip(NEXT) | instid1(VALU_DEP_2)
	v_add_f64 v[1:2], v[10:11], v[1:2]
	v_add_f64 v[3:4], v[12:13], v[4:5]
	s_delay_alu instid0(VALU_DEP_2) | instskip(NEXT) | instid1(VALU_DEP_2)
	;; [unrolled: 3-line block ×3, first 2 shown]
	v_add_f64 v[1:2], v[157:158], -v[1:2]
	v_add_f64 v[3:4], v[159:160], -v[3:4]
	scratch_store_b128 off, v[1:4], off offset:336
	v_cmpx_lt_u32_e32 20, v154
	s_cbranch_execz .LBB117_297
; %bb.296:
	scratch_load_b128 v[1:4], v188, off
	v_mov_b32_e32 v5, 0
	s_delay_alu instid0(VALU_DEP_1)
	v_mov_b32_e32 v6, v5
	v_mov_b32_e32 v7, v5
	;; [unrolled: 1-line block ×3, first 2 shown]
	scratch_store_b128 off, v[5:8], off offset:320
	s_waitcnt vmcnt(0)
	ds_store_b128 v208, v[1:4]
.LBB117_297:
	s_or_b32 exec_lo, exec_lo, s2
	s_waitcnt lgkmcnt(0)
	s_waitcnt_vscnt null, 0x0
	s_barrier
	buffer_gl0_inv
	s_clause 0x7
	scratch_load_b128 v[2:5], off, off offset:336
	scratch_load_b128 v[6:9], off, off offset:352
	scratch_load_b128 v[10:13], off, off offset:368
	scratch_load_b128 v[14:17], off, off offset:384
	scratch_load_b128 v[18:21], off, off offset:400
	scratch_load_b128 v[22:25], off, off offset:416
	scratch_load_b128 v[26:29], off, off offset:432
	scratch_load_b128 v[30:33], off, off offset:448
	v_mov_b32_e32 v1, 0
	s_mov_b32 s2, exec_lo
	ds_load_b128 v[38:41], v1 offset:1200
	s_clause 0x1
	scratch_load_b128 v[34:37], off, off offset:464
	scratch_load_b128 v[42:45], off, off offset:320
	ds_load_b128 v[157:160], v1 offset:1216
	scratch_load_b128 v[171:174], off, off offset:480
	ds_load_b128 v[220:223], v1 offset:1248
	s_waitcnt vmcnt(10) lgkmcnt(2)
	v_mul_f64 v[48:49], v[40:41], v[4:5]
	v_mul_f64 v[4:5], v[38:39], v[4:5]
	s_delay_alu instid0(VALU_DEP_2) | instskip(NEXT) | instid1(VALU_DEP_2)
	v_fma_f64 v[48:49], v[38:39], v[2:3], -v[48:49]
	v_fma_f64 v[164:165], v[40:41], v[2:3], v[4:5]
	ds_load_b128 v[2:5], v1 offset:1232
	s_waitcnt vmcnt(9) lgkmcnt(2)
	v_mul_f64 v[50:51], v[157:158], v[8:9]
	v_mul_f64 v[8:9], v[159:160], v[8:9]
	scratch_load_b128 v[38:41], off, off offset:496
	s_waitcnt vmcnt(9) lgkmcnt(0)
	v_mul_f64 v[168:169], v[2:3], v[12:13]
	v_mul_f64 v[12:13], v[4:5], v[12:13]
	v_add_f64 v[48:49], v[48:49], 0
	v_fma_f64 v[50:51], v[159:160], v[6:7], v[50:51]
	v_fma_f64 v[157:158], v[157:158], v[6:7], -v[8:9]
	v_add_f64 v[159:160], v[164:165], 0
	scratch_load_b128 v[6:9], off, off offset:512
	v_fma_f64 v[168:169], v[4:5], v[10:11], v[168:169]
	v_fma_f64 v[226:227], v[2:3], v[10:11], -v[12:13]
	scratch_load_b128 v[10:13], off, off offset:528
	ds_load_b128 v[2:5], v1 offset:1264
	s_waitcnt vmcnt(10)
	v_mul_f64 v[164:165], v[220:221], v[16:17]
	v_mul_f64 v[16:17], v[222:223], v[16:17]
	v_add_f64 v[48:49], v[48:49], v[157:158]
	v_add_f64 v[50:51], v[159:160], v[50:51]
	ds_load_b128 v[157:160], v1 offset:1280
	s_waitcnt vmcnt(9) lgkmcnt(1)
	v_mul_f64 v[228:229], v[2:3], v[20:21]
	v_mul_f64 v[20:21], v[4:5], v[20:21]
	v_fma_f64 v[164:165], v[222:223], v[14:15], v[164:165]
	v_fma_f64 v[220:221], v[220:221], v[14:15], -v[16:17]
	scratch_load_b128 v[14:17], off, off offset:544
	v_add_f64 v[48:49], v[48:49], v[226:227]
	v_add_f64 v[50:51], v[50:51], v[168:169]
	v_fma_f64 v[226:227], v[4:5], v[18:19], v[228:229]
	v_fma_f64 v[228:229], v[2:3], v[18:19], -v[20:21]
	scratch_load_b128 v[18:21], off, off offset:560
	ds_load_b128 v[2:5], v1 offset:1296
	s_waitcnt vmcnt(10) lgkmcnt(1)
	v_mul_f64 v[168:169], v[157:158], v[24:25]
	v_mul_f64 v[24:25], v[159:160], v[24:25]
	v_add_f64 v[48:49], v[48:49], v[220:221]
	v_add_f64 v[50:51], v[50:51], v[164:165]
	s_waitcnt vmcnt(9) lgkmcnt(0)
	v_mul_f64 v[164:165], v[2:3], v[28:29]
	v_mul_f64 v[28:29], v[4:5], v[28:29]
	ds_load_b128 v[220:223], v1 offset:1312
	v_fma_f64 v[159:160], v[159:160], v[22:23], v[168:169]
	v_fma_f64 v[157:158], v[157:158], v[22:23], -v[24:25]
	scratch_load_b128 v[22:25], off, off offset:576
	v_add_f64 v[48:49], v[48:49], v[228:229]
	v_add_f64 v[50:51], v[50:51], v[226:227]
	v_fma_f64 v[164:165], v[4:5], v[26:27], v[164:165]
	v_fma_f64 v[226:227], v[2:3], v[26:27], -v[28:29]
	scratch_load_b128 v[26:29], off, off offset:592
	ds_load_b128 v[2:5], v1 offset:1328
	s_waitcnt vmcnt(10) lgkmcnt(1)
	v_mul_f64 v[168:169], v[220:221], v[32:33]
	v_mul_f64 v[32:33], v[222:223], v[32:33]
	s_waitcnt vmcnt(9) lgkmcnt(0)
	v_mul_f64 v[228:229], v[2:3], v[36:37]
	v_mul_f64 v[36:37], v[4:5], v[36:37]
	v_add_f64 v[48:49], v[48:49], v[157:158]
	v_add_f64 v[50:51], v[50:51], v[159:160]
	ds_load_b128 v[157:160], v1 offset:1344
	v_fma_f64 v[168:169], v[222:223], v[30:31], v[168:169]
	v_fma_f64 v[220:221], v[220:221], v[30:31], -v[32:33]
	scratch_load_b128 v[30:33], off, off offset:608
	v_add_f64 v[48:49], v[48:49], v[226:227]
	v_add_f64 v[50:51], v[50:51], v[164:165]
	v_fma_f64 v[226:227], v[4:5], v[34:35], v[228:229]
	v_fma_f64 v[228:229], v[2:3], v[34:35], -v[36:37]
	scratch_load_b128 v[34:37], off, off offset:624
	ds_load_b128 v[2:5], v1 offset:1360
	s_waitcnt vmcnt(9) lgkmcnt(1)
	v_mul_f64 v[164:165], v[157:158], v[173:174]
	v_mul_f64 v[173:174], v[159:160], v[173:174]
	v_add_f64 v[48:49], v[48:49], v[220:221]
	v_add_f64 v[50:51], v[50:51], v[168:169]
	ds_load_b128 v[220:223], v1 offset:1376
	v_fma_f64 v[164:165], v[159:160], v[171:172], v[164:165]
	v_fma_f64 v[171:172], v[157:158], v[171:172], -v[173:174]
	scratch_load_b128 v[157:160], off, off offset:640
	s_waitcnt vmcnt(9) lgkmcnt(1)
	v_mul_f64 v[168:169], v[2:3], v[40:41]
	v_mul_f64 v[40:41], v[4:5], v[40:41]
	v_add_f64 v[48:49], v[48:49], v[228:229]
	v_add_f64 v[50:51], v[50:51], v[226:227]
	s_delay_alu instid0(VALU_DEP_4) | instskip(NEXT) | instid1(VALU_DEP_4)
	v_fma_f64 v[168:169], v[4:5], v[38:39], v[168:169]
	v_fma_f64 v[228:229], v[2:3], v[38:39], -v[40:41]
	scratch_load_b128 v[38:41], off, off offset:656
	ds_load_b128 v[2:5], v1 offset:1392
	s_waitcnt vmcnt(9) lgkmcnt(1)
	v_mul_f64 v[226:227], v[220:221], v[8:9]
	v_mul_f64 v[8:9], v[222:223], v[8:9]
	v_add_f64 v[48:49], v[48:49], v[171:172]
	v_add_f64 v[50:51], v[50:51], v[164:165]
	s_waitcnt vmcnt(8) lgkmcnt(0)
	v_mul_f64 v[164:165], v[2:3], v[12:13]
	v_mul_f64 v[12:13], v[4:5], v[12:13]
	ds_load_b128 v[171:174], v1 offset:1408
	v_fma_f64 v[222:223], v[222:223], v[6:7], v[226:227]
	v_fma_f64 v[220:221], v[220:221], v[6:7], -v[8:9]
	scratch_load_b128 v[6:9], off, off offset:672
	v_add_f64 v[48:49], v[48:49], v[228:229]
	v_add_f64 v[50:51], v[50:51], v[168:169]
	v_fma_f64 v[164:165], v[4:5], v[10:11], v[164:165]
	v_fma_f64 v[226:227], v[2:3], v[10:11], -v[12:13]
	scratch_load_b128 v[10:13], off, off offset:688
	ds_load_b128 v[2:5], v1 offset:1424
	s_waitcnt vmcnt(9) lgkmcnt(1)
	v_mul_f64 v[168:169], v[171:172], v[16:17]
	v_mul_f64 v[16:17], v[173:174], v[16:17]
	s_waitcnt vmcnt(8) lgkmcnt(0)
	v_mul_f64 v[228:229], v[2:3], v[20:21]
	v_mul_f64 v[20:21], v[4:5], v[20:21]
	v_add_f64 v[48:49], v[48:49], v[220:221]
	v_add_f64 v[50:51], v[50:51], v[222:223]
	ds_load_b128 v[220:223], v1 offset:1440
	v_fma_f64 v[168:169], v[173:174], v[14:15], v[168:169]
	v_fma_f64 v[171:172], v[171:172], v[14:15], -v[16:17]
	scratch_load_b128 v[14:17], off, off offset:704
	v_add_f64 v[48:49], v[48:49], v[226:227]
	v_add_f64 v[50:51], v[50:51], v[164:165]
	v_fma_f64 v[226:227], v[4:5], v[18:19], v[228:229]
	v_fma_f64 v[228:229], v[2:3], v[18:19], -v[20:21]
	scratch_load_b128 v[18:21], off, off offset:720
	ds_load_b128 v[2:5], v1 offset:1456
	s_waitcnt vmcnt(9) lgkmcnt(1)
	v_mul_f64 v[164:165], v[220:221], v[24:25]
	v_mul_f64 v[24:25], v[222:223], v[24:25]
	v_add_f64 v[48:49], v[48:49], v[171:172]
	v_add_f64 v[50:51], v[50:51], v[168:169]
	s_waitcnt vmcnt(8) lgkmcnt(0)
	v_mul_f64 v[168:169], v[2:3], v[28:29]
	v_mul_f64 v[28:29], v[4:5], v[28:29]
	ds_load_b128 v[171:174], v1 offset:1472
	v_fma_f64 v[164:165], v[222:223], v[22:23], v[164:165]
	v_fma_f64 v[220:221], v[220:221], v[22:23], -v[24:25]
	scratch_load_b128 v[22:25], off, off offset:736
	v_add_f64 v[48:49], v[48:49], v[228:229]
	v_add_f64 v[50:51], v[50:51], v[226:227]
	v_fma_f64 v[168:169], v[4:5], v[26:27], v[168:169]
	v_fma_f64 v[228:229], v[2:3], v[26:27], -v[28:29]
	scratch_load_b128 v[26:29], off, off offset:752
	ds_load_b128 v[2:5], v1 offset:1488
	s_waitcnt vmcnt(9) lgkmcnt(1)
	v_mul_f64 v[226:227], v[171:172], v[32:33]
	v_mul_f64 v[32:33], v[173:174], v[32:33]
	v_add_f64 v[48:49], v[48:49], v[220:221]
	v_add_f64 v[50:51], v[50:51], v[164:165]
	s_waitcnt vmcnt(8) lgkmcnt(0)
	v_mul_f64 v[164:165], v[2:3], v[36:37]
	v_mul_f64 v[36:37], v[4:5], v[36:37]
	ds_load_b128 v[220:223], v1 offset:1504
	v_fma_f64 v[173:174], v[173:174], v[30:31], v[226:227]
	v_fma_f64 v[171:172], v[171:172], v[30:31], -v[32:33]
	scratch_load_b128 v[30:33], off, off offset:768
	v_add_f64 v[48:49], v[48:49], v[228:229]
	v_add_f64 v[50:51], v[50:51], v[168:169]
	v_fma_f64 v[164:165], v[4:5], v[34:35], v[164:165]
	v_fma_f64 v[226:227], v[2:3], v[34:35], -v[36:37]
	scratch_load_b128 v[34:37], off, off offset:784
	ds_load_b128 v[2:5], v1 offset:1520
	s_waitcnt vmcnt(9) lgkmcnt(1)
	v_mul_f64 v[168:169], v[220:221], v[159:160]
	v_mul_f64 v[159:160], v[222:223], v[159:160]
	s_waitcnt vmcnt(8) lgkmcnt(0)
	v_mul_f64 v[228:229], v[2:3], v[40:41]
	v_mul_f64 v[40:41], v[4:5], v[40:41]
	v_add_f64 v[48:49], v[48:49], v[171:172]
	v_add_f64 v[50:51], v[50:51], v[173:174]
	ds_load_b128 v[171:174], v1 offset:1536
	v_fma_f64 v[168:169], v[222:223], v[157:158], v[168:169]
	v_fma_f64 v[220:221], v[220:221], v[157:158], -v[159:160]
	scratch_load_b128 v[157:160], off, off offset:800
	v_add_f64 v[48:49], v[48:49], v[226:227]
	v_add_f64 v[50:51], v[50:51], v[164:165]
	v_fma_f64 v[226:227], v[4:5], v[38:39], v[228:229]
	v_fma_f64 v[228:229], v[2:3], v[38:39], -v[40:41]
	scratch_load_b128 v[38:41], off, off offset:816
	ds_load_b128 v[2:5], v1 offset:1552
	s_waitcnt vmcnt(9) lgkmcnt(1)
	v_mul_f64 v[164:165], v[171:172], v[8:9]
	v_mul_f64 v[8:9], v[173:174], v[8:9]
	v_add_f64 v[48:49], v[48:49], v[220:221]
	v_add_f64 v[50:51], v[50:51], v[168:169]
	s_waitcnt vmcnt(8) lgkmcnt(0)
	v_mul_f64 v[168:169], v[2:3], v[12:13]
	v_mul_f64 v[12:13], v[4:5], v[12:13]
	ds_load_b128 v[220:223], v1 offset:1568
	v_fma_f64 v[164:165], v[173:174], v[6:7], v[164:165]
	v_fma_f64 v[171:172], v[171:172], v[6:7], -v[8:9]
	scratch_load_b128 v[6:9], off, off offset:832
	v_add_f64 v[48:49], v[48:49], v[228:229]
	v_add_f64 v[50:51], v[50:51], v[226:227]
	v_fma_f64 v[168:169], v[4:5], v[10:11], v[168:169]
	v_fma_f64 v[228:229], v[2:3], v[10:11], -v[12:13]
	scratch_load_b128 v[10:13], off, off offset:848
	ds_load_b128 v[2:5], v1 offset:1584
	s_waitcnt vmcnt(9) lgkmcnt(1)
	v_mul_f64 v[226:227], v[220:221], v[16:17]
	v_mul_f64 v[16:17], v[222:223], v[16:17]
	v_add_f64 v[48:49], v[48:49], v[171:172]
	v_add_f64 v[50:51], v[50:51], v[164:165]
	s_waitcnt vmcnt(8) lgkmcnt(0)
	v_mul_f64 v[164:165], v[2:3], v[20:21]
	v_mul_f64 v[20:21], v[4:5], v[20:21]
	ds_load_b128 v[171:174], v1 offset:1600
	v_fma_f64 v[222:223], v[222:223], v[14:15], v[226:227]
	v_fma_f64 v[14:15], v[220:221], v[14:15], -v[16:17]
	v_add_f64 v[16:17], v[48:49], v[228:229]
	v_add_f64 v[48:49], v[50:51], v[168:169]
	s_waitcnt vmcnt(7) lgkmcnt(0)
	v_mul_f64 v[50:51], v[171:172], v[24:25]
	v_mul_f64 v[24:25], v[173:174], v[24:25]
	v_fma_f64 v[164:165], v[4:5], v[18:19], v[164:165]
	v_fma_f64 v[18:19], v[2:3], v[18:19], -v[20:21]
	v_add_f64 v[20:21], v[16:17], v[14:15]
	v_add_f64 v[48:49], v[48:49], v[222:223]
	ds_load_b128 v[2:5], v1 offset:1616
	ds_load_b128 v[14:17], v1 offset:1632
	v_fma_f64 v[50:51], v[173:174], v[22:23], v[50:51]
	v_fma_f64 v[22:23], v[171:172], v[22:23], -v[24:25]
	s_waitcnt vmcnt(6) lgkmcnt(1)
	v_mul_f64 v[168:169], v[2:3], v[28:29]
	v_mul_f64 v[28:29], v[4:5], v[28:29]
	s_waitcnt vmcnt(5) lgkmcnt(0)
	v_mul_f64 v[24:25], v[14:15], v[32:33]
	v_mul_f64 v[32:33], v[16:17], v[32:33]
	v_add_f64 v[18:19], v[20:21], v[18:19]
	v_add_f64 v[20:21], v[48:49], v[164:165]
	v_fma_f64 v[48:49], v[4:5], v[26:27], v[168:169]
	v_fma_f64 v[26:27], v[2:3], v[26:27], -v[28:29]
	v_fma_f64 v[16:17], v[16:17], v[30:31], v[24:25]
	v_fma_f64 v[14:15], v[14:15], v[30:31], -v[32:33]
	v_add_f64 v[22:23], v[18:19], v[22:23]
	v_add_f64 v[28:29], v[20:21], v[50:51]
	ds_load_b128 v[2:5], v1 offset:1648
	ds_load_b128 v[18:21], v1 offset:1664
	s_waitcnt vmcnt(4) lgkmcnt(1)
	v_mul_f64 v[50:51], v[2:3], v[36:37]
	v_mul_f64 v[36:37], v[4:5], v[36:37]
	v_add_f64 v[22:23], v[22:23], v[26:27]
	v_add_f64 v[24:25], v[28:29], v[48:49]
	s_waitcnt vmcnt(3) lgkmcnt(0)
	v_mul_f64 v[26:27], v[18:19], v[159:160]
	v_mul_f64 v[28:29], v[20:21], v[159:160]
	v_fma_f64 v[30:31], v[4:5], v[34:35], v[50:51]
	v_fma_f64 v[32:33], v[2:3], v[34:35], -v[36:37]
	v_add_f64 v[22:23], v[22:23], v[14:15]
	v_add_f64 v[24:25], v[24:25], v[16:17]
	ds_load_b128 v[2:5], v1 offset:1680
	ds_load_b128 v[14:17], v1 offset:1696
	v_fma_f64 v[20:21], v[20:21], v[157:158], v[26:27]
	v_fma_f64 v[18:19], v[18:19], v[157:158], -v[28:29]
	s_waitcnt vmcnt(2) lgkmcnt(1)
	v_mul_f64 v[34:35], v[2:3], v[40:41]
	v_mul_f64 v[36:37], v[4:5], v[40:41]
	s_waitcnt vmcnt(1) lgkmcnt(0)
	v_mul_f64 v[26:27], v[14:15], v[8:9]
	v_mul_f64 v[8:9], v[16:17], v[8:9]
	v_add_f64 v[22:23], v[22:23], v[32:33]
	v_add_f64 v[24:25], v[24:25], v[30:31]
	v_fma_f64 v[28:29], v[4:5], v[38:39], v[34:35]
	v_fma_f64 v[30:31], v[2:3], v[38:39], -v[36:37]
	ds_load_b128 v[2:5], v1 offset:1712
	v_fma_f64 v[16:17], v[16:17], v[6:7], v[26:27]
	v_fma_f64 v[6:7], v[14:15], v[6:7], -v[8:9]
	v_add_f64 v[18:19], v[22:23], v[18:19]
	v_add_f64 v[20:21], v[24:25], v[20:21]
	s_waitcnt vmcnt(0) lgkmcnt(0)
	v_mul_f64 v[22:23], v[2:3], v[12:13]
	v_mul_f64 v[12:13], v[4:5], v[12:13]
	s_delay_alu instid0(VALU_DEP_4) | instskip(NEXT) | instid1(VALU_DEP_4)
	v_add_f64 v[8:9], v[18:19], v[30:31]
	v_add_f64 v[14:15], v[20:21], v[28:29]
	s_delay_alu instid0(VALU_DEP_4) | instskip(NEXT) | instid1(VALU_DEP_4)
	v_fma_f64 v[4:5], v[4:5], v[10:11], v[22:23]
	v_fma_f64 v[2:3], v[2:3], v[10:11], -v[12:13]
	s_delay_alu instid0(VALU_DEP_4) | instskip(NEXT) | instid1(VALU_DEP_4)
	v_add_f64 v[6:7], v[8:9], v[6:7]
	v_add_f64 v[8:9], v[14:15], v[16:17]
	s_delay_alu instid0(VALU_DEP_2) | instskip(NEXT) | instid1(VALU_DEP_2)
	v_add_f64 v[2:3], v[6:7], v[2:3]
	v_add_f64 v[4:5], v[8:9], v[4:5]
	s_delay_alu instid0(VALU_DEP_2) | instskip(NEXT) | instid1(VALU_DEP_2)
	v_add_f64 v[2:3], v[42:43], -v[2:3]
	v_add_f64 v[4:5], v[44:45], -v[4:5]
	scratch_store_b128 off, v[2:5], off offset:320
	v_cmpx_lt_u32_e32 19, v154
	s_cbranch_execz .LBB117_299
; %bb.298:
	scratch_load_b128 v[5:8], v189, off
	v_mov_b32_e32 v2, v1
	v_mov_b32_e32 v3, v1
	;; [unrolled: 1-line block ×3, first 2 shown]
	scratch_store_b128 off, v[1:4], off offset:304
	s_waitcnt vmcnt(0)
	ds_store_b128 v208, v[5:8]
.LBB117_299:
	s_or_b32 exec_lo, exec_lo, s2
	s_waitcnt lgkmcnt(0)
	s_waitcnt_vscnt null, 0x0
	s_barrier
	buffer_gl0_inv
	s_clause 0x8
	scratch_load_b128 v[2:5], off, off offset:320
	scratch_load_b128 v[6:9], off, off offset:336
	;; [unrolled: 1-line block ×9, first 2 shown]
	ds_load_b128 v[42:45], v1 offset:1184
	ds_load_b128 v[38:41], v1 offset:1200
	s_clause 0x1
	scratch_load_b128 v[157:160], off, off offset:304
	scratch_load_b128 v[171:174], off, off offset:464
	s_mov_b32 s2, exec_lo
	ds_load_b128 v[220:223], v1 offset:1232
	s_waitcnt vmcnt(10) lgkmcnt(2)
	v_mul_f64 v[48:49], v[44:45], v[4:5]
	v_mul_f64 v[4:5], v[42:43], v[4:5]
	s_waitcnt vmcnt(9) lgkmcnt(1)
	v_mul_f64 v[50:51], v[38:39], v[8:9]
	v_mul_f64 v[8:9], v[40:41], v[8:9]
	s_delay_alu instid0(VALU_DEP_4) | instskip(NEXT) | instid1(VALU_DEP_4)
	v_fma_f64 v[48:49], v[42:43], v[2:3], -v[48:49]
	v_fma_f64 v[164:165], v[44:45], v[2:3], v[4:5]
	ds_load_b128 v[2:5], v1 offset:1216
	scratch_load_b128 v[42:45], off, off offset:480
	v_fma_f64 v[40:41], v[40:41], v[6:7], v[50:51]
	v_fma_f64 v[38:39], v[38:39], v[6:7], -v[8:9]
	scratch_load_b128 v[6:9], off, off offset:496
	s_waitcnt vmcnt(10) lgkmcnt(0)
	v_mul_f64 v[168:169], v[2:3], v[12:13]
	v_mul_f64 v[12:13], v[4:5], v[12:13]
	v_add_f64 v[48:49], v[48:49], 0
	v_add_f64 v[50:51], v[164:165], 0
	s_waitcnt vmcnt(9)
	v_mul_f64 v[164:165], v[220:221], v[16:17]
	v_mul_f64 v[16:17], v[222:223], v[16:17]
	v_fma_f64 v[168:169], v[4:5], v[10:11], v[168:169]
	v_fma_f64 v[226:227], v[2:3], v[10:11], -v[12:13]
	ds_load_b128 v[2:5], v1 offset:1248
	scratch_load_b128 v[10:13], off, off offset:512
	v_add_f64 v[48:49], v[48:49], v[38:39]
	v_add_f64 v[50:51], v[50:51], v[40:41]
	ds_load_b128 v[38:41], v1 offset:1264
	v_fma_f64 v[164:165], v[222:223], v[14:15], v[164:165]
	v_fma_f64 v[220:221], v[220:221], v[14:15], -v[16:17]
	scratch_load_b128 v[14:17], off, off offset:528
	s_waitcnt vmcnt(10) lgkmcnt(1)
	v_mul_f64 v[228:229], v[2:3], v[20:21]
	v_mul_f64 v[20:21], v[4:5], v[20:21]
	v_add_f64 v[48:49], v[48:49], v[226:227]
	v_add_f64 v[50:51], v[50:51], v[168:169]
	s_waitcnt vmcnt(9) lgkmcnt(0)
	v_mul_f64 v[168:169], v[38:39], v[24:25]
	v_mul_f64 v[24:25], v[40:41], v[24:25]
	v_fma_f64 v[226:227], v[4:5], v[18:19], v[228:229]
	v_fma_f64 v[228:229], v[2:3], v[18:19], -v[20:21]
	ds_load_b128 v[2:5], v1 offset:1280
	scratch_load_b128 v[18:21], off, off offset:544
	v_add_f64 v[48:49], v[48:49], v[220:221]
	v_add_f64 v[50:51], v[50:51], v[164:165]
	ds_load_b128 v[220:223], v1 offset:1296
	s_waitcnt vmcnt(9) lgkmcnt(1)
	v_mul_f64 v[164:165], v[2:3], v[28:29]
	v_mul_f64 v[28:29], v[4:5], v[28:29]
	v_fma_f64 v[40:41], v[40:41], v[22:23], v[168:169]
	v_fma_f64 v[38:39], v[38:39], v[22:23], -v[24:25]
	scratch_load_b128 v[22:25], off, off offset:560
	s_waitcnt vmcnt(9) lgkmcnt(0)
	v_mul_f64 v[168:169], v[220:221], v[32:33]
	v_mul_f64 v[32:33], v[222:223], v[32:33]
	v_add_f64 v[48:49], v[48:49], v[228:229]
	v_add_f64 v[50:51], v[50:51], v[226:227]
	v_fma_f64 v[164:165], v[4:5], v[26:27], v[164:165]
	v_fma_f64 v[226:227], v[2:3], v[26:27], -v[28:29]
	ds_load_b128 v[2:5], v1 offset:1312
	scratch_load_b128 v[26:29], off, off offset:576
	v_fma_f64 v[168:169], v[222:223], v[30:31], v[168:169]
	v_fma_f64 v[220:221], v[220:221], v[30:31], -v[32:33]
	scratch_load_b128 v[30:33], off, off offset:592
	v_add_f64 v[48:49], v[48:49], v[38:39]
	v_add_f64 v[50:51], v[50:51], v[40:41]
	ds_load_b128 v[38:41], v1 offset:1328
	s_waitcnt vmcnt(10) lgkmcnt(1)
	v_mul_f64 v[228:229], v[2:3], v[36:37]
	v_mul_f64 v[36:37], v[4:5], v[36:37]
	v_add_f64 v[48:49], v[48:49], v[226:227]
	v_add_f64 v[50:51], v[50:51], v[164:165]
	s_waitcnt vmcnt(8) lgkmcnt(0)
	v_mul_f64 v[164:165], v[38:39], v[173:174]
	v_mul_f64 v[173:174], v[40:41], v[173:174]
	v_fma_f64 v[226:227], v[4:5], v[34:35], v[228:229]
	v_fma_f64 v[228:229], v[2:3], v[34:35], -v[36:37]
	ds_load_b128 v[2:5], v1 offset:1344
	scratch_load_b128 v[34:37], off, off offset:608
	v_add_f64 v[48:49], v[48:49], v[220:221]
	v_add_f64 v[50:51], v[50:51], v[168:169]
	ds_load_b128 v[220:223], v1 offset:1360
	v_fma_f64 v[164:165], v[40:41], v[171:172], v[164:165]
	v_fma_f64 v[171:172], v[38:39], v[171:172], -v[173:174]
	scratch_load_b128 v[38:41], off, off offset:624
	s_waitcnt vmcnt(9) lgkmcnt(1)
	v_mul_f64 v[168:169], v[2:3], v[44:45]
	v_mul_f64 v[44:45], v[4:5], v[44:45]
	v_add_f64 v[48:49], v[48:49], v[228:229]
	v_add_f64 v[50:51], v[50:51], v[226:227]
	s_waitcnt vmcnt(8) lgkmcnt(0)
	v_mul_f64 v[226:227], v[220:221], v[8:9]
	v_mul_f64 v[8:9], v[222:223], v[8:9]
	v_fma_f64 v[168:169], v[4:5], v[42:43], v[168:169]
	v_fma_f64 v[228:229], v[2:3], v[42:43], -v[44:45]
	ds_load_b128 v[2:5], v1 offset:1376
	scratch_load_b128 v[42:45], off, off offset:640
	v_add_f64 v[48:49], v[48:49], v[171:172]
	v_add_f64 v[50:51], v[50:51], v[164:165]
	ds_load_b128 v[171:174], v1 offset:1392
	s_waitcnt vmcnt(8) lgkmcnt(1)
	v_mul_f64 v[164:165], v[2:3], v[12:13]
	v_mul_f64 v[12:13], v[4:5], v[12:13]
	v_fma_f64 v[222:223], v[222:223], v[6:7], v[226:227]
	v_fma_f64 v[220:221], v[220:221], v[6:7], -v[8:9]
	scratch_load_b128 v[6:9], off, off offset:656
	v_add_f64 v[48:49], v[48:49], v[228:229]
	v_add_f64 v[50:51], v[50:51], v[168:169]
	s_waitcnt vmcnt(8) lgkmcnt(0)
	v_mul_f64 v[168:169], v[171:172], v[16:17]
	v_mul_f64 v[16:17], v[173:174], v[16:17]
	v_fma_f64 v[164:165], v[4:5], v[10:11], v[164:165]
	v_fma_f64 v[226:227], v[2:3], v[10:11], -v[12:13]
	ds_load_b128 v[2:5], v1 offset:1408
	scratch_load_b128 v[10:13], off, off offset:672
	v_add_f64 v[48:49], v[48:49], v[220:221]
	v_add_f64 v[50:51], v[50:51], v[222:223]
	ds_load_b128 v[220:223], v1 offset:1424
	s_waitcnt vmcnt(8) lgkmcnt(1)
	v_mul_f64 v[228:229], v[2:3], v[20:21]
	v_mul_f64 v[20:21], v[4:5], v[20:21]
	v_fma_f64 v[168:169], v[173:174], v[14:15], v[168:169]
	v_fma_f64 v[171:172], v[171:172], v[14:15], -v[16:17]
	scratch_load_b128 v[14:17], off, off offset:688
	;; [unrolled: 18-line block ×7, first 2 shown]
	v_add_f64 v[48:49], v[48:49], v[228:229]
	v_add_f64 v[50:51], v[50:51], v[168:169]
	s_waitcnt vmcnt(8) lgkmcnt(0)
	v_mul_f64 v[168:169], v[171:172], v[24:25]
	v_mul_f64 v[24:25], v[173:174], v[24:25]
	v_fma_f64 v[164:165], v[4:5], v[18:19], v[164:165]
	v_fma_f64 v[226:227], v[2:3], v[18:19], -v[20:21]
	ds_load_b128 v[2:5], v1 offset:1600
	ds_load_b128 v[18:21], v1 offset:1616
	v_add_f64 v[48:49], v[48:49], v[220:221]
	v_add_f64 v[50:51], v[50:51], v[222:223]
	s_waitcnt vmcnt(7) lgkmcnt(1)
	v_mul_f64 v[220:221], v[2:3], v[28:29]
	v_mul_f64 v[28:29], v[4:5], v[28:29]
	v_fma_f64 v[168:169], v[173:174], v[22:23], v[168:169]
	v_fma_f64 v[22:23], v[171:172], v[22:23], -v[24:25]
	v_add_f64 v[24:25], v[48:49], v[226:227]
	v_add_f64 v[48:49], v[50:51], v[164:165]
	s_waitcnt vmcnt(6) lgkmcnt(0)
	v_mul_f64 v[50:51], v[18:19], v[32:33]
	v_mul_f64 v[32:33], v[20:21], v[32:33]
	v_fma_f64 v[164:165], v[4:5], v[26:27], v[220:221]
	v_fma_f64 v[26:27], v[2:3], v[26:27], -v[28:29]
	v_add_f64 v[28:29], v[24:25], v[22:23]
	v_add_f64 v[48:49], v[48:49], v[168:169]
	ds_load_b128 v[2:5], v1 offset:1632
	ds_load_b128 v[22:25], v1 offset:1648
	v_fma_f64 v[20:21], v[20:21], v[30:31], v[50:51]
	v_fma_f64 v[18:19], v[18:19], v[30:31], -v[32:33]
	s_waitcnt vmcnt(5) lgkmcnt(1)
	v_mul_f64 v[168:169], v[2:3], v[36:37]
	v_mul_f64 v[36:37], v[4:5], v[36:37]
	s_waitcnt vmcnt(4) lgkmcnt(0)
	v_mul_f64 v[30:31], v[22:23], v[40:41]
	v_mul_f64 v[32:33], v[24:25], v[40:41]
	v_add_f64 v[26:27], v[28:29], v[26:27]
	v_add_f64 v[28:29], v[48:49], v[164:165]
	v_fma_f64 v[40:41], v[4:5], v[34:35], v[168:169]
	v_fma_f64 v[34:35], v[2:3], v[34:35], -v[36:37]
	v_fma_f64 v[24:25], v[24:25], v[38:39], v[30:31]
	v_fma_f64 v[22:23], v[22:23], v[38:39], -v[32:33]
	v_add_f64 v[26:27], v[26:27], v[18:19]
	v_add_f64 v[28:29], v[28:29], v[20:21]
	ds_load_b128 v[2:5], v1 offset:1664
	ds_load_b128 v[18:21], v1 offset:1680
	s_waitcnt vmcnt(3) lgkmcnt(1)
	v_mul_f64 v[36:37], v[2:3], v[44:45]
	v_mul_f64 v[44:45], v[4:5], v[44:45]
	s_waitcnt vmcnt(2) lgkmcnt(0)
	v_mul_f64 v[30:31], v[18:19], v[8:9]
	v_mul_f64 v[8:9], v[20:21], v[8:9]
	v_add_f64 v[26:27], v[26:27], v[34:35]
	v_add_f64 v[28:29], v[28:29], v[40:41]
	v_fma_f64 v[32:33], v[4:5], v[42:43], v[36:37]
	v_fma_f64 v[34:35], v[2:3], v[42:43], -v[44:45]
	v_fma_f64 v[20:21], v[20:21], v[6:7], v[30:31]
	v_fma_f64 v[6:7], v[18:19], v[6:7], -v[8:9]
	v_add_f64 v[26:27], v[26:27], v[22:23]
	v_add_f64 v[28:29], v[28:29], v[24:25]
	ds_load_b128 v[2:5], v1 offset:1696
	ds_load_b128 v[22:25], v1 offset:1712
	s_waitcnt vmcnt(1) lgkmcnt(1)
	v_mul_f64 v[36:37], v[2:3], v[12:13]
	v_mul_f64 v[12:13], v[4:5], v[12:13]
	v_add_f64 v[8:9], v[26:27], v[34:35]
	v_add_f64 v[18:19], v[28:29], v[32:33]
	s_waitcnt vmcnt(0) lgkmcnt(0)
	v_mul_f64 v[26:27], v[22:23], v[16:17]
	v_mul_f64 v[16:17], v[24:25], v[16:17]
	v_fma_f64 v[4:5], v[4:5], v[10:11], v[36:37]
	v_fma_f64 v[1:2], v[2:3], v[10:11], -v[12:13]
	v_add_f64 v[6:7], v[8:9], v[6:7]
	v_add_f64 v[8:9], v[18:19], v[20:21]
	v_fma_f64 v[10:11], v[24:25], v[14:15], v[26:27]
	v_fma_f64 v[12:13], v[22:23], v[14:15], -v[16:17]
	s_delay_alu instid0(VALU_DEP_4) | instskip(NEXT) | instid1(VALU_DEP_4)
	v_add_f64 v[1:2], v[6:7], v[1:2]
	v_add_f64 v[3:4], v[8:9], v[4:5]
	s_delay_alu instid0(VALU_DEP_2) | instskip(NEXT) | instid1(VALU_DEP_2)
	v_add_f64 v[1:2], v[1:2], v[12:13]
	v_add_f64 v[3:4], v[3:4], v[10:11]
	s_delay_alu instid0(VALU_DEP_2) | instskip(NEXT) | instid1(VALU_DEP_2)
	v_add_f64 v[1:2], v[157:158], -v[1:2]
	v_add_f64 v[3:4], v[159:160], -v[3:4]
	scratch_store_b128 off, v[1:4], off offset:304
	v_cmpx_lt_u32_e32 18, v154
	s_cbranch_execz .LBB117_301
; %bb.300:
	scratch_load_b128 v[1:4], v190, off
	v_mov_b32_e32 v5, 0
	s_delay_alu instid0(VALU_DEP_1)
	v_mov_b32_e32 v6, v5
	v_mov_b32_e32 v7, v5
	;; [unrolled: 1-line block ×3, first 2 shown]
	scratch_store_b128 off, v[5:8], off offset:288
	s_waitcnt vmcnt(0)
	ds_store_b128 v208, v[1:4]
.LBB117_301:
	s_or_b32 exec_lo, exec_lo, s2
	s_waitcnt lgkmcnt(0)
	s_waitcnt_vscnt null, 0x0
	s_barrier
	buffer_gl0_inv
	s_clause 0x7
	scratch_load_b128 v[2:5], off, off offset:304
	scratch_load_b128 v[6:9], off, off offset:320
	;; [unrolled: 1-line block ×8, first 2 shown]
	v_mov_b32_e32 v1, 0
	s_mov_b32 s2, exec_lo
	ds_load_b128 v[38:41], v1 offset:1168
	s_clause 0x1
	scratch_load_b128 v[34:37], off, off offset:432
	scratch_load_b128 v[42:45], off, off offset:288
	ds_load_b128 v[157:160], v1 offset:1184
	scratch_load_b128 v[171:174], off, off offset:448
	ds_load_b128 v[220:223], v1 offset:1216
	s_waitcnt vmcnt(10) lgkmcnt(2)
	v_mul_f64 v[48:49], v[40:41], v[4:5]
	v_mul_f64 v[4:5], v[38:39], v[4:5]
	s_delay_alu instid0(VALU_DEP_2) | instskip(NEXT) | instid1(VALU_DEP_2)
	v_fma_f64 v[48:49], v[38:39], v[2:3], -v[48:49]
	v_fma_f64 v[164:165], v[40:41], v[2:3], v[4:5]
	ds_load_b128 v[2:5], v1 offset:1200
	s_waitcnt vmcnt(9) lgkmcnt(2)
	v_mul_f64 v[50:51], v[157:158], v[8:9]
	v_mul_f64 v[8:9], v[159:160], v[8:9]
	scratch_load_b128 v[38:41], off, off offset:464
	s_waitcnt vmcnt(9) lgkmcnt(0)
	v_mul_f64 v[168:169], v[2:3], v[12:13]
	v_mul_f64 v[12:13], v[4:5], v[12:13]
	v_add_f64 v[48:49], v[48:49], 0
	v_fma_f64 v[50:51], v[159:160], v[6:7], v[50:51]
	v_fma_f64 v[157:158], v[157:158], v[6:7], -v[8:9]
	v_add_f64 v[159:160], v[164:165], 0
	scratch_load_b128 v[6:9], off, off offset:480
	v_fma_f64 v[168:169], v[4:5], v[10:11], v[168:169]
	v_fma_f64 v[226:227], v[2:3], v[10:11], -v[12:13]
	scratch_load_b128 v[10:13], off, off offset:496
	ds_load_b128 v[2:5], v1 offset:1232
	s_waitcnt vmcnt(10)
	v_mul_f64 v[164:165], v[220:221], v[16:17]
	v_mul_f64 v[16:17], v[222:223], v[16:17]
	v_add_f64 v[48:49], v[48:49], v[157:158]
	v_add_f64 v[50:51], v[159:160], v[50:51]
	ds_load_b128 v[157:160], v1 offset:1248
	s_waitcnt vmcnt(9) lgkmcnt(1)
	v_mul_f64 v[228:229], v[2:3], v[20:21]
	v_mul_f64 v[20:21], v[4:5], v[20:21]
	v_fma_f64 v[164:165], v[222:223], v[14:15], v[164:165]
	v_fma_f64 v[220:221], v[220:221], v[14:15], -v[16:17]
	scratch_load_b128 v[14:17], off, off offset:512
	v_add_f64 v[48:49], v[48:49], v[226:227]
	v_add_f64 v[50:51], v[50:51], v[168:169]
	v_fma_f64 v[226:227], v[4:5], v[18:19], v[228:229]
	v_fma_f64 v[228:229], v[2:3], v[18:19], -v[20:21]
	scratch_load_b128 v[18:21], off, off offset:528
	ds_load_b128 v[2:5], v1 offset:1264
	s_waitcnt vmcnt(10) lgkmcnt(1)
	v_mul_f64 v[168:169], v[157:158], v[24:25]
	v_mul_f64 v[24:25], v[159:160], v[24:25]
	v_add_f64 v[48:49], v[48:49], v[220:221]
	v_add_f64 v[50:51], v[50:51], v[164:165]
	s_waitcnt vmcnt(9) lgkmcnt(0)
	v_mul_f64 v[164:165], v[2:3], v[28:29]
	v_mul_f64 v[28:29], v[4:5], v[28:29]
	ds_load_b128 v[220:223], v1 offset:1280
	v_fma_f64 v[159:160], v[159:160], v[22:23], v[168:169]
	v_fma_f64 v[157:158], v[157:158], v[22:23], -v[24:25]
	scratch_load_b128 v[22:25], off, off offset:544
	v_add_f64 v[48:49], v[48:49], v[228:229]
	v_add_f64 v[50:51], v[50:51], v[226:227]
	v_fma_f64 v[164:165], v[4:5], v[26:27], v[164:165]
	v_fma_f64 v[226:227], v[2:3], v[26:27], -v[28:29]
	scratch_load_b128 v[26:29], off, off offset:560
	ds_load_b128 v[2:5], v1 offset:1296
	s_waitcnt vmcnt(10) lgkmcnt(1)
	v_mul_f64 v[168:169], v[220:221], v[32:33]
	v_mul_f64 v[32:33], v[222:223], v[32:33]
	s_waitcnt vmcnt(9) lgkmcnt(0)
	v_mul_f64 v[228:229], v[2:3], v[36:37]
	v_mul_f64 v[36:37], v[4:5], v[36:37]
	v_add_f64 v[48:49], v[48:49], v[157:158]
	v_add_f64 v[50:51], v[50:51], v[159:160]
	ds_load_b128 v[157:160], v1 offset:1312
	v_fma_f64 v[168:169], v[222:223], v[30:31], v[168:169]
	v_fma_f64 v[220:221], v[220:221], v[30:31], -v[32:33]
	scratch_load_b128 v[30:33], off, off offset:576
	v_add_f64 v[48:49], v[48:49], v[226:227]
	v_add_f64 v[50:51], v[50:51], v[164:165]
	v_fma_f64 v[226:227], v[4:5], v[34:35], v[228:229]
	v_fma_f64 v[228:229], v[2:3], v[34:35], -v[36:37]
	scratch_load_b128 v[34:37], off, off offset:592
	ds_load_b128 v[2:5], v1 offset:1328
	s_waitcnt vmcnt(9) lgkmcnt(1)
	v_mul_f64 v[164:165], v[157:158], v[173:174]
	v_mul_f64 v[173:174], v[159:160], v[173:174]
	v_add_f64 v[48:49], v[48:49], v[220:221]
	v_add_f64 v[50:51], v[50:51], v[168:169]
	ds_load_b128 v[220:223], v1 offset:1344
	v_fma_f64 v[164:165], v[159:160], v[171:172], v[164:165]
	v_fma_f64 v[171:172], v[157:158], v[171:172], -v[173:174]
	scratch_load_b128 v[157:160], off, off offset:608
	s_waitcnt vmcnt(9) lgkmcnt(1)
	v_mul_f64 v[168:169], v[2:3], v[40:41]
	v_mul_f64 v[40:41], v[4:5], v[40:41]
	v_add_f64 v[48:49], v[48:49], v[228:229]
	v_add_f64 v[50:51], v[50:51], v[226:227]
	s_delay_alu instid0(VALU_DEP_4) | instskip(NEXT) | instid1(VALU_DEP_4)
	v_fma_f64 v[168:169], v[4:5], v[38:39], v[168:169]
	v_fma_f64 v[228:229], v[2:3], v[38:39], -v[40:41]
	scratch_load_b128 v[38:41], off, off offset:624
	ds_load_b128 v[2:5], v1 offset:1360
	s_waitcnt vmcnt(9) lgkmcnt(1)
	v_mul_f64 v[226:227], v[220:221], v[8:9]
	v_mul_f64 v[8:9], v[222:223], v[8:9]
	v_add_f64 v[48:49], v[48:49], v[171:172]
	v_add_f64 v[50:51], v[50:51], v[164:165]
	s_waitcnt vmcnt(8) lgkmcnt(0)
	v_mul_f64 v[164:165], v[2:3], v[12:13]
	v_mul_f64 v[12:13], v[4:5], v[12:13]
	ds_load_b128 v[171:174], v1 offset:1376
	v_fma_f64 v[222:223], v[222:223], v[6:7], v[226:227]
	v_fma_f64 v[220:221], v[220:221], v[6:7], -v[8:9]
	scratch_load_b128 v[6:9], off, off offset:640
	v_add_f64 v[48:49], v[48:49], v[228:229]
	v_add_f64 v[50:51], v[50:51], v[168:169]
	v_fma_f64 v[164:165], v[4:5], v[10:11], v[164:165]
	v_fma_f64 v[226:227], v[2:3], v[10:11], -v[12:13]
	scratch_load_b128 v[10:13], off, off offset:656
	ds_load_b128 v[2:5], v1 offset:1392
	s_waitcnt vmcnt(9) lgkmcnt(1)
	v_mul_f64 v[168:169], v[171:172], v[16:17]
	v_mul_f64 v[16:17], v[173:174], v[16:17]
	s_waitcnt vmcnt(8) lgkmcnt(0)
	v_mul_f64 v[228:229], v[2:3], v[20:21]
	v_mul_f64 v[20:21], v[4:5], v[20:21]
	v_add_f64 v[48:49], v[48:49], v[220:221]
	v_add_f64 v[50:51], v[50:51], v[222:223]
	ds_load_b128 v[220:223], v1 offset:1408
	v_fma_f64 v[168:169], v[173:174], v[14:15], v[168:169]
	v_fma_f64 v[171:172], v[171:172], v[14:15], -v[16:17]
	scratch_load_b128 v[14:17], off, off offset:672
	v_add_f64 v[48:49], v[48:49], v[226:227]
	v_add_f64 v[50:51], v[50:51], v[164:165]
	v_fma_f64 v[226:227], v[4:5], v[18:19], v[228:229]
	v_fma_f64 v[228:229], v[2:3], v[18:19], -v[20:21]
	scratch_load_b128 v[18:21], off, off offset:688
	ds_load_b128 v[2:5], v1 offset:1424
	s_waitcnt vmcnt(9) lgkmcnt(1)
	v_mul_f64 v[164:165], v[220:221], v[24:25]
	v_mul_f64 v[24:25], v[222:223], v[24:25]
	v_add_f64 v[48:49], v[48:49], v[171:172]
	v_add_f64 v[50:51], v[50:51], v[168:169]
	s_waitcnt vmcnt(8) lgkmcnt(0)
	v_mul_f64 v[168:169], v[2:3], v[28:29]
	v_mul_f64 v[28:29], v[4:5], v[28:29]
	ds_load_b128 v[171:174], v1 offset:1440
	v_fma_f64 v[164:165], v[222:223], v[22:23], v[164:165]
	v_fma_f64 v[220:221], v[220:221], v[22:23], -v[24:25]
	scratch_load_b128 v[22:25], off, off offset:704
	v_add_f64 v[48:49], v[48:49], v[228:229]
	v_add_f64 v[50:51], v[50:51], v[226:227]
	v_fma_f64 v[168:169], v[4:5], v[26:27], v[168:169]
	v_fma_f64 v[228:229], v[2:3], v[26:27], -v[28:29]
	scratch_load_b128 v[26:29], off, off offset:720
	ds_load_b128 v[2:5], v1 offset:1456
	s_waitcnt vmcnt(9) lgkmcnt(1)
	v_mul_f64 v[226:227], v[171:172], v[32:33]
	v_mul_f64 v[32:33], v[173:174], v[32:33]
	v_add_f64 v[48:49], v[48:49], v[220:221]
	v_add_f64 v[50:51], v[50:51], v[164:165]
	s_waitcnt vmcnt(8) lgkmcnt(0)
	v_mul_f64 v[164:165], v[2:3], v[36:37]
	v_mul_f64 v[36:37], v[4:5], v[36:37]
	ds_load_b128 v[220:223], v1 offset:1472
	v_fma_f64 v[173:174], v[173:174], v[30:31], v[226:227]
	v_fma_f64 v[171:172], v[171:172], v[30:31], -v[32:33]
	scratch_load_b128 v[30:33], off, off offset:736
	v_add_f64 v[48:49], v[48:49], v[228:229]
	v_add_f64 v[50:51], v[50:51], v[168:169]
	v_fma_f64 v[164:165], v[4:5], v[34:35], v[164:165]
	v_fma_f64 v[226:227], v[2:3], v[34:35], -v[36:37]
	scratch_load_b128 v[34:37], off, off offset:752
	ds_load_b128 v[2:5], v1 offset:1488
	s_waitcnt vmcnt(9) lgkmcnt(1)
	v_mul_f64 v[168:169], v[220:221], v[159:160]
	v_mul_f64 v[159:160], v[222:223], v[159:160]
	s_waitcnt vmcnt(8) lgkmcnt(0)
	v_mul_f64 v[228:229], v[2:3], v[40:41]
	v_mul_f64 v[40:41], v[4:5], v[40:41]
	v_add_f64 v[48:49], v[48:49], v[171:172]
	v_add_f64 v[50:51], v[50:51], v[173:174]
	ds_load_b128 v[171:174], v1 offset:1504
	v_fma_f64 v[168:169], v[222:223], v[157:158], v[168:169]
	v_fma_f64 v[220:221], v[220:221], v[157:158], -v[159:160]
	scratch_load_b128 v[157:160], off, off offset:768
	v_add_f64 v[48:49], v[48:49], v[226:227]
	v_add_f64 v[50:51], v[50:51], v[164:165]
	v_fma_f64 v[226:227], v[4:5], v[38:39], v[228:229]
	v_fma_f64 v[228:229], v[2:3], v[38:39], -v[40:41]
	scratch_load_b128 v[38:41], off, off offset:784
	ds_load_b128 v[2:5], v1 offset:1520
	s_waitcnt vmcnt(9) lgkmcnt(1)
	v_mul_f64 v[164:165], v[171:172], v[8:9]
	v_mul_f64 v[8:9], v[173:174], v[8:9]
	v_add_f64 v[48:49], v[48:49], v[220:221]
	v_add_f64 v[50:51], v[50:51], v[168:169]
	s_waitcnt vmcnt(8) lgkmcnt(0)
	v_mul_f64 v[168:169], v[2:3], v[12:13]
	v_mul_f64 v[12:13], v[4:5], v[12:13]
	ds_load_b128 v[220:223], v1 offset:1536
	v_fma_f64 v[164:165], v[173:174], v[6:7], v[164:165]
	v_fma_f64 v[171:172], v[171:172], v[6:7], -v[8:9]
	scratch_load_b128 v[6:9], off, off offset:800
	v_add_f64 v[48:49], v[48:49], v[228:229]
	v_add_f64 v[50:51], v[50:51], v[226:227]
	v_fma_f64 v[168:169], v[4:5], v[10:11], v[168:169]
	v_fma_f64 v[228:229], v[2:3], v[10:11], -v[12:13]
	scratch_load_b128 v[10:13], off, off offset:816
	ds_load_b128 v[2:5], v1 offset:1552
	s_waitcnt vmcnt(9) lgkmcnt(1)
	v_mul_f64 v[226:227], v[220:221], v[16:17]
	v_mul_f64 v[16:17], v[222:223], v[16:17]
	v_add_f64 v[48:49], v[48:49], v[171:172]
	v_add_f64 v[50:51], v[50:51], v[164:165]
	s_waitcnt vmcnt(8) lgkmcnt(0)
	v_mul_f64 v[164:165], v[2:3], v[20:21]
	v_mul_f64 v[20:21], v[4:5], v[20:21]
	ds_load_b128 v[171:174], v1 offset:1568
	v_fma_f64 v[222:223], v[222:223], v[14:15], v[226:227]
	v_fma_f64 v[220:221], v[220:221], v[14:15], -v[16:17]
	scratch_load_b128 v[14:17], off, off offset:832
	v_add_f64 v[48:49], v[48:49], v[228:229]
	v_add_f64 v[50:51], v[50:51], v[168:169]
	v_fma_f64 v[164:165], v[4:5], v[18:19], v[164:165]
	v_fma_f64 v[226:227], v[2:3], v[18:19], -v[20:21]
	scratch_load_b128 v[18:21], off, off offset:848
	ds_load_b128 v[2:5], v1 offset:1584
	s_waitcnt vmcnt(9) lgkmcnt(1)
	v_mul_f64 v[168:169], v[171:172], v[24:25]
	v_mul_f64 v[24:25], v[173:174], v[24:25]
	s_waitcnt vmcnt(8) lgkmcnt(0)
	v_mul_f64 v[228:229], v[2:3], v[28:29]
	v_mul_f64 v[28:29], v[4:5], v[28:29]
	v_add_f64 v[48:49], v[48:49], v[220:221]
	v_add_f64 v[50:51], v[50:51], v[222:223]
	ds_load_b128 v[220:223], v1 offset:1600
	v_fma_f64 v[168:169], v[173:174], v[22:23], v[168:169]
	v_fma_f64 v[22:23], v[171:172], v[22:23], -v[24:25]
	v_add_f64 v[24:25], v[48:49], v[226:227]
	v_add_f64 v[48:49], v[50:51], v[164:165]
	s_waitcnt vmcnt(7) lgkmcnt(0)
	v_mul_f64 v[50:51], v[220:221], v[32:33]
	v_mul_f64 v[32:33], v[222:223], v[32:33]
	v_fma_f64 v[164:165], v[4:5], v[26:27], v[228:229]
	v_fma_f64 v[26:27], v[2:3], v[26:27], -v[28:29]
	v_add_f64 v[28:29], v[24:25], v[22:23]
	v_add_f64 v[48:49], v[48:49], v[168:169]
	ds_load_b128 v[2:5], v1 offset:1616
	ds_load_b128 v[22:25], v1 offset:1632
	v_fma_f64 v[50:51], v[222:223], v[30:31], v[50:51]
	v_fma_f64 v[30:31], v[220:221], v[30:31], -v[32:33]
	s_waitcnt vmcnt(6) lgkmcnt(1)
	v_mul_f64 v[168:169], v[2:3], v[36:37]
	v_mul_f64 v[36:37], v[4:5], v[36:37]
	s_waitcnt vmcnt(5) lgkmcnt(0)
	v_mul_f64 v[32:33], v[22:23], v[159:160]
	v_add_f64 v[26:27], v[28:29], v[26:27]
	v_add_f64 v[28:29], v[48:49], v[164:165]
	v_mul_f64 v[48:49], v[24:25], v[159:160]
	v_fma_f64 v[159:160], v[4:5], v[34:35], v[168:169]
	v_fma_f64 v[34:35], v[2:3], v[34:35], -v[36:37]
	v_fma_f64 v[24:25], v[24:25], v[157:158], v[32:33]
	v_add_f64 v[30:31], v[26:27], v[30:31]
	v_add_f64 v[36:37], v[28:29], v[50:51]
	ds_load_b128 v[2:5], v1 offset:1648
	ds_load_b128 v[26:29], v1 offset:1664
	v_fma_f64 v[22:23], v[22:23], v[157:158], -v[48:49]
	s_waitcnt vmcnt(4) lgkmcnt(1)
	v_mul_f64 v[50:51], v[2:3], v[40:41]
	v_mul_f64 v[40:41], v[4:5], v[40:41]
	v_add_f64 v[30:31], v[30:31], v[34:35]
	v_add_f64 v[32:33], v[36:37], v[159:160]
	s_waitcnt vmcnt(3) lgkmcnt(0)
	v_mul_f64 v[34:35], v[26:27], v[8:9]
	v_mul_f64 v[8:9], v[28:29], v[8:9]
	v_fma_f64 v[36:37], v[4:5], v[38:39], v[50:51]
	v_fma_f64 v[38:39], v[2:3], v[38:39], -v[40:41]
	v_add_f64 v[30:31], v[30:31], v[22:23]
	v_add_f64 v[32:33], v[32:33], v[24:25]
	ds_load_b128 v[2:5], v1 offset:1680
	ds_load_b128 v[22:25], v1 offset:1696
	v_fma_f64 v[28:29], v[28:29], v[6:7], v[34:35]
	v_fma_f64 v[6:7], v[26:27], v[6:7], -v[8:9]
	s_waitcnt vmcnt(2) lgkmcnt(1)
	v_mul_f64 v[40:41], v[2:3], v[12:13]
	v_mul_f64 v[12:13], v[4:5], v[12:13]
	v_add_f64 v[8:9], v[30:31], v[38:39]
	v_add_f64 v[26:27], v[32:33], v[36:37]
	s_waitcnt vmcnt(1) lgkmcnt(0)
	v_mul_f64 v[30:31], v[22:23], v[16:17]
	v_mul_f64 v[16:17], v[24:25], v[16:17]
	v_fma_f64 v[32:33], v[4:5], v[10:11], v[40:41]
	v_fma_f64 v[10:11], v[2:3], v[10:11], -v[12:13]
	ds_load_b128 v[2:5], v1 offset:1712
	v_add_f64 v[6:7], v[8:9], v[6:7]
	v_add_f64 v[8:9], v[26:27], v[28:29]
	v_fma_f64 v[24:25], v[24:25], v[14:15], v[30:31]
	v_fma_f64 v[14:15], v[22:23], v[14:15], -v[16:17]
	s_waitcnt vmcnt(0) lgkmcnt(0)
	v_mul_f64 v[12:13], v[2:3], v[20:21]
	v_mul_f64 v[20:21], v[4:5], v[20:21]
	v_add_f64 v[6:7], v[6:7], v[10:11]
	v_add_f64 v[8:9], v[8:9], v[32:33]
	s_delay_alu instid0(VALU_DEP_4) | instskip(NEXT) | instid1(VALU_DEP_4)
	v_fma_f64 v[4:5], v[4:5], v[18:19], v[12:13]
	v_fma_f64 v[2:3], v[2:3], v[18:19], -v[20:21]
	s_delay_alu instid0(VALU_DEP_4) | instskip(NEXT) | instid1(VALU_DEP_4)
	v_add_f64 v[6:7], v[6:7], v[14:15]
	v_add_f64 v[8:9], v[8:9], v[24:25]
	s_delay_alu instid0(VALU_DEP_2) | instskip(NEXT) | instid1(VALU_DEP_2)
	v_add_f64 v[2:3], v[6:7], v[2:3]
	v_add_f64 v[4:5], v[8:9], v[4:5]
	s_delay_alu instid0(VALU_DEP_2) | instskip(NEXT) | instid1(VALU_DEP_2)
	v_add_f64 v[2:3], v[42:43], -v[2:3]
	v_add_f64 v[4:5], v[44:45], -v[4:5]
	scratch_store_b128 off, v[2:5], off offset:288
	v_cmpx_lt_u32_e32 17, v154
	s_cbranch_execz .LBB117_303
; %bb.302:
	scratch_load_b128 v[5:8], v191, off
	v_mov_b32_e32 v2, v1
	v_mov_b32_e32 v3, v1
	;; [unrolled: 1-line block ×3, first 2 shown]
	scratch_store_b128 off, v[1:4], off offset:272
	s_waitcnt vmcnt(0)
	ds_store_b128 v208, v[5:8]
.LBB117_303:
	s_or_b32 exec_lo, exec_lo, s2
	s_waitcnt lgkmcnt(0)
	s_waitcnt_vscnt null, 0x0
	s_barrier
	buffer_gl0_inv
	s_clause 0x8
	scratch_load_b128 v[2:5], off, off offset:288
	scratch_load_b128 v[6:9], off, off offset:304
	;; [unrolled: 1-line block ×9, first 2 shown]
	ds_load_b128 v[42:45], v1 offset:1152
	ds_load_b128 v[38:41], v1 offset:1168
	s_clause 0x1
	scratch_load_b128 v[157:160], off, off offset:272
	scratch_load_b128 v[171:174], off, off offset:432
	s_mov_b32 s2, exec_lo
	ds_load_b128 v[220:223], v1 offset:1200
	s_waitcnt vmcnt(10) lgkmcnt(2)
	v_mul_f64 v[48:49], v[44:45], v[4:5]
	v_mul_f64 v[4:5], v[42:43], v[4:5]
	s_waitcnt vmcnt(9) lgkmcnt(1)
	v_mul_f64 v[50:51], v[38:39], v[8:9]
	v_mul_f64 v[8:9], v[40:41], v[8:9]
	s_delay_alu instid0(VALU_DEP_4) | instskip(NEXT) | instid1(VALU_DEP_4)
	v_fma_f64 v[48:49], v[42:43], v[2:3], -v[48:49]
	v_fma_f64 v[164:165], v[44:45], v[2:3], v[4:5]
	ds_load_b128 v[2:5], v1 offset:1184
	scratch_load_b128 v[42:45], off, off offset:448
	v_fma_f64 v[40:41], v[40:41], v[6:7], v[50:51]
	v_fma_f64 v[38:39], v[38:39], v[6:7], -v[8:9]
	scratch_load_b128 v[6:9], off, off offset:464
	s_waitcnt vmcnt(10) lgkmcnt(0)
	v_mul_f64 v[168:169], v[2:3], v[12:13]
	v_mul_f64 v[12:13], v[4:5], v[12:13]
	v_add_f64 v[48:49], v[48:49], 0
	v_add_f64 v[50:51], v[164:165], 0
	s_waitcnt vmcnt(9)
	v_mul_f64 v[164:165], v[220:221], v[16:17]
	v_mul_f64 v[16:17], v[222:223], v[16:17]
	v_fma_f64 v[168:169], v[4:5], v[10:11], v[168:169]
	v_fma_f64 v[226:227], v[2:3], v[10:11], -v[12:13]
	ds_load_b128 v[2:5], v1 offset:1216
	scratch_load_b128 v[10:13], off, off offset:480
	v_add_f64 v[48:49], v[48:49], v[38:39]
	v_add_f64 v[50:51], v[50:51], v[40:41]
	ds_load_b128 v[38:41], v1 offset:1232
	v_fma_f64 v[164:165], v[222:223], v[14:15], v[164:165]
	v_fma_f64 v[220:221], v[220:221], v[14:15], -v[16:17]
	scratch_load_b128 v[14:17], off, off offset:496
	s_waitcnt vmcnt(10) lgkmcnt(1)
	v_mul_f64 v[228:229], v[2:3], v[20:21]
	v_mul_f64 v[20:21], v[4:5], v[20:21]
	v_add_f64 v[48:49], v[48:49], v[226:227]
	v_add_f64 v[50:51], v[50:51], v[168:169]
	s_waitcnt vmcnt(9) lgkmcnt(0)
	v_mul_f64 v[168:169], v[38:39], v[24:25]
	v_mul_f64 v[24:25], v[40:41], v[24:25]
	v_fma_f64 v[226:227], v[4:5], v[18:19], v[228:229]
	v_fma_f64 v[228:229], v[2:3], v[18:19], -v[20:21]
	ds_load_b128 v[2:5], v1 offset:1248
	scratch_load_b128 v[18:21], off, off offset:512
	v_add_f64 v[48:49], v[48:49], v[220:221]
	v_add_f64 v[50:51], v[50:51], v[164:165]
	ds_load_b128 v[220:223], v1 offset:1264
	s_waitcnt vmcnt(9) lgkmcnt(1)
	v_mul_f64 v[164:165], v[2:3], v[28:29]
	v_mul_f64 v[28:29], v[4:5], v[28:29]
	v_fma_f64 v[40:41], v[40:41], v[22:23], v[168:169]
	v_fma_f64 v[38:39], v[38:39], v[22:23], -v[24:25]
	scratch_load_b128 v[22:25], off, off offset:528
	s_waitcnt vmcnt(9) lgkmcnt(0)
	v_mul_f64 v[168:169], v[220:221], v[32:33]
	v_mul_f64 v[32:33], v[222:223], v[32:33]
	v_add_f64 v[48:49], v[48:49], v[228:229]
	v_add_f64 v[50:51], v[50:51], v[226:227]
	v_fma_f64 v[164:165], v[4:5], v[26:27], v[164:165]
	v_fma_f64 v[226:227], v[2:3], v[26:27], -v[28:29]
	ds_load_b128 v[2:5], v1 offset:1280
	scratch_load_b128 v[26:29], off, off offset:544
	v_fma_f64 v[168:169], v[222:223], v[30:31], v[168:169]
	v_fma_f64 v[220:221], v[220:221], v[30:31], -v[32:33]
	scratch_load_b128 v[30:33], off, off offset:560
	v_add_f64 v[48:49], v[48:49], v[38:39]
	v_add_f64 v[50:51], v[50:51], v[40:41]
	ds_load_b128 v[38:41], v1 offset:1296
	s_waitcnt vmcnt(10) lgkmcnt(1)
	v_mul_f64 v[228:229], v[2:3], v[36:37]
	v_mul_f64 v[36:37], v[4:5], v[36:37]
	v_add_f64 v[48:49], v[48:49], v[226:227]
	v_add_f64 v[50:51], v[50:51], v[164:165]
	s_waitcnt vmcnt(8) lgkmcnt(0)
	v_mul_f64 v[164:165], v[38:39], v[173:174]
	v_mul_f64 v[173:174], v[40:41], v[173:174]
	v_fma_f64 v[226:227], v[4:5], v[34:35], v[228:229]
	v_fma_f64 v[228:229], v[2:3], v[34:35], -v[36:37]
	ds_load_b128 v[2:5], v1 offset:1312
	scratch_load_b128 v[34:37], off, off offset:576
	v_add_f64 v[48:49], v[48:49], v[220:221]
	v_add_f64 v[50:51], v[50:51], v[168:169]
	ds_load_b128 v[220:223], v1 offset:1328
	v_fma_f64 v[164:165], v[40:41], v[171:172], v[164:165]
	v_fma_f64 v[171:172], v[38:39], v[171:172], -v[173:174]
	scratch_load_b128 v[38:41], off, off offset:592
	s_waitcnt vmcnt(9) lgkmcnt(1)
	v_mul_f64 v[168:169], v[2:3], v[44:45]
	v_mul_f64 v[44:45], v[4:5], v[44:45]
	v_add_f64 v[48:49], v[48:49], v[228:229]
	v_add_f64 v[50:51], v[50:51], v[226:227]
	s_waitcnt vmcnt(8) lgkmcnt(0)
	v_mul_f64 v[226:227], v[220:221], v[8:9]
	v_mul_f64 v[8:9], v[222:223], v[8:9]
	v_fma_f64 v[168:169], v[4:5], v[42:43], v[168:169]
	v_fma_f64 v[228:229], v[2:3], v[42:43], -v[44:45]
	ds_load_b128 v[2:5], v1 offset:1344
	scratch_load_b128 v[42:45], off, off offset:608
	v_add_f64 v[48:49], v[48:49], v[171:172]
	v_add_f64 v[50:51], v[50:51], v[164:165]
	ds_load_b128 v[171:174], v1 offset:1360
	s_waitcnt vmcnt(8) lgkmcnt(1)
	v_mul_f64 v[164:165], v[2:3], v[12:13]
	v_mul_f64 v[12:13], v[4:5], v[12:13]
	v_fma_f64 v[222:223], v[222:223], v[6:7], v[226:227]
	v_fma_f64 v[220:221], v[220:221], v[6:7], -v[8:9]
	scratch_load_b128 v[6:9], off, off offset:624
	v_add_f64 v[48:49], v[48:49], v[228:229]
	v_add_f64 v[50:51], v[50:51], v[168:169]
	s_waitcnt vmcnt(8) lgkmcnt(0)
	v_mul_f64 v[168:169], v[171:172], v[16:17]
	v_mul_f64 v[16:17], v[173:174], v[16:17]
	v_fma_f64 v[164:165], v[4:5], v[10:11], v[164:165]
	v_fma_f64 v[226:227], v[2:3], v[10:11], -v[12:13]
	ds_load_b128 v[2:5], v1 offset:1376
	scratch_load_b128 v[10:13], off, off offset:640
	v_add_f64 v[48:49], v[48:49], v[220:221]
	v_add_f64 v[50:51], v[50:51], v[222:223]
	ds_load_b128 v[220:223], v1 offset:1392
	s_waitcnt vmcnt(8) lgkmcnt(1)
	v_mul_f64 v[228:229], v[2:3], v[20:21]
	v_mul_f64 v[20:21], v[4:5], v[20:21]
	v_fma_f64 v[168:169], v[173:174], v[14:15], v[168:169]
	v_fma_f64 v[171:172], v[171:172], v[14:15], -v[16:17]
	scratch_load_b128 v[14:17], off, off offset:656
	;; [unrolled: 18-line block ×8, first 2 shown]
	v_add_f64 v[48:49], v[48:49], v[226:227]
	v_add_f64 v[50:51], v[50:51], v[164:165]
	s_waitcnt vmcnt(8) lgkmcnt(0)
	v_mul_f64 v[164:165], v[220:221], v[32:33]
	v_mul_f64 v[32:33], v[222:223], v[32:33]
	v_fma_f64 v[173:174], v[4:5], v[26:27], v[228:229]
	v_fma_f64 v[226:227], v[2:3], v[26:27], -v[28:29]
	ds_load_b128 v[2:5], v1 offset:1600
	ds_load_b128 v[26:29], v1 offset:1616
	v_add_f64 v[48:49], v[48:49], v[171:172]
	v_add_f64 v[50:51], v[50:51], v[168:169]
	s_waitcnt vmcnt(7) lgkmcnt(1)
	v_mul_f64 v[168:169], v[2:3], v[36:37]
	v_mul_f64 v[36:37], v[4:5], v[36:37]
	v_fma_f64 v[164:165], v[222:223], v[30:31], v[164:165]
	v_fma_f64 v[30:31], v[220:221], v[30:31], -v[32:33]
	v_add_f64 v[32:33], v[48:49], v[226:227]
	v_add_f64 v[48:49], v[50:51], v[173:174]
	s_waitcnt vmcnt(6) lgkmcnt(0)
	v_mul_f64 v[50:51], v[26:27], v[40:41]
	v_mul_f64 v[40:41], v[28:29], v[40:41]
	v_fma_f64 v[168:169], v[4:5], v[34:35], v[168:169]
	v_fma_f64 v[34:35], v[2:3], v[34:35], -v[36:37]
	v_add_f64 v[36:37], v[32:33], v[30:31]
	v_add_f64 v[48:49], v[48:49], v[164:165]
	ds_load_b128 v[2:5], v1 offset:1632
	ds_load_b128 v[30:33], v1 offset:1648
	v_fma_f64 v[28:29], v[28:29], v[38:39], v[50:51]
	v_fma_f64 v[26:27], v[26:27], v[38:39], -v[40:41]
	s_waitcnt vmcnt(5) lgkmcnt(1)
	v_mul_f64 v[164:165], v[2:3], v[44:45]
	v_mul_f64 v[44:45], v[4:5], v[44:45]
	s_waitcnt vmcnt(4) lgkmcnt(0)
	v_mul_f64 v[38:39], v[30:31], v[8:9]
	v_mul_f64 v[8:9], v[32:33], v[8:9]
	v_add_f64 v[34:35], v[36:37], v[34:35]
	v_add_f64 v[36:37], v[48:49], v[168:169]
	v_fma_f64 v[40:41], v[4:5], v[42:43], v[164:165]
	v_fma_f64 v[42:43], v[2:3], v[42:43], -v[44:45]
	v_fma_f64 v[32:33], v[32:33], v[6:7], v[38:39]
	v_fma_f64 v[6:7], v[30:31], v[6:7], -v[8:9]
	v_add_f64 v[34:35], v[34:35], v[26:27]
	v_add_f64 v[36:37], v[36:37], v[28:29]
	ds_load_b128 v[2:5], v1 offset:1664
	ds_load_b128 v[26:29], v1 offset:1680
	s_waitcnt vmcnt(3) lgkmcnt(1)
	v_mul_f64 v[44:45], v[2:3], v[12:13]
	v_mul_f64 v[12:13], v[4:5], v[12:13]
	v_add_f64 v[8:9], v[34:35], v[42:43]
	v_add_f64 v[30:31], v[36:37], v[40:41]
	s_waitcnt vmcnt(2) lgkmcnt(0)
	v_mul_f64 v[34:35], v[26:27], v[16:17]
	v_mul_f64 v[16:17], v[28:29], v[16:17]
	v_fma_f64 v[36:37], v[4:5], v[10:11], v[44:45]
	v_fma_f64 v[10:11], v[2:3], v[10:11], -v[12:13]
	v_add_f64 v[12:13], v[8:9], v[6:7]
	v_add_f64 v[30:31], v[30:31], v[32:33]
	ds_load_b128 v[2:5], v1 offset:1696
	ds_load_b128 v[6:9], v1 offset:1712
	v_fma_f64 v[28:29], v[28:29], v[14:15], v[34:35]
	v_fma_f64 v[14:15], v[26:27], v[14:15], -v[16:17]
	s_waitcnt vmcnt(1) lgkmcnt(1)
	v_mul_f64 v[32:33], v[2:3], v[20:21]
	v_mul_f64 v[20:21], v[4:5], v[20:21]
	s_waitcnt vmcnt(0) lgkmcnt(0)
	v_mul_f64 v[16:17], v[6:7], v[24:25]
	v_mul_f64 v[24:25], v[8:9], v[24:25]
	v_add_f64 v[10:11], v[12:13], v[10:11]
	v_add_f64 v[12:13], v[30:31], v[36:37]
	v_fma_f64 v[4:5], v[4:5], v[18:19], v[32:33]
	v_fma_f64 v[1:2], v[2:3], v[18:19], -v[20:21]
	v_fma_f64 v[8:9], v[8:9], v[22:23], v[16:17]
	v_fma_f64 v[6:7], v[6:7], v[22:23], -v[24:25]
	v_add_f64 v[10:11], v[10:11], v[14:15]
	v_add_f64 v[12:13], v[12:13], v[28:29]
	s_delay_alu instid0(VALU_DEP_2) | instskip(NEXT) | instid1(VALU_DEP_2)
	v_add_f64 v[1:2], v[10:11], v[1:2]
	v_add_f64 v[3:4], v[12:13], v[4:5]
	s_delay_alu instid0(VALU_DEP_2) | instskip(NEXT) | instid1(VALU_DEP_2)
	;; [unrolled: 3-line block ×3, first 2 shown]
	v_add_f64 v[1:2], v[157:158], -v[1:2]
	v_add_f64 v[3:4], v[159:160], -v[3:4]
	scratch_store_b128 off, v[1:4], off offset:272
	v_cmpx_lt_u32_e32 16, v154
	s_cbranch_execz .LBB117_305
; %bb.304:
	scratch_load_b128 v[1:4], v192, off
	v_mov_b32_e32 v5, 0
	s_delay_alu instid0(VALU_DEP_1)
	v_mov_b32_e32 v6, v5
	v_mov_b32_e32 v7, v5
	;; [unrolled: 1-line block ×3, first 2 shown]
	scratch_store_b128 off, v[5:8], off offset:256
	s_waitcnt vmcnt(0)
	ds_store_b128 v208, v[1:4]
.LBB117_305:
	s_or_b32 exec_lo, exec_lo, s2
	s_waitcnt lgkmcnt(0)
	s_waitcnt_vscnt null, 0x0
	s_barrier
	buffer_gl0_inv
	s_clause 0x7
	scratch_load_b128 v[2:5], off, off offset:272
	scratch_load_b128 v[6:9], off, off offset:288
	;; [unrolled: 1-line block ×8, first 2 shown]
	v_mov_b32_e32 v1, 0
	s_mov_b32 s2, exec_lo
	ds_load_b128 v[38:41], v1 offset:1136
	s_clause 0x1
	scratch_load_b128 v[34:37], off, off offset:400
	scratch_load_b128 v[42:45], off, off offset:256
	ds_load_b128 v[157:160], v1 offset:1152
	scratch_load_b128 v[171:174], off, off offset:416
	ds_load_b128 v[220:223], v1 offset:1184
	s_waitcnt vmcnt(10) lgkmcnt(2)
	v_mul_f64 v[48:49], v[40:41], v[4:5]
	v_mul_f64 v[4:5], v[38:39], v[4:5]
	s_delay_alu instid0(VALU_DEP_2) | instskip(NEXT) | instid1(VALU_DEP_2)
	v_fma_f64 v[48:49], v[38:39], v[2:3], -v[48:49]
	v_fma_f64 v[164:165], v[40:41], v[2:3], v[4:5]
	ds_load_b128 v[2:5], v1 offset:1168
	s_waitcnt vmcnt(9) lgkmcnt(2)
	v_mul_f64 v[50:51], v[157:158], v[8:9]
	v_mul_f64 v[8:9], v[159:160], v[8:9]
	scratch_load_b128 v[38:41], off, off offset:432
	s_waitcnt vmcnt(9) lgkmcnt(0)
	v_mul_f64 v[168:169], v[2:3], v[12:13]
	v_mul_f64 v[12:13], v[4:5], v[12:13]
	v_add_f64 v[48:49], v[48:49], 0
	v_fma_f64 v[50:51], v[159:160], v[6:7], v[50:51]
	v_fma_f64 v[157:158], v[157:158], v[6:7], -v[8:9]
	v_add_f64 v[159:160], v[164:165], 0
	scratch_load_b128 v[6:9], off, off offset:448
	v_fma_f64 v[168:169], v[4:5], v[10:11], v[168:169]
	v_fma_f64 v[226:227], v[2:3], v[10:11], -v[12:13]
	scratch_load_b128 v[10:13], off, off offset:464
	ds_load_b128 v[2:5], v1 offset:1200
	s_waitcnt vmcnt(10)
	v_mul_f64 v[164:165], v[220:221], v[16:17]
	v_mul_f64 v[16:17], v[222:223], v[16:17]
	v_add_f64 v[48:49], v[48:49], v[157:158]
	v_add_f64 v[50:51], v[159:160], v[50:51]
	ds_load_b128 v[157:160], v1 offset:1216
	s_waitcnt vmcnt(9) lgkmcnt(1)
	v_mul_f64 v[228:229], v[2:3], v[20:21]
	v_mul_f64 v[20:21], v[4:5], v[20:21]
	v_fma_f64 v[164:165], v[222:223], v[14:15], v[164:165]
	v_fma_f64 v[220:221], v[220:221], v[14:15], -v[16:17]
	scratch_load_b128 v[14:17], off, off offset:480
	v_add_f64 v[48:49], v[48:49], v[226:227]
	v_add_f64 v[50:51], v[50:51], v[168:169]
	v_fma_f64 v[226:227], v[4:5], v[18:19], v[228:229]
	v_fma_f64 v[228:229], v[2:3], v[18:19], -v[20:21]
	scratch_load_b128 v[18:21], off, off offset:496
	ds_load_b128 v[2:5], v1 offset:1232
	s_waitcnt vmcnt(10) lgkmcnt(1)
	v_mul_f64 v[168:169], v[157:158], v[24:25]
	v_mul_f64 v[24:25], v[159:160], v[24:25]
	v_add_f64 v[48:49], v[48:49], v[220:221]
	v_add_f64 v[50:51], v[50:51], v[164:165]
	s_waitcnt vmcnt(9) lgkmcnt(0)
	v_mul_f64 v[164:165], v[2:3], v[28:29]
	v_mul_f64 v[28:29], v[4:5], v[28:29]
	ds_load_b128 v[220:223], v1 offset:1248
	v_fma_f64 v[159:160], v[159:160], v[22:23], v[168:169]
	v_fma_f64 v[157:158], v[157:158], v[22:23], -v[24:25]
	scratch_load_b128 v[22:25], off, off offset:512
	v_add_f64 v[48:49], v[48:49], v[228:229]
	v_add_f64 v[50:51], v[50:51], v[226:227]
	v_fma_f64 v[164:165], v[4:5], v[26:27], v[164:165]
	v_fma_f64 v[226:227], v[2:3], v[26:27], -v[28:29]
	scratch_load_b128 v[26:29], off, off offset:528
	ds_load_b128 v[2:5], v1 offset:1264
	s_waitcnt vmcnt(10) lgkmcnt(1)
	v_mul_f64 v[168:169], v[220:221], v[32:33]
	v_mul_f64 v[32:33], v[222:223], v[32:33]
	s_waitcnt vmcnt(9) lgkmcnt(0)
	v_mul_f64 v[228:229], v[2:3], v[36:37]
	v_mul_f64 v[36:37], v[4:5], v[36:37]
	v_add_f64 v[48:49], v[48:49], v[157:158]
	v_add_f64 v[50:51], v[50:51], v[159:160]
	ds_load_b128 v[157:160], v1 offset:1280
	v_fma_f64 v[168:169], v[222:223], v[30:31], v[168:169]
	v_fma_f64 v[220:221], v[220:221], v[30:31], -v[32:33]
	scratch_load_b128 v[30:33], off, off offset:544
	v_add_f64 v[48:49], v[48:49], v[226:227]
	v_add_f64 v[50:51], v[50:51], v[164:165]
	v_fma_f64 v[226:227], v[4:5], v[34:35], v[228:229]
	v_fma_f64 v[228:229], v[2:3], v[34:35], -v[36:37]
	scratch_load_b128 v[34:37], off, off offset:560
	ds_load_b128 v[2:5], v1 offset:1296
	s_waitcnt vmcnt(9) lgkmcnt(1)
	v_mul_f64 v[164:165], v[157:158], v[173:174]
	v_mul_f64 v[173:174], v[159:160], v[173:174]
	v_add_f64 v[48:49], v[48:49], v[220:221]
	v_add_f64 v[50:51], v[50:51], v[168:169]
	ds_load_b128 v[220:223], v1 offset:1312
	v_fma_f64 v[164:165], v[159:160], v[171:172], v[164:165]
	v_fma_f64 v[171:172], v[157:158], v[171:172], -v[173:174]
	scratch_load_b128 v[157:160], off, off offset:576
	s_waitcnt vmcnt(9) lgkmcnt(1)
	v_mul_f64 v[168:169], v[2:3], v[40:41]
	v_mul_f64 v[40:41], v[4:5], v[40:41]
	v_add_f64 v[48:49], v[48:49], v[228:229]
	v_add_f64 v[50:51], v[50:51], v[226:227]
	s_delay_alu instid0(VALU_DEP_4) | instskip(NEXT) | instid1(VALU_DEP_4)
	v_fma_f64 v[168:169], v[4:5], v[38:39], v[168:169]
	v_fma_f64 v[228:229], v[2:3], v[38:39], -v[40:41]
	scratch_load_b128 v[38:41], off, off offset:592
	ds_load_b128 v[2:5], v1 offset:1328
	s_waitcnt vmcnt(9) lgkmcnt(1)
	v_mul_f64 v[226:227], v[220:221], v[8:9]
	v_mul_f64 v[8:9], v[222:223], v[8:9]
	v_add_f64 v[48:49], v[48:49], v[171:172]
	v_add_f64 v[50:51], v[50:51], v[164:165]
	s_waitcnt vmcnt(8) lgkmcnt(0)
	v_mul_f64 v[164:165], v[2:3], v[12:13]
	v_mul_f64 v[12:13], v[4:5], v[12:13]
	ds_load_b128 v[171:174], v1 offset:1344
	v_fma_f64 v[222:223], v[222:223], v[6:7], v[226:227]
	v_fma_f64 v[220:221], v[220:221], v[6:7], -v[8:9]
	scratch_load_b128 v[6:9], off, off offset:608
	v_add_f64 v[48:49], v[48:49], v[228:229]
	v_add_f64 v[50:51], v[50:51], v[168:169]
	v_fma_f64 v[164:165], v[4:5], v[10:11], v[164:165]
	v_fma_f64 v[226:227], v[2:3], v[10:11], -v[12:13]
	scratch_load_b128 v[10:13], off, off offset:624
	ds_load_b128 v[2:5], v1 offset:1360
	s_waitcnt vmcnt(9) lgkmcnt(1)
	v_mul_f64 v[168:169], v[171:172], v[16:17]
	v_mul_f64 v[16:17], v[173:174], v[16:17]
	s_waitcnt vmcnt(8) lgkmcnt(0)
	v_mul_f64 v[228:229], v[2:3], v[20:21]
	v_mul_f64 v[20:21], v[4:5], v[20:21]
	v_add_f64 v[48:49], v[48:49], v[220:221]
	v_add_f64 v[50:51], v[50:51], v[222:223]
	ds_load_b128 v[220:223], v1 offset:1376
	v_fma_f64 v[168:169], v[173:174], v[14:15], v[168:169]
	v_fma_f64 v[171:172], v[171:172], v[14:15], -v[16:17]
	scratch_load_b128 v[14:17], off, off offset:640
	v_add_f64 v[48:49], v[48:49], v[226:227]
	v_add_f64 v[50:51], v[50:51], v[164:165]
	v_fma_f64 v[226:227], v[4:5], v[18:19], v[228:229]
	v_fma_f64 v[228:229], v[2:3], v[18:19], -v[20:21]
	scratch_load_b128 v[18:21], off, off offset:656
	ds_load_b128 v[2:5], v1 offset:1392
	s_waitcnt vmcnt(9) lgkmcnt(1)
	v_mul_f64 v[164:165], v[220:221], v[24:25]
	v_mul_f64 v[24:25], v[222:223], v[24:25]
	v_add_f64 v[48:49], v[48:49], v[171:172]
	v_add_f64 v[50:51], v[50:51], v[168:169]
	s_waitcnt vmcnt(8) lgkmcnt(0)
	v_mul_f64 v[168:169], v[2:3], v[28:29]
	v_mul_f64 v[28:29], v[4:5], v[28:29]
	ds_load_b128 v[171:174], v1 offset:1408
	v_fma_f64 v[164:165], v[222:223], v[22:23], v[164:165]
	v_fma_f64 v[220:221], v[220:221], v[22:23], -v[24:25]
	scratch_load_b128 v[22:25], off, off offset:672
	v_add_f64 v[48:49], v[48:49], v[228:229]
	v_add_f64 v[50:51], v[50:51], v[226:227]
	v_fma_f64 v[168:169], v[4:5], v[26:27], v[168:169]
	v_fma_f64 v[228:229], v[2:3], v[26:27], -v[28:29]
	scratch_load_b128 v[26:29], off, off offset:688
	ds_load_b128 v[2:5], v1 offset:1424
	s_waitcnt vmcnt(9) lgkmcnt(1)
	v_mul_f64 v[226:227], v[171:172], v[32:33]
	v_mul_f64 v[32:33], v[173:174], v[32:33]
	v_add_f64 v[48:49], v[48:49], v[220:221]
	v_add_f64 v[50:51], v[50:51], v[164:165]
	s_waitcnt vmcnt(8) lgkmcnt(0)
	v_mul_f64 v[164:165], v[2:3], v[36:37]
	v_mul_f64 v[36:37], v[4:5], v[36:37]
	ds_load_b128 v[220:223], v1 offset:1440
	v_fma_f64 v[173:174], v[173:174], v[30:31], v[226:227]
	v_fma_f64 v[171:172], v[171:172], v[30:31], -v[32:33]
	scratch_load_b128 v[30:33], off, off offset:704
	v_add_f64 v[48:49], v[48:49], v[228:229]
	v_add_f64 v[50:51], v[50:51], v[168:169]
	v_fma_f64 v[164:165], v[4:5], v[34:35], v[164:165]
	v_fma_f64 v[226:227], v[2:3], v[34:35], -v[36:37]
	scratch_load_b128 v[34:37], off, off offset:720
	ds_load_b128 v[2:5], v1 offset:1456
	s_waitcnt vmcnt(9) lgkmcnt(1)
	v_mul_f64 v[168:169], v[220:221], v[159:160]
	v_mul_f64 v[159:160], v[222:223], v[159:160]
	s_waitcnt vmcnt(8) lgkmcnt(0)
	v_mul_f64 v[228:229], v[2:3], v[40:41]
	v_mul_f64 v[40:41], v[4:5], v[40:41]
	v_add_f64 v[48:49], v[48:49], v[171:172]
	v_add_f64 v[50:51], v[50:51], v[173:174]
	ds_load_b128 v[171:174], v1 offset:1472
	v_fma_f64 v[168:169], v[222:223], v[157:158], v[168:169]
	v_fma_f64 v[220:221], v[220:221], v[157:158], -v[159:160]
	scratch_load_b128 v[157:160], off, off offset:736
	v_add_f64 v[48:49], v[48:49], v[226:227]
	v_add_f64 v[50:51], v[50:51], v[164:165]
	v_fma_f64 v[226:227], v[4:5], v[38:39], v[228:229]
	v_fma_f64 v[228:229], v[2:3], v[38:39], -v[40:41]
	scratch_load_b128 v[38:41], off, off offset:752
	ds_load_b128 v[2:5], v1 offset:1488
	s_waitcnt vmcnt(9) lgkmcnt(1)
	v_mul_f64 v[164:165], v[171:172], v[8:9]
	v_mul_f64 v[8:9], v[173:174], v[8:9]
	v_add_f64 v[48:49], v[48:49], v[220:221]
	v_add_f64 v[50:51], v[50:51], v[168:169]
	s_waitcnt vmcnt(8) lgkmcnt(0)
	v_mul_f64 v[168:169], v[2:3], v[12:13]
	v_mul_f64 v[12:13], v[4:5], v[12:13]
	ds_load_b128 v[220:223], v1 offset:1504
	v_fma_f64 v[164:165], v[173:174], v[6:7], v[164:165]
	v_fma_f64 v[171:172], v[171:172], v[6:7], -v[8:9]
	scratch_load_b128 v[6:9], off, off offset:768
	v_add_f64 v[48:49], v[48:49], v[228:229]
	v_add_f64 v[50:51], v[50:51], v[226:227]
	v_fma_f64 v[168:169], v[4:5], v[10:11], v[168:169]
	v_fma_f64 v[228:229], v[2:3], v[10:11], -v[12:13]
	scratch_load_b128 v[10:13], off, off offset:784
	ds_load_b128 v[2:5], v1 offset:1520
	s_waitcnt vmcnt(9) lgkmcnt(1)
	v_mul_f64 v[226:227], v[220:221], v[16:17]
	v_mul_f64 v[16:17], v[222:223], v[16:17]
	v_add_f64 v[48:49], v[48:49], v[171:172]
	v_add_f64 v[50:51], v[50:51], v[164:165]
	s_waitcnt vmcnt(8) lgkmcnt(0)
	v_mul_f64 v[164:165], v[2:3], v[20:21]
	v_mul_f64 v[20:21], v[4:5], v[20:21]
	ds_load_b128 v[171:174], v1 offset:1536
	v_fma_f64 v[222:223], v[222:223], v[14:15], v[226:227]
	v_fma_f64 v[220:221], v[220:221], v[14:15], -v[16:17]
	scratch_load_b128 v[14:17], off, off offset:800
	v_add_f64 v[48:49], v[48:49], v[228:229]
	v_add_f64 v[50:51], v[50:51], v[168:169]
	v_fma_f64 v[164:165], v[4:5], v[18:19], v[164:165]
	v_fma_f64 v[226:227], v[2:3], v[18:19], -v[20:21]
	scratch_load_b128 v[18:21], off, off offset:816
	ds_load_b128 v[2:5], v1 offset:1552
	s_waitcnt vmcnt(9) lgkmcnt(1)
	v_mul_f64 v[168:169], v[171:172], v[24:25]
	v_mul_f64 v[24:25], v[173:174], v[24:25]
	s_waitcnt vmcnt(8) lgkmcnt(0)
	v_mul_f64 v[228:229], v[2:3], v[28:29]
	v_mul_f64 v[28:29], v[4:5], v[28:29]
	v_add_f64 v[48:49], v[48:49], v[220:221]
	v_add_f64 v[50:51], v[50:51], v[222:223]
	ds_load_b128 v[220:223], v1 offset:1568
	v_fma_f64 v[168:169], v[173:174], v[22:23], v[168:169]
	v_fma_f64 v[171:172], v[171:172], v[22:23], -v[24:25]
	scratch_load_b128 v[22:25], off, off offset:832
	v_add_f64 v[48:49], v[48:49], v[226:227]
	v_add_f64 v[50:51], v[50:51], v[164:165]
	v_fma_f64 v[226:227], v[4:5], v[26:27], v[228:229]
	v_fma_f64 v[228:229], v[2:3], v[26:27], -v[28:29]
	scratch_load_b128 v[26:29], off, off offset:848
	ds_load_b128 v[2:5], v1 offset:1584
	s_waitcnt vmcnt(9) lgkmcnt(1)
	v_mul_f64 v[164:165], v[220:221], v[32:33]
	v_mul_f64 v[32:33], v[222:223], v[32:33]
	v_add_f64 v[48:49], v[48:49], v[171:172]
	v_add_f64 v[50:51], v[50:51], v[168:169]
	s_waitcnt vmcnt(8) lgkmcnt(0)
	v_mul_f64 v[168:169], v[2:3], v[36:37]
	v_mul_f64 v[36:37], v[4:5], v[36:37]
	ds_load_b128 v[171:174], v1 offset:1600
	v_fma_f64 v[164:165], v[222:223], v[30:31], v[164:165]
	v_fma_f64 v[30:31], v[220:221], v[30:31], -v[32:33]
	v_add_f64 v[32:33], v[48:49], v[228:229]
	v_add_f64 v[48:49], v[50:51], v[226:227]
	s_waitcnt vmcnt(7) lgkmcnt(0)
	v_mul_f64 v[50:51], v[171:172], v[159:160]
	v_mul_f64 v[159:160], v[173:174], v[159:160]
	v_fma_f64 v[168:169], v[4:5], v[34:35], v[168:169]
	v_fma_f64 v[34:35], v[2:3], v[34:35], -v[36:37]
	v_add_f64 v[36:37], v[32:33], v[30:31]
	v_add_f64 v[48:49], v[48:49], v[164:165]
	ds_load_b128 v[2:5], v1 offset:1616
	ds_load_b128 v[30:33], v1 offset:1632
	v_fma_f64 v[50:51], v[173:174], v[157:158], v[50:51]
	v_fma_f64 v[157:158], v[171:172], v[157:158], -v[159:160]
	s_waitcnt vmcnt(6) lgkmcnt(1)
	v_mul_f64 v[164:165], v[2:3], v[40:41]
	v_mul_f64 v[40:41], v[4:5], v[40:41]
	v_add_f64 v[34:35], v[36:37], v[34:35]
	v_add_f64 v[36:37], v[48:49], v[168:169]
	s_waitcnt vmcnt(5) lgkmcnt(0)
	v_mul_f64 v[48:49], v[30:31], v[8:9]
	v_mul_f64 v[8:9], v[32:33], v[8:9]
	v_fma_f64 v[159:160], v[4:5], v[38:39], v[164:165]
	v_fma_f64 v[38:39], v[2:3], v[38:39], -v[40:41]
	v_add_f64 v[40:41], v[34:35], v[157:158]
	v_add_f64 v[50:51], v[36:37], v[50:51]
	ds_load_b128 v[2:5], v1 offset:1648
	ds_load_b128 v[34:37], v1 offset:1664
	v_fma_f64 v[32:33], v[32:33], v[6:7], v[48:49]
	v_fma_f64 v[6:7], v[30:31], v[6:7], -v[8:9]
	s_waitcnt vmcnt(4) lgkmcnt(1)
	v_mul_f64 v[157:158], v[2:3], v[12:13]
	v_mul_f64 v[12:13], v[4:5], v[12:13]
	;; [unrolled: 16-line block ×3, first 2 shown]
	s_waitcnt vmcnt(1) lgkmcnt(0)
	v_mul_f64 v[16:17], v[6:7], v[24:25]
	v_mul_f64 v[24:25], v[8:9], v[24:25]
	v_add_f64 v[10:11], v[12:13], v[10:11]
	v_add_f64 v[12:13], v[30:31], v[40:41]
	v_fma_f64 v[30:31], v[4:5], v[18:19], v[32:33]
	v_fma_f64 v[18:19], v[2:3], v[18:19], -v[20:21]
	ds_load_b128 v[2:5], v1 offset:1712
	v_fma_f64 v[8:9], v[8:9], v[22:23], v[16:17]
	v_fma_f64 v[6:7], v[6:7], v[22:23], -v[24:25]
	v_add_f64 v[10:11], v[10:11], v[14:15]
	v_add_f64 v[12:13], v[12:13], v[36:37]
	s_waitcnt vmcnt(0) lgkmcnt(0)
	v_mul_f64 v[14:15], v[2:3], v[28:29]
	v_mul_f64 v[20:21], v[4:5], v[28:29]
	s_delay_alu instid0(VALU_DEP_4) | instskip(NEXT) | instid1(VALU_DEP_4)
	v_add_f64 v[10:11], v[10:11], v[18:19]
	v_add_f64 v[12:13], v[12:13], v[30:31]
	s_delay_alu instid0(VALU_DEP_4) | instskip(NEXT) | instid1(VALU_DEP_4)
	v_fma_f64 v[4:5], v[4:5], v[26:27], v[14:15]
	v_fma_f64 v[2:3], v[2:3], v[26:27], -v[20:21]
	s_delay_alu instid0(VALU_DEP_4) | instskip(NEXT) | instid1(VALU_DEP_4)
	v_add_f64 v[6:7], v[10:11], v[6:7]
	v_add_f64 v[8:9], v[12:13], v[8:9]
	s_delay_alu instid0(VALU_DEP_2) | instskip(NEXT) | instid1(VALU_DEP_2)
	v_add_f64 v[2:3], v[6:7], v[2:3]
	v_add_f64 v[4:5], v[8:9], v[4:5]
	s_delay_alu instid0(VALU_DEP_2) | instskip(NEXT) | instid1(VALU_DEP_2)
	v_add_f64 v[2:3], v[42:43], -v[2:3]
	v_add_f64 v[4:5], v[44:45], -v[4:5]
	scratch_store_b128 off, v[2:5], off offset:256
	v_cmpx_lt_u32_e32 15, v154
	s_cbranch_execz .LBB117_307
; %bb.306:
	scratch_load_b128 v[5:8], v193, off
	v_mov_b32_e32 v2, v1
	v_mov_b32_e32 v3, v1
	;; [unrolled: 1-line block ×3, first 2 shown]
	scratch_store_b128 off, v[1:4], off offset:240
	s_waitcnt vmcnt(0)
	ds_store_b128 v208, v[5:8]
.LBB117_307:
	s_or_b32 exec_lo, exec_lo, s2
	s_waitcnt lgkmcnt(0)
	s_waitcnt_vscnt null, 0x0
	s_barrier
	buffer_gl0_inv
	s_clause 0x8
	scratch_load_b128 v[2:5], off, off offset:256
	scratch_load_b128 v[6:9], off, off offset:272
	;; [unrolled: 1-line block ×9, first 2 shown]
	ds_load_b128 v[42:45], v1 offset:1120
	ds_load_b128 v[38:41], v1 offset:1136
	s_clause 0x1
	scratch_load_b128 v[157:160], off, off offset:240
	scratch_load_b128 v[171:174], off, off offset:400
	s_mov_b32 s2, exec_lo
	ds_load_b128 v[220:223], v1 offset:1168
	s_waitcnt vmcnt(10) lgkmcnt(2)
	v_mul_f64 v[48:49], v[44:45], v[4:5]
	v_mul_f64 v[4:5], v[42:43], v[4:5]
	s_waitcnt vmcnt(9) lgkmcnt(1)
	v_mul_f64 v[50:51], v[38:39], v[8:9]
	v_mul_f64 v[8:9], v[40:41], v[8:9]
	s_delay_alu instid0(VALU_DEP_4) | instskip(NEXT) | instid1(VALU_DEP_4)
	v_fma_f64 v[48:49], v[42:43], v[2:3], -v[48:49]
	v_fma_f64 v[164:165], v[44:45], v[2:3], v[4:5]
	ds_load_b128 v[2:5], v1 offset:1152
	scratch_load_b128 v[42:45], off, off offset:416
	v_fma_f64 v[40:41], v[40:41], v[6:7], v[50:51]
	v_fma_f64 v[38:39], v[38:39], v[6:7], -v[8:9]
	scratch_load_b128 v[6:9], off, off offset:432
	s_waitcnt vmcnt(10) lgkmcnt(0)
	v_mul_f64 v[168:169], v[2:3], v[12:13]
	v_mul_f64 v[12:13], v[4:5], v[12:13]
	v_add_f64 v[48:49], v[48:49], 0
	v_add_f64 v[50:51], v[164:165], 0
	s_waitcnt vmcnt(9)
	v_mul_f64 v[164:165], v[220:221], v[16:17]
	v_mul_f64 v[16:17], v[222:223], v[16:17]
	v_fma_f64 v[168:169], v[4:5], v[10:11], v[168:169]
	v_fma_f64 v[226:227], v[2:3], v[10:11], -v[12:13]
	ds_load_b128 v[2:5], v1 offset:1184
	scratch_load_b128 v[10:13], off, off offset:448
	v_add_f64 v[48:49], v[48:49], v[38:39]
	v_add_f64 v[50:51], v[50:51], v[40:41]
	ds_load_b128 v[38:41], v1 offset:1200
	v_fma_f64 v[164:165], v[222:223], v[14:15], v[164:165]
	v_fma_f64 v[220:221], v[220:221], v[14:15], -v[16:17]
	scratch_load_b128 v[14:17], off, off offset:464
	s_waitcnt vmcnt(10) lgkmcnt(1)
	v_mul_f64 v[228:229], v[2:3], v[20:21]
	v_mul_f64 v[20:21], v[4:5], v[20:21]
	v_add_f64 v[48:49], v[48:49], v[226:227]
	v_add_f64 v[50:51], v[50:51], v[168:169]
	s_waitcnt vmcnt(9) lgkmcnt(0)
	v_mul_f64 v[168:169], v[38:39], v[24:25]
	v_mul_f64 v[24:25], v[40:41], v[24:25]
	v_fma_f64 v[226:227], v[4:5], v[18:19], v[228:229]
	v_fma_f64 v[228:229], v[2:3], v[18:19], -v[20:21]
	ds_load_b128 v[2:5], v1 offset:1216
	scratch_load_b128 v[18:21], off, off offset:480
	v_add_f64 v[48:49], v[48:49], v[220:221]
	v_add_f64 v[50:51], v[50:51], v[164:165]
	ds_load_b128 v[220:223], v1 offset:1232
	s_waitcnt vmcnt(9) lgkmcnt(1)
	v_mul_f64 v[164:165], v[2:3], v[28:29]
	v_mul_f64 v[28:29], v[4:5], v[28:29]
	v_fma_f64 v[40:41], v[40:41], v[22:23], v[168:169]
	v_fma_f64 v[38:39], v[38:39], v[22:23], -v[24:25]
	scratch_load_b128 v[22:25], off, off offset:496
	s_waitcnt vmcnt(9) lgkmcnt(0)
	v_mul_f64 v[168:169], v[220:221], v[32:33]
	v_mul_f64 v[32:33], v[222:223], v[32:33]
	v_add_f64 v[48:49], v[48:49], v[228:229]
	v_add_f64 v[50:51], v[50:51], v[226:227]
	v_fma_f64 v[164:165], v[4:5], v[26:27], v[164:165]
	v_fma_f64 v[226:227], v[2:3], v[26:27], -v[28:29]
	ds_load_b128 v[2:5], v1 offset:1248
	scratch_load_b128 v[26:29], off, off offset:512
	v_fma_f64 v[168:169], v[222:223], v[30:31], v[168:169]
	v_fma_f64 v[220:221], v[220:221], v[30:31], -v[32:33]
	scratch_load_b128 v[30:33], off, off offset:528
	v_add_f64 v[48:49], v[48:49], v[38:39]
	v_add_f64 v[50:51], v[50:51], v[40:41]
	ds_load_b128 v[38:41], v1 offset:1264
	s_waitcnt vmcnt(10) lgkmcnt(1)
	v_mul_f64 v[228:229], v[2:3], v[36:37]
	v_mul_f64 v[36:37], v[4:5], v[36:37]
	v_add_f64 v[48:49], v[48:49], v[226:227]
	v_add_f64 v[50:51], v[50:51], v[164:165]
	s_waitcnt vmcnt(8) lgkmcnt(0)
	v_mul_f64 v[164:165], v[38:39], v[173:174]
	v_mul_f64 v[173:174], v[40:41], v[173:174]
	v_fma_f64 v[226:227], v[4:5], v[34:35], v[228:229]
	v_fma_f64 v[228:229], v[2:3], v[34:35], -v[36:37]
	ds_load_b128 v[2:5], v1 offset:1280
	scratch_load_b128 v[34:37], off, off offset:544
	v_add_f64 v[48:49], v[48:49], v[220:221]
	v_add_f64 v[50:51], v[50:51], v[168:169]
	ds_load_b128 v[220:223], v1 offset:1296
	v_fma_f64 v[164:165], v[40:41], v[171:172], v[164:165]
	v_fma_f64 v[171:172], v[38:39], v[171:172], -v[173:174]
	scratch_load_b128 v[38:41], off, off offset:560
	s_waitcnt vmcnt(9) lgkmcnt(1)
	v_mul_f64 v[168:169], v[2:3], v[44:45]
	v_mul_f64 v[44:45], v[4:5], v[44:45]
	v_add_f64 v[48:49], v[48:49], v[228:229]
	v_add_f64 v[50:51], v[50:51], v[226:227]
	s_waitcnt vmcnt(8) lgkmcnt(0)
	v_mul_f64 v[226:227], v[220:221], v[8:9]
	v_mul_f64 v[8:9], v[222:223], v[8:9]
	v_fma_f64 v[168:169], v[4:5], v[42:43], v[168:169]
	v_fma_f64 v[228:229], v[2:3], v[42:43], -v[44:45]
	ds_load_b128 v[2:5], v1 offset:1312
	scratch_load_b128 v[42:45], off, off offset:576
	v_add_f64 v[48:49], v[48:49], v[171:172]
	v_add_f64 v[50:51], v[50:51], v[164:165]
	ds_load_b128 v[171:174], v1 offset:1328
	s_waitcnt vmcnt(8) lgkmcnt(1)
	v_mul_f64 v[164:165], v[2:3], v[12:13]
	v_mul_f64 v[12:13], v[4:5], v[12:13]
	v_fma_f64 v[222:223], v[222:223], v[6:7], v[226:227]
	v_fma_f64 v[220:221], v[220:221], v[6:7], -v[8:9]
	scratch_load_b128 v[6:9], off, off offset:592
	v_add_f64 v[48:49], v[48:49], v[228:229]
	v_add_f64 v[50:51], v[50:51], v[168:169]
	s_waitcnt vmcnt(8) lgkmcnt(0)
	v_mul_f64 v[168:169], v[171:172], v[16:17]
	v_mul_f64 v[16:17], v[173:174], v[16:17]
	v_fma_f64 v[164:165], v[4:5], v[10:11], v[164:165]
	v_fma_f64 v[226:227], v[2:3], v[10:11], -v[12:13]
	ds_load_b128 v[2:5], v1 offset:1344
	scratch_load_b128 v[10:13], off, off offset:608
	v_add_f64 v[48:49], v[48:49], v[220:221]
	v_add_f64 v[50:51], v[50:51], v[222:223]
	ds_load_b128 v[220:223], v1 offset:1360
	s_waitcnt vmcnt(8) lgkmcnt(1)
	v_mul_f64 v[228:229], v[2:3], v[20:21]
	v_mul_f64 v[20:21], v[4:5], v[20:21]
	v_fma_f64 v[168:169], v[173:174], v[14:15], v[168:169]
	v_fma_f64 v[171:172], v[171:172], v[14:15], -v[16:17]
	scratch_load_b128 v[14:17], off, off offset:624
	;; [unrolled: 18-line block ×9, first 2 shown]
	s_waitcnt vmcnt(8) lgkmcnt(0)
	v_mul_f64 v[222:223], v[171:172], v[40:41]
	v_mul_f64 v[40:41], v[173:174], v[40:41]
	v_add_f64 v[48:49], v[48:49], v[228:229]
	v_add_f64 v[50:51], v[50:51], v[226:227]
	v_fma_f64 v[168:169], v[4:5], v[34:35], v[168:169]
	v_fma_f64 v[226:227], v[2:3], v[34:35], -v[36:37]
	ds_load_b128 v[2:5], v1 offset:1600
	ds_load_b128 v[34:37], v1 offset:1616
	v_fma_f64 v[173:174], v[173:174], v[38:39], v[222:223]
	v_fma_f64 v[38:39], v[171:172], v[38:39], -v[40:41]
	v_add_f64 v[48:49], v[48:49], v[220:221]
	v_add_f64 v[50:51], v[50:51], v[164:165]
	s_waitcnt vmcnt(7) lgkmcnt(1)
	v_mul_f64 v[164:165], v[2:3], v[44:45]
	v_mul_f64 v[44:45], v[4:5], v[44:45]
	s_delay_alu instid0(VALU_DEP_4) | instskip(NEXT) | instid1(VALU_DEP_4)
	v_add_f64 v[40:41], v[48:49], v[226:227]
	v_add_f64 v[48:49], v[50:51], v[168:169]
	s_waitcnt vmcnt(6) lgkmcnt(0)
	v_mul_f64 v[50:51], v[34:35], v[8:9]
	v_mul_f64 v[8:9], v[36:37], v[8:9]
	v_fma_f64 v[164:165], v[4:5], v[42:43], v[164:165]
	v_fma_f64 v[42:43], v[2:3], v[42:43], -v[44:45]
	v_add_f64 v[44:45], v[40:41], v[38:39]
	v_add_f64 v[48:49], v[48:49], v[173:174]
	ds_load_b128 v[2:5], v1 offset:1632
	ds_load_b128 v[38:41], v1 offset:1648
	v_fma_f64 v[36:37], v[36:37], v[6:7], v[50:51]
	v_fma_f64 v[6:7], v[34:35], v[6:7], -v[8:9]
	s_waitcnt vmcnt(5) lgkmcnt(1)
	v_mul_f64 v[168:169], v[2:3], v[12:13]
	v_mul_f64 v[12:13], v[4:5], v[12:13]
	v_add_f64 v[8:9], v[44:45], v[42:43]
	v_add_f64 v[34:35], v[48:49], v[164:165]
	s_waitcnt vmcnt(4) lgkmcnt(0)
	v_mul_f64 v[42:43], v[38:39], v[16:17]
	v_mul_f64 v[16:17], v[40:41], v[16:17]
	v_fma_f64 v[44:45], v[4:5], v[10:11], v[168:169]
	v_fma_f64 v[10:11], v[2:3], v[10:11], -v[12:13]
	v_add_f64 v[12:13], v[8:9], v[6:7]
	v_add_f64 v[34:35], v[34:35], v[36:37]
	ds_load_b128 v[2:5], v1 offset:1664
	ds_load_b128 v[6:9], v1 offset:1680
	v_fma_f64 v[40:41], v[40:41], v[14:15], v[42:43]
	v_fma_f64 v[14:15], v[38:39], v[14:15], -v[16:17]
	s_waitcnt vmcnt(3) lgkmcnt(1)
	v_mul_f64 v[36:37], v[2:3], v[20:21]
	v_mul_f64 v[20:21], v[4:5], v[20:21]
	s_waitcnt vmcnt(2) lgkmcnt(0)
	v_mul_f64 v[16:17], v[6:7], v[24:25]
	v_mul_f64 v[24:25], v[8:9], v[24:25]
	v_add_f64 v[10:11], v[12:13], v[10:11]
	v_add_f64 v[12:13], v[34:35], v[44:45]
	v_fma_f64 v[34:35], v[4:5], v[18:19], v[36:37]
	v_fma_f64 v[18:19], v[2:3], v[18:19], -v[20:21]
	v_fma_f64 v[8:9], v[8:9], v[22:23], v[16:17]
	v_fma_f64 v[6:7], v[6:7], v[22:23], -v[24:25]
	v_add_f64 v[14:15], v[10:11], v[14:15]
	v_add_f64 v[20:21], v[12:13], v[40:41]
	ds_load_b128 v[2:5], v1 offset:1696
	ds_load_b128 v[10:13], v1 offset:1712
	s_waitcnt vmcnt(1) lgkmcnt(1)
	v_mul_f64 v[36:37], v[2:3], v[28:29]
	v_mul_f64 v[28:29], v[4:5], v[28:29]
	v_add_f64 v[14:15], v[14:15], v[18:19]
	v_add_f64 v[16:17], v[20:21], v[34:35]
	s_waitcnt vmcnt(0) lgkmcnt(0)
	v_mul_f64 v[18:19], v[10:11], v[32:33]
	v_mul_f64 v[20:21], v[12:13], v[32:33]
	v_fma_f64 v[4:5], v[4:5], v[26:27], v[36:37]
	v_fma_f64 v[1:2], v[2:3], v[26:27], -v[28:29]
	v_add_f64 v[6:7], v[14:15], v[6:7]
	v_add_f64 v[8:9], v[16:17], v[8:9]
	v_fma_f64 v[12:13], v[12:13], v[30:31], v[18:19]
	v_fma_f64 v[10:11], v[10:11], v[30:31], -v[20:21]
	s_delay_alu instid0(VALU_DEP_4) | instskip(NEXT) | instid1(VALU_DEP_4)
	v_add_f64 v[1:2], v[6:7], v[1:2]
	v_add_f64 v[3:4], v[8:9], v[4:5]
	s_delay_alu instid0(VALU_DEP_2) | instskip(NEXT) | instid1(VALU_DEP_2)
	v_add_f64 v[1:2], v[1:2], v[10:11]
	v_add_f64 v[3:4], v[3:4], v[12:13]
	s_delay_alu instid0(VALU_DEP_2) | instskip(NEXT) | instid1(VALU_DEP_2)
	v_add_f64 v[1:2], v[157:158], -v[1:2]
	v_add_f64 v[3:4], v[159:160], -v[3:4]
	scratch_store_b128 off, v[1:4], off offset:240
	v_cmpx_lt_u32_e32 14, v154
	s_cbranch_execz .LBB117_309
; %bb.308:
	scratch_load_b128 v[1:4], v194, off
	v_mov_b32_e32 v5, 0
	s_delay_alu instid0(VALU_DEP_1)
	v_mov_b32_e32 v6, v5
	v_mov_b32_e32 v7, v5
	;; [unrolled: 1-line block ×3, first 2 shown]
	scratch_store_b128 off, v[5:8], off offset:224
	s_waitcnt vmcnt(0)
	ds_store_b128 v208, v[1:4]
.LBB117_309:
	s_or_b32 exec_lo, exec_lo, s2
	s_waitcnt lgkmcnt(0)
	s_waitcnt_vscnt null, 0x0
	s_barrier
	buffer_gl0_inv
	s_clause 0x7
	scratch_load_b128 v[2:5], off, off offset:240
	scratch_load_b128 v[6:9], off, off offset:256
	;; [unrolled: 1-line block ×8, first 2 shown]
	v_mov_b32_e32 v1, 0
	s_mov_b32 s2, exec_lo
	ds_load_b128 v[38:41], v1 offset:1104
	s_clause 0x1
	scratch_load_b128 v[34:37], off, off offset:368
	scratch_load_b128 v[42:45], off, off offset:224
	ds_load_b128 v[157:160], v1 offset:1120
	scratch_load_b128 v[171:174], off, off offset:384
	ds_load_b128 v[220:223], v1 offset:1152
	s_waitcnt vmcnt(10) lgkmcnt(2)
	v_mul_f64 v[48:49], v[40:41], v[4:5]
	v_mul_f64 v[4:5], v[38:39], v[4:5]
	s_delay_alu instid0(VALU_DEP_2) | instskip(NEXT) | instid1(VALU_DEP_2)
	v_fma_f64 v[48:49], v[38:39], v[2:3], -v[48:49]
	v_fma_f64 v[164:165], v[40:41], v[2:3], v[4:5]
	ds_load_b128 v[2:5], v1 offset:1136
	s_waitcnt vmcnt(9) lgkmcnt(2)
	v_mul_f64 v[50:51], v[157:158], v[8:9]
	v_mul_f64 v[8:9], v[159:160], v[8:9]
	scratch_load_b128 v[38:41], off, off offset:400
	s_waitcnt vmcnt(9) lgkmcnt(0)
	v_mul_f64 v[168:169], v[2:3], v[12:13]
	v_mul_f64 v[12:13], v[4:5], v[12:13]
	v_add_f64 v[48:49], v[48:49], 0
	v_fma_f64 v[50:51], v[159:160], v[6:7], v[50:51]
	v_fma_f64 v[157:158], v[157:158], v[6:7], -v[8:9]
	v_add_f64 v[159:160], v[164:165], 0
	scratch_load_b128 v[6:9], off, off offset:416
	v_fma_f64 v[168:169], v[4:5], v[10:11], v[168:169]
	v_fma_f64 v[226:227], v[2:3], v[10:11], -v[12:13]
	scratch_load_b128 v[10:13], off, off offset:432
	ds_load_b128 v[2:5], v1 offset:1168
	s_waitcnt vmcnt(10)
	v_mul_f64 v[164:165], v[220:221], v[16:17]
	v_mul_f64 v[16:17], v[222:223], v[16:17]
	v_add_f64 v[48:49], v[48:49], v[157:158]
	v_add_f64 v[50:51], v[159:160], v[50:51]
	ds_load_b128 v[157:160], v1 offset:1184
	s_waitcnt vmcnt(9) lgkmcnt(1)
	v_mul_f64 v[228:229], v[2:3], v[20:21]
	v_mul_f64 v[20:21], v[4:5], v[20:21]
	v_fma_f64 v[164:165], v[222:223], v[14:15], v[164:165]
	v_fma_f64 v[220:221], v[220:221], v[14:15], -v[16:17]
	scratch_load_b128 v[14:17], off, off offset:448
	v_add_f64 v[48:49], v[48:49], v[226:227]
	v_add_f64 v[50:51], v[50:51], v[168:169]
	v_fma_f64 v[226:227], v[4:5], v[18:19], v[228:229]
	v_fma_f64 v[228:229], v[2:3], v[18:19], -v[20:21]
	scratch_load_b128 v[18:21], off, off offset:464
	ds_load_b128 v[2:5], v1 offset:1200
	s_waitcnt vmcnt(10) lgkmcnt(1)
	v_mul_f64 v[168:169], v[157:158], v[24:25]
	v_mul_f64 v[24:25], v[159:160], v[24:25]
	v_add_f64 v[48:49], v[48:49], v[220:221]
	v_add_f64 v[50:51], v[50:51], v[164:165]
	s_waitcnt vmcnt(9) lgkmcnt(0)
	v_mul_f64 v[164:165], v[2:3], v[28:29]
	v_mul_f64 v[28:29], v[4:5], v[28:29]
	ds_load_b128 v[220:223], v1 offset:1216
	v_fma_f64 v[159:160], v[159:160], v[22:23], v[168:169]
	v_fma_f64 v[157:158], v[157:158], v[22:23], -v[24:25]
	scratch_load_b128 v[22:25], off, off offset:480
	v_add_f64 v[48:49], v[48:49], v[228:229]
	v_add_f64 v[50:51], v[50:51], v[226:227]
	v_fma_f64 v[164:165], v[4:5], v[26:27], v[164:165]
	v_fma_f64 v[226:227], v[2:3], v[26:27], -v[28:29]
	scratch_load_b128 v[26:29], off, off offset:496
	ds_load_b128 v[2:5], v1 offset:1232
	s_waitcnt vmcnt(10) lgkmcnt(1)
	v_mul_f64 v[168:169], v[220:221], v[32:33]
	v_mul_f64 v[32:33], v[222:223], v[32:33]
	s_waitcnt vmcnt(9) lgkmcnt(0)
	v_mul_f64 v[228:229], v[2:3], v[36:37]
	v_mul_f64 v[36:37], v[4:5], v[36:37]
	v_add_f64 v[48:49], v[48:49], v[157:158]
	v_add_f64 v[50:51], v[50:51], v[159:160]
	ds_load_b128 v[157:160], v1 offset:1248
	v_fma_f64 v[168:169], v[222:223], v[30:31], v[168:169]
	v_fma_f64 v[220:221], v[220:221], v[30:31], -v[32:33]
	scratch_load_b128 v[30:33], off, off offset:512
	v_add_f64 v[48:49], v[48:49], v[226:227]
	v_add_f64 v[50:51], v[50:51], v[164:165]
	v_fma_f64 v[226:227], v[4:5], v[34:35], v[228:229]
	v_fma_f64 v[228:229], v[2:3], v[34:35], -v[36:37]
	scratch_load_b128 v[34:37], off, off offset:528
	ds_load_b128 v[2:5], v1 offset:1264
	s_waitcnt vmcnt(9) lgkmcnt(1)
	v_mul_f64 v[164:165], v[157:158], v[173:174]
	v_mul_f64 v[173:174], v[159:160], v[173:174]
	v_add_f64 v[48:49], v[48:49], v[220:221]
	v_add_f64 v[50:51], v[50:51], v[168:169]
	ds_load_b128 v[220:223], v1 offset:1280
	v_fma_f64 v[164:165], v[159:160], v[171:172], v[164:165]
	v_fma_f64 v[171:172], v[157:158], v[171:172], -v[173:174]
	scratch_load_b128 v[157:160], off, off offset:544
	s_waitcnt vmcnt(9) lgkmcnt(1)
	v_mul_f64 v[168:169], v[2:3], v[40:41]
	v_mul_f64 v[40:41], v[4:5], v[40:41]
	v_add_f64 v[48:49], v[48:49], v[228:229]
	v_add_f64 v[50:51], v[50:51], v[226:227]
	s_delay_alu instid0(VALU_DEP_4) | instskip(NEXT) | instid1(VALU_DEP_4)
	v_fma_f64 v[168:169], v[4:5], v[38:39], v[168:169]
	v_fma_f64 v[228:229], v[2:3], v[38:39], -v[40:41]
	scratch_load_b128 v[38:41], off, off offset:560
	ds_load_b128 v[2:5], v1 offset:1296
	s_waitcnt vmcnt(9) lgkmcnt(1)
	v_mul_f64 v[226:227], v[220:221], v[8:9]
	v_mul_f64 v[8:9], v[222:223], v[8:9]
	v_add_f64 v[48:49], v[48:49], v[171:172]
	v_add_f64 v[50:51], v[50:51], v[164:165]
	s_waitcnt vmcnt(8) lgkmcnt(0)
	v_mul_f64 v[164:165], v[2:3], v[12:13]
	v_mul_f64 v[12:13], v[4:5], v[12:13]
	ds_load_b128 v[171:174], v1 offset:1312
	v_fma_f64 v[222:223], v[222:223], v[6:7], v[226:227]
	v_fma_f64 v[220:221], v[220:221], v[6:7], -v[8:9]
	scratch_load_b128 v[6:9], off, off offset:576
	v_add_f64 v[48:49], v[48:49], v[228:229]
	v_add_f64 v[50:51], v[50:51], v[168:169]
	v_fma_f64 v[164:165], v[4:5], v[10:11], v[164:165]
	v_fma_f64 v[226:227], v[2:3], v[10:11], -v[12:13]
	scratch_load_b128 v[10:13], off, off offset:592
	ds_load_b128 v[2:5], v1 offset:1328
	s_waitcnt vmcnt(9) lgkmcnt(1)
	v_mul_f64 v[168:169], v[171:172], v[16:17]
	v_mul_f64 v[16:17], v[173:174], v[16:17]
	s_waitcnt vmcnt(8) lgkmcnt(0)
	v_mul_f64 v[228:229], v[2:3], v[20:21]
	v_mul_f64 v[20:21], v[4:5], v[20:21]
	v_add_f64 v[48:49], v[48:49], v[220:221]
	v_add_f64 v[50:51], v[50:51], v[222:223]
	ds_load_b128 v[220:223], v1 offset:1344
	v_fma_f64 v[168:169], v[173:174], v[14:15], v[168:169]
	v_fma_f64 v[171:172], v[171:172], v[14:15], -v[16:17]
	scratch_load_b128 v[14:17], off, off offset:608
	v_add_f64 v[48:49], v[48:49], v[226:227]
	v_add_f64 v[50:51], v[50:51], v[164:165]
	v_fma_f64 v[226:227], v[4:5], v[18:19], v[228:229]
	v_fma_f64 v[228:229], v[2:3], v[18:19], -v[20:21]
	scratch_load_b128 v[18:21], off, off offset:624
	ds_load_b128 v[2:5], v1 offset:1360
	s_waitcnt vmcnt(9) lgkmcnt(1)
	v_mul_f64 v[164:165], v[220:221], v[24:25]
	v_mul_f64 v[24:25], v[222:223], v[24:25]
	v_add_f64 v[48:49], v[48:49], v[171:172]
	v_add_f64 v[50:51], v[50:51], v[168:169]
	s_waitcnt vmcnt(8) lgkmcnt(0)
	v_mul_f64 v[168:169], v[2:3], v[28:29]
	v_mul_f64 v[28:29], v[4:5], v[28:29]
	ds_load_b128 v[171:174], v1 offset:1376
	v_fma_f64 v[164:165], v[222:223], v[22:23], v[164:165]
	v_fma_f64 v[220:221], v[220:221], v[22:23], -v[24:25]
	scratch_load_b128 v[22:25], off, off offset:640
	v_add_f64 v[48:49], v[48:49], v[228:229]
	v_add_f64 v[50:51], v[50:51], v[226:227]
	v_fma_f64 v[168:169], v[4:5], v[26:27], v[168:169]
	v_fma_f64 v[228:229], v[2:3], v[26:27], -v[28:29]
	scratch_load_b128 v[26:29], off, off offset:656
	ds_load_b128 v[2:5], v1 offset:1392
	s_waitcnt vmcnt(9) lgkmcnt(1)
	v_mul_f64 v[226:227], v[171:172], v[32:33]
	v_mul_f64 v[32:33], v[173:174], v[32:33]
	v_add_f64 v[48:49], v[48:49], v[220:221]
	v_add_f64 v[50:51], v[50:51], v[164:165]
	s_waitcnt vmcnt(8) lgkmcnt(0)
	v_mul_f64 v[164:165], v[2:3], v[36:37]
	v_mul_f64 v[36:37], v[4:5], v[36:37]
	ds_load_b128 v[220:223], v1 offset:1408
	v_fma_f64 v[173:174], v[173:174], v[30:31], v[226:227]
	v_fma_f64 v[171:172], v[171:172], v[30:31], -v[32:33]
	scratch_load_b128 v[30:33], off, off offset:672
	v_add_f64 v[48:49], v[48:49], v[228:229]
	v_add_f64 v[50:51], v[50:51], v[168:169]
	v_fma_f64 v[164:165], v[4:5], v[34:35], v[164:165]
	v_fma_f64 v[226:227], v[2:3], v[34:35], -v[36:37]
	scratch_load_b128 v[34:37], off, off offset:688
	ds_load_b128 v[2:5], v1 offset:1424
	s_waitcnt vmcnt(9) lgkmcnt(1)
	v_mul_f64 v[168:169], v[220:221], v[159:160]
	v_mul_f64 v[159:160], v[222:223], v[159:160]
	s_waitcnt vmcnt(8) lgkmcnt(0)
	v_mul_f64 v[228:229], v[2:3], v[40:41]
	v_mul_f64 v[40:41], v[4:5], v[40:41]
	v_add_f64 v[48:49], v[48:49], v[171:172]
	v_add_f64 v[50:51], v[50:51], v[173:174]
	ds_load_b128 v[171:174], v1 offset:1440
	v_fma_f64 v[168:169], v[222:223], v[157:158], v[168:169]
	v_fma_f64 v[220:221], v[220:221], v[157:158], -v[159:160]
	scratch_load_b128 v[157:160], off, off offset:704
	v_add_f64 v[48:49], v[48:49], v[226:227]
	v_add_f64 v[50:51], v[50:51], v[164:165]
	v_fma_f64 v[226:227], v[4:5], v[38:39], v[228:229]
	v_fma_f64 v[228:229], v[2:3], v[38:39], -v[40:41]
	scratch_load_b128 v[38:41], off, off offset:720
	ds_load_b128 v[2:5], v1 offset:1456
	s_waitcnt vmcnt(9) lgkmcnt(1)
	v_mul_f64 v[164:165], v[171:172], v[8:9]
	v_mul_f64 v[8:9], v[173:174], v[8:9]
	v_add_f64 v[48:49], v[48:49], v[220:221]
	v_add_f64 v[50:51], v[50:51], v[168:169]
	s_waitcnt vmcnt(8) lgkmcnt(0)
	v_mul_f64 v[168:169], v[2:3], v[12:13]
	v_mul_f64 v[12:13], v[4:5], v[12:13]
	ds_load_b128 v[220:223], v1 offset:1472
	v_fma_f64 v[164:165], v[173:174], v[6:7], v[164:165]
	v_fma_f64 v[171:172], v[171:172], v[6:7], -v[8:9]
	scratch_load_b128 v[6:9], off, off offset:736
	v_add_f64 v[48:49], v[48:49], v[228:229]
	v_add_f64 v[50:51], v[50:51], v[226:227]
	;; [unrolled: 54-line block ×3, first 2 shown]
	v_fma_f64 v[168:169], v[4:5], v[34:35], v[168:169]
	v_fma_f64 v[228:229], v[2:3], v[34:35], -v[36:37]
	scratch_load_b128 v[34:37], off, off offset:848
	ds_load_b128 v[2:5], v1 offset:1584
	s_waitcnt vmcnt(9) lgkmcnt(1)
	v_mul_f64 v[226:227], v[171:172], v[159:160]
	v_mul_f64 v[159:160], v[173:174], v[159:160]
	v_add_f64 v[48:49], v[48:49], v[220:221]
	v_add_f64 v[50:51], v[50:51], v[164:165]
	s_waitcnt vmcnt(8) lgkmcnt(0)
	v_mul_f64 v[164:165], v[2:3], v[40:41]
	v_mul_f64 v[40:41], v[4:5], v[40:41]
	ds_load_b128 v[220:223], v1 offset:1600
	v_fma_f64 v[173:174], v[173:174], v[157:158], v[226:227]
	v_fma_f64 v[157:158], v[171:172], v[157:158], -v[159:160]
	s_waitcnt vmcnt(7) lgkmcnt(0)
	v_mul_f64 v[159:160], v[220:221], v[8:9]
	v_mul_f64 v[8:9], v[222:223], v[8:9]
	v_add_f64 v[48:49], v[48:49], v[228:229]
	v_add_f64 v[50:51], v[50:51], v[168:169]
	v_fma_f64 v[164:165], v[4:5], v[38:39], v[164:165]
	v_fma_f64 v[168:169], v[2:3], v[38:39], -v[40:41]
	ds_load_b128 v[2:5], v1 offset:1616
	ds_load_b128 v[38:41], v1 offset:1632
	v_fma_f64 v[159:160], v[222:223], v[6:7], v[159:160]
	v_fma_f64 v[6:7], v[220:221], v[6:7], -v[8:9]
	v_add_f64 v[48:49], v[48:49], v[157:158]
	v_add_f64 v[50:51], v[50:51], v[173:174]
	s_waitcnt vmcnt(6) lgkmcnt(1)
	v_mul_f64 v[157:158], v[2:3], v[12:13]
	v_mul_f64 v[12:13], v[4:5], v[12:13]
	s_delay_alu instid0(VALU_DEP_4) | instskip(NEXT) | instid1(VALU_DEP_4)
	v_add_f64 v[8:9], v[48:49], v[168:169]
	v_add_f64 v[48:49], v[50:51], v[164:165]
	s_waitcnt vmcnt(5) lgkmcnt(0)
	v_mul_f64 v[50:51], v[38:39], v[16:17]
	v_mul_f64 v[16:17], v[40:41], v[16:17]
	v_fma_f64 v[157:158], v[4:5], v[10:11], v[157:158]
	v_fma_f64 v[10:11], v[2:3], v[10:11], -v[12:13]
	v_add_f64 v[12:13], v[8:9], v[6:7]
	v_add_f64 v[48:49], v[48:49], v[159:160]
	ds_load_b128 v[2:5], v1 offset:1648
	ds_load_b128 v[6:9], v1 offset:1664
	v_fma_f64 v[40:41], v[40:41], v[14:15], v[50:51]
	v_fma_f64 v[14:15], v[38:39], v[14:15], -v[16:17]
	s_waitcnt vmcnt(4) lgkmcnt(1)
	v_mul_f64 v[159:160], v[2:3], v[20:21]
	v_mul_f64 v[20:21], v[4:5], v[20:21]
	s_waitcnt vmcnt(3) lgkmcnt(0)
	v_mul_f64 v[16:17], v[6:7], v[24:25]
	v_mul_f64 v[24:25], v[8:9], v[24:25]
	v_add_f64 v[10:11], v[12:13], v[10:11]
	v_add_f64 v[12:13], v[48:49], v[157:158]
	v_fma_f64 v[38:39], v[4:5], v[18:19], v[159:160]
	v_fma_f64 v[18:19], v[2:3], v[18:19], -v[20:21]
	v_fma_f64 v[8:9], v[8:9], v[22:23], v[16:17]
	v_fma_f64 v[6:7], v[6:7], v[22:23], -v[24:25]
	v_add_f64 v[14:15], v[10:11], v[14:15]
	v_add_f64 v[20:21], v[12:13], v[40:41]
	ds_load_b128 v[2:5], v1 offset:1680
	ds_load_b128 v[10:13], v1 offset:1696
	s_waitcnt vmcnt(2) lgkmcnt(1)
	v_mul_f64 v[40:41], v[2:3], v[28:29]
	v_mul_f64 v[28:29], v[4:5], v[28:29]
	v_add_f64 v[14:15], v[14:15], v[18:19]
	v_add_f64 v[16:17], v[20:21], v[38:39]
	s_waitcnt vmcnt(1) lgkmcnt(0)
	v_mul_f64 v[18:19], v[10:11], v[32:33]
	v_mul_f64 v[20:21], v[12:13], v[32:33]
	v_fma_f64 v[22:23], v[4:5], v[26:27], v[40:41]
	v_fma_f64 v[24:25], v[2:3], v[26:27], -v[28:29]
	ds_load_b128 v[2:5], v1 offset:1712
	v_add_f64 v[6:7], v[14:15], v[6:7]
	v_add_f64 v[8:9], v[16:17], v[8:9]
	v_fma_f64 v[12:13], v[12:13], v[30:31], v[18:19]
	v_fma_f64 v[10:11], v[10:11], v[30:31], -v[20:21]
	s_waitcnt vmcnt(0) lgkmcnt(0)
	v_mul_f64 v[14:15], v[2:3], v[36:37]
	v_mul_f64 v[16:17], v[4:5], v[36:37]
	v_add_f64 v[6:7], v[6:7], v[24:25]
	v_add_f64 v[8:9], v[8:9], v[22:23]
	s_delay_alu instid0(VALU_DEP_4) | instskip(NEXT) | instid1(VALU_DEP_4)
	v_fma_f64 v[4:5], v[4:5], v[34:35], v[14:15]
	v_fma_f64 v[2:3], v[2:3], v[34:35], -v[16:17]
	s_delay_alu instid0(VALU_DEP_4) | instskip(NEXT) | instid1(VALU_DEP_4)
	v_add_f64 v[6:7], v[6:7], v[10:11]
	v_add_f64 v[8:9], v[8:9], v[12:13]
	s_delay_alu instid0(VALU_DEP_2) | instskip(NEXT) | instid1(VALU_DEP_2)
	v_add_f64 v[2:3], v[6:7], v[2:3]
	v_add_f64 v[4:5], v[8:9], v[4:5]
	s_delay_alu instid0(VALU_DEP_2) | instskip(NEXT) | instid1(VALU_DEP_2)
	v_add_f64 v[2:3], v[42:43], -v[2:3]
	v_add_f64 v[4:5], v[44:45], -v[4:5]
	scratch_store_b128 off, v[2:5], off offset:224
	v_cmpx_lt_u32_e32 13, v154
	s_cbranch_execz .LBB117_311
; %bb.310:
	scratch_load_b128 v[5:8], v195, off
	v_mov_b32_e32 v2, v1
	v_mov_b32_e32 v3, v1
	;; [unrolled: 1-line block ×3, first 2 shown]
	scratch_store_b128 off, v[1:4], off offset:208
	s_waitcnt vmcnt(0)
	ds_store_b128 v208, v[5:8]
.LBB117_311:
	s_or_b32 exec_lo, exec_lo, s2
	s_waitcnt lgkmcnt(0)
	s_waitcnt_vscnt null, 0x0
	s_barrier
	buffer_gl0_inv
	s_clause 0x8
	scratch_load_b128 v[2:5], off, off offset:224
	scratch_load_b128 v[6:9], off, off offset:240
	;; [unrolled: 1-line block ×9, first 2 shown]
	ds_load_b128 v[42:45], v1 offset:1088
	ds_load_b128 v[38:41], v1 offset:1104
	s_clause 0x1
	scratch_load_b128 v[157:160], off, off offset:208
	scratch_load_b128 v[171:174], off, off offset:368
	s_mov_b32 s2, exec_lo
	ds_load_b128 v[220:223], v1 offset:1136
	s_waitcnt vmcnt(10) lgkmcnt(2)
	v_mul_f64 v[48:49], v[44:45], v[4:5]
	v_mul_f64 v[4:5], v[42:43], v[4:5]
	s_waitcnt vmcnt(9) lgkmcnt(1)
	v_mul_f64 v[50:51], v[38:39], v[8:9]
	v_mul_f64 v[8:9], v[40:41], v[8:9]
	s_delay_alu instid0(VALU_DEP_4) | instskip(NEXT) | instid1(VALU_DEP_4)
	v_fma_f64 v[48:49], v[42:43], v[2:3], -v[48:49]
	v_fma_f64 v[164:165], v[44:45], v[2:3], v[4:5]
	ds_load_b128 v[2:5], v1 offset:1120
	scratch_load_b128 v[42:45], off, off offset:384
	v_fma_f64 v[40:41], v[40:41], v[6:7], v[50:51]
	v_fma_f64 v[38:39], v[38:39], v[6:7], -v[8:9]
	scratch_load_b128 v[6:9], off, off offset:400
	s_waitcnt vmcnt(10) lgkmcnt(0)
	v_mul_f64 v[168:169], v[2:3], v[12:13]
	v_mul_f64 v[12:13], v[4:5], v[12:13]
	v_add_f64 v[48:49], v[48:49], 0
	v_add_f64 v[50:51], v[164:165], 0
	s_waitcnt vmcnt(9)
	v_mul_f64 v[164:165], v[220:221], v[16:17]
	v_mul_f64 v[16:17], v[222:223], v[16:17]
	v_fma_f64 v[168:169], v[4:5], v[10:11], v[168:169]
	v_fma_f64 v[226:227], v[2:3], v[10:11], -v[12:13]
	ds_load_b128 v[2:5], v1 offset:1152
	scratch_load_b128 v[10:13], off, off offset:416
	v_add_f64 v[48:49], v[48:49], v[38:39]
	v_add_f64 v[50:51], v[50:51], v[40:41]
	ds_load_b128 v[38:41], v1 offset:1168
	v_fma_f64 v[164:165], v[222:223], v[14:15], v[164:165]
	v_fma_f64 v[220:221], v[220:221], v[14:15], -v[16:17]
	scratch_load_b128 v[14:17], off, off offset:432
	s_waitcnt vmcnt(10) lgkmcnt(1)
	v_mul_f64 v[228:229], v[2:3], v[20:21]
	v_mul_f64 v[20:21], v[4:5], v[20:21]
	v_add_f64 v[48:49], v[48:49], v[226:227]
	v_add_f64 v[50:51], v[50:51], v[168:169]
	s_waitcnt vmcnt(9) lgkmcnt(0)
	v_mul_f64 v[168:169], v[38:39], v[24:25]
	v_mul_f64 v[24:25], v[40:41], v[24:25]
	v_fma_f64 v[226:227], v[4:5], v[18:19], v[228:229]
	v_fma_f64 v[228:229], v[2:3], v[18:19], -v[20:21]
	ds_load_b128 v[2:5], v1 offset:1184
	scratch_load_b128 v[18:21], off, off offset:448
	v_add_f64 v[48:49], v[48:49], v[220:221]
	v_add_f64 v[50:51], v[50:51], v[164:165]
	ds_load_b128 v[220:223], v1 offset:1200
	s_waitcnt vmcnt(9) lgkmcnt(1)
	v_mul_f64 v[164:165], v[2:3], v[28:29]
	v_mul_f64 v[28:29], v[4:5], v[28:29]
	v_fma_f64 v[40:41], v[40:41], v[22:23], v[168:169]
	v_fma_f64 v[38:39], v[38:39], v[22:23], -v[24:25]
	scratch_load_b128 v[22:25], off, off offset:464
	s_waitcnt vmcnt(9) lgkmcnt(0)
	v_mul_f64 v[168:169], v[220:221], v[32:33]
	v_mul_f64 v[32:33], v[222:223], v[32:33]
	v_add_f64 v[48:49], v[48:49], v[228:229]
	v_add_f64 v[50:51], v[50:51], v[226:227]
	v_fma_f64 v[164:165], v[4:5], v[26:27], v[164:165]
	v_fma_f64 v[226:227], v[2:3], v[26:27], -v[28:29]
	ds_load_b128 v[2:5], v1 offset:1216
	scratch_load_b128 v[26:29], off, off offset:480
	v_fma_f64 v[168:169], v[222:223], v[30:31], v[168:169]
	v_fma_f64 v[220:221], v[220:221], v[30:31], -v[32:33]
	scratch_load_b128 v[30:33], off, off offset:496
	v_add_f64 v[48:49], v[48:49], v[38:39]
	v_add_f64 v[50:51], v[50:51], v[40:41]
	ds_load_b128 v[38:41], v1 offset:1232
	s_waitcnt vmcnt(10) lgkmcnt(1)
	v_mul_f64 v[228:229], v[2:3], v[36:37]
	v_mul_f64 v[36:37], v[4:5], v[36:37]
	v_add_f64 v[48:49], v[48:49], v[226:227]
	v_add_f64 v[50:51], v[50:51], v[164:165]
	s_waitcnt vmcnt(8) lgkmcnt(0)
	v_mul_f64 v[164:165], v[38:39], v[173:174]
	v_mul_f64 v[173:174], v[40:41], v[173:174]
	v_fma_f64 v[226:227], v[4:5], v[34:35], v[228:229]
	v_fma_f64 v[228:229], v[2:3], v[34:35], -v[36:37]
	ds_load_b128 v[2:5], v1 offset:1248
	scratch_load_b128 v[34:37], off, off offset:512
	v_add_f64 v[48:49], v[48:49], v[220:221]
	v_add_f64 v[50:51], v[50:51], v[168:169]
	ds_load_b128 v[220:223], v1 offset:1264
	v_fma_f64 v[164:165], v[40:41], v[171:172], v[164:165]
	v_fma_f64 v[171:172], v[38:39], v[171:172], -v[173:174]
	scratch_load_b128 v[38:41], off, off offset:528
	s_waitcnt vmcnt(9) lgkmcnt(1)
	v_mul_f64 v[168:169], v[2:3], v[44:45]
	v_mul_f64 v[44:45], v[4:5], v[44:45]
	v_add_f64 v[48:49], v[48:49], v[228:229]
	v_add_f64 v[50:51], v[50:51], v[226:227]
	s_waitcnt vmcnt(8) lgkmcnt(0)
	v_mul_f64 v[226:227], v[220:221], v[8:9]
	v_mul_f64 v[8:9], v[222:223], v[8:9]
	v_fma_f64 v[168:169], v[4:5], v[42:43], v[168:169]
	v_fma_f64 v[228:229], v[2:3], v[42:43], -v[44:45]
	ds_load_b128 v[2:5], v1 offset:1280
	scratch_load_b128 v[42:45], off, off offset:544
	v_add_f64 v[48:49], v[48:49], v[171:172]
	v_add_f64 v[50:51], v[50:51], v[164:165]
	ds_load_b128 v[171:174], v1 offset:1296
	s_waitcnt vmcnt(8) lgkmcnt(1)
	v_mul_f64 v[164:165], v[2:3], v[12:13]
	v_mul_f64 v[12:13], v[4:5], v[12:13]
	v_fma_f64 v[222:223], v[222:223], v[6:7], v[226:227]
	v_fma_f64 v[220:221], v[220:221], v[6:7], -v[8:9]
	scratch_load_b128 v[6:9], off, off offset:560
	v_add_f64 v[48:49], v[48:49], v[228:229]
	v_add_f64 v[50:51], v[50:51], v[168:169]
	s_waitcnt vmcnt(8) lgkmcnt(0)
	v_mul_f64 v[168:169], v[171:172], v[16:17]
	v_mul_f64 v[16:17], v[173:174], v[16:17]
	v_fma_f64 v[164:165], v[4:5], v[10:11], v[164:165]
	v_fma_f64 v[226:227], v[2:3], v[10:11], -v[12:13]
	ds_load_b128 v[2:5], v1 offset:1312
	scratch_load_b128 v[10:13], off, off offset:576
	v_add_f64 v[48:49], v[48:49], v[220:221]
	v_add_f64 v[50:51], v[50:51], v[222:223]
	ds_load_b128 v[220:223], v1 offset:1328
	s_waitcnt vmcnt(8) lgkmcnt(1)
	v_mul_f64 v[228:229], v[2:3], v[20:21]
	v_mul_f64 v[20:21], v[4:5], v[20:21]
	v_fma_f64 v[168:169], v[173:174], v[14:15], v[168:169]
	v_fma_f64 v[171:172], v[171:172], v[14:15], -v[16:17]
	scratch_load_b128 v[14:17], off, off offset:592
	;; [unrolled: 18-line block ×10, first 2 shown]
	v_add_f64 v[48:49], v[48:49], v[228:229]
	v_add_f64 v[50:51], v[50:51], v[168:169]
	s_waitcnt vmcnt(8) lgkmcnt(0)
	v_mul_f64 v[168:169], v[220:221], v[8:9]
	v_mul_f64 v[8:9], v[222:223], v[8:9]
	v_fma_f64 v[164:165], v[4:5], v[42:43], v[164:165]
	v_fma_f64 v[226:227], v[2:3], v[42:43], -v[44:45]
	ds_load_b128 v[2:5], v1 offset:1600
	ds_load_b128 v[42:45], v1 offset:1616
	v_add_f64 v[48:49], v[48:49], v[171:172]
	v_add_f64 v[50:51], v[50:51], v[173:174]
	s_waitcnt vmcnt(7) lgkmcnt(1)
	v_mul_f64 v[171:172], v[2:3], v[12:13]
	v_mul_f64 v[12:13], v[4:5], v[12:13]
	v_fma_f64 v[168:169], v[222:223], v[6:7], v[168:169]
	v_fma_f64 v[6:7], v[220:221], v[6:7], -v[8:9]
	v_add_f64 v[8:9], v[48:49], v[226:227]
	v_add_f64 v[48:49], v[50:51], v[164:165]
	s_waitcnt vmcnt(6) lgkmcnt(0)
	v_mul_f64 v[50:51], v[42:43], v[16:17]
	v_mul_f64 v[16:17], v[44:45], v[16:17]
	v_fma_f64 v[164:165], v[4:5], v[10:11], v[171:172]
	v_fma_f64 v[10:11], v[2:3], v[10:11], -v[12:13]
	v_add_f64 v[12:13], v[8:9], v[6:7]
	v_add_f64 v[48:49], v[48:49], v[168:169]
	ds_load_b128 v[2:5], v1 offset:1632
	ds_load_b128 v[6:9], v1 offset:1648
	v_fma_f64 v[44:45], v[44:45], v[14:15], v[50:51]
	v_fma_f64 v[14:15], v[42:43], v[14:15], -v[16:17]
	s_waitcnt vmcnt(5) lgkmcnt(1)
	v_mul_f64 v[168:169], v[2:3], v[20:21]
	v_mul_f64 v[20:21], v[4:5], v[20:21]
	s_waitcnt vmcnt(4) lgkmcnt(0)
	v_mul_f64 v[16:17], v[6:7], v[24:25]
	v_mul_f64 v[24:25], v[8:9], v[24:25]
	v_add_f64 v[10:11], v[12:13], v[10:11]
	v_add_f64 v[12:13], v[48:49], v[164:165]
	v_fma_f64 v[42:43], v[4:5], v[18:19], v[168:169]
	v_fma_f64 v[18:19], v[2:3], v[18:19], -v[20:21]
	v_fma_f64 v[8:9], v[8:9], v[22:23], v[16:17]
	v_fma_f64 v[6:7], v[6:7], v[22:23], -v[24:25]
	v_add_f64 v[14:15], v[10:11], v[14:15]
	v_add_f64 v[20:21], v[12:13], v[44:45]
	ds_load_b128 v[2:5], v1 offset:1664
	ds_load_b128 v[10:13], v1 offset:1680
	s_waitcnt vmcnt(3) lgkmcnt(1)
	v_mul_f64 v[44:45], v[2:3], v[28:29]
	v_mul_f64 v[28:29], v[4:5], v[28:29]
	v_add_f64 v[14:15], v[14:15], v[18:19]
	v_add_f64 v[16:17], v[20:21], v[42:43]
	s_waitcnt vmcnt(2) lgkmcnt(0)
	v_mul_f64 v[18:19], v[10:11], v[32:33]
	v_mul_f64 v[20:21], v[12:13], v[32:33]
	v_fma_f64 v[22:23], v[4:5], v[26:27], v[44:45]
	v_fma_f64 v[24:25], v[2:3], v[26:27], -v[28:29]
	v_add_f64 v[14:15], v[14:15], v[6:7]
	v_add_f64 v[16:17], v[16:17], v[8:9]
	ds_load_b128 v[2:5], v1 offset:1696
	ds_load_b128 v[6:9], v1 offset:1712
	v_fma_f64 v[12:13], v[12:13], v[30:31], v[18:19]
	v_fma_f64 v[10:11], v[10:11], v[30:31], -v[20:21]
	s_waitcnt vmcnt(1) lgkmcnt(1)
	v_mul_f64 v[26:27], v[2:3], v[36:37]
	v_mul_f64 v[28:29], v[4:5], v[36:37]
	s_waitcnt vmcnt(0) lgkmcnt(0)
	v_mul_f64 v[18:19], v[6:7], v[40:41]
	v_mul_f64 v[20:21], v[8:9], v[40:41]
	v_add_f64 v[14:15], v[14:15], v[24:25]
	v_add_f64 v[16:17], v[16:17], v[22:23]
	v_fma_f64 v[4:5], v[4:5], v[34:35], v[26:27]
	v_fma_f64 v[1:2], v[2:3], v[34:35], -v[28:29]
	v_fma_f64 v[8:9], v[8:9], v[38:39], v[18:19]
	v_fma_f64 v[6:7], v[6:7], v[38:39], -v[20:21]
	v_add_f64 v[10:11], v[14:15], v[10:11]
	v_add_f64 v[12:13], v[16:17], v[12:13]
	s_delay_alu instid0(VALU_DEP_2) | instskip(NEXT) | instid1(VALU_DEP_2)
	v_add_f64 v[1:2], v[10:11], v[1:2]
	v_add_f64 v[3:4], v[12:13], v[4:5]
	s_delay_alu instid0(VALU_DEP_2) | instskip(NEXT) | instid1(VALU_DEP_2)
	;; [unrolled: 3-line block ×3, first 2 shown]
	v_add_f64 v[1:2], v[157:158], -v[1:2]
	v_add_f64 v[3:4], v[159:160], -v[3:4]
	scratch_store_b128 off, v[1:4], off offset:208
	v_cmpx_lt_u32_e32 12, v154
	s_cbranch_execz .LBB117_313
; %bb.312:
	scratch_load_b128 v[1:4], v196, off
	v_mov_b32_e32 v5, 0
	s_delay_alu instid0(VALU_DEP_1)
	v_mov_b32_e32 v6, v5
	v_mov_b32_e32 v7, v5
	;; [unrolled: 1-line block ×3, first 2 shown]
	scratch_store_b128 off, v[5:8], off offset:192
	s_waitcnt vmcnt(0)
	ds_store_b128 v208, v[1:4]
.LBB117_313:
	s_or_b32 exec_lo, exec_lo, s2
	s_waitcnt lgkmcnt(0)
	s_waitcnt_vscnt null, 0x0
	s_barrier
	buffer_gl0_inv
	s_clause 0x7
	scratch_load_b128 v[2:5], off, off offset:208
	scratch_load_b128 v[6:9], off, off offset:224
	;; [unrolled: 1-line block ×8, first 2 shown]
	v_mov_b32_e32 v1, 0
	s_mov_b32 s2, exec_lo
	ds_load_b128 v[38:41], v1 offset:1072
	s_clause 0x1
	scratch_load_b128 v[34:37], off, off offset:336
	scratch_load_b128 v[42:45], off, off offset:192
	ds_load_b128 v[157:160], v1 offset:1088
	scratch_load_b128 v[171:174], off, off offset:352
	ds_load_b128 v[220:223], v1 offset:1120
	s_waitcnt vmcnt(10) lgkmcnt(2)
	v_mul_f64 v[48:49], v[40:41], v[4:5]
	v_mul_f64 v[4:5], v[38:39], v[4:5]
	s_delay_alu instid0(VALU_DEP_2) | instskip(NEXT) | instid1(VALU_DEP_2)
	v_fma_f64 v[48:49], v[38:39], v[2:3], -v[48:49]
	v_fma_f64 v[164:165], v[40:41], v[2:3], v[4:5]
	ds_load_b128 v[2:5], v1 offset:1104
	s_waitcnt vmcnt(9) lgkmcnt(2)
	v_mul_f64 v[50:51], v[157:158], v[8:9]
	v_mul_f64 v[8:9], v[159:160], v[8:9]
	scratch_load_b128 v[38:41], off, off offset:368
	s_waitcnt vmcnt(9) lgkmcnt(0)
	v_mul_f64 v[168:169], v[2:3], v[12:13]
	v_mul_f64 v[12:13], v[4:5], v[12:13]
	v_add_f64 v[48:49], v[48:49], 0
	v_fma_f64 v[50:51], v[159:160], v[6:7], v[50:51]
	v_fma_f64 v[157:158], v[157:158], v[6:7], -v[8:9]
	v_add_f64 v[159:160], v[164:165], 0
	scratch_load_b128 v[6:9], off, off offset:384
	v_fma_f64 v[168:169], v[4:5], v[10:11], v[168:169]
	v_fma_f64 v[226:227], v[2:3], v[10:11], -v[12:13]
	scratch_load_b128 v[10:13], off, off offset:400
	ds_load_b128 v[2:5], v1 offset:1136
	s_waitcnt vmcnt(10)
	v_mul_f64 v[164:165], v[220:221], v[16:17]
	v_mul_f64 v[16:17], v[222:223], v[16:17]
	v_add_f64 v[48:49], v[48:49], v[157:158]
	v_add_f64 v[50:51], v[159:160], v[50:51]
	ds_load_b128 v[157:160], v1 offset:1152
	s_waitcnt vmcnt(9) lgkmcnt(1)
	v_mul_f64 v[228:229], v[2:3], v[20:21]
	v_mul_f64 v[20:21], v[4:5], v[20:21]
	v_fma_f64 v[164:165], v[222:223], v[14:15], v[164:165]
	v_fma_f64 v[220:221], v[220:221], v[14:15], -v[16:17]
	scratch_load_b128 v[14:17], off, off offset:416
	v_add_f64 v[48:49], v[48:49], v[226:227]
	v_add_f64 v[50:51], v[50:51], v[168:169]
	v_fma_f64 v[226:227], v[4:5], v[18:19], v[228:229]
	v_fma_f64 v[228:229], v[2:3], v[18:19], -v[20:21]
	scratch_load_b128 v[18:21], off, off offset:432
	ds_load_b128 v[2:5], v1 offset:1168
	s_waitcnt vmcnt(10) lgkmcnt(1)
	v_mul_f64 v[168:169], v[157:158], v[24:25]
	v_mul_f64 v[24:25], v[159:160], v[24:25]
	v_add_f64 v[48:49], v[48:49], v[220:221]
	v_add_f64 v[50:51], v[50:51], v[164:165]
	s_waitcnt vmcnt(9) lgkmcnt(0)
	v_mul_f64 v[164:165], v[2:3], v[28:29]
	v_mul_f64 v[28:29], v[4:5], v[28:29]
	ds_load_b128 v[220:223], v1 offset:1184
	v_fma_f64 v[159:160], v[159:160], v[22:23], v[168:169]
	v_fma_f64 v[157:158], v[157:158], v[22:23], -v[24:25]
	scratch_load_b128 v[22:25], off, off offset:448
	v_add_f64 v[48:49], v[48:49], v[228:229]
	v_add_f64 v[50:51], v[50:51], v[226:227]
	v_fma_f64 v[164:165], v[4:5], v[26:27], v[164:165]
	v_fma_f64 v[226:227], v[2:3], v[26:27], -v[28:29]
	scratch_load_b128 v[26:29], off, off offset:464
	ds_load_b128 v[2:5], v1 offset:1200
	s_waitcnt vmcnt(10) lgkmcnt(1)
	v_mul_f64 v[168:169], v[220:221], v[32:33]
	v_mul_f64 v[32:33], v[222:223], v[32:33]
	s_waitcnt vmcnt(9) lgkmcnt(0)
	v_mul_f64 v[228:229], v[2:3], v[36:37]
	v_mul_f64 v[36:37], v[4:5], v[36:37]
	v_add_f64 v[48:49], v[48:49], v[157:158]
	v_add_f64 v[50:51], v[50:51], v[159:160]
	ds_load_b128 v[157:160], v1 offset:1216
	v_fma_f64 v[168:169], v[222:223], v[30:31], v[168:169]
	v_fma_f64 v[220:221], v[220:221], v[30:31], -v[32:33]
	scratch_load_b128 v[30:33], off, off offset:480
	v_add_f64 v[48:49], v[48:49], v[226:227]
	v_add_f64 v[50:51], v[50:51], v[164:165]
	v_fma_f64 v[226:227], v[4:5], v[34:35], v[228:229]
	v_fma_f64 v[228:229], v[2:3], v[34:35], -v[36:37]
	scratch_load_b128 v[34:37], off, off offset:496
	ds_load_b128 v[2:5], v1 offset:1232
	s_waitcnt vmcnt(9) lgkmcnt(1)
	v_mul_f64 v[164:165], v[157:158], v[173:174]
	v_mul_f64 v[173:174], v[159:160], v[173:174]
	v_add_f64 v[48:49], v[48:49], v[220:221]
	v_add_f64 v[50:51], v[50:51], v[168:169]
	ds_load_b128 v[220:223], v1 offset:1248
	v_fma_f64 v[164:165], v[159:160], v[171:172], v[164:165]
	v_fma_f64 v[171:172], v[157:158], v[171:172], -v[173:174]
	scratch_load_b128 v[157:160], off, off offset:512
	s_waitcnt vmcnt(9) lgkmcnt(1)
	v_mul_f64 v[168:169], v[2:3], v[40:41]
	v_mul_f64 v[40:41], v[4:5], v[40:41]
	v_add_f64 v[48:49], v[48:49], v[228:229]
	v_add_f64 v[50:51], v[50:51], v[226:227]
	s_delay_alu instid0(VALU_DEP_4) | instskip(NEXT) | instid1(VALU_DEP_4)
	v_fma_f64 v[168:169], v[4:5], v[38:39], v[168:169]
	v_fma_f64 v[228:229], v[2:3], v[38:39], -v[40:41]
	scratch_load_b128 v[38:41], off, off offset:528
	ds_load_b128 v[2:5], v1 offset:1264
	s_waitcnt vmcnt(9) lgkmcnt(1)
	v_mul_f64 v[226:227], v[220:221], v[8:9]
	v_mul_f64 v[8:9], v[222:223], v[8:9]
	v_add_f64 v[48:49], v[48:49], v[171:172]
	v_add_f64 v[50:51], v[50:51], v[164:165]
	s_waitcnt vmcnt(8) lgkmcnt(0)
	v_mul_f64 v[164:165], v[2:3], v[12:13]
	v_mul_f64 v[12:13], v[4:5], v[12:13]
	ds_load_b128 v[171:174], v1 offset:1280
	v_fma_f64 v[222:223], v[222:223], v[6:7], v[226:227]
	v_fma_f64 v[220:221], v[220:221], v[6:7], -v[8:9]
	scratch_load_b128 v[6:9], off, off offset:544
	v_add_f64 v[48:49], v[48:49], v[228:229]
	v_add_f64 v[50:51], v[50:51], v[168:169]
	v_fma_f64 v[164:165], v[4:5], v[10:11], v[164:165]
	v_fma_f64 v[226:227], v[2:3], v[10:11], -v[12:13]
	scratch_load_b128 v[10:13], off, off offset:560
	ds_load_b128 v[2:5], v1 offset:1296
	s_waitcnt vmcnt(9) lgkmcnt(1)
	v_mul_f64 v[168:169], v[171:172], v[16:17]
	v_mul_f64 v[16:17], v[173:174], v[16:17]
	s_waitcnt vmcnt(8) lgkmcnt(0)
	v_mul_f64 v[228:229], v[2:3], v[20:21]
	v_mul_f64 v[20:21], v[4:5], v[20:21]
	v_add_f64 v[48:49], v[48:49], v[220:221]
	v_add_f64 v[50:51], v[50:51], v[222:223]
	ds_load_b128 v[220:223], v1 offset:1312
	v_fma_f64 v[168:169], v[173:174], v[14:15], v[168:169]
	v_fma_f64 v[171:172], v[171:172], v[14:15], -v[16:17]
	scratch_load_b128 v[14:17], off, off offset:576
	v_add_f64 v[48:49], v[48:49], v[226:227]
	v_add_f64 v[50:51], v[50:51], v[164:165]
	v_fma_f64 v[226:227], v[4:5], v[18:19], v[228:229]
	v_fma_f64 v[228:229], v[2:3], v[18:19], -v[20:21]
	scratch_load_b128 v[18:21], off, off offset:592
	ds_load_b128 v[2:5], v1 offset:1328
	s_waitcnt vmcnt(9) lgkmcnt(1)
	v_mul_f64 v[164:165], v[220:221], v[24:25]
	v_mul_f64 v[24:25], v[222:223], v[24:25]
	v_add_f64 v[48:49], v[48:49], v[171:172]
	v_add_f64 v[50:51], v[50:51], v[168:169]
	s_waitcnt vmcnt(8) lgkmcnt(0)
	v_mul_f64 v[168:169], v[2:3], v[28:29]
	v_mul_f64 v[28:29], v[4:5], v[28:29]
	ds_load_b128 v[171:174], v1 offset:1344
	v_fma_f64 v[164:165], v[222:223], v[22:23], v[164:165]
	v_fma_f64 v[220:221], v[220:221], v[22:23], -v[24:25]
	scratch_load_b128 v[22:25], off, off offset:608
	v_add_f64 v[48:49], v[48:49], v[228:229]
	v_add_f64 v[50:51], v[50:51], v[226:227]
	v_fma_f64 v[168:169], v[4:5], v[26:27], v[168:169]
	v_fma_f64 v[228:229], v[2:3], v[26:27], -v[28:29]
	scratch_load_b128 v[26:29], off, off offset:624
	ds_load_b128 v[2:5], v1 offset:1360
	s_waitcnt vmcnt(9) lgkmcnt(1)
	v_mul_f64 v[226:227], v[171:172], v[32:33]
	v_mul_f64 v[32:33], v[173:174], v[32:33]
	v_add_f64 v[48:49], v[48:49], v[220:221]
	v_add_f64 v[50:51], v[50:51], v[164:165]
	s_waitcnt vmcnt(8) lgkmcnt(0)
	v_mul_f64 v[164:165], v[2:3], v[36:37]
	v_mul_f64 v[36:37], v[4:5], v[36:37]
	ds_load_b128 v[220:223], v1 offset:1376
	v_fma_f64 v[173:174], v[173:174], v[30:31], v[226:227]
	v_fma_f64 v[171:172], v[171:172], v[30:31], -v[32:33]
	scratch_load_b128 v[30:33], off, off offset:640
	v_add_f64 v[48:49], v[48:49], v[228:229]
	v_add_f64 v[50:51], v[50:51], v[168:169]
	v_fma_f64 v[164:165], v[4:5], v[34:35], v[164:165]
	v_fma_f64 v[226:227], v[2:3], v[34:35], -v[36:37]
	scratch_load_b128 v[34:37], off, off offset:656
	ds_load_b128 v[2:5], v1 offset:1392
	s_waitcnt vmcnt(9) lgkmcnt(1)
	v_mul_f64 v[168:169], v[220:221], v[159:160]
	v_mul_f64 v[159:160], v[222:223], v[159:160]
	s_waitcnt vmcnt(8) lgkmcnt(0)
	v_mul_f64 v[228:229], v[2:3], v[40:41]
	v_mul_f64 v[40:41], v[4:5], v[40:41]
	v_add_f64 v[48:49], v[48:49], v[171:172]
	v_add_f64 v[50:51], v[50:51], v[173:174]
	ds_load_b128 v[171:174], v1 offset:1408
	v_fma_f64 v[168:169], v[222:223], v[157:158], v[168:169]
	v_fma_f64 v[220:221], v[220:221], v[157:158], -v[159:160]
	scratch_load_b128 v[157:160], off, off offset:672
	v_add_f64 v[48:49], v[48:49], v[226:227]
	v_add_f64 v[50:51], v[50:51], v[164:165]
	v_fma_f64 v[226:227], v[4:5], v[38:39], v[228:229]
	v_fma_f64 v[228:229], v[2:3], v[38:39], -v[40:41]
	scratch_load_b128 v[38:41], off, off offset:688
	ds_load_b128 v[2:5], v1 offset:1424
	s_waitcnt vmcnt(9) lgkmcnt(1)
	v_mul_f64 v[164:165], v[171:172], v[8:9]
	v_mul_f64 v[8:9], v[173:174], v[8:9]
	v_add_f64 v[48:49], v[48:49], v[220:221]
	v_add_f64 v[50:51], v[50:51], v[168:169]
	s_waitcnt vmcnt(8) lgkmcnt(0)
	v_mul_f64 v[168:169], v[2:3], v[12:13]
	v_mul_f64 v[12:13], v[4:5], v[12:13]
	ds_load_b128 v[220:223], v1 offset:1440
	v_fma_f64 v[164:165], v[173:174], v[6:7], v[164:165]
	v_fma_f64 v[171:172], v[171:172], v[6:7], -v[8:9]
	scratch_load_b128 v[6:9], off, off offset:704
	v_add_f64 v[48:49], v[48:49], v[228:229]
	v_add_f64 v[50:51], v[50:51], v[226:227]
	;; [unrolled: 54-line block ×3, first 2 shown]
	v_fma_f64 v[168:169], v[4:5], v[34:35], v[168:169]
	v_fma_f64 v[228:229], v[2:3], v[34:35], -v[36:37]
	scratch_load_b128 v[34:37], off, off offset:816
	ds_load_b128 v[2:5], v1 offset:1552
	s_waitcnt vmcnt(9) lgkmcnt(1)
	v_mul_f64 v[226:227], v[171:172], v[159:160]
	v_mul_f64 v[159:160], v[173:174], v[159:160]
	v_add_f64 v[48:49], v[48:49], v[220:221]
	v_add_f64 v[50:51], v[50:51], v[164:165]
	s_waitcnt vmcnt(8) lgkmcnt(0)
	v_mul_f64 v[164:165], v[2:3], v[40:41]
	v_mul_f64 v[40:41], v[4:5], v[40:41]
	ds_load_b128 v[220:223], v1 offset:1568
	v_fma_f64 v[173:174], v[173:174], v[157:158], v[226:227]
	v_fma_f64 v[171:172], v[171:172], v[157:158], -v[159:160]
	scratch_load_b128 v[157:160], off, off offset:832
	v_add_f64 v[48:49], v[48:49], v[228:229]
	v_add_f64 v[50:51], v[50:51], v[168:169]
	v_fma_f64 v[164:165], v[4:5], v[38:39], v[164:165]
	v_fma_f64 v[226:227], v[2:3], v[38:39], -v[40:41]
	scratch_load_b128 v[38:41], off, off offset:848
	ds_load_b128 v[2:5], v1 offset:1584
	s_waitcnt vmcnt(9) lgkmcnt(1)
	v_mul_f64 v[168:169], v[220:221], v[8:9]
	v_mul_f64 v[8:9], v[222:223], v[8:9]
	s_waitcnt vmcnt(8) lgkmcnt(0)
	v_mul_f64 v[228:229], v[2:3], v[12:13]
	v_mul_f64 v[12:13], v[4:5], v[12:13]
	v_add_f64 v[48:49], v[48:49], v[171:172]
	v_add_f64 v[50:51], v[50:51], v[173:174]
	ds_load_b128 v[171:174], v1 offset:1600
	v_fma_f64 v[168:169], v[222:223], v[6:7], v[168:169]
	v_fma_f64 v[6:7], v[220:221], v[6:7], -v[8:9]
	v_add_f64 v[8:9], v[48:49], v[226:227]
	v_add_f64 v[48:49], v[50:51], v[164:165]
	s_waitcnt vmcnt(7) lgkmcnt(0)
	v_mul_f64 v[50:51], v[171:172], v[16:17]
	v_mul_f64 v[16:17], v[173:174], v[16:17]
	v_fma_f64 v[164:165], v[4:5], v[10:11], v[228:229]
	v_fma_f64 v[10:11], v[2:3], v[10:11], -v[12:13]
	v_add_f64 v[12:13], v[8:9], v[6:7]
	v_add_f64 v[48:49], v[48:49], v[168:169]
	ds_load_b128 v[2:5], v1 offset:1616
	ds_load_b128 v[6:9], v1 offset:1632
	v_fma_f64 v[50:51], v[173:174], v[14:15], v[50:51]
	v_fma_f64 v[14:15], v[171:172], v[14:15], -v[16:17]
	s_waitcnt vmcnt(6) lgkmcnt(1)
	v_mul_f64 v[168:169], v[2:3], v[20:21]
	v_mul_f64 v[20:21], v[4:5], v[20:21]
	s_waitcnt vmcnt(5) lgkmcnt(0)
	v_mul_f64 v[16:17], v[6:7], v[24:25]
	v_mul_f64 v[24:25], v[8:9], v[24:25]
	v_add_f64 v[10:11], v[12:13], v[10:11]
	v_add_f64 v[12:13], v[48:49], v[164:165]
	v_fma_f64 v[48:49], v[4:5], v[18:19], v[168:169]
	v_fma_f64 v[18:19], v[2:3], v[18:19], -v[20:21]
	v_fma_f64 v[8:9], v[8:9], v[22:23], v[16:17]
	v_fma_f64 v[6:7], v[6:7], v[22:23], -v[24:25]
	v_add_f64 v[14:15], v[10:11], v[14:15]
	v_add_f64 v[20:21], v[12:13], v[50:51]
	ds_load_b128 v[2:5], v1 offset:1648
	ds_load_b128 v[10:13], v1 offset:1664
	s_waitcnt vmcnt(4) lgkmcnt(1)
	v_mul_f64 v[50:51], v[2:3], v[28:29]
	v_mul_f64 v[28:29], v[4:5], v[28:29]
	v_add_f64 v[14:15], v[14:15], v[18:19]
	v_add_f64 v[16:17], v[20:21], v[48:49]
	s_waitcnt vmcnt(3) lgkmcnt(0)
	v_mul_f64 v[18:19], v[10:11], v[32:33]
	v_mul_f64 v[20:21], v[12:13], v[32:33]
	v_fma_f64 v[22:23], v[4:5], v[26:27], v[50:51]
	v_fma_f64 v[24:25], v[2:3], v[26:27], -v[28:29]
	v_add_f64 v[14:15], v[14:15], v[6:7]
	v_add_f64 v[16:17], v[16:17], v[8:9]
	ds_load_b128 v[2:5], v1 offset:1680
	ds_load_b128 v[6:9], v1 offset:1696
	v_fma_f64 v[12:13], v[12:13], v[30:31], v[18:19]
	v_fma_f64 v[10:11], v[10:11], v[30:31], -v[20:21]
	s_waitcnt vmcnt(2) lgkmcnt(1)
	v_mul_f64 v[26:27], v[2:3], v[36:37]
	v_mul_f64 v[28:29], v[4:5], v[36:37]
	s_waitcnt vmcnt(1) lgkmcnt(0)
	v_mul_f64 v[18:19], v[6:7], v[159:160]
	v_mul_f64 v[20:21], v[8:9], v[159:160]
	v_add_f64 v[14:15], v[14:15], v[24:25]
	v_add_f64 v[16:17], v[16:17], v[22:23]
	v_fma_f64 v[22:23], v[4:5], v[34:35], v[26:27]
	v_fma_f64 v[24:25], v[2:3], v[34:35], -v[28:29]
	ds_load_b128 v[2:5], v1 offset:1712
	v_fma_f64 v[8:9], v[8:9], v[157:158], v[18:19]
	v_fma_f64 v[6:7], v[6:7], v[157:158], -v[20:21]
	v_add_f64 v[10:11], v[14:15], v[10:11]
	v_add_f64 v[12:13], v[16:17], v[12:13]
	s_waitcnt vmcnt(0) lgkmcnt(0)
	v_mul_f64 v[14:15], v[2:3], v[40:41]
	v_mul_f64 v[16:17], v[4:5], v[40:41]
	s_delay_alu instid0(VALU_DEP_4) | instskip(NEXT) | instid1(VALU_DEP_4)
	v_add_f64 v[10:11], v[10:11], v[24:25]
	v_add_f64 v[12:13], v[12:13], v[22:23]
	s_delay_alu instid0(VALU_DEP_4) | instskip(NEXT) | instid1(VALU_DEP_4)
	v_fma_f64 v[4:5], v[4:5], v[38:39], v[14:15]
	v_fma_f64 v[2:3], v[2:3], v[38:39], -v[16:17]
	s_delay_alu instid0(VALU_DEP_4) | instskip(NEXT) | instid1(VALU_DEP_4)
	v_add_f64 v[6:7], v[10:11], v[6:7]
	v_add_f64 v[8:9], v[12:13], v[8:9]
	s_delay_alu instid0(VALU_DEP_2) | instskip(NEXT) | instid1(VALU_DEP_2)
	v_add_f64 v[2:3], v[6:7], v[2:3]
	v_add_f64 v[4:5], v[8:9], v[4:5]
	s_delay_alu instid0(VALU_DEP_2) | instskip(NEXT) | instid1(VALU_DEP_2)
	v_add_f64 v[2:3], v[42:43], -v[2:3]
	v_add_f64 v[4:5], v[44:45], -v[4:5]
	scratch_store_b128 off, v[2:5], off offset:192
	v_cmpx_lt_u32_e32 11, v154
	s_cbranch_execz .LBB117_315
; %bb.314:
	scratch_load_b128 v[5:8], v197, off
	v_mov_b32_e32 v2, v1
	v_mov_b32_e32 v3, v1
	;; [unrolled: 1-line block ×3, first 2 shown]
	scratch_store_b128 off, v[1:4], off offset:176
	s_waitcnt vmcnt(0)
	ds_store_b128 v208, v[5:8]
.LBB117_315:
	s_or_b32 exec_lo, exec_lo, s2
	s_waitcnt lgkmcnt(0)
	s_waitcnt_vscnt null, 0x0
	s_barrier
	buffer_gl0_inv
	s_clause 0x8
	scratch_load_b128 v[2:5], off, off offset:192
	scratch_load_b128 v[6:9], off, off offset:208
	;; [unrolled: 1-line block ×9, first 2 shown]
	ds_load_b128 v[42:45], v1 offset:1056
	ds_load_b128 v[38:41], v1 offset:1072
	s_clause 0x1
	scratch_load_b128 v[157:160], off, off offset:176
	scratch_load_b128 v[171:174], off, off offset:336
	s_mov_b32 s2, exec_lo
	ds_load_b128 v[220:223], v1 offset:1104
	s_waitcnt vmcnt(10) lgkmcnt(2)
	v_mul_f64 v[48:49], v[44:45], v[4:5]
	v_mul_f64 v[4:5], v[42:43], v[4:5]
	s_waitcnt vmcnt(9) lgkmcnt(1)
	v_mul_f64 v[50:51], v[38:39], v[8:9]
	v_mul_f64 v[8:9], v[40:41], v[8:9]
	s_delay_alu instid0(VALU_DEP_4) | instskip(NEXT) | instid1(VALU_DEP_4)
	v_fma_f64 v[48:49], v[42:43], v[2:3], -v[48:49]
	v_fma_f64 v[164:165], v[44:45], v[2:3], v[4:5]
	ds_load_b128 v[2:5], v1 offset:1088
	scratch_load_b128 v[42:45], off, off offset:352
	v_fma_f64 v[40:41], v[40:41], v[6:7], v[50:51]
	v_fma_f64 v[38:39], v[38:39], v[6:7], -v[8:9]
	scratch_load_b128 v[6:9], off, off offset:368
	s_waitcnt vmcnt(10) lgkmcnt(0)
	v_mul_f64 v[168:169], v[2:3], v[12:13]
	v_mul_f64 v[12:13], v[4:5], v[12:13]
	v_add_f64 v[48:49], v[48:49], 0
	v_add_f64 v[50:51], v[164:165], 0
	s_waitcnt vmcnt(9)
	v_mul_f64 v[164:165], v[220:221], v[16:17]
	v_mul_f64 v[16:17], v[222:223], v[16:17]
	v_fma_f64 v[168:169], v[4:5], v[10:11], v[168:169]
	v_fma_f64 v[226:227], v[2:3], v[10:11], -v[12:13]
	ds_load_b128 v[2:5], v1 offset:1120
	scratch_load_b128 v[10:13], off, off offset:384
	v_add_f64 v[48:49], v[48:49], v[38:39]
	v_add_f64 v[50:51], v[50:51], v[40:41]
	ds_load_b128 v[38:41], v1 offset:1136
	v_fma_f64 v[164:165], v[222:223], v[14:15], v[164:165]
	v_fma_f64 v[220:221], v[220:221], v[14:15], -v[16:17]
	scratch_load_b128 v[14:17], off, off offset:400
	s_waitcnt vmcnt(10) lgkmcnt(1)
	v_mul_f64 v[228:229], v[2:3], v[20:21]
	v_mul_f64 v[20:21], v[4:5], v[20:21]
	v_add_f64 v[48:49], v[48:49], v[226:227]
	v_add_f64 v[50:51], v[50:51], v[168:169]
	s_waitcnt vmcnt(9) lgkmcnt(0)
	v_mul_f64 v[168:169], v[38:39], v[24:25]
	v_mul_f64 v[24:25], v[40:41], v[24:25]
	v_fma_f64 v[226:227], v[4:5], v[18:19], v[228:229]
	v_fma_f64 v[228:229], v[2:3], v[18:19], -v[20:21]
	ds_load_b128 v[2:5], v1 offset:1152
	scratch_load_b128 v[18:21], off, off offset:416
	v_add_f64 v[48:49], v[48:49], v[220:221]
	v_add_f64 v[50:51], v[50:51], v[164:165]
	ds_load_b128 v[220:223], v1 offset:1168
	s_waitcnt vmcnt(9) lgkmcnt(1)
	v_mul_f64 v[164:165], v[2:3], v[28:29]
	v_mul_f64 v[28:29], v[4:5], v[28:29]
	v_fma_f64 v[40:41], v[40:41], v[22:23], v[168:169]
	v_fma_f64 v[38:39], v[38:39], v[22:23], -v[24:25]
	scratch_load_b128 v[22:25], off, off offset:432
	s_waitcnt vmcnt(9) lgkmcnt(0)
	v_mul_f64 v[168:169], v[220:221], v[32:33]
	v_mul_f64 v[32:33], v[222:223], v[32:33]
	v_add_f64 v[48:49], v[48:49], v[228:229]
	v_add_f64 v[50:51], v[50:51], v[226:227]
	v_fma_f64 v[164:165], v[4:5], v[26:27], v[164:165]
	v_fma_f64 v[226:227], v[2:3], v[26:27], -v[28:29]
	ds_load_b128 v[2:5], v1 offset:1184
	scratch_load_b128 v[26:29], off, off offset:448
	v_fma_f64 v[168:169], v[222:223], v[30:31], v[168:169]
	v_fma_f64 v[220:221], v[220:221], v[30:31], -v[32:33]
	scratch_load_b128 v[30:33], off, off offset:464
	v_add_f64 v[48:49], v[48:49], v[38:39]
	v_add_f64 v[50:51], v[50:51], v[40:41]
	ds_load_b128 v[38:41], v1 offset:1200
	s_waitcnt vmcnt(10) lgkmcnt(1)
	v_mul_f64 v[228:229], v[2:3], v[36:37]
	v_mul_f64 v[36:37], v[4:5], v[36:37]
	v_add_f64 v[48:49], v[48:49], v[226:227]
	v_add_f64 v[50:51], v[50:51], v[164:165]
	s_waitcnt vmcnt(8) lgkmcnt(0)
	v_mul_f64 v[164:165], v[38:39], v[173:174]
	v_mul_f64 v[173:174], v[40:41], v[173:174]
	v_fma_f64 v[226:227], v[4:5], v[34:35], v[228:229]
	v_fma_f64 v[228:229], v[2:3], v[34:35], -v[36:37]
	ds_load_b128 v[2:5], v1 offset:1216
	scratch_load_b128 v[34:37], off, off offset:480
	v_add_f64 v[48:49], v[48:49], v[220:221]
	v_add_f64 v[50:51], v[50:51], v[168:169]
	ds_load_b128 v[220:223], v1 offset:1232
	v_fma_f64 v[164:165], v[40:41], v[171:172], v[164:165]
	v_fma_f64 v[171:172], v[38:39], v[171:172], -v[173:174]
	scratch_load_b128 v[38:41], off, off offset:496
	s_waitcnt vmcnt(9) lgkmcnt(1)
	v_mul_f64 v[168:169], v[2:3], v[44:45]
	v_mul_f64 v[44:45], v[4:5], v[44:45]
	v_add_f64 v[48:49], v[48:49], v[228:229]
	v_add_f64 v[50:51], v[50:51], v[226:227]
	s_waitcnt vmcnt(8) lgkmcnt(0)
	v_mul_f64 v[226:227], v[220:221], v[8:9]
	v_mul_f64 v[8:9], v[222:223], v[8:9]
	v_fma_f64 v[168:169], v[4:5], v[42:43], v[168:169]
	v_fma_f64 v[228:229], v[2:3], v[42:43], -v[44:45]
	ds_load_b128 v[2:5], v1 offset:1248
	scratch_load_b128 v[42:45], off, off offset:512
	v_add_f64 v[48:49], v[48:49], v[171:172]
	v_add_f64 v[50:51], v[50:51], v[164:165]
	ds_load_b128 v[171:174], v1 offset:1264
	s_waitcnt vmcnt(8) lgkmcnt(1)
	v_mul_f64 v[164:165], v[2:3], v[12:13]
	v_mul_f64 v[12:13], v[4:5], v[12:13]
	v_fma_f64 v[222:223], v[222:223], v[6:7], v[226:227]
	v_fma_f64 v[220:221], v[220:221], v[6:7], -v[8:9]
	scratch_load_b128 v[6:9], off, off offset:528
	v_add_f64 v[48:49], v[48:49], v[228:229]
	v_add_f64 v[50:51], v[50:51], v[168:169]
	s_waitcnt vmcnt(8) lgkmcnt(0)
	v_mul_f64 v[168:169], v[171:172], v[16:17]
	v_mul_f64 v[16:17], v[173:174], v[16:17]
	v_fma_f64 v[164:165], v[4:5], v[10:11], v[164:165]
	v_fma_f64 v[226:227], v[2:3], v[10:11], -v[12:13]
	ds_load_b128 v[2:5], v1 offset:1280
	scratch_load_b128 v[10:13], off, off offset:544
	v_add_f64 v[48:49], v[48:49], v[220:221]
	v_add_f64 v[50:51], v[50:51], v[222:223]
	ds_load_b128 v[220:223], v1 offset:1296
	s_waitcnt vmcnt(8) lgkmcnt(1)
	v_mul_f64 v[228:229], v[2:3], v[20:21]
	v_mul_f64 v[20:21], v[4:5], v[20:21]
	v_fma_f64 v[168:169], v[173:174], v[14:15], v[168:169]
	v_fma_f64 v[171:172], v[171:172], v[14:15], -v[16:17]
	scratch_load_b128 v[14:17], off, off offset:560
	;; [unrolled: 18-line block ×11, first 2 shown]
	v_add_f64 v[48:49], v[48:49], v[226:227]
	v_add_f64 v[50:51], v[50:51], v[164:165]
	s_waitcnt vmcnt(8) lgkmcnt(0)
	v_mul_f64 v[164:165], v[171:172], v[16:17]
	v_mul_f64 v[16:17], v[173:174], v[16:17]
	v_fma_f64 v[222:223], v[4:5], v[10:11], v[228:229]
	v_fma_f64 v[226:227], v[2:3], v[10:11], -v[12:13]
	ds_load_b128 v[2:5], v1 offset:1600
	ds_load_b128 v[10:13], v1 offset:1616
	v_add_f64 v[48:49], v[48:49], v[220:221]
	v_add_f64 v[50:51], v[50:51], v[168:169]
	s_waitcnt vmcnt(7) lgkmcnt(1)
	v_mul_f64 v[168:169], v[2:3], v[20:21]
	v_mul_f64 v[20:21], v[4:5], v[20:21]
	v_fma_f64 v[164:165], v[173:174], v[14:15], v[164:165]
	v_fma_f64 v[14:15], v[171:172], v[14:15], -v[16:17]
	v_add_f64 v[16:17], v[48:49], v[226:227]
	v_add_f64 v[48:49], v[50:51], v[222:223]
	s_waitcnt vmcnt(6) lgkmcnt(0)
	v_mul_f64 v[50:51], v[10:11], v[24:25]
	v_mul_f64 v[24:25], v[12:13], v[24:25]
	v_fma_f64 v[168:169], v[4:5], v[18:19], v[168:169]
	v_fma_f64 v[18:19], v[2:3], v[18:19], -v[20:21]
	v_add_f64 v[20:21], v[16:17], v[14:15]
	v_add_f64 v[48:49], v[48:49], v[164:165]
	ds_load_b128 v[2:5], v1 offset:1632
	ds_load_b128 v[14:17], v1 offset:1648
	v_fma_f64 v[12:13], v[12:13], v[22:23], v[50:51]
	v_fma_f64 v[10:11], v[10:11], v[22:23], -v[24:25]
	s_waitcnt vmcnt(5) lgkmcnt(1)
	v_mul_f64 v[164:165], v[2:3], v[28:29]
	v_mul_f64 v[28:29], v[4:5], v[28:29]
	s_waitcnt vmcnt(4) lgkmcnt(0)
	v_mul_f64 v[22:23], v[14:15], v[32:33]
	v_mul_f64 v[24:25], v[16:17], v[32:33]
	v_add_f64 v[18:19], v[20:21], v[18:19]
	v_add_f64 v[20:21], v[48:49], v[168:169]
	v_fma_f64 v[32:33], v[4:5], v[26:27], v[164:165]
	v_fma_f64 v[26:27], v[2:3], v[26:27], -v[28:29]
	v_fma_f64 v[16:17], v[16:17], v[30:31], v[22:23]
	v_fma_f64 v[14:15], v[14:15], v[30:31], -v[24:25]
	v_add_f64 v[18:19], v[18:19], v[10:11]
	v_add_f64 v[20:21], v[20:21], v[12:13]
	ds_load_b128 v[2:5], v1 offset:1664
	ds_load_b128 v[10:13], v1 offset:1680
	s_waitcnt vmcnt(3) lgkmcnt(1)
	v_mul_f64 v[28:29], v[2:3], v[36:37]
	v_mul_f64 v[36:37], v[4:5], v[36:37]
	s_waitcnt vmcnt(2) lgkmcnt(0)
	v_mul_f64 v[22:23], v[10:11], v[40:41]
	v_mul_f64 v[24:25], v[12:13], v[40:41]
	v_add_f64 v[18:19], v[18:19], v[26:27]
	v_add_f64 v[20:21], v[20:21], v[32:33]
	v_fma_f64 v[26:27], v[4:5], v[34:35], v[28:29]
	v_fma_f64 v[28:29], v[2:3], v[34:35], -v[36:37]
	v_fma_f64 v[12:13], v[12:13], v[38:39], v[22:23]
	v_fma_f64 v[10:11], v[10:11], v[38:39], -v[24:25]
	v_add_f64 v[18:19], v[18:19], v[14:15]
	v_add_f64 v[20:21], v[20:21], v[16:17]
	ds_load_b128 v[2:5], v1 offset:1696
	ds_load_b128 v[14:17], v1 offset:1712
	s_waitcnt vmcnt(1) lgkmcnt(1)
	v_mul_f64 v[30:31], v[2:3], v[44:45]
	v_mul_f64 v[32:33], v[4:5], v[44:45]
	s_waitcnt vmcnt(0) lgkmcnt(0)
	v_mul_f64 v[22:23], v[14:15], v[8:9]
	v_mul_f64 v[8:9], v[16:17], v[8:9]
	v_add_f64 v[18:19], v[18:19], v[28:29]
	v_add_f64 v[20:21], v[20:21], v[26:27]
	v_fma_f64 v[4:5], v[4:5], v[42:43], v[30:31]
	v_fma_f64 v[1:2], v[2:3], v[42:43], -v[32:33]
	v_fma_f64 v[16:17], v[16:17], v[6:7], v[22:23]
	v_fma_f64 v[6:7], v[14:15], v[6:7], -v[8:9]
	v_add_f64 v[10:11], v[18:19], v[10:11]
	v_add_f64 v[12:13], v[20:21], v[12:13]
	s_delay_alu instid0(VALU_DEP_2) | instskip(NEXT) | instid1(VALU_DEP_2)
	v_add_f64 v[1:2], v[10:11], v[1:2]
	v_add_f64 v[3:4], v[12:13], v[4:5]
	s_delay_alu instid0(VALU_DEP_2) | instskip(NEXT) | instid1(VALU_DEP_2)
	;; [unrolled: 3-line block ×3, first 2 shown]
	v_add_f64 v[1:2], v[157:158], -v[1:2]
	v_add_f64 v[3:4], v[159:160], -v[3:4]
	scratch_store_b128 off, v[1:4], off offset:176
	v_cmpx_lt_u32_e32 10, v154
	s_cbranch_execz .LBB117_317
; %bb.316:
	scratch_load_b128 v[1:4], v198, off
	v_mov_b32_e32 v5, 0
	s_delay_alu instid0(VALU_DEP_1)
	v_mov_b32_e32 v6, v5
	v_mov_b32_e32 v7, v5
	;; [unrolled: 1-line block ×3, first 2 shown]
	scratch_store_b128 off, v[5:8], off offset:160
	s_waitcnt vmcnt(0)
	ds_store_b128 v208, v[1:4]
.LBB117_317:
	s_or_b32 exec_lo, exec_lo, s2
	s_waitcnt lgkmcnt(0)
	s_waitcnt_vscnt null, 0x0
	s_barrier
	buffer_gl0_inv
	s_clause 0x7
	scratch_load_b128 v[2:5], off, off offset:176
	scratch_load_b128 v[6:9], off, off offset:192
	;; [unrolled: 1-line block ×8, first 2 shown]
	v_mov_b32_e32 v1, 0
	s_mov_b32 s2, exec_lo
	ds_load_b128 v[38:41], v1 offset:1040
	s_clause 0x1
	scratch_load_b128 v[34:37], off, off offset:304
	scratch_load_b128 v[42:45], off, off offset:160
	ds_load_b128 v[157:160], v1 offset:1056
	scratch_load_b128 v[171:174], off, off offset:320
	ds_load_b128 v[220:223], v1 offset:1088
	s_waitcnt vmcnt(10) lgkmcnt(2)
	v_mul_f64 v[48:49], v[40:41], v[4:5]
	v_mul_f64 v[4:5], v[38:39], v[4:5]
	s_delay_alu instid0(VALU_DEP_2) | instskip(NEXT) | instid1(VALU_DEP_2)
	v_fma_f64 v[48:49], v[38:39], v[2:3], -v[48:49]
	v_fma_f64 v[164:165], v[40:41], v[2:3], v[4:5]
	ds_load_b128 v[2:5], v1 offset:1072
	s_waitcnt vmcnt(9) lgkmcnt(2)
	v_mul_f64 v[50:51], v[157:158], v[8:9]
	v_mul_f64 v[8:9], v[159:160], v[8:9]
	scratch_load_b128 v[38:41], off, off offset:336
	s_waitcnt vmcnt(9) lgkmcnt(0)
	v_mul_f64 v[168:169], v[2:3], v[12:13]
	v_mul_f64 v[12:13], v[4:5], v[12:13]
	v_add_f64 v[48:49], v[48:49], 0
	v_fma_f64 v[50:51], v[159:160], v[6:7], v[50:51]
	v_fma_f64 v[157:158], v[157:158], v[6:7], -v[8:9]
	v_add_f64 v[159:160], v[164:165], 0
	scratch_load_b128 v[6:9], off, off offset:352
	v_fma_f64 v[168:169], v[4:5], v[10:11], v[168:169]
	v_fma_f64 v[226:227], v[2:3], v[10:11], -v[12:13]
	scratch_load_b128 v[10:13], off, off offset:368
	ds_load_b128 v[2:5], v1 offset:1104
	s_waitcnt vmcnt(10)
	v_mul_f64 v[164:165], v[220:221], v[16:17]
	v_mul_f64 v[16:17], v[222:223], v[16:17]
	v_add_f64 v[48:49], v[48:49], v[157:158]
	v_add_f64 v[50:51], v[159:160], v[50:51]
	ds_load_b128 v[157:160], v1 offset:1120
	s_waitcnt vmcnt(9) lgkmcnt(1)
	v_mul_f64 v[228:229], v[2:3], v[20:21]
	v_mul_f64 v[20:21], v[4:5], v[20:21]
	v_fma_f64 v[164:165], v[222:223], v[14:15], v[164:165]
	v_fma_f64 v[220:221], v[220:221], v[14:15], -v[16:17]
	scratch_load_b128 v[14:17], off, off offset:384
	v_add_f64 v[48:49], v[48:49], v[226:227]
	v_add_f64 v[50:51], v[50:51], v[168:169]
	v_fma_f64 v[226:227], v[4:5], v[18:19], v[228:229]
	v_fma_f64 v[228:229], v[2:3], v[18:19], -v[20:21]
	scratch_load_b128 v[18:21], off, off offset:400
	ds_load_b128 v[2:5], v1 offset:1136
	s_waitcnt vmcnt(10) lgkmcnt(1)
	v_mul_f64 v[168:169], v[157:158], v[24:25]
	v_mul_f64 v[24:25], v[159:160], v[24:25]
	v_add_f64 v[48:49], v[48:49], v[220:221]
	v_add_f64 v[50:51], v[50:51], v[164:165]
	s_waitcnt vmcnt(9) lgkmcnt(0)
	v_mul_f64 v[164:165], v[2:3], v[28:29]
	v_mul_f64 v[28:29], v[4:5], v[28:29]
	ds_load_b128 v[220:223], v1 offset:1152
	v_fma_f64 v[159:160], v[159:160], v[22:23], v[168:169]
	v_fma_f64 v[157:158], v[157:158], v[22:23], -v[24:25]
	scratch_load_b128 v[22:25], off, off offset:416
	v_add_f64 v[48:49], v[48:49], v[228:229]
	v_add_f64 v[50:51], v[50:51], v[226:227]
	v_fma_f64 v[164:165], v[4:5], v[26:27], v[164:165]
	v_fma_f64 v[226:227], v[2:3], v[26:27], -v[28:29]
	scratch_load_b128 v[26:29], off, off offset:432
	ds_load_b128 v[2:5], v1 offset:1168
	s_waitcnt vmcnt(10) lgkmcnt(1)
	v_mul_f64 v[168:169], v[220:221], v[32:33]
	v_mul_f64 v[32:33], v[222:223], v[32:33]
	s_waitcnt vmcnt(9) lgkmcnt(0)
	v_mul_f64 v[228:229], v[2:3], v[36:37]
	v_mul_f64 v[36:37], v[4:5], v[36:37]
	v_add_f64 v[48:49], v[48:49], v[157:158]
	v_add_f64 v[50:51], v[50:51], v[159:160]
	ds_load_b128 v[157:160], v1 offset:1184
	v_fma_f64 v[168:169], v[222:223], v[30:31], v[168:169]
	v_fma_f64 v[220:221], v[220:221], v[30:31], -v[32:33]
	scratch_load_b128 v[30:33], off, off offset:448
	v_add_f64 v[48:49], v[48:49], v[226:227]
	v_add_f64 v[50:51], v[50:51], v[164:165]
	v_fma_f64 v[226:227], v[4:5], v[34:35], v[228:229]
	v_fma_f64 v[228:229], v[2:3], v[34:35], -v[36:37]
	scratch_load_b128 v[34:37], off, off offset:464
	ds_load_b128 v[2:5], v1 offset:1200
	s_waitcnt vmcnt(9) lgkmcnt(1)
	v_mul_f64 v[164:165], v[157:158], v[173:174]
	v_mul_f64 v[173:174], v[159:160], v[173:174]
	v_add_f64 v[48:49], v[48:49], v[220:221]
	v_add_f64 v[50:51], v[50:51], v[168:169]
	ds_load_b128 v[220:223], v1 offset:1216
	v_fma_f64 v[164:165], v[159:160], v[171:172], v[164:165]
	v_fma_f64 v[171:172], v[157:158], v[171:172], -v[173:174]
	scratch_load_b128 v[157:160], off, off offset:480
	s_waitcnt vmcnt(9) lgkmcnt(1)
	v_mul_f64 v[168:169], v[2:3], v[40:41]
	v_mul_f64 v[40:41], v[4:5], v[40:41]
	v_add_f64 v[48:49], v[48:49], v[228:229]
	v_add_f64 v[50:51], v[50:51], v[226:227]
	s_delay_alu instid0(VALU_DEP_4) | instskip(NEXT) | instid1(VALU_DEP_4)
	v_fma_f64 v[168:169], v[4:5], v[38:39], v[168:169]
	v_fma_f64 v[228:229], v[2:3], v[38:39], -v[40:41]
	scratch_load_b128 v[38:41], off, off offset:496
	ds_load_b128 v[2:5], v1 offset:1232
	s_waitcnt vmcnt(9) lgkmcnt(1)
	v_mul_f64 v[226:227], v[220:221], v[8:9]
	v_mul_f64 v[8:9], v[222:223], v[8:9]
	v_add_f64 v[48:49], v[48:49], v[171:172]
	v_add_f64 v[50:51], v[50:51], v[164:165]
	s_waitcnt vmcnt(8) lgkmcnt(0)
	v_mul_f64 v[164:165], v[2:3], v[12:13]
	v_mul_f64 v[12:13], v[4:5], v[12:13]
	ds_load_b128 v[171:174], v1 offset:1248
	v_fma_f64 v[222:223], v[222:223], v[6:7], v[226:227]
	v_fma_f64 v[220:221], v[220:221], v[6:7], -v[8:9]
	scratch_load_b128 v[6:9], off, off offset:512
	v_add_f64 v[48:49], v[48:49], v[228:229]
	v_add_f64 v[50:51], v[50:51], v[168:169]
	v_fma_f64 v[164:165], v[4:5], v[10:11], v[164:165]
	v_fma_f64 v[226:227], v[2:3], v[10:11], -v[12:13]
	scratch_load_b128 v[10:13], off, off offset:528
	ds_load_b128 v[2:5], v1 offset:1264
	s_waitcnt vmcnt(9) lgkmcnt(1)
	v_mul_f64 v[168:169], v[171:172], v[16:17]
	v_mul_f64 v[16:17], v[173:174], v[16:17]
	s_waitcnt vmcnt(8) lgkmcnt(0)
	v_mul_f64 v[228:229], v[2:3], v[20:21]
	v_mul_f64 v[20:21], v[4:5], v[20:21]
	v_add_f64 v[48:49], v[48:49], v[220:221]
	v_add_f64 v[50:51], v[50:51], v[222:223]
	ds_load_b128 v[220:223], v1 offset:1280
	v_fma_f64 v[168:169], v[173:174], v[14:15], v[168:169]
	v_fma_f64 v[171:172], v[171:172], v[14:15], -v[16:17]
	scratch_load_b128 v[14:17], off, off offset:544
	v_add_f64 v[48:49], v[48:49], v[226:227]
	v_add_f64 v[50:51], v[50:51], v[164:165]
	v_fma_f64 v[226:227], v[4:5], v[18:19], v[228:229]
	v_fma_f64 v[228:229], v[2:3], v[18:19], -v[20:21]
	scratch_load_b128 v[18:21], off, off offset:560
	ds_load_b128 v[2:5], v1 offset:1296
	s_waitcnt vmcnt(9) lgkmcnt(1)
	v_mul_f64 v[164:165], v[220:221], v[24:25]
	v_mul_f64 v[24:25], v[222:223], v[24:25]
	v_add_f64 v[48:49], v[48:49], v[171:172]
	v_add_f64 v[50:51], v[50:51], v[168:169]
	s_waitcnt vmcnt(8) lgkmcnt(0)
	v_mul_f64 v[168:169], v[2:3], v[28:29]
	v_mul_f64 v[28:29], v[4:5], v[28:29]
	ds_load_b128 v[171:174], v1 offset:1312
	v_fma_f64 v[164:165], v[222:223], v[22:23], v[164:165]
	v_fma_f64 v[220:221], v[220:221], v[22:23], -v[24:25]
	scratch_load_b128 v[22:25], off, off offset:576
	v_add_f64 v[48:49], v[48:49], v[228:229]
	v_add_f64 v[50:51], v[50:51], v[226:227]
	v_fma_f64 v[168:169], v[4:5], v[26:27], v[168:169]
	v_fma_f64 v[228:229], v[2:3], v[26:27], -v[28:29]
	scratch_load_b128 v[26:29], off, off offset:592
	ds_load_b128 v[2:5], v1 offset:1328
	s_waitcnt vmcnt(9) lgkmcnt(1)
	v_mul_f64 v[226:227], v[171:172], v[32:33]
	v_mul_f64 v[32:33], v[173:174], v[32:33]
	v_add_f64 v[48:49], v[48:49], v[220:221]
	v_add_f64 v[50:51], v[50:51], v[164:165]
	s_waitcnt vmcnt(8) lgkmcnt(0)
	v_mul_f64 v[164:165], v[2:3], v[36:37]
	v_mul_f64 v[36:37], v[4:5], v[36:37]
	ds_load_b128 v[220:223], v1 offset:1344
	v_fma_f64 v[173:174], v[173:174], v[30:31], v[226:227]
	v_fma_f64 v[171:172], v[171:172], v[30:31], -v[32:33]
	scratch_load_b128 v[30:33], off, off offset:608
	v_add_f64 v[48:49], v[48:49], v[228:229]
	v_add_f64 v[50:51], v[50:51], v[168:169]
	v_fma_f64 v[164:165], v[4:5], v[34:35], v[164:165]
	v_fma_f64 v[226:227], v[2:3], v[34:35], -v[36:37]
	scratch_load_b128 v[34:37], off, off offset:624
	ds_load_b128 v[2:5], v1 offset:1360
	s_waitcnt vmcnt(9) lgkmcnt(1)
	v_mul_f64 v[168:169], v[220:221], v[159:160]
	v_mul_f64 v[159:160], v[222:223], v[159:160]
	s_waitcnt vmcnt(8) lgkmcnt(0)
	v_mul_f64 v[228:229], v[2:3], v[40:41]
	v_mul_f64 v[40:41], v[4:5], v[40:41]
	v_add_f64 v[48:49], v[48:49], v[171:172]
	v_add_f64 v[50:51], v[50:51], v[173:174]
	ds_load_b128 v[171:174], v1 offset:1376
	v_fma_f64 v[168:169], v[222:223], v[157:158], v[168:169]
	v_fma_f64 v[220:221], v[220:221], v[157:158], -v[159:160]
	scratch_load_b128 v[157:160], off, off offset:640
	v_add_f64 v[48:49], v[48:49], v[226:227]
	v_add_f64 v[50:51], v[50:51], v[164:165]
	v_fma_f64 v[226:227], v[4:5], v[38:39], v[228:229]
	v_fma_f64 v[228:229], v[2:3], v[38:39], -v[40:41]
	scratch_load_b128 v[38:41], off, off offset:656
	ds_load_b128 v[2:5], v1 offset:1392
	s_waitcnt vmcnt(9) lgkmcnt(1)
	v_mul_f64 v[164:165], v[171:172], v[8:9]
	v_mul_f64 v[8:9], v[173:174], v[8:9]
	v_add_f64 v[48:49], v[48:49], v[220:221]
	v_add_f64 v[50:51], v[50:51], v[168:169]
	s_waitcnt vmcnt(8) lgkmcnt(0)
	v_mul_f64 v[168:169], v[2:3], v[12:13]
	v_mul_f64 v[12:13], v[4:5], v[12:13]
	ds_load_b128 v[220:223], v1 offset:1408
	v_fma_f64 v[164:165], v[173:174], v[6:7], v[164:165]
	v_fma_f64 v[171:172], v[171:172], v[6:7], -v[8:9]
	scratch_load_b128 v[6:9], off, off offset:672
	v_add_f64 v[48:49], v[48:49], v[228:229]
	v_add_f64 v[50:51], v[50:51], v[226:227]
	v_fma_f64 v[168:169], v[4:5], v[10:11], v[168:169]
	v_fma_f64 v[228:229], v[2:3], v[10:11], -v[12:13]
	scratch_load_b128 v[10:13], off, off offset:688
	ds_load_b128 v[2:5], v1 offset:1424
	s_waitcnt vmcnt(9) lgkmcnt(1)
	v_mul_f64 v[226:227], v[220:221], v[16:17]
	v_mul_f64 v[16:17], v[222:223], v[16:17]
	v_add_f64 v[48:49], v[48:49], v[171:172]
	v_add_f64 v[50:51], v[50:51], v[164:165]
	s_waitcnt vmcnt(8) lgkmcnt(0)
	v_mul_f64 v[164:165], v[2:3], v[20:21]
	v_mul_f64 v[20:21], v[4:5], v[20:21]
	ds_load_b128 v[171:174], v1 offset:1440
	v_fma_f64 v[222:223], v[222:223], v[14:15], v[226:227]
	v_fma_f64 v[220:221], v[220:221], v[14:15], -v[16:17]
	scratch_load_b128 v[14:17], off, off offset:704
	v_add_f64 v[48:49], v[48:49], v[228:229]
	v_add_f64 v[50:51], v[50:51], v[168:169]
	v_fma_f64 v[164:165], v[4:5], v[18:19], v[164:165]
	v_fma_f64 v[226:227], v[2:3], v[18:19], -v[20:21]
	scratch_load_b128 v[18:21], off, off offset:720
	ds_load_b128 v[2:5], v1 offset:1456
	s_waitcnt vmcnt(9) lgkmcnt(1)
	v_mul_f64 v[168:169], v[171:172], v[24:25]
	v_mul_f64 v[24:25], v[173:174], v[24:25]
	s_waitcnt vmcnt(8) lgkmcnt(0)
	v_mul_f64 v[228:229], v[2:3], v[28:29]
	v_mul_f64 v[28:29], v[4:5], v[28:29]
	v_add_f64 v[48:49], v[48:49], v[220:221]
	v_add_f64 v[50:51], v[50:51], v[222:223]
	ds_load_b128 v[220:223], v1 offset:1472
	v_fma_f64 v[168:169], v[173:174], v[22:23], v[168:169]
	v_fma_f64 v[171:172], v[171:172], v[22:23], -v[24:25]
	scratch_load_b128 v[22:25], off, off offset:736
	v_add_f64 v[48:49], v[48:49], v[226:227]
	v_add_f64 v[50:51], v[50:51], v[164:165]
	v_fma_f64 v[226:227], v[4:5], v[26:27], v[228:229]
	v_fma_f64 v[228:229], v[2:3], v[26:27], -v[28:29]
	scratch_load_b128 v[26:29], off, off offset:752
	ds_load_b128 v[2:5], v1 offset:1488
	s_waitcnt vmcnt(9) lgkmcnt(1)
	v_mul_f64 v[164:165], v[220:221], v[32:33]
	v_mul_f64 v[32:33], v[222:223], v[32:33]
	v_add_f64 v[48:49], v[48:49], v[171:172]
	v_add_f64 v[50:51], v[50:51], v[168:169]
	s_waitcnt vmcnt(8) lgkmcnt(0)
	v_mul_f64 v[168:169], v[2:3], v[36:37]
	v_mul_f64 v[36:37], v[4:5], v[36:37]
	ds_load_b128 v[171:174], v1 offset:1504
	v_fma_f64 v[164:165], v[222:223], v[30:31], v[164:165]
	v_fma_f64 v[220:221], v[220:221], v[30:31], -v[32:33]
	scratch_load_b128 v[30:33], off, off offset:768
	v_add_f64 v[48:49], v[48:49], v[228:229]
	v_add_f64 v[50:51], v[50:51], v[226:227]
	v_fma_f64 v[168:169], v[4:5], v[34:35], v[168:169]
	v_fma_f64 v[228:229], v[2:3], v[34:35], -v[36:37]
	scratch_load_b128 v[34:37], off, off offset:784
	ds_load_b128 v[2:5], v1 offset:1520
	s_waitcnt vmcnt(9) lgkmcnt(1)
	v_mul_f64 v[226:227], v[171:172], v[159:160]
	v_mul_f64 v[159:160], v[173:174], v[159:160]
	v_add_f64 v[48:49], v[48:49], v[220:221]
	v_add_f64 v[50:51], v[50:51], v[164:165]
	s_waitcnt vmcnt(8) lgkmcnt(0)
	v_mul_f64 v[164:165], v[2:3], v[40:41]
	v_mul_f64 v[40:41], v[4:5], v[40:41]
	ds_load_b128 v[220:223], v1 offset:1536
	v_fma_f64 v[173:174], v[173:174], v[157:158], v[226:227]
	v_fma_f64 v[171:172], v[171:172], v[157:158], -v[159:160]
	scratch_load_b128 v[157:160], off, off offset:800
	v_add_f64 v[48:49], v[48:49], v[228:229]
	v_add_f64 v[50:51], v[50:51], v[168:169]
	v_fma_f64 v[164:165], v[4:5], v[38:39], v[164:165]
	v_fma_f64 v[226:227], v[2:3], v[38:39], -v[40:41]
	scratch_load_b128 v[38:41], off, off offset:816
	ds_load_b128 v[2:5], v1 offset:1552
	s_waitcnt vmcnt(9) lgkmcnt(1)
	v_mul_f64 v[168:169], v[220:221], v[8:9]
	v_mul_f64 v[8:9], v[222:223], v[8:9]
	s_waitcnt vmcnt(8) lgkmcnt(0)
	v_mul_f64 v[228:229], v[2:3], v[12:13]
	v_mul_f64 v[12:13], v[4:5], v[12:13]
	v_add_f64 v[48:49], v[48:49], v[171:172]
	v_add_f64 v[50:51], v[50:51], v[173:174]
	ds_load_b128 v[171:174], v1 offset:1568
	v_fma_f64 v[168:169], v[222:223], v[6:7], v[168:169]
	v_fma_f64 v[220:221], v[220:221], v[6:7], -v[8:9]
	scratch_load_b128 v[6:9], off, off offset:832
	v_add_f64 v[48:49], v[48:49], v[226:227]
	v_add_f64 v[50:51], v[50:51], v[164:165]
	v_fma_f64 v[226:227], v[4:5], v[10:11], v[228:229]
	v_fma_f64 v[228:229], v[2:3], v[10:11], -v[12:13]
	scratch_load_b128 v[10:13], off, off offset:848
	ds_load_b128 v[2:5], v1 offset:1584
	s_waitcnt vmcnt(9) lgkmcnt(1)
	v_mul_f64 v[164:165], v[171:172], v[16:17]
	v_mul_f64 v[16:17], v[173:174], v[16:17]
	v_add_f64 v[48:49], v[48:49], v[220:221]
	v_add_f64 v[50:51], v[50:51], v[168:169]
	s_waitcnt vmcnt(8) lgkmcnt(0)
	v_mul_f64 v[168:169], v[2:3], v[20:21]
	v_mul_f64 v[20:21], v[4:5], v[20:21]
	ds_load_b128 v[220:223], v1 offset:1600
	v_fma_f64 v[164:165], v[173:174], v[14:15], v[164:165]
	v_fma_f64 v[14:15], v[171:172], v[14:15], -v[16:17]
	v_add_f64 v[16:17], v[48:49], v[228:229]
	v_add_f64 v[48:49], v[50:51], v[226:227]
	s_waitcnt vmcnt(7) lgkmcnt(0)
	v_mul_f64 v[50:51], v[220:221], v[24:25]
	v_mul_f64 v[24:25], v[222:223], v[24:25]
	v_fma_f64 v[168:169], v[4:5], v[18:19], v[168:169]
	v_fma_f64 v[18:19], v[2:3], v[18:19], -v[20:21]
	v_add_f64 v[20:21], v[16:17], v[14:15]
	v_add_f64 v[48:49], v[48:49], v[164:165]
	ds_load_b128 v[2:5], v1 offset:1616
	ds_load_b128 v[14:17], v1 offset:1632
	v_fma_f64 v[50:51], v[222:223], v[22:23], v[50:51]
	v_fma_f64 v[22:23], v[220:221], v[22:23], -v[24:25]
	s_waitcnt vmcnt(6) lgkmcnt(1)
	v_mul_f64 v[164:165], v[2:3], v[28:29]
	v_mul_f64 v[28:29], v[4:5], v[28:29]
	s_waitcnt vmcnt(5) lgkmcnt(0)
	v_mul_f64 v[24:25], v[14:15], v[32:33]
	v_mul_f64 v[32:33], v[16:17], v[32:33]
	v_add_f64 v[18:19], v[20:21], v[18:19]
	v_add_f64 v[20:21], v[48:49], v[168:169]
	v_fma_f64 v[48:49], v[4:5], v[26:27], v[164:165]
	v_fma_f64 v[26:27], v[2:3], v[26:27], -v[28:29]
	v_fma_f64 v[16:17], v[16:17], v[30:31], v[24:25]
	v_fma_f64 v[14:15], v[14:15], v[30:31], -v[32:33]
	v_add_f64 v[22:23], v[18:19], v[22:23]
	v_add_f64 v[28:29], v[20:21], v[50:51]
	ds_load_b128 v[2:5], v1 offset:1648
	ds_load_b128 v[18:21], v1 offset:1664
	s_waitcnt vmcnt(4) lgkmcnt(1)
	v_mul_f64 v[50:51], v[2:3], v[36:37]
	v_mul_f64 v[36:37], v[4:5], v[36:37]
	v_add_f64 v[22:23], v[22:23], v[26:27]
	v_add_f64 v[24:25], v[28:29], v[48:49]
	s_waitcnt vmcnt(3) lgkmcnt(0)
	v_mul_f64 v[26:27], v[18:19], v[159:160]
	v_mul_f64 v[28:29], v[20:21], v[159:160]
	v_fma_f64 v[30:31], v[4:5], v[34:35], v[50:51]
	v_fma_f64 v[32:33], v[2:3], v[34:35], -v[36:37]
	v_add_f64 v[22:23], v[22:23], v[14:15]
	v_add_f64 v[24:25], v[24:25], v[16:17]
	ds_load_b128 v[2:5], v1 offset:1680
	ds_load_b128 v[14:17], v1 offset:1696
	v_fma_f64 v[20:21], v[20:21], v[157:158], v[26:27]
	v_fma_f64 v[18:19], v[18:19], v[157:158], -v[28:29]
	s_waitcnt vmcnt(2) lgkmcnt(1)
	v_mul_f64 v[34:35], v[2:3], v[40:41]
	v_mul_f64 v[36:37], v[4:5], v[40:41]
	s_waitcnt vmcnt(1) lgkmcnt(0)
	v_mul_f64 v[26:27], v[14:15], v[8:9]
	v_mul_f64 v[8:9], v[16:17], v[8:9]
	v_add_f64 v[22:23], v[22:23], v[32:33]
	v_add_f64 v[24:25], v[24:25], v[30:31]
	v_fma_f64 v[28:29], v[4:5], v[38:39], v[34:35]
	v_fma_f64 v[30:31], v[2:3], v[38:39], -v[36:37]
	ds_load_b128 v[2:5], v1 offset:1712
	v_fma_f64 v[16:17], v[16:17], v[6:7], v[26:27]
	v_fma_f64 v[6:7], v[14:15], v[6:7], -v[8:9]
	v_add_f64 v[18:19], v[22:23], v[18:19]
	v_add_f64 v[20:21], v[24:25], v[20:21]
	s_waitcnt vmcnt(0) lgkmcnt(0)
	v_mul_f64 v[22:23], v[2:3], v[12:13]
	v_mul_f64 v[12:13], v[4:5], v[12:13]
	s_delay_alu instid0(VALU_DEP_4) | instskip(NEXT) | instid1(VALU_DEP_4)
	v_add_f64 v[8:9], v[18:19], v[30:31]
	v_add_f64 v[14:15], v[20:21], v[28:29]
	s_delay_alu instid0(VALU_DEP_4) | instskip(NEXT) | instid1(VALU_DEP_4)
	v_fma_f64 v[4:5], v[4:5], v[10:11], v[22:23]
	v_fma_f64 v[2:3], v[2:3], v[10:11], -v[12:13]
	s_delay_alu instid0(VALU_DEP_4) | instskip(NEXT) | instid1(VALU_DEP_4)
	v_add_f64 v[6:7], v[8:9], v[6:7]
	v_add_f64 v[8:9], v[14:15], v[16:17]
	s_delay_alu instid0(VALU_DEP_2) | instskip(NEXT) | instid1(VALU_DEP_2)
	v_add_f64 v[2:3], v[6:7], v[2:3]
	v_add_f64 v[4:5], v[8:9], v[4:5]
	s_delay_alu instid0(VALU_DEP_2) | instskip(NEXT) | instid1(VALU_DEP_2)
	v_add_f64 v[2:3], v[42:43], -v[2:3]
	v_add_f64 v[4:5], v[44:45], -v[4:5]
	scratch_store_b128 off, v[2:5], off offset:160
	v_cmpx_lt_u32_e32 9, v154
	s_cbranch_execz .LBB117_319
; %bb.318:
	scratch_load_b128 v[5:8], v199, off
	v_mov_b32_e32 v2, v1
	v_mov_b32_e32 v3, v1
	;; [unrolled: 1-line block ×3, first 2 shown]
	scratch_store_b128 off, v[1:4], off offset:144
	s_waitcnt vmcnt(0)
	ds_store_b128 v208, v[5:8]
.LBB117_319:
	s_or_b32 exec_lo, exec_lo, s2
	s_waitcnt lgkmcnt(0)
	s_waitcnt_vscnt null, 0x0
	s_barrier
	buffer_gl0_inv
	s_clause 0x8
	scratch_load_b128 v[2:5], off, off offset:160
	scratch_load_b128 v[6:9], off, off offset:176
	;; [unrolled: 1-line block ×9, first 2 shown]
	ds_load_b128 v[42:45], v1 offset:1024
	ds_load_b128 v[38:41], v1 offset:1040
	s_clause 0x1
	scratch_load_b128 v[157:160], off, off offset:144
	scratch_load_b128 v[171:174], off, off offset:304
	s_mov_b32 s2, exec_lo
	ds_load_b128 v[220:223], v1 offset:1072
	s_waitcnt vmcnt(10) lgkmcnt(2)
	v_mul_f64 v[48:49], v[44:45], v[4:5]
	v_mul_f64 v[4:5], v[42:43], v[4:5]
	s_waitcnt vmcnt(9) lgkmcnt(1)
	v_mul_f64 v[50:51], v[38:39], v[8:9]
	v_mul_f64 v[8:9], v[40:41], v[8:9]
	s_delay_alu instid0(VALU_DEP_4) | instskip(NEXT) | instid1(VALU_DEP_4)
	v_fma_f64 v[48:49], v[42:43], v[2:3], -v[48:49]
	v_fma_f64 v[164:165], v[44:45], v[2:3], v[4:5]
	ds_load_b128 v[2:5], v1 offset:1056
	scratch_load_b128 v[42:45], off, off offset:320
	v_fma_f64 v[40:41], v[40:41], v[6:7], v[50:51]
	v_fma_f64 v[38:39], v[38:39], v[6:7], -v[8:9]
	scratch_load_b128 v[6:9], off, off offset:336
	s_waitcnt vmcnt(10) lgkmcnt(0)
	v_mul_f64 v[168:169], v[2:3], v[12:13]
	v_mul_f64 v[12:13], v[4:5], v[12:13]
	v_add_f64 v[48:49], v[48:49], 0
	v_add_f64 v[50:51], v[164:165], 0
	s_waitcnt vmcnt(9)
	v_mul_f64 v[164:165], v[220:221], v[16:17]
	v_mul_f64 v[16:17], v[222:223], v[16:17]
	v_fma_f64 v[168:169], v[4:5], v[10:11], v[168:169]
	v_fma_f64 v[226:227], v[2:3], v[10:11], -v[12:13]
	ds_load_b128 v[2:5], v1 offset:1088
	scratch_load_b128 v[10:13], off, off offset:352
	v_add_f64 v[48:49], v[48:49], v[38:39]
	v_add_f64 v[50:51], v[50:51], v[40:41]
	ds_load_b128 v[38:41], v1 offset:1104
	v_fma_f64 v[164:165], v[222:223], v[14:15], v[164:165]
	v_fma_f64 v[220:221], v[220:221], v[14:15], -v[16:17]
	scratch_load_b128 v[14:17], off, off offset:368
	s_waitcnt vmcnt(10) lgkmcnt(1)
	v_mul_f64 v[228:229], v[2:3], v[20:21]
	v_mul_f64 v[20:21], v[4:5], v[20:21]
	v_add_f64 v[48:49], v[48:49], v[226:227]
	v_add_f64 v[50:51], v[50:51], v[168:169]
	s_waitcnt vmcnt(9) lgkmcnt(0)
	v_mul_f64 v[168:169], v[38:39], v[24:25]
	v_mul_f64 v[24:25], v[40:41], v[24:25]
	v_fma_f64 v[226:227], v[4:5], v[18:19], v[228:229]
	v_fma_f64 v[228:229], v[2:3], v[18:19], -v[20:21]
	ds_load_b128 v[2:5], v1 offset:1120
	scratch_load_b128 v[18:21], off, off offset:384
	v_add_f64 v[48:49], v[48:49], v[220:221]
	v_add_f64 v[50:51], v[50:51], v[164:165]
	ds_load_b128 v[220:223], v1 offset:1136
	s_waitcnt vmcnt(9) lgkmcnt(1)
	v_mul_f64 v[164:165], v[2:3], v[28:29]
	v_mul_f64 v[28:29], v[4:5], v[28:29]
	v_fma_f64 v[40:41], v[40:41], v[22:23], v[168:169]
	v_fma_f64 v[38:39], v[38:39], v[22:23], -v[24:25]
	scratch_load_b128 v[22:25], off, off offset:400
	s_waitcnt vmcnt(9) lgkmcnt(0)
	v_mul_f64 v[168:169], v[220:221], v[32:33]
	v_mul_f64 v[32:33], v[222:223], v[32:33]
	v_add_f64 v[48:49], v[48:49], v[228:229]
	v_add_f64 v[50:51], v[50:51], v[226:227]
	v_fma_f64 v[164:165], v[4:5], v[26:27], v[164:165]
	v_fma_f64 v[226:227], v[2:3], v[26:27], -v[28:29]
	ds_load_b128 v[2:5], v1 offset:1152
	scratch_load_b128 v[26:29], off, off offset:416
	v_fma_f64 v[168:169], v[222:223], v[30:31], v[168:169]
	v_fma_f64 v[220:221], v[220:221], v[30:31], -v[32:33]
	scratch_load_b128 v[30:33], off, off offset:432
	v_add_f64 v[48:49], v[48:49], v[38:39]
	v_add_f64 v[50:51], v[50:51], v[40:41]
	ds_load_b128 v[38:41], v1 offset:1168
	s_waitcnt vmcnt(10) lgkmcnt(1)
	v_mul_f64 v[228:229], v[2:3], v[36:37]
	v_mul_f64 v[36:37], v[4:5], v[36:37]
	v_add_f64 v[48:49], v[48:49], v[226:227]
	v_add_f64 v[50:51], v[50:51], v[164:165]
	s_waitcnt vmcnt(8) lgkmcnt(0)
	v_mul_f64 v[164:165], v[38:39], v[173:174]
	v_mul_f64 v[173:174], v[40:41], v[173:174]
	v_fma_f64 v[226:227], v[4:5], v[34:35], v[228:229]
	v_fma_f64 v[228:229], v[2:3], v[34:35], -v[36:37]
	ds_load_b128 v[2:5], v1 offset:1184
	scratch_load_b128 v[34:37], off, off offset:448
	v_add_f64 v[48:49], v[48:49], v[220:221]
	v_add_f64 v[50:51], v[50:51], v[168:169]
	ds_load_b128 v[220:223], v1 offset:1200
	v_fma_f64 v[164:165], v[40:41], v[171:172], v[164:165]
	v_fma_f64 v[171:172], v[38:39], v[171:172], -v[173:174]
	scratch_load_b128 v[38:41], off, off offset:464
	s_waitcnt vmcnt(9) lgkmcnt(1)
	v_mul_f64 v[168:169], v[2:3], v[44:45]
	v_mul_f64 v[44:45], v[4:5], v[44:45]
	v_add_f64 v[48:49], v[48:49], v[228:229]
	v_add_f64 v[50:51], v[50:51], v[226:227]
	s_waitcnt vmcnt(8) lgkmcnt(0)
	v_mul_f64 v[226:227], v[220:221], v[8:9]
	v_mul_f64 v[8:9], v[222:223], v[8:9]
	v_fma_f64 v[168:169], v[4:5], v[42:43], v[168:169]
	v_fma_f64 v[228:229], v[2:3], v[42:43], -v[44:45]
	ds_load_b128 v[2:5], v1 offset:1216
	scratch_load_b128 v[42:45], off, off offset:480
	v_add_f64 v[48:49], v[48:49], v[171:172]
	v_add_f64 v[50:51], v[50:51], v[164:165]
	ds_load_b128 v[171:174], v1 offset:1232
	s_waitcnt vmcnt(8) lgkmcnt(1)
	v_mul_f64 v[164:165], v[2:3], v[12:13]
	v_mul_f64 v[12:13], v[4:5], v[12:13]
	v_fma_f64 v[222:223], v[222:223], v[6:7], v[226:227]
	v_fma_f64 v[220:221], v[220:221], v[6:7], -v[8:9]
	scratch_load_b128 v[6:9], off, off offset:496
	v_add_f64 v[48:49], v[48:49], v[228:229]
	v_add_f64 v[50:51], v[50:51], v[168:169]
	s_waitcnt vmcnt(8) lgkmcnt(0)
	v_mul_f64 v[168:169], v[171:172], v[16:17]
	v_mul_f64 v[16:17], v[173:174], v[16:17]
	v_fma_f64 v[164:165], v[4:5], v[10:11], v[164:165]
	v_fma_f64 v[226:227], v[2:3], v[10:11], -v[12:13]
	ds_load_b128 v[2:5], v1 offset:1248
	scratch_load_b128 v[10:13], off, off offset:512
	v_add_f64 v[48:49], v[48:49], v[220:221]
	v_add_f64 v[50:51], v[50:51], v[222:223]
	ds_load_b128 v[220:223], v1 offset:1264
	s_waitcnt vmcnt(8) lgkmcnt(1)
	v_mul_f64 v[228:229], v[2:3], v[20:21]
	v_mul_f64 v[20:21], v[4:5], v[20:21]
	v_fma_f64 v[168:169], v[173:174], v[14:15], v[168:169]
	v_fma_f64 v[171:172], v[171:172], v[14:15], -v[16:17]
	scratch_load_b128 v[14:17], off, off offset:528
	;; [unrolled: 18-line block ×12, first 2 shown]
	s_waitcnt vmcnt(8) lgkmcnt(0)
	v_mul_f64 v[173:174], v[220:221], v[24:25]
	v_mul_f64 v[24:25], v[222:223], v[24:25]
	v_add_f64 v[48:49], v[48:49], v[228:229]
	v_add_f64 v[50:51], v[50:51], v[226:227]
	v_fma_f64 v[168:169], v[4:5], v[18:19], v[168:169]
	v_fma_f64 v[226:227], v[2:3], v[18:19], -v[20:21]
	ds_load_b128 v[2:5], v1 offset:1600
	ds_load_b128 v[18:21], v1 offset:1616
	v_add_f64 v[48:49], v[48:49], v[171:172]
	v_add_f64 v[50:51], v[50:51], v[164:165]
	s_waitcnt vmcnt(7) lgkmcnt(1)
	v_mul_f64 v[164:165], v[2:3], v[28:29]
	v_mul_f64 v[28:29], v[4:5], v[28:29]
	v_fma_f64 v[171:172], v[222:223], v[22:23], v[173:174]
	v_fma_f64 v[22:23], v[220:221], v[22:23], -v[24:25]
	v_add_f64 v[24:25], v[48:49], v[226:227]
	v_add_f64 v[48:49], v[50:51], v[168:169]
	s_waitcnt vmcnt(6) lgkmcnt(0)
	v_mul_f64 v[50:51], v[18:19], v[32:33]
	v_mul_f64 v[32:33], v[20:21], v[32:33]
	v_fma_f64 v[164:165], v[4:5], v[26:27], v[164:165]
	v_fma_f64 v[26:27], v[2:3], v[26:27], -v[28:29]
	v_add_f64 v[28:29], v[24:25], v[22:23]
	v_add_f64 v[48:49], v[48:49], v[171:172]
	ds_load_b128 v[2:5], v1 offset:1632
	ds_load_b128 v[22:25], v1 offset:1648
	v_fma_f64 v[20:21], v[20:21], v[30:31], v[50:51]
	v_fma_f64 v[18:19], v[18:19], v[30:31], -v[32:33]
	s_waitcnt vmcnt(5) lgkmcnt(1)
	v_mul_f64 v[168:169], v[2:3], v[36:37]
	v_mul_f64 v[36:37], v[4:5], v[36:37]
	s_waitcnt vmcnt(4) lgkmcnt(0)
	v_mul_f64 v[30:31], v[22:23], v[40:41]
	v_mul_f64 v[32:33], v[24:25], v[40:41]
	v_add_f64 v[26:27], v[28:29], v[26:27]
	v_add_f64 v[28:29], v[48:49], v[164:165]
	v_fma_f64 v[40:41], v[4:5], v[34:35], v[168:169]
	v_fma_f64 v[34:35], v[2:3], v[34:35], -v[36:37]
	v_fma_f64 v[24:25], v[24:25], v[38:39], v[30:31]
	v_fma_f64 v[22:23], v[22:23], v[38:39], -v[32:33]
	v_add_f64 v[26:27], v[26:27], v[18:19]
	v_add_f64 v[28:29], v[28:29], v[20:21]
	ds_load_b128 v[2:5], v1 offset:1664
	ds_load_b128 v[18:21], v1 offset:1680
	s_waitcnt vmcnt(3) lgkmcnt(1)
	v_mul_f64 v[36:37], v[2:3], v[44:45]
	v_mul_f64 v[44:45], v[4:5], v[44:45]
	s_waitcnt vmcnt(2) lgkmcnt(0)
	v_mul_f64 v[30:31], v[18:19], v[8:9]
	v_mul_f64 v[8:9], v[20:21], v[8:9]
	v_add_f64 v[26:27], v[26:27], v[34:35]
	v_add_f64 v[28:29], v[28:29], v[40:41]
	v_fma_f64 v[32:33], v[4:5], v[42:43], v[36:37]
	v_fma_f64 v[34:35], v[2:3], v[42:43], -v[44:45]
	v_fma_f64 v[20:21], v[20:21], v[6:7], v[30:31]
	v_fma_f64 v[6:7], v[18:19], v[6:7], -v[8:9]
	v_add_f64 v[26:27], v[26:27], v[22:23]
	v_add_f64 v[28:29], v[28:29], v[24:25]
	ds_load_b128 v[2:5], v1 offset:1696
	ds_load_b128 v[22:25], v1 offset:1712
	s_waitcnt vmcnt(1) lgkmcnt(1)
	v_mul_f64 v[36:37], v[2:3], v[12:13]
	v_mul_f64 v[12:13], v[4:5], v[12:13]
	v_add_f64 v[8:9], v[26:27], v[34:35]
	v_add_f64 v[18:19], v[28:29], v[32:33]
	s_waitcnt vmcnt(0) lgkmcnt(0)
	v_mul_f64 v[26:27], v[22:23], v[16:17]
	v_mul_f64 v[16:17], v[24:25], v[16:17]
	v_fma_f64 v[4:5], v[4:5], v[10:11], v[36:37]
	v_fma_f64 v[1:2], v[2:3], v[10:11], -v[12:13]
	v_add_f64 v[6:7], v[8:9], v[6:7]
	v_add_f64 v[8:9], v[18:19], v[20:21]
	v_fma_f64 v[10:11], v[24:25], v[14:15], v[26:27]
	v_fma_f64 v[12:13], v[22:23], v[14:15], -v[16:17]
	s_delay_alu instid0(VALU_DEP_4) | instskip(NEXT) | instid1(VALU_DEP_4)
	v_add_f64 v[1:2], v[6:7], v[1:2]
	v_add_f64 v[3:4], v[8:9], v[4:5]
	s_delay_alu instid0(VALU_DEP_2) | instskip(NEXT) | instid1(VALU_DEP_2)
	v_add_f64 v[1:2], v[1:2], v[12:13]
	v_add_f64 v[3:4], v[3:4], v[10:11]
	s_delay_alu instid0(VALU_DEP_2) | instskip(NEXT) | instid1(VALU_DEP_2)
	v_add_f64 v[1:2], v[157:158], -v[1:2]
	v_add_f64 v[3:4], v[159:160], -v[3:4]
	scratch_store_b128 off, v[1:4], off offset:144
	v_cmpx_lt_u32_e32 8, v154
	s_cbranch_execz .LBB117_321
; %bb.320:
	scratch_load_b128 v[1:4], v200, off
	v_mov_b32_e32 v5, 0
	s_delay_alu instid0(VALU_DEP_1)
	v_mov_b32_e32 v6, v5
	v_mov_b32_e32 v7, v5
	;; [unrolled: 1-line block ×3, first 2 shown]
	scratch_store_b128 off, v[5:8], off offset:128
	s_waitcnt vmcnt(0)
	ds_store_b128 v208, v[1:4]
.LBB117_321:
	s_or_b32 exec_lo, exec_lo, s2
	s_waitcnt lgkmcnt(0)
	s_waitcnt_vscnt null, 0x0
	s_barrier
	buffer_gl0_inv
	s_clause 0x7
	scratch_load_b128 v[2:5], off, off offset:144
	scratch_load_b128 v[6:9], off, off offset:160
	scratch_load_b128 v[10:13], off, off offset:176
	scratch_load_b128 v[14:17], off, off offset:192
	scratch_load_b128 v[18:21], off, off offset:208
	scratch_load_b128 v[22:25], off, off offset:224
	scratch_load_b128 v[26:29], off, off offset:240
	scratch_load_b128 v[30:33], off, off offset:256
	v_mov_b32_e32 v1, 0
	s_mov_b32 s2, exec_lo
	ds_load_b128 v[38:41], v1 offset:1008
	s_clause 0x1
	scratch_load_b128 v[34:37], off, off offset:272
	scratch_load_b128 v[42:45], off, off offset:128
	ds_load_b128 v[157:160], v1 offset:1024
	scratch_load_b128 v[171:174], off, off offset:288
	ds_load_b128 v[220:223], v1 offset:1056
	s_waitcnt vmcnt(10) lgkmcnt(2)
	v_mul_f64 v[48:49], v[40:41], v[4:5]
	v_mul_f64 v[4:5], v[38:39], v[4:5]
	s_delay_alu instid0(VALU_DEP_2) | instskip(NEXT) | instid1(VALU_DEP_2)
	v_fma_f64 v[48:49], v[38:39], v[2:3], -v[48:49]
	v_fma_f64 v[164:165], v[40:41], v[2:3], v[4:5]
	ds_load_b128 v[2:5], v1 offset:1040
	s_waitcnt vmcnt(9) lgkmcnt(2)
	v_mul_f64 v[50:51], v[157:158], v[8:9]
	v_mul_f64 v[8:9], v[159:160], v[8:9]
	scratch_load_b128 v[38:41], off, off offset:304
	s_waitcnt vmcnt(9) lgkmcnt(0)
	v_mul_f64 v[168:169], v[2:3], v[12:13]
	v_mul_f64 v[12:13], v[4:5], v[12:13]
	v_add_f64 v[48:49], v[48:49], 0
	v_fma_f64 v[50:51], v[159:160], v[6:7], v[50:51]
	v_fma_f64 v[157:158], v[157:158], v[6:7], -v[8:9]
	v_add_f64 v[159:160], v[164:165], 0
	scratch_load_b128 v[6:9], off, off offset:320
	v_fma_f64 v[168:169], v[4:5], v[10:11], v[168:169]
	v_fma_f64 v[226:227], v[2:3], v[10:11], -v[12:13]
	scratch_load_b128 v[10:13], off, off offset:336
	ds_load_b128 v[2:5], v1 offset:1072
	s_waitcnt vmcnt(10)
	v_mul_f64 v[164:165], v[220:221], v[16:17]
	v_mul_f64 v[16:17], v[222:223], v[16:17]
	v_add_f64 v[48:49], v[48:49], v[157:158]
	v_add_f64 v[50:51], v[159:160], v[50:51]
	ds_load_b128 v[157:160], v1 offset:1088
	s_waitcnt vmcnt(9) lgkmcnt(1)
	v_mul_f64 v[228:229], v[2:3], v[20:21]
	v_mul_f64 v[20:21], v[4:5], v[20:21]
	v_fma_f64 v[164:165], v[222:223], v[14:15], v[164:165]
	v_fma_f64 v[220:221], v[220:221], v[14:15], -v[16:17]
	scratch_load_b128 v[14:17], off, off offset:352
	v_add_f64 v[48:49], v[48:49], v[226:227]
	v_add_f64 v[50:51], v[50:51], v[168:169]
	v_fma_f64 v[226:227], v[4:5], v[18:19], v[228:229]
	v_fma_f64 v[228:229], v[2:3], v[18:19], -v[20:21]
	scratch_load_b128 v[18:21], off, off offset:368
	ds_load_b128 v[2:5], v1 offset:1104
	s_waitcnt vmcnt(10) lgkmcnt(1)
	v_mul_f64 v[168:169], v[157:158], v[24:25]
	v_mul_f64 v[24:25], v[159:160], v[24:25]
	v_add_f64 v[48:49], v[48:49], v[220:221]
	v_add_f64 v[50:51], v[50:51], v[164:165]
	s_waitcnt vmcnt(9) lgkmcnt(0)
	v_mul_f64 v[164:165], v[2:3], v[28:29]
	v_mul_f64 v[28:29], v[4:5], v[28:29]
	ds_load_b128 v[220:223], v1 offset:1120
	v_fma_f64 v[159:160], v[159:160], v[22:23], v[168:169]
	v_fma_f64 v[157:158], v[157:158], v[22:23], -v[24:25]
	scratch_load_b128 v[22:25], off, off offset:384
	v_add_f64 v[48:49], v[48:49], v[228:229]
	v_add_f64 v[50:51], v[50:51], v[226:227]
	v_fma_f64 v[164:165], v[4:5], v[26:27], v[164:165]
	v_fma_f64 v[226:227], v[2:3], v[26:27], -v[28:29]
	scratch_load_b128 v[26:29], off, off offset:400
	ds_load_b128 v[2:5], v1 offset:1136
	s_waitcnt vmcnt(10) lgkmcnt(1)
	v_mul_f64 v[168:169], v[220:221], v[32:33]
	v_mul_f64 v[32:33], v[222:223], v[32:33]
	s_waitcnt vmcnt(9) lgkmcnt(0)
	v_mul_f64 v[228:229], v[2:3], v[36:37]
	v_mul_f64 v[36:37], v[4:5], v[36:37]
	v_add_f64 v[48:49], v[48:49], v[157:158]
	v_add_f64 v[50:51], v[50:51], v[159:160]
	ds_load_b128 v[157:160], v1 offset:1152
	v_fma_f64 v[168:169], v[222:223], v[30:31], v[168:169]
	v_fma_f64 v[220:221], v[220:221], v[30:31], -v[32:33]
	scratch_load_b128 v[30:33], off, off offset:416
	v_add_f64 v[48:49], v[48:49], v[226:227]
	v_add_f64 v[50:51], v[50:51], v[164:165]
	v_fma_f64 v[226:227], v[4:5], v[34:35], v[228:229]
	v_fma_f64 v[228:229], v[2:3], v[34:35], -v[36:37]
	scratch_load_b128 v[34:37], off, off offset:432
	ds_load_b128 v[2:5], v1 offset:1168
	s_waitcnt vmcnt(9) lgkmcnt(1)
	v_mul_f64 v[164:165], v[157:158], v[173:174]
	v_mul_f64 v[173:174], v[159:160], v[173:174]
	v_add_f64 v[48:49], v[48:49], v[220:221]
	v_add_f64 v[50:51], v[50:51], v[168:169]
	ds_load_b128 v[220:223], v1 offset:1184
	v_fma_f64 v[164:165], v[159:160], v[171:172], v[164:165]
	v_fma_f64 v[171:172], v[157:158], v[171:172], -v[173:174]
	scratch_load_b128 v[157:160], off, off offset:448
	s_waitcnt vmcnt(9) lgkmcnt(1)
	v_mul_f64 v[168:169], v[2:3], v[40:41]
	v_mul_f64 v[40:41], v[4:5], v[40:41]
	v_add_f64 v[48:49], v[48:49], v[228:229]
	v_add_f64 v[50:51], v[50:51], v[226:227]
	s_delay_alu instid0(VALU_DEP_4) | instskip(NEXT) | instid1(VALU_DEP_4)
	v_fma_f64 v[168:169], v[4:5], v[38:39], v[168:169]
	v_fma_f64 v[228:229], v[2:3], v[38:39], -v[40:41]
	scratch_load_b128 v[38:41], off, off offset:464
	ds_load_b128 v[2:5], v1 offset:1200
	s_waitcnt vmcnt(9) lgkmcnt(1)
	v_mul_f64 v[226:227], v[220:221], v[8:9]
	v_mul_f64 v[8:9], v[222:223], v[8:9]
	v_add_f64 v[48:49], v[48:49], v[171:172]
	v_add_f64 v[50:51], v[50:51], v[164:165]
	s_waitcnt vmcnt(8) lgkmcnt(0)
	v_mul_f64 v[164:165], v[2:3], v[12:13]
	v_mul_f64 v[12:13], v[4:5], v[12:13]
	ds_load_b128 v[171:174], v1 offset:1216
	v_fma_f64 v[222:223], v[222:223], v[6:7], v[226:227]
	v_fma_f64 v[220:221], v[220:221], v[6:7], -v[8:9]
	scratch_load_b128 v[6:9], off, off offset:480
	v_add_f64 v[48:49], v[48:49], v[228:229]
	v_add_f64 v[50:51], v[50:51], v[168:169]
	v_fma_f64 v[164:165], v[4:5], v[10:11], v[164:165]
	v_fma_f64 v[226:227], v[2:3], v[10:11], -v[12:13]
	scratch_load_b128 v[10:13], off, off offset:496
	ds_load_b128 v[2:5], v1 offset:1232
	s_waitcnt vmcnt(9) lgkmcnt(1)
	v_mul_f64 v[168:169], v[171:172], v[16:17]
	v_mul_f64 v[16:17], v[173:174], v[16:17]
	s_waitcnt vmcnt(8) lgkmcnt(0)
	v_mul_f64 v[228:229], v[2:3], v[20:21]
	v_mul_f64 v[20:21], v[4:5], v[20:21]
	v_add_f64 v[48:49], v[48:49], v[220:221]
	v_add_f64 v[50:51], v[50:51], v[222:223]
	ds_load_b128 v[220:223], v1 offset:1248
	v_fma_f64 v[168:169], v[173:174], v[14:15], v[168:169]
	v_fma_f64 v[171:172], v[171:172], v[14:15], -v[16:17]
	scratch_load_b128 v[14:17], off, off offset:512
	v_add_f64 v[48:49], v[48:49], v[226:227]
	v_add_f64 v[50:51], v[50:51], v[164:165]
	v_fma_f64 v[226:227], v[4:5], v[18:19], v[228:229]
	v_fma_f64 v[228:229], v[2:3], v[18:19], -v[20:21]
	scratch_load_b128 v[18:21], off, off offset:528
	ds_load_b128 v[2:5], v1 offset:1264
	s_waitcnt vmcnt(9) lgkmcnt(1)
	v_mul_f64 v[164:165], v[220:221], v[24:25]
	v_mul_f64 v[24:25], v[222:223], v[24:25]
	v_add_f64 v[48:49], v[48:49], v[171:172]
	v_add_f64 v[50:51], v[50:51], v[168:169]
	s_waitcnt vmcnt(8) lgkmcnt(0)
	v_mul_f64 v[168:169], v[2:3], v[28:29]
	v_mul_f64 v[28:29], v[4:5], v[28:29]
	ds_load_b128 v[171:174], v1 offset:1280
	v_fma_f64 v[164:165], v[222:223], v[22:23], v[164:165]
	v_fma_f64 v[220:221], v[220:221], v[22:23], -v[24:25]
	scratch_load_b128 v[22:25], off, off offset:544
	v_add_f64 v[48:49], v[48:49], v[228:229]
	v_add_f64 v[50:51], v[50:51], v[226:227]
	v_fma_f64 v[168:169], v[4:5], v[26:27], v[168:169]
	v_fma_f64 v[228:229], v[2:3], v[26:27], -v[28:29]
	scratch_load_b128 v[26:29], off, off offset:560
	ds_load_b128 v[2:5], v1 offset:1296
	s_waitcnt vmcnt(9) lgkmcnt(1)
	v_mul_f64 v[226:227], v[171:172], v[32:33]
	v_mul_f64 v[32:33], v[173:174], v[32:33]
	v_add_f64 v[48:49], v[48:49], v[220:221]
	v_add_f64 v[50:51], v[50:51], v[164:165]
	s_waitcnt vmcnt(8) lgkmcnt(0)
	v_mul_f64 v[164:165], v[2:3], v[36:37]
	v_mul_f64 v[36:37], v[4:5], v[36:37]
	ds_load_b128 v[220:223], v1 offset:1312
	v_fma_f64 v[173:174], v[173:174], v[30:31], v[226:227]
	v_fma_f64 v[171:172], v[171:172], v[30:31], -v[32:33]
	scratch_load_b128 v[30:33], off, off offset:576
	v_add_f64 v[48:49], v[48:49], v[228:229]
	v_add_f64 v[50:51], v[50:51], v[168:169]
	v_fma_f64 v[164:165], v[4:5], v[34:35], v[164:165]
	v_fma_f64 v[226:227], v[2:3], v[34:35], -v[36:37]
	scratch_load_b128 v[34:37], off, off offset:592
	ds_load_b128 v[2:5], v1 offset:1328
	s_waitcnt vmcnt(9) lgkmcnt(1)
	v_mul_f64 v[168:169], v[220:221], v[159:160]
	v_mul_f64 v[159:160], v[222:223], v[159:160]
	s_waitcnt vmcnt(8) lgkmcnt(0)
	v_mul_f64 v[228:229], v[2:3], v[40:41]
	v_mul_f64 v[40:41], v[4:5], v[40:41]
	v_add_f64 v[48:49], v[48:49], v[171:172]
	v_add_f64 v[50:51], v[50:51], v[173:174]
	ds_load_b128 v[171:174], v1 offset:1344
	v_fma_f64 v[168:169], v[222:223], v[157:158], v[168:169]
	v_fma_f64 v[220:221], v[220:221], v[157:158], -v[159:160]
	scratch_load_b128 v[157:160], off, off offset:608
	v_add_f64 v[48:49], v[48:49], v[226:227]
	v_add_f64 v[50:51], v[50:51], v[164:165]
	v_fma_f64 v[226:227], v[4:5], v[38:39], v[228:229]
	v_fma_f64 v[228:229], v[2:3], v[38:39], -v[40:41]
	scratch_load_b128 v[38:41], off, off offset:624
	ds_load_b128 v[2:5], v1 offset:1360
	s_waitcnt vmcnt(9) lgkmcnt(1)
	v_mul_f64 v[164:165], v[171:172], v[8:9]
	v_mul_f64 v[8:9], v[173:174], v[8:9]
	v_add_f64 v[48:49], v[48:49], v[220:221]
	v_add_f64 v[50:51], v[50:51], v[168:169]
	s_waitcnt vmcnt(8) lgkmcnt(0)
	v_mul_f64 v[168:169], v[2:3], v[12:13]
	v_mul_f64 v[12:13], v[4:5], v[12:13]
	ds_load_b128 v[220:223], v1 offset:1376
	v_fma_f64 v[164:165], v[173:174], v[6:7], v[164:165]
	v_fma_f64 v[171:172], v[171:172], v[6:7], -v[8:9]
	scratch_load_b128 v[6:9], off, off offset:640
	v_add_f64 v[48:49], v[48:49], v[228:229]
	v_add_f64 v[50:51], v[50:51], v[226:227]
	;; [unrolled: 54-line block ×4, first 2 shown]
	v_fma_f64 v[168:169], v[4:5], v[18:19], v[168:169]
	v_fma_f64 v[228:229], v[2:3], v[18:19], -v[20:21]
	scratch_load_b128 v[18:21], off, off offset:848
	ds_load_b128 v[2:5], v1 offset:1584
	s_waitcnt vmcnt(9) lgkmcnt(1)
	v_mul_f64 v[226:227], v[220:221], v[24:25]
	v_mul_f64 v[24:25], v[222:223], v[24:25]
	v_add_f64 v[48:49], v[48:49], v[171:172]
	v_add_f64 v[50:51], v[50:51], v[164:165]
	s_waitcnt vmcnt(8) lgkmcnt(0)
	v_mul_f64 v[164:165], v[2:3], v[28:29]
	v_mul_f64 v[28:29], v[4:5], v[28:29]
	ds_load_b128 v[171:174], v1 offset:1600
	v_fma_f64 v[222:223], v[222:223], v[22:23], v[226:227]
	v_fma_f64 v[22:23], v[220:221], v[22:23], -v[24:25]
	v_add_f64 v[24:25], v[48:49], v[228:229]
	v_add_f64 v[48:49], v[50:51], v[168:169]
	s_waitcnt vmcnt(7) lgkmcnt(0)
	v_mul_f64 v[50:51], v[171:172], v[32:33]
	v_mul_f64 v[32:33], v[173:174], v[32:33]
	v_fma_f64 v[164:165], v[4:5], v[26:27], v[164:165]
	v_fma_f64 v[26:27], v[2:3], v[26:27], -v[28:29]
	v_add_f64 v[28:29], v[24:25], v[22:23]
	v_add_f64 v[48:49], v[48:49], v[222:223]
	ds_load_b128 v[2:5], v1 offset:1616
	ds_load_b128 v[22:25], v1 offset:1632
	v_fma_f64 v[50:51], v[173:174], v[30:31], v[50:51]
	v_fma_f64 v[30:31], v[171:172], v[30:31], -v[32:33]
	s_waitcnt vmcnt(6) lgkmcnt(1)
	v_mul_f64 v[168:169], v[2:3], v[36:37]
	v_mul_f64 v[36:37], v[4:5], v[36:37]
	s_waitcnt vmcnt(5) lgkmcnt(0)
	v_mul_f64 v[32:33], v[22:23], v[159:160]
	v_add_f64 v[26:27], v[28:29], v[26:27]
	v_add_f64 v[28:29], v[48:49], v[164:165]
	v_mul_f64 v[48:49], v[24:25], v[159:160]
	v_fma_f64 v[159:160], v[4:5], v[34:35], v[168:169]
	v_fma_f64 v[34:35], v[2:3], v[34:35], -v[36:37]
	v_fma_f64 v[24:25], v[24:25], v[157:158], v[32:33]
	v_add_f64 v[30:31], v[26:27], v[30:31]
	v_add_f64 v[36:37], v[28:29], v[50:51]
	ds_load_b128 v[2:5], v1 offset:1648
	ds_load_b128 v[26:29], v1 offset:1664
	v_fma_f64 v[22:23], v[22:23], v[157:158], -v[48:49]
	s_waitcnt vmcnt(4) lgkmcnt(1)
	v_mul_f64 v[50:51], v[2:3], v[40:41]
	v_mul_f64 v[40:41], v[4:5], v[40:41]
	v_add_f64 v[30:31], v[30:31], v[34:35]
	v_add_f64 v[32:33], v[36:37], v[159:160]
	s_waitcnt vmcnt(3) lgkmcnt(0)
	v_mul_f64 v[34:35], v[26:27], v[8:9]
	v_mul_f64 v[8:9], v[28:29], v[8:9]
	v_fma_f64 v[36:37], v[4:5], v[38:39], v[50:51]
	v_fma_f64 v[38:39], v[2:3], v[38:39], -v[40:41]
	v_add_f64 v[30:31], v[30:31], v[22:23]
	v_add_f64 v[32:33], v[32:33], v[24:25]
	ds_load_b128 v[2:5], v1 offset:1680
	ds_load_b128 v[22:25], v1 offset:1696
	v_fma_f64 v[28:29], v[28:29], v[6:7], v[34:35]
	v_fma_f64 v[6:7], v[26:27], v[6:7], -v[8:9]
	s_waitcnt vmcnt(2) lgkmcnt(1)
	v_mul_f64 v[40:41], v[2:3], v[12:13]
	v_mul_f64 v[12:13], v[4:5], v[12:13]
	v_add_f64 v[8:9], v[30:31], v[38:39]
	v_add_f64 v[26:27], v[32:33], v[36:37]
	s_waitcnt vmcnt(1) lgkmcnt(0)
	v_mul_f64 v[30:31], v[22:23], v[16:17]
	v_mul_f64 v[16:17], v[24:25], v[16:17]
	v_fma_f64 v[32:33], v[4:5], v[10:11], v[40:41]
	v_fma_f64 v[10:11], v[2:3], v[10:11], -v[12:13]
	ds_load_b128 v[2:5], v1 offset:1712
	v_add_f64 v[6:7], v[8:9], v[6:7]
	v_add_f64 v[8:9], v[26:27], v[28:29]
	v_fma_f64 v[24:25], v[24:25], v[14:15], v[30:31]
	v_fma_f64 v[14:15], v[22:23], v[14:15], -v[16:17]
	s_waitcnt vmcnt(0) lgkmcnt(0)
	v_mul_f64 v[12:13], v[2:3], v[20:21]
	v_mul_f64 v[20:21], v[4:5], v[20:21]
	v_add_f64 v[6:7], v[6:7], v[10:11]
	v_add_f64 v[8:9], v[8:9], v[32:33]
	s_delay_alu instid0(VALU_DEP_4) | instskip(NEXT) | instid1(VALU_DEP_4)
	v_fma_f64 v[4:5], v[4:5], v[18:19], v[12:13]
	v_fma_f64 v[2:3], v[2:3], v[18:19], -v[20:21]
	s_delay_alu instid0(VALU_DEP_4) | instskip(NEXT) | instid1(VALU_DEP_4)
	v_add_f64 v[6:7], v[6:7], v[14:15]
	v_add_f64 v[8:9], v[8:9], v[24:25]
	s_delay_alu instid0(VALU_DEP_2) | instskip(NEXT) | instid1(VALU_DEP_2)
	v_add_f64 v[2:3], v[6:7], v[2:3]
	v_add_f64 v[4:5], v[8:9], v[4:5]
	s_delay_alu instid0(VALU_DEP_2) | instskip(NEXT) | instid1(VALU_DEP_2)
	v_add_f64 v[2:3], v[42:43], -v[2:3]
	v_add_f64 v[4:5], v[44:45], -v[4:5]
	scratch_store_b128 off, v[2:5], off offset:128
	v_cmpx_lt_u32_e32 7, v154
	s_cbranch_execz .LBB117_323
; %bb.322:
	scratch_load_b128 v[5:8], v201, off
	v_mov_b32_e32 v2, v1
	v_mov_b32_e32 v3, v1
	;; [unrolled: 1-line block ×3, first 2 shown]
	scratch_store_b128 off, v[1:4], off offset:112
	s_waitcnt vmcnt(0)
	ds_store_b128 v208, v[5:8]
.LBB117_323:
	s_or_b32 exec_lo, exec_lo, s2
	s_waitcnt lgkmcnt(0)
	s_waitcnt_vscnt null, 0x0
	s_barrier
	buffer_gl0_inv
	s_clause 0x8
	scratch_load_b128 v[2:5], off, off offset:128
	scratch_load_b128 v[6:9], off, off offset:144
	;; [unrolled: 1-line block ×9, first 2 shown]
	ds_load_b128 v[42:45], v1 offset:992
	ds_load_b128 v[38:41], v1 offset:1008
	s_clause 0x1
	scratch_load_b128 v[157:160], off, off offset:112
	scratch_load_b128 v[171:174], off, off offset:272
	s_mov_b32 s2, exec_lo
	ds_load_b128 v[220:223], v1 offset:1040
	s_waitcnt vmcnt(10) lgkmcnt(2)
	v_mul_f64 v[48:49], v[44:45], v[4:5]
	v_mul_f64 v[4:5], v[42:43], v[4:5]
	s_waitcnt vmcnt(9) lgkmcnt(1)
	v_mul_f64 v[50:51], v[38:39], v[8:9]
	v_mul_f64 v[8:9], v[40:41], v[8:9]
	s_delay_alu instid0(VALU_DEP_4) | instskip(NEXT) | instid1(VALU_DEP_4)
	v_fma_f64 v[48:49], v[42:43], v[2:3], -v[48:49]
	v_fma_f64 v[164:165], v[44:45], v[2:3], v[4:5]
	ds_load_b128 v[2:5], v1 offset:1024
	scratch_load_b128 v[42:45], off, off offset:288
	v_fma_f64 v[40:41], v[40:41], v[6:7], v[50:51]
	v_fma_f64 v[38:39], v[38:39], v[6:7], -v[8:9]
	scratch_load_b128 v[6:9], off, off offset:304
	s_waitcnt vmcnt(10) lgkmcnt(0)
	v_mul_f64 v[168:169], v[2:3], v[12:13]
	v_mul_f64 v[12:13], v[4:5], v[12:13]
	v_add_f64 v[48:49], v[48:49], 0
	v_add_f64 v[50:51], v[164:165], 0
	s_waitcnt vmcnt(9)
	v_mul_f64 v[164:165], v[220:221], v[16:17]
	v_mul_f64 v[16:17], v[222:223], v[16:17]
	v_fma_f64 v[168:169], v[4:5], v[10:11], v[168:169]
	v_fma_f64 v[226:227], v[2:3], v[10:11], -v[12:13]
	ds_load_b128 v[2:5], v1 offset:1056
	scratch_load_b128 v[10:13], off, off offset:320
	v_add_f64 v[48:49], v[48:49], v[38:39]
	v_add_f64 v[50:51], v[50:51], v[40:41]
	ds_load_b128 v[38:41], v1 offset:1072
	v_fma_f64 v[164:165], v[222:223], v[14:15], v[164:165]
	v_fma_f64 v[220:221], v[220:221], v[14:15], -v[16:17]
	scratch_load_b128 v[14:17], off, off offset:336
	s_waitcnt vmcnt(10) lgkmcnt(1)
	v_mul_f64 v[228:229], v[2:3], v[20:21]
	v_mul_f64 v[20:21], v[4:5], v[20:21]
	v_add_f64 v[48:49], v[48:49], v[226:227]
	v_add_f64 v[50:51], v[50:51], v[168:169]
	s_waitcnt vmcnt(9) lgkmcnt(0)
	v_mul_f64 v[168:169], v[38:39], v[24:25]
	v_mul_f64 v[24:25], v[40:41], v[24:25]
	v_fma_f64 v[226:227], v[4:5], v[18:19], v[228:229]
	v_fma_f64 v[228:229], v[2:3], v[18:19], -v[20:21]
	ds_load_b128 v[2:5], v1 offset:1088
	scratch_load_b128 v[18:21], off, off offset:352
	v_add_f64 v[48:49], v[48:49], v[220:221]
	v_add_f64 v[50:51], v[50:51], v[164:165]
	ds_load_b128 v[220:223], v1 offset:1104
	s_waitcnt vmcnt(9) lgkmcnt(1)
	v_mul_f64 v[164:165], v[2:3], v[28:29]
	v_mul_f64 v[28:29], v[4:5], v[28:29]
	v_fma_f64 v[40:41], v[40:41], v[22:23], v[168:169]
	v_fma_f64 v[38:39], v[38:39], v[22:23], -v[24:25]
	scratch_load_b128 v[22:25], off, off offset:368
	s_waitcnt vmcnt(9) lgkmcnt(0)
	v_mul_f64 v[168:169], v[220:221], v[32:33]
	v_mul_f64 v[32:33], v[222:223], v[32:33]
	v_add_f64 v[48:49], v[48:49], v[228:229]
	v_add_f64 v[50:51], v[50:51], v[226:227]
	v_fma_f64 v[164:165], v[4:5], v[26:27], v[164:165]
	v_fma_f64 v[226:227], v[2:3], v[26:27], -v[28:29]
	ds_load_b128 v[2:5], v1 offset:1120
	scratch_load_b128 v[26:29], off, off offset:384
	v_fma_f64 v[168:169], v[222:223], v[30:31], v[168:169]
	v_fma_f64 v[220:221], v[220:221], v[30:31], -v[32:33]
	scratch_load_b128 v[30:33], off, off offset:400
	v_add_f64 v[48:49], v[48:49], v[38:39]
	v_add_f64 v[50:51], v[50:51], v[40:41]
	ds_load_b128 v[38:41], v1 offset:1136
	s_waitcnt vmcnt(10) lgkmcnt(1)
	v_mul_f64 v[228:229], v[2:3], v[36:37]
	v_mul_f64 v[36:37], v[4:5], v[36:37]
	v_add_f64 v[48:49], v[48:49], v[226:227]
	v_add_f64 v[50:51], v[50:51], v[164:165]
	s_waitcnt vmcnt(8) lgkmcnt(0)
	v_mul_f64 v[164:165], v[38:39], v[173:174]
	v_mul_f64 v[173:174], v[40:41], v[173:174]
	v_fma_f64 v[226:227], v[4:5], v[34:35], v[228:229]
	v_fma_f64 v[228:229], v[2:3], v[34:35], -v[36:37]
	ds_load_b128 v[2:5], v1 offset:1152
	scratch_load_b128 v[34:37], off, off offset:416
	v_add_f64 v[48:49], v[48:49], v[220:221]
	v_add_f64 v[50:51], v[50:51], v[168:169]
	ds_load_b128 v[220:223], v1 offset:1168
	v_fma_f64 v[164:165], v[40:41], v[171:172], v[164:165]
	v_fma_f64 v[171:172], v[38:39], v[171:172], -v[173:174]
	scratch_load_b128 v[38:41], off, off offset:432
	s_waitcnt vmcnt(9) lgkmcnt(1)
	v_mul_f64 v[168:169], v[2:3], v[44:45]
	v_mul_f64 v[44:45], v[4:5], v[44:45]
	v_add_f64 v[48:49], v[48:49], v[228:229]
	v_add_f64 v[50:51], v[50:51], v[226:227]
	s_waitcnt vmcnt(8) lgkmcnt(0)
	v_mul_f64 v[226:227], v[220:221], v[8:9]
	v_mul_f64 v[8:9], v[222:223], v[8:9]
	v_fma_f64 v[168:169], v[4:5], v[42:43], v[168:169]
	v_fma_f64 v[228:229], v[2:3], v[42:43], -v[44:45]
	ds_load_b128 v[2:5], v1 offset:1184
	scratch_load_b128 v[42:45], off, off offset:448
	v_add_f64 v[48:49], v[48:49], v[171:172]
	v_add_f64 v[50:51], v[50:51], v[164:165]
	ds_load_b128 v[171:174], v1 offset:1200
	s_waitcnt vmcnt(8) lgkmcnt(1)
	v_mul_f64 v[164:165], v[2:3], v[12:13]
	v_mul_f64 v[12:13], v[4:5], v[12:13]
	v_fma_f64 v[222:223], v[222:223], v[6:7], v[226:227]
	v_fma_f64 v[220:221], v[220:221], v[6:7], -v[8:9]
	scratch_load_b128 v[6:9], off, off offset:464
	v_add_f64 v[48:49], v[48:49], v[228:229]
	v_add_f64 v[50:51], v[50:51], v[168:169]
	s_waitcnt vmcnt(8) lgkmcnt(0)
	v_mul_f64 v[168:169], v[171:172], v[16:17]
	v_mul_f64 v[16:17], v[173:174], v[16:17]
	v_fma_f64 v[164:165], v[4:5], v[10:11], v[164:165]
	v_fma_f64 v[226:227], v[2:3], v[10:11], -v[12:13]
	ds_load_b128 v[2:5], v1 offset:1216
	scratch_load_b128 v[10:13], off, off offset:480
	v_add_f64 v[48:49], v[48:49], v[220:221]
	v_add_f64 v[50:51], v[50:51], v[222:223]
	ds_load_b128 v[220:223], v1 offset:1232
	s_waitcnt vmcnt(8) lgkmcnt(1)
	v_mul_f64 v[228:229], v[2:3], v[20:21]
	v_mul_f64 v[20:21], v[4:5], v[20:21]
	v_fma_f64 v[168:169], v[173:174], v[14:15], v[168:169]
	v_fma_f64 v[171:172], v[171:172], v[14:15], -v[16:17]
	scratch_load_b128 v[14:17], off, off offset:496
	;; [unrolled: 18-line block ×13, first 2 shown]
	v_add_f64 v[48:49], v[48:49], v[228:229]
	v_add_f64 v[50:51], v[50:51], v[168:169]
	s_waitcnt vmcnt(8) lgkmcnt(0)
	v_mul_f64 v[168:169], v[171:172], v[32:33]
	v_mul_f64 v[32:33], v[173:174], v[32:33]
	v_fma_f64 v[164:165], v[4:5], v[26:27], v[164:165]
	v_fma_f64 v[226:227], v[2:3], v[26:27], -v[28:29]
	ds_load_b128 v[2:5], v1 offset:1600
	ds_load_b128 v[26:29], v1 offset:1616
	v_add_f64 v[48:49], v[48:49], v[220:221]
	v_add_f64 v[50:51], v[50:51], v[222:223]
	s_waitcnt vmcnt(7) lgkmcnt(1)
	v_mul_f64 v[220:221], v[2:3], v[36:37]
	v_mul_f64 v[36:37], v[4:5], v[36:37]
	v_fma_f64 v[168:169], v[173:174], v[30:31], v[168:169]
	v_fma_f64 v[30:31], v[171:172], v[30:31], -v[32:33]
	v_add_f64 v[32:33], v[48:49], v[226:227]
	v_add_f64 v[48:49], v[50:51], v[164:165]
	s_waitcnt vmcnt(6) lgkmcnt(0)
	v_mul_f64 v[50:51], v[26:27], v[40:41]
	v_mul_f64 v[40:41], v[28:29], v[40:41]
	v_fma_f64 v[164:165], v[4:5], v[34:35], v[220:221]
	v_fma_f64 v[34:35], v[2:3], v[34:35], -v[36:37]
	v_add_f64 v[36:37], v[32:33], v[30:31]
	v_add_f64 v[48:49], v[48:49], v[168:169]
	ds_load_b128 v[2:5], v1 offset:1632
	ds_load_b128 v[30:33], v1 offset:1648
	v_fma_f64 v[28:29], v[28:29], v[38:39], v[50:51]
	v_fma_f64 v[26:27], v[26:27], v[38:39], -v[40:41]
	s_waitcnt vmcnt(5) lgkmcnt(1)
	v_mul_f64 v[168:169], v[2:3], v[44:45]
	v_mul_f64 v[44:45], v[4:5], v[44:45]
	s_waitcnt vmcnt(4) lgkmcnt(0)
	v_mul_f64 v[38:39], v[30:31], v[8:9]
	v_mul_f64 v[8:9], v[32:33], v[8:9]
	v_add_f64 v[34:35], v[36:37], v[34:35]
	v_add_f64 v[36:37], v[48:49], v[164:165]
	v_fma_f64 v[40:41], v[4:5], v[42:43], v[168:169]
	v_fma_f64 v[42:43], v[2:3], v[42:43], -v[44:45]
	v_fma_f64 v[32:33], v[32:33], v[6:7], v[38:39]
	v_fma_f64 v[6:7], v[30:31], v[6:7], -v[8:9]
	v_add_f64 v[34:35], v[34:35], v[26:27]
	v_add_f64 v[36:37], v[36:37], v[28:29]
	ds_load_b128 v[2:5], v1 offset:1664
	ds_load_b128 v[26:29], v1 offset:1680
	s_waitcnt vmcnt(3) lgkmcnt(1)
	v_mul_f64 v[44:45], v[2:3], v[12:13]
	v_mul_f64 v[12:13], v[4:5], v[12:13]
	v_add_f64 v[8:9], v[34:35], v[42:43]
	v_add_f64 v[30:31], v[36:37], v[40:41]
	s_waitcnt vmcnt(2) lgkmcnt(0)
	v_mul_f64 v[34:35], v[26:27], v[16:17]
	v_mul_f64 v[16:17], v[28:29], v[16:17]
	v_fma_f64 v[36:37], v[4:5], v[10:11], v[44:45]
	v_fma_f64 v[10:11], v[2:3], v[10:11], -v[12:13]
	v_add_f64 v[12:13], v[8:9], v[6:7]
	v_add_f64 v[30:31], v[30:31], v[32:33]
	ds_load_b128 v[2:5], v1 offset:1696
	ds_load_b128 v[6:9], v1 offset:1712
	v_fma_f64 v[28:29], v[28:29], v[14:15], v[34:35]
	v_fma_f64 v[14:15], v[26:27], v[14:15], -v[16:17]
	s_waitcnt vmcnt(1) lgkmcnt(1)
	v_mul_f64 v[32:33], v[2:3], v[20:21]
	v_mul_f64 v[20:21], v[4:5], v[20:21]
	s_waitcnt vmcnt(0) lgkmcnt(0)
	v_mul_f64 v[16:17], v[6:7], v[24:25]
	v_mul_f64 v[24:25], v[8:9], v[24:25]
	v_add_f64 v[10:11], v[12:13], v[10:11]
	v_add_f64 v[12:13], v[30:31], v[36:37]
	v_fma_f64 v[4:5], v[4:5], v[18:19], v[32:33]
	v_fma_f64 v[1:2], v[2:3], v[18:19], -v[20:21]
	v_fma_f64 v[8:9], v[8:9], v[22:23], v[16:17]
	v_fma_f64 v[6:7], v[6:7], v[22:23], -v[24:25]
	v_add_f64 v[10:11], v[10:11], v[14:15]
	v_add_f64 v[12:13], v[12:13], v[28:29]
	s_delay_alu instid0(VALU_DEP_2) | instskip(NEXT) | instid1(VALU_DEP_2)
	v_add_f64 v[1:2], v[10:11], v[1:2]
	v_add_f64 v[3:4], v[12:13], v[4:5]
	s_delay_alu instid0(VALU_DEP_2) | instskip(NEXT) | instid1(VALU_DEP_2)
	;; [unrolled: 3-line block ×3, first 2 shown]
	v_add_f64 v[1:2], v[157:158], -v[1:2]
	v_add_f64 v[3:4], v[159:160], -v[3:4]
	scratch_store_b128 off, v[1:4], off offset:112
	v_cmpx_lt_u32_e32 6, v154
	s_cbranch_execz .LBB117_325
; %bb.324:
	scratch_load_b128 v[1:4], v202, off
	v_mov_b32_e32 v5, 0
	s_delay_alu instid0(VALU_DEP_1)
	v_mov_b32_e32 v6, v5
	v_mov_b32_e32 v7, v5
	;; [unrolled: 1-line block ×3, first 2 shown]
	scratch_store_b128 off, v[5:8], off offset:96
	s_waitcnt vmcnt(0)
	ds_store_b128 v208, v[1:4]
.LBB117_325:
	s_or_b32 exec_lo, exec_lo, s2
	s_waitcnt lgkmcnt(0)
	s_waitcnt_vscnt null, 0x0
	s_barrier
	buffer_gl0_inv
	s_clause 0x7
	scratch_load_b128 v[2:5], off, off offset:112
	scratch_load_b128 v[6:9], off, off offset:128
	;; [unrolled: 1-line block ×8, first 2 shown]
	v_mov_b32_e32 v1, 0
	s_mov_b32 s2, exec_lo
	ds_load_b128 v[38:41], v1 offset:976
	s_clause 0x1
	scratch_load_b128 v[34:37], off, off offset:240
	scratch_load_b128 v[42:45], off, off offset:96
	ds_load_b128 v[157:160], v1 offset:992
	scratch_load_b128 v[171:174], off, off offset:256
	ds_load_b128 v[220:223], v1 offset:1024
	s_waitcnt vmcnt(10) lgkmcnt(2)
	v_mul_f64 v[48:49], v[40:41], v[4:5]
	v_mul_f64 v[4:5], v[38:39], v[4:5]
	s_delay_alu instid0(VALU_DEP_2) | instskip(NEXT) | instid1(VALU_DEP_2)
	v_fma_f64 v[48:49], v[38:39], v[2:3], -v[48:49]
	v_fma_f64 v[164:165], v[40:41], v[2:3], v[4:5]
	ds_load_b128 v[2:5], v1 offset:1008
	s_waitcnt vmcnt(9) lgkmcnt(2)
	v_mul_f64 v[50:51], v[157:158], v[8:9]
	v_mul_f64 v[8:9], v[159:160], v[8:9]
	scratch_load_b128 v[38:41], off, off offset:272
	s_waitcnt vmcnt(9) lgkmcnt(0)
	v_mul_f64 v[168:169], v[2:3], v[12:13]
	v_mul_f64 v[12:13], v[4:5], v[12:13]
	v_add_f64 v[48:49], v[48:49], 0
	v_fma_f64 v[50:51], v[159:160], v[6:7], v[50:51]
	v_fma_f64 v[157:158], v[157:158], v[6:7], -v[8:9]
	v_add_f64 v[159:160], v[164:165], 0
	scratch_load_b128 v[6:9], off, off offset:288
	v_fma_f64 v[168:169], v[4:5], v[10:11], v[168:169]
	v_fma_f64 v[226:227], v[2:3], v[10:11], -v[12:13]
	scratch_load_b128 v[10:13], off, off offset:304
	ds_load_b128 v[2:5], v1 offset:1040
	s_waitcnt vmcnt(10)
	v_mul_f64 v[164:165], v[220:221], v[16:17]
	v_mul_f64 v[16:17], v[222:223], v[16:17]
	v_add_f64 v[48:49], v[48:49], v[157:158]
	v_add_f64 v[50:51], v[159:160], v[50:51]
	ds_load_b128 v[157:160], v1 offset:1056
	s_waitcnt vmcnt(9) lgkmcnt(1)
	v_mul_f64 v[228:229], v[2:3], v[20:21]
	v_mul_f64 v[20:21], v[4:5], v[20:21]
	v_fma_f64 v[164:165], v[222:223], v[14:15], v[164:165]
	v_fma_f64 v[220:221], v[220:221], v[14:15], -v[16:17]
	scratch_load_b128 v[14:17], off, off offset:320
	v_add_f64 v[48:49], v[48:49], v[226:227]
	v_add_f64 v[50:51], v[50:51], v[168:169]
	v_fma_f64 v[226:227], v[4:5], v[18:19], v[228:229]
	v_fma_f64 v[228:229], v[2:3], v[18:19], -v[20:21]
	scratch_load_b128 v[18:21], off, off offset:336
	ds_load_b128 v[2:5], v1 offset:1072
	s_waitcnt vmcnt(10) lgkmcnt(1)
	v_mul_f64 v[168:169], v[157:158], v[24:25]
	v_mul_f64 v[24:25], v[159:160], v[24:25]
	v_add_f64 v[48:49], v[48:49], v[220:221]
	v_add_f64 v[50:51], v[50:51], v[164:165]
	s_waitcnt vmcnt(9) lgkmcnt(0)
	v_mul_f64 v[164:165], v[2:3], v[28:29]
	v_mul_f64 v[28:29], v[4:5], v[28:29]
	ds_load_b128 v[220:223], v1 offset:1088
	v_fma_f64 v[159:160], v[159:160], v[22:23], v[168:169]
	v_fma_f64 v[157:158], v[157:158], v[22:23], -v[24:25]
	scratch_load_b128 v[22:25], off, off offset:352
	v_add_f64 v[48:49], v[48:49], v[228:229]
	v_add_f64 v[50:51], v[50:51], v[226:227]
	v_fma_f64 v[164:165], v[4:5], v[26:27], v[164:165]
	v_fma_f64 v[226:227], v[2:3], v[26:27], -v[28:29]
	scratch_load_b128 v[26:29], off, off offset:368
	ds_load_b128 v[2:5], v1 offset:1104
	s_waitcnt vmcnt(10) lgkmcnt(1)
	v_mul_f64 v[168:169], v[220:221], v[32:33]
	v_mul_f64 v[32:33], v[222:223], v[32:33]
	s_waitcnt vmcnt(9) lgkmcnt(0)
	v_mul_f64 v[228:229], v[2:3], v[36:37]
	v_mul_f64 v[36:37], v[4:5], v[36:37]
	v_add_f64 v[48:49], v[48:49], v[157:158]
	v_add_f64 v[50:51], v[50:51], v[159:160]
	ds_load_b128 v[157:160], v1 offset:1120
	v_fma_f64 v[168:169], v[222:223], v[30:31], v[168:169]
	v_fma_f64 v[220:221], v[220:221], v[30:31], -v[32:33]
	scratch_load_b128 v[30:33], off, off offset:384
	v_add_f64 v[48:49], v[48:49], v[226:227]
	v_add_f64 v[50:51], v[50:51], v[164:165]
	v_fma_f64 v[226:227], v[4:5], v[34:35], v[228:229]
	v_fma_f64 v[228:229], v[2:3], v[34:35], -v[36:37]
	scratch_load_b128 v[34:37], off, off offset:400
	ds_load_b128 v[2:5], v1 offset:1136
	s_waitcnt vmcnt(9) lgkmcnt(1)
	v_mul_f64 v[164:165], v[157:158], v[173:174]
	v_mul_f64 v[173:174], v[159:160], v[173:174]
	v_add_f64 v[48:49], v[48:49], v[220:221]
	v_add_f64 v[50:51], v[50:51], v[168:169]
	ds_load_b128 v[220:223], v1 offset:1152
	v_fma_f64 v[164:165], v[159:160], v[171:172], v[164:165]
	v_fma_f64 v[171:172], v[157:158], v[171:172], -v[173:174]
	scratch_load_b128 v[157:160], off, off offset:416
	s_waitcnt vmcnt(9) lgkmcnt(1)
	v_mul_f64 v[168:169], v[2:3], v[40:41]
	v_mul_f64 v[40:41], v[4:5], v[40:41]
	v_add_f64 v[48:49], v[48:49], v[228:229]
	v_add_f64 v[50:51], v[50:51], v[226:227]
	s_delay_alu instid0(VALU_DEP_4) | instskip(NEXT) | instid1(VALU_DEP_4)
	v_fma_f64 v[168:169], v[4:5], v[38:39], v[168:169]
	v_fma_f64 v[228:229], v[2:3], v[38:39], -v[40:41]
	scratch_load_b128 v[38:41], off, off offset:432
	ds_load_b128 v[2:5], v1 offset:1168
	s_waitcnt vmcnt(9) lgkmcnt(1)
	v_mul_f64 v[226:227], v[220:221], v[8:9]
	v_mul_f64 v[8:9], v[222:223], v[8:9]
	v_add_f64 v[48:49], v[48:49], v[171:172]
	v_add_f64 v[50:51], v[50:51], v[164:165]
	s_waitcnt vmcnt(8) lgkmcnt(0)
	v_mul_f64 v[164:165], v[2:3], v[12:13]
	v_mul_f64 v[12:13], v[4:5], v[12:13]
	ds_load_b128 v[171:174], v1 offset:1184
	v_fma_f64 v[222:223], v[222:223], v[6:7], v[226:227]
	v_fma_f64 v[220:221], v[220:221], v[6:7], -v[8:9]
	scratch_load_b128 v[6:9], off, off offset:448
	v_add_f64 v[48:49], v[48:49], v[228:229]
	v_add_f64 v[50:51], v[50:51], v[168:169]
	v_fma_f64 v[164:165], v[4:5], v[10:11], v[164:165]
	v_fma_f64 v[226:227], v[2:3], v[10:11], -v[12:13]
	scratch_load_b128 v[10:13], off, off offset:464
	ds_load_b128 v[2:5], v1 offset:1200
	s_waitcnt vmcnt(9) lgkmcnt(1)
	v_mul_f64 v[168:169], v[171:172], v[16:17]
	v_mul_f64 v[16:17], v[173:174], v[16:17]
	s_waitcnt vmcnt(8) lgkmcnt(0)
	v_mul_f64 v[228:229], v[2:3], v[20:21]
	v_mul_f64 v[20:21], v[4:5], v[20:21]
	v_add_f64 v[48:49], v[48:49], v[220:221]
	v_add_f64 v[50:51], v[50:51], v[222:223]
	ds_load_b128 v[220:223], v1 offset:1216
	v_fma_f64 v[168:169], v[173:174], v[14:15], v[168:169]
	v_fma_f64 v[171:172], v[171:172], v[14:15], -v[16:17]
	scratch_load_b128 v[14:17], off, off offset:480
	v_add_f64 v[48:49], v[48:49], v[226:227]
	v_add_f64 v[50:51], v[50:51], v[164:165]
	v_fma_f64 v[226:227], v[4:5], v[18:19], v[228:229]
	v_fma_f64 v[228:229], v[2:3], v[18:19], -v[20:21]
	scratch_load_b128 v[18:21], off, off offset:496
	ds_load_b128 v[2:5], v1 offset:1232
	s_waitcnt vmcnt(9) lgkmcnt(1)
	v_mul_f64 v[164:165], v[220:221], v[24:25]
	v_mul_f64 v[24:25], v[222:223], v[24:25]
	v_add_f64 v[48:49], v[48:49], v[171:172]
	v_add_f64 v[50:51], v[50:51], v[168:169]
	s_waitcnt vmcnt(8) lgkmcnt(0)
	v_mul_f64 v[168:169], v[2:3], v[28:29]
	v_mul_f64 v[28:29], v[4:5], v[28:29]
	ds_load_b128 v[171:174], v1 offset:1248
	v_fma_f64 v[164:165], v[222:223], v[22:23], v[164:165]
	v_fma_f64 v[220:221], v[220:221], v[22:23], -v[24:25]
	scratch_load_b128 v[22:25], off, off offset:512
	v_add_f64 v[48:49], v[48:49], v[228:229]
	v_add_f64 v[50:51], v[50:51], v[226:227]
	v_fma_f64 v[168:169], v[4:5], v[26:27], v[168:169]
	v_fma_f64 v[228:229], v[2:3], v[26:27], -v[28:29]
	scratch_load_b128 v[26:29], off, off offset:528
	ds_load_b128 v[2:5], v1 offset:1264
	s_waitcnt vmcnt(9) lgkmcnt(1)
	v_mul_f64 v[226:227], v[171:172], v[32:33]
	v_mul_f64 v[32:33], v[173:174], v[32:33]
	v_add_f64 v[48:49], v[48:49], v[220:221]
	v_add_f64 v[50:51], v[50:51], v[164:165]
	s_waitcnt vmcnt(8) lgkmcnt(0)
	v_mul_f64 v[164:165], v[2:3], v[36:37]
	v_mul_f64 v[36:37], v[4:5], v[36:37]
	ds_load_b128 v[220:223], v1 offset:1280
	v_fma_f64 v[173:174], v[173:174], v[30:31], v[226:227]
	v_fma_f64 v[171:172], v[171:172], v[30:31], -v[32:33]
	scratch_load_b128 v[30:33], off, off offset:544
	v_add_f64 v[48:49], v[48:49], v[228:229]
	v_add_f64 v[50:51], v[50:51], v[168:169]
	v_fma_f64 v[164:165], v[4:5], v[34:35], v[164:165]
	v_fma_f64 v[226:227], v[2:3], v[34:35], -v[36:37]
	scratch_load_b128 v[34:37], off, off offset:560
	ds_load_b128 v[2:5], v1 offset:1296
	s_waitcnt vmcnt(9) lgkmcnt(1)
	v_mul_f64 v[168:169], v[220:221], v[159:160]
	v_mul_f64 v[159:160], v[222:223], v[159:160]
	s_waitcnt vmcnt(8) lgkmcnt(0)
	v_mul_f64 v[228:229], v[2:3], v[40:41]
	v_mul_f64 v[40:41], v[4:5], v[40:41]
	v_add_f64 v[48:49], v[48:49], v[171:172]
	v_add_f64 v[50:51], v[50:51], v[173:174]
	ds_load_b128 v[171:174], v1 offset:1312
	v_fma_f64 v[168:169], v[222:223], v[157:158], v[168:169]
	v_fma_f64 v[220:221], v[220:221], v[157:158], -v[159:160]
	scratch_load_b128 v[157:160], off, off offset:576
	v_add_f64 v[48:49], v[48:49], v[226:227]
	v_add_f64 v[50:51], v[50:51], v[164:165]
	v_fma_f64 v[226:227], v[4:5], v[38:39], v[228:229]
	v_fma_f64 v[228:229], v[2:3], v[38:39], -v[40:41]
	scratch_load_b128 v[38:41], off, off offset:592
	ds_load_b128 v[2:5], v1 offset:1328
	s_waitcnt vmcnt(9) lgkmcnt(1)
	v_mul_f64 v[164:165], v[171:172], v[8:9]
	v_mul_f64 v[8:9], v[173:174], v[8:9]
	v_add_f64 v[48:49], v[48:49], v[220:221]
	v_add_f64 v[50:51], v[50:51], v[168:169]
	s_waitcnt vmcnt(8) lgkmcnt(0)
	v_mul_f64 v[168:169], v[2:3], v[12:13]
	v_mul_f64 v[12:13], v[4:5], v[12:13]
	ds_load_b128 v[220:223], v1 offset:1344
	v_fma_f64 v[164:165], v[173:174], v[6:7], v[164:165]
	v_fma_f64 v[171:172], v[171:172], v[6:7], -v[8:9]
	scratch_load_b128 v[6:9], off, off offset:608
	v_add_f64 v[48:49], v[48:49], v[228:229]
	v_add_f64 v[50:51], v[50:51], v[226:227]
	;; [unrolled: 54-line block ×4, first 2 shown]
	v_fma_f64 v[168:169], v[4:5], v[18:19], v[168:169]
	v_fma_f64 v[228:229], v[2:3], v[18:19], -v[20:21]
	scratch_load_b128 v[18:21], off, off offset:816
	ds_load_b128 v[2:5], v1 offset:1552
	s_waitcnt vmcnt(9) lgkmcnt(1)
	v_mul_f64 v[226:227], v[220:221], v[24:25]
	v_mul_f64 v[24:25], v[222:223], v[24:25]
	v_add_f64 v[48:49], v[48:49], v[171:172]
	v_add_f64 v[50:51], v[50:51], v[164:165]
	s_waitcnt vmcnt(8) lgkmcnt(0)
	v_mul_f64 v[164:165], v[2:3], v[28:29]
	v_mul_f64 v[28:29], v[4:5], v[28:29]
	ds_load_b128 v[171:174], v1 offset:1568
	v_fma_f64 v[222:223], v[222:223], v[22:23], v[226:227]
	v_fma_f64 v[220:221], v[220:221], v[22:23], -v[24:25]
	scratch_load_b128 v[22:25], off, off offset:832
	v_add_f64 v[48:49], v[48:49], v[228:229]
	v_add_f64 v[50:51], v[50:51], v[168:169]
	v_fma_f64 v[164:165], v[4:5], v[26:27], v[164:165]
	v_fma_f64 v[226:227], v[2:3], v[26:27], -v[28:29]
	scratch_load_b128 v[26:29], off, off offset:848
	ds_load_b128 v[2:5], v1 offset:1584
	s_waitcnt vmcnt(9) lgkmcnt(1)
	v_mul_f64 v[168:169], v[171:172], v[32:33]
	v_mul_f64 v[32:33], v[173:174], v[32:33]
	s_waitcnt vmcnt(8) lgkmcnt(0)
	v_mul_f64 v[228:229], v[2:3], v[36:37]
	v_mul_f64 v[36:37], v[4:5], v[36:37]
	v_add_f64 v[48:49], v[48:49], v[220:221]
	v_add_f64 v[50:51], v[50:51], v[222:223]
	ds_load_b128 v[220:223], v1 offset:1600
	v_fma_f64 v[168:169], v[173:174], v[30:31], v[168:169]
	v_fma_f64 v[30:31], v[171:172], v[30:31], -v[32:33]
	v_add_f64 v[32:33], v[48:49], v[226:227]
	v_add_f64 v[48:49], v[50:51], v[164:165]
	s_waitcnt vmcnt(7) lgkmcnt(0)
	v_mul_f64 v[50:51], v[220:221], v[159:160]
	v_mul_f64 v[159:160], v[222:223], v[159:160]
	v_fma_f64 v[164:165], v[4:5], v[34:35], v[228:229]
	v_fma_f64 v[34:35], v[2:3], v[34:35], -v[36:37]
	v_add_f64 v[36:37], v[32:33], v[30:31]
	v_add_f64 v[48:49], v[48:49], v[168:169]
	ds_load_b128 v[2:5], v1 offset:1616
	ds_load_b128 v[30:33], v1 offset:1632
	v_fma_f64 v[50:51], v[222:223], v[157:158], v[50:51]
	v_fma_f64 v[157:158], v[220:221], v[157:158], -v[159:160]
	s_waitcnt vmcnt(6) lgkmcnt(1)
	v_mul_f64 v[168:169], v[2:3], v[40:41]
	v_mul_f64 v[40:41], v[4:5], v[40:41]
	v_add_f64 v[34:35], v[36:37], v[34:35]
	v_add_f64 v[36:37], v[48:49], v[164:165]
	s_waitcnt vmcnt(5) lgkmcnt(0)
	v_mul_f64 v[48:49], v[30:31], v[8:9]
	v_mul_f64 v[8:9], v[32:33], v[8:9]
	v_fma_f64 v[159:160], v[4:5], v[38:39], v[168:169]
	v_fma_f64 v[38:39], v[2:3], v[38:39], -v[40:41]
	v_add_f64 v[40:41], v[34:35], v[157:158]
	v_add_f64 v[50:51], v[36:37], v[50:51]
	ds_load_b128 v[2:5], v1 offset:1648
	ds_load_b128 v[34:37], v1 offset:1664
	v_fma_f64 v[32:33], v[32:33], v[6:7], v[48:49]
	v_fma_f64 v[6:7], v[30:31], v[6:7], -v[8:9]
	s_waitcnt vmcnt(4) lgkmcnt(1)
	v_mul_f64 v[157:158], v[2:3], v[12:13]
	v_mul_f64 v[12:13], v[4:5], v[12:13]
	;; [unrolled: 16-line block ×3, first 2 shown]
	s_waitcnt vmcnt(1) lgkmcnt(0)
	v_mul_f64 v[16:17], v[6:7], v[24:25]
	v_mul_f64 v[24:25], v[8:9], v[24:25]
	v_add_f64 v[10:11], v[12:13], v[10:11]
	v_add_f64 v[12:13], v[30:31], v[40:41]
	v_fma_f64 v[30:31], v[4:5], v[18:19], v[32:33]
	v_fma_f64 v[18:19], v[2:3], v[18:19], -v[20:21]
	ds_load_b128 v[2:5], v1 offset:1712
	v_fma_f64 v[8:9], v[8:9], v[22:23], v[16:17]
	v_fma_f64 v[6:7], v[6:7], v[22:23], -v[24:25]
	v_add_f64 v[10:11], v[10:11], v[14:15]
	v_add_f64 v[12:13], v[12:13], v[36:37]
	s_waitcnt vmcnt(0) lgkmcnt(0)
	v_mul_f64 v[14:15], v[2:3], v[28:29]
	v_mul_f64 v[20:21], v[4:5], v[28:29]
	s_delay_alu instid0(VALU_DEP_4) | instskip(NEXT) | instid1(VALU_DEP_4)
	v_add_f64 v[10:11], v[10:11], v[18:19]
	v_add_f64 v[12:13], v[12:13], v[30:31]
	s_delay_alu instid0(VALU_DEP_4) | instskip(NEXT) | instid1(VALU_DEP_4)
	v_fma_f64 v[4:5], v[4:5], v[26:27], v[14:15]
	v_fma_f64 v[2:3], v[2:3], v[26:27], -v[20:21]
	s_delay_alu instid0(VALU_DEP_4) | instskip(NEXT) | instid1(VALU_DEP_4)
	v_add_f64 v[6:7], v[10:11], v[6:7]
	v_add_f64 v[8:9], v[12:13], v[8:9]
	s_delay_alu instid0(VALU_DEP_2) | instskip(NEXT) | instid1(VALU_DEP_2)
	v_add_f64 v[2:3], v[6:7], v[2:3]
	v_add_f64 v[4:5], v[8:9], v[4:5]
	s_delay_alu instid0(VALU_DEP_2) | instskip(NEXT) | instid1(VALU_DEP_2)
	v_add_f64 v[2:3], v[42:43], -v[2:3]
	v_add_f64 v[4:5], v[44:45], -v[4:5]
	scratch_store_b128 off, v[2:5], off offset:96
	v_cmpx_lt_u32_e32 5, v154
	s_cbranch_execz .LBB117_327
; %bb.326:
	scratch_load_b128 v[5:8], v203, off
	v_mov_b32_e32 v2, v1
	v_mov_b32_e32 v3, v1
	;; [unrolled: 1-line block ×3, first 2 shown]
	scratch_store_b128 off, v[1:4], off offset:80
	s_waitcnt vmcnt(0)
	ds_store_b128 v208, v[5:8]
.LBB117_327:
	s_or_b32 exec_lo, exec_lo, s2
	s_waitcnt lgkmcnt(0)
	s_waitcnt_vscnt null, 0x0
	s_barrier
	buffer_gl0_inv
	s_clause 0x8
	scratch_load_b128 v[2:5], off, off offset:96
	scratch_load_b128 v[6:9], off, off offset:112
	;; [unrolled: 1-line block ×9, first 2 shown]
	ds_load_b128 v[42:45], v1 offset:960
	ds_load_b128 v[38:41], v1 offset:976
	s_clause 0x1
	scratch_load_b128 v[157:160], off, off offset:80
	scratch_load_b128 v[171:174], off, off offset:240
	s_mov_b32 s2, exec_lo
	ds_load_b128 v[220:223], v1 offset:1008
	s_waitcnt vmcnt(10) lgkmcnt(2)
	v_mul_f64 v[48:49], v[44:45], v[4:5]
	v_mul_f64 v[4:5], v[42:43], v[4:5]
	s_waitcnt vmcnt(9) lgkmcnt(1)
	v_mul_f64 v[50:51], v[38:39], v[8:9]
	v_mul_f64 v[8:9], v[40:41], v[8:9]
	s_delay_alu instid0(VALU_DEP_4) | instskip(NEXT) | instid1(VALU_DEP_4)
	v_fma_f64 v[48:49], v[42:43], v[2:3], -v[48:49]
	v_fma_f64 v[164:165], v[44:45], v[2:3], v[4:5]
	ds_load_b128 v[2:5], v1 offset:992
	scratch_load_b128 v[42:45], off, off offset:256
	v_fma_f64 v[40:41], v[40:41], v[6:7], v[50:51]
	v_fma_f64 v[38:39], v[38:39], v[6:7], -v[8:9]
	scratch_load_b128 v[6:9], off, off offset:272
	s_waitcnt vmcnt(10) lgkmcnt(0)
	v_mul_f64 v[168:169], v[2:3], v[12:13]
	v_mul_f64 v[12:13], v[4:5], v[12:13]
	v_add_f64 v[48:49], v[48:49], 0
	v_add_f64 v[50:51], v[164:165], 0
	s_waitcnt vmcnt(9)
	v_mul_f64 v[164:165], v[220:221], v[16:17]
	v_mul_f64 v[16:17], v[222:223], v[16:17]
	v_fma_f64 v[168:169], v[4:5], v[10:11], v[168:169]
	v_fma_f64 v[226:227], v[2:3], v[10:11], -v[12:13]
	ds_load_b128 v[2:5], v1 offset:1024
	scratch_load_b128 v[10:13], off, off offset:288
	v_add_f64 v[48:49], v[48:49], v[38:39]
	v_add_f64 v[50:51], v[50:51], v[40:41]
	ds_load_b128 v[38:41], v1 offset:1040
	v_fma_f64 v[164:165], v[222:223], v[14:15], v[164:165]
	v_fma_f64 v[220:221], v[220:221], v[14:15], -v[16:17]
	scratch_load_b128 v[14:17], off, off offset:304
	s_waitcnt vmcnt(10) lgkmcnt(1)
	v_mul_f64 v[228:229], v[2:3], v[20:21]
	v_mul_f64 v[20:21], v[4:5], v[20:21]
	v_add_f64 v[48:49], v[48:49], v[226:227]
	v_add_f64 v[50:51], v[50:51], v[168:169]
	s_waitcnt vmcnt(9) lgkmcnt(0)
	v_mul_f64 v[168:169], v[38:39], v[24:25]
	v_mul_f64 v[24:25], v[40:41], v[24:25]
	v_fma_f64 v[226:227], v[4:5], v[18:19], v[228:229]
	v_fma_f64 v[228:229], v[2:3], v[18:19], -v[20:21]
	ds_load_b128 v[2:5], v1 offset:1056
	scratch_load_b128 v[18:21], off, off offset:320
	v_add_f64 v[48:49], v[48:49], v[220:221]
	v_add_f64 v[50:51], v[50:51], v[164:165]
	ds_load_b128 v[220:223], v1 offset:1072
	s_waitcnt vmcnt(9) lgkmcnt(1)
	v_mul_f64 v[164:165], v[2:3], v[28:29]
	v_mul_f64 v[28:29], v[4:5], v[28:29]
	v_fma_f64 v[40:41], v[40:41], v[22:23], v[168:169]
	v_fma_f64 v[38:39], v[38:39], v[22:23], -v[24:25]
	scratch_load_b128 v[22:25], off, off offset:336
	s_waitcnt vmcnt(9) lgkmcnt(0)
	v_mul_f64 v[168:169], v[220:221], v[32:33]
	v_mul_f64 v[32:33], v[222:223], v[32:33]
	v_add_f64 v[48:49], v[48:49], v[228:229]
	v_add_f64 v[50:51], v[50:51], v[226:227]
	v_fma_f64 v[164:165], v[4:5], v[26:27], v[164:165]
	v_fma_f64 v[226:227], v[2:3], v[26:27], -v[28:29]
	ds_load_b128 v[2:5], v1 offset:1088
	scratch_load_b128 v[26:29], off, off offset:352
	v_fma_f64 v[168:169], v[222:223], v[30:31], v[168:169]
	v_fma_f64 v[220:221], v[220:221], v[30:31], -v[32:33]
	scratch_load_b128 v[30:33], off, off offset:368
	v_add_f64 v[48:49], v[48:49], v[38:39]
	v_add_f64 v[50:51], v[50:51], v[40:41]
	ds_load_b128 v[38:41], v1 offset:1104
	s_waitcnt vmcnt(10) lgkmcnt(1)
	v_mul_f64 v[228:229], v[2:3], v[36:37]
	v_mul_f64 v[36:37], v[4:5], v[36:37]
	v_add_f64 v[48:49], v[48:49], v[226:227]
	v_add_f64 v[50:51], v[50:51], v[164:165]
	s_waitcnt vmcnt(8) lgkmcnt(0)
	v_mul_f64 v[164:165], v[38:39], v[173:174]
	v_mul_f64 v[173:174], v[40:41], v[173:174]
	v_fma_f64 v[226:227], v[4:5], v[34:35], v[228:229]
	v_fma_f64 v[228:229], v[2:3], v[34:35], -v[36:37]
	ds_load_b128 v[2:5], v1 offset:1120
	scratch_load_b128 v[34:37], off, off offset:384
	v_add_f64 v[48:49], v[48:49], v[220:221]
	v_add_f64 v[50:51], v[50:51], v[168:169]
	ds_load_b128 v[220:223], v1 offset:1136
	v_fma_f64 v[164:165], v[40:41], v[171:172], v[164:165]
	v_fma_f64 v[171:172], v[38:39], v[171:172], -v[173:174]
	scratch_load_b128 v[38:41], off, off offset:400
	s_waitcnt vmcnt(9) lgkmcnt(1)
	v_mul_f64 v[168:169], v[2:3], v[44:45]
	v_mul_f64 v[44:45], v[4:5], v[44:45]
	v_add_f64 v[48:49], v[48:49], v[228:229]
	v_add_f64 v[50:51], v[50:51], v[226:227]
	s_waitcnt vmcnt(8) lgkmcnt(0)
	v_mul_f64 v[226:227], v[220:221], v[8:9]
	v_mul_f64 v[8:9], v[222:223], v[8:9]
	v_fma_f64 v[168:169], v[4:5], v[42:43], v[168:169]
	v_fma_f64 v[228:229], v[2:3], v[42:43], -v[44:45]
	ds_load_b128 v[2:5], v1 offset:1152
	scratch_load_b128 v[42:45], off, off offset:416
	v_add_f64 v[48:49], v[48:49], v[171:172]
	v_add_f64 v[50:51], v[50:51], v[164:165]
	ds_load_b128 v[171:174], v1 offset:1168
	s_waitcnt vmcnt(8) lgkmcnt(1)
	v_mul_f64 v[164:165], v[2:3], v[12:13]
	v_mul_f64 v[12:13], v[4:5], v[12:13]
	v_fma_f64 v[222:223], v[222:223], v[6:7], v[226:227]
	v_fma_f64 v[220:221], v[220:221], v[6:7], -v[8:9]
	scratch_load_b128 v[6:9], off, off offset:432
	v_add_f64 v[48:49], v[48:49], v[228:229]
	v_add_f64 v[50:51], v[50:51], v[168:169]
	s_waitcnt vmcnt(8) lgkmcnt(0)
	v_mul_f64 v[168:169], v[171:172], v[16:17]
	v_mul_f64 v[16:17], v[173:174], v[16:17]
	v_fma_f64 v[164:165], v[4:5], v[10:11], v[164:165]
	v_fma_f64 v[226:227], v[2:3], v[10:11], -v[12:13]
	ds_load_b128 v[2:5], v1 offset:1184
	scratch_load_b128 v[10:13], off, off offset:448
	v_add_f64 v[48:49], v[48:49], v[220:221]
	v_add_f64 v[50:51], v[50:51], v[222:223]
	ds_load_b128 v[220:223], v1 offset:1200
	s_waitcnt vmcnt(8) lgkmcnt(1)
	v_mul_f64 v[228:229], v[2:3], v[20:21]
	v_mul_f64 v[20:21], v[4:5], v[20:21]
	v_fma_f64 v[168:169], v[173:174], v[14:15], v[168:169]
	v_fma_f64 v[171:172], v[171:172], v[14:15], -v[16:17]
	scratch_load_b128 v[14:17], off, off offset:464
	;; [unrolled: 18-line block ×14, first 2 shown]
	v_add_f64 v[48:49], v[48:49], v[226:227]
	v_add_f64 v[50:51], v[50:51], v[164:165]
	s_waitcnt vmcnt(8) lgkmcnt(0)
	v_mul_f64 v[164:165], v[220:221], v[40:41]
	v_mul_f64 v[40:41], v[222:223], v[40:41]
	v_fma_f64 v[173:174], v[4:5], v[34:35], v[228:229]
	v_fma_f64 v[226:227], v[2:3], v[34:35], -v[36:37]
	ds_load_b128 v[2:5], v1 offset:1600
	ds_load_b128 v[34:37], v1 offset:1616
	v_add_f64 v[48:49], v[48:49], v[171:172]
	v_add_f64 v[50:51], v[50:51], v[168:169]
	s_waitcnt vmcnt(7) lgkmcnt(1)
	v_mul_f64 v[168:169], v[2:3], v[44:45]
	v_mul_f64 v[44:45], v[4:5], v[44:45]
	v_fma_f64 v[164:165], v[222:223], v[38:39], v[164:165]
	v_fma_f64 v[38:39], v[220:221], v[38:39], -v[40:41]
	v_add_f64 v[40:41], v[48:49], v[226:227]
	v_add_f64 v[48:49], v[50:51], v[173:174]
	s_waitcnt vmcnt(6) lgkmcnt(0)
	v_mul_f64 v[50:51], v[34:35], v[8:9]
	v_mul_f64 v[8:9], v[36:37], v[8:9]
	v_fma_f64 v[168:169], v[4:5], v[42:43], v[168:169]
	v_fma_f64 v[42:43], v[2:3], v[42:43], -v[44:45]
	v_add_f64 v[44:45], v[40:41], v[38:39]
	v_add_f64 v[48:49], v[48:49], v[164:165]
	ds_load_b128 v[2:5], v1 offset:1632
	ds_load_b128 v[38:41], v1 offset:1648
	v_fma_f64 v[36:37], v[36:37], v[6:7], v[50:51]
	v_fma_f64 v[6:7], v[34:35], v[6:7], -v[8:9]
	s_waitcnt vmcnt(5) lgkmcnt(1)
	v_mul_f64 v[164:165], v[2:3], v[12:13]
	v_mul_f64 v[12:13], v[4:5], v[12:13]
	v_add_f64 v[8:9], v[44:45], v[42:43]
	v_add_f64 v[34:35], v[48:49], v[168:169]
	s_waitcnt vmcnt(4) lgkmcnt(0)
	v_mul_f64 v[42:43], v[38:39], v[16:17]
	v_mul_f64 v[16:17], v[40:41], v[16:17]
	v_fma_f64 v[44:45], v[4:5], v[10:11], v[164:165]
	v_fma_f64 v[10:11], v[2:3], v[10:11], -v[12:13]
	v_add_f64 v[12:13], v[8:9], v[6:7]
	v_add_f64 v[34:35], v[34:35], v[36:37]
	ds_load_b128 v[2:5], v1 offset:1664
	ds_load_b128 v[6:9], v1 offset:1680
	v_fma_f64 v[40:41], v[40:41], v[14:15], v[42:43]
	v_fma_f64 v[14:15], v[38:39], v[14:15], -v[16:17]
	s_waitcnt vmcnt(3) lgkmcnt(1)
	v_mul_f64 v[36:37], v[2:3], v[20:21]
	v_mul_f64 v[20:21], v[4:5], v[20:21]
	s_waitcnt vmcnt(2) lgkmcnt(0)
	v_mul_f64 v[16:17], v[6:7], v[24:25]
	v_mul_f64 v[24:25], v[8:9], v[24:25]
	v_add_f64 v[10:11], v[12:13], v[10:11]
	v_add_f64 v[12:13], v[34:35], v[44:45]
	v_fma_f64 v[34:35], v[4:5], v[18:19], v[36:37]
	v_fma_f64 v[18:19], v[2:3], v[18:19], -v[20:21]
	v_fma_f64 v[8:9], v[8:9], v[22:23], v[16:17]
	v_fma_f64 v[6:7], v[6:7], v[22:23], -v[24:25]
	v_add_f64 v[14:15], v[10:11], v[14:15]
	v_add_f64 v[20:21], v[12:13], v[40:41]
	ds_load_b128 v[2:5], v1 offset:1696
	ds_load_b128 v[10:13], v1 offset:1712
	s_waitcnt vmcnt(1) lgkmcnt(1)
	v_mul_f64 v[36:37], v[2:3], v[28:29]
	v_mul_f64 v[28:29], v[4:5], v[28:29]
	v_add_f64 v[14:15], v[14:15], v[18:19]
	v_add_f64 v[16:17], v[20:21], v[34:35]
	s_waitcnt vmcnt(0) lgkmcnt(0)
	v_mul_f64 v[18:19], v[10:11], v[32:33]
	v_mul_f64 v[20:21], v[12:13], v[32:33]
	v_fma_f64 v[4:5], v[4:5], v[26:27], v[36:37]
	v_fma_f64 v[1:2], v[2:3], v[26:27], -v[28:29]
	v_add_f64 v[6:7], v[14:15], v[6:7]
	v_add_f64 v[8:9], v[16:17], v[8:9]
	v_fma_f64 v[12:13], v[12:13], v[30:31], v[18:19]
	v_fma_f64 v[10:11], v[10:11], v[30:31], -v[20:21]
	s_delay_alu instid0(VALU_DEP_4) | instskip(NEXT) | instid1(VALU_DEP_4)
	v_add_f64 v[1:2], v[6:7], v[1:2]
	v_add_f64 v[3:4], v[8:9], v[4:5]
	s_delay_alu instid0(VALU_DEP_2) | instskip(NEXT) | instid1(VALU_DEP_2)
	v_add_f64 v[1:2], v[1:2], v[10:11]
	v_add_f64 v[3:4], v[3:4], v[12:13]
	s_delay_alu instid0(VALU_DEP_2) | instskip(NEXT) | instid1(VALU_DEP_2)
	v_add_f64 v[1:2], v[157:158], -v[1:2]
	v_add_f64 v[3:4], v[159:160], -v[3:4]
	scratch_store_b128 off, v[1:4], off offset:80
	v_cmpx_lt_u32_e32 4, v154
	s_cbranch_execz .LBB117_329
; %bb.328:
	scratch_load_b128 v[1:4], v204, off
	v_mov_b32_e32 v5, 0
	s_delay_alu instid0(VALU_DEP_1)
	v_mov_b32_e32 v6, v5
	v_mov_b32_e32 v7, v5
	;; [unrolled: 1-line block ×3, first 2 shown]
	scratch_store_b128 off, v[5:8], off offset:64
	s_waitcnt vmcnt(0)
	ds_store_b128 v208, v[1:4]
.LBB117_329:
	s_or_b32 exec_lo, exec_lo, s2
	s_waitcnt lgkmcnt(0)
	s_waitcnt_vscnt null, 0x0
	s_barrier
	buffer_gl0_inv
	s_clause 0x7
	scratch_load_b128 v[2:5], off, off offset:80
	scratch_load_b128 v[6:9], off, off offset:96
	;; [unrolled: 1-line block ×8, first 2 shown]
	v_mov_b32_e32 v1, 0
	s_mov_b32 s2, exec_lo
	ds_load_b128 v[38:41], v1 offset:944
	s_clause 0x1
	scratch_load_b128 v[34:37], off, off offset:208
	scratch_load_b128 v[42:45], off, off offset:64
	ds_load_b128 v[157:160], v1 offset:960
	scratch_load_b128 v[171:174], off, off offset:224
	ds_load_b128 v[220:223], v1 offset:992
	s_waitcnt vmcnt(10) lgkmcnt(2)
	v_mul_f64 v[48:49], v[40:41], v[4:5]
	v_mul_f64 v[4:5], v[38:39], v[4:5]
	s_delay_alu instid0(VALU_DEP_2) | instskip(NEXT) | instid1(VALU_DEP_2)
	v_fma_f64 v[48:49], v[38:39], v[2:3], -v[48:49]
	v_fma_f64 v[164:165], v[40:41], v[2:3], v[4:5]
	ds_load_b128 v[2:5], v1 offset:976
	s_waitcnt vmcnt(9) lgkmcnt(2)
	v_mul_f64 v[50:51], v[157:158], v[8:9]
	v_mul_f64 v[8:9], v[159:160], v[8:9]
	scratch_load_b128 v[38:41], off, off offset:240
	s_waitcnt vmcnt(9) lgkmcnt(0)
	v_mul_f64 v[168:169], v[2:3], v[12:13]
	v_mul_f64 v[12:13], v[4:5], v[12:13]
	v_add_f64 v[48:49], v[48:49], 0
	v_fma_f64 v[50:51], v[159:160], v[6:7], v[50:51]
	v_fma_f64 v[157:158], v[157:158], v[6:7], -v[8:9]
	v_add_f64 v[159:160], v[164:165], 0
	scratch_load_b128 v[6:9], off, off offset:256
	v_fma_f64 v[168:169], v[4:5], v[10:11], v[168:169]
	v_fma_f64 v[226:227], v[2:3], v[10:11], -v[12:13]
	scratch_load_b128 v[10:13], off, off offset:272
	ds_load_b128 v[2:5], v1 offset:1008
	s_waitcnt vmcnt(10)
	v_mul_f64 v[164:165], v[220:221], v[16:17]
	v_mul_f64 v[16:17], v[222:223], v[16:17]
	v_add_f64 v[48:49], v[48:49], v[157:158]
	v_add_f64 v[50:51], v[159:160], v[50:51]
	ds_load_b128 v[157:160], v1 offset:1024
	s_waitcnt vmcnt(9) lgkmcnt(1)
	v_mul_f64 v[228:229], v[2:3], v[20:21]
	v_mul_f64 v[20:21], v[4:5], v[20:21]
	v_fma_f64 v[164:165], v[222:223], v[14:15], v[164:165]
	v_fma_f64 v[220:221], v[220:221], v[14:15], -v[16:17]
	scratch_load_b128 v[14:17], off, off offset:288
	v_add_f64 v[48:49], v[48:49], v[226:227]
	v_add_f64 v[50:51], v[50:51], v[168:169]
	v_fma_f64 v[226:227], v[4:5], v[18:19], v[228:229]
	v_fma_f64 v[228:229], v[2:3], v[18:19], -v[20:21]
	scratch_load_b128 v[18:21], off, off offset:304
	ds_load_b128 v[2:5], v1 offset:1040
	s_waitcnt vmcnt(10) lgkmcnt(1)
	v_mul_f64 v[168:169], v[157:158], v[24:25]
	v_mul_f64 v[24:25], v[159:160], v[24:25]
	v_add_f64 v[48:49], v[48:49], v[220:221]
	v_add_f64 v[50:51], v[50:51], v[164:165]
	s_waitcnt vmcnt(9) lgkmcnt(0)
	v_mul_f64 v[164:165], v[2:3], v[28:29]
	v_mul_f64 v[28:29], v[4:5], v[28:29]
	ds_load_b128 v[220:223], v1 offset:1056
	v_fma_f64 v[159:160], v[159:160], v[22:23], v[168:169]
	v_fma_f64 v[157:158], v[157:158], v[22:23], -v[24:25]
	scratch_load_b128 v[22:25], off, off offset:320
	v_add_f64 v[48:49], v[48:49], v[228:229]
	v_add_f64 v[50:51], v[50:51], v[226:227]
	v_fma_f64 v[164:165], v[4:5], v[26:27], v[164:165]
	v_fma_f64 v[226:227], v[2:3], v[26:27], -v[28:29]
	scratch_load_b128 v[26:29], off, off offset:336
	ds_load_b128 v[2:5], v1 offset:1072
	s_waitcnt vmcnt(10) lgkmcnt(1)
	v_mul_f64 v[168:169], v[220:221], v[32:33]
	v_mul_f64 v[32:33], v[222:223], v[32:33]
	s_waitcnt vmcnt(9) lgkmcnt(0)
	v_mul_f64 v[228:229], v[2:3], v[36:37]
	v_mul_f64 v[36:37], v[4:5], v[36:37]
	v_add_f64 v[48:49], v[48:49], v[157:158]
	v_add_f64 v[50:51], v[50:51], v[159:160]
	ds_load_b128 v[157:160], v1 offset:1088
	v_fma_f64 v[168:169], v[222:223], v[30:31], v[168:169]
	v_fma_f64 v[220:221], v[220:221], v[30:31], -v[32:33]
	scratch_load_b128 v[30:33], off, off offset:352
	v_add_f64 v[48:49], v[48:49], v[226:227]
	v_add_f64 v[50:51], v[50:51], v[164:165]
	v_fma_f64 v[226:227], v[4:5], v[34:35], v[228:229]
	v_fma_f64 v[228:229], v[2:3], v[34:35], -v[36:37]
	scratch_load_b128 v[34:37], off, off offset:368
	ds_load_b128 v[2:5], v1 offset:1104
	s_waitcnt vmcnt(9) lgkmcnt(1)
	v_mul_f64 v[164:165], v[157:158], v[173:174]
	v_mul_f64 v[173:174], v[159:160], v[173:174]
	v_add_f64 v[48:49], v[48:49], v[220:221]
	v_add_f64 v[50:51], v[50:51], v[168:169]
	ds_load_b128 v[220:223], v1 offset:1120
	v_fma_f64 v[164:165], v[159:160], v[171:172], v[164:165]
	v_fma_f64 v[171:172], v[157:158], v[171:172], -v[173:174]
	scratch_load_b128 v[157:160], off, off offset:384
	s_waitcnt vmcnt(9) lgkmcnt(1)
	v_mul_f64 v[168:169], v[2:3], v[40:41]
	v_mul_f64 v[40:41], v[4:5], v[40:41]
	v_add_f64 v[48:49], v[48:49], v[228:229]
	v_add_f64 v[50:51], v[50:51], v[226:227]
	s_delay_alu instid0(VALU_DEP_4) | instskip(NEXT) | instid1(VALU_DEP_4)
	v_fma_f64 v[168:169], v[4:5], v[38:39], v[168:169]
	v_fma_f64 v[228:229], v[2:3], v[38:39], -v[40:41]
	scratch_load_b128 v[38:41], off, off offset:400
	ds_load_b128 v[2:5], v1 offset:1136
	s_waitcnt vmcnt(9) lgkmcnt(1)
	v_mul_f64 v[226:227], v[220:221], v[8:9]
	v_mul_f64 v[8:9], v[222:223], v[8:9]
	v_add_f64 v[48:49], v[48:49], v[171:172]
	v_add_f64 v[50:51], v[50:51], v[164:165]
	s_waitcnt vmcnt(8) lgkmcnt(0)
	v_mul_f64 v[164:165], v[2:3], v[12:13]
	v_mul_f64 v[12:13], v[4:5], v[12:13]
	ds_load_b128 v[171:174], v1 offset:1152
	v_fma_f64 v[222:223], v[222:223], v[6:7], v[226:227]
	v_fma_f64 v[220:221], v[220:221], v[6:7], -v[8:9]
	scratch_load_b128 v[6:9], off, off offset:416
	v_add_f64 v[48:49], v[48:49], v[228:229]
	v_add_f64 v[50:51], v[50:51], v[168:169]
	v_fma_f64 v[164:165], v[4:5], v[10:11], v[164:165]
	v_fma_f64 v[226:227], v[2:3], v[10:11], -v[12:13]
	scratch_load_b128 v[10:13], off, off offset:432
	ds_load_b128 v[2:5], v1 offset:1168
	s_waitcnt vmcnt(9) lgkmcnt(1)
	v_mul_f64 v[168:169], v[171:172], v[16:17]
	v_mul_f64 v[16:17], v[173:174], v[16:17]
	s_waitcnt vmcnt(8) lgkmcnt(0)
	v_mul_f64 v[228:229], v[2:3], v[20:21]
	v_mul_f64 v[20:21], v[4:5], v[20:21]
	v_add_f64 v[48:49], v[48:49], v[220:221]
	v_add_f64 v[50:51], v[50:51], v[222:223]
	ds_load_b128 v[220:223], v1 offset:1184
	v_fma_f64 v[168:169], v[173:174], v[14:15], v[168:169]
	v_fma_f64 v[171:172], v[171:172], v[14:15], -v[16:17]
	scratch_load_b128 v[14:17], off, off offset:448
	v_add_f64 v[48:49], v[48:49], v[226:227]
	v_add_f64 v[50:51], v[50:51], v[164:165]
	v_fma_f64 v[226:227], v[4:5], v[18:19], v[228:229]
	v_fma_f64 v[228:229], v[2:3], v[18:19], -v[20:21]
	scratch_load_b128 v[18:21], off, off offset:464
	ds_load_b128 v[2:5], v1 offset:1200
	s_waitcnt vmcnt(9) lgkmcnt(1)
	v_mul_f64 v[164:165], v[220:221], v[24:25]
	v_mul_f64 v[24:25], v[222:223], v[24:25]
	v_add_f64 v[48:49], v[48:49], v[171:172]
	v_add_f64 v[50:51], v[50:51], v[168:169]
	s_waitcnt vmcnt(8) lgkmcnt(0)
	v_mul_f64 v[168:169], v[2:3], v[28:29]
	v_mul_f64 v[28:29], v[4:5], v[28:29]
	ds_load_b128 v[171:174], v1 offset:1216
	v_fma_f64 v[164:165], v[222:223], v[22:23], v[164:165]
	v_fma_f64 v[220:221], v[220:221], v[22:23], -v[24:25]
	scratch_load_b128 v[22:25], off, off offset:480
	v_add_f64 v[48:49], v[48:49], v[228:229]
	v_add_f64 v[50:51], v[50:51], v[226:227]
	v_fma_f64 v[168:169], v[4:5], v[26:27], v[168:169]
	v_fma_f64 v[228:229], v[2:3], v[26:27], -v[28:29]
	scratch_load_b128 v[26:29], off, off offset:496
	ds_load_b128 v[2:5], v1 offset:1232
	s_waitcnt vmcnt(9) lgkmcnt(1)
	v_mul_f64 v[226:227], v[171:172], v[32:33]
	v_mul_f64 v[32:33], v[173:174], v[32:33]
	v_add_f64 v[48:49], v[48:49], v[220:221]
	v_add_f64 v[50:51], v[50:51], v[164:165]
	s_waitcnt vmcnt(8) lgkmcnt(0)
	v_mul_f64 v[164:165], v[2:3], v[36:37]
	v_mul_f64 v[36:37], v[4:5], v[36:37]
	ds_load_b128 v[220:223], v1 offset:1248
	v_fma_f64 v[173:174], v[173:174], v[30:31], v[226:227]
	v_fma_f64 v[171:172], v[171:172], v[30:31], -v[32:33]
	scratch_load_b128 v[30:33], off, off offset:512
	v_add_f64 v[48:49], v[48:49], v[228:229]
	v_add_f64 v[50:51], v[50:51], v[168:169]
	v_fma_f64 v[164:165], v[4:5], v[34:35], v[164:165]
	v_fma_f64 v[226:227], v[2:3], v[34:35], -v[36:37]
	scratch_load_b128 v[34:37], off, off offset:528
	ds_load_b128 v[2:5], v1 offset:1264
	s_waitcnt vmcnt(9) lgkmcnt(1)
	v_mul_f64 v[168:169], v[220:221], v[159:160]
	v_mul_f64 v[159:160], v[222:223], v[159:160]
	s_waitcnt vmcnt(8) lgkmcnt(0)
	v_mul_f64 v[228:229], v[2:3], v[40:41]
	v_mul_f64 v[40:41], v[4:5], v[40:41]
	v_add_f64 v[48:49], v[48:49], v[171:172]
	v_add_f64 v[50:51], v[50:51], v[173:174]
	ds_load_b128 v[171:174], v1 offset:1280
	v_fma_f64 v[168:169], v[222:223], v[157:158], v[168:169]
	v_fma_f64 v[220:221], v[220:221], v[157:158], -v[159:160]
	scratch_load_b128 v[157:160], off, off offset:544
	v_add_f64 v[48:49], v[48:49], v[226:227]
	v_add_f64 v[50:51], v[50:51], v[164:165]
	v_fma_f64 v[226:227], v[4:5], v[38:39], v[228:229]
	v_fma_f64 v[228:229], v[2:3], v[38:39], -v[40:41]
	scratch_load_b128 v[38:41], off, off offset:560
	ds_load_b128 v[2:5], v1 offset:1296
	s_waitcnt vmcnt(9) lgkmcnt(1)
	v_mul_f64 v[164:165], v[171:172], v[8:9]
	v_mul_f64 v[8:9], v[173:174], v[8:9]
	v_add_f64 v[48:49], v[48:49], v[220:221]
	v_add_f64 v[50:51], v[50:51], v[168:169]
	s_waitcnt vmcnt(8) lgkmcnt(0)
	v_mul_f64 v[168:169], v[2:3], v[12:13]
	v_mul_f64 v[12:13], v[4:5], v[12:13]
	ds_load_b128 v[220:223], v1 offset:1312
	v_fma_f64 v[164:165], v[173:174], v[6:7], v[164:165]
	v_fma_f64 v[171:172], v[171:172], v[6:7], -v[8:9]
	scratch_load_b128 v[6:9], off, off offset:576
	v_add_f64 v[48:49], v[48:49], v[228:229]
	v_add_f64 v[50:51], v[50:51], v[226:227]
	;; [unrolled: 54-line block ×4, first 2 shown]
	v_fma_f64 v[168:169], v[4:5], v[18:19], v[168:169]
	v_fma_f64 v[228:229], v[2:3], v[18:19], -v[20:21]
	scratch_load_b128 v[18:21], off, off offset:784
	ds_load_b128 v[2:5], v1 offset:1520
	s_waitcnt vmcnt(9) lgkmcnt(1)
	v_mul_f64 v[226:227], v[220:221], v[24:25]
	v_mul_f64 v[24:25], v[222:223], v[24:25]
	v_add_f64 v[48:49], v[48:49], v[171:172]
	v_add_f64 v[50:51], v[50:51], v[164:165]
	s_waitcnt vmcnt(8) lgkmcnt(0)
	v_mul_f64 v[164:165], v[2:3], v[28:29]
	v_mul_f64 v[28:29], v[4:5], v[28:29]
	ds_load_b128 v[171:174], v1 offset:1536
	v_fma_f64 v[222:223], v[222:223], v[22:23], v[226:227]
	v_fma_f64 v[220:221], v[220:221], v[22:23], -v[24:25]
	scratch_load_b128 v[22:25], off, off offset:800
	v_add_f64 v[48:49], v[48:49], v[228:229]
	v_add_f64 v[50:51], v[50:51], v[168:169]
	v_fma_f64 v[164:165], v[4:5], v[26:27], v[164:165]
	v_fma_f64 v[226:227], v[2:3], v[26:27], -v[28:29]
	scratch_load_b128 v[26:29], off, off offset:816
	ds_load_b128 v[2:5], v1 offset:1552
	s_waitcnt vmcnt(9) lgkmcnt(1)
	v_mul_f64 v[168:169], v[171:172], v[32:33]
	v_mul_f64 v[32:33], v[173:174], v[32:33]
	s_waitcnt vmcnt(8) lgkmcnt(0)
	v_mul_f64 v[228:229], v[2:3], v[36:37]
	v_mul_f64 v[36:37], v[4:5], v[36:37]
	v_add_f64 v[48:49], v[48:49], v[220:221]
	v_add_f64 v[50:51], v[50:51], v[222:223]
	ds_load_b128 v[220:223], v1 offset:1568
	v_fma_f64 v[168:169], v[173:174], v[30:31], v[168:169]
	v_fma_f64 v[171:172], v[171:172], v[30:31], -v[32:33]
	scratch_load_b128 v[30:33], off, off offset:832
	v_add_f64 v[48:49], v[48:49], v[226:227]
	v_add_f64 v[50:51], v[50:51], v[164:165]
	v_fma_f64 v[226:227], v[4:5], v[34:35], v[228:229]
	v_fma_f64 v[228:229], v[2:3], v[34:35], -v[36:37]
	scratch_load_b128 v[34:37], off, off offset:848
	ds_load_b128 v[2:5], v1 offset:1584
	s_waitcnt vmcnt(9) lgkmcnt(1)
	v_mul_f64 v[164:165], v[220:221], v[159:160]
	v_mul_f64 v[159:160], v[222:223], v[159:160]
	v_add_f64 v[48:49], v[48:49], v[171:172]
	v_add_f64 v[50:51], v[50:51], v[168:169]
	s_waitcnt vmcnt(8) lgkmcnt(0)
	v_mul_f64 v[168:169], v[2:3], v[40:41]
	v_mul_f64 v[40:41], v[4:5], v[40:41]
	ds_load_b128 v[171:174], v1 offset:1600
	v_fma_f64 v[164:165], v[222:223], v[157:158], v[164:165]
	v_fma_f64 v[157:158], v[220:221], v[157:158], -v[159:160]
	s_waitcnt vmcnt(7) lgkmcnt(0)
	v_mul_f64 v[159:160], v[171:172], v[8:9]
	v_mul_f64 v[8:9], v[173:174], v[8:9]
	v_add_f64 v[48:49], v[48:49], v[228:229]
	v_add_f64 v[50:51], v[50:51], v[226:227]
	v_fma_f64 v[168:169], v[4:5], v[38:39], v[168:169]
	v_fma_f64 v[220:221], v[2:3], v[38:39], -v[40:41]
	ds_load_b128 v[2:5], v1 offset:1616
	ds_load_b128 v[38:41], v1 offset:1632
	v_fma_f64 v[159:160], v[173:174], v[6:7], v[159:160]
	v_fma_f64 v[6:7], v[171:172], v[6:7], -v[8:9]
	v_add_f64 v[48:49], v[48:49], v[157:158]
	v_add_f64 v[50:51], v[50:51], v[164:165]
	s_waitcnt vmcnt(6) lgkmcnt(1)
	v_mul_f64 v[157:158], v[2:3], v[12:13]
	v_mul_f64 v[12:13], v[4:5], v[12:13]
	s_delay_alu instid0(VALU_DEP_4) | instskip(NEXT) | instid1(VALU_DEP_4)
	v_add_f64 v[8:9], v[48:49], v[220:221]
	v_add_f64 v[48:49], v[50:51], v[168:169]
	s_waitcnt vmcnt(5) lgkmcnt(0)
	v_mul_f64 v[50:51], v[38:39], v[16:17]
	v_mul_f64 v[16:17], v[40:41], v[16:17]
	v_fma_f64 v[157:158], v[4:5], v[10:11], v[157:158]
	v_fma_f64 v[10:11], v[2:3], v[10:11], -v[12:13]
	v_add_f64 v[12:13], v[8:9], v[6:7]
	v_add_f64 v[48:49], v[48:49], v[159:160]
	ds_load_b128 v[2:5], v1 offset:1648
	ds_load_b128 v[6:9], v1 offset:1664
	v_fma_f64 v[40:41], v[40:41], v[14:15], v[50:51]
	v_fma_f64 v[14:15], v[38:39], v[14:15], -v[16:17]
	s_waitcnt vmcnt(4) lgkmcnt(1)
	v_mul_f64 v[159:160], v[2:3], v[20:21]
	v_mul_f64 v[20:21], v[4:5], v[20:21]
	s_waitcnt vmcnt(3) lgkmcnt(0)
	v_mul_f64 v[16:17], v[6:7], v[24:25]
	v_mul_f64 v[24:25], v[8:9], v[24:25]
	v_add_f64 v[10:11], v[12:13], v[10:11]
	v_add_f64 v[12:13], v[48:49], v[157:158]
	v_fma_f64 v[38:39], v[4:5], v[18:19], v[159:160]
	v_fma_f64 v[18:19], v[2:3], v[18:19], -v[20:21]
	v_fma_f64 v[8:9], v[8:9], v[22:23], v[16:17]
	v_fma_f64 v[6:7], v[6:7], v[22:23], -v[24:25]
	v_add_f64 v[14:15], v[10:11], v[14:15]
	v_add_f64 v[20:21], v[12:13], v[40:41]
	ds_load_b128 v[2:5], v1 offset:1680
	ds_load_b128 v[10:13], v1 offset:1696
	s_waitcnt vmcnt(2) lgkmcnt(1)
	v_mul_f64 v[40:41], v[2:3], v[28:29]
	v_mul_f64 v[28:29], v[4:5], v[28:29]
	v_add_f64 v[14:15], v[14:15], v[18:19]
	v_add_f64 v[16:17], v[20:21], v[38:39]
	s_waitcnt vmcnt(1) lgkmcnt(0)
	v_mul_f64 v[18:19], v[10:11], v[32:33]
	v_mul_f64 v[20:21], v[12:13], v[32:33]
	v_fma_f64 v[22:23], v[4:5], v[26:27], v[40:41]
	v_fma_f64 v[24:25], v[2:3], v[26:27], -v[28:29]
	ds_load_b128 v[2:5], v1 offset:1712
	v_add_f64 v[6:7], v[14:15], v[6:7]
	v_add_f64 v[8:9], v[16:17], v[8:9]
	v_fma_f64 v[12:13], v[12:13], v[30:31], v[18:19]
	v_fma_f64 v[10:11], v[10:11], v[30:31], -v[20:21]
	s_waitcnt vmcnt(0) lgkmcnt(0)
	v_mul_f64 v[14:15], v[2:3], v[36:37]
	v_mul_f64 v[16:17], v[4:5], v[36:37]
	v_add_f64 v[6:7], v[6:7], v[24:25]
	v_add_f64 v[8:9], v[8:9], v[22:23]
	s_delay_alu instid0(VALU_DEP_4) | instskip(NEXT) | instid1(VALU_DEP_4)
	v_fma_f64 v[4:5], v[4:5], v[34:35], v[14:15]
	v_fma_f64 v[2:3], v[2:3], v[34:35], -v[16:17]
	s_delay_alu instid0(VALU_DEP_4) | instskip(NEXT) | instid1(VALU_DEP_4)
	v_add_f64 v[6:7], v[6:7], v[10:11]
	v_add_f64 v[8:9], v[8:9], v[12:13]
	s_delay_alu instid0(VALU_DEP_2) | instskip(NEXT) | instid1(VALU_DEP_2)
	v_add_f64 v[2:3], v[6:7], v[2:3]
	v_add_f64 v[4:5], v[8:9], v[4:5]
	s_delay_alu instid0(VALU_DEP_2) | instskip(NEXT) | instid1(VALU_DEP_2)
	v_add_f64 v[2:3], v[42:43], -v[2:3]
	v_add_f64 v[4:5], v[44:45], -v[4:5]
	scratch_store_b128 off, v[2:5], off offset:64
	v_cmpx_lt_u32_e32 3, v154
	s_cbranch_execz .LBB117_331
; %bb.330:
	scratch_load_b128 v[5:8], v205, off
	v_mov_b32_e32 v2, v1
	v_mov_b32_e32 v3, v1
	;; [unrolled: 1-line block ×3, first 2 shown]
	scratch_store_b128 off, v[1:4], off offset:48
	s_waitcnt vmcnt(0)
	ds_store_b128 v208, v[5:8]
.LBB117_331:
	s_or_b32 exec_lo, exec_lo, s2
	s_waitcnt lgkmcnt(0)
	s_waitcnt_vscnt null, 0x0
	s_barrier
	buffer_gl0_inv
	s_clause 0x8
	scratch_load_b128 v[2:5], off, off offset:64
	scratch_load_b128 v[6:9], off, off offset:80
	;; [unrolled: 1-line block ×9, first 2 shown]
	ds_load_b128 v[42:45], v1 offset:928
	ds_load_b128 v[38:41], v1 offset:944
	s_clause 0x1
	scratch_load_b128 v[157:160], off, off offset:48
	scratch_load_b128 v[171:174], off, off offset:208
	s_mov_b32 s2, exec_lo
	ds_load_b128 v[220:223], v1 offset:976
	s_waitcnt vmcnt(10) lgkmcnt(2)
	v_mul_f64 v[48:49], v[44:45], v[4:5]
	v_mul_f64 v[4:5], v[42:43], v[4:5]
	s_waitcnt vmcnt(9) lgkmcnt(1)
	v_mul_f64 v[50:51], v[38:39], v[8:9]
	v_mul_f64 v[8:9], v[40:41], v[8:9]
	s_delay_alu instid0(VALU_DEP_4) | instskip(NEXT) | instid1(VALU_DEP_4)
	v_fma_f64 v[48:49], v[42:43], v[2:3], -v[48:49]
	v_fma_f64 v[164:165], v[44:45], v[2:3], v[4:5]
	ds_load_b128 v[2:5], v1 offset:960
	scratch_load_b128 v[42:45], off, off offset:224
	v_fma_f64 v[40:41], v[40:41], v[6:7], v[50:51]
	v_fma_f64 v[38:39], v[38:39], v[6:7], -v[8:9]
	scratch_load_b128 v[6:9], off, off offset:240
	s_waitcnt vmcnt(10) lgkmcnt(0)
	v_mul_f64 v[168:169], v[2:3], v[12:13]
	v_mul_f64 v[12:13], v[4:5], v[12:13]
	v_add_f64 v[48:49], v[48:49], 0
	v_add_f64 v[50:51], v[164:165], 0
	s_waitcnt vmcnt(9)
	v_mul_f64 v[164:165], v[220:221], v[16:17]
	v_mul_f64 v[16:17], v[222:223], v[16:17]
	v_fma_f64 v[168:169], v[4:5], v[10:11], v[168:169]
	v_fma_f64 v[226:227], v[2:3], v[10:11], -v[12:13]
	ds_load_b128 v[2:5], v1 offset:992
	scratch_load_b128 v[10:13], off, off offset:256
	v_add_f64 v[48:49], v[48:49], v[38:39]
	v_add_f64 v[50:51], v[50:51], v[40:41]
	ds_load_b128 v[38:41], v1 offset:1008
	v_fma_f64 v[164:165], v[222:223], v[14:15], v[164:165]
	v_fma_f64 v[220:221], v[220:221], v[14:15], -v[16:17]
	scratch_load_b128 v[14:17], off, off offset:272
	s_waitcnt vmcnt(10) lgkmcnt(1)
	v_mul_f64 v[228:229], v[2:3], v[20:21]
	v_mul_f64 v[20:21], v[4:5], v[20:21]
	v_add_f64 v[48:49], v[48:49], v[226:227]
	v_add_f64 v[50:51], v[50:51], v[168:169]
	s_waitcnt vmcnt(9) lgkmcnt(0)
	v_mul_f64 v[168:169], v[38:39], v[24:25]
	v_mul_f64 v[24:25], v[40:41], v[24:25]
	v_fma_f64 v[226:227], v[4:5], v[18:19], v[228:229]
	v_fma_f64 v[228:229], v[2:3], v[18:19], -v[20:21]
	ds_load_b128 v[2:5], v1 offset:1024
	scratch_load_b128 v[18:21], off, off offset:288
	v_add_f64 v[48:49], v[48:49], v[220:221]
	v_add_f64 v[50:51], v[50:51], v[164:165]
	ds_load_b128 v[220:223], v1 offset:1040
	s_waitcnt vmcnt(9) lgkmcnt(1)
	v_mul_f64 v[164:165], v[2:3], v[28:29]
	v_mul_f64 v[28:29], v[4:5], v[28:29]
	v_fma_f64 v[40:41], v[40:41], v[22:23], v[168:169]
	v_fma_f64 v[38:39], v[38:39], v[22:23], -v[24:25]
	scratch_load_b128 v[22:25], off, off offset:304
	s_waitcnt vmcnt(9) lgkmcnt(0)
	v_mul_f64 v[168:169], v[220:221], v[32:33]
	v_mul_f64 v[32:33], v[222:223], v[32:33]
	v_add_f64 v[48:49], v[48:49], v[228:229]
	v_add_f64 v[50:51], v[50:51], v[226:227]
	v_fma_f64 v[164:165], v[4:5], v[26:27], v[164:165]
	v_fma_f64 v[226:227], v[2:3], v[26:27], -v[28:29]
	ds_load_b128 v[2:5], v1 offset:1056
	scratch_load_b128 v[26:29], off, off offset:320
	v_fma_f64 v[168:169], v[222:223], v[30:31], v[168:169]
	v_fma_f64 v[220:221], v[220:221], v[30:31], -v[32:33]
	scratch_load_b128 v[30:33], off, off offset:336
	v_add_f64 v[48:49], v[48:49], v[38:39]
	v_add_f64 v[50:51], v[50:51], v[40:41]
	ds_load_b128 v[38:41], v1 offset:1072
	s_waitcnt vmcnt(10) lgkmcnt(1)
	v_mul_f64 v[228:229], v[2:3], v[36:37]
	v_mul_f64 v[36:37], v[4:5], v[36:37]
	v_add_f64 v[48:49], v[48:49], v[226:227]
	v_add_f64 v[50:51], v[50:51], v[164:165]
	s_waitcnt vmcnt(8) lgkmcnt(0)
	v_mul_f64 v[164:165], v[38:39], v[173:174]
	v_mul_f64 v[173:174], v[40:41], v[173:174]
	v_fma_f64 v[226:227], v[4:5], v[34:35], v[228:229]
	v_fma_f64 v[228:229], v[2:3], v[34:35], -v[36:37]
	ds_load_b128 v[2:5], v1 offset:1088
	scratch_load_b128 v[34:37], off, off offset:352
	v_add_f64 v[48:49], v[48:49], v[220:221]
	v_add_f64 v[50:51], v[50:51], v[168:169]
	ds_load_b128 v[220:223], v1 offset:1104
	v_fma_f64 v[164:165], v[40:41], v[171:172], v[164:165]
	v_fma_f64 v[171:172], v[38:39], v[171:172], -v[173:174]
	scratch_load_b128 v[38:41], off, off offset:368
	s_waitcnt vmcnt(9) lgkmcnt(1)
	v_mul_f64 v[168:169], v[2:3], v[44:45]
	v_mul_f64 v[44:45], v[4:5], v[44:45]
	v_add_f64 v[48:49], v[48:49], v[228:229]
	v_add_f64 v[50:51], v[50:51], v[226:227]
	s_waitcnt vmcnt(8) lgkmcnt(0)
	v_mul_f64 v[226:227], v[220:221], v[8:9]
	v_mul_f64 v[8:9], v[222:223], v[8:9]
	v_fma_f64 v[168:169], v[4:5], v[42:43], v[168:169]
	v_fma_f64 v[228:229], v[2:3], v[42:43], -v[44:45]
	ds_load_b128 v[2:5], v1 offset:1120
	scratch_load_b128 v[42:45], off, off offset:384
	v_add_f64 v[48:49], v[48:49], v[171:172]
	v_add_f64 v[50:51], v[50:51], v[164:165]
	ds_load_b128 v[171:174], v1 offset:1136
	s_waitcnt vmcnt(8) lgkmcnt(1)
	v_mul_f64 v[164:165], v[2:3], v[12:13]
	v_mul_f64 v[12:13], v[4:5], v[12:13]
	v_fma_f64 v[222:223], v[222:223], v[6:7], v[226:227]
	v_fma_f64 v[220:221], v[220:221], v[6:7], -v[8:9]
	scratch_load_b128 v[6:9], off, off offset:400
	v_add_f64 v[48:49], v[48:49], v[228:229]
	v_add_f64 v[50:51], v[50:51], v[168:169]
	s_waitcnt vmcnt(8) lgkmcnt(0)
	v_mul_f64 v[168:169], v[171:172], v[16:17]
	v_mul_f64 v[16:17], v[173:174], v[16:17]
	v_fma_f64 v[164:165], v[4:5], v[10:11], v[164:165]
	v_fma_f64 v[226:227], v[2:3], v[10:11], -v[12:13]
	ds_load_b128 v[2:5], v1 offset:1152
	scratch_load_b128 v[10:13], off, off offset:416
	v_add_f64 v[48:49], v[48:49], v[220:221]
	v_add_f64 v[50:51], v[50:51], v[222:223]
	ds_load_b128 v[220:223], v1 offset:1168
	s_waitcnt vmcnt(8) lgkmcnt(1)
	v_mul_f64 v[228:229], v[2:3], v[20:21]
	v_mul_f64 v[20:21], v[4:5], v[20:21]
	v_fma_f64 v[168:169], v[173:174], v[14:15], v[168:169]
	v_fma_f64 v[171:172], v[171:172], v[14:15], -v[16:17]
	scratch_load_b128 v[14:17], off, off offset:432
	;; [unrolled: 18-line block ×15, first 2 shown]
	s_waitcnt vmcnt(8) lgkmcnt(0)
	v_mul_f64 v[222:223], v[171:172], v[8:9]
	v_mul_f64 v[8:9], v[173:174], v[8:9]
	v_add_f64 v[48:49], v[48:49], v[228:229]
	v_add_f64 v[50:51], v[50:51], v[226:227]
	v_fma_f64 v[168:169], v[4:5], v[42:43], v[168:169]
	v_fma_f64 v[226:227], v[2:3], v[42:43], -v[44:45]
	ds_load_b128 v[2:5], v1 offset:1600
	ds_load_b128 v[42:45], v1 offset:1616
	v_fma_f64 v[173:174], v[173:174], v[6:7], v[222:223]
	v_fma_f64 v[6:7], v[171:172], v[6:7], -v[8:9]
	v_add_f64 v[48:49], v[48:49], v[220:221]
	v_add_f64 v[50:51], v[50:51], v[164:165]
	s_waitcnt vmcnt(7) lgkmcnt(1)
	v_mul_f64 v[164:165], v[2:3], v[12:13]
	v_mul_f64 v[12:13], v[4:5], v[12:13]
	s_delay_alu instid0(VALU_DEP_4) | instskip(NEXT) | instid1(VALU_DEP_4)
	v_add_f64 v[8:9], v[48:49], v[226:227]
	v_add_f64 v[48:49], v[50:51], v[168:169]
	s_waitcnt vmcnt(6) lgkmcnt(0)
	v_mul_f64 v[50:51], v[42:43], v[16:17]
	v_mul_f64 v[16:17], v[44:45], v[16:17]
	v_fma_f64 v[164:165], v[4:5], v[10:11], v[164:165]
	v_fma_f64 v[10:11], v[2:3], v[10:11], -v[12:13]
	v_add_f64 v[12:13], v[8:9], v[6:7]
	v_add_f64 v[48:49], v[48:49], v[173:174]
	ds_load_b128 v[2:5], v1 offset:1632
	ds_load_b128 v[6:9], v1 offset:1648
	v_fma_f64 v[44:45], v[44:45], v[14:15], v[50:51]
	v_fma_f64 v[14:15], v[42:43], v[14:15], -v[16:17]
	s_waitcnt vmcnt(5) lgkmcnt(1)
	v_mul_f64 v[168:169], v[2:3], v[20:21]
	v_mul_f64 v[20:21], v[4:5], v[20:21]
	s_waitcnt vmcnt(4) lgkmcnt(0)
	v_mul_f64 v[16:17], v[6:7], v[24:25]
	v_mul_f64 v[24:25], v[8:9], v[24:25]
	v_add_f64 v[10:11], v[12:13], v[10:11]
	v_add_f64 v[12:13], v[48:49], v[164:165]
	v_fma_f64 v[42:43], v[4:5], v[18:19], v[168:169]
	v_fma_f64 v[18:19], v[2:3], v[18:19], -v[20:21]
	v_fma_f64 v[8:9], v[8:9], v[22:23], v[16:17]
	v_fma_f64 v[6:7], v[6:7], v[22:23], -v[24:25]
	v_add_f64 v[14:15], v[10:11], v[14:15]
	v_add_f64 v[20:21], v[12:13], v[44:45]
	ds_load_b128 v[2:5], v1 offset:1664
	ds_load_b128 v[10:13], v1 offset:1680
	s_waitcnt vmcnt(3) lgkmcnt(1)
	v_mul_f64 v[44:45], v[2:3], v[28:29]
	v_mul_f64 v[28:29], v[4:5], v[28:29]
	v_add_f64 v[14:15], v[14:15], v[18:19]
	v_add_f64 v[16:17], v[20:21], v[42:43]
	s_waitcnt vmcnt(2) lgkmcnt(0)
	v_mul_f64 v[18:19], v[10:11], v[32:33]
	v_mul_f64 v[20:21], v[12:13], v[32:33]
	v_fma_f64 v[22:23], v[4:5], v[26:27], v[44:45]
	v_fma_f64 v[24:25], v[2:3], v[26:27], -v[28:29]
	v_add_f64 v[14:15], v[14:15], v[6:7]
	v_add_f64 v[16:17], v[16:17], v[8:9]
	ds_load_b128 v[2:5], v1 offset:1696
	ds_load_b128 v[6:9], v1 offset:1712
	v_fma_f64 v[12:13], v[12:13], v[30:31], v[18:19]
	v_fma_f64 v[10:11], v[10:11], v[30:31], -v[20:21]
	s_waitcnt vmcnt(1) lgkmcnt(1)
	v_mul_f64 v[26:27], v[2:3], v[36:37]
	v_mul_f64 v[28:29], v[4:5], v[36:37]
	s_waitcnt vmcnt(0) lgkmcnt(0)
	v_mul_f64 v[18:19], v[6:7], v[40:41]
	v_mul_f64 v[20:21], v[8:9], v[40:41]
	v_add_f64 v[14:15], v[14:15], v[24:25]
	v_add_f64 v[16:17], v[16:17], v[22:23]
	v_fma_f64 v[4:5], v[4:5], v[34:35], v[26:27]
	v_fma_f64 v[1:2], v[2:3], v[34:35], -v[28:29]
	v_fma_f64 v[8:9], v[8:9], v[38:39], v[18:19]
	v_fma_f64 v[6:7], v[6:7], v[38:39], -v[20:21]
	v_add_f64 v[10:11], v[14:15], v[10:11]
	v_add_f64 v[12:13], v[16:17], v[12:13]
	s_delay_alu instid0(VALU_DEP_2) | instskip(NEXT) | instid1(VALU_DEP_2)
	v_add_f64 v[1:2], v[10:11], v[1:2]
	v_add_f64 v[3:4], v[12:13], v[4:5]
	s_delay_alu instid0(VALU_DEP_2) | instskip(NEXT) | instid1(VALU_DEP_2)
	v_add_f64 v[1:2], v[1:2], v[6:7]
	v_add_f64 v[3:4], v[3:4], v[8:9]
	s_delay_alu instid0(VALU_DEP_2) | instskip(NEXT) | instid1(VALU_DEP_2)
	v_add_f64 v[1:2], v[157:158], -v[1:2]
	v_add_f64 v[3:4], v[159:160], -v[3:4]
	scratch_store_b128 off, v[1:4], off offset:48
	v_cmpx_lt_u32_e32 2, v154
	s_cbranch_execz .LBB117_333
; %bb.332:
	scratch_load_b128 v[1:4], v206, off
	v_mov_b32_e32 v5, 0
	s_delay_alu instid0(VALU_DEP_1)
	v_mov_b32_e32 v6, v5
	v_mov_b32_e32 v7, v5
	v_mov_b32_e32 v8, v5
	scratch_store_b128 off, v[5:8], off offset:32
	s_waitcnt vmcnt(0)
	ds_store_b128 v208, v[1:4]
.LBB117_333:
	s_or_b32 exec_lo, exec_lo, s2
	s_waitcnt lgkmcnt(0)
	s_waitcnt_vscnt null, 0x0
	s_barrier
	buffer_gl0_inv
	s_clause 0x7
	scratch_load_b128 v[2:5], off, off offset:48
	scratch_load_b128 v[6:9], off, off offset:64
	;; [unrolled: 1-line block ×8, first 2 shown]
	v_mov_b32_e32 v1, 0
	s_mov_b32 s2, exec_lo
	ds_load_b128 v[38:41], v1 offset:912
	s_clause 0x1
	scratch_load_b128 v[34:37], off, off offset:176
	scratch_load_b128 v[42:45], off, off offset:32
	ds_load_b128 v[157:160], v1 offset:928
	scratch_load_b128 v[171:174], off, off offset:192
	ds_load_b128 v[220:223], v1 offset:960
	s_waitcnt vmcnt(10) lgkmcnt(2)
	v_mul_f64 v[48:49], v[40:41], v[4:5]
	v_mul_f64 v[4:5], v[38:39], v[4:5]
	s_delay_alu instid0(VALU_DEP_2) | instskip(NEXT) | instid1(VALU_DEP_2)
	v_fma_f64 v[48:49], v[38:39], v[2:3], -v[48:49]
	v_fma_f64 v[164:165], v[40:41], v[2:3], v[4:5]
	ds_load_b128 v[2:5], v1 offset:944
	s_waitcnt vmcnt(9) lgkmcnt(2)
	v_mul_f64 v[50:51], v[157:158], v[8:9]
	v_mul_f64 v[8:9], v[159:160], v[8:9]
	scratch_load_b128 v[38:41], off, off offset:208
	s_waitcnt vmcnt(9) lgkmcnt(0)
	v_mul_f64 v[168:169], v[2:3], v[12:13]
	v_mul_f64 v[12:13], v[4:5], v[12:13]
	v_add_f64 v[48:49], v[48:49], 0
	v_fma_f64 v[50:51], v[159:160], v[6:7], v[50:51]
	v_fma_f64 v[157:158], v[157:158], v[6:7], -v[8:9]
	v_add_f64 v[159:160], v[164:165], 0
	scratch_load_b128 v[6:9], off, off offset:224
	v_fma_f64 v[168:169], v[4:5], v[10:11], v[168:169]
	v_fma_f64 v[226:227], v[2:3], v[10:11], -v[12:13]
	scratch_load_b128 v[10:13], off, off offset:240
	ds_load_b128 v[2:5], v1 offset:976
	s_waitcnt vmcnt(10)
	v_mul_f64 v[164:165], v[220:221], v[16:17]
	v_mul_f64 v[16:17], v[222:223], v[16:17]
	v_add_f64 v[48:49], v[48:49], v[157:158]
	v_add_f64 v[50:51], v[159:160], v[50:51]
	ds_load_b128 v[157:160], v1 offset:992
	s_waitcnt vmcnt(9) lgkmcnt(1)
	v_mul_f64 v[228:229], v[2:3], v[20:21]
	v_mul_f64 v[20:21], v[4:5], v[20:21]
	v_fma_f64 v[164:165], v[222:223], v[14:15], v[164:165]
	v_fma_f64 v[220:221], v[220:221], v[14:15], -v[16:17]
	scratch_load_b128 v[14:17], off, off offset:256
	v_add_f64 v[48:49], v[48:49], v[226:227]
	v_add_f64 v[50:51], v[50:51], v[168:169]
	v_fma_f64 v[226:227], v[4:5], v[18:19], v[228:229]
	v_fma_f64 v[228:229], v[2:3], v[18:19], -v[20:21]
	scratch_load_b128 v[18:21], off, off offset:272
	ds_load_b128 v[2:5], v1 offset:1008
	s_waitcnt vmcnt(10) lgkmcnt(1)
	v_mul_f64 v[168:169], v[157:158], v[24:25]
	v_mul_f64 v[24:25], v[159:160], v[24:25]
	v_add_f64 v[48:49], v[48:49], v[220:221]
	v_add_f64 v[50:51], v[50:51], v[164:165]
	s_waitcnt vmcnt(9) lgkmcnt(0)
	v_mul_f64 v[164:165], v[2:3], v[28:29]
	v_mul_f64 v[28:29], v[4:5], v[28:29]
	ds_load_b128 v[220:223], v1 offset:1024
	v_fma_f64 v[159:160], v[159:160], v[22:23], v[168:169]
	v_fma_f64 v[157:158], v[157:158], v[22:23], -v[24:25]
	scratch_load_b128 v[22:25], off, off offset:288
	v_add_f64 v[48:49], v[48:49], v[228:229]
	v_add_f64 v[50:51], v[50:51], v[226:227]
	v_fma_f64 v[164:165], v[4:5], v[26:27], v[164:165]
	v_fma_f64 v[226:227], v[2:3], v[26:27], -v[28:29]
	scratch_load_b128 v[26:29], off, off offset:304
	ds_load_b128 v[2:5], v1 offset:1040
	s_waitcnt vmcnt(10) lgkmcnt(1)
	v_mul_f64 v[168:169], v[220:221], v[32:33]
	v_mul_f64 v[32:33], v[222:223], v[32:33]
	s_waitcnt vmcnt(9) lgkmcnt(0)
	v_mul_f64 v[228:229], v[2:3], v[36:37]
	v_mul_f64 v[36:37], v[4:5], v[36:37]
	v_add_f64 v[48:49], v[48:49], v[157:158]
	v_add_f64 v[50:51], v[50:51], v[159:160]
	ds_load_b128 v[157:160], v1 offset:1056
	v_fma_f64 v[168:169], v[222:223], v[30:31], v[168:169]
	v_fma_f64 v[220:221], v[220:221], v[30:31], -v[32:33]
	scratch_load_b128 v[30:33], off, off offset:320
	v_add_f64 v[48:49], v[48:49], v[226:227]
	v_add_f64 v[50:51], v[50:51], v[164:165]
	v_fma_f64 v[226:227], v[4:5], v[34:35], v[228:229]
	v_fma_f64 v[228:229], v[2:3], v[34:35], -v[36:37]
	scratch_load_b128 v[34:37], off, off offset:336
	ds_load_b128 v[2:5], v1 offset:1072
	s_waitcnt vmcnt(9) lgkmcnt(1)
	v_mul_f64 v[164:165], v[157:158], v[173:174]
	v_mul_f64 v[173:174], v[159:160], v[173:174]
	v_add_f64 v[48:49], v[48:49], v[220:221]
	v_add_f64 v[50:51], v[50:51], v[168:169]
	ds_load_b128 v[220:223], v1 offset:1088
	v_fma_f64 v[164:165], v[159:160], v[171:172], v[164:165]
	v_fma_f64 v[171:172], v[157:158], v[171:172], -v[173:174]
	scratch_load_b128 v[157:160], off, off offset:352
	s_waitcnt vmcnt(9) lgkmcnt(1)
	v_mul_f64 v[168:169], v[2:3], v[40:41]
	v_mul_f64 v[40:41], v[4:5], v[40:41]
	v_add_f64 v[48:49], v[48:49], v[228:229]
	v_add_f64 v[50:51], v[50:51], v[226:227]
	s_delay_alu instid0(VALU_DEP_4) | instskip(NEXT) | instid1(VALU_DEP_4)
	v_fma_f64 v[168:169], v[4:5], v[38:39], v[168:169]
	v_fma_f64 v[228:229], v[2:3], v[38:39], -v[40:41]
	scratch_load_b128 v[38:41], off, off offset:368
	ds_load_b128 v[2:5], v1 offset:1104
	s_waitcnt vmcnt(9) lgkmcnt(1)
	v_mul_f64 v[226:227], v[220:221], v[8:9]
	v_mul_f64 v[8:9], v[222:223], v[8:9]
	v_add_f64 v[48:49], v[48:49], v[171:172]
	v_add_f64 v[50:51], v[50:51], v[164:165]
	s_waitcnt vmcnt(8) lgkmcnt(0)
	v_mul_f64 v[164:165], v[2:3], v[12:13]
	v_mul_f64 v[12:13], v[4:5], v[12:13]
	ds_load_b128 v[171:174], v1 offset:1120
	v_fma_f64 v[222:223], v[222:223], v[6:7], v[226:227]
	v_fma_f64 v[220:221], v[220:221], v[6:7], -v[8:9]
	scratch_load_b128 v[6:9], off, off offset:384
	v_add_f64 v[48:49], v[48:49], v[228:229]
	v_add_f64 v[50:51], v[50:51], v[168:169]
	v_fma_f64 v[164:165], v[4:5], v[10:11], v[164:165]
	v_fma_f64 v[226:227], v[2:3], v[10:11], -v[12:13]
	scratch_load_b128 v[10:13], off, off offset:400
	ds_load_b128 v[2:5], v1 offset:1136
	s_waitcnt vmcnt(9) lgkmcnt(1)
	v_mul_f64 v[168:169], v[171:172], v[16:17]
	v_mul_f64 v[16:17], v[173:174], v[16:17]
	s_waitcnt vmcnt(8) lgkmcnt(0)
	v_mul_f64 v[228:229], v[2:3], v[20:21]
	v_mul_f64 v[20:21], v[4:5], v[20:21]
	v_add_f64 v[48:49], v[48:49], v[220:221]
	v_add_f64 v[50:51], v[50:51], v[222:223]
	ds_load_b128 v[220:223], v1 offset:1152
	v_fma_f64 v[168:169], v[173:174], v[14:15], v[168:169]
	v_fma_f64 v[171:172], v[171:172], v[14:15], -v[16:17]
	scratch_load_b128 v[14:17], off, off offset:416
	v_add_f64 v[48:49], v[48:49], v[226:227]
	v_add_f64 v[50:51], v[50:51], v[164:165]
	v_fma_f64 v[226:227], v[4:5], v[18:19], v[228:229]
	v_fma_f64 v[228:229], v[2:3], v[18:19], -v[20:21]
	scratch_load_b128 v[18:21], off, off offset:432
	ds_load_b128 v[2:5], v1 offset:1168
	s_waitcnt vmcnt(9) lgkmcnt(1)
	v_mul_f64 v[164:165], v[220:221], v[24:25]
	v_mul_f64 v[24:25], v[222:223], v[24:25]
	v_add_f64 v[48:49], v[48:49], v[171:172]
	v_add_f64 v[50:51], v[50:51], v[168:169]
	s_waitcnt vmcnt(8) lgkmcnt(0)
	v_mul_f64 v[168:169], v[2:3], v[28:29]
	v_mul_f64 v[28:29], v[4:5], v[28:29]
	ds_load_b128 v[171:174], v1 offset:1184
	v_fma_f64 v[164:165], v[222:223], v[22:23], v[164:165]
	v_fma_f64 v[220:221], v[220:221], v[22:23], -v[24:25]
	scratch_load_b128 v[22:25], off, off offset:448
	v_add_f64 v[48:49], v[48:49], v[228:229]
	v_add_f64 v[50:51], v[50:51], v[226:227]
	v_fma_f64 v[168:169], v[4:5], v[26:27], v[168:169]
	v_fma_f64 v[228:229], v[2:3], v[26:27], -v[28:29]
	scratch_load_b128 v[26:29], off, off offset:464
	ds_load_b128 v[2:5], v1 offset:1200
	s_waitcnt vmcnt(9) lgkmcnt(1)
	v_mul_f64 v[226:227], v[171:172], v[32:33]
	v_mul_f64 v[32:33], v[173:174], v[32:33]
	v_add_f64 v[48:49], v[48:49], v[220:221]
	v_add_f64 v[50:51], v[50:51], v[164:165]
	s_waitcnt vmcnt(8) lgkmcnt(0)
	v_mul_f64 v[164:165], v[2:3], v[36:37]
	v_mul_f64 v[36:37], v[4:5], v[36:37]
	ds_load_b128 v[220:223], v1 offset:1216
	v_fma_f64 v[173:174], v[173:174], v[30:31], v[226:227]
	v_fma_f64 v[171:172], v[171:172], v[30:31], -v[32:33]
	scratch_load_b128 v[30:33], off, off offset:480
	v_add_f64 v[48:49], v[48:49], v[228:229]
	v_add_f64 v[50:51], v[50:51], v[168:169]
	v_fma_f64 v[164:165], v[4:5], v[34:35], v[164:165]
	v_fma_f64 v[226:227], v[2:3], v[34:35], -v[36:37]
	scratch_load_b128 v[34:37], off, off offset:496
	ds_load_b128 v[2:5], v1 offset:1232
	s_waitcnt vmcnt(9) lgkmcnt(1)
	v_mul_f64 v[168:169], v[220:221], v[159:160]
	v_mul_f64 v[159:160], v[222:223], v[159:160]
	s_waitcnt vmcnt(8) lgkmcnt(0)
	v_mul_f64 v[228:229], v[2:3], v[40:41]
	v_mul_f64 v[40:41], v[4:5], v[40:41]
	v_add_f64 v[48:49], v[48:49], v[171:172]
	v_add_f64 v[50:51], v[50:51], v[173:174]
	ds_load_b128 v[171:174], v1 offset:1248
	v_fma_f64 v[168:169], v[222:223], v[157:158], v[168:169]
	v_fma_f64 v[220:221], v[220:221], v[157:158], -v[159:160]
	scratch_load_b128 v[157:160], off, off offset:512
	v_add_f64 v[48:49], v[48:49], v[226:227]
	v_add_f64 v[50:51], v[50:51], v[164:165]
	v_fma_f64 v[226:227], v[4:5], v[38:39], v[228:229]
	v_fma_f64 v[228:229], v[2:3], v[38:39], -v[40:41]
	scratch_load_b128 v[38:41], off, off offset:528
	ds_load_b128 v[2:5], v1 offset:1264
	s_waitcnt vmcnt(9) lgkmcnt(1)
	v_mul_f64 v[164:165], v[171:172], v[8:9]
	v_mul_f64 v[8:9], v[173:174], v[8:9]
	v_add_f64 v[48:49], v[48:49], v[220:221]
	v_add_f64 v[50:51], v[50:51], v[168:169]
	s_waitcnt vmcnt(8) lgkmcnt(0)
	v_mul_f64 v[168:169], v[2:3], v[12:13]
	v_mul_f64 v[12:13], v[4:5], v[12:13]
	ds_load_b128 v[220:223], v1 offset:1280
	v_fma_f64 v[164:165], v[173:174], v[6:7], v[164:165]
	v_fma_f64 v[171:172], v[171:172], v[6:7], -v[8:9]
	scratch_load_b128 v[6:9], off, off offset:544
	v_add_f64 v[48:49], v[48:49], v[228:229]
	v_add_f64 v[50:51], v[50:51], v[226:227]
	;; [unrolled: 54-line block ×5, first 2 shown]
	v_fma_f64 v[168:169], v[4:5], v[38:39], v[168:169]
	v_fma_f64 v[228:229], v[2:3], v[38:39], -v[40:41]
	scratch_load_b128 v[38:41], off, off offset:848
	ds_load_b128 v[2:5], v1 offset:1584
	s_waitcnt vmcnt(9) lgkmcnt(1)
	v_mul_f64 v[226:227], v[171:172], v[8:9]
	v_mul_f64 v[8:9], v[173:174], v[8:9]
	v_add_f64 v[48:49], v[48:49], v[220:221]
	v_add_f64 v[50:51], v[50:51], v[164:165]
	s_waitcnt vmcnt(8) lgkmcnt(0)
	v_mul_f64 v[164:165], v[2:3], v[12:13]
	v_mul_f64 v[12:13], v[4:5], v[12:13]
	ds_load_b128 v[220:223], v1 offset:1600
	v_fma_f64 v[173:174], v[173:174], v[6:7], v[226:227]
	v_fma_f64 v[6:7], v[171:172], v[6:7], -v[8:9]
	v_add_f64 v[8:9], v[48:49], v[228:229]
	v_add_f64 v[48:49], v[50:51], v[168:169]
	s_waitcnt vmcnt(7) lgkmcnt(0)
	v_mul_f64 v[50:51], v[220:221], v[16:17]
	v_mul_f64 v[16:17], v[222:223], v[16:17]
	v_fma_f64 v[164:165], v[4:5], v[10:11], v[164:165]
	v_fma_f64 v[10:11], v[2:3], v[10:11], -v[12:13]
	v_add_f64 v[12:13], v[8:9], v[6:7]
	v_add_f64 v[48:49], v[48:49], v[173:174]
	ds_load_b128 v[2:5], v1 offset:1616
	ds_load_b128 v[6:9], v1 offset:1632
	v_fma_f64 v[50:51], v[222:223], v[14:15], v[50:51]
	v_fma_f64 v[14:15], v[220:221], v[14:15], -v[16:17]
	s_waitcnt vmcnt(6) lgkmcnt(1)
	v_mul_f64 v[168:169], v[2:3], v[20:21]
	v_mul_f64 v[20:21], v[4:5], v[20:21]
	s_waitcnt vmcnt(5) lgkmcnt(0)
	v_mul_f64 v[16:17], v[6:7], v[24:25]
	v_mul_f64 v[24:25], v[8:9], v[24:25]
	v_add_f64 v[10:11], v[12:13], v[10:11]
	v_add_f64 v[12:13], v[48:49], v[164:165]
	v_fma_f64 v[48:49], v[4:5], v[18:19], v[168:169]
	v_fma_f64 v[18:19], v[2:3], v[18:19], -v[20:21]
	v_fma_f64 v[8:9], v[8:9], v[22:23], v[16:17]
	v_fma_f64 v[6:7], v[6:7], v[22:23], -v[24:25]
	v_add_f64 v[14:15], v[10:11], v[14:15]
	v_add_f64 v[20:21], v[12:13], v[50:51]
	ds_load_b128 v[2:5], v1 offset:1648
	ds_load_b128 v[10:13], v1 offset:1664
	s_waitcnt vmcnt(4) lgkmcnt(1)
	v_mul_f64 v[50:51], v[2:3], v[28:29]
	v_mul_f64 v[28:29], v[4:5], v[28:29]
	v_add_f64 v[14:15], v[14:15], v[18:19]
	v_add_f64 v[16:17], v[20:21], v[48:49]
	s_waitcnt vmcnt(3) lgkmcnt(0)
	v_mul_f64 v[18:19], v[10:11], v[32:33]
	v_mul_f64 v[20:21], v[12:13], v[32:33]
	v_fma_f64 v[22:23], v[4:5], v[26:27], v[50:51]
	v_fma_f64 v[24:25], v[2:3], v[26:27], -v[28:29]
	v_add_f64 v[14:15], v[14:15], v[6:7]
	v_add_f64 v[16:17], v[16:17], v[8:9]
	ds_load_b128 v[2:5], v1 offset:1680
	ds_load_b128 v[6:9], v1 offset:1696
	v_fma_f64 v[12:13], v[12:13], v[30:31], v[18:19]
	v_fma_f64 v[10:11], v[10:11], v[30:31], -v[20:21]
	s_waitcnt vmcnt(2) lgkmcnt(1)
	v_mul_f64 v[26:27], v[2:3], v[36:37]
	v_mul_f64 v[28:29], v[4:5], v[36:37]
	s_waitcnt vmcnt(1) lgkmcnt(0)
	v_mul_f64 v[18:19], v[6:7], v[159:160]
	v_mul_f64 v[20:21], v[8:9], v[159:160]
	v_add_f64 v[14:15], v[14:15], v[24:25]
	v_add_f64 v[16:17], v[16:17], v[22:23]
	v_fma_f64 v[22:23], v[4:5], v[34:35], v[26:27]
	v_fma_f64 v[24:25], v[2:3], v[34:35], -v[28:29]
	ds_load_b128 v[2:5], v1 offset:1712
	v_fma_f64 v[8:9], v[8:9], v[157:158], v[18:19]
	v_fma_f64 v[6:7], v[6:7], v[157:158], -v[20:21]
	v_add_f64 v[10:11], v[14:15], v[10:11]
	v_add_f64 v[12:13], v[16:17], v[12:13]
	s_waitcnt vmcnt(0) lgkmcnt(0)
	v_mul_f64 v[14:15], v[2:3], v[40:41]
	v_mul_f64 v[16:17], v[4:5], v[40:41]
	s_delay_alu instid0(VALU_DEP_4) | instskip(NEXT) | instid1(VALU_DEP_4)
	v_add_f64 v[10:11], v[10:11], v[24:25]
	v_add_f64 v[12:13], v[12:13], v[22:23]
	s_delay_alu instid0(VALU_DEP_4) | instskip(NEXT) | instid1(VALU_DEP_4)
	v_fma_f64 v[4:5], v[4:5], v[38:39], v[14:15]
	v_fma_f64 v[2:3], v[2:3], v[38:39], -v[16:17]
	s_delay_alu instid0(VALU_DEP_4) | instskip(NEXT) | instid1(VALU_DEP_4)
	v_add_f64 v[6:7], v[10:11], v[6:7]
	v_add_f64 v[8:9], v[12:13], v[8:9]
	s_delay_alu instid0(VALU_DEP_2) | instskip(NEXT) | instid1(VALU_DEP_2)
	v_add_f64 v[2:3], v[6:7], v[2:3]
	v_add_f64 v[4:5], v[8:9], v[4:5]
	s_delay_alu instid0(VALU_DEP_2) | instskip(NEXT) | instid1(VALU_DEP_2)
	v_add_f64 v[2:3], v[42:43], -v[2:3]
	v_add_f64 v[4:5], v[44:45], -v[4:5]
	scratch_store_b128 off, v[2:5], off offset:32
	v_cmpx_lt_u32_e32 1, v154
	s_cbranch_execz .LBB117_335
; %bb.334:
	scratch_load_b128 v[5:8], v207, off
	v_mov_b32_e32 v2, v1
	v_mov_b32_e32 v3, v1
	;; [unrolled: 1-line block ×3, first 2 shown]
	scratch_store_b128 off, v[1:4], off offset:16
	s_waitcnt vmcnt(0)
	ds_store_b128 v208, v[5:8]
.LBB117_335:
	s_or_b32 exec_lo, exec_lo, s2
	s_waitcnt lgkmcnt(0)
	s_waitcnt_vscnt null, 0x0
	s_barrier
	buffer_gl0_inv
	s_clause 0x8
	scratch_load_b128 v[2:5], off, off offset:32
	scratch_load_b128 v[6:9], off, off offset:48
	;; [unrolled: 1-line block ×9, first 2 shown]
	ds_load_b128 v[42:45], v1 offset:896
	ds_load_b128 v[38:41], v1 offset:912
	s_clause 0x1
	scratch_load_b128 v[157:160], off, off offset:16
	scratch_load_b128 v[171:174], off, off offset:176
	s_mov_b32 s2, exec_lo
	ds_load_b128 v[220:223], v1 offset:944
	s_waitcnt vmcnt(10) lgkmcnt(2)
	v_mul_f64 v[48:49], v[44:45], v[4:5]
	v_mul_f64 v[4:5], v[42:43], v[4:5]
	s_waitcnt vmcnt(9) lgkmcnt(1)
	v_mul_f64 v[50:51], v[38:39], v[8:9]
	v_mul_f64 v[8:9], v[40:41], v[8:9]
	s_delay_alu instid0(VALU_DEP_4) | instskip(NEXT) | instid1(VALU_DEP_4)
	v_fma_f64 v[48:49], v[42:43], v[2:3], -v[48:49]
	v_fma_f64 v[164:165], v[44:45], v[2:3], v[4:5]
	ds_load_b128 v[2:5], v1 offset:928
	scratch_load_b128 v[42:45], off, off offset:192
	v_fma_f64 v[40:41], v[40:41], v[6:7], v[50:51]
	v_fma_f64 v[38:39], v[38:39], v[6:7], -v[8:9]
	scratch_load_b128 v[6:9], off, off offset:208
	s_waitcnt vmcnt(10) lgkmcnt(0)
	v_mul_f64 v[168:169], v[2:3], v[12:13]
	v_mul_f64 v[12:13], v[4:5], v[12:13]
	v_add_f64 v[48:49], v[48:49], 0
	v_add_f64 v[50:51], v[164:165], 0
	s_waitcnt vmcnt(9)
	v_mul_f64 v[164:165], v[220:221], v[16:17]
	v_mul_f64 v[16:17], v[222:223], v[16:17]
	v_fma_f64 v[168:169], v[4:5], v[10:11], v[168:169]
	v_fma_f64 v[226:227], v[2:3], v[10:11], -v[12:13]
	ds_load_b128 v[2:5], v1 offset:960
	scratch_load_b128 v[10:13], off, off offset:224
	v_add_f64 v[48:49], v[48:49], v[38:39]
	v_add_f64 v[50:51], v[50:51], v[40:41]
	ds_load_b128 v[38:41], v1 offset:976
	v_fma_f64 v[164:165], v[222:223], v[14:15], v[164:165]
	v_fma_f64 v[220:221], v[220:221], v[14:15], -v[16:17]
	scratch_load_b128 v[14:17], off, off offset:240
	s_waitcnt vmcnt(10) lgkmcnt(1)
	v_mul_f64 v[228:229], v[2:3], v[20:21]
	v_mul_f64 v[20:21], v[4:5], v[20:21]
	v_add_f64 v[48:49], v[48:49], v[226:227]
	v_add_f64 v[50:51], v[50:51], v[168:169]
	s_waitcnt vmcnt(9) lgkmcnt(0)
	v_mul_f64 v[168:169], v[38:39], v[24:25]
	v_mul_f64 v[24:25], v[40:41], v[24:25]
	v_fma_f64 v[226:227], v[4:5], v[18:19], v[228:229]
	v_fma_f64 v[228:229], v[2:3], v[18:19], -v[20:21]
	ds_load_b128 v[2:5], v1 offset:992
	scratch_load_b128 v[18:21], off, off offset:256
	v_add_f64 v[48:49], v[48:49], v[220:221]
	v_add_f64 v[50:51], v[50:51], v[164:165]
	ds_load_b128 v[220:223], v1 offset:1008
	s_waitcnt vmcnt(9) lgkmcnt(1)
	v_mul_f64 v[164:165], v[2:3], v[28:29]
	v_mul_f64 v[28:29], v[4:5], v[28:29]
	v_fma_f64 v[40:41], v[40:41], v[22:23], v[168:169]
	v_fma_f64 v[38:39], v[38:39], v[22:23], -v[24:25]
	scratch_load_b128 v[22:25], off, off offset:272
	s_waitcnt vmcnt(9) lgkmcnt(0)
	v_mul_f64 v[168:169], v[220:221], v[32:33]
	v_mul_f64 v[32:33], v[222:223], v[32:33]
	v_add_f64 v[48:49], v[48:49], v[228:229]
	v_add_f64 v[50:51], v[50:51], v[226:227]
	v_fma_f64 v[164:165], v[4:5], v[26:27], v[164:165]
	v_fma_f64 v[226:227], v[2:3], v[26:27], -v[28:29]
	ds_load_b128 v[2:5], v1 offset:1024
	scratch_load_b128 v[26:29], off, off offset:288
	v_fma_f64 v[168:169], v[222:223], v[30:31], v[168:169]
	v_fma_f64 v[220:221], v[220:221], v[30:31], -v[32:33]
	scratch_load_b128 v[30:33], off, off offset:304
	v_add_f64 v[48:49], v[48:49], v[38:39]
	v_add_f64 v[50:51], v[50:51], v[40:41]
	ds_load_b128 v[38:41], v1 offset:1040
	s_waitcnt vmcnt(10) lgkmcnt(1)
	v_mul_f64 v[228:229], v[2:3], v[36:37]
	v_mul_f64 v[36:37], v[4:5], v[36:37]
	v_add_f64 v[48:49], v[48:49], v[226:227]
	v_add_f64 v[50:51], v[50:51], v[164:165]
	s_waitcnt vmcnt(8) lgkmcnt(0)
	v_mul_f64 v[164:165], v[38:39], v[173:174]
	v_mul_f64 v[173:174], v[40:41], v[173:174]
	v_fma_f64 v[226:227], v[4:5], v[34:35], v[228:229]
	v_fma_f64 v[228:229], v[2:3], v[34:35], -v[36:37]
	ds_load_b128 v[2:5], v1 offset:1056
	scratch_load_b128 v[34:37], off, off offset:320
	v_add_f64 v[48:49], v[48:49], v[220:221]
	v_add_f64 v[50:51], v[50:51], v[168:169]
	ds_load_b128 v[220:223], v1 offset:1072
	v_fma_f64 v[164:165], v[40:41], v[171:172], v[164:165]
	v_fma_f64 v[171:172], v[38:39], v[171:172], -v[173:174]
	scratch_load_b128 v[38:41], off, off offset:336
	s_waitcnt vmcnt(9) lgkmcnt(1)
	v_mul_f64 v[168:169], v[2:3], v[44:45]
	v_mul_f64 v[44:45], v[4:5], v[44:45]
	v_add_f64 v[48:49], v[48:49], v[228:229]
	v_add_f64 v[50:51], v[50:51], v[226:227]
	s_waitcnt vmcnt(8) lgkmcnt(0)
	v_mul_f64 v[226:227], v[220:221], v[8:9]
	v_mul_f64 v[8:9], v[222:223], v[8:9]
	v_fma_f64 v[168:169], v[4:5], v[42:43], v[168:169]
	v_fma_f64 v[228:229], v[2:3], v[42:43], -v[44:45]
	ds_load_b128 v[2:5], v1 offset:1088
	scratch_load_b128 v[42:45], off, off offset:352
	v_add_f64 v[48:49], v[48:49], v[171:172]
	v_add_f64 v[50:51], v[50:51], v[164:165]
	ds_load_b128 v[171:174], v1 offset:1104
	s_waitcnt vmcnt(8) lgkmcnt(1)
	v_mul_f64 v[164:165], v[2:3], v[12:13]
	v_mul_f64 v[12:13], v[4:5], v[12:13]
	v_fma_f64 v[222:223], v[222:223], v[6:7], v[226:227]
	v_fma_f64 v[220:221], v[220:221], v[6:7], -v[8:9]
	scratch_load_b128 v[6:9], off, off offset:368
	v_add_f64 v[48:49], v[48:49], v[228:229]
	v_add_f64 v[50:51], v[50:51], v[168:169]
	s_waitcnt vmcnt(8) lgkmcnt(0)
	v_mul_f64 v[168:169], v[171:172], v[16:17]
	v_mul_f64 v[16:17], v[173:174], v[16:17]
	v_fma_f64 v[164:165], v[4:5], v[10:11], v[164:165]
	v_fma_f64 v[226:227], v[2:3], v[10:11], -v[12:13]
	ds_load_b128 v[2:5], v1 offset:1120
	scratch_load_b128 v[10:13], off, off offset:384
	v_add_f64 v[48:49], v[48:49], v[220:221]
	v_add_f64 v[50:51], v[50:51], v[222:223]
	ds_load_b128 v[220:223], v1 offset:1136
	s_waitcnt vmcnt(8) lgkmcnt(1)
	v_mul_f64 v[228:229], v[2:3], v[20:21]
	v_mul_f64 v[20:21], v[4:5], v[20:21]
	v_fma_f64 v[168:169], v[173:174], v[14:15], v[168:169]
	v_fma_f64 v[171:172], v[171:172], v[14:15], -v[16:17]
	scratch_load_b128 v[14:17], off, off offset:400
	;; [unrolled: 18-line block ×16, first 2 shown]
	v_add_f64 v[48:49], v[48:49], v[228:229]
	v_add_f64 v[50:51], v[50:51], v[168:169]
	s_waitcnt vmcnt(8) lgkmcnt(0)
	v_mul_f64 v[168:169], v[220:221], v[16:17]
	v_mul_f64 v[16:17], v[222:223], v[16:17]
	v_fma_f64 v[164:165], v[4:5], v[10:11], v[164:165]
	v_fma_f64 v[226:227], v[2:3], v[10:11], -v[12:13]
	ds_load_b128 v[2:5], v1 offset:1600
	ds_load_b128 v[10:13], v1 offset:1616
	v_add_f64 v[48:49], v[48:49], v[171:172]
	v_add_f64 v[50:51], v[50:51], v[173:174]
	s_waitcnt vmcnt(7) lgkmcnt(1)
	v_mul_f64 v[171:172], v[2:3], v[20:21]
	v_mul_f64 v[20:21], v[4:5], v[20:21]
	v_fma_f64 v[168:169], v[222:223], v[14:15], v[168:169]
	v_fma_f64 v[14:15], v[220:221], v[14:15], -v[16:17]
	v_add_f64 v[16:17], v[48:49], v[226:227]
	v_add_f64 v[48:49], v[50:51], v[164:165]
	s_waitcnt vmcnt(6) lgkmcnt(0)
	v_mul_f64 v[50:51], v[10:11], v[24:25]
	v_mul_f64 v[24:25], v[12:13], v[24:25]
	v_fma_f64 v[164:165], v[4:5], v[18:19], v[171:172]
	v_fma_f64 v[18:19], v[2:3], v[18:19], -v[20:21]
	v_add_f64 v[20:21], v[16:17], v[14:15]
	v_add_f64 v[48:49], v[48:49], v[168:169]
	ds_load_b128 v[2:5], v1 offset:1632
	ds_load_b128 v[14:17], v1 offset:1648
	v_fma_f64 v[12:13], v[12:13], v[22:23], v[50:51]
	v_fma_f64 v[10:11], v[10:11], v[22:23], -v[24:25]
	s_waitcnt vmcnt(5) lgkmcnt(1)
	v_mul_f64 v[168:169], v[2:3], v[28:29]
	v_mul_f64 v[28:29], v[4:5], v[28:29]
	s_waitcnt vmcnt(4) lgkmcnt(0)
	v_mul_f64 v[22:23], v[14:15], v[32:33]
	v_mul_f64 v[24:25], v[16:17], v[32:33]
	v_add_f64 v[18:19], v[20:21], v[18:19]
	v_add_f64 v[20:21], v[48:49], v[164:165]
	v_fma_f64 v[32:33], v[4:5], v[26:27], v[168:169]
	v_fma_f64 v[26:27], v[2:3], v[26:27], -v[28:29]
	v_fma_f64 v[16:17], v[16:17], v[30:31], v[22:23]
	v_fma_f64 v[14:15], v[14:15], v[30:31], -v[24:25]
	v_add_f64 v[18:19], v[18:19], v[10:11]
	v_add_f64 v[20:21], v[20:21], v[12:13]
	ds_load_b128 v[2:5], v1 offset:1664
	ds_load_b128 v[10:13], v1 offset:1680
	s_waitcnt vmcnt(3) lgkmcnt(1)
	v_mul_f64 v[28:29], v[2:3], v[36:37]
	v_mul_f64 v[36:37], v[4:5], v[36:37]
	s_waitcnt vmcnt(2) lgkmcnt(0)
	v_mul_f64 v[22:23], v[10:11], v[40:41]
	v_mul_f64 v[24:25], v[12:13], v[40:41]
	v_add_f64 v[18:19], v[18:19], v[26:27]
	v_add_f64 v[20:21], v[20:21], v[32:33]
	v_fma_f64 v[26:27], v[4:5], v[34:35], v[28:29]
	v_fma_f64 v[28:29], v[2:3], v[34:35], -v[36:37]
	v_fma_f64 v[12:13], v[12:13], v[38:39], v[22:23]
	v_fma_f64 v[10:11], v[10:11], v[38:39], -v[24:25]
	v_add_f64 v[18:19], v[18:19], v[14:15]
	v_add_f64 v[20:21], v[20:21], v[16:17]
	ds_load_b128 v[2:5], v1 offset:1696
	ds_load_b128 v[14:17], v1 offset:1712
	s_waitcnt vmcnt(1) lgkmcnt(1)
	v_mul_f64 v[30:31], v[2:3], v[44:45]
	v_mul_f64 v[32:33], v[4:5], v[44:45]
	s_waitcnt vmcnt(0) lgkmcnt(0)
	v_mul_f64 v[22:23], v[14:15], v[8:9]
	v_mul_f64 v[8:9], v[16:17], v[8:9]
	v_add_f64 v[18:19], v[18:19], v[28:29]
	v_add_f64 v[20:21], v[20:21], v[26:27]
	v_fma_f64 v[4:5], v[4:5], v[42:43], v[30:31]
	v_fma_f64 v[1:2], v[2:3], v[42:43], -v[32:33]
	v_fma_f64 v[16:17], v[16:17], v[6:7], v[22:23]
	v_fma_f64 v[6:7], v[14:15], v[6:7], -v[8:9]
	v_add_f64 v[10:11], v[18:19], v[10:11]
	v_add_f64 v[12:13], v[20:21], v[12:13]
	s_delay_alu instid0(VALU_DEP_2) | instskip(NEXT) | instid1(VALU_DEP_2)
	v_add_f64 v[1:2], v[10:11], v[1:2]
	v_add_f64 v[3:4], v[12:13], v[4:5]
	s_delay_alu instid0(VALU_DEP_2) | instskip(NEXT) | instid1(VALU_DEP_2)
	;; [unrolled: 3-line block ×3, first 2 shown]
	v_add_f64 v[1:2], v[157:158], -v[1:2]
	v_add_f64 v[3:4], v[159:160], -v[3:4]
	scratch_store_b128 off, v[1:4], off offset:16
	v_cmpx_ne_u32_e32 0, v154
	s_cbranch_execz .LBB117_337
; %bb.336:
	scratch_load_b128 v[1:4], off, off
	v_mov_b32_e32 v5, 0
	s_delay_alu instid0(VALU_DEP_1)
	v_mov_b32_e32 v6, v5
	v_mov_b32_e32 v7, v5
	;; [unrolled: 1-line block ×3, first 2 shown]
	scratch_store_b128 off, v[5:8], off
	s_waitcnt vmcnt(0)
	ds_store_b128 v208, v[1:4]
.LBB117_337:
	s_or_b32 exec_lo, exec_lo, s2
	s_waitcnt lgkmcnt(0)
	s_waitcnt_vscnt null, 0x0
	s_barrier
	buffer_gl0_inv
	s_clause 0x7
	scratch_load_b128 v[1:4], off, off offset:16
	scratch_load_b128 v[5:8], off, off offset:32
	;; [unrolled: 1-line block ×8, first 2 shown]
	v_mov_b32_e32 v41, 0
	s_and_b32 vcc_lo, exec_lo, s14
	ds_load_b128 v[37:40], v41 offset:880
	s_clause 0x1
	scratch_load_b128 v[33:36], off, off offset:144
	scratch_load_b128 v[42:45], off, off
	ds_load_b128 v[157:160], v41 offset:896
	scratch_load_b128 v[171:174], off, off offset:160
	ds_load_b128 v[220:223], v41 offset:928
	s_waitcnt vmcnt(10) lgkmcnt(2)
	v_mul_f64 v[48:49], v[39:40], v[3:4]
	v_mul_f64 v[3:4], v[37:38], v[3:4]
	s_delay_alu instid0(VALU_DEP_2) | instskip(NEXT) | instid1(VALU_DEP_2)
	v_fma_f64 v[48:49], v[37:38], v[1:2], -v[48:49]
	v_fma_f64 v[164:165], v[39:40], v[1:2], v[3:4]
	ds_load_b128 v[1:4], v41 offset:912
	s_waitcnt vmcnt(9) lgkmcnt(2)
	v_mul_f64 v[50:51], v[157:158], v[7:8]
	v_mul_f64 v[7:8], v[159:160], v[7:8]
	scratch_load_b128 v[37:40], off, off offset:176
	s_waitcnt vmcnt(9) lgkmcnt(0)
	v_mul_f64 v[168:169], v[1:2], v[11:12]
	v_mul_f64 v[11:12], v[3:4], v[11:12]
	v_add_f64 v[48:49], v[48:49], 0
	v_fma_f64 v[50:51], v[159:160], v[5:6], v[50:51]
	v_fma_f64 v[157:158], v[157:158], v[5:6], -v[7:8]
	v_add_f64 v[159:160], v[164:165], 0
	scratch_load_b128 v[5:8], off, off offset:192
	v_fma_f64 v[168:169], v[3:4], v[9:10], v[168:169]
	v_fma_f64 v[226:227], v[1:2], v[9:10], -v[11:12]
	scratch_load_b128 v[9:12], off, off offset:208
	ds_load_b128 v[1:4], v41 offset:944
	s_waitcnt vmcnt(10)
	v_mul_f64 v[164:165], v[220:221], v[15:16]
	v_mul_f64 v[15:16], v[222:223], v[15:16]
	v_add_f64 v[48:49], v[48:49], v[157:158]
	v_add_f64 v[50:51], v[159:160], v[50:51]
	ds_load_b128 v[157:160], v41 offset:960
	s_waitcnt vmcnt(9) lgkmcnt(1)
	v_mul_f64 v[228:229], v[1:2], v[19:20]
	v_mul_f64 v[19:20], v[3:4], v[19:20]
	v_fma_f64 v[164:165], v[222:223], v[13:14], v[164:165]
	v_fma_f64 v[220:221], v[220:221], v[13:14], -v[15:16]
	scratch_load_b128 v[13:16], off, off offset:224
	v_add_f64 v[48:49], v[48:49], v[226:227]
	v_add_f64 v[50:51], v[50:51], v[168:169]
	v_fma_f64 v[226:227], v[3:4], v[17:18], v[228:229]
	v_fma_f64 v[228:229], v[1:2], v[17:18], -v[19:20]
	scratch_load_b128 v[17:20], off, off offset:240
	ds_load_b128 v[1:4], v41 offset:976
	s_waitcnt vmcnt(10) lgkmcnt(1)
	v_mul_f64 v[168:169], v[157:158], v[23:24]
	v_mul_f64 v[23:24], v[159:160], v[23:24]
	v_add_f64 v[48:49], v[48:49], v[220:221]
	v_add_f64 v[50:51], v[50:51], v[164:165]
	s_waitcnt vmcnt(9) lgkmcnt(0)
	v_mul_f64 v[164:165], v[1:2], v[27:28]
	v_mul_f64 v[27:28], v[3:4], v[27:28]
	ds_load_b128 v[220:223], v41 offset:992
	v_fma_f64 v[159:160], v[159:160], v[21:22], v[168:169]
	v_fma_f64 v[157:158], v[157:158], v[21:22], -v[23:24]
	scratch_load_b128 v[21:24], off, off offset:256
	v_add_f64 v[48:49], v[48:49], v[228:229]
	v_add_f64 v[50:51], v[50:51], v[226:227]
	v_fma_f64 v[164:165], v[3:4], v[25:26], v[164:165]
	v_fma_f64 v[226:227], v[1:2], v[25:26], -v[27:28]
	scratch_load_b128 v[25:28], off, off offset:272
	ds_load_b128 v[1:4], v41 offset:1008
	s_waitcnt vmcnt(10) lgkmcnt(1)
	v_mul_f64 v[168:169], v[220:221], v[31:32]
	v_mul_f64 v[31:32], v[222:223], v[31:32]
	s_waitcnt vmcnt(9) lgkmcnt(0)
	v_mul_f64 v[228:229], v[1:2], v[35:36]
	v_mul_f64 v[35:36], v[3:4], v[35:36]
	v_add_f64 v[48:49], v[48:49], v[157:158]
	v_add_f64 v[50:51], v[50:51], v[159:160]
	ds_load_b128 v[157:160], v41 offset:1024
	v_fma_f64 v[168:169], v[222:223], v[29:30], v[168:169]
	v_fma_f64 v[220:221], v[220:221], v[29:30], -v[31:32]
	scratch_load_b128 v[29:32], off, off offset:288
	v_add_f64 v[48:49], v[48:49], v[226:227]
	v_add_f64 v[50:51], v[50:51], v[164:165]
	v_fma_f64 v[226:227], v[3:4], v[33:34], v[228:229]
	v_fma_f64 v[228:229], v[1:2], v[33:34], -v[35:36]
	scratch_load_b128 v[33:36], off, off offset:304
	ds_load_b128 v[1:4], v41 offset:1040
	s_waitcnt vmcnt(9) lgkmcnt(1)
	v_mul_f64 v[164:165], v[157:158], v[173:174]
	v_mul_f64 v[173:174], v[159:160], v[173:174]
	v_add_f64 v[48:49], v[48:49], v[220:221]
	v_add_f64 v[50:51], v[50:51], v[168:169]
	ds_load_b128 v[220:223], v41 offset:1056
	v_fma_f64 v[164:165], v[159:160], v[171:172], v[164:165]
	v_fma_f64 v[171:172], v[157:158], v[171:172], -v[173:174]
	scratch_load_b128 v[157:160], off, off offset:320
	s_waitcnt vmcnt(9) lgkmcnt(1)
	v_mul_f64 v[168:169], v[1:2], v[39:40]
	v_mul_f64 v[39:40], v[3:4], v[39:40]
	v_add_f64 v[48:49], v[48:49], v[228:229]
	v_add_f64 v[50:51], v[50:51], v[226:227]
	s_delay_alu instid0(VALU_DEP_4) | instskip(NEXT) | instid1(VALU_DEP_4)
	v_fma_f64 v[168:169], v[3:4], v[37:38], v[168:169]
	v_fma_f64 v[228:229], v[1:2], v[37:38], -v[39:40]
	scratch_load_b128 v[37:40], off, off offset:336
	ds_load_b128 v[1:4], v41 offset:1072
	s_waitcnt vmcnt(9) lgkmcnt(1)
	v_mul_f64 v[226:227], v[220:221], v[7:8]
	v_mul_f64 v[7:8], v[222:223], v[7:8]
	v_add_f64 v[48:49], v[48:49], v[171:172]
	v_add_f64 v[50:51], v[50:51], v[164:165]
	s_waitcnt vmcnt(8) lgkmcnt(0)
	v_mul_f64 v[164:165], v[1:2], v[11:12]
	v_mul_f64 v[11:12], v[3:4], v[11:12]
	ds_load_b128 v[171:174], v41 offset:1088
	v_fma_f64 v[222:223], v[222:223], v[5:6], v[226:227]
	v_fma_f64 v[220:221], v[220:221], v[5:6], -v[7:8]
	scratch_load_b128 v[5:8], off, off offset:352
	v_add_f64 v[48:49], v[48:49], v[228:229]
	v_add_f64 v[50:51], v[50:51], v[168:169]
	v_fma_f64 v[164:165], v[3:4], v[9:10], v[164:165]
	v_fma_f64 v[226:227], v[1:2], v[9:10], -v[11:12]
	scratch_load_b128 v[9:12], off, off offset:368
	ds_load_b128 v[1:4], v41 offset:1104
	s_waitcnt vmcnt(9) lgkmcnt(1)
	v_mul_f64 v[168:169], v[171:172], v[15:16]
	v_mul_f64 v[15:16], v[173:174], v[15:16]
	s_waitcnt vmcnt(8) lgkmcnt(0)
	v_mul_f64 v[228:229], v[1:2], v[19:20]
	v_mul_f64 v[19:20], v[3:4], v[19:20]
	v_add_f64 v[48:49], v[48:49], v[220:221]
	v_add_f64 v[50:51], v[50:51], v[222:223]
	ds_load_b128 v[220:223], v41 offset:1120
	v_fma_f64 v[168:169], v[173:174], v[13:14], v[168:169]
	v_fma_f64 v[171:172], v[171:172], v[13:14], -v[15:16]
	scratch_load_b128 v[13:16], off, off offset:384
	v_add_f64 v[48:49], v[48:49], v[226:227]
	v_add_f64 v[50:51], v[50:51], v[164:165]
	v_fma_f64 v[226:227], v[3:4], v[17:18], v[228:229]
	v_fma_f64 v[228:229], v[1:2], v[17:18], -v[19:20]
	scratch_load_b128 v[17:20], off, off offset:400
	ds_load_b128 v[1:4], v41 offset:1136
	s_waitcnt vmcnt(9) lgkmcnt(1)
	v_mul_f64 v[164:165], v[220:221], v[23:24]
	v_mul_f64 v[23:24], v[222:223], v[23:24]
	v_add_f64 v[48:49], v[48:49], v[171:172]
	v_add_f64 v[50:51], v[50:51], v[168:169]
	s_waitcnt vmcnt(8) lgkmcnt(0)
	v_mul_f64 v[168:169], v[1:2], v[27:28]
	v_mul_f64 v[27:28], v[3:4], v[27:28]
	ds_load_b128 v[171:174], v41 offset:1152
	v_fma_f64 v[164:165], v[222:223], v[21:22], v[164:165]
	v_fma_f64 v[220:221], v[220:221], v[21:22], -v[23:24]
	scratch_load_b128 v[21:24], off, off offset:416
	v_add_f64 v[48:49], v[48:49], v[228:229]
	v_add_f64 v[50:51], v[50:51], v[226:227]
	v_fma_f64 v[168:169], v[3:4], v[25:26], v[168:169]
	v_fma_f64 v[228:229], v[1:2], v[25:26], -v[27:28]
	scratch_load_b128 v[25:28], off, off offset:432
	ds_load_b128 v[1:4], v41 offset:1168
	s_waitcnt vmcnt(9) lgkmcnt(1)
	v_mul_f64 v[226:227], v[171:172], v[31:32]
	v_mul_f64 v[31:32], v[173:174], v[31:32]
	v_add_f64 v[48:49], v[48:49], v[220:221]
	v_add_f64 v[50:51], v[50:51], v[164:165]
	s_waitcnt vmcnt(8) lgkmcnt(0)
	v_mul_f64 v[164:165], v[1:2], v[35:36]
	v_mul_f64 v[35:36], v[3:4], v[35:36]
	ds_load_b128 v[220:223], v41 offset:1184
	v_fma_f64 v[173:174], v[173:174], v[29:30], v[226:227]
	v_fma_f64 v[171:172], v[171:172], v[29:30], -v[31:32]
	scratch_load_b128 v[29:32], off, off offset:448
	v_add_f64 v[48:49], v[48:49], v[228:229]
	v_add_f64 v[50:51], v[50:51], v[168:169]
	v_fma_f64 v[164:165], v[3:4], v[33:34], v[164:165]
	v_fma_f64 v[226:227], v[1:2], v[33:34], -v[35:36]
	scratch_load_b128 v[33:36], off, off offset:464
	ds_load_b128 v[1:4], v41 offset:1200
	s_waitcnt vmcnt(9) lgkmcnt(1)
	v_mul_f64 v[168:169], v[220:221], v[159:160]
	v_mul_f64 v[159:160], v[222:223], v[159:160]
	s_waitcnt vmcnt(8) lgkmcnt(0)
	v_mul_f64 v[228:229], v[1:2], v[39:40]
	v_mul_f64 v[39:40], v[3:4], v[39:40]
	v_add_f64 v[48:49], v[48:49], v[171:172]
	v_add_f64 v[50:51], v[50:51], v[173:174]
	ds_load_b128 v[171:174], v41 offset:1216
	v_fma_f64 v[168:169], v[222:223], v[157:158], v[168:169]
	v_fma_f64 v[220:221], v[220:221], v[157:158], -v[159:160]
	scratch_load_b128 v[157:160], off, off offset:480
	v_add_f64 v[48:49], v[48:49], v[226:227]
	v_add_f64 v[50:51], v[50:51], v[164:165]
	v_fma_f64 v[226:227], v[3:4], v[37:38], v[228:229]
	v_fma_f64 v[228:229], v[1:2], v[37:38], -v[39:40]
	scratch_load_b128 v[37:40], off, off offset:496
	ds_load_b128 v[1:4], v41 offset:1232
	s_waitcnt vmcnt(9) lgkmcnt(1)
	v_mul_f64 v[164:165], v[171:172], v[7:8]
	v_mul_f64 v[7:8], v[173:174], v[7:8]
	v_add_f64 v[48:49], v[48:49], v[220:221]
	v_add_f64 v[50:51], v[50:51], v[168:169]
	s_waitcnt vmcnt(8) lgkmcnt(0)
	v_mul_f64 v[168:169], v[1:2], v[11:12]
	v_mul_f64 v[11:12], v[3:4], v[11:12]
	ds_load_b128 v[220:223], v41 offset:1248
	v_fma_f64 v[164:165], v[173:174], v[5:6], v[164:165]
	v_fma_f64 v[171:172], v[171:172], v[5:6], -v[7:8]
	scratch_load_b128 v[5:8], off, off offset:512
	v_add_f64 v[48:49], v[48:49], v[228:229]
	v_add_f64 v[50:51], v[50:51], v[226:227]
	;; [unrolled: 54-line block ×5, first 2 shown]
	v_fma_f64 v[168:169], v[3:4], v[37:38], v[168:169]
	v_fma_f64 v[228:229], v[1:2], v[37:38], -v[39:40]
	scratch_load_b128 v[37:40], off, off offset:816
	ds_load_b128 v[1:4], v41 offset:1552
	s_waitcnt vmcnt(9) lgkmcnt(1)
	v_mul_f64 v[226:227], v[171:172], v[7:8]
	v_mul_f64 v[7:8], v[173:174], v[7:8]
	v_add_f64 v[48:49], v[48:49], v[220:221]
	v_add_f64 v[50:51], v[50:51], v[164:165]
	s_waitcnt vmcnt(8) lgkmcnt(0)
	v_mul_f64 v[164:165], v[1:2], v[11:12]
	v_mul_f64 v[11:12], v[3:4], v[11:12]
	ds_load_b128 v[220:223], v41 offset:1568
	v_fma_f64 v[173:174], v[173:174], v[5:6], v[226:227]
	v_fma_f64 v[171:172], v[171:172], v[5:6], -v[7:8]
	scratch_load_b128 v[5:8], off, off offset:832
	v_add_f64 v[48:49], v[48:49], v[228:229]
	v_add_f64 v[50:51], v[50:51], v[168:169]
	v_fma_f64 v[164:165], v[3:4], v[9:10], v[164:165]
	v_fma_f64 v[226:227], v[1:2], v[9:10], -v[11:12]
	scratch_load_b128 v[9:12], off, off offset:848
	ds_load_b128 v[1:4], v41 offset:1584
	s_waitcnt vmcnt(9) lgkmcnt(1)
	v_mul_f64 v[168:169], v[220:221], v[15:16]
	v_mul_f64 v[15:16], v[222:223], v[15:16]
	s_waitcnt vmcnt(8) lgkmcnt(0)
	v_mul_f64 v[228:229], v[1:2], v[19:20]
	v_mul_f64 v[19:20], v[3:4], v[19:20]
	v_add_f64 v[48:49], v[48:49], v[171:172]
	v_add_f64 v[50:51], v[50:51], v[173:174]
	ds_load_b128 v[171:174], v41 offset:1600
	v_fma_f64 v[168:169], v[222:223], v[13:14], v[168:169]
	v_fma_f64 v[13:14], v[220:221], v[13:14], -v[15:16]
	v_add_f64 v[15:16], v[48:49], v[226:227]
	v_add_f64 v[48:49], v[50:51], v[164:165]
	s_waitcnt vmcnt(7) lgkmcnt(0)
	v_mul_f64 v[50:51], v[171:172], v[23:24]
	v_mul_f64 v[23:24], v[173:174], v[23:24]
	v_fma_f64 v[164:165], v[3:4], v[17:18], v[228:229]
	v_fma_f64 v[17:18], v[1:2], v[17:18], -v[19:20]
	v_add_f64 v[19:20], v[15:16], v[13:14]
	v_add_f64 v[48:49], v[48:49], v[168:169]
	ds_load_b128 v[1:4], v41 offset:1616
	ds_load_b128 v[13:16], v41 offset:1632
	v_fma_f64 v[50:51], v[173:174], v[21:22], v[50:51]
	v_fma_f64 v[21:22], v[171:172], v[21:22], -v[23:24]
	s_waitcnt vmcnt(6) lgkmcnt(1)
	v_mul_f64 v[168:169], v[1:2], v[27:28]
	v_mul_f64 v[27:28], v[3:4], v[27:28]
	s_waitcnt vmcnt(5) lgkmcnt(0)
	v_mul_f64 v[23:24], v[13:14], v[31:32]
	v_mul_f64 v[31:32], v[15:16], v[31:32]
	v_add_f64 v[17:18], v[19:20], v[17:18]
	v_add_f64 v[19:20], v[48:49], v[164:165]
	v_fma_f64 v[48:49], v[3:4], v[25:26], v[168:169]
	v_fma_f64 v[25:26], v[1:2], v[25:26], -v[27:28]
	v_fma_f64 v[15:16], v[15:16], v[29:30], v[23:24]
	v_fma_f64 v[13:14], v[13:14], v[29:30], -v[31:32]
	v_add_f64 v[21:22], v[17:18], v[21:22]
	v_add_f64 v[27:28], v[19:20], v[50:51]
	ds_load_b128 v[1:4], v41 offset:1648
	ds_load_b128 v[17:20], v41 offset:1664
	s_waitcnt vmcnt(4) lgkmcnt(1)
	v_mul_f64 v[50:51], v[1:2], v[35:36]
	v_mul_f64 v[35:36], v[3:4], v[35:36]
	v_add_f64 v[21:22], v[21:22], v[25:26]
	v_add_f64 v[23:24], v[27:28], v[48:49]
	s_waitcnt vmcnt(3) lgkmcnt(0)
	v_mul_f64 v[25:26], v[17:18], v[159:160]
	v_mul_f64 v[27:28], v[19:20], v[159:160]
	v_fma_f64 v[29:30], v[3:4], v[33:34], v[50:51]
	v_fma_f64 v[31:32], v[1:2], v[33:34], -v[35:36]
	v_add_f64 v[21:22], v[21:22], v[13:14]
	v_add_f64 v[23:24], v[23:24], v[15:16]
	ds_load_b128 v[1:4], v41 offset:1680
	ds_load_b128 v[13:16], v41 offset:1696
	v_fma_f64 v[19:20], v[19:20], v[157:158], v[25:26]
	v_fma_f64 v[17:18], v[17:18], v[157:158], -v[27:28]
	s_waitcnt vmcnt(2) lgkmcnt(1)
	v_mul_f64 v[33:34], v[1:2], v[39:40]
	v_mul_f64 v[35:36], v[3:4], v[39:40]
	s_waitcnt vmcnt(1) lgkmcnt(0)
	v_mul_f64 v[25:26], v[13:14], v[7:8]
	v_mul_f64 v[7:8], v[15:16], v[7:8]
	v_add_f64 v[21:22], v[21:22], v[31:32]
	v_add_f64 v[23:24], v[23:24], v[29:30]
	v_fma_f64 v[27:28], v[3:4], v[37:38], v[33:34]
	v_fma_f64 v[29:30], v[1:2], v[37:38], -v[35:36]
	ds_load_b128 v[1:4], v41 offset:1712
	v_fma_f64 v[15:16], v[15:16], v[5:6], v[25:26]
	v_fma_f64 v[5:6], v[13:14], v[5:6], -v[7:8]
	v_add_f64 v[17:18], v[21:22], v[17:18]
	v_add_f64 v[19:20], v[23:24], v[19:20]
	s_waitcnt vmcnt(0) lgkmcnt(0)
	v_mul_f64 v[21:22], v[1:2], v[11:12]
	v_mul_f64 v[11:12], v[3:4], v[11:12]
	s_delay_alu instid0(VALU_DEP_4) | instskip(NEXT) | instid1(VALU_DEP_4)
	v_add_f64 v[7:8], v[17:18], v[29:30]
	v_add_f64 v[13:14], v[19:20], v[27:28]
	s_delay_alu instid0(VALU_DEP_4) | instskip(NEXT) | instid1(VALU_DEP_4)
	v_fma_f64 v[3:4], v[3:4], v[9:10], v[21:22]
	v_fma_f64 v[1:2], v[1:2], v[9:10], -v[11:12]
	s_delay_alu instid0(VALU_DEP_4) | instskip(NEXT) | instid1(VALU_DEP_4)
	v_add_f64 v[5:6], v[7:8], v[5:6]
	v_add_f64 v[7:8], v[13:14], v[15:16]
	s_delay_alu instid0(VALU_DEP_2) | instskip(NEXT) | instid1(VALU_DEP_2)
	v_add_f64 v[1:2], v[5:6], v[1:2]
	v_add_f64 v[3:4], v[7:8], v[3:4]
	s_delay_alu instid0(VALU_DEP_2) | instskip(NEXT) | instid1(VALU_DEP_2)
	v_add_f64 v[1:2], v[42:43], -v[1:2]
	v_add_f64 v[3:4], v[44:45], -v[3:4]
	scratch_store_b128 off, v[1:4], off
	s_cbranch_vccz .LBB117_445
; %bb.338:
	v_dual_mov_b32 v1, s8 :: v_dual_mov_b32 v2, s9
	s_load_b64 s[0:1], s[0:1], 0x4
	flat_load_b32 v1, v[1:2] offset:208
	v_bfe_u32 v2, v0, 10, 10
	v_bfe_u32 v0, v0, 20, 10
	s_waitcnt lgkmcnt(0)
	s_lshr_b32 s0, s0, 16
	s_delay_alu instid0(VALU_DEP_2) | instskip(SKIP_1) | instid1(SALU_CYCLE_1)
	v_mul_u32_u24_e32 v2, s1, v2
	s_mul_i32 s0, s0, s1
	v_mul_u32_u24_e32 v3, s0, v154
	s_mov_b32 s0, exec_lo
	s_delay_alu instid0(VALU_DEP_1) | instskip(NEXT) | instid1(VALU_DEP_1)
	v_add3_u32 v0, v3, v2, v0
	v_lshl_add_u32 v0, v0, 4, 0x6c8
	s_waitcnt vmcnt(0)
	v_cmpx_ne_u32_e32 53, v1
	s_cbranch_execz .LBB117_340
; %bb.339:
	v_lshl_add_u32 v9, v1, 4, 0
	s_clause 0x1
	scratch_load_b128 v[1:4], v163, off
	scratch_load_b128 v[5:8], v9, off offset:-16
	s_waitcnt vmcnt(1)
	ds_store_2addr_b64 v0, v[1:2], v[3:4] offset1:1
	s_waitcnt vmcnt(0)
	s_clause 0x1
	scratch_store_b128 v163, v[5:8], off
	scratch_store_b128 v9, v[1:4], off offset:-16
.LBB117_340:
	s_or_b32 exec_lo, exec_lo, s0
	v_dual_mov_b32 v1, s8 :: v_dual_mov_b32 v2, s9
	s_mov_b32 s0, exec_lo
	flat_load_b32 v1, v[1:2] offset:204
	s_waitcnt vmcnt(0) lgkmcnt(0)
	v_cmpx_ne_u32_e32 52, v1
	s_cbranch_execz .LBB117_342
; %bb.341:
	v_lshl_add_u32 v9, v1, 4, 0
	s_clause 0x1
	scratch_load_b128 v[1:4], v166, off
	scratch_load_b128 v[5:8], v9, off offset:-16
	s_waitcnt vmcnt(1)
	ds_store_2addr_b64 v0, v[1:2], v[3:4] offset1:1
	s_waitcnt vmcnt(0)
	s_clause 0x1
	scratch_store_b128 v166, v[5:8], off
	scratch_store_b128 v9, v[1:4], off offset:-16
.LBB117_342:
	s_or_b32 exec_lo, exec_lo, s0
	v_dual_mov_b32 v1, s8 :: v_dual_mov_b32 v2, s9
	s_mov_b32 s0, exec_lo
	flat_load_b32 v1, v[1:2] offset:200
	s_waitcnt vmcnt(0) lgkmcnt(0)
	;; [unrolled: 19-line block ×51, first 2 shown]
	v_cmpx_ne_u32_e32 2, v1
	s_cbranch_execz .LBB117_442
; %bb.441:
	v_lshl_add_u32 v9, v1, 4, 0
	s_clause 0x1
	scratch_load_b128 v[1:4], v207, off
	scratch_load_b128 v[5:8], v9, off offset:-16
	s_waitcnt vmcnt(1)
	ds_store_2addr_b64 v0, v[1:2], v[3:4] offset1:1
	s_waitcnt vmcnt(0)
	s_clause 0x1
	scratch_store_b128 v207, v[5:8], off
	scratch_store_b128 v9, v[1:4], off offset:-16
.LBB117_442:
	s_or_b32 exec_lo, exec_lo, s0
	v_dual_mov_b32 v1, s8 :: v_dual_mov_b32 v2, s9
	s_mov_b32 s0, exec_lo
	flat_load_b32 v1, v[1:2]
	s_waitcnt vmcnt(0) lgkmcnt(0)
	v_cmpx_ne_u32_e32 1, v1
	s_cbranch_execz .LBB117_444
; %bb.443:
	v_lshl_add_u32 v9, v1, 4, 0
	scratch_load_b128 v[1:4], off, off
	scratch_load_b128 v[5:8], v9, off offset:-16
	s_waitcnt vmcnt(1)
	ds_store_2addr_b64 v0, v[1:2], v[3:4] offset1:1
	s_waitcnt vmcnt(0)
	scratch_store_b128 off, v[5:8], off
	scratch_store_b128 v9, v[1:4], off offset:-16
.LBB117_444:
	s_or_b32 exec_lo, exec_lo, s0
.LBB117_445:
	scratch_load_b128 v[0:3], off, off
	s_clause 0x16
	scratch_load_b128 v[4:7], v207, off
	scratch_load_b128 v[8:11], v206, off
	;; [unrolled: 1-line block ×23, first 2 shown]
	s_waitcnt vmcnt(23)
	global_store_b128 v[46:47], v[0:3], off
	s_clause 0x1
	scratch_load_b128 v[0:3], v184, off
	scratch_load_b128 v[44:47], v183, off
	scratch_load_b64 v[48:49], off, off offset:864 ; 8-byte Folded Reload
	s_waitcnt vmcnt(0)
	global_store_b128 v[48:49], v[4:7], off
	s_clause 0x1
	scratch_load_b128 v[4:7], v182, off
	scratch_load_b128 v[181:184], v181, off
	scratch_load_b64 v[48:49], off, off offset:872 ; 8-byte Folded Reload
	s_waitcnt vmcnt(0)
	global_store_b128 v[48:49], v[8:11], off
	s_clause 0x1
	scratch_load_b128 v[8:11], v180, off
	scratch_load_b128 v[48:51], v179, off
	global_store_b128 v[52:53], v[12:15], off
	s_clause 0x1
	scratch_load_b128 v[12:15], v178, off
	scratch_load_b128 v[177:180], v177, off
	;; [unrolled: 4-line block ×13, first 2 shown]
	s_clause 0xc
	global_store_b128 v[76:77], v[203:206], off
	global_store_b128 v[78:79], v[220:223], off
	;; [unrolled: 1-line block ×13, first 2 shown]
	s_waitcnt vmcnt(25)
	global_store_b128 v[104:105], v[8:11], off
	s_waitcnt vmcnt(24)
	global_store_b128 v[106:107], v[48:51], off
	;; [unrolled: 2-line block ×26, first 2 shown]
	s_endpgm
	.section	.rodata,"a",@progbits
	.p2align	6, 0x0
	.amdhsa_kernel _ZN9rocsolver6v33100L18getri_kernel_smallILi54E19rocblas_complex_numIdEPKPS3_EEvT1_iilPiilS8_bb
		.amdhsa_group_segment_fixed_size 2760
		.amdhsa_private_segment_fixed_size 896
		.amdhsa_kernarg_size 60
		.amdhsa_user_sgpr_count 15
		.amdhsa_user_sgpr_dispatch_ptr 1
		.amdhsa_user_sgpr_queue_ptr 0
		.amdhsa_user_sgpr_kernarg_segment_ptr 1
		.amdhsa_user_sgpr_dispatch_id 0
		.amdhsa_user_sgpr_private_segment_size 0
		.amdhsa_wavefront_size32 1
		.amdhsa_uses_dynamic_stack 0
		.amdhsa_enable_private_segment 1
		.amdhsa_system_sgpr_workgroup_id_x 1
		.amdhsa_system_sgpr_workgroup_id_y 0
		.amdhsa_system_sgpr_workgroup_id_z 0
		.amdhsa_system_sgpr_workgroup_info 0
		.amdhsa_system_vgpr_workitem_id 2
		.amdhsa_next_free_vgpr 256
		.amdhsa_next_free_sgpr 60
		.amdhsa_reserve_vcc 1
		.amdhsa_float_round_mode_32 0
		.amdhsa_float_round_mode_16_64 0
		.amdhsa_float_denorm_mode_32 3
		.amdhsa_float_denorm_mode_16_64 3
		.amdhsa_dx10_clamp 1
		.amdhsa_ieee_mode 1
		.amdhsa_fp16_overflow 0
		.amdhsa_workgroup_processor_mode 1
		.amdhsa_memory_ordered 1
		.amdhsa_forward_progress 0
		.amdhsa_shared_vgpr_count 0
		.amdhsa_exception_fp_ieee_invalid_op 0
		.amdhsa_exception_fp_denorm_src 0
		.amdhsa_exception_fp_ieee_div_zero 0
		.amdhsa_exception_fp_ieee_overflow 0
		.amdhsa_exception_fp_ieee_underflow 0
		.amdhsa_exception_fp_ieee_inexact 0
		.amdhsa_exception_int_div_zero 0
	.end_amdhsa_kernel
	.section	.text._ZN9rocsolver6v33100L18getri_kernel_smallILi54E19rocblas_complex_numIdEPKPS3_EEvT1_iilPiilS8_bb,"axG",@progbits,_ZN9rocsolver6v33100L18getri_kernel_smallILi54E19rocblas_complex_numIdEPKPS3_EEvT1_iilPiilS8_bb,comdat
.Lfunc_end117:
	.size	_ZN9rocsolver6v33100L18getri_kernel_smallILi54E19rocblas_complex_numIdEPKPS3_EEvT1_iilPiilS8_bb, .Lfunc_end117-_ZN9rocsolver6v33100L18getri_kernel_smallILi54E19rocblas_complex_numIdEPKPS3_EEvT1_iilPiilS8_bb
                                        ; -- End function
	.section	.AMDGPU.csdata,"",@progbits
; Kernel info:
; codeLenInByte = 130692
; NumSgprs: 62
; NumVgprs: 256
; ScratchSize: 896
; MemoryBound: 0
; FloatMode: 240
; IeeeMode: 1
; LDSByteSize: 2760 bytes/workgroup (compile time only)
; SGPRBlocks: 7
; VGPRBlocks: 31
; NumSGPRsForWavesPerEU: 62
; NumVGPRsForWavesPerEU: 256
; Occupancy: 5
; WaveLimiterHint : 1
; COMPUTE_PGM_RSRC2:SCRATCH_EN: 1
; COMPUTE_PGM_RSRC2:USER_SGPR: 15
; COMPUTE_PGM_RSRC2:TRAP_HANDLER: 0
; COMPUTE_PGM_RSRC2:TGID_X_EN: 1
; COMPUTE_PGM_RSRC2:TGID_Y_EN: 0
; COMPUTE_PGM_RSRC2:TGID_Z_EN: 0
; COMPUTE_PGM_RSRC2:TIDIG_COMP_CNT: 2
	.section	.text._ZN9rocsolver6v33100L18getri_kernel_smallILi55E19rocblas_complex_numIdEPKPS3_EEvT1_iilPiilS8_bb,"axG",@progbits,_ZN9rocsolver6v33100L18getri_kernel_smallILi55E19rocblas_complex_numIdEPKPS3_EEvT1_iilPiilS8_bb,comdat
	.globl	_ZN9rocsolver6v33100L18getri_kernel_smallILi55E19rocblas_complex_numIdEPKPS3_EEvT1_iilPiilS8_bb ; -- Begin function _ZN9rocsolver6v33100L18getri_kernel_smallILi55E19rocblas_complex_numIdEPKPS3_EEvT1_iilPiilS8_bb
	.p2align	8
	.type	_ZN9rocsolver6v33100L18getri_kernel_smallILi55E19rocblas_complex_numIdEPKPS3_EEvT1_iilPiilS8_bb,@function
_ZN9rocsolver6v33100L18getri_kernel_smallILi55E19rocblas_complex_numIdEPKPS3_EEvT1_iilPiilS8_bb: ; @_ZN9rocsolver6v33100L18getri_kernel_smallILi55E19rocblas_complex_numIdEPKPS3_EEvT1_iilPiilS8_bb
; %bb.0:
	v_and_b32_e32 v156, 0x3ff, v0
	s_mov_b32 s4, exec_lo
	s_delay_alu instid0(VALU_DEP_1)
	v_cmpx_gt_u32_e32 55, v156
	s_cbranch_execz .LBB118_234
; %bb.1:
	s_mov_b32 s10, s15
	s_clause 0x2
	s_load_b32 s15, s[2:3], 0x38
	s_load_b64 s[8:9], s[2:3], 0x0
	s_load_b128 s[4:7], s[2:3], 0x28
	s_waitcnt lgkmcnt(0)
	s_bitcmp1_b32 s15, 8
	s_cselect_b32 s14, -1, 0
	s_ashr_i32 s11, s10, 31
	s_delay_alu instid0(SALU_CYCLE_1) | instskip(NEXT) | instid1(SALU_CYCLE_1)
	s_lshl_b64 s[12:13], s[10:11], 3
	s_add_u32 s8, s8, s12
	s_addc_u32 s9, s9, s13
	s_load_b64 s[12:13], s[8:9], 0x0
	s_bfe_u32 s8, s15, 0x10008
	s_delay_alu instid0(SALU_CYCLE_1)
	s_cmp_eq_u32 s8, 0
                                        ; implicit-def: $sgpr8_sgpr9
	s_cbranch_scc1 .LBB118_3
; %bb.2:
	s_clause 0x1
	s_load_b32 s8, s[2:3], 0x20
	s_load_b64 s[16:17], s[2:3], 0x18
	s_mul_i32 s5, s10, s5
	s_mul_hi_u32 s9, s10, s4
	s_mul_i32 s18, s11, s4
	s_add_i32 s5, s9, s5
	s_mul_i32 s4, s10, s4
	s_add_i32 s5, s5, s18
	s_delay_alu instid0(SALU_CYCLE_1)
	s_lshl_b64 s[4:5], s[4:5], 2
	s_waitcnt lgkmcnt(0)
	s_ashr_i32 s9, s8, 31
	s_add_u32 s16, s16, s4
	s_addc_u32 s17, s17, s5
	s_lshl_b64 s[4:5], s[8:9], 2
	s_delay_alu instid0(SALU_CYCLE_1)
	s_add_u32 s8, s16, s4
	s_addc_u32 s9, s17, s5
.LBB118_3:
	s_load_b64 s[2:3], s[2:3], 0x8
	v_lshlrev_b32_e32 v13, 4, v156
	s_movk_i32 s18, 0xd0
	s_movk_i32 s19, 0xe0
	;; [unrolled: 1-line block ×18, first 2 shown]
	s_waitcnt lgkmcnt(0)
	v_add3_u32 v5, s3, s3, v156
	s_ashr_i32 s5, s2, 31
	s_mov_b32 s4, s2
	s_mov_b32 s16, s3
	s_lshl_b64 s[4:5], s[4:5], 4
	v_add_nc_u32_e32 v7, s3, v5
	v_ashrrev_i32_e32 v6, 31, v5
	s_add_u32 s4, s12, s4
	s_addc_u32 s5, s13, s5
	v_add_co_u32 v46, s2, s4, v13
	v_add_nc_u32_e32 v9, s3, v7
	s_ashr_i32 s17, s3, 31
	v_add_co_ci_u32_e64 v47, null, s5, 0, s2
	v_ashrrev_i32_e32 v8, 31, v7
	v_lshlrev_b64 v[5:6], 4, v[5:6]
	s_lshl_b64 s[12:13], s[16:17], 4
	v_ashrrev_i32_e32 v10, 31, v9
	v_add_co_u32 v48, vcc_lo, v46, s12
	v_add_nc_u32_e32 v11, s3, v9
	v_add_co_ci_u32_e32 v49, vcc_lo, s13, v47, vcc_lo
	v_lshlrev_b64 v[7:8], 4, v[7:8]
	v_add_co_u32 v50, vcc_lo, s4, v5
	v_add_co_ci_u32_e32 v51, vcc_lo, s5, v6, vcc_lo
	v_lshlrev_b64 v[5:6], 4, v[9:10]
	v_ashrrev_i32_e32 v12, 31, v11
	v_add_nc_u32_e32 v9, s3, v11
	v_add_co_u32 v52, vcc_lo, s4, v7
	v_add_co_ci_u32_e32 v53, vcc_lo, s5, v8, vcc_lo
	s_delay_alu instid0(VALU_DEP_4) | instskip(NEXT) | instid1(VALU_DEP_4)
	v_lshlrev_b64 v[7:8], 4, v[11:12]
	v_ashrrev_i32_e32 v10, 31, v9
	v_add_nc_u32_e32 v11, s3, v9
	v_add_co_u32 v54, vcc_lo, s4, v5
	v_add_co_ci_u32_e32 v55, vcc_lo, s5, v6, vcc_lo
	s_delay_alu instid0(VALU_DEP_4) | instskip(NEXT) | instid1(VALU_DEP_4)
	;; [unrolled: 6-line block ×3, first 2 shown]
	v_lshlrev_b64 v[7:8], 4, v[11:12]
	v_add_nc_u32_e32 v11, s3, v9
	v_ashrrev_i32_e32 v10, 31, v9
	v_add_co_u32 v58, vcc_lo, s4, v5
	v_add_co_ci_u32_e32 v59, vcc_lo, s5, v6, vcc_lo
	s_delay_alu instid0(VALU_DEP_4) | instskip(SKIP_3) | instid1(VALU_DEP_4)
	v_add_nc_u32_e32 v16, s3, v11
	v_ashrrev_i32_e32 v12, 31, v11
	v_lshlrev_b64 v[14:15], 4, v[9:10]
	v_add_co_u32 v60, vcc_lo, s4, v7
	v_add_nc_u32_e32 v20, s3, v16
	v_ashrrev_i32_e32 v17, 31, v16
	v_lshlrev_b64 v[18:19], 4, v[11:12]
	global_load_b128 v[1:4], v13, s[4:5]
	v_add_co_ci_u32_e32 v61, vcc_lo, s5, v8, vcc_lo
	s_clause 0x1
	global_load_b128 v[5:8], v[48:49], off
	global_load_b128 v[9:12], v[50:51], off
	v_add_nc_u32_e32 v24, s3, v20
	v_add_co_u32 v62, vcc_lo, s4, v14
	v_lshlrev_b64 v[22:23], 4, v[16:17]
	v_add_co_ci_u32_e32 v63, vcc_lo, s5, v15, vcc_lo
	v_ashrrev_i32_e32 v21, 31, v20
	v_add_co_u32 v64, vcc_lo, s4, v18
	v_ashrrev_i32_e32 v25, 31, v24
	v_add_nc_u32_e32 v32, s3, v24
	v_add_co_ci_u32_e32 v65, vcc_lo, s5, v19, vcc_lo
	v_add_co_u32 v66, vcc_lo, s4, v22
	global_load_b128 v[14:17], v[52:53], off
	v_lshlrev_b64 v[30:31], 4, v[20:21]
	v_add_co_ci_u32_e32 v67, vcc_lo, s5, v23, vcc_lo
	v_lshlrev_b64 v[34:35], 4, v[24:25]
	s_clause 0x1
	global_load_b128 v[18:21], v[54:55], off
	global_load_b128 v[22:25], v[56:57], off
	v_add_nc_u32_e32 v36, s3, v32
	global_load_b128 v[26:29], v[58:59], off
	v_ashrrev_i32_e32 v33, 31, v32
	v_add_co_u32 v68, vcc_lo, s4, v30
	v_ashrrev_i32_e32 v37, 31, v36
	v_add_nc_u32_e32 v40, s3, v36
	v_add_co_ci_u32_e32 v69, vcc_lo, s5, v31, vcc_lo
	v_add_co_u32 v70, vcc_lo, s4, v34
	v_lshlrev_b64 v[38:39], 4, v[32:33]
	v_add_co_ci_u32_e32 v71, vcc_lo, s5, v35, vcc_lo
	v_lshlrev_b64 v[42:43], 4, v[36:37]
	v_add_nc_u32_e32 v44, s3, v40
	s_clause 0x1
	global_load_b128 v[30:33], v[60:61], off
	global_load_b128 v[34:37], v[62:63], off
	v_ashrrev_i32_e32 v41, 31, v40
	v_add_co_u32 v72, vcc_lo, s4, v38
	v_ashrrev_i32_e32 v45, 31, v44
	v_add_co_ci_u32_e32 v73, vcc_lo, s5, v39, vcc_lo
	v_add_co_u32 v74, vcc_lo, s4, v42
	v_lshlrev_b64 v[76:77], 4, v[40:41]
	global_load_b128 v[38:41], v[64:65], off
	v_add_nc_u32_e32 v78, s3, v44
	v_add_co_ci_u32_e32 v75, vcc_lo, s5, v43, vcc_lo
	v_lshlrev_b64 v[80:81], 4, v[44:45]
	s_clause 0x1
	global_load_b128 v[42:45], v[66:67], off
	global_load_b128 v[142:145], v[68:69], off
	v_add_nc_u32_e32 v82, s3, v78
	v_ashrrev_i32_e32 v79, 31, v78
	s_clause 0x2
	global_load_b128 v[146:149], v[70:71], off
	global_load_b128 v[150:153], v[72:73], off
	;; [unrolled: 1-line block ×3, first 2 shown]
	v_add_co_u32 v76, vcc_lo, s4, v76
	v_add_nc_u32_e32 v86, s3, v82
	v_lshlrev_b64 v[84:85], 4, v[78:79]
	v_ashrrev_i32_e32 v83, 31, v82
	v_add_co_ci_u32_e32 v77, vcc_lo, s5, v77, vcc_lo
	v_add_co_u32 v78, vcc_lo, s4, v80
	v_ashrrev_i32_e32 v87, 31, v86
	v_add_nc_u32_e32 v88, s3, v86
	v_add_co_ci_u32_e32 v79, vcc_lo, s5, v81, vcc_lo
	v_lshlrev_b64 v[82:83], 4, v[82:83]
	v_add_co_u32 v80, vcc_lo, s4, v84
	v_add_co_ci_u32_e32 v81, vcc_lo, s5, v85, vcc_lo
	v_lshlrev_b64 v[84:85], 4, v[86:87]
	v_ashrrev_i32_e32 v89, 31, v88
	v_add_nc_u32_e32 v86, s3, v88
	v_add_co_u32 v82, vcc_lo, s4, v82
	v_add_co_ci_u32_e32 v83, vcc_lo, s5, v83, vcc_lo
	s_delay_alu instid0(VALU_DEP_4) | instskip(NEXT) | instid1(VALU_DEP_4)
	v_lshlrev_b64 v[88:89], 4, v[88:89]
	v_ashrrev_i32_e32 v87, 31, v86
	v_add_co_u32 v84, vcc_lo, s4, v84
	v_add_co_ci_u32_e32 v85, vcc_lo, s5, v85, vcc_lo
	global_load_b128 v[161:164], v[76:77], off
	v_add_nc_u32_e32 v90, s3, v86
	v_lshlrev_b64 v[92:93], 4, v[86:87]
	s_clause 0x1
	global_load_b128 v[165:168], v[78:79], off
	global_load_b128 v[169:172], v[80:81], off
	v_add_co_u32 v86, vcc_lo, s4, v88
	s_clause 0x1
	global_load_b128 v[173:176], v[82:83], off
	global_load_b128 v[177:180], v[84:85], off
	v_add_co_ci_u32_e32 v87, vcc_lo, s5, v89, vcc_lo
	v_add_nc_u32_e32 v94, s3, v90
	v_add_co_u32 v88, vcc_lo, s4, v92
	global_load_b128 v[181:184], v[86:87], off
	v_add_co_ci_u32_e32 v89, vcc_lo, s5, v93, vcc_lo
	v_ashrrev_i32_e32 v95, 31, v94
	v_ashrrev_i32_e32 v91, 31, v90
	s_movk_i32 s2, 0x50
	global_load_b128 v[185:188], v[88:89], off
	s_movk_i32 s12, 0x90
	v_lshlrev_b64 v[92:93], 4, v[94:95]
	v_add_nc_u32_e32 v94, s3, v94
	v_lshlrev_b64 v[90:91], 4, v[90:91]
	s_movk_i32 s13, 0xa0
	s_movk_i32 s16, 0xb0
	;; [unrolled: 1-line block ×3, first 2 shown]
	v_add_nc_u32_e32 v96, s3, v94
	v_ashrrev_i32_e32 v95, 31, v94
	v_add_co_u32 v90, vcc_lo, s4, v90
	v_add_co_ci_u32_e32 v91, vcc_lo, s5, v91, vcc_lo
	s_delay_alu instid0(VALU_DEP_4) | instskip(SKIP_3) | instid1(VALU_DEP_4)
	v_add_nc_u32_e32 v98, s3, v96
	v_ashrrev_i32_e32 v97, 31, v96
	v_lshlrev_b64 v[94:95], 4, v[94:95]
	v_add_co_u32 v92, vcc_lo, s4, v92
	v_add_nc_u32_e32 v100, s3, v98
	v_ashrrev_i32_e32 v99, 31, v98
	v_lshlrev_b64 v[96:97], 4, v[96:97]
	v_add_co_ci_u32_e32 v93, vcc_lo, s5, v93, vcc_lo
	s_delay_alu instid0(VALU_DEP_4) | instskip(SKIP_3) | instid1(VALU_DEP_4)
	v_add_nc_u32_e32 v102, s3, v100
	v_ashrrev_i32_e32 v101, 31, v100
	v_add_co_u32 v94, vcc_lo, s4, v94
	v_lshlrev_b64 v[98:99], 4, v[98:99]
	v_add_nc_u32_e32 v104, s3, v102
	v_ashrrev_i32_e32 v103, 31, v102
	v_add_co_ci_u32_e32 v95, vcc_lo, s5, v95, vcc_lo
	v_add_co_u32 v96, vcc_lo, s4, v96
	s_delay_alu instid0(VALU_DEP_4) | instskip(SKIP_3) | instid1(VALU_DEP_4)
	v_add_nc_u32_e32 v106, s3, v104
	v_lshlrev_b64 v[100:101], 4, v[100:101]
	v_ashrrev_i32_e32 v105, 31, v104
	v_add_co_ci_u32_e32 v97, vcc_lo, s5, v97, vcc_lo
	v_add_nc_u32_e32 v108, s3, v106
	v_add_co_u32 v98, vcc_lo, s4, v98
	v_lshlrev_b64 v[102:103], 4, v[102:103]
	v_ashrrev_i32_e32 v107, 31, v106
	s_delay_alu instid0(VALU_DEP_4) | instskip(SKIP_2) | instid1(VALU_DEP_3)
	v_add_nc_u32_e32 v110, s3, v108
	v_add_co_ci_u32_e32 v99, vcc_lo, s5, v99, vcc_lo
	v_add_co_u32 v100, vcc_lo, s4, v100
	v_add_nc_u32_e32 v112, s3, v110
	v_lshlrev_b64 v[104:105], 4, v[104:105]
	v_ashrrev_i32_e32 v109, 31, v108
	v_add_co_ci_u32_e32 v101, vcc_lo, s5, v101, vcc_lo
	s_delay_alu instid0(VALU_DEP_4) | instskip(SKIP_3) | instid1(VALU_DEP_4)
	v_add_nc_u32_e32 v114, s3, v112
	v_add_co_u32 v102, vcc_lo, s4, v102
	v_lshlrev_b64 v[106:107], 4, v[106:107]
	v_ashrrev_i32_e32 v111, 31, v110
	v_add_nc_u32_e32 v116, s3, v114
	v_add_co_ci_u32_e32 v103, vcc_lo, s5, v103, vcc_lo
	v_add_co_u32 v104, vcc_lo, s4, v104
	s_delay_alu instid0(VALU_DEP_3) | instskip(SKIP_3) | instid1(VALU_DEP_4)
	v_add_nc_u32_e32 v118, s3, v116
	v_lshlrev_b64 v[108:109], 4, v[108:109]
	v_ashrrev_i32_e32 v113, 31, v112
	v_add_co_ci_u32_e32 v105, vcc_lo, s5, v105, vcc_lo
	v_add_nc_u32_e32 v120, s3, v118
	v_add_co_u32 v106, vcc_lo, s4, v106
	v_lshlrev_b64 v[110:111], 4, v[110:111]
	v_ashrrev_i32_e32 v115, 31, v114
	s_delay_alu instid0(VALU_DEP_4) | instskip(SKIP_2) | instid1(VALU_DEP_3)
	v_add_nc_u32_e32 v122, s3, v120
	v_add_co_ci_u32_e32 v107, vcc_lo, s5, v107, vcc_lo
	v_add_co_u32 v108, vcc_lo, s4, v108
	v_add_nc_u32_e32 v124, s3, v122
	v_lshlrev_b64 v[112:113], 4, v[112:113]
	v_ashrrev_i32_e32 v117, 31, v116
	v_add_co_ci_u32_e32 v109, vcc_lo, s5, v109, vcc_lo
	v_add_co_u32 v110, vcc_lo, s4, v110
	v_lshlrev_b64 v[114:115], 4, v[114:115]
	v_add_nc_u32_e32 v126, s3, v124
	v_ashrrev_i32_e32 v119, 31, v118
	v_add_co_ci_u32_e32 v111, vcc_lo, s5, v111, vcc_lo
	v_add_co_u32 v112, vcc_lo, s4, v112
	v_lshlrev_b64 v[116:117], 4, v[116:117]
	v_ashrrev_i32_e32 v121, 31, v120
	v_add_co_ci_u32_e32 v113, vcc_lo, s5, v113, vcc_lo
	v_add_nc_u32_e32 v128, s3, v126
	v_add_co_u32 v114, vcc_lo, s4, v114
	v_lshlrev_b64 v[118:119], 4, v[118:119]
	v_ashrrev_i32_e32 v123, 31, v122
	v_add_co_ci_u32_e32 v115, vcc_lo, s5, v115, vcc_lo
	v_add_co_u32 v116, vcc_lo, s4, v116
	v_lshlrev_b64 v[120:121], 4, v[120:121]
	v_ashrrev_i32_e32 v125, 31, v124
	v_add_nc_u32_e32 v130, s3, v128
	v_add_co_ci_u32_e32 v117, vcc_lo, s5, v117, vcc_lo
	v_add_co_u32 v118, vcc_lo, s4, v118
	v_lshlrev_b64 v[122:123], 4, v[122:123]
	v_ashrrev_i32_e32 v127, 31, v126
	v_add_co_ci_u32_e32 v119, vcc_lo, s5, v119, vcc_lo
	v_add_co_u32 v120, vcc_lo, s4, v120
	v_lshlrev_b64 v[124:125], 4, v[124:125]
	v_add_nc_u32_e32 v132, s3, v130
	v_ashrrev_i32_e32 v129, 31, v128
	v_add_co_ci_u32_e32 v121, vcc_lo, s5, v121, vcc_lo
	v_add_co_u32 v122, vcc_lo, s4, v122
	v_lshlrev_b64 v[126:127], 4, v[126:127]
	v_ashrrev_i32_e32 v131, 31, v130
	v_add_co_ci_u32_e32 v123, vcc_lo, s5, v123, vcc_lo
	v_add_nc_u32_e32 v134, s3, v132
	v_add_co_u32 v124, vcc_lo, s4, v124
	v_lshlrev_b64 v[128:129], 4, v[128:129]
	v_ashrrev_i32_e32 v133, 31, v132
	v_add_co_ci_u32_e32 v125, vcc_lo, s5, v125, vcc_lo
	s_clause 0xe
	global_load_b128 v[189:192], v[90:91], off
	global_load_b128 v[193:196], v[92:93], off
	;; [unrolled: 1-line block ×15, first 2 shown]
	v_add_co_u32 v126, vcc_lo, s4, v126
	v_add_nc_u32_e32 v136, s3, v134
	v_add_co_ci_u32_e32 v127, vcc_lo, s5, v127, vcc_lo
	v_add_co_u32 v128, vcc_lo, s4, v128
	v_add_co_ci_u32_e32 v129, vcc_lo, s5, v129, vcc_lo
	s_delay_alu instid0(VALU_DEP_4)
	v_add_nc_u32_e32 v138, s3, v136
	v_ashrrev_i32_e32 v135, 31, v134
	v_ashrrev_i32_e32 v137, 31, v136
	s_movk_i32 s37, 0x1f0
	s_movk_i32 s38, 0x200
	v_ashrrev_i32_e32 v139, 31, v138
	s_movk_i32 s39, 0x210
	s_movk_i32 s40, 0x220
	;; [unrolled: 1-line block ×22, first 2 shown]
	v_add_nc_u32_e64 v210, 0, 16
	v_add_nc_u32_e64 v209, 0, 32
	v_add_nc_u32_e64 v208, 0, 48
	v_add_nc_u32_e64 v207, 0, 64
	s_bitcmp0_b32 s15, 0
	s_waitcnt vmcnt(36)
	scratch_store_b128 off, v[1:4], off
	s_waitcnt vmcnt(35)
	scratch_store_b128 off, v[5:8], off offset:16
	s_waitcnt vmcnt(34)
	scratch_store_b128 off, v[9:12], off offset:32
	v_lshlrev_b64 v[9:10], 4, v[130:131]
	v_lshlrev_b64 v[11:12], 4, v[132:133]
	s_clause 0x1
	global_load_b128 v[1:4], v[120:121], off
	global_load_b128 v[5:8], v[122:123], off
	v_add_co_u32 v130, vcc_lo, s4, v9
	v_add_co_ci_u32_e32 v131, vcc_lo, s5, v10, vcc_lo
	v_add_co_u32 v132, vcc_lo, s4, v11
	v_add_co_ci_u32_e32 v133, vcc_lo, s5, v12, vcc_lo
	s_waitcnt vmcnt(35)
	scratch_store_b128 off, v[14:17], off offset:48
	s_waitcnt vmcnt(34)
	scratch_store_b128 off, v[18:21], off offset:64
	;; [unrolled: 2-line block ×3, first 2 shown]
	s_clause 0x1
	global_load_b128 v[9:12], v[124:125], off
	global_load_b128 v[14:17], v[126:127], off
	s_waitcnt vmcnt(34)
	scratch_store_b128 off, v[26:29], off offset:96
	v_add_nc_u32_e32 v26, s3, v138
	v_lshlrev_b64 v[18:19], 4, v[134:135]
	s_waitcnt vmcnt(33)
	scratch_store_b128 off, v[30:33], off offset:112
	s_waitcnt vmcnt(32)
	scratch_store_b128 off, v[34:37], off offset:128
	v_add_nc_u32_e32 v154, s3, v26
	v_lshlrev_b64 v[20:21], 4, v[136:137]
	v_add_co_u32 v134, vcc_lo, s4, v18
	v_add_co_ci_u32_e32 v135, vcc_lo, s5, v19, vcc_lo
	s_delay_alu instid0(VALU_DEP_4) | instskip(SKIP_3) | instid1(VALU_DEP_4)
	v_add_nc_u32_e32 v34, s3, v154
	v_ashrrev_i32_e32 v27, 31, v26
	v_add_co_u32 v136, vcc_lo, s4, v20
	v_lshlrev_b64 v[28:29], 4, v[138:139]
	v_add_nc_u32_e32 v205, s3, v34
	v_add_co_ci_u32_e32 v137, vcc_lo, s5, v21, vcc_lo
	s_clause 0x1
	global_load_b128 v[18:21], v[128:129], off
	global_load_b128 v[22:25], v[130:131], off
	s_waitcnt vmcnt(33)
	scratch_store_b128 off, v[38:41], off offset:144
	s_waitcnt vmcnt(32)
	scratch_store_b128 off, v[42:45], off offset:160
	s_waitcnt vmcnt(31)
	scratch_store_b128 off, v[142:145], off offset:176
	v_add_nc_u32_e32 v42, s3, v205
	v_lshlrev_b64 v[26:27], 4, v[26:27]
	v_ashrrev_i32_e32 v155, 31, v154
	v_add_co_u32 v138, vcc_lo, s4, v28
	v_ashrrev_i32_e32 v35, 31, v34
	v_add_nc_u32_e32 v44, s3, v42
	v_add_co_ci_u32_e32 v139, vcc_lo, s5, v29, vcc_lo
	v_lshlrev_b64 v[36:37], 4, v[154:155]
	v_add_co_u32 v140, vcc_lo, s4, v26
	v_ashrrev_i32_e32 v206, 31, v205
	v_add_co_ci_u32_e32 v141, vcc_lo, s5, v27, vcc_lo
	s_clause 0x1
	global_load_b128 v[26:29], v[132:133], off
	global_load_b128 v[30:33], v[134:135], off
	v_lshlrev_b64 v[34:35], 4, v[34:35]
	s_waitcnt vmcnt(32)
	scratch_store_b128 off, v[146:149], off offset:192
	s_waitcnt vmcnt(31)
	scratch_store_b128 off, v[150:153], off offset:208
	;; [unrolled: 2-line block ×3, first 2 shown]
	v_add_nc_u32_e32 v152, s3, v44
	v_ashrrev_i32_e32 v43, 31, v42
	v_add_co_u32 v142, vcc_lo, s4, v36
	v_lshlrev_b64 v[146:147], 4, v[205:206]
	v_ashrrev_i32_e32 v45, 31, v44
	v_add_co_ci_u32_e32 v143, vcc_lo, s5, v37, vcc_lo
	v_add_nc_u32_e32 v154, s3, v152
	v_add_co_u32 v144, vcc_lo, s4, v34
	v_lshlrev_b64 v[42:43], 4, v[42:43]
	v_ashrrev_i32_e32 v153, 31, v152
	v_add_co_ci_u32_e32 v145, vcc_lo, s5, v35, vcc_lo
	v_add_co_u32 v146, vcc_lo, s4, v146
	v_lshlrev_b64 v[44:45], 4, v[44:45]
	v_ashrrev_i32_e32 v155, 31, v154
	v_add_co_ci_u32_e32 v147, vcc_lo, s5, v147, vcc_lo
	v_add_co_u32 v148, vcc_lo, s4, v42
	v_lshlrev_b64 v[152:153], 4, v[152:153]
	v_add_co_ci_u32_e32 v149, vcc_lo, s5, v43, vcc_lo
	v_add_co_u32 v150, vcc_lo, s4, v44
	v_lshlrev_b64 v[154:155], 4, v[154:155]
	v_add_co_ci_u32_e32 v151, vcc_lo, s5, v45, vcc_lo
	v_add_co_u32 v152, vcc_lo, s4, v152
	v_add_co_ci_u32_e32 v153, vcc_lo, s5, v153, vcc_lo
	s_clause 0x1
	global_load_b128 v[34:37], v[136:137], off
	global_load_b128 v[38:41], v[138:139], off
	s_waitcnt vmcnt(31)
	scratch_store_b128 off, v[161:164], off offset:240
	s_waitcnt vmcnt(30)
	scratch_store_b128 off, v[165:168], off offset:256
	;; [unrolled: 2-line block ×3, first 2 shown]
	v_add_co_u32 v154, vcc_lo, s4, v154
	s_clause 0x1
	global_load_b128 v[42:45], v[140:141], off
	global_load_b128 v[157:160], v[142:143], off
	s_waitcnt vmcnt(30)
	scratch_store_b128 off, v[173:176], off offset:288
	s_waitcnt vmcnt(29)
	scratch_store_b128 off, v[177:180], off offset:304
	s_clause 0x1
	global_load_b128 v[161:164], v[144:145], off
	global_load_b128 v[165:168], v[146:147], off
	v_add_co_ci_u32_e32 v155, vcc_lo, s5, v155, vcc_lo
	s_waitcnt vmcnt(30)
	scratch_store_b128 off, v[181:184], off offset:320
	s_waitcnt vmcnt(29)
	scratch_store_b128 off, v[185:188], off offset:336
	s_clause 0x3
	global_load_b128 v[169:172], v[148:149], off
	global_load_b128 v[173:176], v[150:151], off
	;; [unrolled: 1-line block ×4, first 2 shown]
	s_movk_i32 s3, 0x60
	s_movk_i32 s4, 0x70
	;; [unrolled: 1-line block ×3, first 2 shown]
	v_add_nc_u32_e64 v206, s2, 0
	v_add_nc_u32_e64 v205, s3, 0
	;; [unrolled: 1-line block ×6, first 2 shown]
	s_mov_b32 s3, -1
	s_waitcnt vmcnt(32)
	scratch_store_b128 off, v[189:192], off offset:352
	s_waitcnt vmcnt(31)
	scratch_store_b128 off, v[193:196], off offset:368
	;; [unrolled: 2-line block ×4, first 2 shown]
	v_add_nc_u32_e64 v204, s4, 0
	v_add_nc_u32_e64 v203, s5, 0
	s_waitcnt vmcnt(28)
	scratch_store_b128 off, v[211:214], off offset:416
	s_waitcnt vmcnt(27)
	scratch_store_b128 off, v[215:218], off offset:432
	v_add_nc_u32_e64 v202, s12, 0
	v_add_nc_u32_e64 v201, s13, 0
	;; [unrolled: 1-line block ×8, first 2 shown]
	s_waitcnt vmcnt(26)
	scratch_store_b128 off, v[219:222], off offset:448
	s_waitcnt vmcnt(25)
	scratch_store_b128 off, v[223:226], off offset:464
	v_add_nc_u32_e64 v194, s22, 0
	v_add_nc_u32_e64 v193, s23, 0
	v_add_nc_u32_e64 v192, s24, 0
	v_add_nc_u32_e64 v191, s25, 0
	v_add_nc_u32_e64 v190, s26, 0
	v_add_nc_u32_e64 v189, s27, 0
	s_waitcnt vmcnt(24)
	scratch_store_b128 off, v[227:230], off offset:480
	s_waitcnt vmcnt(23)
	scratch_store_b128 off, v[231:234], off offset:496
	v_add_nc_u32_e64 v228, s33, 0
	v_add_nc_u32_e64 v227, s34, 0
	v_add_nc_u32_e64 v226, s35, 0
	v_add_nc_u32_e64 v225, s36, 0
	v_add_nc_u32_e64 v224, s37, 0
	v_add_nc_u32_e64 v223, s38, 0
	;; [unrolled: 10-line block ×3, first 2 shown]
	v_add_nc_u32_e64 v216, s45, 0
	v_add_nc_u32_e64 v215, s46, 0
	s_waitcnt vmcnt(20)
	scratch_store_b128 off, v[243:246], off offset:544
	v_add_nc_u32_e64 v214, s47, 0
	v_add_nc_u32_e64 v213, s48, 0
	;; [unrolled: 1-line block ×3, first 2 shown]
	s_waitcnt vmcnt(19)
	scratch_store_b128 off, v[247:250], off offset:560
	s_waitcnt vmcnt(18)
	scratch_store_b128 off, v[251:254], off offset:576
	s_waitcnt vmcnt(17)
	scratch_store_b128 off, v[1:4], off offset:592
	s_waitcnt vmcnt(16)
	scratch_store_b128 off, v[5:8], off offset:608
	s_waitcnt vmcnt(15)
	scratch_store_b128 off, v[9:12], off offset:624
	s_waitcnt vmcnt(14)
	scratch_store_b128 off, v[14:17], off offset:640
	s_waitcnt vmcnt(13)
	scratch_store_b128 off, v[18:21], off offset:656
	s_waitcnt vmcnt(12)
	scratch_store_b128 off, v[22:25], off offset:672
	s_waitcnt vmcnt(11)
	scratch_store_b128 off, v[26:29], off offset:688
	s_waitcnt vmcnt(10)
	scratch_store_b128 off, v[30:33], off offset:704
	s_waitcnt vmcnt(9)
	scratch_store_b128 off, v[34:37], off offset:720
	s_waitcnt vmcnt(8)
	scratch_store_b128 off, v[38:41], off offset:736
	s_waitcnt vmcnt(7)
	scratch_store_b128 off, v[42:45], off offset:752
	s_waitcnt vmcnt(6)
	scratch_store_b128 off, v[157:160], off offset:768
	s_waitcnt vmcnt(5)
	scratch_store_b128 off, v[161:164], off offset:784
	s_waitcnt vmcnt(4)
	scratch_store_b128 off, v[165:168], off offset:800
	s_waitcnt vmcnt(3)
	scratch_store_b128 off, v[169:172], off offset:816
	v_add_nc_u32_e64 v163, s50, 0
	v_add_nc_u32_e64 v161, s51, 0
	;; [unrolled: 1-line block ×11, first 2 shown]
	s_waitcnt vmcnt(2)
	scratch_store_b128 off, v[173:176], off offset:832
	s_waitcnt vmcnt(1)
	scratch_store_b128 off, v[177:180], off offset:848
	;; [unrolled: 2-line block ×3, first 2 shown]
	s_cbranch_scc1 .LBB118_232
; %bb.4:
	v_cmp_eq_u32_e64 s2, 0, v156
	s_delay_alu instid0(VALU_DEP_1)
	s_and_saveexec_b32 s3, s2
	s_cbranch_execz .LBB118_6
; %bb.5:
	v_mov_b32_e32 v1, 0
	ds_store_b32 v1, v1 offset:1760
.LBB118_6:
	s_or_b32 exec_lo, exec_lo, s3
	s_waitcnt lgkmcnt(0)
	s_waitcnt_vscnt null, 0x0
	s_barrier
	buffer_gl0_inv
	scratch_load_b128 v[1:4], v13, off
	s_waitcnt vmcnt(0)
	v_cmp_eq_f64_e32 vcc_lo, 0, v[1:2]
	v_cmp_eq_f64_e64 s3, 0, v[3:4]
	s_delay_alu instid0(VALU_DEP_1) | instskip(NEXT) | instid1(SALU_CYCLE_1)
	s_and_b32 s3, vcc_lo, s3
	s_and_saveexec_b32 s4, s3
	s_cbranch_execz .LBB118_10
; %bb.7:
	v_mov_b32_e32 v1, 0
	s_mov_b32 s5, 0
	ds_load_b32 v2, v1 offset:1760
	s_waitcnt lgkmcnt(0)
	v_readfirstlane_b32 s3, v2
	v_add_nc_u32_e32 v2, 1, v156
	s_delay_alu instid0(VALU_DEP_2) | instskip(NEXT) | instid1(VALU_DEP_1)
	s_cmp_eq_u32 s3, 0
	v_cmp_gt_i32_e32 vcc_lo, s3, v2
	s_cselect_b32 s12, -1, 0
	s_delay_alu instid0(SALU_CYCLE_1) | instskip(NEXT) | instid1(SALU_CYCLE_1)
	s_or_b32 s12, s12, vcc_lo
	s_and_b32 exec_lo, exec_lo, s12
	s_cbranch_execz .LBB118_10
; %bb.8:
	v_mov_b32_e32 v3, s3
.LBB118_9:                              ; =>This Inner Loop Header: Depth=1
	ds_cmpstore_rtn_b32 v3, v1, v2, v3 offset:1760
	s_waitcnt lgkmcnt(0)
	v_cmp_ne_u32_e32 vcc_lo, 0, v3
	v_cmp_le_i32_e64 s3, v3, v2
	s_delay_alu instid0(VALU_DEP_1) | instskip(NEXT) | instid1(SALU_CYCLE_1)
	s_and_b32 s3, vcc_lo, s3
	s_and_b32 s3, exec_lo, s3
	s_delay_alu instid0(SALU_CYCLE_1) | instskip(NEXT) | instid1(SALU_CYCLE_1)
	s_or_b32 s5, s3, s5
	s_and_not1_b32 exec_lo, exec_lo, s5
	s_cbranch_execnz .LBB118_9
.LBB118_10:
	s_or_b32 exec_lo, exec_lo, s4
	v_mov_b32_e32 v1, 0
	s_barrier
	buffer_gl0_inv
	ds_load_b32 v2, v1 offset:1760
	s_and_saveexec_b32 s3, s2
	s_cbranch_execz .LBB118_12
; %bb.11:
	s_lshl_b64 s[4:5], s[10:11], 2
	s_delay_alu instid0(SALU_CYCLE_1)
	s_add_u32 s4, s6, s4
	s_addc_u32 s5, s7, s5
	s_waitcnt lgkmcnt(0)
	global_store_b32 v1, v2, s[4:5]
.LBB118_12:
	s_or_b32 exec_lo, exec_lo, s3
	s_waitcnt lgkmcnt(0)
	v_cmp_ne_u32_e32 vcc_lo, 0, v2
	s_mov_b32 s3, 0
	s_cbranch_vccnz .LBB118_232
; %bb.13:
	v_add_nc_u32_e32 v14, 0, v13
                                        ; implicit-def: $vgpr9_vgpr10
	scratch_load_b128 v[1:4], v14, off
	s_waitcnt vmcnt(0)
	v_mov_b32_e32 v5, v1
	v_cmp_gt_f64_e32 vcc_lo, 0, v[1:2]
	v_xor_b32_e32 v6, 0x80000000, v2
	v_xor_b32_e32 v7, 0x80000000, v4
	s_delay_alu instid0(VALU_DEP_2) | instskip(SKIP_1) | instid1(VALU_DEP_3)
	v_cndmask_b32_e32 v6, v2, v6, vcc_lo
	v_cmp_gt_f64_e32 vcc_lo, 0, v[3:4]
	v_dual_cndmask_b32 v8, v4, v7 :: v_dual_mov_b32 v7, v3
	s_delay_alu instid0(VALU_DEP_1) | instskip(SKIP_1) | instid1(SALU_CYCLE_1)
	v_cmp_ngt_f64_e32 vcc_lo, v[5:6], v[7:8]
                                        ; implicit-def: $vgpr5_vgpr6
	s_and_saveexec_b32 s3, vcc_lo
	s_xor_b32 s3, exec_lo, s3
	s_cbranch_execz .LBB118_15
; %bb.14:
	v_div_scale_f64 v[5:6], null, v[3:4], v[3:4], v[1:2]
	v_div_scale_f64 v[11:12], vcc_lo, v[1:2], v[3:4], v[1:2]
	s_delay_alu instid0(VALU_DEP_2) | instskip(SKIP_2) | instid1(VALU_DEP_1)
	v_rcp_f64_e32 v[7:8], v[5:6]
	s_waitcnt_depctr 0xfff
	v_fma_f64 v[9:10], -v[5:6], v[7:8], 1.0
	v_fma_f64 v[7:8], v[7:8], v[9:10], v[7:8]
	s_delay_alu instid0(VALU_DEP_1) | instskip(NEXT) | instid1(VALU_DEP_1)
	v_fma_f64 v[9:10], -v[5:6], v[7:8], 1.0
	v_fma_f64 v[7:8], v[7:8], v[9:10], v[7:8]
	s_delay_alu instid0(VALU_DEP_1) | instskip(NEXT) | instid1(VALU_DEP_1)
	v_mul_f64 v[9:10], v[11:12], v[7:8]
	v_fma_f64 v[5:6], -v[5:6], v[9:10], v[11:12]
	s_delay_alu instid0(VALU_DEP_1) | instskip(NEXT) | instid1(VALU_DEP_1)
	v_div_fmas_f64 v[5:6], v[5:6], v[7:8], v[9:10]
	v_div_fixup_f64 v[5:6], v[5:6], v[3:4], v[1:2]
	s_delay_alu instid0(VALU_DEP_1) | instskip(NEXT) | instid1(VALU_DEP_1)
	v_fma_f64 v[1:2], v[1:2], v[5:6], v[3:4]
	v_div_scale_f64 v[3:4], null, v[1:2], v[1:2], 1.0
	v_div_scale_f64 v[11:12], vcc_lo, 1.0, v[1:2], 1.0
	s_delay_alu instid0(VALU_DEP_2) | instskip(SKIP_2) | instid1(VALU_DEP_1)
	v_rcp_f64_e32 v[7:8], v[3:4]
	s_waitcnt_depctr 0xfff
	v_fma_f64 v[9:10], -v[3:4], v[7:8], 1.0
	v_fma_f64 v[7:8], v[7:8], v[9:10], v[7:8]
	s_delay_alu instid0(VALU_DEP_1) | instskip(NEXT) | instid1(VALU_DEP_1)
	v_fma_f64 v[9:10], -v[3:4], v[7:8], 1.0
	v_fma_f64 v[7:8], v[7:8], v[9:10], v[7:8]
	s_delay_alu instid0(VALU_DEP_1) | instskip(NEXT) | instid1(VALU_DEP_1)
	v_mul_f64 v[9:10], v[11:12], v[7:8]
	v_fma_f64 v[3:4], -v[3:4], v[9:10], v[11:12]
	s_delay_alu instid0(VALU_DEP_1) | instskip(NEXT) | instid1(VALU_DEP_1)
	v_div_fmas_f64 v[3:4], v[3:4], v[7:8], v[9:10]
	v_div_fixup_f64 v[7:8], v[3:4], v[1:2], 1.0
                                        ; implicit-def: $vgpr1_vgpr2
	s_delay_alu instid0(VALU_DEP_1) | instskip(SKIP_1) | instid1(VALU_DEP_2)
	v_mul_f64 v[5:6], v[5:6], v[7:8]
	v_xor_b32_e32 v8, 0x80000000, v8
	v_xor_b32_e32 v10, 0x80000000, v6
	s_delay_alu instid0(VALU_DEP_3)
	v_mov_b32_e32 v9, v5
.LBB118_15:
	s_and_not1_saveexec_b32 s3, s3
	s_cbranch_execz .LBB118_17
; %bb.16:
	v_div_scale_f64 v[5:6], null, v[1:2], v[1:2], v[3:4]
	v_div_scale_f64 v[11:12], vcc_lo, v[3:4], v[1:2], v[3:4]
	s_delay_alu instid0(VALU_DEP_2) | instskip(SKIP_2) | instid1(VALU_DEP_1)
	v_rcp_f64_e32 v[7:8], v[5:6]
	s_waitcnt_depctr 0xfff
	v_fma_f64 v[9:10], -v[5:6], v[7:8], 1.0
	v_fma_f64 v[7:8], v[7:8], v[9:10], v[7:8]
	s_delay_alu instid0(VALU_DEP_1) | instskip(NEXT) | instid1(VALU_DEP_1)
	v_fma_f64 v[9:10], -v[5:6], v[7:8], 1.0
	v_fma_f64 v[7:8], v[7:8], v[9:10], v[7:8]
	s_delay_alu instid0(VALU_DEP_1) | instskip(NEXT) | instid1(VALU_DEP_1)
	v_mul_f64 v[9:10], v[11:12], v[7:8]
	v_fma_f64 v[5:6], -v[5:6], v[9:10], v[11:12]
	s_delay_alu instid0(VALU_DEP_1) | instskip(NEXT) | instid1(VALU_DEP_1)
	v_div_fmas_f64 v[5:6], v[5:6], v[7:8], v[9:10]
	v_div_fixup_f64 v[7:8], v[5:6], v[1:2], v[3:4]
	s_delay_alu instid0(VALU_DEP_1) | instskip(NEXT) | instid1(VALU_DEP_1)
	v_fma_f64 v[1:2], v[3:4], v[7:8], v[1:2]
	v_div_scale_f64 v[3:4], null, v[1:2], v[1:2], 1.0
	s_delay_alu instid0(VALU_DEP_1) | instskip(SKIP_2) | instid1(VALU_DEP_1)
	v_rcp_f64_e32 v[5:6], v[3:4]
	s_waitcnt_depctr 0xfff
	v_fma_f64 v[9:10], -v[3:4], v[5:6], 1.0
	v_fma_f64 v[5:6], v[5:6], v[9:10], v[5:6]
	s_delay_alu instid0(VALU_DEP_1) | instskip(NEXT) | instid1(VALU_DEP_1)
	v_fma_f64 v[9:10], -v[3:4], v[5:6], 1.0
	v_fma_f64 v[5:6], v[5:6], v[9:10], v[5:6]
	v_div_scale_f64 v[9:10], vcc_lo, 1.0, v[1:2], 1.0
	s_delay_alu instid0(VALU_DEP_1) | instskip(NEXT) | instid1(VALU_DEP_1)
	v_mul_f64 v[11:12], v[9:10], v[5:6]
	v_fma_f64 v[3:4], -v[3:4], v[11:12], v[9:10]
	s_delay_alu instid0(VALU_DEP_1) | instskip(NEXT) | instid1(VALU_DEP_1)
	v_div_fmas_f64 v[3:4], v[3:4], v[5:6], v[11:12]
	v_div_fixup_f64 v[5:6], v[3:4], v[1:2], 1.0
	s_delay_alu instid0(VALU_DEP_1)
	v_mul_f64 v[7:8], v[7:8], -v[5:6]
	v_xor_b32_e32 v10, 0x80000000, v6
	v_mov_b32_e32 v9, v5
.LBB118_17:
	s_or_b32 exec_lo, exec_lo, s3
	scratch_store_b128 v14, v[5:8], off
	scratch_load_b128 v[1:4], v210, off
	v_xor_b32_e32 v12, 0x80000000, v8
	v_mov_b32_e32 v11, v7
	v_add_nc_u32_e32 v5, 0x370, v13
	ds_store_b128 v13, v[9:12]
	s_waitcnt vmcnt(0)
	ds_store_b128 v13, v[1:4] offset:880
	s_waitcnt lgkmcnt(0)
	s_waitcnt_vscnt null, 0x0
	s_barrier
	buffer_gl0_inv
	s_and_saveexec_b32 s3, s2
	s_cbranch_execz .LBB118_19
; %bb.18:
	scratch_load_b128 v[1:4], v14, off
	ds_load_b128 v[6:9], v5
	v_mov_b32_e32 v10, 0
	ds_load_b128 v[15:18], v10 offset:16
	s_waitcnt vmcnt(0) lgkmcnt(1)
	v_mul_f64 v[10:11], v[6:7], v[3:4]
	v_mul_f64 v[3:4], v[8:9], v[3:4]
	s_delay_alu instid0(VALU_DEP_2) | instskip(NEXT) | instid1(VALU_DEP_2)
	v_fma_f64 v[8:9], v[8:9], v[1:2], v[10:11]
	v_fma_f64 v[1:2], v[6:7], v[1:2], -v[3:4]
	s_delay_alu instid0(VALU_DEP_2) | instskip(NEXT) | instid1(VALU_DEP_2)
	v_add_f64 v[3:4], v[8:9], 0
	v_add_f64 v[1:2], v[1:2], 0
	s_waitcnt lgkmcnt(0)
	s_delay_alu instid0(VALU_DEP_2) | instskip(NEXT) | instid1(VALU_DEP_2)
	v_mul_f64 v[6:7], v[3:4], v[17:18]
	v_mul_f64 v[8:9], v[1:2], v[17:18]
	s_delay_alu instid0(VALU_DEP_2) | instskip(NEXT) | instid1(VALU_DEP_2)
	v_fma_f64 v[1:2], v[1:2], v[15:16], -v[6:7]
	v_fma_f64 v[3:4], v[3:4], v[15:16], v[8:9]
	scratch_store_b128 off, v[1:4], off offset:16
.LBB118_19:
	s_or_b32 exec_lo, exec_lo, s3
	s_waitcnt_vscnt null, 0x0
	s_barrier
	buffer_gl0_inv
	scratch_load_b128 v[1:4], v209, off
	s_mov_b32 s3, exec_lo
	s_waitcnt vmcnt(0)
	ds_store_b128 v5, v[1:4]
	s_waitcnt lgkmcnt(0)
	s_barrier
	buffer_gl0_inv
	v_cmpx_gt_u32_e32 2, v156
	s_cbranch_execz .LBB118_23
; %bb.20:
	scratch_load_b128 v[1:4], v14, off
	ds_load_b128 v[6:9], v5
	s_waitcnt vmcnt(0) lgkmcnt(0)
	v_mul_f64 v[10:11], v[8:9], v[3:4]
	v_mul_f64 v[3:4], v[6:7], v[3:4]
	s_delay_alu instid0(VALU_DEP_2) | instskip(NEXT) | instid1(VALU_DEP_2)
	v_fma_f64 v[6:7], v[6:7], v[1:2], -v[10:11]
	v_fma_f64 v[3:4], v[8:9], v[1:2], v[3:4]
	s_delay_alu instid0(VALU_DEP_2) | instskip(NEXT) | instid1(VALU_DEP_2)
	v_add_f64 v[1:2], v[6:7], 0
	v_add_f64 v[3:4], v[3:4], 0
	s_and_saveexec_b32 s4, s2
	s_cbranch_execz .LBB118_22
; %bb.21:
	scratch_load_b128 v[6:9], off, off offset:16
	v_mov_b32_e32 v10, 0
	ds_load_b128 v[15:18], v10 offset:896
	s_waitcnt vmcnt(0) lgkmcnt(0)
	v_mul_f64 v[10:11], v[15:16], v[8:9]
	v_mul_f64 v[8:9], v[17:18], v[8:9]
	s_delay_alu instid0(VALU_DEP_2) | instskip(NEXT) | instid1(VALU_DEP_2)
	v_fma_f64 v[10:11], v[17:18], v[6:7], v[10:11]
	v_fma_f64 v[6:7], v[15:16], v[6:7], -v[8:9]
	s_delay_alu instid0(VALU_DEP_2) | instskip(NEXT) | instid1(VALU_DEP_2)
	v_add_f64 v[3:4], v[3:4], v[10:11]
	v_add_f64 v[1:2], v[1:2], v[6:7]
.LBB118_22:
	s_or_b32 exec_lo, exec_lo, s4
	v_mov_b32_e32 v6, 0
	ds_load_b128 v[6:9], v6 offset:32
	s_waitcnt lgkmcnt(0)
	v_mul_f64 v[10:11], v[3:4], v[8:9]
	v_mul_f64 v[8:9], v[1:2], v[8:9]
	s_delay_alu instid0(VALU_DEP_2) | instskip(NEXT) | instid1(VALU_DEP_2)
	v_fma_f64 v[1:2], v[1:2], v[6:7], -v[10:11]
	v_fma_f64 v[3:4], v[3:4], v[6:7], v[8:9]
	scratch_store_b128 off, v[1:4], off offset:32
.LBB118_23:
	s_or_b32 exec_lo, exec_lo, s3
	s_waitcnt_vscnt null, 0x0
	s_barrier
	buffer_gl0_inv
	scratch_load_b128 v[1:4], v208, off
	v_add_nc_u32_e32 v6, -1, v156
	s_mov_b32 s2, exec_lo
	s_waitcnt vmcnt(0)
	ds_store_b128 v5, v[1:4]
	s_waitcnt lgkmcnt(0)
	s_barrier
	buffer_gl0_inv
	v_cmpx_gt_u32_e32 3, v156
	s_cbranch_execz .LBB118_27
; %bb.24:
	v_dual_mov_b32 v1, 0 :: v_dual_add_nc_u32 v8, 0x370, v13
	v_dual_mov_b32 v2, 0 :: v_dual_add_nc_u32 v7, -1, v156
	v_or_b32_e32 v9, 8, v14
	s_mov_b32 s3, 0
	s_delay_alu instid0(VALU_DEP_2)
	v_dual_mov_b32 v4, v2 :: v_dual_mov_b32 v3, v1
	.p2align	6
.LBB118_25:                             ; =>This Inner Loop Header: Depth=1
	scratch_load_b128 v[15:18], v9, off offset:-8
	ds_load_b128 v[19:22], v8
	v_add_nc_u32_e32 v7, 1, v7
	v_add_nc_u32_e32 v8, 16, v8
	;; [unrolled: 1-line block ×3, first 2 shown]
	s_delay_alu instid0(VALU_DEP_3) | instskip(SKIP_4) | instid1(VALU_DEP_2)
	v_cmp_lt_u32_e32 vcc_lo, 1, v7
	s_or_b32 s3, vcc_lo, s3
	s_waitcnt vmcnt(0) lgkmcnt(0)
	v_mul_f64 v[10:11], v[21:22], v[17:18]
	v_mul_f64 v[17:18], v[19:20], v[17:18]
	v_fma_f64 v[10:11], v[19:20], v[15:16], -v[10:11]
	s_delay_alu instid0(VALU_DEP_2) | instskip(NEXT) | instid1(VALU_DEP_2)
	v_fma_f64 v[15:16], v[21:22], v[15:16], v[17:18]
	v_add_f64 v[3:4], v[3:4], v[10:11]
	s_delay_alu instid0(VALU_DEP_2)
	v_add_f64 v[1:2], v[1:2], v[15:16]
	s_and_not1_b32 exec_lo, exec_lo, s3
	s_cbranch_execnz .LBB118_25
; %bb.26:
	s_or_b32 exec_lo, exec_lo, s3
	v_mov_b32_e32 v7, 0
	ds_load_b128 v[7:10], v7 offset:48
	s_waitcnt lgkmcnt(0)
	v_mul_f64 v[11:12], v[1:2], v[9:10]
	v_mul_f64 v[15:16], v[3:4], v[9:10]
	s_delay_alu instid0(VALU_DEP_2) | instskip(NEXT) | instid1(VALU_DEP_2)
	v_fma_f64 v[9:10], v[3:4], v[7:8], -v[11:12]
	v_fma_f64 v[11:12], v[1:2], v[7:8], v[15:16]
	scratch_store_b128 off, v[9:12], off offset:48
.LBB118_27:
	s_or_b32 exec_lo, exec_lo, s2
	s_waitcnt_vscnt null, 0x0
	s_barrier
	buffer_gl0_inv
	scratch_load_b128 v[1:4], v207, off
	s_mov_b32 s2, exec_lo
	s_waitcnt vmcnt(0)
	ds_store_b128 v5, v[1:4]
	s_waitcnt lgkmcnt(0)
	s_barrier
	buffer_gl0_inv
	v_cmpx_gt_u32_e32 4, v156
	s_cbranch_execz .LBB118_31
; %bb.28:
	v_dual_mov_b32 v1, 0 :: v_dual_add_nc_u32 v8, 0x370, v13
	v_dual_mov_b32 v2, 0 :: v_dual_add_nc_u32 v7, -1, v156
	v_or_b32_e32 v9, 8, v14
	s_mov_b32 s3, 0
	s_delay_alu instid0(VALU_DEP_2)
	v_dual_mov_b32 v4, v2 :: v_dual_mov_b32 v3, v1
	.p2align	6
.LBB118_29:                             ; =>This Inner Loop Header: Depth=1
	scratch_load_b128 v[15:18], v9, off offset:-8
	ds_load_b128 v[19:22], v8
	v_add_nc_u32_e32 v7, 1, v7
	v_add_nc_u32_e32 v8, 16, v8
	v_add_nc_u32_e32 v9, 16, v9
	s_delay_alu instid0(VALU_DEP_3) | instskip(SKIP_4) | instid1(VALU_DEP_2)
	v_cmp_lt_u32_e32 vcc_lo, 2, v7
	s_or_b32 s3, vcc_lo, s3
	s_waitcnt vmcnt(0) lgkmcnt(0)
	v_mul_f64 v[10:11], v[21:22], v[17:18]
	v_mul_f64 v[17:18], v[19:20], v[17:18]
	v_fma_f64 v[10:11], v[19:20], v[15:16], -v[10:11]
	s_delay_alu instid0(VALU_DEP_2) | instskip(NEXT) | instid1(VALU_DEP_2)
	v_fma_f64 v[15:16], v[21:22], v[15:16], v[17:18]
	v_add_f64 v[3:4], v[3:4], v[10:11]
	s_delay_alu instid0(VALU_DEP_2)
	v_add_f64 v[1:2], v[1:2], v[15:16]
	s_and_not1_b32 exec_lo, exec_lo, s3
	s_cbranch_execnz .LBB118_29
; %bb.30:
	s_or_b32 exec_lo, exec_lo, s3
	v_mov_b32_e32 v7, 0
	ds_load_b128 v[7:10], v7 offset:64
	s_waitcnt lgkmcnt(0)
	v_mul_f64 v[11:12], v[1:2], v[9:10]
	v_mul_f64 v[15:16], v[3:4], v[9:10]
	s_delay_alu instid0(VALU_DEP_2) | instskip(NEXT) | instid1(VALU_DEP_2)
	v_fma_f64 v[9:10], v[3:4], v[7:8], -v[11:12]
	v_fma_f64 v[11:12], v[1:2], v[7:8], v[15:16]
	scratch_store_b128 off, v[9:12], off offset:64
.LBB118_31:
	s_or_b32 exec_lo, exec_lo, s2
	s_waitcnt_vscnt null, 0x0
	s_barrier
	buffer_gl0_inv
	scratch_load_b128 v[1:4], v206, off
	s_mov_b32 s2, exec_lo
	s_waitcnt vmcnt(0)
	ds_store_b128 v5, v[1:4]
	s_waitcnt lgkmcnt(0)
	s_barrier
	buffer_gl0_inv
	v_cmpx_gt_u32_e32 5, v156
	s_cbranch_execz .LBB118_35
; %bb.32:
	v_dual_mov_b32 v1, 0 :: v_dual_add_nc_u32 v8, 0x370, v13
	v_dual_mov_b32 v2, 0 :: v_dual_add_nc_u32 v7, -1, v156
	v_or_b32_e32 v9, 8, v14
	s_mov_b32 s3, 0
	s_delay_alu instid0(VALU_DEP_2)
	v_dual_mov_b32 v4, v2 :: v_dual_mov_b32 v3, v1
	.p2align	6
.LBB118_33:                             ; =>This Inner Loop Header: Depth=1
	scratch_load_b128 v[15:18], v9, off offset:-8
	ds_load_b128 v[19:22], v8
	v_add_nc_u32_e32 v7, 1, v7
	v_add_nc_u32_e32 v8, 16, v8
	;; [unrolled: 1-line block ×3, first 2 shown]
	s_delay_alu instid0(VALU_DEP_3) | instskip(SKIP_4) | instid1(VALU_DEP_2)
	v_cmp_lt_u32_e32 vcc_lo, 3, v7
	s_or_b32 s3, vcc_lo, s3
	s_waitcnt vmcnt(0) lgkmcnt(0)
	v_mul_f64 v[10:11], v[21:22], v[17:18]
	v_mul_f64 v[17:18], v[19:20], v[17:18]
	v_fma_f64 v[10:11], v[19:20], v[15:16], -v[10:11]
	s_delay_alu instid0(VALU_DEP_2) | instskip(NEXT) | instid1(VALU_DEP_2)
	v_fma_f64 v[15:16], v[21:22], v[15:16], v[17:18]
	v_add_f64 v[3:4], v[3:4], v[10:11]
	s_delay_alu instid0(VALU_DEP_2)
	v_add_f64 v[1:2], v[1:2], v[15:16]
	s_and_not1_b32 exec_lo, exec_lo, s3
	s_cbranch_execnz .LBB118_33
; %bb.34:
	s_or_b32 exec_lo, exec_lo, s3
	v_mov_b32_e32 v7, 0
	ds_load_b128 v[7:10], v7 offset:80
	s_waitcnt lgkmcnt(0)
	v_mul_f64 v[11:12], v[1:2], v[9:10]
	v_mul_f64 v[15:16], v[3:4], v[9:10]
	s_delay_alu instid0(VALU_DEP_2) | instskip(NEXT) | instid1(VALU_DEP_2)
	v_fma_f64 v[9:10], v[3:4], v[7:8], -v[11:12]
	v_fma_f64 v[11:12], v[1:2], v[7:8], v[15:16]
	scratch_store_b128 off, v[9:12], off offset:80
.LBB118_35:
	s_or_b32 exec_lo, exec_lo, s2
	s_waitcnt_vscnt null, 0x0
	s_barrier
	buffer_gl0_inv
	scratch_load_b128 v[1:4], v205, off
	s_mov_b32 s2, exec_lo
	s_waitcnt vmcnt(0)
	ds_store_b128 v5, v[1:4]
	s_waitcnt lgkmcnt(0)
	s_barrier
	buffer_gl0_inv
	v_cmpx_gt_u32_e32 6, v156
	s_cbranch_execz .LBB118_39
; %bb.36:
	v_dual_mov_b32 v1, 0 :: v_dual_add_nc_u32 v8, 0x370, v13
	v_dual_mov_b32 v2, 0 :: v_dual_add_nc_u32 v7, -1, v156
	v_or_b32_e32 v9, 8, v14
	s_mov_b32 s3, 0
	s_delay_alu instid0(VALU_DEP_2)
	v_dual_mov_b32 v4, v2 :: v_dual_mov_b32 v3, v1
	.p2align	6
.LBB118_37:                             ; =>This Inner Loop Header: Depth=1
	scratch_load_b128 v[15:18], v9, off offset:-8
	ds_load_b128 v[19:22], v8
	v_add_nc_u32_e32 v7, 1, v7
	v_add_nc_u32_e32 v8, 16, v8
	;; [unrolled: 1-line block ×3, first 2 shown]
	s_delay_alu instid0(VALU_DEP_3) | instskip(SKIP_4) | instid1(VALU_DEP_2)
	v_cmp_lt_u32_e32 vcc_lo, 4, v7
	s_or_b32 s3, vcc_lo, s3
	s_waitcnt vmcnt(0) lgkmcnt(0)
	v_mul_f64 v[10:11], v[21:22], v[17:18]
	v_mul_f64 v[17:18], v[19:20], v[17:18]
	v_fma_f64 v[10:11], v[19:20], v[15:16], -v[10:11]
	s_delay_alu instid0(VALU_DEP_2) | instskip(NEXT) | instid1(VALU_DEP_2)
	v_fma_f64 v[15:16], v[21:22], v[15:16], v[17:18]
	v_add_f64 v[3:4], v[3:4], v[10:11]
	s_delay_alu instid0(VALU_DEP_2)
	v_add_f64 v[1:2], v[1:2], v[15:16]
	s_and_not1_b32 exec_lo, exec_lo, s3
	s_cbranch_execnz .LBB118_37
; %bb.38:
	s_or_b32 exec_lo, exec_lo, s3
	v_mov_b32_e32 v7, 0
	ds_load_b128 v[7:10], v7 offset:96
	s_waitcnt lgkmcnt(0)
	v_mul_f64 v[11:12], v[1:2], v[9:10]
	v_mul_f64 v[15:16], v[3:4], v[9:10]
	s_delay_alu instid0(VALU_DEP_2) | instskip(NEXT) | instid1(VALU_DEP_2)
	v_fma_f64 v[9:10], v[3:4], v[7:8], -v[11:12]
	v_fma_f64 v[11:12], v[1:2], v[7:8], v[15:16]
	scratch_store_b128 off, v[9:12], off offset:96
.LBB118_39:
	s_or_b32 exec_lo, exec_lo, s2
	s_waitcnt_vscnt null, 0x0
	s_barrier
	buffer_gl0_inv
	scratch_load_b128 v[1:4], v204, off
	s_mov_b32 s2, exec_lo
	s_waitcnt vmcnt(0)
	ds_store_b128 v5, v[1:4]
	s_waitcnt lgkmcnt(0)
	s_barrier
	buffer_gl0_inv
	v_cmpx_gt_u32_e32 7, v156
	s_cbranch_execz .LBB118_43
; %bb.40:
	v_dual_mov_b32 v1, 0 :: v_dual_add_nc_u32 v8, 0x370, v13
	v_dual_mov_b32 v2, 0 :: v_dual_add_nc_u32 v7, -1, v156
	v_or_b32_e32 v9, 8, v14
	s_mov_b32 s3, 0
	s_delay_alu instid0(VALU_DEP_2)
	v_dual_mov_b32 v4, v2 :: v_dual_mov_b32 v3, v1
	.p2align	6
.LBB118_41:                             ; =>This Inner Loop Header: Depth=1
	scratch_load_b128 v[15:18], v9, off offset:-8
	ds_load_b128 v[19:22], v8
	v_add_nc_u32_e32 v7, 1, v7
	v_add_nc_u32_e32 v8, 16, v8
	;; [unrolled: 1-line block ×3, first 2 shown]
	s_delay_alu instid0(VALU_DEP_3) | instskip(SKIP_4) | instid1(VALU_DEP_2)
	v_cmp_lt_u32_e32 vcc_lo, 5, v7
	s_or_b32 s3, vcc_lo, s3
	s_waitcnt vmcnt(0) lgkmcnt(0)
	v_mul_f64 v[10:11], v[21:22], v[17:18]
	v_mul_f64 v[17:18], v[19:20], v[17:18]
	v_fma_f64 v[10:11], v[19:20], v[15:16], -v[10:11]
	s_delay_alu instid0(VALU_DEP_2) | instskip(NEXT) | instid1(VALU_DEP_2)
	v_fma_f64 v[15:16], v[21:22], v[15:16], v[17:18]
	v_add_f64 v[3:4], v[3:4], v[10:11]
	s_delay_alu instid0(VALU_DEP_2)
	v_add_f64 v[1:2], v[1:2], v[15:16]
	s_and_not1_b32 exec_lo, exec_lo, s3
	s_cbranch_execnz .LBB118_41
; %bb.42:
	s_or_b32 exec_lo, exec_lo, s3
	v_mov_b32_e32 v7, 0
	ds_load_b128 v[7:10], v7 offset:112
	s_waitcnt lgkmcnt(0)
	v_mul_f64 v[11:12], v[1:2], v[9:10]
	v_mul_f64 v[15:16], v[3:4], v[9:10]
	s_delay_alu instid0(VALU_DEP_2) | instskip(NEXT) | instid1(VALU_DEP_2)
	v_fma_f64 v[9:10], v[3:4], v[7:8], -v[11:12]
	v_fma_f64 v[11:12], v[1:2], v[7:8], v[15:16]
	scratch_store_b128 off, v[9:12], off offset:112
.LBB118_43:
	s_or_b32 exec_lo, exec_lo, s2
	s_waitcnt_vscnt null, 0x0
	s_barrier
	buffer_gl0_inv
	scratch_load_b128 v[1:4], v203, off
	s_mov_b32 s2, exec_lo
	s_waitcnt vmcnt(0)
	ds_store_b128 v5, v[1:4]
	s_waitcnt lgkmcnt(0)
	s_barrier
	buffer_gl0_inv
	v_cmpx_gt_u32_e32 8, v156
	s_cbranch_execz .LBB118_47
; %bb.44:
	v_dual_mov_b32 v1, 0 :: v_dual_add_nc_u32 v8, 0x370, v13
	v_dual_mov_b32 v2, 0 :: v_dual_add_nc_u32 v7, -1, v156
	v_or_b32_e32 v9, 8, v14
	s_mov_b32 s3, 0
	s_delay_alu instid0(VALU_DEP_2)
	v_dual_mov_b32 v4, v2 :: v_dual_mov_b32 v3, v1
	.p2align	6
.LBB118_45:                             ; =>This Inner Loop Header: Depth=1
	scratch_load_b128 v[15:18], v9, off offset:-8
	ds_load_b128 v[19:22], v8
	v_add_nc_u32_e32 v7, 1, v7
	v_add_nc_u32_e32 v8, 16, v8
	;; [unrolled: 1-line block ×3, first 2 shown]
	s_delay_alu instid0(VALU_DEP_3) | instskip(SKIP_4) | instid1(VALU_DEP_2)
	v_cmp_lt_u32_e32 vcc_lo, 6, v7
	s_or_b32 s3, vcc_lo, s3
	s_waitcnt vmcnt(0) lgkmcnt(0)
	v_mul_f64 v[10:11], v[21:22], v[17:18]
	v_mul_f64 v[17:18], v[19:20], v[17:18]
	v_fma_f64 v[10:11], v[19:20], v[15:16], -v[10:11]
	s_delay_alu instid0(VALU_DEP_2) | instskip(NEXT) | instid1(VALU_DEP_2)
	v_fma_f64 v[15:16], v[21:22], v[15:16], v[17:18]
	v_add_f64 v[3:4], v[3:4], v[10:11]
	s_delay_alu instid0(VALU_DEP_2)
	v_add_f64 v[1:2], v[1:2], v[15:16]
	s_and_not1_b32 exec_lo, exec_lo, s3
	s_cbranch_execnz .LBB118_45
; %bb.46:
	s_or_b32 exec_lo, exec_lo, s3
	v_mov_b32_e32 v7, 0
	ds_load_b128 v[7:10], v7 offset:128
	s_waitcnt lgkmcnt(0)
	v_mul_f64 v[11:12], v[1:2], v[9:10]
	v_mul_f64 v[15:16], v[3:4], v[9:10]
	s_delay_alu instid0(VALU_DEP_2) | instskip(NEXT) | instid1(VALU_DEP_2)
	v_fma_f64 v[9:10], v[3:4], v[7:8], -v[11:12]
	v_fma_f64 v[11:12], v[1:2], v[7:8], v[15:16]
	scratch_store_b128 off, v[9:12], off offset:128
.LBB118_47:
	s_or_b32 exec_lo, exec_lo, s2
	s_waitcnt_vscnt null, 0x0
	s_barrier
	buffer_gl0_inv
	scratch_load_b128 v[1:4], v202, off
	s_mov_b32 s2, exec_lo
	s_waitcnt vmcnt(0)
	ds_store_b128 v5, v[1:4]
	s_waitcnt lgkmcnt(0)
	s_barrier
	buffer_gl0_inv
	v_cmpx_gt_u32_e32 9, v156
	s_cbranch_execz .LBB118_51
; %bb.48:
	v_dual_mov_b32 v1, 0 :: v_dual_add_nc_u32 v8, 0x370, v13
	v_dual_mov_b32 v2, 0 :: v_dual_add_nc_u32 v7, -1, v156
	v_or_b32_e32 v9, 8, v14
	s_mov_b32 s3, 0
	s_delay_alu instid0(VALU_DEP_2)
	v_dual_mov_b32 v4, v2 :: v_dual_mov_b32 v3, v1
	.p2align	6
.LBB118_49:                             ; =>This Inner Loop Header: Depth=1
	scratch_load_b128 v[15:18], v9, off offset:-8
	ds_load_b128 v[19:22], v8
	v_add_nc_u32_e32 v7, 1, v7
	v_add_nc_u32_e32 v8, 16, v8
	;; [unrolled: 1-line block ×3, first 2 shown]
	s_delay_alu instid0(VALU_DEP_3) | instskip(SKIP_4) | instid1(VALU_DEP_2)
	v_cmp_lt_u32_e32 vcc_lo, 7, v7
	s_or_b32 s3, vcc_lo, s3
	s_waitcnt vmcnt(0) lgkmcnt(0)
	v_mul_f64 v[10:11], v[21:22], v[17:18]
	v_mul_f64 v[17:18], v[19:20], v[17:18]
	v_fma_f64 v[10:11], v[19:20], v[15:16], -v[10:11]
	s_delay_alu instid0(VALU_DEP_2) | instskip(NEXT) | instid1(VALU_DEP_2)
	v_fma_f64 v[15:16], v[21:22], v[15:16], v[17:18]
	v_add_f64 v[3:4], v[3:4], v[10:11]
	s_delay_alu instid0(VALU_DEP_2)
	v_add_f64 v[1:2], v[1:2], v[15:16]
	s_and_not1_b32 exec_lo, exec_lo, s3
	s_cbranch_execnz .LBB118_49
; %bb.50:
	s_or_b32 exec_lo, exec_lo, s3
	v_mov_b32_e32 v7, 0
	ds_load_b128 v[7:10], v7 offset:144
	s_waitcnt lgkmcnt(0)
	v_mul_f64 v[11:12], v[1:2], v[9:10]
	v_mul_f64 v[15:16], v[3:4], v[9:10]
	s_delay_alu instid0(VALU_DEP_2) | instskip(NEXT) | instid1(VALU_DEP_2)
	v_fma_f64 v[9:10], v[3:4], v[7:8], -v[11:12]
	v_fma_f64 v[11:12], v[1:2], v[7:8], v[15:16]
	scratch_store_b128 off, v[9:12], off offset:144
.LBB118_51:
	s_or_b32 exec_lo, exec_lo, s2
	s_waitcnt_vscnt null, 0x0
	s_barrier
	buffer_gl0_inv
	scratch_load_b128 v[1:4], v201, off
	s_mov_b32 s2, exec_lo
	s_waitcnt vmcnt(0)
	ds_store_b128 v5, v[1:4]
	s_waitcnt lgkmcnt(0)
	s_barrier
	buffer_gl0_inv
	v_cmpx_gt_u32_e32 10, v156
	s_cbranch_execz .LBB118_55
; %bb.52:
	v_dual_mov_b32 v1, 0 :: v_dual_add_nc_u32 v8, 0x370, v13
	v_dual_mov_b32 v2, 0 :: v_dual_add_nc_u32 v7, -1, v156
	v_or_b32_e32 v9, 8, v14
	s_mov_b32 s3, 0
	s_delay_alu instid0(VALU_DEP_2)
	v_dual_mov_b32 v4, v2 :: v_dual_mov_b32 v3, v1
	.p2align	6
.LBB118_53:                             ; =>This Inner Loop Header: Depth=1
	scratch_load_b128 v[15:18], v9, off offset:-8
	ds_load_b128 v[19:22], v8
	v_add_nc_u32_e32 v7, 1, v7
	v_add_nc_u32_e32 v8, 16, v8
	;; [unrolled: 1-line block ×3, first 2 shown]
	s_delay_alu instid0(VALU_DEP_3) | instskip(SKIP_4) | instid1(VALU_DEP_2)
	v_cmp_lt_u32_e32 vcc_lo, 8, v7
	s_or_b32 s3, vcc_lo, s3
	s_waitcnt vmcnt(0) lgkmcnt(0)
	v_mul_f64 v[10:11], v[21:22], v[17:18]
	v_mul_f64 v[17:18], v[19:20], v[17:18]
	v_fma_f64 v[10:11], v[19:20], v[15:16], -v[10:11]
	s_delay_alu instid0(VALU_DEP_2) | instskip(NEXT) | instid1(VALU_DEP_2)
	v_fma_f64 v[15:16], v[21:22], v[15:16], v[17:18]
	v_add_f64 v[3:4], v[3:4], v[10:11]
	s_delay_alu instid0(VALU_DEP_2)
	v_add_f64 v[1:2], v[1:2], v[15:16]
	s_and_not1_b32 exec_lo, exec_lo, s3
	s_cbranch_execnz .LBB118_53
; %bb.54:
	s_or_b32 exec_lo, exec_lo, s3
	v_mov_b32_e32 v7, 0
	ds_load_b128 v[7:10], v7 offset:160
	s_waitcnt lgkmcnt(0)
	v_mul_f64 v[11:12], v[1:2], v[9:10]
	v_mul_f64 v[15:16], v[3:4], v[9:10]
	s_delay_alu instid0(VALU_DEP_2) | instskip(NEXT) | instid1(VALU_DEP_2)
	v_fma_f64 v[9:10], v[3:4], v[7:8], -v[11:12]
	v_fma_f64 v[11:12], v[1:2], v[7:8], v[15:16]
	scratch_store_b128 off, v[9:12], off offset:160
.LBB118_55:
	s_or_b32 exec_lo, exec_lo, s2
	s_waitcnt_vscnt null, 0x0
	s_barrier
	buffer_gl0_inv
	scratch_load_b128 v[1:4], v200, off
	s_mov_b32 s2, exec_lo
	s_waitcnt vmcnt(0)
	ds_store_b128 v5, v[1:4]
	s_waitcnt lgkmcnt(0)
	s_barrier
	buffer_gl0_inv
	v_cmpx_gt_u32_e32 11, v156
	s_cbranch_execz .LBB118_59
; %bb.56:
	v_dual_mov_b32 v1, 0 :: v_dual_add_nc_u32 v8, 0x370, v13
	v_dual_mov_b32 v2, 0 :: v_dual_add_nc_u32 v7, -1, v156
	v_or_b32_e32 v9, 8, v14
	s_mov_b32 s3, 0
	s_delay_alu instid0(VALU_DEP_2)
	v_dual_mov_b32 v4, v2 :: v_dual_mov_b32 v3, v1
	.p2align	6
.LBB118_57:                             ; =>This Inner Loop Header: Depth=1
	scratch_load_b128 v[15:18], v9, off offset:-8
	ds_load_b128 v[19:22], v8
	v_add_nc_u32_e32 v7, 1, v7
	v_add_nc_u32_e32 v8, 16, v8
	;; [unrolled: 1-line block ×3, first 2 shown]
	s_delay_alu instid0(VALU_DEP_3) | instskip(SKIP_4) | instid1(VALU_DEP_2)
	v_cmp_lt_u32_e32 vcc_lo, 9, v7
	s_or_b32 s3, vcc_lo, s3
	s_waitcnt vmcnt(0) lgkmcnt(0)
	v_mul_f64 v[10:11], v[21:22], v[17:18]
	v_mul_f64 v[17:18], v[19:20], v[17:18]
	v_fma_f64 v[10:11], v[19:20], v[15:16], -v[10:11]
	s_delay_alu instid0(VALU_DEP_2) | instskip(NEXT) | instid1(VALU_DEP_2)
	v_fma_f64 v[15:16], v[21:22], v[15:16], v[17:18]
	v_add_f64 v[3:4], v[3:4], v[10:11]
	s_delay_alu instid0(VALU_DEP_2)
	v_add_f64 v[1:2], v[1:2], v[15:16]
	s_and_not1_b32 exec_lo, exec_lo, s3
	s_cbranch_execnz .LBB118_57
; %bb.58:
	s_or_b32 exec_lo, exec_lo, s3
	v_mov_b32_e32 v7, 0
	ds_load_b128 v[7:10], v7 offset:176
	s_waitcnt lgkmcnt(0)
	v_mul_f64 v[11:12], v[1:2], v[9:10]
	v_mul_f64 v[15:16], v[3:4], v[9:10]
	s_delay_alu instid0(VALU_DEP_2) | instskip(NEXT) | instid1(VALU_DEP_2)
	v_fma_f64 v[9:10], v[3:4], v[7:8], -v[11:12]
	v_fma_f64 v[11:12], v[1:2], v[7:8], v[15:16]
	scratch_store_b128 off, v[9:12], off offset:176
.LBB118_59:
	s_or_b32 exec_lo, exec_lo, s2
	s_waitcnt_vscnt null, 0x0
	s_barrier
	buffer_gl0_inv
	scratch_load_b128 v[1:4], v199, off
	s_mov_b32 s2, exec_lo
	s_waitcnt vmcnt(0)
	ds_store_b128 v5, v[1:4]
	s_waitcnt lgkmcnt(0)
	s_barrier
	buffer_gl0_inv
	v_cmpx_gt_u32_e32 12, v156
	s_cbranch_execz .LBB118_63
; %bb.60:
	v_dual_mov_b32 v1, 0 :: v_dual_add_nc_u32 v8, 0x370, v13
	v_dual_mov_b32 v2, 0 :: v_dual_add_nc_u32 v7, -1, v156
	v_or_b32_e32 v9, 8, v14
	s_mov_b32 s3, 0
	s_delay_alu instid0(VALU_DEP_2)
	v_dual_mov_b32 v4, v2 :: v_dual_mov_b32 v3, v1
	.p2align	6
.LBB118_61:                             ; =>This Inner Loop Header: Depth=1
	scratch_load_b128 v[15:18], v9, off offset:-8
	ds_load_b128 v[19:22], v8
	v_add_nc_u32_e32 v7, 1, v7
	v_add_nc_u32_e32 v8, 16, v8
	;; [unrolled: 1-line block ×3, first 2 shown]
	s_delay_alu instid0(VALU_DEP_3) | instskip(SKIP_4) | instid1(VALU_DEP_2)
	v_cmp_lt_u32_e32 vcc_lo, 10, v7
	s_or_b32 s3, vcc_lo, s3
	s_waitcnt vmcnt(0) lgkmcnt(0)
	v_mul_f64 v[10:11], v[21:22], v[17:18]
	v_mul_f64 v[17:18], v[19:20], v[17:18]
	v_fma_f64 v[10:11], v[19:20], v[15:16], -v[10:11]
	s_delay_alu instid0(VALU_DEP_2) | instskip(NEXT) | instid1(VALU_DEP_2)
	v_fma_f64 v[15:16], v[21:22], v[15:16], v[17:18]
	v_add_f64 v[3:4], v[3:4], v[10:11]
	s_delay_alu instid0(VALU_DEP_2)
	v_add_f64 v[1:2], v[1:2], v[15:16]
	s_and_not1_b32 exec_lo, exec_lo, s3
	s_cbranch_execnz .LBB118_61
; %bb.62:
	s_or_b32 exec_lo, exec_lo, s3
	v_mov_b32_e32 v7, 0
	ds_load_b128 v[7:10], v7 offset:192
	s_waitcnt lgkmcnt(0)
	v_mul_f64 v[11:12], v[1:2], v[9:10]
	v_mul_f64 v[15:16], v[3:4], v[9:10]
	s_delay_alu instid0(VALU_DEP_2) | instskip(NEXT) | instid1(VALU_DEP_2)
	v_fma_f64 v[9:10], v[3:4], v[7:8], -v[11:12]
	v_fma_f64 v[11:12], v[1:2], v[7:8], v[15:16]
	scratch_store_b128 off, v[9:12], off offset:192
.LBB118_63:
	s_or_b32 exec_lo, exec_lo, s2
	s_waitcnt_vscnt null, 0x0
	s_barrier
	buffer_gl0_inv
	scratch_load_b128 v[1:4], v198, off
	s_mov_b32 s2, exec_lo
	s_waitcnt vmcnt(0)
	ds_store_b128 v5, v[1:4]
	s_waitcnt lgkmcnt(0)
	s_barrier
	buffer_gl0_inv
	v_cmpx_gt_u32_e32 13, v156
	s_cbranch_execz .LBB118_67
; %bb.64:
	v_dual_mov_b32 v1, 0 :: v_dual_add_nc_u32 v8, 0x370, v13
	v_dual_mov_b32 v2, 0 :: v_dual_add_nc_u32 v7, -1, v156
	v_or_b32_e32 v9, 8, v14
	s_mov_b32 s3, 0
	s_delay_alu instid0(VALU_DEP_2)
	v_dual_mov_b32 v4, v2 :: v_dual_mov_b32 v3, v1
	.p2align	6
.LBB118_65:                             ; =>This Inner Loop Header: Depth=1
	scratch_load_b128 v[15:18], v9, off offset:-8
	ds_load_b128 v[19:22], v8
	v_add_nc_u32_e32 v7, 1, v7
	v_add_nc_u32_e32 v8, 16, v8
	;; [unrolled: 1-line block ×3, first 2 shown]
	s_delay_alu instid0(VALU_DEP_3) | instskip(SKIP_4) | instid1(VALU_DEP_2)
	v_cmp_lt_u32_e32 vcc_lo, 11, v7
	s_or_b32 s3, vcc_lo, s3
	s_waitcnt vmcnt(0) lgkmcnt(0)
	v_mul_f64 v[10:11], v[21:22], v[17:18]
	v_mul_f64 v[17:18], v[19:20], v[17:18]
	v_fma_f64 v[10:11], v[19:20], v[15:16], -v[10:11]
	s_delay_alu instid0(VALU_DEP_2) | instskip(NEXT) | instid1(VALU_DEP_2)
	v_fma_f64 v[15:16], v[21:22], v[15:16], v[17:18]
	v_add_f64 v[3:4], v[3:4], v[10:11]
	s_delay_alu instid0(VALU_DEP_2)
	v_add_f64 v[1:2], v[1:2], v[15:16]
	s_and_not1_b32 exec_lo, exec_lo, s3
	s_cbranch_execnz .LBB118_65
; %bb.66:
	s_or_b32 exec_lo, exec_lo, s3
	v_mov_b32_e32 v7, 0
	ds_load_b128 v[7:10], v7 offset:208
	s_waitcnt lgkmcnt(0)
	v_mul_f64 v[11:12], v[1:2], v[9:10]
	v_mul_f64 v[15:16], v[3:4], v[9:10]
	s_delay_alu instid0(VALU_DEP_2) | instskip(NEXT) | instid1(VALU_DEP_2)
	v_fma_f64 v[9:10], v[3:4], v[7:8], -v[11:12]
	v_fma_f64 v[11:12], v[1:2], v[7:8], v[15:16]
	scratch_store_b128 off, v[9:12], off offset:208
.LBB118_67:
	s_or_b32 exec_lo, exec_lo, s2
	s_waitcnt_vscnt null, 0x0
	s_barrier
	buffer_gl0_inv
	scratch_load_b128 v[1:4], v197, off
	s_mov_b32 s2, exec_lo
	s_waitcnt vmcnt(0)
	ds_store_b128 v5, v[1:4]
	s_waitcnt lgkmcnt(0)
	s_barrier
	buffer_gl0_inv
	v_cmpx_gt_u32_e32 14, v156
	s_cbranch_execz .LBB118_71
; %bb.68:
	v_dual_mov_b32 v1, 0 :: v_dual_add_nc_u32 v8, 0x370, v13
	v_dual_mov_b32 v2, 0 :: v_dual_add_nc_u32 v7, -1, v156
	v_or_b32_e32 v9, 8, v14
	s_mov_b32 s3, 0
	s_delay_alu instid0(VALU_DEP_2)
	v_dual_mov_b32 v4, v2 :: v_dual_mov_b32 v3, v1
	.p2align	6
.LBB118_69:                             ; =>This Inner Loop Header: Depth=1
	scratch_load_b128 v[15:18], v9, off offset:-8
	ds_load_b128 v[19:22], v8
	v_add_nc_u32_e32 v7, 1, v7
	v_add_nc_u32_e32 v8, 16, v8
	;; [unrolled: 1-line block ×3, first 2 shown]
	s_delay_alu instid0(VALU_DEP_3) | instskip(SKIP_4) | instid1(VALU_DEP_2)
	v_cmp_lt_u32_e32 vcc_lo, 12, v7
	s_or_b32 s3, vcc_lo, s3
	s_waitcnt vmcnt(0) lgkmcnt(0)
	v_mul_f64 v[10:11], v[21:22], v[17:18]
	v_mul_f64 v[17:18], v[19:20], v[17:18]
	v_fma_f64 v[10:11], v[19:20], v[15:16], -v[10:11]
	s_delay_alu instid0(VALU_DEP_2) | instskip(NEXT) | instid1(VALU_DEP_2)
	v_fma_f64 v[15:16], v[21:22], v[15:16], v[17:18]
	v_add_f64 v[3:4], v[3:4], v[10:11]
	s_delay_alu instid0(VALU_DEP_2)
	v_add_f64 v[1:2], v[1:2], v[15:16]
	s_and_not1_b32 exec_lo, exec_lo, s3
	s_cbranch_execnz .LBB118_69
; %bb.70:
	s_or_b32 exec_lo, exec_lo, s3
	v_mov_b32_e32 v7, 0
	ds_load_b128 v[7:10], v7 offset:224
	s_waitcnt lgkmcnt(0)
	v_mul_f64 v[11:12], v[1:2], v[9:10]
	v_mul_f64 v[15:16], v[3:4], v[9:10]
	s_delay_alu instid0(VALU_DEP_2) | instskip(NEXT) | instid1(VALU_DEP_2)
	v_fma_f64 v[9:10], v[3:4], v[7:8], -v[11:12]
	v_fma_f64 v[11:12], v[1:2], v[7:8], v[15:16]
	scratch_store_b128 off, v[9:12], off offset:224
.LBB118_71:
	s_or_b32 exec_lo, exec_lo, s2
	s_waitcnt_vscnt null, 0x0
	s_barrier
	buffer_gl0_inv
	scratch_load_b128 v[1:4], v196, off
	s_mov_b32 s2, exec_lo
	s_waitcnt vmcnt(0)
	ds_store_b128 v5, v[1:4]
	s_waitcnt lgkmcnt(0)
	s_barrier
	buffer_gl0_inv
	v_cmpx_gt_u32_e32 15, v156
	s_cbranch_execz .LBB118_75
; %bb.72:
	v_dual_mov_b32 v1, 0 :: v_dual_add_nc_u32 v8, 0x370, v13
	v_dual_mov_b32 v2, 0 :: v_dual_add_nc_u32 v7, -1, v156
	v_or_b32_e32 v9, 8, v14
	s_mov_b32 s3, 0
	s_delay_alu instid0(VALU_DEP_2)
	v_dual_mov_b32 v4, v2 :: v_dual_mov_b32 v3, v1
	.p2align	6
.LBB118_73:                             ; =>This Inner Loop Header: Depth=1
	scratch_load_b128 v[15:18], v9, off offset:-8
	ds_load_b128 v[19:22], v8
	v_add_nc_u32_e32 v7, 1, v7
	v_add_nc_u32_e32 v8, 16, v8
	;; [unrolled: 1-line block ×3, first 2 shown]
	s_delay_alu instid0(VALU_DEP_3) | instskip(SKIP_4) | instid1(VALU_DEP_2)
	v_cmp_lt_u32_e32 vcc_lo, 13, v7
	s_or_b32 s3, vcc_lo, s3
	s_waitcnt vmcnt(0) lgkmcnt(0)
	v_mul_f64 v[10:11], v[21:22], v[17:18]
	v_mul_f64 v[17:18], v[19:20], v[17:18]
	v_fma_f64 v[10:11], v[19:20], v[15:16], -v[10:11]
	s_delay_alu instid0(VALU_DEP_2) | instskip(NEXT) | instid1(VALU_DEP_2)
	v_fma_f64 v[15:16], v[21:22], v[15:16], v[17:18]
	v_add_f64 v[3:4], v[3:4], v[10:11]
	s_delay_alu instid0(VALU_DEP_2)
	v_add_f64 v[1:2], v[1:2], v[15:16]
	s_and_not1_b32 exec_lo, exec_lo, s3
	s_cbranch_execnz .LBB118_73
; %bb.74:
	s_or_b32 exec_lo, exec_lo, s3
	v_mov_b32_e32 v7, 0
	ds_load_b128 v[7:10], v7 offset:240
	s_waitcnt lgkmcnt(0)
	v_mul_f64 v[11:12], v[1:2], v[9:10]
	v_mul_f64 v[15:16], v[3:4], v[9:10]
	s_delay_alu instid0(VALU_DEP_2) | instskip(NEXT) | instid1(VALU_DEP_2)
	v_fma_f64 v[9:10], v[3:4], v[7:8], -v[11:12]
	v_fma_f64 v[11:12], v[1:2], v[7:8], v[15:16]
	scratch_store_b128 off, v[9:12], off offset:240
.LBB118_75:
	s_or_b32 exec_lo, exec_lo, s2
	s_waitcnt_vscnt null, 0x0
	s_barrier
	buffer_gl0_inv
	scratch_load_b128 v[1:4], v195, off
	s_mov_b32 s2, exec_lo
	s_waitcnt vmcnt(0)
	ds_store_b128 v5, v[1:4]
	s_waitcnt lgkmcnt(0)
	s_barrier
	buffer_gl0_inv
	v_cmpx_gt_u32_e32 16, v156
	s_cbranch_execz .LBB118_79
; %bb.76:
	v_dual_mov_b32 v1, 0 :: v_dual_add_nc_u32 v8, 0x370, v13
	v_dual_mov_b32 v2, 0 :: v_dual_add_nc_u32 v7, -1, v156
	v_or_b32_e32 v9, 8, v14
	s_mov_b32 s3, 0
	s_delay_alu instid0(VALU_DEP_2)
	v_dual_mov_b32 v4, v2 :: v_dual_mov_b32 v3, v1
	.p2align	6
.LBB118_77:                             ; =>This Inner Loop Header: Depth=1
	scratch_load_b128 v[15:18], v9, off offset:-8
	ds_load_b128 v[19:22], v8
	v_add_nc_u32_e32 v7, 1, v7
	v_add_nc_u32_e32 v8, 16, v8
	;; [unrolled: 1-line block ×3, first 2 shown]
	s_delay_alu instid0(VALU_DEP_3) | instskip(SKIP_4) | instid1(VALU_DEP_2)
	v_cmp_lt_u32_e32 vcc_lo, 14, v7
	s_or_b32 s3, vcc_lo, s3
	s_waitcnt vmcnt(0) lgkmcnt(0)
	v_mul_f64 v[10:11], v[21:22], v[17:18]
	v_mul_f64 v[17:18], v[19:20], v[17:18]
	v_fma_f64 v[10:11], v[19:20], v[15:16], -v[10:11]
	s_delay_alu instid0(VALU_DEP_2) | instskip(NEXT) | instid1(VALU_DEP_2)
	v_fma_f64 v[15:16], v[21:22], v[15:16], v[17:18]
	v_add_f64 v[3:4], v[3:4], v[10:11]
	s_delay_alu instid0(VALU_DEP_2)
	v_add_f64 v[1:2], v[1:2], v[15:16]
	s_and_not1_b32 exec_lo, exec_lo, s3
	s_cbranch_execnz .LBB118_77
; %bb.78:
	s_or_b32 exec_lo, exec_lo, s3
	v_mov_b32_e32 v7, 0
	ds_load_b128 v[7:10], v7 offset:256
	s_waitcnt lgkmcnt(0)
	v_mul_f64 v[11:12], v[1:2], v[9:10]
	v_mul_f64 v[15:16], v[3:4], v[9:10]
	s_delay_alu instid0(VALU_DEP_2) | instskip(NEXT) | instid1(VALU_DEP_2)
	v_fma_f64 v[9:10], v[3:4], v[7:8], -v[11:12]
	v_fma_f64 v[11:12], v[1:2], v[7:8], v[15:16]
	scratch_store_b128 off, v[9:12], off offset:256
.LBB118_79:
	s_or_b32 exec_lo, exec_lo, s2
	s_waitcnt_vscnt null, 0x0
	s_barrier
	buffer_gl0_inv
	scratch_load_b128 v[1:4], v194, off
	s_mov_b32 s2, exec_lo
	s_waitcnt vmcnt(0)
	ds_store_b128 v5, v[1:4]
	s_waitcnt lgkmcnt(0)
	s_barrier
	buffer_gl0_inv
	v_cmpx_gt_u32_e32 17, v156
	s_cbranch_execz .LBB118_83
; %bb.80:
	v_dual_mov_b32 v1, 0 :: v_dual_add_nc_u32 v8, 0x370, v13
	v_dual_mov_b32 v2, 0 :: v_dual_add_nc_u32 v7, -1, v156
	v_or_b32_e32 v9, 8, v14
	s_mov_b32 s3, 0
	s_delay_alu instid0(VALU_DEP_2)
	v_dual_mov_b32 v4, v2 :: v_dual_mov_b32 v3, v1
	.p2align	6
.LBB118_81:                             ; =>This Inner Loop Header: Depth=1
	scratch_load_b128 v[15:18], v9, off offset:-8
	ds_load_b128 v[19:22], v8
	v_add_nc_u32_e32 v7, 1, v7
	v_add_nc_u32_e32 v8, 16, v8
	;; [unrolled: 1-line block ×3, first 2 shown]
	s_delay_alu instid0(VALU_DEP_3) | instskip(SKIP_4) | instid1(VALU_DEP_2)
	v_cmp_lt_u32_e32 vcc_lo, 15, v7
	s_or_b32 s3, vcc_lo, s3
	s_waitcnt vmcnt(0) lgkmcnt(0)
	v_mul_f64 v[10:11], v[21:22], v[17:18]
	v_mul_f64 v[17:18], v[19:20], v[17:18]
	v_fma_f64 v[10:11], v[19:20], v[15:16], -v[10:11]
	s_delay_alu instid0(VALU_DEP_2) | instskip(NEXT) | instid1(VALU_DEP_2)
	v_fma_f64 v[15:16], v[21:22], v[15:16], v[17:18]
	v_add_f64 v[3:4], v[3:4], v[10:11]
	s_delay_alu instid0(VALU_DEP_2)
	v_add_f64 v[1:2], v[1:2], v[15:16]
	s_and_not1_b32 exec_lo, exec_lo, s3
	s_cbranch_execnz .LBB118_81
; %bb.82:
	s_or_b32 exec_lo, exec_lo, s3
	v_mov_b32_e32 v7, 0
	ds_load_b128 v[7:10], v7 offset:272
	s_waitcnt lgkmcnt(0)
	v_mul_f64 v[11:12], v[1:2], v[9:10]
	v_mul_f64 v[15:16], v[3:4], v[9:10]
	s_delay_alu instid0(VALU_DEP_2) | instskip(NEXT) | instid1(VALU_DEP_2)
	v_fma_f64 v[9:10], v[3:4], v[7:8], -v[11:12]
	v_fma_f64 v[11:12], v[1:2], v[7:8], v[15:16]
	scratch_store_b128 off, v[9:12], off offset:272
.LBB118_83:
	s_or_b32 exec_lo, exec_lo, s2
	s_waitcnt_vscnt null, 0x0
	s_barrier
	buffer_gl0_inv
	scratch_load_b128 v[1:4], v193, off
	s_mov_b32 s2, exec_lo
	s_waitcnt vmcnt(0)
	ds_store_b128 v5, v[1:4]
	s_waitcnt lgkmcnt(0)
	s_barrier
	buffer_gl0_inv
	v_cmpx_gt_u32_e32 18, v156
	s_cbranch_execz .LBB118_87
; %bb.84:
	v_dual_mov_b32 v1, 0 :: v_dual_add_nc_u32 v8, 0x370, v13
	v_dual_mov_b32 v2, 0 :: v_dual_add_nc_u32 v7, -1, v156
	v_or_b32_e32 v9, 8, v14
	s_mov_b32 s3, 0
	s_delay_alu instid0(VALU_DEP_2)
	v_dual_mov_b32 v4, v2 :: v_dual_mov_b32 v3, v1
	.p2align	6
.LBB118_85:                             ; =>This Inner Loop Header: Depth=1
	scratch_load_b128 v[15:18], v9, off offset:-8
	ds_load_b128 v[19:22], v8
	v_add_nc_u32_e32 v7, 1, v7
	v_add_nc_u32_e32 v8, 16, v8
	;; [unrolled: 1-line block ×3, first 2 shown]
	s_delay_alu instid0(VALU_DEP_3) | instskip(SKIP_4) | instid1(VALU_DEP_2)
	v_cmp_lt_u32_e32 vcc_lo, 16, v7
	s_or_b32 s3, vcc_lo, s3
	s_waitcnt vmcnt(0) lgkmcnt(0)
	v_mul_f64 v[10:11], v[21:22], v[17:18]
	v_mul_f64 v[17:18], v[19:20], v[17:18]
	v_fma_f64 v[10:11], v[19:20], v[15:16], -v[10:11]
	s_delay_alu instid0(VALU_DEP_2) | instskip(NEXT) | instid1(VALU_DEP_2)
	v_fma_f64 v[15:16], v[21:22], v[15:16], v[17:18]
	v_add_f64 v[3:4], v[3:4], v[10:11]
	s_delay_alu instid0(VALU_DEP_2)
	v_add_f64 v[1:2], v[1:2], v[15:16]
	s_and_not1_b32 exec_lo, exec_lo, s3
	s_cbranch_execnz .LBB118_85
; %bb.86:
	s_or_b32 exec_lo, exec_lo, s3
	v_mov_b32_e32 v7, 0
	ds_load_b128 v[7:10], v7 offset:288
	s_waitcnt lgkmcnt(0)
	v_mul_f64 v[11:12], v[1:2], v[9:10]
	v_mul_f64 v[15:16], v[3:4], v[9:10]
	s_delay_alu instid0(VALU_DEP_2) | instskip(NEXT) | instid1(VALU_DEP_2)
	v_fma_f64 v[9:10], v[3:4], v[7:8], -v[11:12]
	v_fma_f64 v[11:12], v[1:2], v[7:8], v[15:16]
	scratch_store_b128 off, v[9:12], off offset:288
.LBB118_87:
	s_or_b32 exec_lo, exec_lo, s2
	s_waitcnt_vscnt null, 0x0
	s_barrier
	buffer_gl0_inv
	scratch_load_b128 v[1:4], v192, off
	s_mov_b32 s2, exec_lo
	s_waitcnt vmcnt(0)
	ds_store_b128 v5, v[1:4]
	s_waitcnt lgkmcnt(0)
	s_barrier
	buffer_gl0_inv
	v_cmpx_gt_u32_e32 19, v156
	s_cbranch_execz .LBB118_91
; %bb.88:
	v_dual_mov_b32 v1, 0 :: v_dual_add_nc_u32 v8, 0x370, v13
	v_dual_mov_b32 v2, 0 :: v_dual_add_nc_u32 v7, -1, v156
	v_or_b32_e32 v9, 8, v14
	s_mov_b32 s3, 0
	s_delay_alu instid0(VALU_DEP_2)
	v_dual_mov_b32 v4, v2 :: v_dual_mov_b32 v3, v1
	.p2align	6
.LBB118_89:                             ; =>This Inner Loop Header: Depth=1
	scratch_load_b128 v[15:18], v9, off offset:-8
	ds_load_b128 v[19:22], v8
	v_add_nc_u32_e32 v7, 1, v7
	v_add_nc_u32_e32 v8, 16, v8
	;; [unrolled: 1-line block ×3, first 2 shown]
	s_delay_alu instid0(VALU_DEP_3) | instskip(SKIP_4) | instid1(VALU_DEP_2)
	v_cmp_lt_u32_e32 vcc_lo, 17, v7
	s_or_b32 s3, vcc_lo, s3
	s_waitcnt vmcnt(0) lgkmcnt(0)
	v_mul_f64 v[10:11], v[21:22], v[17:18]
	v_mul_f64 v[17:18], v[19:20], v[17:18]
	v_fma_f64 v[10:11], v[19:20], v[15:16], -v[10:11]
	s_delay_alu instid0(VALU_DEP_2) | instskip(NEXT) | instid1(VALU_DEP_2)
	v_fma_f64 v[15:16], v[21:22], v[15:16], v[17:18]
	v_add_f64 v[3:4], v[3:4], v[10:11]
	s_delay_alu instid0(VALU_DEP_2)
	v_add_f64 v[1:2], v[1:2], v[15:16]
	s_and_not1_b32 exec_lo, exec_lo, s3
	s_cbranch_execnz .LBB118_89
; %bb.90:
	s_or_b32 exec_lo, exec_lo, s3
	v_mov_b32_e32 v7, 0
	ds_load_b128 v[7:10], v7 offset:304
	s_waitcnt lgkmcnt(0)
	v_mul_f64 v[11:12], v[1:2], v[9:10]
	v_mul_f64 v[15:16], v[3:4], v[9:10]
	s_delay_alu instid0(VALU_DEP_2) | instskip(NEXT) | instid1(VALU_DEP_2)
	v_fma_f64 v[9:10], v[3:4], v[7:8], -v[11:12]
	v_fma_f64 v[11:12], v[1:2], v[7:8], v[15:16]
	scratch_store_b128 off, v[9:12], off offset:304
.LBB118_91:
	s_or_b32 exec_lo, exec_lo, s2
	s_waitcnt_vscnt null, 0x0
	s_barrier
	buffer_gl0_inv
	scratch_load_b128 v[1:4], v191, off
	s_mov_b32 s2, exec_lo
	s_waitcnt vmcnt(0)
	ds_store_b128 v5, v[1:4]
	s_waitcnt lgkmcnt(0)
	s_barrier
	buffer_gl0_inv
	v_cmpx_gt_u32_e32 20, v156
	s_cbranch_execz .LBB118_95
; %bb.92:
	v_dual_mov_b32 v1, 0 :: v_dual_add_nc_u32 v8, 0x370, v13
	v_dual_mov_b32 v2, 0 :: v_dual_add_nc_u32 v7, -1, v156
	v_or_b32_e32 v9, 8, v14
	s_mov_b32 s3, 0
	s_delay_alu instid0(VALU_DEP_2)
	v_dual_mov_b32 v4, v2 :: v_dual_mov_b32 v3, v1
	.p2align	6
.LBB118_93:                             ; =>This Inner Loop Header: Depth=1
	scratch_load_b128 v[15:18], v9, off offset:-8
	ds_load_b128 v[19:22], v8
	v_add_nc_u32_e32 v7, 1, v7
	v_add_nc_u32_e32 v8, 16, v8
	v_add_nc_u32_e32 v9, 16, v9
	s_delay_alu instid0(VALU_DEP_3) | instskip(SKIP_4) | instid1(VALU_DEP_2)
	v_cmp_lt_u32_e32 vcc_lo, 18, v7
	s_or_b32 s3, vcc_lo, s3
	s_waitcnt vmcnt(0) lgkmcnt(0)
	v_mul_f64 v[10:11], v[21:22], v[17:18]
	v_mul_f64 v[17:18], v[19:20], v[17:18]
	v_fma_f64 v[10:11], v[19:20], v[15:16], -v[10:11]
	s_delay_alu instid0(VALU_DEP_2) | instskip(NEXT) | instid1(VALU_DEP_2)
	v_fma_f64 v[15:16], v[21:22], v[15:16], v[17:18]
	v_add_f64 v[3:4], v[3:4], v[10:11]
	s_delay_alu instid0(VALU_DEP_2)
	v_add_f64 v[1:2], v[1:2], v[15:16]
	s_and_not1_b32 exec_lo, exec_lo, s3
	s_cbranch_execnz .LBB118_93
; %bb.94:
	s_or_b32 exec_lo, exec_lo, s3
	v_mov_b32_e32 v7, 0
	ds_load_b128 v[7:10], v7 offset:320
	s_waitcnt lgkmcnt(0)
	v_mul_f64 v[11:12], v[1:2], v[9:10]
	v_mul_f64 v[15:16], v[3:4], v[9:10]
	s_delay_alu instid0(VALU_DEP_2) | instskip(NEXT) | instid1(VALU_DEP_2)
	v_fma_f64 v[9:10], v[3:4], v[7:8], -v[11:12]
	v_fma_f64 v[11:12], v[1:2], v[7:8], v[15:16]
	scratch_store_b128 off, v[9:12], off offset:320
.LBB118_95:
	s_or_b32 exec_lo, exec_lo, s2
	s_waitcnt_vscnt null, 0x0
	s_barrier
	buffer_gl0_inv
	scratch_load_b128 v[1:4], v190, off
	s_mov_b32 s2, exec_lo
	s_waitcnt vmcnt(0)
	ds_store_b128 v5, v[1:4]
	s_waitcnt lgkmcnt(0)
	s_barrier
	buffer_gl0_inv
	v_cmpx_gt_u32_e32 21, v156
	s_cbranch_execz .LBB118_99
; %bb.96:
	v_dual_mov_b32 v1, 0 :: v_dual_add_nc_u32 v8, 0x370, v13
	v_dual_mov_b32 v2, 0 :: v_dual_add_nc_u32 v7, -1, v156
	v_or_b32_e32 v9, 8, v14
	s_mov_b32 s3, 0
	s_delay_alu instid0(VALU_DEP_2)
	v_dual_mov_b32 v4, v2 :: v_dual_mov_b32 v3, v1
	.p2align	6
.LBB118_97:                             ; =>This Inner Loop Header: Depth=1
	scratch_load_b128 v[15:18], v9, off offset:-8
	ds_load_b128 v[19:22], v8
	v_add_nc_u32_e32 v7, 1, v7
	v_add_nc_u32_e32 v8, 16, v8
	;; [unrolled: 1-line block ×3, first 2 shown]
	s_delay_alu instid0(VALU_DEP_3) | instskip(SKIP_4) | instid1(VALU_DEP_2)
	v_cmp_lt_u32_e32 vcc_lo, 19, v7
	s_or_b32 s3, vcc_lo, s3
	s_waitcnt vmcnt(0) lgkmcnt(0)
	v_mul_f64 v[10:11], v[21:22], v[17:18]
	v_mul_f64 v[17:18], v[19:20], v[17:18]
	v_fma_f64 v[10:11], v[19:20], v[15:16], -v[10:11]
	s_delay_alu instid0(VALU_DEP_2) | instskip(NEXT) | instid1(VALU_DEP_2)
	v_fma_f64 v[15:16], v[21:22], v[15:16], v[17:18]
	v_add_f64 v[3:4], v[3:4], v[10:11]
	s_delay_alu instid0(VALU_DEP_2)
	v_add_f64 v[1:2], v[1:2], v[15:16]
	s_and_not1_b32 exec_lo, exec_lo, s3
	s_cbranch_execnz .LBB118_97
; %bb.98:
	s_or_b32 exec_lo, exec_lo, s3
	v_mov_b32_e32 v7, 0
	ds_load_b128 v[7:10], v7 offset:336
	s_waitcnt lgkmcnt(0)
	v_mul_f64 v[11:12], v[1:2], v[9:10]
	v_mul_f64 v[15:16], v[3:4], v[9:10]
	s_delay_alu instid0(VALU_DEP_2) | instskip(NEXT) | instid1(VALU_DEP_2)
	v_fma_f64 v[9:10], v[3:4], v[7:8], -v[11:12]
	v_fma_f64 v[11:12], v[1:2], v[7:8], v[15:16]
	scratch_store_b128 off, v[9:12], off offset:336
.LBB118_99:
	s_or_b32 exec_lo, exec_lo, s2
	s_waitcnt_vscnt null, 0x0
	s_barrier
	buffer_gl0_inv
	scratch_load_b128 v[1:4], v189, off
	s_mov_b32 s2, exec_lo
	s_waitcnt vmcnt(0)
	ds_store_b128 v5, v[1:4]
	s_waitcnt lgkmcnt(0)
	s_barrier
	buffer_gl0_inv
	v_cmpx_gt_u32_e32 22, v156
	s_cbranch_execz .LBB118_103
; %bb.100:
	v_dual_mov_b32 v1, 0 :: v_dual_add_nc_u32 v8, 0x370, v13
	v_dual_mov_b32 v2, 0 :: v_dual_add_nc_u32 v7, -1, v156
	v_or_b32_e32 v9, 8, v14
	s_mov_b32 s3, 0
	s_delay_alu instid0(VALU_DEP_2)
	v_dual_mov_b32 v4, v2 :: v_dual_mov_b32 v3, v1
	.p2align	6
.LBB118_101:                            ; =>This Inner Loop Header: Depth=1
	scratch_load_b128 v[15:18], v9, off offset:-8
	ds_load_b128 v[19:22], v8
	v_add_nc_u32_e32 v7, 1, v7
	v_add_nc_u32_e32 v8, 16, v8
	;; [unrolled: 1-line block ×3, first 2 shown]
	s_delay_alu instid0(VALU_DEP_3) | instskip(SKIP_4) | instid1(VALU_DEP_2)
	v_cmp_lt_u32_e32 vcc_lo, 20, v7
	s_or_b32 s3, vcc_lo, s3
	s_waitcnt vmcnt(0) lgkmcnt(0)
	v_mul_f64 v[10:11], v[21:22], v[17:18]
	v_mul_f64 v[17:18], v[19:20], v[17:18]
	v_fma_f64 v[10:11], v[19:20], v[15:16], -v[10:11]
	s_delay_alu instid0(VALU_DEP_2) | instskip(NEXT) | instid1(VALU_DEP_2)
	v_fma_f64 v[15:16], v[21:22], v[15:16], v[17:18]
	v_add_f64 v[3:4], v[3:4], v[10:11]
	s_delay_alu instid0(VALU_DEP_2)
	v_add_f64 v[1:2], v[1:2], v[15:16]
	s_and_not1_b32 exec_lo, exec_lo, s3
	s_cbranch_execnz .LBB118_101
; %bb.102:
	s_or_b32 exec_lo, exec_lo, s3
	v_mov_b32_e32 v7, 0
	ds_load_b128 v[7:10], v7 offset:352
	s_waitcnt lgkmcnt(0)
	v_mul_f64 v[11:12], v[1:2], v[9:10]
	v_mul_f64 v[15:16], v[3:4], v[9:10]
	s_delay_alu instid0(VALU_DEP_2) | instskip(NEXT) | instid1(VALU_DEP_2)
	v_fma_f64 v[9:10], v[3:4], v[7:8], -v[11:12]
	v_fma_f64 v[11:12], v[1:2], v[7:8], v[15:16]
	scratch_store_b128 off, v[9:12], off offset:352
.LBB118_103:
	s_or_b32 exec_lo, exec_lo, s2
	s_waitcnt_vscnt null, 0x0
	s_barrier
	buffer_gl0_inv
	scratch_load_b128 v[1:4], v188, off
	s_mov_b32 s2, exec_lo
	s_waitcnt vmcnt(0)
	ds_store_b128 v5, v[1:4]
	s_waitcnt lgkmcnt(0)
	s_barrier
	buffer_gl0_inv
	v_cmpx_gt_u32_e32 23, v156
	s_cbranch_execz .LBB118_107
; %bb.104:
	v_dual_mov_b32 v1, 0 :: v_dual_add_nc_u32 v8, 0x370, v13
	v_dual_mov_b32 v2, 0 :: v_dual_add_nc_u32 v7, -1, v156
	v_or_b32_e32 v9, 8, v14
	s_mov_b32 s3, 0
	s_delay_alu instid0(VALU_DEP_2)
	v_dual_mov_b32 v4, v2 :: v_dual_mov_b32 v3, v1
	.p2align	6
.LBB118_105:                            ; =>This Inner Loop Header: Depth=1
	scratch_load_b128 v[15:18], v9, off offset:-8
	ds_load_b128 v[19:22], v8
	v_add_nc_u32_e32 v7, 1, v7
	v_add_nc_u32_e32 v8, 16, v8
	;; [unrolled: 1-line block ×3, first 2 shown]
	s_delay_alu instid0(VALU_DEP_3) | instskip(SKIP_4) | instid1(VALU_DEP_2)
	v_cmp_lt_u32_e32 vcc_lo, 21, v7
	s_or_b32 s3, vcc_lo, s3
	s_waitcnt vmcnt(0) lgkmcnt(0)
	v_mul_f64 v[10:11], v[21:22], v[17:18]
	v_mul_f64 v[17:18], v[19:20], v[17:18]
	v_fma_f64 v[10:11], v[19:20], v[15:16], -v[10:11]
	s_delay_alu instid0(VALU_DEP_2) | instskip(NEXT) | instid1(VALU_DEP_2)
	v_fma_f64 v[15:16], v[21:22], v[15:16], v[17:18]
	v_add_f64 v[3:4], v[3:4], v[10:11]
	s_delay_alu instid0(VALU_DEP_2)
	v_add_f64 v[1:2], v[1:2], v[15:16]
	s_and_not1_b32 exec_lo, exec_lo, s3
	s_cbranch_execnz .LBB118_105
; %bb.106:
	s_or_b32 exec_lo, exec_lo, s3
	v_mov_b32_e32 v7, 0
	ds_load_b128 v[7:10], v7 offset:368
	s_waitcnt lgkmcnt(0)
	v_mul_f64 v[11:12], v[1:2], v[9:10]
	v_mul_f64 v[15:16], v[3:4], v[9:10]
	s_delay_alu instid0(VALU_DEP_2) | instskip(NEXT) | instid1(VALU_DEP_2)
	v_fma_f64 v[9:10], v[3:4], v[7:8], -v[11:12]
	v_fma_f64 v[11:12], v[1:2], v[7:8], v[15:16]
	scratch_store_b128 off, v[9:12], off offset:368
.LBB118_107:
	s_or_b32 exec_lo, exec_lo, s2
	s_waitcnt_vscnt null, 0x0
	s_barrier
	buffer_gl0_inv
	scratch_load_b128 v[1:4], v187, off
	s_mov_b32 s2, exec_lo
	s_waitcnt vmcnt(0)
	ds_store_b128 v5, v[1:4]
	s_waitcnt lgkmcnt(0)
	s_barrier
	buffer_gl0_inv
	v_cmpx_gt_u32_e32 24, v156
	s_cbranch_execz .LBB118_111
; %bb.108:
	v_dual_mov_b32 v1, 0 :: v_dual_add_nc_u32 v8, 0x370, v13
	v_dual_mov_b32 v2, 0 :: v_dual_add_nc_u32 v7, -1, v156
	v_or_b32_e32 v9, 8, v14
	s_mov_b32 s3, 0
	s_delay_alu instid0(VALU_DEP_2)
	v_dual_mov_b32 v4, v2 :: v_dual_mov_b32 v3, v1
	.p2align	6
.LBB118_109:                            ; =>This Inner Loop Header: Depth=1
	scratch_load_b128 v[15:18], v9, off offset:-8
	ds_load_b128 v[19:22], v8
	v_add_nc_u32_e32 v7, 1, v7
	v_add_nc_u32_e32 v8, 16, v8
	;; [unrolled: 1-line block ×3, first 2 shown]
	s_delay_alu instid0(VALU_DEP_3) | instskip(SKIP_4) | instid1(VALU_DEP_2)
	v_cmp_lt_u32_e32 vcc_lo, 22, v7
	s_or_b32 s3, vcc_lo, s3
	s_waitcnt vmcnt(0) lgkmcnt(0)
	v_mul_f64 v[10:11], v[21:22], v[17:18]
	v_mul_f64 v[17:18], v[19:20], v[17:18]
	v_fma_f64 v[10:11], v[19:20], v[15:16], -v[10:11]
	s_delay_alu instid0(VALU_DEP_2) | instskip(NEXT) | instid1(VALU_DEP_2)
	v_fma_f64 v[15:16], v[21:22], v[15:16], v[17:18]
	v_add_f64 v[3:4], v[3:4], v[10:11]
	s_delay_alu instid0(VALU_DEP_2)
	v_add_f64 v[1:2], v[1:2], v[15:16]
	s_and_not1_b32 exec_lo, exec_lo, s3
	s_cbranch_execnz .LBB118_109
; %bb.110:
	s_or_b32 exec_lo, exec_lo, s3
	v_mov_b32_e32 v7, 0
	ds_load_b128 v[7:10], v7 offset:384
	s_waitcnt lgkmcnt(0)
	v_mul_f64 v[11:12], v[1:2], v[9:10]
	v_mul_f64 v[15:16], v[3:4], v[9:10]
	s_delay_alu instid0(VALU_DEP_2) | instskip(NEXT) | instid1(VALU_DEP_2)
	v_fma_f64 v[9:10], v[3:4], v[7:8], -v[11:12]
	v_fma_f64 v[11:12], v[1:2], v[7:8], v[15:16]
	scratch_store_b128 off, v[9:12], off offset:384
.LBB118_111:
	s_or_b32 exec_lo, exec_lo, s2
	s_waitcnt_vscnt null, 0x0
	s_barrier
	buffer_gl0_inv
	scratch_load_b128 v[1:4], v186, off
	s_mov_b32 s2, exec_lo
	s_waitcnt vmcnt(0)
	ds_store_b128 v5, v[1:4]
	s_waitcnt lgkmcnt(0)
	s_barrier
	buffer_gl0_inv
	v_cmpx_gt_u32_e32 25, v156
	s_cbranch_execz .LBB118_115
; %bb.112:
	v_dual_mov_b32 v1, 0 :: v_dual_add_nc_u32 v8, 0x370, v13
	v_dual_mov_b32 v2, 0 :: v_dual_add_nc_u32 v7, -1, v156
	v_or_b32_e32 v9, 8, v14
	s_mov_b32 s3, 0
	s_delay_alu instid0(VALU_DEP_2)
	v_dual_mov_b32 v4, v2 :: v_dual_mov_b32 v3, v1
	.p2align	6
.LBB118_113:                            ; =>This Inner Loop Header: Depth=1
	scratch_load_b128 v[15:18], v9, off offset:-8
	ds_load_b128 v[19:22], v8
	v_add_nc_u32_e32 v7, 1, v7
	v_add_nc_u32_e32 v8, 16, v8
	;; [unrolled: 1-line block ×3, first 2 shown]
	s_delay_alu instid0(VALU_DEP_3) | instskip(SKIP_4) | instid1(VALU_DEP_2)
	v_cmp_lt_u32_e32 vcc_lo, 23, v7
	s_or_b32 s3, vcc_lo, s3
	s_waitcnt vmcnt(0) lgkmcnt(0)
	v_mul_f64 v[10:11], v[21:22], v[17:18]
	v_mul_f64 v[17:18], v[19:20], v[17:18]
	v_fma_f64 v[10:11], v[19:20], v[15:16], -v[10:11]
	s_delay_alu instid0(VALU_DEP_2) | instskip(NEXT) | instid1(VALU_DEP_2)
	v_fma_f64 v[15:16], v[21:22], v[15:16], v[17:18]
	v_add_f64 v[3:4], v[3:4], v[10:11]
	s_delay_alu instid0(VALU_DEP_2)
	v_add_f64 v[1:2], v[1:2], v[15:16]
	s_and_not1_b32 exec_lo, exec_lo, s3
	s_cbranch_execnz .LBB118_113
; %bb.114:
	s_or_b32 exec_lo, exec_lo, s3
	v_mov_b32_e32 v7, 0
	ds_load_b128 v[7:10], v7 offset:400
	s_waitcnt lgkmcnt(0)
	v_mul_f64 v[11:12], v[1:2], v[9:10]
	v_mul_f64 v[15:16], v[3:4], v[9:10]
	s_delay_alu instid0(VALU_DEP_2) | instskip(NEXT) | instid1(VALU_DEP_2)
	v_fma_f64 v[9:10], v[3:4], v[7:8], -v[11:12]
	v_fma_f64 v[11:12], v[1:2], v[7:8], v[15:16]
	scratch_store_b128 off, v[9:12], off offset:400
.LBB118_115:
	s_or_b32 exec_lo, exec_lo, s2
	s_waitcnt_vscnt null, 0x0
	s_barrier
	buffer_gl0_inv
	scratch_load_b128 v[1:4], v185, off
	s_mov_b32 s2, exec_lo
	s_waitcnt vmcnt(0)
	ds_store_b128 v5, v[1:4]
	s_waitcnt lgkmcnt(0)
	s_barrier
	buffer_gl0_inv
	v_cmpx_gt_u32_e32 26, v156
	s_cbranch_execz .LBB118_119
; %bb.116:
	v_dual_mov_b32 v1, 0 :: v_dual_add_nc_u32 v8, 0x370, v13
	v_dual_mov_b32 v2, 0 :: v_dual_add_nc_u32 v7, -1, v156
	v_or_b32_e32 v9, 8, v14
	s_mov_b32 s3, 0
	s_delay_alu instid0(VALU_DEP_2)
	v_dual_mov_b32 v4, v2 :: v_dual_mov_b32 v3, v1
	.p2align	6
.LBB118_117:                            ; =>This Inner Loop Header: Depth=1
	scratch_load_b128 v[15:18], v9, off offset:-8
	ds_load_b128 v[19:22], v8
	v_add_nc_u32_e32 v7, 1, v7
	v_add_nc_u32_e32 v8, 16, v8
	;; [unrolled: 1-line block ×3, first 2 shown]
	s_delay_alu instid0(VALU_DEP_3) | instskip(SKIP_4) | instid1(VALU_DEP_2)
	v_cmp_lt_u32_e32 vcc_lo, 24, v7
	s_or_b32 s3, vcc_lo, s3
	s_waitcnt vmcnt(0) lgkmcnt(0)
	v_mul_f64 v[10:11], v[21:22], v[17:18]
	v_mul_f64 v[17:18], v[19:20], v[17:18]
	v_fma_f64 v[10:11], v[19:20], v[15:16], -v[10:11]
	s_delay_alu instid0(VALU_DEP_2) | instskip(NEXT) | instid1(VALU_DEP_2)
	v_fma_f64 v[15:16], v[21:22], v[15:16], v[17:18]
	v_add_f64 v[3:4], v[3:4], v[10:11]
	s_delay_alu instid0(VALU_DEP_2)
	v_add_f64 v[1:2], v[1:2], v[15:16]
	s_and_not1_b32 exec_lo, exec_lo, s3
	s_cbranch_execnz .LBB118_117
; %bb.118:
	s_or_b32 exec_lo, exec_lo, s3
	v_mov_b32_e32 v7, 0
	ds_load_b128 v[7:10], v7 offset:416
	s_waitcnt lgkmcnt(0)
	v_mul_f64 v[11:12], v[1:2], v[9:10]
	v_mul_f64 v[15:16], v[3:4], v[9:10]
	s_delay_alu instid0(VALU_DEP_2) | instskip(NEXT) | instid1(VALU_DEP_2)
	v_fma_f64 v[9:10], v[3:4], v[7:8], -v[11:12]
	v_fma_f64 v[11:12], v[1:2], v[7:8], v[15:16]
	scratch_store_b128 off, v[9:12], off offset:416
.LBB118_119:
	s_or_b32 exec_lo, exec_lo, s2
	s_waitcnt_vscnt null, 0x0
	s_barrier
	buffer_gl0_inv
	scratch_load_b128 v[1:4], v228, off
	s_mov_b32 s2, exec_lo
	s_waitcnt vmcnt(0)
	ds_store_b128 v5, v[1:4]
	s_waitcnt lgkmcnt(0)
	s_barrier
	buffer_gl0_inv
	v_cmpx_gt_u32_e32 27, v156
	s_cbranch_execz .LBB118_123
; %bb.120:
	v_dual_mov_b32 v1, 0 :: v_dual_add_nc_u32 v8, 0x370, v13
	v_dual_mov_b32 v2, 0 :: v_dual_add_nc_u32 v7, -1, v156
	v_or_b32_e32 v9, 8, v14
	s_mov_b32 s3, 0
	s_delay_alu instid0(VALU_DEP_2)
	v_dual_mov_b32 v4, v2 :: v_dual_mov_b32 v3, v1
	.p2align	6
.LBB118_121:                            ; =>This Inner Loop Header: Depth=1
	scratch_load_b128 v[15:18], v9, off offset:-8
	ds_load_b128 v[19:22], v8
	v_add_nc_u32_e32 v7, 1, v7
	v_add_nc_u32_e32 v8, 16, v8
	;; [unrolled: 1-line block ×3, first 2 shown]
	s_delay_alu instid0(VALU_DEP_3) | instskip(SKIP_4) | instid1(VALU_DEP_2)
	v_cmp_lt_u32_e32 vcc_lo, 25, v7
	s_or_b32 s3, vcc_lo, s3
	s_waitcnt vmcnt(0) lgkmcnt(0)
	v_mul_f64 v[10:11], v[21:22], v[17:18]
	v_mul_f64 v[17:18], v[19:20], v[17:18]
	v_fma_f64 v[10:11], v[19:20], v[15:16], -v[10:11]
	s_delay_alu instid0(VALU_DEP_2) | instskip(NEXT) | instid1(VALU_DEP_2)
	v_fma_f64 v[15:16], v[21:22], v[15:16], v[17:18]
	v_add_f64 v[3:4], v[3:4], v[10:11]
	s_delay_alu instid0(VALU_DEP_2)
	v_add_f64 v[1:2], v[1:2], v[15:16]
	s_and_not1_b32 exec_lo, exec_lo, s3
	s_cbranch_execnz .LBB118_121
; %bb.122:
	s_or_b32 exec_lo, exec_lo, s3
	v_mov_b32_e32 v7, 0
	ds_load_b128 v[7:10], v7 offset:432
	s_waitcnt lgkmcnt(0)
	v_mul_f64 v[11:12], v[1:2], v[9:10]
	v_mul_f64 v[15:16], v[3:4], v[9:10]
	s_delay_alu instid0(VALU_DEP_2) | instskip(NEXT) | instid1(VALU_DEP_2)
	v_fma_f64 v[9:10], v[3:4], v[7:8], -v[11:12]
	v_fma_f64 v[11:12], v[1:2], v[7:8], v[15:16]
	scratch_store_b128 off, v[9:12], off offset:432
.LBB118_123:
	s_or_b32 exec_lo, exec_lo, s2
	s_waitcnt_vscnt null, 0x0
	s_barrier
	buffer_gl0_inv
	scratch_load_b128 v[1:4], v227, off
	s_mov_b32 s2, exec_lo
	s_waitcnt vmcnt(0)
	ds_store_b128 v5, v[1:4]
	s_waitcnt lgkmcnt(0)
	s_barrier
	buffer_gl0_inv
	v_cmpx_gt_u32_e32 28, v156
	s_cbranch_execz .LBB118_127
; %bb.124:
	v_dual_mov_b32 v1, 0 :: v_dual_add_nc_u32 v8, 0x370, v13
	v_dual_mov_b32 v2, 0 :: v_dual_add_nc_u32 v7, -1, v156
	v_or_b32_e32 v9, 8, v14
	s_mov_b32 s3, 0
	s_delay_alu instid0(VALU_DEP_2)
	v_dual_mov_b32 v4, v2 :: v_dual_mov_b32 v3, v1
	.p2align	6
.LBB118_125:                            ; =>This Inner Loop Header: Depth=1
	scratch_load_b128 v[15:18], v9, off offset:-8
	ds_load_b128 v[19:22], v8
	v_add_nc_u32_e32 v7, 1, v7
	v_add_nc_u32_e32 v8, 16, v8
	v_add_nc_u32_e32 v9, 16, v9
	s_delay_alu instid0(VALU_DEP_3) | instskip(SKIP_4) | instid1(VALU_DEP_2)
	v_cmp_lt_u32_e32 vcc_lo, 26, v7
	s_or_b32 s3, vcc_lo, s3
	s_waitcnt vmcnt(0) lgkmcnt(0)
	v_mul_f64 v[10:11], v[21:22], v[17:18]
	v_mul_f64 v[17:18], v[19:20], v[17:18]
	v_fma_f64 v[10:11], v[19:20], v[15:16], -v[10:11]
	s_delay_alu instid0(VALU_DEP_2) | instskip(NEXT) | instid1(VALU_DEP_2)
	v_fma_f64 v[15:16], v[21:22], v[15:16], v[17:18]
	v_add_f64 v[3:4], v[3:4], v[10:11]
	s_delay_alu instid0(VALU_DEP_2)
	v_add_f64 v[1:2], v[1:2], v[15:16]
	s_and_not1_b32 exec_lo, exec_lo, s3
	s_cbranch_execnz .LBB118_125
; %bb.126:
	s_or_b32 exec_lo, exec_lo, s3
	v_mov_b32_e32 v7, 0
	ds_load_b128 v[7:10], v7 offset:448
	s_waitcnt lgkmcnt(0)
	v_mul_f64 v[11:12], v[1:2], v[9:10]
	v_mul_f64 v[15:16], v[3:4], v[9:10]
	s_delay_alu instid0(VALU_DEP_2) | instskip(NEXT) | instid1(VALU_DEP_2)
	v_fma_f64 v[9:10], v[3:4], v[7:8], -v[11:12]
	v_fma_f64 v[11:12], v[1:2], v[7:8], v[15:16]
	scratch_store_b128 off, v[9:12], off offset:448
.LBB118_127:
	s_or_b32 exec_lo, exec_lo, s2
	s_waitcnt_vscnt null, 0x0
	s_barrier
	buffer_gl0_inv
	scratch_load_b128 v[1:4], v226, off
	s_mov_b32 s2, exec_lo
	s_waitcnt vmcnt(0)
	ds_store_b128 v5, v[1:4]
	s_waitcnt lgkmcnt(0)
	s_barrier
	buffer_gl0_inv
	v_cmpx_gt_u32_e32 29, v156
	s_cbranch_execz .LBB118_131
; %bb.128:
	v_dual_mov_b32 v1, 0 :: v_dual_add_nc_u32 v8, 0x370, v13
	v_dual_mov_b32 v2, 0 :: v_dual_add_nc_u32 v7, -1, v156
	v_or_b32_e32 v9, 8, v14
	s_mov_b32 s3, 0
	s_delay_alu instid0(VALU_DEP_2)
	v_dual_mov_b32 v4, v2 :: v_dual_mov_b32 v3, v1
	.p2align	6
.LBB118_129:                            ; =>This Inner Loop Header: Depth=1
	scratch_load_b128 v[15:18], v9, off offset:-8
	ds_load_b128 v[19:22], v8
	v_add_nc_u32_e32 v7, 1, v7
	v_add_nc_u32_e32 v8, 16, v8
	;; [unrolled: 1-line block ×3, first 2 shown]
	s_delay_alu instid0(VALU_DEP_3) | instskip(SKIP_4) | instid1(VALU_DEP_2)
	v_cmp_lt_u32_e32 vcc_lo, 27, v7
	s_or_b32 s3, vcc_lo, s3
	s_waitcnt vmcnt(0) lgkmcnt(0)
	v_mul_f64 v[10:11], v[21:22], v[17:18]
	v_mul_f64 v[17:18], v[19:20], v[17:18]
	v_fma_f64 v[10:11], v[19:20], v[15:16], -v[10:11]
	s_delay_alu instid0(VALU_DEP_2) | instskip(NEXT) | instid1(VALU_DEP_2)
	v_fma_f64 v[15:16], v[21:22], v[15:16], v[17:18]
	v_add_f64 v[3:4], v[3:4], v[10:11]
	s_delay_alu instid0(VALU_DEP_2)
	v_add_f64 v[1:2], v[1:2], v[15:16]
	s_and_not1_b32 exec_lo, exec_lo, s3
	s_cbranch_execnz .LBB118_129
; %bb.130:
	s_or_b32 exec_lo, exec_lo, s3
	v_mov_b32_e32 v7, 0
	ds_load_b128 v[7:10], v7 offset:464
	s_waitcnt lgkmcnt(0)
	v_mul_f64 v[11:12], v[1:2], v[9:10]
	v_mul_f64 v[15:16], v[3:4], v[9:10]
	s_delay_alu instid0(VALU_DEP_2) | instskip(NEXT) | instid1(VALU_DEP_2)
	v_fma_f64 v[9:10], v[3:4], v[7:8], -v[11:12]
	v_fma_f64 v[11:12], v[1:2], v[7:8], v[15:16]
	scratch_store_b128 off, v[9:12], off offset:464
.LBB118_131:
	s_or_b32 exec_lo, exec_lo, s2
	s_waitcnt_vscnt null, 0x0
	s_barrier
	buffer_gl0_inv
	scratch_load_b128 v[1:4], v225, off
	s_mov_b32 s2, exec_lo
	s_waitcnt vmcnt(0)
	ds_store_b128 v5, v[1:4]
	s_waitcnt lgkmcnt(0)
	s_barrier
	buffer_gl0_inv
	v_cmpx_gt_u32_e32 30, v156
	s_cbranch_execz .LBB118_135
; %bb.132:
	v_dual_mov_b32 v1, 0 :: v_dual_add_nc_u32 v8, 0x370, v13
	v_dual_mov_b32 v2, 0 :: v_dual_add_nc_u32 v7, -1, v156
	v_or_b32_e32 v9, 8, v14
	s_mov_b32 s3, 0
	s_delay_alu instid0(VALU_DEP_2)
	v_dual_mov_b32 v4, v2 :: v_dual_mov_b32 v3, v1
	.p2align	6
.LBB118_133:                            ; =>This Inner Loop Header: Depth=1
	scratch_load_b128 v[15:18], v9, off offset:-8
	ds_load_b128 v[19:22], v8
	v_add_nc_u32_e32 v7, 1, v7
	v_add_nc_u32_e32 v8, 16, v8
	;; [unrolled: 1-line block ×3, first 2 shown]
	s_delay_alu instid0(VALU_DEP_3) | instskip(SKIP_4) | instid1(VALU_DEP_2)
	v_cmp_lt_u32_e32 vcc_lo, 28, v7
	s_or_b32 s3, vcc_lo, s3
	s_waitcnt vmcnt(0) lgkmcnt(0)
	v_mul_f64 v[10:11], v[21:22], v[17:18]
	v_mul_f64 v[17:18], v[19:20], v[17:18]
	v_fma_f64 v[10:11], v[19:20], v[15:16], -v[10:11]
	s_delay_alu instid0(VALU_DEP_2) | instskip(NEXT) | instid1(VALU_DEP_2)
	v_fma_f64 v[15:16], v[21:22], v[15:16], v[17:18]
	v_add_f64 v[3:4], v[3:4], v[10:11]
	s_delay_alu instid0(VALU_DEP_2)
	v_add_f64 v[1:2], v[1:2], v[15:16]
	s_and_not1_b32 exec_lo, exec_lo, s3
	s_cbranch_execnz .LBB118_133
; %bb.134:
	s_or_b32 exec_lo, exec_lo, s3
	v_mov_b32_e32 v7, 0
	ds_load_b128 v[7:10], v7 offset:480
	s_waitcnt lgkmcnt(0)
	v_mul_f64 v[11:12], v[1:2], v[9:10]
	v_mul_f64 v[15:16], v[3:4], v[9:10]
	s_delay_alu instid0(VALU_DEP_2) | instskip(NEXT) | instid1(VALU_DEP_2)
	v_fma_f64 v[9:10], v[3:4], v[7:8], -v[11:12]
	v_fma_f64 v[11:12], v[1:2], v[7:8], v[15:16]
	scratch_store_b128 off, v[9:12], off offset:480
.LBB118_135:
	s_or_b32 exec_lo, exec_lo, s2
	s_waitcnt_vscnt null, 0x0
	s_barrier
	buffer_gl0_inv
	scratch_load_b128 v[1:4], v224, off
	s_mov_b32 s2, exec_lo
	s_waitcnt vmcnt(0)
	ds_store_b128 v5, v[1:4]
	s_waitcnt lgkmcnt(0)
	s_barrier
	buffer_gl0_inv
	v_cmpx_gt_u32_e32 31, v156
	s_cbranch_execz .LBB118_139
; %bb.136:
	v_dual_mov_b32 v1, 0 :: v_dual_add_nc_u32 v8, 0x370, v13
	v_dual_mov_b32 v2, 0 :: v_dual_add_nc_u32 v7, -1, v156
	v_or_b32_e32 v9, 8, v14
	s_mov_b32 s3, 0
	s_delay_alu instid0(VALU_DEP_2)
	v_dual_mov_b32 v4, v2 :: v_dual_mov_b32 v3, v1
	.p2align	6
.LBB118_137:                            ; =>This Inner Loop Header: Depth=1
	scratch_load_b128 v[15:18], v9, off offset:-8
	ds_load_b128 v[19:22], v8
	v_add_nc_u32_e32 v7, 1, v7
	v_add_nc_u32_e32 v8, 16, v8
	;; [unrolled: 1-line block ×3, first 2 shown]
	s_delay_alu instid0(VALU_DEP_3) | instskip(SKIP_4) | instid1(VALU_DEP_2)
	v_cmp_lt_u32_e32 vcc_lo, 29, v7
	s_or_b32 s3, vcc_lo, s3
	s_waitcnt vmcnt(0) lgkmcnt(0)
	v_mul_f64 v[10:11], v[21:22], v[17:18]
	v_mul_f64 v[17:18], v[19:20], v[17:18]
	v_fma_f64 v[10:11], v[19:20], v[15:16], -v[10:11]
	s_delay_alu instid0(VALU_DEP_2) | instskip(NEXT) | instid1(VALU_DEP_2)
	v_fma_f64 v[15:16], v[21:22], v[15:16], v[17:18]
	v_add_f64 v[3:4], v[3:4], v[10:11]
	s_delay_alu instid0(VALU_DEP_2)
	v_add_f64 v[1:2], v[1:2], v[15:16]
	s_and_not1_b32 exec_lo, exec_lo, s3
	s_cbranch_execnz .LBB118_137
; %bb.138:
	s_or_b32 exec_lo, exec_lo, s3
	v_mov_b32_e32 v7, 0
	ds_load_b128 v[7:10], v7 offset:496
	s_waitcnt lgkmcnt(0)
	v_mul_f64 v[11:12], v[1:2], v[9:10]
	v_mul_f64 v[15:16], v[3:4], v[9:10]
	s_delay_alu instid0(VALU_DEP_2) | instskip(NEXT) | instid1(VALU_DEP_2)
	v_fma_f64 v[9:10], v[3:4], v[7:8], -v[11:12]
	v_fma_f64 v[11:12], v[1:2], v[7:8], v[15:16]
	scratch_store_b128 off, v[9:12], off offset:496
.LBB118_139:
	s_or_b32 exec_lo, exec_lo, s2
	s_waitcnt_vscnt null, 0x0
	s_barrier
	buffer_gl0_inv
	scratch_load_b128 v[1:4], v223, off
	s_mov_b32 s2, exec_lo
	s_waitcnt vmcnt(0)
	ds_store_b128 v5, v[1:4]
	s_waitcnt lgkmcnt(0)
	s_barrier
	buffer_gl0_inv
	v_cmpx_gt_u32_e32 32, v156
	s_cbranch_execz .LBB118_143
; %bb.140:
	v_dual_mov_b32 v1, 0 :: v_dual_add_nc_u32 v8, 0x370, v13
	v_dual_mov_b32 v2, 0 :: v_dual_add_nc_u32 v7, -1, v156
	v_or_b32_e32 v9, 8, v14
	s_mov_b32 s3, 0
	s_delay_alu instid0(VALU_DEP_2)
	v_dual_mov_b32 v4, v2 :: v_dual_mov_b32 v3, v1
	.p2align	6
.LBB118_141:                            ; =>This Inner Loop Header: Depth=1
	scratch_load_b128 v[15:18], v9, off offset:-8
	ds_load_b128 v[19:22], v8
	v_add_nc_u32_e32 v7, 1, v7
	v_add_nc_u32_e32 v8, 16, v8
	;; [unrolled: 1-line block ×3, first 2 shown]
	s_delay_alu instid0(VALU_DEP_3) | instskip(SKIP_4) | instid1(VALU_DEP_2)
	v_cmp_lt_u32_e32 vcc_lo, 30, v7
	s_or_b32 s3, vcc_lo, s3
	s_waitcnt vmcnt(0) lgkmcnt(0)
	v_mul_f64 v[10:11], v[21:22], v[17:18]
	v_mul_f64 v[17:18], v[19:20], v[17:18]
	v_fma_f64 v[10:11], v[19:20], v[15:16], -v[10:11]
	s_delay_alu instid0(VALU_DEP_2) | instskip(NEXT) | instid1(VALU_DEP_2)
	v_fma_f64 v[15:16], v[21:22], v[15:16], v[17:18]
	v_add_f64 v[3:4], v[3:4], v[10:11]
	s_delay_alu instid0(VALU_DEP_2)
	v_add_f64 v[1:2], v[1:2], v[15:16]
	s_and_not1_b32 exec_lo, exec_lo, s3
	s_cbranch_execnz .LBB118_141
; %bb.142:
	s_or_b32 exec_lo, exec_lo, s3
	v_mov_b32_e32 v7, 0
	ds_load_b128 v[7:10], v7 offset:512
	s_waitcnt lgkmcnt(0)
	v_mul_f64 v[11:12], v[1:2], v[9:10]
	v_mul_f64 v[15:16], v[3:4], v[9:10]
	s_delay_alu instid0(VALU_DEP_2) | instskip(NEXT) | instid1(VALU_DEP_2)
	v_fma_f64 v[9:10], v[3:4], v[7:8], -v[11:12]
	v_fma_f64 v[11:12], v[1:2], v[7:8], v[15:16]
	scratch_store_b128 off, v[9:12], off offset:512
.LBB118_143:
	s_or_b32 exec_lo, exec_lo, s2
	s_waitcnt_vscnt null, 0x0
	s_barrier
	buffer_gl0_inv
	scratch_load_b128 v[1:4], v222, off
	s_mov_b32 s2, exec_lo
	s_waitcnt vmcnt(0)
	ds_store_b128 v5, v[1:4]
	s_waitcnt lgkmcnt(0)
	s_barrier
	buffer_gl0_inv
	v_cmpx_gt_u32_e32 33, v156
	s_cbranch_execz .LBB118_147
; %bb.144:
	v_dual_mov_b32 v1, 0 :: v_dual_add_nc_u32 v8, 0x370, v13
	v_dual_mov_b32 v2, 0 :: v_dual_add_nc_u32 v7, -1, v156
	v_or_b32_e32 v9, 8, v14
	s_mov_b32 s3, 0
	s_delay_alu instid0(VALU_DEP_2)
	v_dual_mov_b32 v4, v2 :: v_dual_mov_b32 v3, v1
	.p2align	6
.LBB118_145:                            ; =>This Inner Loop Header: Depth=1
	scratch_load_b128 v[15:18], v9, off offset:-8
	ds_load_b128 v[19:22], v8
	v_add_nc_u32_e32 v7, 1, v7
	v_add_nc_u32_e32 v8, 16, v8
	;; [unrolled: 1-line block ×3, first 2 shown]
	s_delay_alu instid0(VALU_DEP_3) | instskip(SKIP_4) | instid1(VALU_DEP_2)
	v_cmp_lt_u32_e32 vcc_lo, 31, v7
	s_or_b32 s3, vcc_lo, s3
	s_waitcnt vmcnt(0) lgkmcnt(0)
	v_mul_f64 v[10:11], v[21:22], v[17:18]
	v_mul_f64 v[17:18], v[19:20], v[17:18]
	v_fma_f64 v[10:11], v[19:20], v[15:16], -v[10:11]
	s_delay_alu instid0(VALU_DEP_2) | instskip(NEXT) | instid1(VALU_DEP_2)
	v_fma_f64 v[15:16], v[21:22], v[15:16], v[17:18]
	v_add_f64 v[3:4], v[3:4], v[10:11]
	s_delay_alu instid0(VALU_DEP_2)
	v_add_f64 v[1:2], v[1:2], v[15:16]
	s_and_not1_b32 exec_lo, exec_lo, s3
	s_cbranch_execnz .LBB118_145
; %bb.146:
	s_or_b32 exec_lo, exec_lo, s3
	v_mov_b32_e32 v7, 0
	ds_load_b128 v[7:10], v7 offset:528
	s_waitcnt lgkmcnt(0)
	v_mul_f64 v[11:12], v[1:2], v[9:10]
	v_mul_f64 v[15:16], v[3:4], v[9:10]
	s_delay_alu instid0(VALU_DEP_2) | instskip(NEXT) | instid1(VALU_DEP_2)
	v_fma_f64 v[9:10], v[3:4], v[7:8], -v[11:12]
	v_fma_f64 v[11:12], v[1:2], v[7:8], v[15:16]
	scratch_store_b128 off, v[9:12], off offset:528
.LBB118_147:
	s_or_b32 exec_lo, exec_lo, s2
	s_waitcnt_vscnt null, 0x0
	s_barrier
	buffer_gl0_inv
	scratch_load_b128 v[1:4], v221, off
	s_mov_b32 s2, exec_lo
	s_waitcnt vmcnt(0)
	ds_store_b128 v5, v[1:4]
	s_waitcnt lgkmcnt(0)
	s_barrier
	buffer_gl0_inv
	v_cmpx_gt_u32_e32 34, v156
	s_cbranch_execz .LBB118_151
; %bb.148:
	v_dual_mov_b32 v1, 0 :: v_dual_add_nc_u32 v8, 0x370, v13
	v_dual_mov_b32 v2, 0 :: v_dual_add_nc_u32 v7, -1, v156
	v_or_b32_e32 v9, 8, v14
	s_mov_b32 s3, 0
	s_delay_alu instid0(VALU_DEP_2)
	v_dual_mov_b32 v4, v2 :: v_dual_mov_b32 v3, v1
	.p2align	6
.LBB118_149:                            ; =>This Inner Loop Header: Depth=1
	scratch_load_b128 v[15:18], v9, off offset:-8
	ds_load_b128 v[19:22], v8
	v_add_nc_u32_e32 v7, 1, v7
	v_add_nc_u32_e32 v8, 16, v8
	;; [unrolled: 1-line block ×3, first 2 shown]
	s_delay_alu instid0(VALU_DEP_3) | instskip(SKIP_4) | instid1(VALU_DEP_2)
	v_cmp_lt_u32_e32 vcc_lo, 32, v7
	s_or_b32 s3, vcc_lo, s3
	s_waitcnt vmcnt(0) lgkmcnt(0)
	v_mul_f64 v[10:11], v[21:22], v[17:18]
	v_mul_f64 v[17:18], v[19:20], v[17:18]
	v_fma_f64 v[10:11], v[19:20], v[15:16], -v[10:11]
	s_delay_alu instid0(VALU_DEP_2) | instskip(NEXT) | instid1(VALU_DEP_2)
	v_fma_f64 v[15:16], v[21:22], v[15:16], v[17:18]
	v_add_f64 v[3:4], v[3:4], v[10:11]
	s_delay_alu instid0(VALU_DEP_2)
	v_add_f64 v[1:2], v[1:2], v[15:16]
	s_and_not1_b32 exec_lo, exec_lo, s3
	s_cbranch_execnz .LBB118_149
; %bb.150:
	s_or_b32 exec_lo, exec_lo, s3
	v_mov_b32_e32 v7, 0
	ds_load_b128 v[7:10], v7 offset:544
	s_waitcnt lgkmcnt(0)
	v_mul_f64 v[11:12], v[1:2], v[9:10]
	v_mul_f64 v[15:16], v[3:4], v[9:10]
	s_delay_alu instid0(VALU_DEP_2) | instskip(NEXT) | instid1(VALU_DEP_2)
	v_fma_f64 v[9:10], v[3:4], v[7:8], -v[11:12]
	v_fma_f64 v[11:12], v[1:2], v[7:8], v[15:16]
	scratch_store_b128 off, v[9:12], off offset:544
.LBB118_151:
	s_or_b32 exec_lo, exec_lo, s2
	s_waitcnt_vscnt null, 0x0
	s_barrier
	buffer_gl0_inv
	scratch_load_b128 v[1:4], v220, off
	s_mov_b32 s2, exec_lo
	s_waitcnt vmcnt(0)
	ds_store_b128 v5, v[1:4]
	s_waitcnt lgkmcnt(0)
	s_barrier
	buffer_gl0_inv
	v_cmpx_gt_u32_e32 35, v156
	s_cbranch_execz .LBB118_155
; %bb.152:
	v_dual_mov_b32 v1, 0 :: v_dual_add_nc_u32 v8, 0x370, v13
	v_dual_mov_b32 v2, 0 :: v_dual_add_nc_u32 v7, -1, v156
	v_or_b32_e32 v9, 8, v14
	s_mov_b32 s3, 0
	s_delay_alu instid0(VALU_DEP_2)
	v_dual_mov_b32 v4, v2 :: v_dual_mov_b32 v3, v1
	.p2align	6
.LBB118_153:                            ; =>This Inner Loop Header: Depth=1
	scratch_load_b128 v[15:18], v9, off offset:-8
	ds_load_b128 v[19:22], v8
	v_add_nc_u32_e32 v7, 1, v7
	v_add_nc_u32_e32 v8, 16, v8
	;; [unrolled: 1-line block ×3, first 2 shown]
	s_delay_alu instid0(VALU_DEP_3) | instskip(SKIP_4) | instid1(VALU_DEP_2)
	v_cmp_lt_u32_e32 vcc_lo, 33, v7
	s_or_b32 s3, vcc_lo, s3
	s_waitcnt vmcnt(0) lgkmcnt(0)
	v_mul_f64 v[10:11], v[21:22], v[17:18]
	v_mul_f64 v[17:18], v[19:20], v[17:18]
	v_fma_f64 v[10:11], v[19:20], v[15:16], -v[10:11]
	s_delay_alu instid0(VALU_DEP_2) | instskip(NEXT) | instid1(VALU_DEP_2)
	v_fma_f64 v[15:16], v[21:22], v[15:16], v[17:18]
	v_add_f64 v[3:4], v[3:4], v[10:11]
	s_delay_alu instid0(VALU_DEP_2)
	v_add_f64 v[1:2], v[1:2], v[15:16]
	s_and_not1_b32 exec_lo, exec_lo, s3
	s_cbranch_execnz .LBB118_153
; %bb.154:
	s_or_b32 exec_lo, exec_lo, s3
	v_mov_b32_e32 v7, 0
	ds_load_b128 v[7:10], v7 offset:560
	s_waitcnt lgkmcnt(0)
	v_mul_f64 v[11:12], v[1:2], v[9:10]
	v_mul_f64 v[15:16], v[3:4], v[9:10]
	s_delay_alu instid0(VALU_DEP_2) | instskip(NEXT) | instid1(VALU_DEP_2)
	v_fma_f64 v[9:10], v[3:4], v[7:8], -v[11:12]
	v_fma_f64 v[11:12], v[1:2], v[7:8], v[15:16]
	scratch_store_b128 off, v[9:12], off offset:560
.LBB118_155:
	s_or_b32 exec_lo, exec_lo, s2
	s_waitcnt_vscnt null, 0x0
	s_barrier
	buffer_gl0_inv
	scratch_load_b128 v[1:4], v219, off
	s_mov_b32 s2, exec_lo
	s_waitcnt vmcnt(0)
	ds_store_b128 v5, v[1:4]
	s_waitcnt lgkmcnt(0)
	s_barrier
	buffer_gl0_inv
	v_cmpx_gt_u32_e32 36, v156
	s_cbranch_execz .LBB118_159
; %bb.156:
	v_dual_mov_b32 v1, 0 :: v_dual_add_nc_u32 v8, 0x370, v13
	v_dual_mov_b32 v2, 0 :: v_dual_add_nc_u32 v7, -1, v156
	v_or_b32_e32 v9, 8, v14
	s_mov_b32 s3, 0
	s_delay_alu instid0(VALU_DEP_2)
	v_dual_mov_b32 v4, v2 :: v_dual_mov_b32 v3, v1
	.p2align	6
.LBB118_157:                            ; =>This Inner Loop Header: Depth=1
	scratch_load_b128 v[15:18], v9, off offset:-8
	ds_load_b128 v[19:22], v8
	v_add_nc_u32_e32 v7, 1, v7
	v_add_nc_u32_e32 v8, 16, v8
	;; [unrolled: 1-line block ×3, first 2 shown]
	s_delay_alu instid0(VALU_DEP_3) | instskip(SKIP_4) | instid1(VALU_DEP_2)
	v_cmp_lt_u32_e32 vcc_lo, 34, v7
	s_or_b32 s3, vcc_lo, s3
	s_waitcnt vmcnt(0) lgkmcnt(0)
	v_mul_f64 v[10:11], v[21:22], v[17:18]
	v_mul_f64 v[17:18], v[19:20], v[17:18]
	v_fma_f64 v[10:11], v[19:20], v[15:16], -v[10:11]
	s_delay_alu instid0(VALU_DEP_2) | instskip(NEXT) | instid1(VALU_DEP_2)
	v_fma_f64 v[15:16], v[21:22], v[15:16], v[17:18]
	v_add_f64 v[3:4], v[3:4], v[10:11]
	s_delay_alu instid0(VALU_DEP_2)
	v_add_f64 v[1:2], v[1:2], v[15:16]
	s_and_not1_b32 exec_lo, exec_lo, s3
	s_cbranch_execnz .LBB118_157
; %bb.158:
	s_or_b32 exec_lo, exec_lo, s3
	v_mov_b32_e32 v7, 0
	ds_load_b128 v[7:10], v7 offset:576
	s_waitcnt lgkmcnt(0)
	v_mul_f64 v[11:12], v[1:2], v[9:10]
	v_mul_f64 v[15:16], v[3:4], v[9:10]
	s_delay_alu instid0(VALU_DEP_2) | instskip(NEXT) | instid1(VALU_DEP_2)
	v_fma_f64 v[9:10], v[3:4], v[7:8], -v[11:12]
	v_fma_f64 v[11:12], v[1:2], v[7:8], v[15:16]
	scratch_store_b128 off, v[9:12], off offset:576
.LBB118_159:
	s_or_b32 exec_lo, exec_lo, s2
	s_waitcnt_vscnt null, 0x0
	s_barrier
	buffer_gl0_inv
	scratch_load_b128 v[1:4], v218, off
	s_mov_b32 s2, exec_lo
	s_waitcnt vmcnt(0)
	ds_store_b128 v5, v[1:4]
	s_waitcnt lgkmcnt(0)
	s_barrier
	buffer_gl0_inv
	v_cmpx_gt_u32_e32 37, v156
	s_cbranch_execz .LBB118_163
; %bb.160:
	v_dual_mov_b32 v1, 0 :: v_dual_add_nc_u32 v8, 0x370, v13
	v_dual_mov_b32 v2, 0 :: v_dual_add_nc_u32 v7, -1, v156
	v_or_b32_e32 v9, 8, v14
	s_mov_b32 s3, 0
	s_delay_alu instid0(VALU_DEP_2)
	v_dual_mov_b32 v4, v2 :: v_dual_mov_b32 v3, v1
	.p2align	6
.LBB118_161:                            ; =>This Inner Loop Header: Depth=1
	scratch_load_b128 v[15:18], v9, off offset:-8
	ds_load_b128 v[19:22], v8
	v_add_nc_u32_e32 v7, 1, v7
	v_add_nc_u32_e32 v8, 16, v8
	;; [unrolled: 1-line block ×3, first 2 shown]
	s_delay_alu instid0(VALU_DEP_3) | instskip(SKIP_4) | instid1(VALU_DEP_2)
	v_cmp_lt_u32_e32 vcc_lo, 35, v7
	s_or_b32 s3, vcc_lo, s3
	s_waitcnt vmcnt(0) lgkmcnt(0)
	v_mul_f64 v[10:11], v[21:22], v[17:18]
	v_mul_f64 v[17:18], v[19:20], v[17:18]
	v_fma_f64 v[10:11], v[19:20], v[15:16], -v[10:11]
	s_delay_alu instid0(VALU_DEP_2) | instskip(NEXT) | instid1(VALU_DEP_2)
	v_fma_f64 v[15:16], v[21:22], v[15:16], v[17:18]
	v_add_f64 v[3:4], v[3:4], v[10:11]
	s_delay_alu instid0(VALU_DEP_2)
	v_add_f64 v[1:2], v[1:2], v[15:16]
	s_and_not1_b32 exec_lo, exec_lo, s3
	s_cbranch_execnz .LBB118_161
; %bb.162:
	s_or_b32 exec_lo, exec_lo, s3
	v_mov_b32_e32 v7, 0
	ds_load_b128 v[7:10], v7 offset:592
	s_waitcnt lgkmcnt(0)
	v_mul_f64 v[11:12], v[1:2], v[9:10]
	v_mul_f64 v[15:16], v[3:4], v[9:10]
	s_delay_alu instid0(VALU_DEP_2) | instskip(NEXT) | instid1(VALU_DEP_2)
	v_fma_f64 v[9:10], v[3:4], v[7:8], -v[11:12]
	v_fma_f64 v[11:12], v[1:2], v[7:8], v[15:16]
	scratch_store_b128 off, v[9:12], off offset:592
.LBB118_163:
	s_or_b32 exec_lo, exec_lo, s2
	s_waitcnt_vscnt null, 0x0
	s_barrier
	buffer_gl0_inv
	scratch_load_b128 v[1:4], v217, off
	s_mov_b32 s2, exec_lo
	s_waitcnt vmcnt(0)
	ds_store_b128 v5, v[1:4]
	s_waitcnt lgkmcnt(0)
	s_barrier
	buffer_gl0_inv
	v_cmpx_gt_u32_e32 38, v156
	s_cbranch_execz .LBB118_167
; %bb.164:
	v_dual_mov_b32 v1, 0 :: v_dual_add_nc_u32 v8, 0x370, v13
	v_dual_mov_b32 v2, 0 :: v_dual_add_nc_u32 v7, -1, v156
	v_or_b32_e32 v9, 8, v14
	s_mov_b32 s3, 0
	s_delay_alu instid0(VALU_DEP_2)
	v_dual_mov_b32 v4, v2 :: v_dual_mov_b32 v3, v1
	.p2align	6
.LBB118_165:                            ; =>This Inner Loop Header: Depth=1
	scratch_load_b128 v[15:18], v9, off offset:-8
	ds_load_b128 v[19:22], v8
	v_add_nc_u32_e32 v7, 1, v7
	v_add_nc_u32_e32 v8, 16, v8
	;; [unrolled: 1-line block ×3, first 2 shown]
	s_delay_alu instid0(VALU_DEP_3) | instskip(SKIP_4) | instid1(VALU_DEP_2)
	v_cmp_lt_u32_e32 vcc_lo, 36, v7
	s_or_b32 s3, vcc_lo, s3
	s_waitcnt vmcnt(0) lgkmcnt(0)
	v_mul_f64 v[10:11], v[21:22], v[17:18]
	v_mul_f64 v[17:18], v[19:20], v[17:18]
	v_fma_f64 v[10:11], v[19:20], v[15:16], -v[10:11]
	s_delay_alu instid0(VALU_DEP_2) | instskip(NEXT) | instid1(VALU_DEP_2)
	v_fma_f64 v[15:16], v[21:22], v[15:16], v[17:18]
	v_add_f64 v[3:4], v[3:4], v[10:11]
	s_delay_alu instid0(VALU_DEP_2)
	v_add_f64 v[1:2], v[1:2], v[15:16]
	s_and_not1_b32 exec_lo, exec_lo, s3
	s_cbranch_execnz .LBB118_165
; %bb.166:
	s_or_b32 exec_lo, exec_lo, s3
	v_mov_b32_e32 v7, 0
	ds_load_b128 v[7:10], v7 offset:608
	s_waitcnt lgkmcnt(0)
	v_mul_f64 v[11:12], v[1:2], v[9:10]
	v_mul_f64 v[15:16], v[3:4], v[9:10]
	s_delay_alu instid0(VALU_DEP_2) | instskip(NEXT) | instid1(VALU_DEP_2)
	v_fma_f64 v[9:10], v[3:4], v[7:8], -v[11:12]
	v_fma_f64 v[11:12], v[1:2], v[7:8], v[15:16]
	scratch_store_b128 off, v[9:12], off offset:608
.LBB118_167:
	s_or_b32 exec_lo, exec_lo, s2
	s_waitcnt_vscnt null, 0x0
	s_barrier
	buffer_gl0_inv
	scratch_load_b128 v[1:4], v216, off
	s_mov_b32 s2, exec_lo
	s_waitcnt vmcnt(0)
	ds_store_b128 v5, v[1:4]
	s_waitcnt lgkmcnt(0)
	s_barrier
	buffer_gl0_inv
	v_cmpx_gt_u32_e32 39, v156
	s_cbranch_execz .LBB118_171
; %bb.168:
	v_dual_mov_b32 v1, 0 :: v_dual_add_nc_u32 v8, 0x370, v13
	v_dual_mov_b32 v2, 0 :: v_dual_add_nc_u32 v7, -1, v156
	v_or_b32_e32 v9, 8, v14
	s_mov_b32 s3, 0
	s_delay_alu instid0(VALU_DEP_2)
	v_dual_mov_b32 v4, v2 :: v_dual_mov_b32 v3, v1
	.p2align	6
.LBB118_169:                            ; =>This Inner Loop Header: Depth=1
	scratch_load_b128 v[15:18], v9, off offset:-8
	ds_load_b128 v[19:22], v8
	v_add_nc_u32_e32 v7, 1, v7
	v_add_nc_u32_e32 v8, 16, v8
	;; [unrolled: 1-line block ×3, first 2 shown]
	s_delay_alu instid0(VALU_DEP_3) | instskip(SKIP_4) | instid1(VALU_DEP_2)
	v_cmp_lt_u32_e32 vcc_lo, 37, v7
	s_or_b32 s3, vcc_lo, s3
	s_waitcnt vmcnt(0) lgkmcnt(0)
	v_mul_f64 v[10:11], v[21:22], v[17:18]
	v_mul_f64 v[17:18], v[19:20], v[17:18]
	v_fma_f64 v[10:11], v[19:20], v[15:16], -v[10:11]
	s_delay_alu instid0(VALU_DEP_2) | instskip(NEXT) | instid1(VALU_DEP_2)
	v_fma_f64 v[15:16], v[21:22], v[15:16], v[17:18]
	v_add_f64 v[3:4], v[3:4], v[10:11]
	s_delay_alu instid0(VALU_DEP_2)
	v_add_f64 v[1:2], v[1:2], v[15:16]
	s_and_not1_b32 exec_lo, exec_lo, s3
	s_cbranch_execnz .LBB118_169
; %bb.170:
	s_or_b32 exec_lo, exec_lo, s3
	v_mov_b32_e32 v7, 0
	ds_load_b128 v[7:10], v7 offset:624
	s_waitcnt lgkmcnt(0)
	v_mul_f64 v[11:12], v[1:2], v[9:10]
	v_mul_f64 v[15:16], v[3:4], v[9:10]
	s_delay_alu instid0(VALU_DEP_2) | instskip(NEXT) | instid1(VALU_DEP_2)
	v_fma_f64 v[9:10], v[3:4], v[7:8], -v[11:12]
	v_fma_f64 v[11:12], v[1:2], v[7:8], v[15:16]
	scratch_store_b128 off, v[9:12], off offset:624
.LBB118_171:
	s_or_b32 exec_lo, exec_lo, s2
	s_waitcnt_vscnt null, 0x0
	s_barrier
	buffer_gl0_inv
	scratch_load_b128 v[1:4], v215, off
	s_mov_b32 s2, exec_lo
	s_waitcnt vmcnt(0)
	ds_store_b128 v5, v[1:4]
	s_waitcnt lgkmcnt(0)
	s_barrier
	buffer_gl0_inv
	v_cmpx_gt_u32_e32 40, v156
	s_cbranch_execz .LBB118_175
; %bb.172:
	v_dual_mov_b32 v1, 0 :: v_dual_add_nc_u32 v8, 0x370, v13
	v_dual_mov_b32 v2, 0 :: v_dual_add_nc_u32 v7, -1, v156
	v_or_b32_e32 v9, 8, v14
	s_mov_b32 s3, 0
	s_delay_alu instid0(VALU_DEP_2)
	v_dual_mov_b32 v4, v2 :: v_dual_mov_b32 v3, v1
	.p2align	6
.LBB118_173:                            ; =>This Inner Loop Header: Depth=1
	scratch_load_b128 v[15:18], v9, off offset:-8
	ds_load_b128 v[19:22], v8
	v_add_nc_u32_e32 v7, 1, v7
	v_add_nc_u32_e32 v8, 16, v8
	;; [unrolled: 1-line block ×3, first 2 shown]
	s_delay_alu instid0(VALU_DEP_3) | instskip(SKIP_4) | instid1(VALU_DEP_2)
	v_cmp_lt_u32_e32 vcc_lo, 38, v7
	s_or_b32 s3, vcc_lo, s3
	s_waitcnt vmcnt(0) lgkmcnt(0)
	v_mul_f64 v[10:11], v[21:22], v[17:18]
	v_mul_f64 v[17:18], v[19:20], v[17:18]
	v_fma_f64 v[10:11], v[19:20], v[15:16], -v[10:11]
	s_delay_alu instid0(VALU_DEP_2) | instskip(NEXT) | instid1(VALU_DEP_2)
	v_fma_f64 v[15:16], v[21:22], v[15:16], v[17:18]
	v_add_f64 v[3:4], v[3:4], v[10:11]
	s_delay_alu instid0(VALU_DEP_2)
	v_add_f64 v[1:2], v[1:2], v[15:16]
	s_and_not1_b32 exec_lo, exec_lo, s3
	s_cbranch_execnz .LBB118_173
; %bb.174:
	s_or_b32 exec_lo, exec_lo, s3
	v_mov_b32_e32 v7, 0
	ds_load_b128 v[7:10], v7 offset:640
	s_waitcnt lgkmcnt(0)
	v_mul_f64 v[11:12], v[1:2], v[9:10]
	v_mul_f64 v[15:16], v[3:4], v[9:10]
	s_delay_alu instid0(VALU_DEP_2) | instskip(NEXT) | instid1(VALU_DEP_2)
	v_fma_f64 v[9:10], v[3:4], v[7:8], -v[11:12]
	v_fma_f64 v[11:12], v[1:2], v[7:8], v[15:16]
	scratch_store_b128 off, v[9:12], off offset:640
.LBB118_175:
	s_or_b32 exec_lo, exec_lo, s2
	s_waitcnt_vscnt null, 0x0
	s_barrier
	buffer_gl0_inv
	scratch_load_b128 v[1:4], v214, off
	s_mov_b32 s2, exec_lo
	s_waitcnt vmcnt(0)
	ds_store_b128 v5, v[1:4]
	s_waitcnt lgkmcnt(0)
	s_barrier
	buffer_gl0_inv
	v_cmpx_gt_u32_e32 41, v156
	s_cbranch_execz .LBB118_179
; %bb.176:
	v_dual_mov_b32 v1, 0 :: v_dual_add_nc_u32 v8, 0x370, v13
	v_dual_mov_b32 v2, 0 :: v_dual_add_nc_u32 v7, -1, v156
	v_or_b32_e32 v9, 8, v14
	s_mov_b32 s3, 0
	s_delay_alu instid0(VALU_DEP_2)
	v_dual_mov_b32 v4, v2 :: v_dual_mov_b32 v3, v1
	.p2align	6
.LBB118_177:                            ; =>This Inner Loop Header: Depth=1
	scratch_load_b128 v[15:18], v9, off offset:-8
	ds_load_b128 v[19:22], v8
	v_add_nc_u32_e32 v7, 1, v7
	v_add_nc_u32_e32 v8, 16, v8
	;; [unrolled: 1-line block ×3, first 2 shown]
	s_delay_alu instid0(VALU_DEP_3) | instskip(SKIP_4) | instid1(VALU_DEP_2)
	v_cmp_lt_u32_e32 vcc_lo, 39, v7
	s_or_b32 s3, vcc_lo, s3
	s_waitcnt vmcnt(0) lgkmcnt(0)
	v_mul_f64 v[10:11], v[21:22], v[17:18]
	v_mul_f64 v[17:18], v[19:20], v[17:18]
	v_fma_f64 v[10:11], v[19:20], v[15:16], -v[10:11]
	s_delay_alu instid0(VALU_DEP_2) | instskip(NEXT) | instid1(VALU_DEP_2)
	v_fma_f64 v[15:16], v[21:22], v[15:16], v[17:18]
	v_add_f64 v[3:4], v[3:4], v[10:11]
	s_delay_alu instid0(VALU_DEP_2)
	v_add_f64 v[1:2], v[1:2], v[15:16]
	s_and_not1_b32 exec_lo, exec_lo, s3
	s_cbranch_execnz .LBB118_177
; %bb.178:
	s_or_b32 exec_lo, exec_lo, s3
	v_mov_b32_e32 v7, 0
	ds_load_b128 v[7:10], v7 offset:656
	s_waitcnt lgkmcnt(0)
	v_mul_f64 v[11:12], v[1:2], v[9:10]
	v_mul_f64 v[15:16], v[3:4], v[9:10]
	s_delay_alu instid0(VALU_DEP_2) | instskip(NEXT) | instid1(VALU_DEP_2)
	v_fma_f64 v[9:10], v[3:4], v[7:8], -v[11:12]
	v_fma_f64 v[11:12], v[1:2], v[7:8], v[15:16]
	scratch_store_b128 off, v[9:12], off offset:656
.LBB118_179:
	s_or_b32 exec_lo, exec_lo, s2
	s_waitcnt_vscnt null, 0x0
	s_barrier
	buffer_gl0_inv
	scratch_load_b128 v[1:4], v213, off
	s_mov_b32 s2, exec_lo
	s_waitcnt vmcnt(0)
	ds_store_b128 v5, v[1:4]
	s_waitcnt lgkmcnt(0)
	s_barrier
	buffer_gl0_inv
	v_cmpx_gt_u32_e32 42, v156
	s_cbranch_execz .LBB118_183
; %bb.180:
	v_dual_mov_b32 v1, 0 :: v_dual_add_nc_u32 v8, 0x370, v13
	v_dual_mov_b32 v2, 0 :: v_dual_add_nc_u32 v7, -1, v156
	v_or_b32_e32 v9, 8, v14
	s_mov_b32 s3, 0
	s_delay_alu instid0(VALU_DEP_2)
	v_dual_mov_b32 v4, v2 :: v_dual_mov_b32 v3, v1
	.p2align	6
.LBB118_181:                            ; =>This Inner Loop Header: Depth=1
	scratch_load_b128 v[15:18], v9, off offset:-8
	ds_load_b128 v[19:22], v8
	v_add_nc_u32_e32 v7, 1, v7
	v_add_nc_u32_e32 v8, 16, v8
	;; [unrolled: 1-line block ×3, first 2 shown]
	s_delay_alu instid0(VALU_DEP_3) | instskip(SKIP_4) | instid1(VALU_DEP_2)
	v_cmp_lt_u32_e32 vcc_lo, 40, v7
	s_or_b32 s3, vcc_lo, s3
	s_waitcnt vmcnt(0) lgkmcnt(0)
	v_mul_f64 v[10:11], v[21:22], v[17:18]
	v_mul_f64 v[17:18], v[19:20], v[17:18]
	v_fma_f64 v[10:11], v[19:20], v[15:16], -v[10:11]
	s_delay_alu instid0(VALU_DEP_2) | instskip(NEXT) | instid1(VALU_DEP_2)
	v_fma_f64 v[15:16], v[21:22], v[15:16], v[17:18]
	v_add_f64 v[3:4], v[3:4], v[10:11]
	s_delay_alu instid0(VALU_DEP_2)
	v_add_f64 v[1:2], v[1:2], v[15:16]
	s_and_not1_b32 exec_lo, exec_lo, s3
	s_cbranch_execnz .LBB118_181
; %bb.182:
	s_or_b32 exec_lo, exec_lo, s3
	v_mov_b32_e32 v7, 0
	ds_load_b128 v[7:10], v7 offset:672
	s_waitcnt lgkmcnt(0)
	v_mul_f64 v[11:12], v[1:2], v[9:10]
	v_mul_f64 v[15:16], v[3:4], v[9:10]
	s_delay_alu instid0(VALU_DEP_2) | instskip(NEXT) | instid1(VALU_DEP_2)
	v_fma_f64 v[9:10], v[3:4], v[7:8], -v[11:12]
	v_fma_f64 v[11:12], v[1:2], v[7:8], v[15:16]
	scratch_store_b128 off, v[9:12], off offset:672
.LBB118_183:
	s_or_b32 exec_lo, exec_lo, s2
	s_waitcnt_vscnt null, 0x0
	s_barrier
	buffer_gl0_inv
	scratch_load_b128 v[1:4], v212, off
	s_mov_b32 s2, exec_lo
	s_waitcnt vmcnt(0)
	ds_store_b128 v5, v[1:4]
	s_waitcnt lgkmcnt(0)
	s_barrier
	buffer_gl0_inv
	v_cmpx_gt_u32_e32 43, v156
	s_cbranch_execz .LBB118_187
; %bb.184:
	v_dual_mov_b32 v1, 0 :: v_dual_add_nc_u32 v8, 0x370, v13
	v_dual_mov_b32 v2, 0 :: v_dual_add_nc_u32 v7, -1, v156
	v_or_b32_e32 v9, 8, v14
	s_mov_b32 s3, 0
	s_delay_alu instid0(VALU_DEP_2)
	v_dual_mov_b32 v4, v2 :: v_dual_mov_b32 v3, v1
	.p2align	6
.LBB118_185:                            ; =>This Inner Loop Header: Depth=1
	scratch_load_b128 v[15:18], v9, off offset:-8
	ds_load_b128 v[19:22], v8
	v_add_nc_u32_e32 v7, 1, v7
	v_add_nc_u32_e32 v8, 16, v8
	;; [unrolled: 1-line block ×3, first 2 shown]
	s_delay_alu instid0(VALU_DEP_3) | instskip(SKIP_4) | instid1(VALU_DEP_2)
	v_cmp_lt_u32_e32 vcc_lo, 41, v7
	s_or_b32 s3, vcc_lo, s3
	s_waitcnt vmcnt(0) lgkmcnt(0)
	v_mul_f64 v[10:11], v[21:22], v[17:18]
	v_mul_f64 v[17:18], v[19:20], v[17:18]
	v_fma_f64 v[10:11], v[19:20], v[15:16], -v[10:11]
	s_delay_alu instid0(VALU_DEP_2) | instskip(NEXT) | instid1(VALU_DEP_2)
	v_fma_f64 v[15:16], v[21:22], v[15:16], v[17:18]
	v_add_f64 v[3:4], v[3:4], v[10:11]
	s_delay_alu instid0(VALU_DEP_2)
	v_add_f64 v[1:2], v[1:2], v[15:16]
	s_and_not1_b32 exec_lo, exec_lo, s3
	s_cbranch_execnz .LBB118_185
; %bb.186:
	s_or_b32 exec_lo, exec_lo, s3
	v_mov_b32_e32 v7, 0
	ds_load_b128 v[7:10], v7 offset:688
	s_waitcnt lgkmcnt(0)
	v_mul_f64 v[11:12], v[1:2], v[9:10]
	v_mul_f64 v[15:16], v[3:4], v[9:10]
	s_delay_alu instid0(VALU_DEP_2) | instskip(NEXT) | instid1(VALU_DEP_2)
	v_fma_f64 v[9:10], v[3:4], v[7:8], -v[11:12]
	v_fma_f64 v[11:12], v[1:2], v[7:8], v[15:16]
	scratch_store_b128 off, v[9:12], off offset:688
.LBB118_187:
	s_or_b32 exec_lo, exec_lo, s2
	s_waitcnt_vscnt null, 0x0
	s_barrier
	buffer_gl0_inv
	scratch_load_b128 v[1:4], v163, off
	s_mov_b32 s2, exec_lo
	s_waitcnt vmcnt(0)
	ds_store_b128 v5, v[1:4]
	s_waitcnt lgkmcnt(0)
	s_barrier
	buffer_gl0_inv
	v_cmpx_gt_u32_e32 44, v156
	s_cbranch_execz .LBB118_191
; %bb.188:
	v_dual_mov_b32 v1, 0 :: v_dual_add_nc_u32 v8, 0x370, v13
	v_dual_mov_b32 v2, 0 :: v_dual_add_nc_u32 v7, -1, v156
	v_or_b32_e32 v9, 8, v14
	s_mov_b32 s3, 0
	s_delay_alu instid0(VALU_DEP_2)
	v_dual_mov_b32 v4, v2 :: v_dual_mov_b32 v3, v1
	.p2align	6
.LBB118_189:                            ; =>This Inner Loop Header: Depth=1
	scratch_load_b128 v[15:18], v9, off offset:-8
	ds_load_b128 v[19:22], v8
	v_add_nc_u32_e32 v7, 1, v7
	v_add_nc_u32_e32 v8, 16, v8
	;; [unrolled: 1-line block ×3, first 2 shown]
	s_delay_alu instid0(VALU_DEP_3) | instskip(SKIP_4) | instid1(VALU_DEP_2)
	v_cmp_lt_u32_e32 vcc_lo, 42, v7
	s_or_b32 s3, vcc_lo, s3
	s_waitcnt vmcnt(0) lgkmcnt(0)
	v_mul_f64 v[10:11], v[21:22], v[17:18]
	v_mul_f64 v[17:18], v[19:20], v[17:18]
	v_fma_f64 v[10:11], v[19:20], v[15:16], -v[10:11]
	s_delay_alu instid0(VALU_DEP_2) | instskip(NEXT) | instid1(VALU_DEP_2)
	v_fma_f64 v[15:16], v[21:22], v[15:16], v[17:18]
	v_add_f64 v[3:4], v[3:4], v[10:11]
	s_delay_alu instid0(VALU_DEP_2)
	v_add_f64 v[1:2], v[1:2], v[15:16]
	s_and_not1_b32 exec_lo, exec_lo, s3
	s_cbranch_execnz .LBB118_189
; %bb.190:
	s_or_b32 exec_lo, exec_lo, s3
	v_mov_b32_e32 v7, 0
	ds_load_b128 v[7:10], v7 offset:704
	s_waitcnt lgkmcnt(0)
	v_mul_f64 v[11:12], v[1:2], v[9:10]
	v_mul_f64 v[15:16], v[3:4], v[9:10]
	s_delay_alu instid0(VALU_DEP_2) | instskip(NEXT) | instid1(VALU_DEP_2)
	v_fma_f64 v[9:10], v[3:4], v[7:8], -v[11:12]
	v_fma_f64 v[11:12], v[1:2], v[7:8], v[15:16]
	scratch_store_b128 off, v[9:12], off offset:704
.LBB118_191:
	s_or_b32 exec_lo, exec_lo, s2
	s_waitcnt_vscnt null, 0x0
	s_barrier
	buffer_gl0_inv
	scratch_load_b128 v[1:4], v161, off
	s_mov_b32 s2, exec_lo
	s_waitcnt vmcnt(0)
	ds_store_b128 v5, v[1:4]
	s_waitcnt lgkmcnt(0)
	s_barrier
	buffer_gl0_inv
	v_cmpx_gt_u32_e32 45, v156
	s_cbranch_execz .LBB118_195
; %bb.192:
	v_dual_mov_b32 v1, 0 :: v_dual_add_nc_u32 v8, 0x370, v13
	v_dual_mov_b32 v2, 0 :: v_dual_add_nc_u32 v7, -1, v156
	v_or_b32_e32 v9, 8, v14
	s_mov_b32 s3, 0
	s_delay_alu instid0(VALU_DEP_2)
	v_dual_mov_b32 v4, v2 :: v_dual_mov_b32 v3, v1
	.p2align	6
.LBB118_193:                            ; =>This Inner Loop Header: Depth=1
	scratch_load_b128 v[15:18], v9, off offset:-8
	ds_load_b128 v[19:22], v8
	v_add_nc_u32_e32 v7, 1, v7
	v_add_nc_u32_e32 v8, 16, v8
	;; [unrolled: 1-line block ×3, first 2 shown]
	s_delay_alu instid0(VALU_DEP_3) | instskip(SKIP_4) | instid1(VALU_DEP_2)
	v_cmp_lt_u32_e32 vcc_lo, 43, v7
	s_or_b32 s3, vcc_lo, s3
	s_waitcnt vmcnt(0) lgkmcnt(0)
	v_mul_f64 v[10:11], v[21:22], v[17:18]
	v_mul_f64 v[17:18], v[19:20], v[17:18]
	v_fma_f64 v[10:11], v[19:20], v[15:16], -v[10:11]
	s_delay_alu instid0(VALU_DEP_2) | instskip(NEXT) | instid1(VALU_DEP_2)
	v_fma_f64 v[15:16], v[21:22], v[15:16], v[17:18]
	v_add_f64 v[3:4], v[3:4], v[10:11]
	s_delay_alu instid0(VALU_DEP_2)
	v_add_f64 v[1:2], v[1:2], v[15:16]
	s_and_not1_b32 exec_lo, exec_lo, s3
	s_cbranch_execnz .LBB118_193
; %bb.194:
	s_or_b32 exec_lo, exec_lo, s3
	v_mov_b32_e32 v7, 0
	ds_load_b128 v[7:10], v7 offset:720
	s_waitcnt lgkmcnt(0)
	v_mul_f64 v[11:12], v[1:2], v[9:10]
	v_mul_f64 v[15:16], v[3:4], v[9:10]
	s_delay_alu instid0(VALU_DEP_2) | instskip(NEXT) | instid1(VALU_DEP_2)
	v_fma_f64 v[9:10], v[3:4], v[7:8], -v[11:12]
	v_fma_f64 v[11:12], v[1:2], v[7:8], v[15:16]
	scratch_store_b128 off, v[9:12], off offset:720
.LBB118_195:
	s_or_b32 exec_lo, exec_lo, s2
	s_waitcnt_vscnt null, 0x0
	s_barrier
	buffer_gl0_inv
	scratch_load_b128 v[1:4], v160, off
	s_mov_b32 s2, exec_lo
	s_waitcnt vmcnt(0)
	ds_store_b128 v5, v[1:4]
	s_waitcnt lgkmcnt(0)
	s_barrier
	buffer_gl0_inv
	v_cmpx_gt_u32_e32 46, v156
	s_cbranch_execz .LBB118_199
; %bb.196:
	v_dual_mov_b32 v1, 0 :: v_dual_add_nc_u32 v8, 0x370, v13
	v_dual_mov_b32 v2, 0 :: v_dual_add_nc_u32 v7, -1, v156
	v_or_b32_e32 v9, 8, v14
	s_mov_b32 s3, 0
	s_delay_alu instid0(VALU_DEP_2)
	v_dual_mov_b32 v4, v2 :: v_dual_mov_b32 v3, v1
	.p2align	6
.LBB118_197:                            ; =>This Inner Loop Header: Depth=1
	scratch_load_b128 v[15:18], v9, off offset:-8
	ds_load_b128 v[19:22], v8
	v_add_nc_u32_e32 v7, 1, v7
	v_add_nc_u32_e32 v8, 16, v8
	;; [unrolled: 1-line block ×3, first 2 shown]
	s_delay_alu instid0(VALU_DEP_3) | instskip(SKIP_4) | instid1(VALU_DEP_2)
	v_cmp_lt_u32_e32 vcc_lo, 44, v7
	s_or_b32 s3, vcc_lo, s3
	s_waitcnt vmcnt(0) lgkmcnt(0)
	v_mul_f64 v[10:11], v[21:22], v[17:18]
	v_mul_f64 v[17:18], v[19:20], v[17:18]
	v_fma_f64 v[10:11], v[19:20], v[15:16], -v[10:11]
	s_delay_alu instid0(VALU_DEP_2) | instskip(NEXT) | instid1(VALU_DEP_2)
	v_fma_f64 v[15:16], v[21:22], v[15:16], v[17:18]
	v_add_f64 v[3:4], v[3:4], v[10:11]
	s_delay_alu instid0(VALU_DEP_2)
	v_add_f64 v[1:2], v[1:2], v[15:16]
	s_and_not1_b32 exec_lo, exec_lo, s3
	s_cbranch_execnz .LBB118_197
; %bb.198:
	s_or_b32 exec_lo, exec_lo, s3
	v_mov_b32_e32 v7, 0
	ds_load_b128 v[7:10], v7 offset:736
	s_waitcnt lgkmcnt(0)
	v_mul_f64 v[11:12], v[1:2], v[9:10]
	v_mul_f64 v[15:16], v[3:4], v[9:10]
	s_delay_alu instid0(VALU_DEP_2) | instskip(NEXT) | instid1(VALU_DEP_2)
	v_fma_f64 v[9:10], v[3:4], v[7:8], -v[11:12]
	v_fma_f64 v[11:12], v[1:2], v[7:8], v[15:16]
	scratch_store_b128 off, v[9:12], off offset:736
.LBB118_199:
	s_or_b32 exec_lo, exec_lo, s2
	s_waitcnt_vscnt null, 0x0
	s_barrier
	buffer_gl0_inv
	scratch_load_b128 v[1:4], v157, off
	s_mov_b32 s2, exec_lo
	s_waitcnt vmcnt(0)
	ds_store_b128 v5, v[1:4]
	s_waitcnt lgkmcnt(0)
	s_barrier
	buffer_gl0_inv
	v_cmpx_gt_u32_e32 47, v156
	s_cbranch_execz .LBB118_203
; %bb.200:
	v_dual_mov_b32 v1, 0 :: v_dual_add_nc_u32 v8, 0x370, v13
	v_dual_mov_b32 v2, 0 :: v_dual_add_nc_u32 v7, -1, v156
	v_or_b32_e32 v9, 8, v14
	s_mov_b32 s3, 0
	s_delay_alu instid0(VALU_DEP_2)
	v_dual_mov_b32 v4, v2 :: v_dual_mov_b32 v3, v1
	.p2align	6
.LBB118_201:                            ; =>This Inner Loop Header: Depth=1
	scratch_load_b128 v[15:18], v9, off offset:-8
	ds_load_b128 v[19:22], v8
	v_add_nc_u32_e32 v7, 1, v7
	v_add_nc_u32_e32 v8, 16, v8
	;; [unrolled: 1-line block ×3, first 2 shown]
	s_delay_alu instid0(VALU_DEP_3) | instskip(SKIP_4) | instid1(VALU_DEP_2)
	v_cmp_lt_u32_e32 vcc_lo, 45, v7
	s_or_b32 s3, vcc_lo, s3
	s_waitcnt vmcnt(0) lgkmcnt(0)
	v_mul_f64 v[10:11], v[21:22], v[17:18]
	v_mul_f64 v[17:18], v[19:20], v[17:18]
	v_fma_f64 v[10:11], v[19:20], v[15:16], -v[10:11]
	s_delay_alu instid0(VALU_DEP_2) | instskip(NEXT) | instid1(VALU_DEP_2)
	v_fma_f64 v[15:16], v[21:22], v[15:16], v[17:18]
	v_add_f64 v[3:4], v[3:4], v[10:11]
	s_delay_alu instid0(VALU_DEP_2)
	v_add_f64 v[1:2], v[1:2], v[15:16]
	s_and_not1_b32 exec_lo, exec_lo, s3
	s_cbranch_execnz .LBB118_201
; %bb.202:
	s_or_b32 exec_lo, exec_lo, s3
	v_mov_b32_e32 v7, 0
	ds_load_b128 v[7:10], v7 offset:752
	s_waitcnt lgkmcnt(0)
	v_mul_f64 v[11:12], v[1:2], v[9:10]
	v_mul_f64 v[15:16], v[3:4], v[9:10]
	s_delay_alu instid0(VALU_DEP_2) | instskip(NEXT) | instid1(VALU_DEP_2)
	v_fma_f64 v[9:10], v[3:4], v[7:8], -v[11:12]
	v_fma_f64 v[11:12], v[1:2], v[7:8], v[15:16]
	scratch_store_b128 off, v[9:12], off offset:752
.LBB118_203:
	s_or_b32 exec_lo, exec_lo, s2
	s_waitcnt_vscnt null, 0x0
	s_barrier
	buffer_gl0_inv
	scratch_load_b128 v[1:4], v171, off
	s_mov_b32 s2, exec_lo
	s_waitcnt vmcnt(0)
	ds_store_b128 v5, v[1:4]
	s_waitcnt lgkmcnt(0)
	s_barrier
	buffer_gl0_inv
	v_cmpx_gt_u32_e32 48, v156
	s_cbranch_execz .LBB118_207
; %bb.204:
	v_dual_mov_b32 v1, 0 :: v_dual_add_nc_u32 v8, 0x370, v13
	v_dual_mov_b32 v2, 0 :: v_dual_add_nc_u32 v7, -1, v156
	v_or_b32_e32 v9, 8, v14
	s_mov_b32 s3, 0
	s_delay_alu instid0(VALU_DEP_2)
	v_dual_mov_b32 v4, v2 :: v_dual_mov_b32 v3, v1
	.p2align	6
.LBB118_205:                            ; =>This Inner Loop Header: Depth=1
	scratch_load_b128 v[15:18], v9, off offset:-8
	ds_load_b128 v[19:22], v8
	v_add_nc_u32_e32 v7, 1, v7
	v_add_nc_u32_e32 v8, 16, v8
	;; [unrolled: 1-line block ×3, first 2 shown]
	s_delay_alu instid0(VALU_DEP_3) | instskip(SKIP_4) | instid1(VALU_DEP_2)
	v_cmp_lt_u32_e32 vcc_lo, 46, v7
	s_or_b32 s3, vcc_lo, s3
	s_waitcnt vmcnt(0) lgkmcnt(0)
	v_mul_f64 v[10:11], v[21:22], v[17:18]
	v_mul_f64 v[17:18], v[19:20], v[17:18]
	v_fma_f64 v[10:11], v[19:20], v[15:16], -v[10:11]
	s_delay_alu instid0(VALU_DEP_2) | instskip(NEXT) | instid1(VALU_DEP_2)
	v_fma_f64 v[15:16], v[21:22], v[15:16], v[17:18]
	v_add_f64 v[3:4], v[3:4], v[10:11]
	s_delay_alu instid0(VALU_DEP_2)
	v_add_f64 v[1:2], v[1:2], v[15:16]
	s_and_not1_b32 exec_lo, exec_lo, s3
	s_cbranch_execnz .LBB118_205
; %bb.206:
	s_or_b32 exec_lo, exec_lo, s3
	v_mov_b32_e32 v7, 0
	ds_load_b128 v[7:10], v7 offset:768
	s_waitcnt lgkmcnt(0)
	v_mul_f64 v[11:12], v[1:2], v[9:10]
	v_mul_f64 v[15:16], v[3:4], v[9:10]
	s_delay_alu instid0(VALU_DEP_2) | instskip(NEXT) | instid1(VALU_DEP_2)
	v_fma_f64 v[9:10], v[3:4], v[7:8], -v[11:12]
	v_fma_f64 v[11:12], v[1:2], v[7:8], v[15:16]
	scratch_store_b128 off, v[9:12], off offset:768
.LBB118_207:
	s_or_b32 exec_lo, exec_lo, s2
	s_waitcnt_vscnt null, 0x0
	s_barrier
	buffer_gl0_inv
	scratch_load_b128 v[1:4], v168, off
	s_mov_b32 s2, exec_lo
	s_waitcnt vmcnt(0)
	ds_store_b128 v5, v[1:4]
	s_waitcnt lgkmcnt(0)
	s_barrier
	buffer_gl0_inv
	v_cmpx_gt_u32_e32 49, v156
	s_cbranch_execz .LBB118_211
; %bb.208:
	v_dual_mov_b32 v1, 0 :: v_dual_add_nc_u32 v8, 0x370, v13
	v_dual_mov_b32 v2, 0 :: v_dual_add_nc_u32 v7, -1, v156
	v_or_b32_e32 v9, 8, v14
	s_mov_b32 s3, 0
	s_delay_alu instid0(VALU_DEP_2)
	v_dual_mov_b32 v4, v2 :: v_dual_mov_b32 v3, v1
	.p2align	6
.LBB118_209:                            ; =>This Inner Loop Header: Depth=1
	scratch_load_b128 v[15:18], v9, off offset:-8
	ds_load_b128 v[19:22], v8
	v_add_nc_u32_e32 v7, 1, v7
	v_add_nc_u32_e32 v8, 16, v8
	;; [unrolled: 1-line block ×3, first 2 shown]
	s_delay_alu instid0(VALU_DEP_3) | instskip(SKIP_4) | instid1(VALU_DEP_2)
	v_cmp_lt_u32_e32 vcc_lo, 47, v7
	s_or_b32 s3, vcc_lo, s3
	s_waitcnt vmcnt(0) lgkmcnt(0)
	v_mul_f64 v[10:11], v[21:22], v[17:18]
	v_mul_f64 v[17:18], v[19:20], v[17:18]
	v_fma_f64 v[10:11], v[19:20], v[15:16], -v[10:11]
	s_delay_alu instid0(VALU_DEP_2) | instskip(NEXT) | instid1(VALU_DEP_2)
	v_fma_f64 v[15:16], v[21:22], v[15:16], v[17:18]
	v_add_f64 v[3:4], v[3:4], v[10:11]
	s_delay_alu instid0(VALU_DEP_2)
	v_add_f64 v[1:2], v[1:2], v[15:16]
	s_and_not1_b32 exec_lo, exec_lo, s3
	s_cbranch_execnz .LBB118_209
; %bb.210:
	s_or_b32 exec_lo, exec_lo, s3
	v_mov_b32_e32 v7, 0
	ds_load_b128 v[7:10], v7 offset:784
	s_waitcnt lgkmcnt(0)
	v_mul_f64 v[11:12], v[1:2], v[9:10]
	v_mul_f64 v[15:16], v[3:4], v[9:10]
	s_delay_alu instid0(VALU_DEP_2) | instskip(NEXT) | instid1(VALU_DEP_2)
	v_fma_f64 v[9:10], v[3:4], v[7:8], -v[11:12]
	v_fma_f64 v[11:12], v[1:2], v[7:8], v[15:16]
	scratch_store_b128 off, v[9:12], off offset:784
.LBB118_211:
	s_or_b32 exec_lo, exec_lo, s2
	s_waitcnt_vscnt null, 0x0
	s_barrier
	buffer_gl0_inv
	scratch_load_b128 v[1:4], v166, off
	s_mov_b32 s2, exec_lo
	s_waitcnt vmcnt(0)
	ds_store_b128 v5, v[1:4]
	s_waitcnt lgkmcnt(0)
	s_barrier
	buffer_gl0_inv
	v_cmpx_gt_u32_e32 50, v156
	s_cbranch_execz .LBB118_215
; %bb.212:
	v_dual_mov_b32 v1, 0 :: v_dual_add_nc_u32 v8, 0x370, v13
	v_dual_mov_b32 v2, 0 :: v_dual_add_nc_u32 v7, -1, v156
	v_or_b32_e32 v9, 8, v14
	s_mov_b32 s3, 0
	s_delay_alu instid0(VALU_DEP_2)
	v_dual_mov_b32 v4, v2 :: v_dual_mov_b32 v3, v1
	.p2align	6
.LBB118_213:                            ; =>This Inner Loop Header: Depth=1
	scratch_load_b128 v[15:18], v9, off offset:-8
	ds_load_b128 v[19:22], v8
	v_add_nc_u32_e32 v7, 1, v7
	v_add_nc_u32_e32 v8, 16, v8
	;; [unrolled: 1-line block ×3, first 2 shown]
	s_delay_alu instid0(VALU_DEP_3) | instskip(SKIP_4) | instid1(VALU_DEP_2)
	v_cmp_lt_u32_e32 vcc_lo, 48, v7
	s_or_b32 s3, vcc_lo, s3
	s_waitcnt vmcnt(0) lgkmcnt(0)
	v_mul_f64 v[10:11], v[21:22], v[17:18]
	v_mul_f64 v[17:18], v[19:20], v[17:18]
	v_fma_f64 v[10:11], v[19:20], v[15:16], -v[10:11]
	s_delay_alu instid0(VALU_DEP_2) | instskip(NEXT) | instid1(VALU_DEP_2)
	v_fma_f64 v[15:16], v[21:22], v[15:16], v[17:18]
	v_add_f64 v[3:4], v[3:4], v[10:11]
	s_delay_alu instid0(VALU_DEP_2)
	v_add_f64 v[1:2], v[1:2], v[15:16]
	s_and_not1_b32 exec_lo, exec_lo, s3
	s_cbranch_execnz .LBB118_213
; %bb.214:
	s_or_b32 exec_lo, exec_lo, s3
	v_mov_b32_e32 v7, 0
	ds_load_b128 v[7:10], v7 offset:800
	s_waitcnt lgkmcnt(0)
	v_mul_f64 v[11:12], v[1:2], v[9:10]
	v_mul_f64 v[15:16], v[3:4], v[9:10]
	s_delay_alu instid0(VALU_DEP_2) | instskip(NEXT) | instid1(VALU_DEP_2)
	v_fma_f64 v[9:10], v[3:4], v[7:8], -v[11:12]
	v_fma_f64 v[11:12], v[1:2], v[7:8], v[15:16]
	scratch_store_b128 off, v[9:12], off offset:800
.LBB118_215:
	s_or_b32 exec_lo, exec_lo, s2
	s_waitcnt_vscnt null, 0x0
	s_barrier
	buffer_gl0_inv
	scratch_load_b128 v[1:4], v164, off
	s_mov_b32 s2, exec_lo
	s_waitcnt vmcnt(0)
	ds_store_b128 v5, v[1:4]
	s_waitcnt lgkmcnt(0)
	s_barrier
	buffer_gl0_inv
	v_cmpx_gt_u32_e32 51, v156
	s_cbranch_execz .LBB118_219
; %bb.216:
	v_dual_mov_b32 v1, 0 :: v_dual_add_nc_u32 v8, 0x370, v13
	v_dual_mov_b32 v2, 0 :: v_dual_add_nc_u32 v7, -1, v156
	v_or_b32_e32 v9, 8, v14
	s_mov_b32 s3, 0
	s_delay_alu instid0(VALU_DEP_2)
	v_dual_mov_b32 v4, v2 :: v_dual_mov_b32 v3, v1
	.p2align	6
.LBB118_217:                            ; =>This Inner Loop Header: Depth=1
	scratch_load_b128 v[15:18], v9, off offset:-8
	ds_load_b128 v[19:22], v8
	v_add_nc_u32_e32 v7, 1, v7
	v_add_nc_u32_e32 v8, 16, v8
	;; [unrolled: 1-line block ×3, first 2 shown]
	s_delay_alu instid0(VALU_DEP_3) | instskip(SKIP_4) | instid1(VALU_DEP_2)
	v_cmp_lt_u32_e32 vcc_lo, 49, v7
	s_or_b32 s3, vcc_lo, s3
	s_waitcnt vmcnt(0) lgkmcnt(0)
	v_mul_f64 v[10:11], v[21:22], v[17:18]
	v_mul_f64 v[17:18], v[19:20], v[17:18]
	v_fma_f64 v[10:11], v[19:20], v[15:16], -v[10:11]
	s_delay_alu instid0(VALU_DEP_2) | instskip(NEXT) | instid1(VALU_DEP_2)
	v_fma_f64 v[15:16], v[21:22], v[15:16], v[17:18]
	v_add_f64 v[3:4], v[3:4], v[10:11]
	s_delay_alu instid0(VALU_DEP_2)
	v_add_f64 v[1:2], v[1:2], v[15:16]
	s_and_not1_b32 exec_lo, exec_lo, s3
	s_cbranch_execnz .LBB118_217
; %bb.218:
	s_or_b32 exec_lo, exec_lo, s3
	v_mov_b32_e32 v7, 0
	ds_load_b128 v[7:10], v7 offset:816
	s_waitcnt lgkmcnt(0)
	v_mul_f64 v[11:12], v[1:2], v[9:10]
	v_mul_f64 v[15:16], v[3:4], v[9:10]
	s_delay_alu instid0(VALU_DEP_2) | instskip(NEXT) | instid1(VALU_DEP_2)
	v_fma_f64 v[9:10], v[3:4], v[7:8], -v[11:12]
	v_fma_f64 v[11:12], v[1:2], v[7:8], v[15:16]
	scratch_store_b128 off, v[9:12], off offset:816
.LBB118_219:
	s_or_b32 exec_lo, exec_lo, s2
	s_waitcnt_vscnt null, 0x0
	s_barrier
	buffer_gl0_inv
	scratch_load_b128 v[1:4], v162, off
	s_mov_b32 s2, exec_lo
	s_waitcnt vmcnt(0)
	ds_store_b128 v5, v[1:4]
	s_waitcnt lgkmcnt(0)
	s_barrier
	buffer_gl0_inv
	v_cmpx_gt_u32_e32 52, v156
	s_cbranch_execz .LBB118_223
; %bb.220:
	v_dual_mov_b32 v1, 0 :: v_dual_add_nc_u32 v8, 0x370, v13
	v_dual_mov_b32 v2, 0 :: v_dual_add_nc_u32 v7, -1, v156
	v_or_b32_e32 v9, 8, v14
	s_mov_b32 s3, 0
	s_delay_alu instid0(VALU_DEP_2)
	v_dual_mov_b32 v4, v2 :: v_dual_mov_b32 v3, v1
	.p2align	6
.LBB118_221:                            ; =>This Inner Loop Header: Depth=1
	scratch_load_b128 v[15:18], v9, off offset:-8
	ds_load_b128 v[19:22], v8
	v_add_nc_u32_e32 v7, 1, v7
	v_add_nc_u32_e32 v8, 16, v8
	v_add_nc_u32_e32 v9, 16, v9
	s_delay_alu instid0(VALU_DEP_3) | instskip(SKIP_4) | instid1(VALU_DEP_2)
	v_cmp_lt_u32_e32 vcc_lo, 50, v7
	s_or_b32 s3, vcc_lo, s3
	s_waitcnt vmcnt(0) lgkmcnt(0)
	v_mul_f64 v[10:11], v[21:22], v[17:18]
	v_mul_f64 v[17:18], v[19:20], v[17:18]
	v_fma_f64 v[10:11], v[19:20], v[15:16], -v[10:11]
	s_delay_alu instid0(VALU_DEP_2) | instskip(NEXT) | instid1(VALU_DEP_2)
	v_fma_f64 v[15:16], v[21:22], v[15:16], v[17:18]
	v_add_f64 v[3:4], v[3:4], v[10:11]
	s_delay_alu instid0(VALU_DEP_2)
	v_add_f64 v[1:2], v[1:2], v[15:16]
	s_and_not1_b32 exec_lo, exec_lo, s3
	s_cbranch_execnz .LBB118_221
; %bb.222:
	s_or_b32 exec_lo, exec_lo, s3
	v_mov_b32_e32 v7, 0
	ds_load_b128 v[7:10], v7 offset:832
	s_waitcnt lgkmcnt(0)
	v_mul_f64 v[11:12], v[1:2], v[9:10]
	v_mul_f64 v[15:16], v[3:4], v[9:10]
	s_delay_alu instid0(VALU_DEP_2) | instskip(NEXT) | instid1(VALU_DEP_2)
	v_fma_f64 v[9:10], v[3:4], v[7:8], -v[11:12]
	v_fma_f64 v[11:12], v[1:2], v[7:8], v[15:16]
	scratch_store_b128 off, v[9:12], off offset:832
.LBB118_223:
	s_or_b32 exec_lo, exec_lo, s2
	s_waitcnt_vscnt null, 0x0
	s_barrier
	buffer_gl0_inv
	scratch_load_b128 v[1:4], v159, off
	s_mov_b32 s2, exec_lo
	s_waitcnt vmcnt(0)
	ds_store_b128 v5, v[1:4]
	s_waitcnt lgkmcnt(0)
	s_barrier
	buffer_gl0_inv
	v_cmpx_gt_u32_e32 53, v156
	s_cbranch_execz .LBB118_227
; %bb.224:
	v_dual_mov_b32 v1, 0 :: v_dual_add_nc_u32 v8, 0x370, v13
	v_dual_mov_b32 v2, 0 :: v_dual_add_nc_u32 v7, -1, v156
	v_or_b32_e32 v9, 8, v14
	s_mov_b32 s3, 0
	s_delay_alu instid0(VALU_DEP_2)
	v_dual_mov_b32 v4, v2 :: v_dual_mov_b32 v3, v1
	.p2align	6
.LBB118_225:                            ; =>This Inner Loop Header: Depth=1
	scratch_load_b128 v[10:13], v9, off offset:-8
	ds_load_b128 v[15:18], v8
	v_add_nc_u32_e32 v7, 1, v7
	v_add_nc_u32_e32 v8, 16, v8
	v_add_nc_u32_e32 v9, 16, v9
	s_delay_alu instid0(VALU_DEP_3) | instskip(SKIP_4) | instid1(VALU_DEP_2)
	v_cmp_lt_u32_e32 vcc_lo, 51, v7
	s_or_b32 s3, vcc_lo, s3
	s_waitcnt vmcnt(0) lgkmcnt(0)
	v_mul_f64 v[19:20], v[17:18], v[12:13]
	v_mul_f64 v[12:13], v[15:16], v[12:13]
	v_fma_f64 v[15:16], v[15:16], v[10:11], -v[19:20]
	s_delay_alu instid0(VALU_DEP_2) | instskip(NEXT) | instid1(VALU_DEP_2)
	v_fma_f64 v[10:11], v[17:18], v[10:11], v[12:13]
	v_add_f64 v[3:4], v[3:4], v[15:16]
	s_delay_alu instid0(VALU_DEP_2)
	v_add_f64 v[1:2], v[1:2], v[10:11]
	s_and_not1_b32 exec_lo, exec_lo, s3
	s_cbranch_execnz .LBB118_225
; %bb.226:
	s_or_b32 exec_lo, exec_lo, s3
	v_mov_b32_e32 v7, 0
	ds_load_b128 v[7:10], v7 offset:848
	s_waitcnt lgkmcnt(0)
	v_mul_f64 v[11:12], v[1:2], v[9:10]
	v_mul_f64 v[15:16], v[3:4], v[9:10]
	s_delay_alu instid0(VALU_DEP_2) | instskip(NEXT) | instid1(VALU_DEP_2)
	v_fma_f64 v[9:10], v[3:4], v[7:8], -v[11:12]
	v_fma_f64 v[11:12], v[1:2], v[7:8], v[15:16]
	scratch_store_b128 off, v[9:12], off offset:848
.LBB118_227:
	s_or_b32 exec_lo, exec_lo, s2
	s_waitcnt_vscnt null, 0x0
	s_barrier
	buffer_gl0_inv
	scratch_load_b128 v[1:4], v158, off
	s_mov_b32 s2, exec_lo
	s_waitcnt vmcnt(0)
	ds_store_b128 v5, v[1:4]
	s_waitcnt lgkmcnt(0)
	s_barrier
	buffer_gl0_inv
	v_cmpx_ne_u32_e32 54, v156
	s_cbranch_execz .LBB118_231
; %bb.228:
	v_mov_b32_e32 v1, 0
	v_mov_b32_e32 v2, 0
	v_or_b32_e32 v7, 8, v14
	s_mov_b32 s3, 0
	s_delay_alu instid0(VALU_DEP_2)
	v_dual_mov_b32 v4, v2 :: v_dual_mov_b32 v3, v1
	.p2align	6
.LBB118_229:                            ; =>This Inner Loop Header: Depth=1
	scratch_load_b128 v[8:11], v7, off offset:-8
	ds_load_b128 v[12:15], v5
	v_add_nc_u32_e32 v6, 1, v6
	v_add_nc_u32_e32 v5, 16, v5
	;; [unrolled: 1-line block ×3, first 2 shown]
	s_delay_alu instid0(VALU_DEP_3) | instskip(SKIP_4) | instid1(VALU_DEP_2)
	v_cmp_lt_u32_e32 vcc_lo, 52, v6
	s_or_b32 s3, vcc_lo, s3
	s_waitcnt vmcnt(0) lgkmcnt(0)
	v_mul_f64 v[16:17], v[14:15], v[10:11]
	v_mul_f64 v[10:11], v[12:13], v[10:11]
	v_fma_f64 v[12:13], v[12:13], v[8:9], -v[16:17]
	s_delay_alu instid0(VALU_DEP_2) | instskip(NEXT) | instid1(VALU_DEP_2)
	v_fma_f64 v[8:9], v[14:15], v[8:9], v[10:11]
	v_add_f64 v[3:4], v[3:4], v[12:13]
	s_delay_alu instid0(VALU_DEP_2)
	v_add_f64 v[1:2], v[1:2], v[8:9]
	s_and_not1_b32 exec_lo, exec_lo, s3
	s_cbranch_execnz .LBB118_229
; %bb.230:
	s_or_b32 exec_lo, exec_lo, s3
	v_mov_b32_e32 v5, 0
	ds_load_b128 v[5:8], v5 offset:864
	s_waitcnt lgkmcnt(0)
	v_mul_f64 v[9:10], v[1:2], v[7:8]
	v_mul_f64 v[7:8], v[3:4], v[7:8]
	s_delay_alu instid0(VALU_DEP_2) | instskip(NEXT) | instid1(VALU_DEP_2)
	v_fma_f64 v[3:4], v[3:4], v[5:6], -v[9:10]
	v_fma_f64 v[5:6], v[1:2], v[5:6], v[7:8]
	scratch_store_b128 off, v[3:6], off offset:864
.LBB118_231:
	s_or_b32 exec_lo, exec_lo, s2
	s_mov_b32 s3, -1
	s_waitcnt_vscnt null, 0x0
	s_barrier
	buffer_gl0_inv
.LBB118_232:
	s_and_b32 vcc_lo, exec_lo, s3
	s_cbranch_vccz .LBB118_234
; %bb.233:
	s_lshl_b64 s[2:3], s[10:11], 2
	v_mov_b32_e32 v1, 0
	s_add_u32 s2, s6, s2
	s_addc_u32 s3, s7, s3
	global_load_b32 v1, v1, s[2:3]
	s_waitcnt vmcnt(0)
	v_cmp_ne_u32_e32 vcc_lo, 0, v1
	s_cbranch_vccz .LBB118_235
.LBB118_234:
	s_endpgm
.LBB118_235:
	v_lshl_add_u32 v211, v156, 4, 0x370
	s_mov_b32 s2, exec_lo
	v_cmpx_eq_u32_e32 54, v156
	s_cbranch_execz .LBB118_237
; %bb.236:
	scratch_load_b128 v[1:4], v159, off
	v_mov_b32_e32 v5, 0
	s_delay_alu instid0(VALU_DEP_1)
	v_mov_b32_e32 v6, v5
	v_mov_b32_e32 v7, v5
	;; [unrolled: 1-line block ×3, first 2 shown]
	scratch_store_b128 off, v[5:8], off offset:848
	s_waitcnt vmcnt(0)
	ds_store_b128 v211, v[1:4]
.LBB118_237:
	s_or_b32 exec_lo, exec_lo, s2
	s_waitcnt lgkmcnt(0)
	s_waitcnt_vscnt null, 0x0
	s_barrier
	buffer_gl0_inv
	s_clause 0x1
	scratch_load_b128 v[2:5], off, off offset:864
	scratch_load_b128 v[6:9], off, off offset:848
	v_mov_b32_e32 v1, 0
	s_mov_b32 s2, exec_lo
	ds_load_b128 v[10:13], v1 offset:1744
	s_waitcnt vmcnt(1) lgkmcnt(0)
	v_mul_f64 v[14:15], v[12:13], v[4:5]
	v_mul_f64 v[4:5], v[10:11], v[4:5]
	s_delay_alu instid0(VALU_DEP_2) | instskip(NEXT) | instid1(VALU_DEP_2)
	v_fma_f64 v[10:11], v[10:11], v[2:3], -v[14:15]
	v_fma_f64 v[2:3], v[12:13], v[2:3], v[4:5]
	s_delay_alu instid0(VALU_DEP_2) | instskip(NEXT) | instid1(VALU_DEP_2)
	v_add_f64 v[4:5], v[10:11], 0
	v_add_f64 v[10:11], v[2:3], 0
	s_waitcnt vmcnt(0)
	s_delay_alu instid0(VALU_DEP_2) | instskip(NEXT) | instid1(VALU_DEP_2)
	v_add_f64 v[2:3], v[6:7], -v[4:5]
	v_add_f64 v[4:5], v[8:9], -v[10:11]
	scratch_store_b128 off, v[2:5], off offset:848
	v_cmpx_lt_u32_e32 52, v156
	s_cbranch_execz .LBB118_239
; %bb.238:
	scratch_load_b128 v[5:8], v162, off
	v_mov_b32_e32 v2, v1
	v_mov_b32_e32 v3, v1
	;; [unrolled: 1-line block ×3, first 2 shown]
	scratch_store_b128 off, v[1:4], off offset:832
	s_waitcnt vmcnt(0)
	ds_store_b128 v211, v[5:8]
.LBB118_239:
	s_or_b32 exec_lo, exec_lo, s2
	s_waitcnt lgkmcnt(0)
	s_waitcnt_vscnt null, 0x0
	s_barrier
	buffer_gl0_inv
	s_clause 0x2
	scratch_load_b128 v[2:5], off, off offset:848
	scratch_load_b128 v[6:9], off, off offset:864
	;; [unrolled: 1-line block ×3, first 2 shown]
	ds_load_b128 v[14:17], v1 offset:1728
	ds_load_b128 v[18:21], v1 offset:1744
	s_mov_b32 s2, exec_lo
	s_waitcnt vmcnt(2) lgkmcnt(1)
	v_mul_f64 v[22:23], v[16:17], v[4:5]
	v_mul_f64 v[4:5], v[14:15], v[4:5]
	s_waitcnt vmcnt(1) lgkmcnt(0)
	v_mul_f64 v[24:25], v[18:19], v[8:9]
	v_mul_f64 v[8:9], v[20:21], v[8:9]
	s_delay_alu instid0(VALU_DEP_4) | instskip(NEXT) | instid1(VALU_DEP_4)
	v_fma_f64 v[14:15], v[14:15], v[2:3], -v[22:23]
	v_fma_f64 v[1:2], v[16:17], v[2:3], v[4:5]
	s_delay_alu instid0(VALU_DEP_4) | instskip(NEXT) | instid1(VALU_DEP_4)
	v_fma_f64 v[3:4], v[20:21], v[6:7], v[24:25]
	v_fma_f64 v[5:6], v[18:19], v[6:7], -v[8:9]
	s_delay_alu instid0(VALU_DEP_4) | instskip(NEXT) | instid1(VALU_DEP_4)
	v_add_f64 v[7:8], v[14:15], 0
	v_add_f64 v[1:2], v[1:2], 0
	s_delay_alu instid0(VALU_DEP_2) | instskip(NEXT) | instid1(VALU_DEP_2)
	v_add_f64 v[5:6], v[7:8], v[5:6]
	v_add_f64 v[3:4], v[1:2], v[3:4]
	s_waitcnt vmcnt(0)
	s_delay_alu instid0(VALU_DEP_2) | instskip(NEXT) | instid1(VALU_DEP_2)
	v_add_f64 v[1:2], v[10:11], -v[5:6]
	v_add_f64 v[3:4], v[12:13], -v[3:4]
	scratch_store_b128 off, v[1:4], off offset:832
	v_cmpx_lt_u32_e32 51, v156
	s_cbranch_execz .LBB118_241
; %bb.240:
	scratch_load_b128 v[1:4], v164, off
	v_mov_b32_e32 v5, 0
	s_delay_alu instid0(VALU_DEP_1)
	v_mov_b32_e32 v6, v5
	v_mov_b32_e32 v7, v5
	;; [unrolled: 1-line block ×3, first 2 shown]
	scratch_store_b128 off, v[5:8], off offset:816
	s_waitcnt vmcnt(0)
	ds_store_b128 v211, v[1:4]
.LBB118_241:
	s_or_b32 exec_lo, exec_lo, s2
	s_waitcnt lgkmcnt(0)
	s_waitcnt_vscnt null, 0x0
	s_barrier
	buffer_gl0_inv
	s_clause 0x3
	scratch_load_b128 v[2:5], off, off offset:832
	scratch_load_b128 v[6:9], off, off offset:848
	;; [unrolled: 1-line block ×4, first 2 shown]
	v_mov_b32_e32 v1, 0
	ds_load_b128 v[18:21], v1 offset:1712
	ds_load_b128 v[22:25], v1 offset:1728
	s_mov_b32 s2, exec_lo
	s_waitcnt vmcnt(3) lgkmcnt(1)
	v_mul_f64 v[26:27], v[20:21], v[4:5]
	v_mul_f64 v[4:5], v[18:19], v[4:5]
	s_waitcnt vmcnt(2) lgkmcnt(0)
	v_mul_f64 v[28:29], v[22:23], v[8:9]
	v_mul_f64 v[8:9], v[24:25], v[8:9]
	s_delay_alu instid0(VALU_DEP_4) | instskip(NEXT) | instid1(VALU_DEP_4)
	v_fma_f64 v[18:19], v[18:19], v[2:3], -v[26:27]
	v_fma_f64 v[20:21], v[20:21], v[2:3], v[4:5]
	ds_load_b128 v[2:5], v1 offset:1744
	v_fma_f64 v[24:25], v[24:25], v[6:7], v[28:29]
	v_fma_f64 v[6:7], v[22:23], v[6:7], -v[8:9]
	s_waitcnt vmcnt(1) lgkmcnt(0)
	v_mul_f64 v[26:27], v[2:3], v[12:13]
	v_mul_f64 v[12:13], v[4:5], v[12:13]
	v_add_f64 v[8:9], v[18:19], 0
	v_add_f64 v[18:19], v[20:21], 0
	s_delay_alu instid0(VALU_DEP_4) | instskip(NEXT) | instid1(VALU_DEP_4)
	v_fma_f64 v[4:5], v[4:5], v[10:11], v[26:27]
	v_fma_f64 v[2:3], v[2:3], v[10:11], -v[12:13]
	s_delay_alu instid0(VALU_DEP_4) | instskip(NEXT) | instid1(VALU_DEP_4)
	v_add_f64 v[6:7], v[8:9], v[6:7]
	v_add_f64 v[8:9], v[18:19], v[24:25]
	s_delay_alu instid0(VALU_DEP_2) | instskip(NEXT) | instid1(VALU_DEP_2)
	v_add_f64 v[2:3], v[6:7], v[2:3]
	v_add_f64 v[4:5], v[8:9], v[4:5]
	s_waitcnt vmcnt(0)
	s_delay_alu instid0(VALU_DEP_2) | instskip(NEXT) | instid1(VALU_DEP_2)
	v_add_f64 v[2:3], v[14:15], -v[2:3]
	v_add_f64 v[4:5], v[16:17], -v[4:5]
	scratch_store_b128 off, v[2:5], off offset:816
	v_cmpx_lt_u32_e32 50, v156
	s_cbranch_execz .LBB118_243
; %bb.242:
	scratch_load_b128 v[5:8], v166, off
	v_mov_b32_e32 v2, v1
	v_mov_b32_e32 v3, v1
	;; [unrolled: 1-line block ×3, first 2 shown]
	scratch_store_b128 off, v[1:4], off offset:800
	s_waitcnt vmcnt(0)
	ds_store_b128 v211, v[5:8]
.LBB118_243:
	s_or_b32 exec_lo, exec_lo, s2
	s_waitcnt lgkmcnt(0)
	s_waitcnt_vscnt null, 0x0
	s_barrier
	buffer_gl0_inv
	s_clause 0x4
	scratch_load_b128 v[2:5], off, off offset:816
	scratch_load_b128 v[6:9], off, off offset:832
	;; [unrolled: 1-line block ×5, first 2 shown]
	ds_load_b128 v[22:25], v1 offset:1696
	ds_load_b128 v[26:29], v1 offset:1712
	s_mov_b32 s2, exec_lo
	s_waitcnt vmcnt(4) lgkmcnt(1)
	v_mul_f64 v[30:31], v[24:25], v[4:5]
	v_mul_f64 v[4:5], v[22:23], v[4:5]
	s_waitcnt vmcnt(3) lgkmcnt(0)
	v_mul_f64 v[32:33], v[26:27], v[8:9]
	v_mul_f64 v[8:9], v[28:29], v[8:9]
	s_delay_alu instid0(VALU_DEP_4) | instskip(NEXT) | instid1(VALU_DEP_4)
	v_fma_f64 v[30:31], v[22:23], v[2:3], -v[30:31]
	v_fma_f64 v[34:35], v[24:25], v[2:3], v[4:5]
	ds_load_b128 v[2:5], v1 offset:1728
	ds_load_b128 v[22:25], v1 offset:1744
	v_fma_f64 v[28:29], v[28:29], v[6:7], v[32:33]
	v_fma_f64 v[6:7], v[26:27], v[6:7], -v[8:9]
	s_waitcnt vmcnt(2) lgkmcnt(1)
	v_mul_f64 v[36:37], v[2:3], v[12:13]
	v_mul_f64 v[12:13], v[4:5], v[12:13]
	v_add_f64 v[8:9], v[30:31], 0
	v_add_f64 v[26:27], v[34:35], 0
	s_waitcnt vmcnt(1) lgkmcnt(0)
	v_mul_f64 v[30:31], v[22:23], v[16:17]
	v_mul_f64 v[16:17], v[24:25], v[16:17]
	v_fma_f64 v[4:5], v[4:5], v[10:11], v[36:37]
	v_fma_f64 v[1:2], v[2:3], v[10:11], -v[12:13]
	v_add_f64 v[6:7], v[8:9], v[6:7]
	v_add_f64 v[8:9], v[26:27], v[28:29]
	v_fma_f64 v[10:11], v[24:25], v[14:15], v[30:31]
	v_fma_f64 v[12:13], v[22:23], v[14:15], -v[16:17]
	s_delay_alu instid0(VALU_DEP_4) | instskip(NEXT) | instid1(VALU_DEP_4)
	v_add_f64 v[1:2], v[6:7], v[1:2]
	v_add_f64 v[3:4], v[8:9], v[4:5]
	s_delay_alu instid0(VALU_DEP_2) | instskip(NEXT) | instid1(VALU_DEP_2)
	v_add_f64 v[1:2], v[1:2], v[12:13]
	v_add_f64 v[3:4], v[3:4], v[10:11]
	s_waitcnt vmcnt(0)
	s_delay_alu instid0(VALU_DEP_2) | instskip(NEXT) | instid1(VALU_DEP_2)
	v_add_f64 v[1:2], v[18:19], -v[1:2]
	v_add_f64 v[3:4], v[20:21], -v[3:4]
	scratch_store_b128 off, v[1:4], off offset:800
	v_cmpx_lt_u32_e32 49, v156
	s_cbranch_execz .LBB118_245
; %bb.244:
	scratch_load_b128 v[1:4], v168, off
	v_mov_b32_e32 v5, 0
	s_delay_alu instid0(VALU_DEP_1)
	v_mov_b32_e32 v6, v5
	v_mov_b32_e32 v7, v5
	;; [unrolled: 1-line block ×3, first 2 shown]
	scratch_store_b128 off, v[5:8], off offset:784
	s_waitcnt vmcnt(0)
	ds_store_b128 v211, v[1:4]
.LBB118_245:
	s_or_b32 exec_lo, exec_lo, s2
	s_waitcnt lgkmcnt(0)
	s_waitcnt_vscnt null, 0x0
	s_barrier
	buffer_gl0_inv
	s_clause 0x5
	scratch_load_b128 v[2:5], off, off offset:800
	scratch_load_b128 v[6:9], off, off offset:816
	;; [unrolled: 1-line block ×6, first 2 shown]
	v_mov_b32_e32 v1, 0
	ds_load_b128 v[26:29], v1 offset:1680
	ds_load_b128 v[30:33], v1 offset:1696
	s_mov_b32 s2, exec_lo
	s_waitcnt vmcnt(5) lgkmcnt(1)
	v_mul_f64 v[34:35], v[28:29], v[4:5]
	v_mul_f64 v[4:5], v[26:27], v[4:5]
	s_waitcnt vmcnt(4) lgkmcnt(0)
	v_mul_f64 v[36:37], v[30:31], v[8:9]
	v_mul_f64 v[8:9], v[32:33], v[8:9]
	s_delay_alu instid0(VALU_DEP_4) | instskip(NEXT) | instid1(VALU_DEP_4)
	v_fma_f64 v[34:35], v[26:27], v[2:3], -v[34:35]
	v_fma_f64 v[38:39], v[28:29], v[2:3], v[4:5]
	ds_load_b128 v[2:5], v1 offset:1712
	ds_load_b128 v[26:29], v1 offset:1728
	v_fma_f64 v[32:33], v[32:33], v[6:7], v[36:37]
	v_fma_f64 v[6:7], v[30:31], v[6:7], -v[8:9]
	s_waitcnt vmcnt(3) lgkmcnt(1)
	v_mul_f64 v[40:41], v[2:3], v[12:13]
	v_mul_f64 v[12:13], v[4:5], v[12:13]
	v_add_f64 v[8:9], v[34:35], 0
	v_add_f64 v[30:31], v[38:39], 0
	s_waitcnt vmcnt(2) lgkmcnt(0)
	v_mul_f64 v[34:35], v[26:27], v[16:17]
	v_mul_f64 v[16:17], v[28:29], v[16:17]
	v_fma_f64 v[36:37], v[4:5], v[10:11], v[40:41]
	v_fma_f64 v[10:11], v[2:3], v[10:11], -v[12:13]
	ds_load_b128 v[2:5], v1 offset:1744
	v_add_f64 v[6:7], v[8:9], v[6:7]
	v_add_f64 v[8:9], v[30:31], v[32:33]
	v_fma_f64 v[28:29], v[28:29], v[14:15], v[34:35]
	v_fma_f64 v[14:15], v[26:27], v[14:15], -v[16:17]
	s_waitcnt vmcnt(1) lgkmcnt(0)
	v_mul_f64 v[12:13], v[2:3], v[20:21]
	v_mul_f64 v[20:21], v[4:5], v[20:21]
	v_add_f64 v[6:7], v[6:7], v[10:11]
	v_add_f64 v[8:9], v[8:9], v[36:37]
	s_delay_alu instid0(VALU_DEP_4) | instskip(NEXT) | instid1(VALU_DEP_4)
	v_fma_f64 v[4:5], v[4:5], v[18:19], v[12:13]
	v_fma_f64 v[2:3], v[2:3], v[18:19], -v[20:21]
	s_delay_alu instid0(VALU_DEP_4) | instskip(NEXT) | instid1(VALU_DEP_4)
	v_add_f64 v[6:7], v[6:7], v[14:15]
	v_add_f64 v[8:9], v[8:9], v[28:29]
	s_delay_alu instid0(VALU_DEP_2) | instskip(NEXT) | instid1(VALU_DEP_2)
	v_add_f64 v[2:3], v[6:7], v[2:3]
	v_add_f64 v[4:5], v[8:9], v[4:5]
	s_waitcnt vmcnt(0)
	s_delay_alu instid0(VALU_DEP_2) | instskip(NEXT) | instid1(VALU_DEP_2)
	v_add_f64 v[2:3], v[22:23], -v[2:3]
	v_add_f64 v[4:5], v[24:25], -v[4:5]
	scratch_store_b128 off, v[2:5], off offset:784
	v_cmpx_lt_u32_e32 48, v156
	s_cbranch_execz .LBB118_247
; %bb.246:
	scratch_load_b128 v[5:8], v171, off
	v_mov_b32_e32 v2, v1
	v_mov_b32_e32 v3, v1
	;; [unrolled: 1-line block ×3, first 2 shown]
	scratch_store_b128 off, v[1:4], off offset:768
	s_waitcnt vmcnt(0)
	ds_store_b128 v211, v[5:8]
.LBB118_247:
	s_or_b32 exec_lo, exec_lo, s2
	s_waitcnt lgkmcnt(0)
	s_waitcnt_vscnt null, 0x0
	s_barrier
	buffer_gl0_inv
	s_clause 0x5
	scratch_load_b128 v[2:5], off, off offset:784
	scratch_load_b128 v[6:9], off, off offset:800
	;; [unrolled: 1-line block ×6, first 2 shown]
	ds_load_b128 v[26:29], v1 offset:1664
	ds_load_b128 v[34:37], v1 offset:1680
	scratch_load_b128 v[30:33], off, off offset:768
	s_mov_b32 s2, exec_lo
	s_waitcnt vmcnt(6) lgkmcnt(1)
	v_mul_f64 v[38:39], v[28:29], v[4:5]
	v_mul_f64 v[4:5], v[26:27], v[4:5]
	s_waitcnt vmcnt(5) lgkmcnt(0)
	v_mul_f64 v[40:41], v[34:35], v[8:9]
	v_mul_f64 v[8:9], v[36:37], v[8:9]
	s_delay_alu instid0(VALU_DEP_4) | instskip(NEXT) | instid1(VALU_DEP_4)
	v_fma_f64 v[38:39], v[26:27], v[2:3], -v[38:39]
	v_fma_f64 v[42:43], v[28:29], v[2:3], v[4:5]
	ds_load_b128 v[2:5], v1 offset:1696
	ds_load_b128 v[26:29], v1 offset:1712
	v_fma_f64 v[36:37], v[36:37], v[6:7], v[40:41]
	v_fma_f64 v[6:7], v[34:35], v[6:7], -v[8:9]
	s_waitcnt vmcnt(4) lgkmcnt(1)
	v_mul_f64 v[44:45], v[2:3], v[12:13]
	v_mul_f64 v[12:13], v[4:5], v[12:13]
	v_add_f64 v[8:9], v[38:39], 0
	v_add_f64 v[34:35], v[42:43], 0
	s_waitcnt vmcnt(3) lgkmcnt(0)
	v_mul_f64 v[38:39], v[26:27], v[16:17]
	v_mul_f64 v[16:17], v[28:29], v[16:17]
	v_fma_f64 v[40:41], v[4:5], v[10:11], v[44:45]
	v_fma_f64 v[10:11], v[2:3], v[10:11], -v[12:13]
	v_add_f64 v[12:13], v[8:9], v[6:7]
	v_add_f64 v[34:35], v[34:35], v[36:37]
	ds_load_b128 v[2:5], v1 offset:1728
	ds_load_b128 v[6:9], v1 offset:1744
	v_fma_f64 v[28:29], v[28:29], v[14:15], v[38:39]
	v_fma_f64 v[14:15], v[26:27], v[14:15], -v[16:17]
	s_waitcnt vmcnt(2) lgkmcnt(1)
	v_mul_f64 v[36:37], v[2:3], v[20:21]
	v_mul_f64 v[20:21], v[4:5], v[20:21]
	s_waitcnt vmcnt(1) lgkmcnt(0)
	v_mul_f64 v[16:17], v[6:7], v[24:25]
	v_mul_f64 v[24:25], v[8:9], v[24:25]
	v_add_f64 v[10:11], v[12:13], v[10:11]
	v_add_f64 v[12:13], v[34:35], v[40:41]
	v_fma_f64 v[4:5], v[4:5], v[18:19], v[36:37]
	v_fma_f64 v[1:2], v[2:3], v[18:19], -v[20:21]
	v_fma_f64 v[8:9], v[8:9], v[22:23], v[16:17]
	v_fma_f64 v[6:7], v[6:7], v[22:23], -v[24:25]
	v_add_f64 v[10:11], v[10:11], v[14:15]
	v_add_f64 v[12:13], v[12:13], v[28:29]
	s_delay_alu instid0(VALU_DEP_2) | instskip(NEXT) | instid1(VALU_DEP_2)
	v_add_f64 v[1:2], v[10:11], v[1:2]
	v_add_f64 v[3:4], v[12:13], v[4:5]
	s_delay_alu instid0(VALU_DEP_2) | instskip(NEXT) | instid1(VALU_DEP_2)
	v_add_f64 v[1:2], v[1:2], v[6:7]
	v_add_f64 v[3:4], v[3:4], v[8:9]
	s_waitcnt vmcnt(0)
	s_delay_alu instid0(VALU_DEP_2) | instskip(NEXT) | instid1(VALU_DEP_2)
	v_add_f64 v[1:2], v[30:31], -v[1:2]
	v_add_f64 v[3:4], v[32:33], -v[3:4]
	scratch_store_b128 off, v[1:4], off offset:768
	v_cmpx_lt_u32_e32 47, v156
	s_cbranch_execz .LBB118_249
; %bb.248:
	scratch_load_b128 v[1:4], v157, off
	v_mov_b32_e32 v5, 0
	s_delay_alu instid0(VALU_DEP_1)
	v_mov_b32_e32 v6, v5
	v_mov_b32_e32 v7, v5
	v_mov_b32_e32 v8, v5
	scratch_store_b128 off, v[5:8], off offset:752
	s_waitcnt vmcnt(0)
	ds_store_b128 v211, v[1:4]
.LBB118_249:
	s_or_b32 exec_lo, exec_lo, s2
	s_waitcnt lgkmcnt(0)
	s_waitcnt_vscnt null, 0x0
	s_barrier
	buffer_gl0_inv
	s_clause 0x6
	scratch_load_b128 v[2:5], off, off offset:768
	scratch_load_b128 v[6:9], off, off offset:784
	scratch_load_b128 v[10:13], off, off offset:800
	scratch_load_b128 v[14:17], off, off offset:816
	scratch_load_b128 v[18:21], off, off offset:832
	scratch_load_b128 v[22:25], off, off offset:848
	scratch_load_b128 v[26:29], off, off offset:864
	v_mov_b32_e32 v1, 0
	scratch_load_b128 v[38:41], off, off offset:752
	s_mov_b32 s2, exec_lo
	ds_load_b128 v[30:33], v1 offset:1648
	ds_load_b128 v[34:37], v1 offset:1664
	s_waitcnt vmcnt(7) lgkmcnt(1)
	v_mul_f64 v[42:43], v[32:33], v[4:5]
	v_mul_f64 v[4:5], v[30:31], v[4:5]
	s_waitcnt vmcnt(6) lgkmcnt(0)
	v_mul_f64 v[44:45], v[34:35], v[8:9]
	v_mul_f64 v[8:9], v[36:37], v[8:9]
	s_delay_alu instid0(VALU_DEP_4) | instskip(NEXT) | instid1(VALU_DEP_4)
	v_fma_f64 v[30:31], v[30:31], v[2:3], -v[42:43]
	v_fma_f64 v[32:33], v[32:33], v[2:3], v[4:5]
	ds_load_b128 v[2:5], v1 offset:1680
	v_fma_f64 v[36:37], v[36:37], v[6:7], v[44:45]
	v_fma_f64 v[34:35], v[34:35], v[6:7], -v[8:9]
	ds_load_b128 v[6:9], v1 offset:1696
	s_waitcnt vmcnt(5) lgkmcnt(1)
	v_mul_f64 v[42:43], v[2:3], v[12:13]
	v_mul_f64 v[12:13], v[4:5], v[12:13]
	s_waitcnt vmcnt(4) lgkmcnt(0)
	v_mul_f64 v[44:45], v[6:7], v[16:17]
	v_mul_f64 v[16:17], v[8:9], v[16:17]
	v_add_f64 v[30:31], v[30:31], 0
	v_add_f64 v[32:33], v[32:33], 0
	v_fma_f64 v[42:43], v[4:5], v[10:11], v[42:43]
	v_fma_f64 v[10:11], v[2:3], v[10:11], -v[12:13]
	ds_load_b128 v[2:5], v1 offset:1712
	v_add_f64 v[12:13], v[30:31], v[34:35]
	v_add_f64 v[30:31], v[32:33], v[36:37]
	v_fma_f64 v[34:35], v[8:9], v[14:15], v[44:45]
	v_fma_f64 v[14:15], v[6:7], v[14:15], -v[16:17]
	ds_load_b128 v[6:9], v1 offset:1728
	s_waitcnt vmcnt(3) lgkmcnt(1)
	v_mul_f64 v[32:33], v[2:3], v[20:21]
	v_mul_f64 v[20:21], v[4:5], v[20:21]
	s_waitcnt vmcnt(2) lgkmcnt(0)
	v_mul_f64 v[16:17], v[6:7], v[24:25]
	v_mul_f64 v[24:25], v[8:9], v[24:25]
	v_add_f64 v[10:11], v[12:13], v[10:11]
	v_add_f64 v[12:13], v[30:31], v[42:43]
	v_fma_f64 v[30:31], v[4:5], v[18:19], v[32:33]
	v_fma_f64 v[18:19], v[2:3], v[18:19], -v[20:21]
	ds_load_b128 v[2:5], v1 offset:1744
	v_fma_f64 v[8:9], v[8:9], v[22:23], v[16:17]
	v_fma_f64 v[6:7], v[6:7], v[22:23], -v[24:25]
	s_waitcnt vmcnt(1) lgkmcnt(0)
	v_mul_f64 v[20:21], v[4:5], v[28:29]
	v_add_f64 v[10:11], v[10:11], v[14:15]
	v_add_f64 v[12:13], v[12:13], v[34:35]
	v_mul_f64 v[14:15], v[2:3], v[28:29]
	s_delay_alu instid0(VALU_DEP_4) | instskip(NEXT) | instid1(VALU_DEP_4)
	v_fma_f64 v[2:3], v[2:3], v[26:27], -v[20:21]
	v_add_f64 v[10:11], v[10:11], v[18:19]
	s_delay_alu instid0(VALU_DEP_4) | instskip(NEXT) | instid1(VALU_DEP_4)
	v_add_f64 v[12:13], v[12:13], v[30:31]
	v_fma_f64 v[4:5], v[4:5], v[26:27], v[14:15]
	s_delay_alu instid0(VALU_DEP_3) | instskip(NEXT) | instid1(VALU_DEP_3)
	v_add_f64 v[6:7], v[10:11], v[6:7]
	v_add_f64 v[8:9], v[12:13], v[8:9]
	s_delay_alu instid0(VALU_DEP_2) | instskip(NEXT) | instid1(VALU_DEP_2)
	v_add_f64 v[2:3], v[6:7], v[2:3]
	v_add_f64 v[4:5], v[8:9], v[4:5]
	s_waitcnt vmcnt(0)
	s_delay_alu instid0(VALU_DEP_2) | instskip(NEXT) | instid1(VALU_DEP_2)
	v_add_f64 v[2:3], v[38:39], -v[2:3]
	v_add_f64 v[4:5], v[40:41], -v[4:5]
	scratch_store_b128 off, v[2:5], off offset:752
	v_cmpx_lt_u32_e32 46, v156
	s_cbranch_execz .LBB118_251
; %bb.250:
	scratch_load_b128 v[5:8], v160, off
	v_mov_b32_e32 v2, v1
	v_mov_b32_e32 v3, v1
	;; [unrolled: 1-line block ×3, first 2 shown]
	scratch_store_b128 off, v[1:4], off offset:736
	s_waitcnt vmcnt(0)
	ds_store_b128 v211, v[5:8]
.LBB118_251:
	s_or_b32 exec_lo, exec_lo, s2
	s_waitcnt lgkmcnt(0)
	s_waitcnt_vscnt null, 0x0
	s_barrier
	buffer_gl0_inv
	s_clause 0x7
	scratch_load_b128 v[2:5], off, off offset:752
	scratch_load_b128 v[6:9], off, off offset:768
	;; [unrolled: 1-line block ×8, first 2 shown]
	ds_load_b128 v[34:37], v1 offset:1632
	ds_load_b128 v[38:41], v1 offset:1648
	s_mov_b32 s2, exec_lo
	s_waitcnt vmcnt(7) lgkmcnt(1)
	v_mul_f64 v[42:43], v[36:37], v[4:5]
	v_mul_f64 v[4:5], v[34:35], v[4:5]
	s_waitcnt vmcnt(6) lgkmcnt(0)
	v_mul_f64 v[44:45], v[38:39], v[8:9]
	v_mul_f64 v[8:9], v[40:41], v[8:9]
	s_delay_alu instid0(VALU_DEP_4) | instskip(NEXT) | instid1(VALU_DEP_4)
	v_fma_f64 v[42:43], v[34:35], v[2:3], -v[42:43]
	v_fma_f64 v[169:170], v[36:37], v[2:3], v[4:5]
	ds_load_b128 v[2:5], v1 offset:1664
	scratch_load_b128 v[34:37], off, off offset:736
	v_fma_f64 v[40:41], v[40:41], v[6:7], v[44:45]
	v_fma_f64 v[38:39], v[38:39], v[6:7], -v[8:9]
	ds_load_b128 v[6:9], v1 offset:1680
	s_waitcnt vmcnt(6) lgkmcnt(1)
	v_mul_f64 v[172:173], v[2:3], v[12:13]
	v_mul_f64 v[12:13], v[4:5], v[12:13]
	v_add_f64 v[42:43], v[42:43], 0
	v_add_f64 v[44:45], v[169:170], 0
	s_waitcnt vmcnt(5) lgkmcnt(0)
	v_mul_f64 v[169:170], v[6:7], v[16:17]
	v_mul_f64 v[16:17], v[8:9], v[16:17]
	v_fma_f64 v[172:173], v[4:5], v[10:11], v[172:173]
	v_fma_f64 v[10:11], v[2:3], v[10:11], -v[12:13]
	ds_load_b128 v[2:5], v1 offset:1696
	v_add_f64 v[12:13], v[42:43], v[38:39]
	v_add_f64 v[38:39], v[44:45], v[40:41]
	v_fma_f64 v[42:43], v[8:9], v[14:15], v[169:170]
	v_fma_f64 v[14:15], v[6:7], v[14:15], -v[16:17]
	ds_load_b128 v[6:9], v1 offset:1712
	s_waitcnt vmcnt(4) lgkmcnt(1)
	v_mul_f64 v[40:41], v[2:3], v[20:21]
	v_mul_f64 v[20:21], v[4:5], v[20:21]
	s_waitcnt vmcnt(3) lgkmcnt(0)
	v_mul_f64 v[16:17], v[6:7], v[24:25]
	v_mul_f64 v[24:25], v[8:9], v[24:25]
	v_add_f64 v[10:11], v[12:13], v[10:11]
	v_add_f64 v[12:13], v[38:39], v[172:173]
	v_fma_f64 v[38:39], v[4:5], v[18:19], v[40:41]
	v_fma_f64 v[18:19], v[2:3], v[18:19], -v[20:21]
	ds_load_b128 v[2:5], v1 offset:1728
	v_fma_f64 v[16:17], v[8:9], v[22:23], v[16:17]
	v_fma_f64 v[22:23], v[6:7], v[22:23], -v[24:25]
	ds_load_b128 v[6:9], v1 offset:1744
	s_waitcnt vmcnt(2) lgkmcnt(1)
	v_mul_f64 v[20:21], v[4:5], v[28:29]
	v_add_f64 v[10:11], v[10:11], v[14:15]
	v_add_f64 v[12:13], v[12:13], v[42:43]
	v_mul_f64 v[14:15], v[2:3], v[28:29]
	s_waitcnt vmcnt(1) lgkmcnt(0)
	v_mul_f64 v[24:25], v[8:9], v[32:33]
	v_fma_f64 v[1:2], v[2:3], v[26:27], -v[20:21]
	v_add_f64 v[10:11], v[10:11], v[18:19]
	v_add_f64 v[12:13], v[12:13], v[38:39]
	v_mul_f64 v[18:19], v[6:7], v[32:33]
	v_fma_f64 v[4:5], v[4:5], v[26:27], v[14:15]
	v_fma_f64 v[6:7], v[6:7], v[30:31], -v[24:25]
	v_add_f64 v[10:11], v[10:11], v[22:23]
	v_add_f64 v[12:13], v[12:13], v[16:17]
	v_fma_f64 v[8:9], v[8:9], v[30:31], v[18:19]
	s_delay_alu instid0(VALU_DEP_3) | instskip(NEXT) | instid1(VALU_DEP_3)
	v_add_f64 v[1:2], v[10:11], v[1:2]
	v_add_f64 v[3:4], v[12:13], v[4:5]
	s_delay_alu instid0(VALU_DEP_2) | instskip(NEXT) | instid1(VALU_DEP_2)
	v_add_f64 v[1:2], v[1:2], v[6:7]
	v_add_f64 v[3:4], v[3:4], v[8:9]
	s_waitcnt vmcnt(0)
	s_delay_alu instid0(VALU_DEP_2) | instskip(NEXT) | instid1(VALU_DEP_2)
	v_add_f64 v[1:2], v[34:35], -v[1:2]
	v_add_f64 v[3:4], v[36:37], -v[3:4]
	scratch_store_b128 off, v[1:4], off offset:736
	v_cmpx_lt_u32_e32 45, v156
	s_cbranch_execz .LBB118_253
; %bb.252:
	scratch_load_b128 v[1:4], v161, off
	v_mov_b32_e32 v5, 0
	s_delay_alu instid0(VALU_DEP_1)
	v_mov_b32_e32 v6, v5
	v_mov_b32_e32 v7, v5
	;; [unrolled: 1-line block ×3, first 2 shown]
	scratch_store_b128 off, v[5:8], off offset:720
	s_waitcnt vmcnt(0)
	ds_store_b128 v211, v[1:4]
.LBB118_253:
	s_or_b32 exec_lo, exec_lo, s2
	s_waitcnt lgkmcnt(0)
	s_waitcnt_vscnt null, 0x0
	s_barrier
	buffer_gl0_inv
	s_clause 0x7
	scratch_load_b128 v[2:5], off, off offset:736
	scratch_load_b128 v[6:9], off, off offset:752
	;; [unrolled: 1-line block ×8, first 2 shown]
	v_mov_b32_e32 v1, 0
	s_mov_b32 s2, exec_lo
	ds_load_b128 v[34:37], v1 offset:1616
	s_clause 0x1
	scratch_load_b128 v[38:41], off, off offset:864
	scratch_load_b128 v[42:45], off, off offset:720
	ds_load_b128 v[172:175], v1 offset:1632
	s_waitcnt vmcnt(9) lgkmcnt(1)
	v_mul_f64 v[169:170], v[36:37], v[4:5]
	v_mul_f64 v[4:5], v[34:35], v[4:5]
	s_waitcnt vmcnt(8) lgkmcnt(0)
	v_mul_f64 v[176:177], v[172:173], v[8:9]
	v_mul_f64 v[8:9], v[174:175], v[8:9]
	s_delay_alu instid0(VALU_DEP_4) | instskip(NEXT) | instid1(VALU_DEP_4)
	v_fma_f64 v[169:170], v[34:35], v[2:3], -v[169:170]
	v_fma_f64 v[178:179], v[36:37], v[2:3], v[4:5]
	ds_load_b128 v[2:5], v1 offset:1648
	ds_load_b128 v[34:37], v1 offset:1664
	v_fma_f64 v[174:175], v[174:175], v[6:7], v[176:177]
	v_fma_f64 v[6:7], v[172:173], v[6:7], -v[8:9]
	s_waitcnt vmcnt(7) lgkmcnt(1)
	v_mul_f64 v[180:181], v[2:3], v[12:13]
	v_mul_f64 v[12:13], v[4:5], v[12:13]
	s_waitcnt vmcnt(6) lgkmcnt(0)
	v_mul_f64 v[172:173], v[34:35], v[16:17]
	v_mul_f64 v[16:17], v[36:37], v[16:17]
	v_add_f64 v[8:9], v[169:170], 0
	v_add_f64 v[169:170], v[178:179], 0
	v_fma_f64 v[176:177], v[4:5], v[10:11], v[180:181]
	v_fma_f64 v[10:11], v[2:3], v[10:11], -v[12:13]
	v_fma_f64 v[36:37], v[36:37], v[14:15], v[172:173]
	v_fma_f64 v[14:15], v[34:35], v[14:15], -v[16:17]
	v_add_f64 v[12:13], v[8:9], v[6:7]
	v_add_f64 v[169:170], v[169:170], v[174:175]
	ds_load_b128 v[2:5], v1 offset:1680
	ds_load_b128 v[6:9], v1 offset:1696
	s_waitcnt vmcnt(5) lgkmcnt(1)
	v_mul_f64 v[174:175], v[2:3], v[20:21]
	v_mul_f64 v[20:21], v[4:5], v[20:21]
	s_waitcnt vmcnt(4) lgkmcnt(0)
	v_mul_f64 v[16:17], v[6:7], v[24:25]
	v_mul_f64 v[24:25], v[8:9], v[24:25]
	v_add_f64 v[10:11], v[12:13], v[10:11]
	v_add_f64 v[12:13], v[169:170], v[176:177]
	v_fma_f64 v[34:35], v[4:5], v[18:19], v[174:175]
	v_fma_f64 v[18:19], v[2:3], v[18:19], -v[20:21]
	v_fma_f64 v[8:9], v[8:9], v[22:23], v[16:17]
	v_fma_f64 v[6:7], v[6:7], v[22:23], -v[24:25]
	v_add_f64 v[14:15], v[10:11], v[14:15]
	v_add_f64 v[20:21], v[12:13], v[36:37]
	ds_load_b128 v[2:5], v1 offset:1712
	ds_load_b128 v[10:13], v1 offset:1728
	s_waitcnt vmcnt(3) lgkmcnt(1)
	v_mul_f64 v[36:37], v[2:3], v[28:29]
	v_mul_f64 v[28:29], v[4:5], v[28:29]
	v_add_f64 v[14:15], v[14:15], v[18:19]
	v_add_f64 v[16:17], v[20:21], v[34:35]
	s_waitcnt vmcnt(2) lgkmcnt(0)
	v_mul_f64 v[18:19], v[10:11], v[32:33]
	v_mul_f64 v[20:21], v[12:13], v[32:33]
	v_fma_f64 v[22:23], v[4:5], v[26:27], v[36:37]
	v_fma_f64 v[24:25], v[2:3], v[26:27], -v[28:29]
	ds_load_b128 v[2:5], v1 offset:1744
	v_add_f64 v[6:7], v[14:15], v[6:7]
	v_add_f64 v[8:9], v[16:17], v[8:9]
	v_fma_f64 v[12:13], v[12:13], v[30:31], v[18:19]
	v_fma_f64 v[10:11], v[10:11], v[30:31], -v[20:21]
	s_waitcnt vmcnt(1) lgkmcnt(0)
	v_mul_f64 v[14:15], v[2:3], v[40:41]
	v_mul_f64 v[16:17], v[4:5], v[40:41]
	v_add_f64 v[6:7], v[6:7], v[24:25]
	v_add_f64 v[8:9], v[8:9], v[22:23]
	s_delay_alu instid0(VALU_DEP_4) | instskip(NEXT) | instid1(VALU_DEP_4)
	v_fma_f64 v[4:5], v[4:5], v[38:39], v[14:15]
	v_fma_f64 v[2:3], v[2:3], v[38:39], -v[16:17]
	s_delay_alu instid0(VALU_DEP_4) | instskip(NEXT) | instid1(VALU_DEP_4)
	v_add_f64 v[6:7], v[6:7], v[10:11]
	v_add_f64 v[8:9], v[8:9], v[12:13]
	s_delay_alu instid0(VALU_DEP_2) | instskip(NEXT) | instid1(VALU_DEP_2)
	v_add_f64 v[2:3], v[6:7], v[2:3]
	v_add_f64 v[4:5], v[8:9], v[4:5]
	s_waitcnt vmcnt(0)
	s_delay_alu instid0(VALU_DEP_2) | instskip(NEXT) | instid1(VALU_DEP_2)
	v_add_f64 v[2:3], v[42:43], -v[2:3]
	v_add_f64 v[4:5], v[44:45], -v[4:5]
	scratch_store_b128 off, v[2:5], off offset:720
	v_cmpx_lt_u32_e32 44, v156
	s_cbranch_execz .LBB118_255
; %bb.254:
	scratch_load_b128 v[5:8], v163, off
	v_mov_b32_e32 v2, v1
	v_mov_b32_e32 v3, v1
	;; [unrolled: 1-line block ×3, first 2 shown]
	scratch_store_b128 off, v[1:4], off offset:704
	s_waitcnt vmcnt(0)
	ds_store_b128 v211, v[5:8]
.LBB118_255:
	s_or_b32 exec_lo, exec_lo, s2
	s_waitcnt lgkmcnt(0)
	s_waitcnt_vscnt null, 0x0
	s_barrier
	buffer_gl0_inv
	s_clause 0x8
	scratch_load_b128 v[2:5], off, off offset:720
	scratch_load_b128 v[6:9], off, off offset:736
	;; [unrolled: 1-line block ×9, first 2 shown]
	ds_load_b128 v[38:41], v1 offset:1600
	ds_load_b128 v[42:45], v1 offset:1616
	s_clause 0x1
	scratch_load_b128 v[172:175], off, off offset:704
	scratch_load_b128 v[176:179], off, off offset:864
	s_mov_b32 s2, exec_lo
	s_waitcnt vmcnt(10) lgkmcnt(1)
	v_mul_f64 v[169:170], v[40:41], v[4:5]
	v_mul_f64 v[4:5], v[38:39], v[4:5]
	s_waitcnt vmcnt(9) lgkmcnt(0)
	v_mul_f64 v[180:181], v[42:43], v[8:9]
	v_mul_f64 v[8:9], v[44:45], v[8:9]
	s_delay_alu instid0(VALU_DEP_4) | instskip(NEXT) | instid1(VALU_DEP_4)
	v_fma_f64 v[169:170], v[38:39], v[2:3], -v[169:170]
	v_fma_f64 v[182:183], v[40:41], v[2:3], v[4:5]
	ds_load_b128 v[2:5], v1 offset:1632
	ds_load_b128 v[38:41], v1 offset:1648
	v_fma_f64 v[44:45], v[44:45], v[6:7], v[180:181]
	v_fma_f64 v[6:7], v[42:43], v[6:7], -v[8:9]
	s_waitcnt vmcnt(8) lgkmcnt(1)
	v_mul_f64 v[229:230], v[2:3], v[12:13]
	v_mul_f64 v[12:13], v[4:5], v[12:13]
	v_add_f64 v[8:9], v[169:170], 0
	v_add_f64 v[42:43], v[182:183], 0
	s_waitcnt vmcnt(7) lgkmcnt(0)
	v_mul_f64 v[169:170], v[38:39], v[16:17]
	v_mul_f64 v[16:17], v[40:41], v[16:17]
	v_fma_f64 v[180:181], v[4:5], v[10:11], v[229:230]
	v_fma_f64 v[10:11], v[2:3], v[10:11], -v[12:13]
	v_add_f64 v[12:13], v[8:9], v[6:7]
	v_add_f64 v[42:43], v[42:43], v[44:45]
	ds_load_b128 v[2:5], v1 offset:1664
	ds_load_b128 v[6:9], v1 offset:1680
	v_fma_f64 v[40:41], v[40:41], v[14:15], v[169:170]
	v_fma_f64 v[14:15], v[38:39], v[14:15], -v[16:17]
	s_waitcnt vmcnt(6) lgkmcnt(1)
	v_mul_f64 v[44:45], v[2:3], v[20:21]
	v_mul_f64 v[20:21], v[4:5], v[20:21]
	s_waitcnt vmcnt(5) lgkmcnt(0)
	v_mul_f64 v[16:17], v[6:7], v[24:25]
	v_mul_f64 v[24:25], v[8:9], v[24:25]
	v_add_f64 v[10:11], v[12:13], v[10:11]
	v_add_f64 v[12:13], v[42:43], v[180:181]
	v_fma_f64 v[38:39], v[4:5], v[18:19], v[44:45]
	v_fma_f64 v[18:19], v[2:3], v[18:19], -v[20:21]
	v_fma_f64 v[8:9], v[8:9], v[22:23], v[16:17]
	v_fma_f64 v[6:7], v[6:7], v[22:23], -v[24:25]
	v_add_f64 v[14:15], v[10:11], v[14:15]
	v_add_f64 v[20:21], v[12:13], v[40:41]
	ds_load_b128 v[2:5], v1 offset:1696
	ds_load_b128 v[10:13], v1 offset:1712
	s_waitcnt vmcnt(4) lgkmcnt(1)
	v_mul_f64 v[40:41], v[2:3], v[28:29]
	v_mul_f64 v[28:29], v[4:5], v[28:29]
	v_add_f64 v[14:15], v[14:15], v[18:19]
	v_add_f64 v[16:17], v[20:21], v[38:39]
	s_waitcnt vmcnt(3) lgkmcnt(0)
	v_mul_f64 v[18:19], v[10:11], v[32:33]
	v_mul_f64 v[20:21], v[12:13], v[32:33]
	v_fma_f64 v[22:23], v[4:5], v[26:27], v[40:41]
	v_fma_f64 v[24:25], v[2:3], v[26:27], -v[28:29]
	v_add_f64 v[14:15], v[14:15], v[6:7]
	v_add_f64 v[16:17], v[16:17], v[8:9]
	ds_load_b128 v[2:5], v1 offset:1728
	ds_load_b128 v[6:9], v1 offset:1744
	v_fma_f64 v[12:13], v[12:13], v[30:31], v[18:19]
	v_fma_f64 v[10:11], v[10:11], v[30:31], -v[20:21]
	s_waitcnt vmcnt(2) lgkmcnt(1)
	v_mul_f64 v[26:27], v[2:3], v[36:37]
	v_mul_f64 v[28:29], v[4:5], v[36:37]
	s_waitcnt vmcnt(0) lgkmcnt(0)
	v_mul_f64 v[18:19], v[6:7], v[178:179]
	v_mul_f64 v[20:21], v[8:9], v[178:179]
	v_add_f64 v[14:15], v[14:15], v[24:25]
	v_add_f64 v[16:17], v[16:17], v[22:23]
	v_fma_f64 v[4:5], v[4:5], v[34:35], v[26:27]
	v_fma_f64 v[1:2], v[2:3], v[34:35], -v[28:29]
	v_fma_f64 v[8:9], v[8:9], v[176:177], v[18:19]
	v_fma_f64 v[6:7], v[6:7], v[176:177], -v[20:21]
	v_add_f64 v[10:11], v[14:15], v[10:11]
	v_add_f64 v[12:13], v[16:17], v[12:13]
	s_delay_alu instid0(VALU_DEP_2) | instskip(NEXT) | instid1(VALU_DEP_2)
	v_add_f64 v[1:2], v[10:11], v[1:2]
	v_add_f64 v[3:4], v[12:13], v[4:5]
	s_delay_alu instid0(VALU_DEP_2) | instskip(NEXT) | instid1(VALU_DEP_2)
	;; [unrolled: 3-line block ×3, first 2 shown]
	v_add_f64 v[1:2], v[172:173], -v[1:2]
	v_add_f64 v[3:4], v[174:175], -v[3:4]
	scratch_store_b128 off, v[1:4], off offset:704
	v_cmpx_lt_u32_e32 43, v156
	s_cbranch_execz .LBB118_257
; %bb.256:
	scratch_load_b128 v[1:4], v212, off
	v_mov_b32_e32 v5, 0
	s_delay_alu instid0(VALU_DEP_1)
	v_mov_b32_e32 v6, v5
	v_mov_b32_e32 v7, v5
	;; [unrolled: 1-line block ×3, first 2 shown]
	scratch_store_b128 off, v[5:8], off offset:688
	s_waitcnt vmcnt(0)
	ds_store_b128 v211, v[1:4]
.LBB118_257:
	s_or_b32 exec_lo, exec_lo, s2
	s_waitcnt lgkmcnt(0)
	s_waitcnt_vscnt null, 0x0
	s_barrier
	buffer_gl0_inv
	s_clause 0x7
	scratch_load_b128 v[2:5], off, off offset:704
	scratch_load_b128 v[6:9], off, off offset:720
	;; [unrolled: 1-line block ×8, first 2 shown]
	v_mov_b32_e32 v1, 0
	s_mov_b32 s2, exec_lo
	ds_load_b128 v[34:37], v1 offset:1584
	s_clause 0x1
	scratch_load_b128 v[38:41], off, off offset:832
	scratch_load_b128 v[42:45], off, off offset:688
	ds_load_b128 v[172:175], v1 offset:1600
	scratch_load_b128 v[176:179], off, off offset:848
	ds_load_b128 v[180:183], v1 offset:1632
	s_waitcnt vmcnt(10) lgkmcnt(2)
	v_mul_f64 v[169:170], v[36:37], v[4:5]
	v_mul_f64 v[4:5], v[34:35], v[4:5]
	s_delay_alu instid0(VALU_DEP_2) | instskip(NEXT) | instid1(VALU_DEP_2)
	v_fma_f64 v[169:170], v[34:35], v[2:3], -v[169:170]
	v_fma_f64 v[231:232], v[36:37], v[2:3], v[4:5]
	scratch_load_b128 v[34:37], off, off offset:864
	ds_load_b128 v[2:5], v1 offset:1616
	s_waitcnt vmcnt(10) lgkmcnt(2)
	v_mul_f64 v[229:230], v[172:173], v[8:9]
	v_mul_f64 v[8:9], v[174:175], v[8:9]
	s_waitcnt vmcnt(9) lgkmcnt(0)
	v_mul_f64 v[233:234], v[2:3], v[12:13]
	v_mul_f64 v[12:13], v[4:5], v[12:13]
	s_delay_alu instid0(VALU_DEP_4) | instskip(NEXT) | instid1(VALU_DEP_4)
	v_fma_f64 v[174:175], v[174:175], v[6:7], v[229:230]
	v_fma_f64 v[6:7], v[172:173], v[6:7], -v[8:9]
	v_add_f64 v[8:9], v[169:170], 0
	v_add_f64 v[169:170], v[231:232], 0
	s_waitcnt vmcnt(8)
	v_mul_f64 v[172:173], v[180:181], v[16:17]
	v_mul_f64 v[16:17], v[182:183], v[16:17]
	v_fma_f64 v[229:230], v[4:5], v[10:11], v[233:234]
	v_fma_f64 v[10:11], v[2:3], v[10:11], -v[12:13]
	v_add_f64 v[12:13], v[8:9], v[6:7]
	v_add_f64 v[169:170], v[169:170], v[174:175]
	ds_load_b128 v[2:5], v1 offset:1648
	ds_load_b128 v[6:9], v1 offset:1664
	v_fma_f64 v[172:173], v[182:183], v[14:15], v[172:173]
	v_fma_f64 v[14:15], v[180:181], v[14:15], -v[16:17]
	s_waitcnt vmcnt(7) lgkmcnt(1)
	v_mul_f64 v[174:175], v[2:3], v[20:21]
	v_mul_f64 v[20:21], v[4:5], v[20:21]
	s_waitcnt vmcnt(6) lgkmcnt(0)
	v_mul_f64 v[16:17], v[6:7], v[24:25]
	v_mul_f64 v[24:25], v[8:9], v[24:25]
	v_add_f64 v[10:11], v[12:13], v[10:11]
	v_add_f64 v[12:13], v[169:170], v[229:230]
	v_fma_f64 v[169:170], v[4:5], v[18:19], v[174:175]
	v_fma_f64 v[18:19], v[2:3], v[18:19], -v[20:21]
	v_fma_f64 v[8:9], v[8:9], v[22:23], v[16:17]
	v_fma_f64 v[6:7], v[6:7], v[22:23], -v[24:25]
	v_add_f64 v[14:15], v[10:11], v[14:15]
	v_add_f64 v[20:21], v[12:13], v[172:173]
	ds_load_b128 v[2:5], v1 offset:1680
	ds_load_b128 v[10:13], v1 offset:1696
	s_waitcnt vmcnt(5) lgkmcnt(1)
	v_mul_f64 v[172:173], v[2:3], v[28:29]
	v_mul_f64 v[28:29], v[4:5], v[28:29]
	v_add_f64 v[14:15], v[14:15], v[18:19]
	v_add_f64 v[16:17], v[20:21], v[169:170]
	s_waitcnt vmcnt(4) lgkmcnt(0)
	v_mul_f64 v[18:19], v[10:11], v[32:33]
	v_mul_f64 v[20:21], v[12:13], v[32:33]
	v_fma_f64 v[22:23], v[4:5], v[26:27], v[172:173]
	v_fma_f64 v[24:25], v[2:3], v[26:27], -v[28:29]
	v_add_f64 v[14:15], v[14:15], v[6:7]
	v_add_f64 v[16:17], v[16:17], v[8:9]
	ds_load_b128 v[2:5], v1 offset:1712
	ds_load_b128 v[6:9], v1 offset:1728
	v_fma_f64 v[12:13], v[12:13], v[30:31], v[18:19]
	v_fma_f64 v[10:11], v[10:11], v[30:31], -v[20:21]
	s_waitcnt vmcnt(3) lgkmcnt(1)
	v_mul_f64 v[26:27], v[2:3], v[40:41]
	v_mul_f64 v[28:29], v[4:5], v[40:41]
	s_waitcnt vmcnt(1) lgkmcnt(0)
	v_mul_f64 v[18:19], v[6:7], v[178:179]
	v_mul_f64 v[20:21], v[8:9], v[178:179]
	v_add_f64 v[14:15], v[14:15], v[24:25]
	v_add_f64 v[16:17], v[16:17], v[22:23]
	v_fma_f64 v[22:23], v[4:5], v[38:39], v[26:27]
	v_fma_f64 v[24:25], v[2:3], v[38:39], -v[28:29]
	ds_load_b128 v[2:5], v1 offset:1744
	v_fma_f64 v[8:9], v[8:9], v[176:177], v[18:19]
	v_fma_f64 v[6:7], v[6:7], v[176:177], -v[20:21]
	v_add_f64 v[10:11], v[14:15], v[10:11]
	v_add_f64 v[12:13], v[16:17], v[12:13]
	s_waitcnt vmcnt(0) lgkmcnt(0)
	v_mul_f64 v[14:15], v[2:3], v[36:37]
	v_mul_f64 v[16:17], v[4:5], v[36:37]
	s_delay_alu instid0(VALU_DEP_4) | instskip(NEXT) | instid1(VALU_DEP_4)
	v_add_f64 v[10:11], v[10:11], v[24:25]
	v_add_f64 v[12:13], v[12:13], v[22:23]
	s_delay_alu instid0(VALU_DEP_4) | instskip(NEXT) | instid1(VALU_DEP_4)
	v_fma_f64 v[4:5], v[4:5], v[34:35], v[14:15]
	v_fma_f64 v[2:3], v[2:3], v[34:35], -v[16:17]
	s_delay_alu instid0(VALU_DEP_4) | instskip(NEXT) | instid1(VALU_DEP_4)
	v_add_f64 v[6:7], v[10:11], v[6:7]
	v_add_f64 v[8:9], v[12:13], v[8:9]
	s_delay_alu instid0(VALU_DEP_2) | instskip(NEXT) | instid1(VALU_DEP_2)
	v_add_f64 v[2:3], v[6:7], v[2:3]
	v_add_f64 v[4:5], v[8:9], v[4:5]
	s_delay_alu instid0(VALU_DEP_2) | instskip(NEXT) | instid1(VALU_DEP_2)
	v_add_f64 v[2:3], v[42:43], -v[2:3]
	v_add_f64 v[4:5], v[44:45], -v[4:5]
	scratch_store_b128 off, v[2:5], off offset:688
	v_cmpx_lt_u32_e32 42, v156
	s_cbranch_execz .LBB118_259
; %bb.258:
	scratch_load_b128 v[5:8], v213, off
	v_mov_b32_e32 v2, v1
	v_mov_b32_e32 v3, v1
	;; [unrolled: 1-line block ×3, first 2 shown]
	scratch_store_b128 off, v[1:4], off offset:672
	s_waitcnt vmcnt(0)
	ds_store_b128 v211, v[5:8]
.LBB118_259:
	s_or_b32 exec_lo, exec_lo, s2
	s_waitcnt lgkmcnt(0)
	s_waitcnt_vscnt null, 0x0
	s_barrier
	buffer_gl0_inv
	s_clause 0x8
	scratch_load_b128 v[2:5], off, off offset:688
	scratch_load_b128 v[6:9], off, off offset:704
	;; [unrolled: 1-line block ×9, first 2 shown]
	ds_load_b128 v[38:41], v1 offset:1568
	ds_load_b128 v[42:45], v1 offset:1584
	s_clause 0x1
	scratch_load_b128 v[172:175], off, off offset:672
	scratch_load_b128 v[176:179], off, off offset:832
	s_mov_b32 s2, exec_lo
	ds_load_b128 v[180:183], v1 offset:1616
	s_waitcnt vmcnt(10) lgkmcnt(2)
	v_mul_f64 v[169:170], v[40:41], v[4:5]
	v_mul_f64 v[4:5], v[38:39], v[4:5]
	s_waitcnt vmcnt(9) lgkmcnt(1)
	v_mul_f64 v[229:230], v[42:43], v[8:9]
	v_mul_f64 v[8:9], v[44:45], v[8:9]
	s_delay_alu instid0(VALU_DEP_4) | instskip(NEXT) | instid1(VALU_DEP_4)
	v_fma_f64 v[169:170], v[38:39], v[2:3], -v[169:170]
	v_fma_f64 v[231:232], v[40:41], v[2:3], v[4:5]
	ds_load_b128 v[2:5], v1 offset:1600
	scratch_load_b128 v[38:41], off, off offset:848
	v_fma_f64 v[44:45], v[44:45], v[6:7], v[229:230]
	v_fma_f64 v[42:43], v[42:43], v[6:7], -v[8:9]
	scratch_load_b128 v[6:9], off, off offset:864
	s_waitcnt vmcnt(10) lgkmcnt(0)
	v_mul_f64 v[233:234], v[2:3], v[12:13]
	v_mul_f64 v[12:13], v[4:5], v[12:13]
	v_add_f64 v[169:170], v[169:170], 0
	v_add_f64 v[229:230], v[231:232], 0
	s_waitcnt vmcnt(9)
	v_mul_f64 v[231:232], v[180:181], v[16:17]
	v_mul_f64 v[16:17], v[182:183], v[16:17]
	v_fma_f64 v[233:234], v[4:5], v[10:11], v[233:234]
	v_fma_f64 v[235:236], v[2:3], v[10:11], -v[12:13]
	ds_load_b128 v[2:5], v1 offset:1632
	ds_load_b128 v[10:13], v1 offset:1648
	v_add_f64 v[42:43], v[169:170], v[42:43]
	v_add_f64 v[44:45], v[229:230], v[44:45]
	v_fma_f64 v[182:183], v[182:183], v[14:15], v[231:232]
	v_fma_f64 v[14:15], v[180:181], v[14:15], -v[16:17]
	s_waitcnt vmcnt(8) lgkmcnt(1)
	v_mul_f64 v[169:170], v[2:3], v[20:21]
	v_mul_f64 v[20:21], v[4:5], v[20:21]
	v_add_f64 v[16:17], v[42:43], v[235:236]
	v_add_f64 v[42:43], v[44:45], v[233:234]
	s_waitcnt vmcnt(7) lgkmcnt(0)
	v_mul_f64 v[44:45], v[10:11], v[24:25]
	v_mul_f64 v[24:25], v[12:13], v[24:25]
	v_fma_f64 v[169:170], v[4:5], v[18:19], v[169:170]
	v_fma_f64 v[18:19], v[2:3], v[18:19], -v[20:21]
	v_add_f64 v[20:21], v[16:17], v[14:15]
	v_add_f64 v[42:43], v[42:43], v[182:183]
	ds_load_b128 v[2:5], v1 offset:1664
	ds_load_b128 v[14:17], v1 offset:1680
	v_fma_f64 v[12:13], v[12:13], v[22:23], v[44:45]
	v_fma_f64 v[10:11], v[10:11], v[22:23], -v[24:25]
	s_waitcnt vmcnt(6) lgkmcnt(1)
	v_mul_f64 v[180:181], v[2:3], v[28:29]
	v_mul_f64 v[28:29], v[4:5], v[28:29]
	s_waitcnt vmcnt(5) lgkmcnt(0)
	v_mul_f64 v[22:23], v[14:15], v[32:33]
	v_mul_f64 v[24:25], v[16:17], v[32:33]
	v_add_f64 v[18:19], v[20:21], v[18:19]
	v_add_f64 v[20:21], v[42:43], v[169:170]
	v_fma_f64 v[32:33], v[4:5], v[26:27], v[180:181]
	v_fma_f64 v[26:27], v[2:3], v[26:27], -v[28:29]
	v_fma_f64 v[16:17], v[16:17], v[30:31], v[22:23]
	v_fma_f64 v[14:15], v[14:15], v[30:31], -v[24:25]
	v_add_f64 v[18:19], v[18:19], v[10:11]
	v_add_f64 v[20:21], v[20:21], v[12:13]
	ds_load_b128 v[2:5], v1 offset:1696
	ds_load_b128 v[10:13], v1 offset:1712
	s_waitcnt vmcnt(4) lgkmcnt(1)
	v_mul_f64 v[28:29], v[2:3], v[36:37]
	v_mul_f64 v[36:37], v[4:5], v[36:37]
	s_waitcnt vmcnt(2) lgkmcnt(0)
	v_mul_f64 v[22:23], v[10:11], v[178:179]
	v_mul_f64 v[24:25], v[12:13], v[178:179]
	v_add_f64 v[18:19], v[18:19], v[26:27]
	v_add_f64 v[20:21], v[20:21], v[32:33]
	v_fma_f64 v[26:27], v[4:5], v[34:35], v[28:29]
	v_fma_f64 v[28:29], v[2:3], v[34:35], -v[36:37]
	v_fma_f64 v[12:13], v[12:13], v[176:177], v[22:23]
	v_fma_f64 v[10:11], v[10:11], v[176:177], -v[24:25]
	v_add_f64 v[18:19], v[18:19], v[14:15]
	v_add_f64 v[20:21], v[20:21], v[16:17]
	ds_load_b128 v[2:5], v1 offset:1728
	ds_load_b128 v[14:17], v1 offset:1744
	s_waitcnt vmcnt(1) lgkmcnt(1)
	v_mul_f64 v[30:31], v[2:3], v[40:41]
	v_mul_f64 v[32:33], v[4:5], v[40:41]
	s_waitcnt vmcnt(0) lgkmcnt(0)
	v_mul_f64 v[22:23], v[14:15], v[8:9]
	v_mul_f64 v[8:9], v[16:17], v[8:9]
	v_add_f64 v[18:19], v[18:19], v[28:29]
	v_add_f64 v[20:21], v[20:21], v[26:27]
	v_fma_f64 v[4:5], v[4:5], v[38:39], v[30:31]
	v_fma_f64 v[1:2], v[2:3], v[38:39], -v[32:33]
	v_fma_f64 v[16:17], v[16:17], v[6:7], v[22:23]
	v_fma_f64 v[6:7], v[14:15], v[6:7], -v[8:9]
	v_add_f64 v[10:11], v[18:19], v[10:11]
	v_add_f64 v[12:13], v[20:21], v[12:13]
	s_delay_alu instid0(VALU_DEP_2) | instskip(NEXT) | instid1(VALU_DEP_2)
	v_add_f64 v[1:2], v[10:11], v[1:2]
	v_add_f64 v[3:4], v[12:13], v[4:5]
	s_delay_alu instid0(VALU_DEP_2) | instskip(NEXT) | instid1(VALU_DEP_2)
	;; [unrolled: 3-line block ×3, first 2 shown]
	v_add_f64 v[1:2], v[172:173], -v[1:2]
	v_add_f64 v[3:4], v[174:175], -v[3:4]
	scratch_store_b128 off, v[1:4], off offset:672
	v_cmpx_lt_u32_e32 41, v156
	s_cbranch_execz .LBB118_261
; %bb.260:
	scratch_load_b128 v[1:4], v214, off
	v_mov_b32_e32 v5, 0
	s_delay_alu instid0(VALU_DEP_1)
	v_mov_b32_e32 v6, v5
	v_mov_b32_e32 v7, v5
	;; [unrolled: 1-line block ×3, first 2 shown]
	scratch_store_b128 off, v[5:8], off offset:656
	s_waitcnt vmcnt(0)
	ds_store_b128 v211, v[1:4]
.LBB118_261:
	s_or_b32 exec_lo, exec_lo, s2
	s_waitcnt lgkmcnt(0)
	s_waitcnt_vscnt null, 0x0
	s_barrier
	buffer_gl0_inv
	s_clause 0x7
	scratch_load_b128 v[2:5], off, off offset:672
	scratch_load_b128 v[6:9], off, off offset:688
	scratch_load_b128 v[10:13], off, off offset:704
	scratch_load_b128 v[14:17], off, off offset:720
	scratch_load_b128 v[18:21], off, off offset:736
	scratch_load_b128 v[22:25], off, off offset:752
	scratch_load_b128 v[26:29], off, off offset:768
	scratch_load_b128 v[30:33], off, off offset:784
	v_mov_b32_e32 v1, 0
	s_mov_b32 s2, exec_lo
	ds_load_b128 v[34:37], v1 offset:1552
	s_clause 0x1
	scratch_load_b128 v[38:41], off, off offset:800
	scratch_load_b128 v[42:45], off, off offset:656
	ds_load_b128 v[172:175], v1 offset:1568
	scratch_load_b128 v[176:179], off, off offset:816
	ds_load_b128 v[180:183], v1 offset:1600
	s_waitcnt vmcnt(10) lgkmcnt(2)
	v_mul_f64 v[169:170], v[36:37], v[4:5]
	v_mul_f64 v[4:5], v[34:35], v[4:5]
	s_delay_alu instid0(VALU_DEP_2) | instskip(NEXT) | instid1(VALU_DEP_2)
	v_fma_f64 v[169:170], v[34:35], v[2:3], -v[169:170]
	v_fma_f64 v[231:232], v[36:37], v[2:3], v[4:5]
	ds_load_b128 v[2:5], v1 offset:1584
	s_waitcnt vmcnt(9) lgkmcnt(2)
	v_mul_f64 v[229:230], v[172:173], v[8:9]
	v_mul_f64 v[8:9], v[174:175], v[8:9]
	scratch_load_b128 v[34:37], off, off offset:832
	s_waitcnt vmcnt(9) lgkmcnt(0)
	v_mul_f64 v[233:234], v[2:3], v[12:13]
	v_mul_f64 v[12:13], v[4:5], v[12:13]
	v_add_f64 v[169:170], v[169:170], 0
	v_fma_f64 v[174:175], v[174:175], v[6:7], v[229:230]
	v_fma_f64 v[172:173], v[172:173], v[6:7], -v[8:9]
	v_add_f64 v[229:230], v[231:232], 0
	scratch_load_b128 v[6:9], off, off offset:848
	v_fma_f64 v[233:234], v[4:5], v[10:11], v[233:234]
	v_fma_f64 v[235:236], v[2:3], v[10:11], -v[12:13]
	scratch_load_b128 v[10:13], off, off offset:864
	ds_load_b128 v[2:5], v1 offset:1616
	s_waitcnt vmcnt(10)
	v_mul_f64 v[231:232], v[180:181], v[16:17]
	v_mul_f64 v[16:17], v[182:183], v[16:17]
	v_add_f64 v[169:170], v[169:170], v[172:173]
	v_add_f64 v[229:230], v[229:230], v[174:175]
	ds_load_b128 v[172:175], v1 offset:1632
	s_waitcnt vmcnt(9) lgkmcnt(1)
	v_mul_f64 v[237:238], v[2:3], v[20:21]
	v_mul_f64 v[20:21], v[4:5], v[20:21]
	v_fma_f64 v[182:183], v[182:183], v[14:15], v[231:232]
	v_fma_f64 v[14:15], v[180:181], v[14:15], -v[16:17]
	s_waitcnt vmcnt(8) lgkmcnt(0)
	v_mul_f64 v[180:181], v[172:173], v[24:25]
	v_mul_f64 v[24:25], v[174:175], v[24:25]
	v_add_f64 v[16:17], v[169:170], v[235:236]
	v_add_f64 v[169:170], v[229:230], v[233:234]
	v_fma_f64 v[229:230], v[4:5], v[18:19], v[237:238]
	v_fma_f64 v[18:19], v[2:3], v[18:19], -v[20:21]
	v_fma_f64 v[174:175], v[174:175], v[22:23], v[180:181]
	v_fma_f64 v[22:23], v[172:173], v[22:23], -v[24:25]
	v_add_f64 v[20:21], v[16:17], v[14:15]
	v_add_f64 v[169:170], v[169:170], v[182:183]
	ds_load_b128 v[2:5], v1 offset:1648
	ds_load_b128 v[14:17], v1 offset:1664
	s_waitcnt vmcnt(7) lgkmcnt(1)
	v_mul_f64 v[182:183], v[2:3], v[28:29]
	v_mul_f64 v[28:29], v[4:5], v[28:29]
	s_waitcnt vmcnt(6) lgkmcnt(0)
	v_mul_f64 v[24:25], v[14:15], v[32:33]
	v_mul_f64 v[32:33], v[16:17], v[32:33]
	v_add_f64 v[18:19], v[20:21], v[18:19]
	v_add_f64 v[20:21], v[169:170], v[229:230]
	v_fma_f64 v[169:170], v[4:5], v[26:27], v[182:183]
	v_fma_f64 v[26:27], v[2:3], v[26:27], -v[28:29]
	v_fma_f64 v[16:17], v[16:17], v[30:31], v[24:25]
	v_fma_f64 v[14:15], v[14:15], v[30:31], -v[32:33]
	v_add_f64 v[22:23], v[18:19], v[22:23]
	v_add_f64 v[28:29], v[20:21], v[174:175]
	ds_load_b128 v[2:5], v1 offset:1680
	ds_load_b128 v[18:21], v1 offset:1696
	s_waitcnt vmcnt(5) lgkmcnt(1)
	v_mul_f64 v[172:173], v[2:3], v[40:41]
	v_mul_f64 v[40:41], v[4:5], v[40:41]
	v_add_f64 v[22:23], v[22:23], v[26:27]
	v_add_f64 v[24:25], v[28:29], v[169:170]
	s_waitcnt vmcnt(3) lgkmcnt(0)
	v_mul_f64 v[26:27], v[18:19], v[178:179]
	v_mul_f64 v[28:29], v[20:21], v[178:179]
	v_fma_f64 v[30:31], v[4:5], v[38:39], v[172:173]
	v_fma_f64 v[32:33], v[2:3], v[38:39], -v[40:41]
	v_add_f64 v[22:23], v[22:23], v[14:15]
	v_add_f64 v[24:25], v[24:25], v[16:17]
	ds_load_b128 v[2:5], v1 offset:1712
	ds_load_b128 v[14:17], v1 offset:1728
	v_fma_f64 v[20:21], v[20:21], v[176:177], v[26:27]
	v_fma_f64 v[18:19], v[18:19], v[176:177], -v[28:29]
	s_waitcnt vmcnt(2) lgkmcnt(1)
	v_mul_f64 v[38:39], v[2:3], v[36:37]
	v_mul_f64 v[36:37], v[4:5], v[36:37]
	v_add_f64 v[22:23], v[22:23], v[32:33]
	v_add_f64 v[24:25], v[24:25], v[30:31]
	s_waitcnt vmcnt(1) lgkmcnt(0)
	v_mul_f64 v[26:27], v[14:15], v[8:9]
	v_mul_f64 v[8:9], v[16:17], v[8:9]
	v_fma_f64 v[28:29], v[4:5], v[34:35], v[38:39]
	v_fma_f64 v[30:31], v[2:3], v[34:35], -v[36:37]
	ds_load_b128 v[2:5], v1 offset:1744
	v_add_f64 v[18:19], v[22:23], v[18:19]
	v_add_f64 v[20:21], v[24:25], v[20:21]
	s_waitcnt vmcnt(0) lgkmcnt(0)
	v_mul_f64 v[22:23], v[2:3], v[12:13]
	v_mul_f64 v[12:13], v[4:5], v[12:13]
	v_fma_f64 v[16:17], v[16:17], v[6:7], v[26:27]
	v_fma_f64 v[6:7], v[14:15], v[6:7], -v[8:9]
	v_add_f64 v[8:9], v[18:19], v[30:31]
	v_add_f64 v[14:15], v[20:21], v[28:29]
	v_fma_f64 v[4:5], v[4:5], v[10:11], v[22:23]
	v_fma_f64 v[2:3], v[2:3], v[10:11], -v[12:13]
	s_delay_alu instid0(VALU_DEP_4) | instskip(NEXT) | instid1(VALU_DEP_4)
	v_add_f64 v[6:7], v[8:9], v[6:7]
	v_add_f64 v[8:9], v[14:15], v[16:17]
	s_delay_alu instid0(VALU_DEP_2) | instskip(NEXT) | instid1(VALU_DEP_2)
	v_add_f64 v[2:3], v[6:7], v[2:3]
	v_add_f64 v[4:5], v[8:9], v[4:5]
	s_delay_alu instid0(VALU_DEP_2) | instskip(NEXT) | instid1(VALU_DEP_2)
	v_add_f64 v[2:3], v[42:43], -v[2:3]
	v_add_f64 v[4:5], v[44:45], -v[4:5]
	scratch_store_b128 off, v[2:5], off offset:656
	v_cmpx_lt_u32_e32 40, v156
	s_cbranch_execz .LBB118_263
; %bb.262:
	scratch_load_b128 v[5:8], v215, off
	v_mov_b32_e32 v2, v1
	v_mov_b32_e32 v3, v1
	;; [unrolled: 1-line block ×3, first 2 shown]
	scratch_store_b128 off, v[1:4], off offset:640
	s_waitcnt vmcnt(0)
	ds_store_b128 v211, v[5:8]
.LBB118_263:
	s_or_b32 exec_lo, exec_lo, s2
	s_waitcnt lgkmcnt(0)
	s_waitcnt_vscnt null, 0x0
	s_barrier
	buffer_gl0_inv
	s_clause 0x8
	scratch_load_b128 v[2:5], off, off offset:656
	scratch_load_b128 v[6:9], off, off offset:672
	;; [unrolled: 1-line block ×9, first 2 shown]
	ds_load_b128 v[38:41], v1 offset:1536
	ds_load_b128 v[42:45], v1 offset:1552
	s_clause 0x1
	scratch_load_b128 v[172:175], off, off offset:640
	scratch_load_b128 v[176:179], off, off offset:800
	s_mov_b32 s2, exec_lo
	ds_load_b128 v[180:183], v1 offset:1584
	s_waitcnt vmcnt(10) lgkmcnt(2)
	v_mul_f64 v[169:170], v[40:41], v[4:5]
	v_mul_f64 v[4:5], v[38:39], v[4:5]
	s_waitcnt vmcnt(9) lgkmcnt(1)
	v_mul_f64 v[229:230], v[42:43], v[8:9]
	v_mul_f64 v[8:9], v[44:45], v[8:9]
	s_delay_alu instid0(VALU_DEP_4) | instskip(NEXT) | instid1(VALU_DEP_4)
	v_fma_f64 v[169:170], v[38:39], v[2:3], -v[169:170]
	v_fma_f64 v[231:232], v[40:41], v[2:3], v[4:5]
	ds_load_b128 v[2:5], v1 offset:1568
	scratch_load_b128 v[38:41], off, off offset:816
	v_fma_f64 v[44:45], v[44:45], v[6:7], v[229:230]
	v_fma_f64 v[42:43], v[42:43], v[6:7], -v[8:9]
	scratch_load_b128 v[6:9], off, off offset:832
	s_waitcnt vmcnt(10) lgkmcnt(0)
	v_mul_f64 v[233:234], v[2:3], v[12:13]
	v_mul_f64 v[12:13], v[4:5], v[12:13]
	v_add_f64 v[169:170], v[169:170], 0
	v_add_f64 v[229:230], v[231:232], 0
	s_waitcnt vmcnt(9)
	v_mul_f64 v[231:232], v[180:181], v[16:17]
	v_mul_f64 v[16:17], v[182:183], v[16:17]
	v_fma_f64 v[233:234], v[4:5], v[10:11], v[233:234]
	v_fma_f64 v[235:236], v[2:3], v[10:11], -v[12:13]
	ds_load_b128 v[2:5], v1 offset:1600
	scratch_load_b128 v[10:13], off, off offset:848
	v_add_f64 v[169:170], v[169:170], v[42:43]
	v_add_f64 v[229:230], v[229:230], v[44:45]
	ds_load_b128 v[42:45], v1 offset:1616
	v_fma_f64 v[182:183], v[182:183], v[14:15], v[231:232]
	v_fma_f64 v[180:181], v[180:181], v[14:15], -v[16:17]
	scratch_load_b128 v[14:17], off, off offset:864
	s_waitcnt vmcnt(10) lgkmcnt(1)
	v_mul_f64 v[237:238], v[2:3], v[20:21]
	v_mul_f64 v[20:21], v[4:5], v[20:21]
	s_waitcnt vmcnt(9) lgkmcnt(0)
	v_mul_f64 v[231:232], v[42:43], v[24:25]
	v_mul_f64 v[24:25], v[44:45], v[24:25]
	v_add_f64 v[169:170], v[169:170], v[235:236]
	v_add_f64 v[229:230], v[229:230], v[233:234]
	v_fma_f64 v[233:234], v[4:5], v[18:19], v[237:238]
	v_fma_f64 v[235:236], v[2:3], v[18:19], -v[20:21]
	ds_load_b128 v[2:5], v1 offset:1632
	ds_load_b128 v[18:21], v1 offset:1648
	v_fma_f64 v[44:45], v[44:45], v[22:23], v[231:232]
	v_fma_f64 v[22:23], v[42:43], v[22:23], -v[24:25]
	v_add_f64 v[169:170], v[169:170], v[180:181]
	v_add_f64 v[180:181], v[229:230], v[182:183]
	s_waitcnt vmcnt(8) lgkmcnt(1)
	v_mul_f64 v[182:183], v[2:3], v[28:29]
	v_mul_f64 v[28:29], v[4:5], v[28:29]
	s_delay_alu instid0(VALU_DEP_4) | instskip(NEXT) | instid1(VALU_DEP_4)
	v_add_f64 v[24:25], v[169:170], v[235:236]
	v_add_f64 v[42:43], v[180:181], v[233:234]
	s_waitcnt vmcnt(7) lgkmcnt(0)
	v_mul_f64 v[169:170], v[18:19], v[32:33]
	v_mul_f64 v[32:33], v[20:21], v[32:33]
	v_fma_f64 v[180:181], v[4:5], v[26:27], v[182:183]
	v_fma_f64 v[26:27], v[2:3], v[26:27], -v[28:29]
	v_add_f64 v[28:29], v[24:25], v[22:23]
	v_add_f64 v[42:43], v[42:43], v[44:45]
	ds_load_b128 v[2:5], v1 offset:1664
	ds_load_b128 v[22:25], v1 offset:1680
	v_fma_f64 v[20:21], v[20:21], v[30:31], v[169:170]
	v_fma_f64 v[18:19], v[18:19], v[30:31], -v[32:33]
	s_waitcnt vmcnt(6) lgkmcnt(1)
	v_mul_f64 v[44:45], v[2:3], v[36:37]
	v_mul_f64 v[36:37], v[4:5], v[36:37]
	s_waitcnt vmcnt(4) lgkmcnt(0)
	v_mul_f64 v[30:31], v[22:23], v[178:179]
	v_mul_f64 v[32:33], v[24:25], v[178:179]
	v_add_f64 v[26:27], v[28:29], v[26:27]
	v_add_f64 v[28:29], v[42:43], v[180:181]
	v_fma_f64 v[42:43], v[4:5], v[34:35], v[44:45]
	v_fma_f64 v[34:35], v[2:3], v[34:35], -v[36:37]
	v_fma_f64 v[24:25], v[24:25], v[176:177], v[30:31]
	v_fma_f64 v[22:23], v[22:23], v[176:177], -v[32:33]
	v_add_f64 v[26:27], v[26:27], v[18:19]
	v_add_f64 v[28:29], v[28:29], v[20:21]
	ds_load_b128 v[2:5], v1 offset:1696
	ds_load_b128 v[18:21], v1 offset:1712
	s_waitcnt vmcnt(3) lgkmcnt(1)
	v_mul_f64 v[36:37], v[2:3], v[40:41]
	v_mul_f64 v[40:41], v[4:5], v[40:41]
	s_waitcnt vmcnt(2) lgkmcnt(0)
	v_mul_f64 v[30:31], v[18:19], v[8:9]
	v_mul_f64 v[8:9], v[20:21], v[8:9]
	v_add_f64 v[26:27], v[26:27], v[34:35]
	v_add_f64 v[28:29], v[28:29], v[42:43]
	v_fma_f64 v[32:33], v[4:5], v[38:39], v[36:37]
	v_fma_f64 v[34:35], v[2:3], v[38:39], -v[40:41]
	v_fma_f64 v[20:21], v[20:21], v[6:7], v[30:31]
	v_fma_f64 v[6:7], v[18:19], v[6:7], -v[8:9]
	v_add_f64 v[26:27], v[26:27], v[22:23]
	v_add_f64 v[28:29], v[28:29], v[24:25]
	ds_load_b128 v[2:5], v1 offset:1728
	ds_load_b128 v[22:25], v1 offset:1744
	s_waitcnt vmcnt(1) lgkmcnt(1)
	v_mul_f64 v[36:37], v[2:3], v[12:13]
	v_mul_f64 v[12:13], v[4:5], v[12:13]
	v_add_f64 v[8:9], v[26:27], v[34:35]
	v_add_f64 v[18:19], v[28:29], v[32:33]
	s_waitcnt vmcnt(0) lgkmcnt(0)
	v_mul_f64 v[26:27], v[22:23], v[16:17]
	v_mul_f64 v[16:17], v[24:25], v[16:17]
	v_fma_f64 v[4:5], v[4:5], v[10:11], v[36:37]
	v_fma_f64 v[1:2], v[2:3], v[10:11], -v[12:13]
	v_add_f64 v[6:7], v[8:9], v[6:7]
	v_add_f64 v[8:9], v[18:19], v[20:21]
	v_fma_f64 v[10:11], v[24:25], v[14:15], v[26:27]
	v_fma_f64 v[12:13], v[22:23], v[14:15], -v[16:17]
	s_delay_alu instid0(VALU_DEP_4) | instskip(NEXT) | instid1(VALU_DEP_4)
	v_add_f64 v[1:2], v[6:7], v[1:2]
	v_add_f64 v[3:4], v[8:9], v[4:5]
	s_delay_alu instid0(VALU_DEP_2) | instskip(NEXT) | instid1(VALU_DEP_2)
	v_add_f64 v[1:2], v[1:2], v[12:13]
	v_add_f64 v[3:4], v[3:4], v[10:11]
	s_delay_alu instid0(VALU_DEP_2) | instskip(NEXT) | instid1(VALU_DEP_2)
	v_add_f64 v[1:2], v[172:173], -v[1:2]
	v_add_f64 v[3:4], v[174:175], -v[3:4]
	scratch_store_b128 off, v[1:4], off offset:640
	v_cmpx_lt_u32_e32 39, v156
	s_cbranch_execz .LBB118_265
; %bb.264:
	scratch_load_b128 v[1:4], v216, off
	v_mov_b32_e32 v5, 0
	s_delay_alu instid0(VALU_DEP_1)
	v_mov_b32_e32 v6, v5
	v_mov_b32_e32 v7, v5
	;; [unrolled: 1-line block ×3, first 2 shown]
	scratch_store_b128 off, v[5:8], off offset:624
	s_waitcnt vmcnt(0)
	ds_store_b128 v211, v[1:4]
.LBB118_265:
	s_or_b32 exec_lo, exec_lo, s2
	s_waitcnt lgkmcnt(0)
	s_waitcnt_vscnt null, 0x0
	s_barrier
	buffer_gl0_inv
	s_clause 0x7
	scratch_load_b128 v[2:5], off, off offset:640
	scratch_load_b128 v[6:9], off, off offset:656
	;; [unrolled: 1-line block ×8, first 2 shown]
	v_mov_b32_e32 v1, 0
	s_mov_b32 s2, exec_lo
	ds_load_b128 v[34:37], v1 offset:1520
	s_clause 0x1
	scratch_load_b128 v[38:41], off, off offset:768
	scratch_load_b128 v[42:45], off, off offset:624
	ds_load_b128 v[172:175], v1 offset:1536
	scratch_load_b128 v[176:179], off, off offset:784
	ds_load_b128 v[180:183], v1 offset:1568
	s_waitcnt vmcnt(10) lgkmcnt(2)
	v_mul_f64 v[169:170], v[36:37], v[4:5]
	v_mul_f64 v[4:5], v[34:35], v[4:5]
	s_delay_alu instid0(VALU_DEP_2) | instskip(NEXT) | instid1(VALU_DEP_2)
	v_fma_f64 v[169:170], v[34:35], v[2:3], -v[169:170]
	v_fma_f64 v[231:232], v[36:37], v[2:3], v[4:5]
	ds_load_b128 v[2:5], v1 offset:1552
	s_waitcnt vmcnt(9) lgkmcnt(2)
	v_mul_f64 v[229:230], v[172:173], v[8:9]
	v_mul_f64 v[8:9], v[174:175], v[8:9]
	scratch_load_b128 v[34:37], off, off offset:800
	s_waitcnt vmcnt(9) lgkmcnt(0)
	v_mul_f64 v[233:234], v[2:3], v[12:13]
	v_mul_f64 v[12:13], v[4:5], v[12:13]
	v_add_f64 v[169:170], v[169:170], 0
	v_fma_f64 v[174:175], v[174:175], v[6:7], v[229:230]
	v_fma_f64 v[172:173], v[172:173], v[6:7], -v[8:9]
	v_add_f64 v[229:230], v[231:232], 0
	scratch_load_b128 v[6:9], off, off offset:816
	v_fma_f64 v[233:234], v[4:5], v[10:11], v[233:234]
	v_fma_f64 v[235:236], v[2:3], v[10:11], -v[12:13]
	scratch_load_b128 v[10:13], off, off offset:832
	ds_load_b128 v[2:5], v1 offset:1584
	s_waitcnt vmcnt(10)
	v_mul_f64 v[231:232], v[180:181], v[16:17]
	v_mul_f64 v[16:17], v[182:183], v[16:17]
	v_add_f64 v[169:170], v[169:170], v[172:173]
	v_add_f64 v[229:230], v[229:230], v[174:175]
	ds_load_b128 v[172:175], v1 offset:1600
	s_waitcnt vmcnt(9) lgkmcnt(1)
	v_mul_f64 v[237:238], v[2:3], v[20:21]
	v_mul_f64 v[20:21], v[4:5], v[20:21]
	v_fma_f64 v[182:183], v[182:183], v[14:15], v[231:232]
	v_fma_f64 v[180:181], v[180:181], v[14:15], -v[16:17]
	scratch_load_b128 v[14:17], off, off offset:848
	v_add_f64 v[169:170], v[169:170], v[235:236]
	v_add_f64 v[229:230], v[229:230], v[233:234]
	v_fma_f64 v[233:234], v[4:5], v[18:19], v[237:238]
	v_fma_f64 v[235:236], v[2:3], v[18:19], -v[20:21]
	scratch_load_b128 v[18:21], off, off offset:864
	ds_load_b128 v[2:5], v1 offset:1616
	s_waitcnt vmcnt(10) lgkmcnt(1)
	v_mul_f64 v[231:232], v[172:173], v[24:25]
	v_mul_f64 v[24:25], v[174:175], v[24:25]
	s_waitcnt vmcnt(9) lgkmcnt(0)
	v_mul_f64 v[237:238], v[2:3], v[28:29]
	v_mul_f64 v[28:29], v[4:5], v[28:29]
	v_add_f64 v[169:170], v[169:170], v[180:181]
	v_add_f64 v[229:230], v[229:230], v[182:183]
	ds_load_b128 v[180:183], v1 offset:1632
	v_fma_f64 v[174:175], v[174:175], v[22:23], v[231:232]
	v_fma_f64 v[22:23], v[172:173], v[22:23], -v[24:25]
	s_waitcnt vmcnt(8) lgkmcnt(0)
	v_mul_f64 v[172:173], v[180:181], v[32:33]
	v_mul_f64 v[32:33], v[182:183], v[32:33]
	v_add_f64 v[24:25], v[169:170], v[235:236]
	v_add_f64 v[169:170], v[229:230], v[233:234]
	v_fma_f64 v[229:230], v[4:5], v[26:27], v[237:238]
	v_fma_f64 v[26:27], v[2:3], v[26:27], -v[28:29]
	v_fma_f64 v[172:173], v[182:183], v[30:31], v[172:173]
	v_fma_f64 v[30:31], v[180:181], v[30:31], -v[32:33]
	v_add_f64 v[28:29], v[24:25], v[22:23]
	v_add_f64 v[169:170], v[169:170], v[174:175]
	ds_load_b128 v[2:5], v1 offset:1648
	ds_load_b128 v[22:25], v1 offset:1664
	s_waitcnt vmcnt(7) lgkmcnt(1)
	v_mul_f64 v[174:175], v[2:3], v[40:41]
	v_mul_f64 v[40:41], v[4:5], v[40:41]
	s_waitcnt vmcnt(5) lgkmcnt(0)
	v_mul_f64 v[32:33], v[22:23], v[178:179]
	v_add_f64 v[26:27], v[28:29], v[26:27]
	v_add_f64 v[28:29], v[169:170], v[229:230]
	v_mul_f64 v[169:170], v[24:25], v[178:179]
	v_fma_f64 v[174:175], v[4:5], v[38:39], v[174:175]
	v_fma_f64 v[38:39], v[2:3], v[38:39], -v[40:41]
	v_fma_f64 v[24:25], v[24:25], v[176:177], v[32:33]
	v_add_f64 v[30:31], v[26:27], v[30:31]
	v_add_f64 v[40:41], v[28:29], v[172:173]
	ds_load_b128 v[2:5], v1 offset:1680
	ds_load_b128 v[26:29], v1 offset:1696
	v_fma_f64 v[22:23], v[22:23], v[176:177], -v[169:170]
	s_waitcnt vmcnt(4) lgkmcnt(1)
	v_mul_f64 v[172:173], v[2:3], v[36:37]
	v_mul_f64 v[36:37], v[4:5], v[36:37]
	v_add_f64 v[30:31], v[30:31], v[38:39]
	v_add_f64 v[32:33], v[40:41], v[174:175]
	s_waitcnt vmcnt(3) lgkmcnt(0)
	v_mul_f64 v[38:39], v[26:27], v[8:9]
	v_mul_f64 v[8:9], v[28:29], v[8:9]
	v_fma_f64 v[40:41], v[4:5], v[34:35], v[172:173]
	v_fma_f64 v[34:35], v[2:3], v[34:35], -v[36:37]
	v_add_f64 v[30:31], v[30:31], v[22:23]
	v_add_f64 v[32:33], v[32:33], v[24:25]
	ds_load_b128 v[2:5], v1 offset:1712
	ds_load_b128 v[22:25], v1 offset:1728
	v_fma_f64 v[28:29], v[28:29], v[6:7], v[38:39]
	v_fma_f64 v[6:7], v[26:27], v[6:7], -v[8:9]
	s_waitcnt vmcnt(2) lgkmcnt(1)
	v_mul_f64 v[36:37], v[2:3], v[12:13]
	v_mul_f64 v[12:13], v[4:5], v[12:13]
	v_add_f64 v[8:9], v[30:31], v[34:35]
	v_add_f64 v[26:27], v[32:33], v[40:41]
	s_waitcnt vmcnt(1) lgkmcnt(0)
	v_mul_f64 v[30:31], v[22:23], v[16:17]
	v_mul_f64 v[16:17], v[24:25], v[16:17]
	v_fma_f64 v[32:33], v[4:5], v[10:11], v[36:37]
	v_fma_f64 v[10:11], v[2:3], v[10:11], -v[12:13]
	ds_load_b128 v[2:5], v1 offset:1744
	v_add_f64 v[6:7], v[8:9], v[6:7]
	v_add_f64 v[8:9], v[26:27], v[28:29]
	v_fma_f64 v[24:25], v[24:25], v[14:15], v[30:31]
	v_fma_f64 v[14:15], v[22:23], v[14:15], -v[16:17]
	s_waitcnt vmcnt(0) lgkmcnt(0)
	v_mul_f64 v[12:13], v[2:3], v[20:21]
	v_mul_f64 v[20:21], v[4:5], v[20:21]
	v_add_f64 v[6:7], v[6:7], v[10:11]
	v_add_f64 v[8:9], v[8:9], v[32:33]
	s_delay_alu instid0(VALU_DEP_4) | instskip(NEXT) | instid1(VALU_DEP_4)
	v_fma_f64 v[4:5], v[4:5], v[18:19], v[12:13]
	v_fma_f64 v[2:3], v[2:3], v[18:19], -v[20:21]
	s_delay_alu instid0(VALU_DEP_4) | instskip(NEXT) | instid1(VALU_DEP_4)
	v_add_f64 v[6:7], v[6:7], v[14:15]
	v_add_f64 v[8:9], v[8:9], v[24:25]
	s_delay_alu instid0(VALU_DEP_2) | instskip(NEXT) | instid1(VALU_DEP_2)
	v_add_f64 v[2:3], v[6:7], v[2:3]
	v_add_f64 v[4:5], v[8:9], v[4:5]
	s_delay_alu instid0(VALU_DEP_2) | instskip(NEXT) | instid1(VALU_DEP_2)
	v_add_f64 v[2:3], v[42:43], -v[2:3]
	v_add_f64 v[4:5], v[44:45], -v[4:5]
	scratch_store_b128 off, v[2:5], off offset:624
	v_cmpx_lt_u32_e32 38, v156
	s_cbranch_execz .LBB118_267
; %bb.266:
	scratch_load_b128 v[5:8], v217, off
	v_mov_b32_e32 v2, v1
	v_mov_b32_e32 v3, v1
	;; [unrolled: 1-line block ×3, first 2 shown]
	scratch_store_b128 off, v[1:4], off offset:608
	s_waitcnt vmcnt(0)
	ds_store_b128 v211, v[5:8]
.LBB118_267:
	s_or_b32 exec_lo, exec_lo, s2
	s_waitcnt lgkmcnt(0)
	s_waitcnt_vscnt null, 0x0
	s_barrier
	buffer_gl0_inv
	s_clause 0x8
	scratch_load_b128 v[2:5], off, off offset:624
	scratch_load_b128 v[6:9], off, off offset:640
	;; [unrolled: 1-line block ×9, first 2 shown]
	ds_load_b128 v[38:41], v1 offset:1504
	ds_load_b128 v[42:45], v1 offset:1520
	s_clause 0x1
	scratch_load_b128 v[172:175], off, off offset:608
	scratch_load_b128 v[176:179], off, off offset:768
	s_mov_b32 s2, exec_lo
	ds_load_b128 v[180:183], v1 offset:1552
	s_waitcnt vmcnt(10) lgkmcnt(2)
	v_mul_f64 v[169:170], v[40:41], v[4:5]
	v_mul_f64 v[4:5], v[38:39], v[4:5]
	s_waitcnt vmcnt(9) lgkmcnt(1)
	v_mul_f64 v[229:230], v[42:43], v[8:9]
	v_mul_f64 v[8:9], v[44:45], v[8:9]
	s_delay_alu instid0(VALU_DEP_4) | instskip(NEXT) | instid1(VALU_DEP_4)
	v_fma_f64 v[169:170], v[38:39], v[2:3], -v[169:170]
	v_fma_f64 v[231:232], v[40:41], v[2:3], v[4:5]
	ds_load_b128 v[2:5], v1 offset:1536
	scratch_load_b128 v[38:41], off, off offset:784
	v_fma_f64 v[44:45], v[44:45], v[6:7], v[229:230]
	v_fma_f64 v[42:43], v[42:43], v[6:7], -v[8:9]
	scratch_load_b128 v[6:9], off, off offset:800
	s_waitcnt vmcnt(10) lgkmcnt(0)
	v_mul_f64 v[233:234], v[2:3], v[12:13]
	v_mul_f64 v[12:13], v[4:5], v[12:13]
	v_add_f64 v[169:170], v[169:170], 0
	v_add_f64 v[229:230], v[231:232], 0
	s_waitcnt vmcnt(9)
	v_mul_f64 v[231:232], v[180:181], v[16:17]
	v_mul_f64 v[16:17], v[182:183], v[16:17]
	v_fma_f64 v[233:234], v[4:5], v[10:11], v[233:234]
	v_fma_f64 v[235:236], v[2:3], v[10:11], -v[12:13]
	ds_load_b128 v[2:5], v1 offset:1568
	scratch_load_b128 v[10:13], off, off offset:816
	v_add_f64 v[169:170], v[169:170], v[42:43]
	v_add_f64 v[229:230], v[229:230], v[44:45]
	ds_load_b128 v[42:45], v1 offset:1584
	v_fma_f64 v[182:183], v[182:183], v[14:15], v[231:232]
	v_fma_f64 v[180:181], v[180:181], v[14:15], -v[16:17]
	scratch_load_b128 v[14:17], off, off offset:832
	s_waitcnt vmcnt(10) lgkmcnt(1)
	v_mul_f64 v[237:238], v[2:3], v[20:21]
	v_mul_f64 v[20:21], v[4:5], v[20:21]
	s_waitcnt vmcnt(9) lgkmcnt(0)
	v_mul_f64 v[231:232], v[42:43], v[24:25]
	v_mul_f64 v[24:25], v[44:45], v[24:25]
	v_add_f64 v[169:170], v[169:170], v[235:236]
	v_add_f64 v[229:230], v[229:230], v[233:234]
	v_fma_f64 v[233:234], v[4:5], v[18:19], v[237:238]
	v_fma_f64 v[235:236], v[2:3], v[18:19], -v[20:21]
	ds_load_b128 v[2:5], v1 offset:1600
	scratch_load_b128 v[18:21], off, off offset:848
	v_fma_f64 v[44:45], v[44:45], v[22:23], v[231:232]
	v_fma_f64 v[42:43], v[42:43], v[22:23], -v[24:25]
	scratch_load_b128 v[22:25], off, off offset:864
	v_add_f64 v[169:170], v[169:170], v[180:181]
	v_add_f64 v[229:230], v[229:230], v[182:183]
	ds_load_b128 v[180:183], v1 offset:1616
	s_waitcnt vmcnt(10) lgkmcnt(1)
	v_mul_f64 v[237:238], v[2:3], v[28:29]
	v_mul_f64 v[28:29], v[4:5], v[28:29]
	s_waitcnt vmcnt(9) lgkmcnt(0)
	v_mul_f64 v[231:232], v[180:181], v[32:33]
	v_mul_f64 v[32:33], v[182:183], v[32:33]
	v_add_f64 v[169:170], v[169:170], v[235:236]
	v_add_f64 v[229:230], v[229:230], v[233:234]
	v_fma_f64 v[233:234], v[4:5], v[26:27], v[237:238]
	v_fma_f64 v[235:236], v[2:3], v[26:27], -v[28:29]
	ds_load_b128 v[2:5], v1 offset:1632
	ds_load_b128 v[26:29], v1 offset:1648
	v_fma_f64 v[182:183], v[182:183], v[30:31], v[231:232]
	v_fma_f64 v[30:31], v[180:181], v[30:31], -v[32:33]
	v_add_f64 v[42:43], v[169:170], v[42:43]
	v_add_f64 v[44:45], v[229:230], v[44:45]
	s_waitcnt vmcnt(8) lgkmcnt(1)
	v_mul_f64 v[169:170], v[2:3], v[36:37]
	v_mul_f64 v[36:37], v[4:5], v[36:37]
	s_delay_alu instid0(VALU_DEP_4) | instskip(NEXT) | instid1(VALU_DEP_4)
	v_add_f64 v[32:33], v[42:43], v[235:236]
	v_add_f64 v[42:43], v[44:45], v[233:234]
	s_waitcnt vmcnt(6) lgkmcnt(0)
	v_mul_f64 v[44:45], v[26:27], v[178:179]
	v_mul_f64 v[178:179], v[28:29], v[178:179]
	v_fma_f64 v[169:170], v[4:5], v[34:35], v[169:170]
	v_fma_f64 v[34:35], v[2:3], v[34:35], -v[36:37]
	v_add_f64 v[36:37], v[32:33], v[30:31]
	v_add_f64 v[42:43], v[42:43], v[182:183]
	ds_load_b128 v[2:5], v1 offset:1664
	ds_load_b128 v[30:33], v1 offset:1680
	v_fma_f64 v[28:29], v[28:29], v[176:177], v[44:45]
	v_fma_f64 v[26:27], v[26:27], v[176:177], -v[178:179]
	s_waitcnt vmcnt(5) lgkmcnt(1)
	v_mul_f64 v[180:181], v[2:3], v[40:41]
	v_mul_f64 v[40:41], v[4:5], v[40:41]
	v_add_f64 v[34:35], v[36:37], v[34:35]
	v_add_f64 v[36:37], v[42:43], v[169:170]
	s_waitcnt vmcnt(4) lgkmcnt(0)
	v_mul_f64 v[42:43], v[30:31], v[8:9]
	v_mul_f64 v[8:9], v[32:33], v[8:9]
	v_fma_f64 v[44:45], v[4:5], v[38:39], v[180:181]
	v_fma_f64 v[38:39], v[2:3], v[38:39], -v[40:41]
	v_add_f64 v[34:35], v[34:35], v[26:27]
	v_add_f64 v[36:37], v[36:37], v[28:29]
	ds_load_b128 v[2:5], v1 offset:1696
	ds_load_b128 v[26:29], v1 offset:1712
	v_fma_f64 v[32:33], v[32:33], v[6:7], v[42:43]
	v_fma_f64 v[6:7], v[30:31], v[6:7], -v[8:9]
	s_waitcnt vmcnt(3) lgkmcnt(1)
	v_mul_f64 v[40:41], v[2:3], v[12:13]
	v_mul_f64 v[12:13], v[4:5], v[12:13]
	;; [unrolled: 16-line block ×3, first 2 shown]
	s_waitcnt vmcnt(0) lgkmcnt(0)
	v_mul_f64 v[16:17], v[6:7], v[24:25]
	v_mul_f64 v[24:25], v[8:9], v[24:25]
	v_add_f64 v[10:11], v[12:13], v[10:11]
	v_add_f64 v[12:13], v[30:31], v[36:37]
	v_fma_f64 v[4:5], v[4:5], v[18:19], v[32:33]
	v_fma_f64 v[1:2], v[2:3], v[18:19], -v[20:21]
	v_fma_f64 v[8:9], v[8:9], v[22:23], v[16:17]
	v_fma_f64 v[6:7], v[6:7], v[22:23], -v[24:25]
	v_add_f64 v[10:11], v[10:11], v[14:15]
	v_add_f64 v[12:13], v[12:13], v[28:29]
	s_delay_alu instid0(VALU_DEP_2) | instskip(NEXT) | instid1(VALU_DEP_2)
	v_add_f64 v[1:2], v[10:11], v[1:2]
	v_add_f64 v[3:4], v[12:13], v[4:5]
	s_delay_alu instid0(VALU_DEP_2) | instskip(NEXT) | instid1(VALU_DEP_2)
	;; [unrolled: 3-line block ×3, first 2 shown]
	v_add_f64 v[1:2], v[172:173], -v[1:2]
	v_add_f64 v[3:4], v[174:175], -v[3:4]
	scratch_store_b128 off, v[1:4], off offset:608
	v_cmpx_lt_u32_e32 37, v156
	s_cbranch_execz .LBB118_269
; %bb.268:
	scratch_load_b128 v[1:4], v218, off
	v_mov_b32_e32 v5, 0
	s_delay_alu instid0(VALU_DEP_1)
	v_mov_b32_e32 v6, v5
	v_mov_b32_e32 v7, v5
	;; [unrolled: 1-line block ×3, first 2 shown]
	scratch_store_b128 off, v[5:8], off offset:592
	s_waitcnt vmcnt(0)
	ds_store_b128 v211, v[1:4]
.LBB118_269:
	s_or_b32 exec_lo, exec_lo, s2
	s_waitcnt lgkmcnt(0)
	s_waitcnt_vscnt null, 0x0
	s_barrier
	buffer_gl0_inv
	s_clause 0x7
	scratch_load_b128 v[2:5], off, off offset:608
	scratch_load_b128 v[6:9], off, off offset:624
	;; [unrolled: 1-line block ×8, first 2 shown]
	v_mov_b32_e32 v1, 0
	s_mov_b32 s2, exec_lo
	ds_load_b128 v[34:37], v1 offset:1488
	s_clause 0x1
	scratch_load_b128 v[38:41], off, off offset:736
	scratch_load_b128 v[42:45], off, off offset:592
	ds_load_b128 v[172:175], v1 offset:1504
	scratch_load_b128 v[176:179], off, off offset:752
	ds_load_b128 v[180:183], v1 offset:1536
	s_waitcnt vmcnt(10) lgkmcnt(2)
	v_mul_f64 v[169:170], v[36:37], v[4:5]
	v_mul_f64 v[4:5], v[34:35], v[4:5]
	s_delay_alu instid0(VALU_DEP_2) | instskip(NEXT) | instid1(VALU_DEP_2)
	v_fma_f64 v[169:170], v[34:35], v[2:3], -v[169:170]
	v_fma_f64 v[231:232], v[36:37], v[2:3], v[4:5]
	ds_load_b128 v[2:5], v1 offset:1520
	s_waitcnt vmcnt(9) lgkmcnt(2)
	v_mul_f64 v[229:230], v[172:173], v[8:9]
	v_mul_f64 v[8:9], v[174:175], v[8:9]
	scratch_load_b128 v[34:37], off, off offset:768
	s_waitcnt vmcnt(9) lgkmcnt(0)
	v_mul_f64 v[233:234], v[2:3], v[12:13]
	v_mul_f64 v[12:13], v[4:5], v[12:13]
	v_add_f64 v[169:170], v[169:170], 0
	v_fma_f64 v[174:175], v[174:175], v[6:7], v[229:230]
	v_fma_f64 v[172:173], v[172:173], v[6:7], -v[8:9]
	v_add_f64 v[229:230], v[231:232], 0
	scratch_load_b128 v[6:9], off, off offset:784
	v_fma_f64 v[233:234], v[4:5], v[10:11], v[233:234]
	v_fma_f64 v[235:236], v[2:3], v[10:11], -v[12:13]
	scratch_load_b128 v[10:13], off, off offset:800
	ds_load_b128 v[2:5], v1 offset:1552
	s_waitcnt vmcnt(10)
	v_mul_f64 v[231:232], v[180:181], v[16:17]
	v_mul_f64 v[16:17], v[182:183], v[16:17]
	v_add_f64 v[169:170], v[169:170], v[172:173]
	v_add_f64 v[229:230], v[229:230], v[174:175]
	ds_load_b128 v[172:175], v1 offset:1568
	s_waitcnt vmcnt(9) lgkmcnt(1)
	v_mul_f64 v[237:238], v[2:3], v[20:21]
	v_mul_f64 v[20:21], v[4:5], v[20:21]
	v_fma_f64 v[182:183], v[182:183], v[14:15], v[231:232]
	v_fma_f64 v[180:181], v[180:181], v[14:15], -v[16:17]
	scratch_load_b128 v[14:17], off, off offset:816
	v_add_f64 v[169:170], v[169:170], v[235:236]
	v_add_f64 v[229:230], v[229:230], v[233:234]
	v_fma_f64 v[233:234], v[4:5], v[18:19], v[237:238]
	v_fma_f64 v[235:236], v[2:3], v[18:19], -v[20:21]
	scratch_load_b128 v[18:21], off, off offset:832
	ds_load_b128 v[2:5], v1 offset:1584
	s_waitcnt vmcnt(10) lgkmcnt(1)
	v_mul_f64 v[231:232], v[172:173], v[24:25]
	v_mul_f64 v[24:25], v[174:175], v[24:25]
	s_waitcnt vmcnt(9) lgkmcnt(0)
	v_mul_f64 v[237:238], v[2:3], v[28:29]
	v_mul_f64 v[28:29], v[4:5], v[28:29]
	v_add_f64 v[169:170], v[169:170], v[180:181]
	v_add_f64 v[229:230], v[229:230], v[182:183]
	ds_load_b128 v[180:183], v1 offset:1600
	v_fma_f64 v[174:175], v[174:175], v[22:23], v[231:232]
	v_fma_f64 v[172:173], v[172:173], v[22:23], -v[24:25]
	scratch_load_b128 v[22:25], off, off offset:848
	v_add_f64 v[169:170], v[169:170], v[235:236]
	v_add_f64 v[229:230], v[229:230], v[233:234]
	v_fma_f64 v[233:234], v[4:5], v[26:27], v[237:238]
	v_fma_f64 v[235:236], v[2:3], v[26:27], -v[28:29]
	scratch_load_b128 v[26:29], off, off offset:864
	ds_load_b128 v[2:5], v1 offset:1616
	s_waitcnt vmcnt(10) lgkmcnt(1)
	v_mul_f64 v[231:232], v[180:181], v[32:33]
	v_mul_f64 v[32:33], v[182:183], v[32:33]
	s_waitcnt vmcnt(9) lgkmcnt(0)
	v_mul_f64 v[237:238], v[2:3], v[40:41]
	v_mul_f64 v[40:41], v[4:5], v[40:41]
	v_add_f64 v[169:170], v[169:170], v[172:173]
	v_add_f64 v[229:230], v[229:230], v[174:175]
	ds_load_b128 v[172:175], v1 offset:1632
	v_fma_f64 v[182:183], v[182:183], v[30:31], v[231:232]
	v_fma_f64 v[30:31], v[180:181], v[30:31], -v[32:33]
	s_waitcnt vmcnt(7) lgkmcnt(0)
	v_mul_f64 v[180:181], v[172:173], v[178:179]
	v_mul_f64 v[178:179], v[174:175], v[178:179]
	v_add_f64 v[32:33], v[169:170], v[235:236]
	v_add_f64 v[169:170], v[229:230], v[233:234]
	v_fma_f64 v[229:230], v[4:5], v[38:39], v[237:238]
	v_fma_f64 v[38:39], v[2:3], v[38:39], -v[40:41]
	v_fma_f64 v[174:175], v[174:175], v[176:177], v[180:181]
	v_fma_f64 v[172:173], v[172:173], v[176:177], -v[178:179]
	v_add_f64 v[40:41], v[32:33], v[30:31]
	v_add_f64 v[169:170], v[169:170], v[182:183]
	ds_load_b128 v[2:5], v1 offset:1648
	ds_load_b128 v[30:33], v1 offset:1664
	s_waitcnt vmcnt(6) lgkmcnt(1)
	v_mul_f64 v[182:183], v[2:3], v[36:37]
	v_mul_f64 v[36:37], v[4:5], v[36:37]
	v_add_f64 v[38:39], v[40:41], v[38:39]
	v_add_f64 v[40:41], v[169:170], v[229:230]
	s_waitcnt vmcnt(5) lgkmcnt(0)
	v_mul_f64 v[169:170], v[30:31], v[8:9]
	v_mul_f64 v[8:9], v[32:33], v[8:9]
	v_fma_f64 v[176:177], v[4:5], v[34:35], v[182:183]
	v_fma_f64 v[178:179], v[2:3], v[34:35], -v[36:37]
	ds_load_b128 v[2:5], v1 offset:1680
	ds_load_b128 v[34:37], v1 offset:1696
	v_add_f64 v[38:39], v[38:39], v[172:173]
	v_add_f64 v[40:41], v[40:41], v[174:175]
	s_waitcnt vmcnt(4) lgkmcnt(1)
	v_mul_f64 v[172:173], v[2:3], v[12:13]
	v_mul_f64 v[12:13], v[4:5], v[12:13]
	v_fma_f64 v[32:33], v[32:33], v[6:7], v[169:170]
	v_fma_f64 v[6:7], v[30:31], v[6:7], -v[8:9]
	v_add_f64 v[8:9], v[38:39], v[178:179]
	v_add_f64 v[30:31], v[40:41], v[176:177]
	s_waitcnt vmcnt(3) lgkmcnt(0)
	v_mul_f64 v[38:39], v[34:35], v[16:17]
	v_mul_f64 v[16:17], v[36:37], v[16:17]
	v_fma_f64 v[40:41], v[4:5], v[10:11], v[172:173]
	v_fma_f64 v[10:11], v[2:3], v[10:11], -v[12:13]
	v_add_f64 v[12:13], v[8:9], v[6:7]
	v_add_f64 v[30:31], v[30:31], v[32:33]
	ds_load_b128 v[2:5], v1 offset:1712
	ds_load_b128 v[6:9], v1 offset:1728
	v_fma_f64 v[36:37], v[36:37], v[14:15], v[38:39]
	v_fma_f64 v[14:15], v[34:35], v[14:15], -v[16:17]
	s_waitcnt vmcnt(2) lgkmcnt(1)
	v_mul_f64 v[32:33], v[2:3], v[20:21]
	v_mul_f64 v[20:21], v[4:5], v[20:21]
	s_waitcnt vmcnt(1) lgkmcnt(0)
	v_mul_f64 v[16:17], v[6:7], v[24:25]
	v_mul_f64 v[24:25], v[8:9], v[24:25]
	v_add_f64 v[10:11], v[12:13], v[10:11]
	v_add_f64 v[12:13], v[30:31], v[40:41]
	v_fma_f64 v[30:31], v[4:5], v[18:19], v[32:33]
	v_fma_f64 v[18:19], v[2:3], v[18:19], -v[20:21]
	ds_load_b128 v[2:5], v1 offset:1744
	v_fma_f64 v[8:9], v[8:9], v[22:23], v[16:17]
	v_fma_f64 v[6:7], v[6:7], v[22:23], -v[24:25]
	v_add_f64 v[10:11], v[10:11], v[14:15]
	v_add_f64 v[12:13], v[12:13], v[36:37]
	s_waitcnt vmcnt(0) lgkmcnt(0)
	v_mul_f64 v[14:15], v[2:3], v[28:29]
	v_mul_f64 v[20:21], v[4:5], v[28:29]
	s_delay_alu instid0(VALU_DEP_4) | instskip(NEXT) | instid1(VALU_DEP_4)
	v_add_f64 v[10:11], v[10:11], v[18:19]
	v_add_f64 v[12:13], v[12:13], v[30:31]
	s_delay_alu instid0(VALU_DEP_4) | instskip(NEXT) | instid1(VALU_DEP_4)
	v_fma_f64 v[4:5], v[4:5], v[26:27], v[14:15]
	v_fma_f64 v[2:3], v[2:3], v[26:27], -v[20:21]
	s_delay_alu instid0(VALU_DEP_4) | instskip(NEXT) | instid1(VALU_DEP_4)
	v_add_f64 v[6:7], v[10:11], v[6:7]
	v_add_f64 v[8:9], v[12:13], v[8:9]
	s_delay_alu instid0(VALU_DEP_2) | instskip(NEXT) | instid1(VALU_DEP_2)
	v_add_f64 v[2:3], v[6:7], v[2:3]
	v_add_f64 v[4:5], v[8:9], v[4:5]
	s_delay_alu instid0(VALU_DEP_2) | instskip(NEXT) | instid1(VALU_DEP_2)
	v_add_f64 v[2:3], v[42:43], -v[2:3]
	v_add_f64 v[4:5], v[44:45], -v[4:5]
	scratch_store_b128 off, v[2:5], off offset:592
	v_cmpx_lt_u32_e32 36, v156
	s_cbranch_execz .LBB118_271
; %bb.270:
	scratch_load_b128 v[5:8], v219, off
	v_mov_b32_e32 v2, v1
	v_mov_b32_e32 v3, v1
	;; [unrolled: 1-line block ×3, first 2 shown]
	scratch_store_b128 off, v[1:4], off offset:576
	s_waitcnt vmcnt(0)
	ds_store_b128 v211, v[5:8]
.LBB118_271:
	s_or_b32 exec_lo, exec_lo, s2
	s_waitcnt lgkmcnt(0)
	s_waitcnt_vscnt null, 0x0
	s_barrier
	buffer_gl0_inv
	s_clause 0x8
	scratch_load_b128 v[2:5], off, off offset:592
	scratch_load_b128 v[6:9], off, off offset:608
	;; [unrolled: 1-line block ×9, first 2 shown]
	ds_load_b128 v[38:41], v1 offset:1472
	ds_load_b128 v[42:45], v1 offset:1488
	s_clause 0x1
	scratch_load_b128 v[172:175], off, off offset:576
	scratch_load_b128 v[176:179], off, off offset:736
	s_mov_b32 s2, exec_lo
	ds_load_b128 v[180:183], v1 offset:1520
	s_waitcnt vmcnt(10) lgkmcnt(2)
	v_mul_f64 v[169:170], v[40:41], v[4:5]
	v_mul_f64 v[4:5], v[38:39], v[4:5]
	s_waitcnt vmcnt(9) lgkmcnt(1)
	v_mul_f64 v[229:230], v[42:43], v[8:9]
	v_mul_f64 v[8:9], v[44:45], v[8:9]
	s_delay_alu instid0(VALU_DEP_4) | instskip(NEXT) | instid1(VALU_DEP_4)
	v_fma_f64 v[169:170], v[38:39], v[2:3], -v[169:170]
	v_fma_f64 v[231:232], v[40:41], v[2:3], v[4:5]
	ds_load_b128 v[2:5], v1 offset:1504
	scratch_load_b128 v[38:41], off, off offset:752
	v_fma_f64 v[44:45], v[44:45], v[6:7], v[229:230]
	v_fma_f64 v[42:43], v[42:43], v[6:7], -v[8:9]
	scratch_load_b128 v[6:9], off, off offset:768
	s_waitcnt vmcnt(10) lgkmcnt(0)
	v_mul_f64 v[233:234], v[2:3], v[12:13]
	v_mul_f64 v[12:13], v[4:5], v[12:13]
	v_add_f64 v[169:170], v[169:170], 0
	v_add_f64 v[229:230], v[231:232], 0
	s_waitcnt vmcnt(9)
	v_mul_f64 v[231:232], v[180:181], v[16:17]
	v_mul_f64 v[16:17], v[182:183], v[16:17]
	v_fma_f64 v[233:234], v[4:5], v[10:11], v[233:234]
	v_fma_f64 v[235:236], v[2:3], v[10:11], -v[12:13]
	ds_load_b128 v[2:5], v1 offset:1536
	scratch_load_b128 v[10:13], off, off offset:784
	v_add_f64 v[169:170], v[169:170], v[42:43]
	v_add_f64 v[229:230], v[229:230], v[44:45]
	ds_load_b128 v[42:45], v1 offset:1552
	v_fma_f64 v[182:183], v[182:183], v[14:15], v[231:232]
	v_fma_f64 v[180:181], v[180:181], v[14:15], -v[16:17]
	scratch_load_b128 v[14:17], off, off offset:800
	s_waitcnt vmcnt(10) lgkmcnt(1)
	v_mul_f64 v[237:238], v[2:3], v[20:21]
	v_mul_f64 v[20:21], v[4:5], v[20:21]
	s_waitcnt vmcnt(9) lgkmcnt(0)
	v_mul_f64 v[231:232], v[42:43], v[24:25]
	v_mul_f64 v[24:25], v[44:45], v[24:25]
	v_add_f64 v[169:170], v[169:170], v[235:236]
	v_add_f64 v[229:230], v[229:230], v[233:234]
	v_fma_f64 v[233:234], v[4:5], v[18:19], v[237:238]
	v_fma_f64 v[235:236], v[2:3], v[18:19], -v[20:21]
	ds_load_b128 v[2:5], v1 offset:1568
	scratch_load_b128 v[18:21], off, off offset:816
	v_fma_f64 v[44:45], v[44:45], v[22:23], v[231:232]
	v_fma_f64 v[42:43], v[42:43], v[22:23], -v[24:25]
	scratch_load_b128 v[22:25], off, off offset:832
	v_add_f64 v[169:170], v[169:170], v[180:181]
	v_add_f64 v[229:230], v[229:230], v[182:183]
	ds_load_b128 v[180:183], v1 offset:1584
	s_waitcnt vmcnt(10) lgkmcnt(1)
	v_mul_f64 v[237:238], v[2:3], v[28:29]
	v_mul_f64 v[28:29], v[4:5], v[28:29]
	s_waitcnt vmcnt(9) lgkmcnt(0)
	v_mul_f64 v[231:232], v[180:181], v[32:33]
	v_mul_f64 v[32:33], v[182:183], v[32:33]
	v_add_f64 v[169:170], v[169:170], v[235:236]
	v_add_f64 v[229:230], v[229:230], v[233:234]
	v_fma_f64 v[233:234], v[4:5], v[26:27], v[237:238]
	v_fma_f64 v[235:236], v[2:3], v[26:27], -v[28:29]
	ds_load_b128 v[2:5], v1 offset:1600
	scratch_load_b128 v[26:29], off, off offset:848
	v_fma_f64 v[182:183], v[182:183], v[30:31], v[231:232]
	v_fma_f64 v[180:181], v[180:181], v[30:31], -v[32:33]
	scratch_load_b128 v[30:33], off, off offset:864
	v_add_f64 v[169:170], v[169:170], v[42:43]
	v_add_f64 v[229:230], v[229:230], v[44:45]
	ds_load_b128 v[42:45], v1 offset:1616
	s_waitcnt vmcnt(10) lgkmcnt(1)
	v_mul_f64 v[237:238], v[2:3], v[36:37]
	v_mul_f64 v[36:37], v[4:5], v[36:37]
	s_waitcnt vmcnt(8) lgkmcnt(0)
	v_mul_f64 v[231:232], v[42:43], v[178:179]
	v_mul_f64 v[178:179], v[44:45], v[178:179]
	v_add_f64 v[169:170], v[169:170], v[235:236]
	v_add_f64 v[229:230], v[229:230], v[233:234]
	v_fma_f64 v[233:234], v[4:5], v[34:35], v[237:238]
	v_fma_f64 v[235:236], v[2:3], v[34:35], -v[36:37]
	ds_load_b128 v[2:5], v1 offset:1632
	ds_load_b128 v[34:37], v1 offset:1648
	v_fma_f64 v[44:45], v[44:45], v[176:177], v[231:232]
	v_fma_f64 v[42:43], v[42:43], v[176:177], -v[178:179]
	v_add_f64 v[169:170], v[169:170], v[180:181]
	v_add_f64 v[180:181], v[229:230], v[182:183]
	s_waitcnt vmcnt(7) lgkmcnt(1)
	v_mul_f64 v[182:183], v[2:3], v[40:41]
	v_mul_f64 v[40:41], v[4:5], v[40:41]
	s_waitcnt vmcnt(6) lgkmcnt(0)
	v_mul_f64 v[178:179], v[34:35], v[8:9]
	v_mul_f64 v[8:9], v[36:37], v[8:9]
	v_add_f64 v[169:170], v[169:170], v[235:236]
	v_add_f64 v[176:177], v[180:181], v[233:234]
	v_fma_f64 v[180:181], v[4:5], v[38:39], v[182:183]
	v_fma_f64 v[182:183], v[2:3], v[38:39], -v[40:41]
	ds_load_b128 v[2:5], v1 offset:1664
	ds_load_b128 v[38:41], v1 offset:1680
	v_fma_f64 v[36:37], v[36:37], v[6:7], v[178:179]
	v_fma_f64 v[6:7], v[34:35], v[6:7], -v[8:9]
	v_add_f64 v[42:43], v[169:170], v[42:43]
	v_add_f64 v[44:45], v[176:177], v[44:45]
	s_waitcnt vmcnt(5) lgkmcnt(1)
	v_mul_f64 v[169:170], v[2:3], v[12:13]
	v_mul_f64 v[12:13], v[4:5], v[12:13]
	s_delay_alu instid0(VALU_DEP_4) | instskip(NEXT) | instid1(VALU_DEP_4)
	v_add_f64 v[8:9], v[42:43], v[182:183]
	v_add_f64 v[34:35], v[44:45], v[180:181]
	s_waitcnt vmcnt(4) lgkmcnt(0)
	v_mul_f64 v[42:43], v[38:39], v[16:17]
	v_mul_f64 v[16:17], v[40:41], v[16:17]
	v_fma_f64 v[44:45], v[4:5], v[10:11], v[169:170]
	v_fma_f64 v[10:11], v[2:3], v[10:11], -v[12:13]
	v_add_f64 v[12:13], v[8:9], v[6:7]
	v_add_f64 v[34:35], v[34:35], v[36:37]
	ds_load_b128 v[2:5], v1 offset:1696
	ds_load_b128 v[6:9], v1 offset:1712
	v_fma_f64 v[40:41], v[40:41], v[14:15], v[42:43]
	v_fma_f64 v[14:15], v[38:39], v[14:15], -v[16:17]
	s_waitcnt vmcnt(3) lgkmcnt(1)
	v_mul_f64 v[36:37], v[2:3], v[20:21]
	v_mul_f64 v[20:21], v[4:5], v[20:21]
	s_waitcnt vmcnt(2) lgkmcnt(0)
	v_mul_f64 v[16:17], v[6:7], v[24:25]
	v_mul_f64 v[24:25], v[8:9], v[24:25]
	v_add_f64 v[10:11], v[12:13], v[10:11]
	v_add_f64 v[12:13], v[34:35], v[44:45]
	v_fma_f64 v[34:35], v[4:5], v[18:19], v[36:37]
	v_fma_f64 v[18:19], v[2:3], v[18:19], -v[20:21]
	v_fma_f64 v[8:9], v[8:9], v[22:23], v[16:17]
	v_fma_f64 v[6:7], v[6:7], v[22:23], -v[24:25]
	v_add_f64 v[14:15], v[10:11], v[14:15]
	v_add_f64 v[20:21], v[12:13], v[40:41]
	ds_load_b128 v[2:5], v1 offset:1728
	ds_load_b128 v[10:13], v1 offset:1744
	s_waitcnt vmcnt(1) lgkmcnt(1)
	v_mul_f64 v[36:37], v[2:3], v[28:29]
	v_mul_f64 v[28:29], v[4:5], v[28:29]
	v_add_f64 v[14:15], v[14:15], v[18:19]
	v_add_f64 v[16:17], v[20:21], v[34:35]
	s_waitcnt vmcnt(0) lgkmcnt(0)
	v_mul_f64 v[18:19], v[10:11], v[32:33]
	v_mul_f64 v[20:21], v[12:13], v[32:33]
	v_fma_f64 v[4:5], v[4:5], v[26:27], v[36:37]
	v_fma_f64 v[1:2], v[2:3], v[26:27], -v[28:29]
	v_add_f64 v[6:7], v[14:15], v[6:7]
	v_add_f64 v[8:9], v[16:17], v[8:9]
	v_fma_f64 v[12:13], v[12:13], v[30:31], v[18:19]
	v_fma_f64 v[10:11], v[10:11], v[30:31], -v[20:21]
	s_delay_alu instid0(VALU_DEP_4) | instskip(NEXT) | instid1(VALU_DEP_4)
	v_add_f64 v[1:2], v[6:7], v[1:2]
	v_add_f64 v[3:4], v[8:9], v[4:5]
	s_delay_alu instid0(VALU_DEP_2) | instskip(NEXT) | instid1(VALU_DEP_2)
	v_add_f64 v[1:2], v[1:2], v[10:11]
	v_add_f64 v[3:4], v[3:4], v[12:13]
	s_delay_alu instid0(VALU_DEP_2) | instskip(NEXT) | instid1(VALU_DEP_2)
	v_add_f64 v[1:2], v[172:173], -v[1:2]
	v_add_f64 v[3:4], v[174:175], -v[3:4]
	scratch_store_b128 off, v[1:4], off offset:576
	v_cmpx_lt_u32_e32 35, v156
	s_cbranch_execz .LBB118_273
; %bb.272:
	scratch_load_b128 v[1:4], v220, off
	v_mov_b32_e32 v5, 0
	s_delay_alu instid0(VALU_DEP_1)
	v_mov_b32_e32 v6, v5
	v_mov_b32_e32 v7, v5
	;; [unrolled: 1-line block ×3, first 2 shown]
	scratch_store_b128 off, v[5:8], off offset:560
	s_waitcnt vmcnt(0)
	ds_store_b128 v211, v[1:4]
.LBB118_273:
	s_or_b32 exec_lo, exec_lo, s2
	s_waitcnt lgkmcnt(0)
	s_waitcnt_vscnt null, 0x0
	s_barrier
	buffer_gl0_inv
	s_clause 0x7
	scratch_load_b128 v[2:5], off, off offset:576
	scratch_load_b128 v[6:9], off, off offset:592
	;; [unrolled: 1-line block ×8, first 2 shown]
	v_mov_b32_e32 v1, 0
	s_mov_b32 s2, exec_lo
	ds_load_b128 v[34:37], v1 offset:1456
	s_clause 0x1
	scratch_load_b128 v[38:41], off, off offset:704
	scratch_load_b128 v[42:45], off, off offset:560
	ds_load_b128 v[172:175], v1 offset:1472
	scratch_load_b128 v[176:179], off, off offset:720
	ds_load_b128 v[180:183], v1 offset:1504
	s_waitcnt vmcnt(10) lgkmcnt(2)
	v_mul_f64 v[169:170], v[36:37], v[4:5]
	v_mul_f64 v[4:5], v[34:35], v[4:5]
	s_delay_alu instid0(VALU_DEP_2) | instskip(NEXT) | instid1(VALU_DEP_2)
	v_fma_f64 v[169:170], v[34:35], v[2:3], -v[169:170]
	v_fma_f64 v[231:232], v[36:37], v[2:3], v[4:5]
	ds_load_b128 v[2:5], v1 offset:1488
	s_waitcnt vmcnt(9) lgkmcnt(2)
	v_mul_f64 v[229:230], v[172:173], v[8:9]
	v_mul_f64 v[8:9], v[174:175], v[8:9]
	scratch_load_b128 v[34:37], off, off offset:736
	s_waitcnt vmcnt(9) lgkmcnt(0)
	v_mul_f64 v[233:234], v[2:3], v[12:13]
	v_mul_f64 v[12:13], v[4:5], v[12:13]
	v_add_f64 v[169:170], v[169:170], 0
	v_fma_f64 v[174:175], v[174:175], v[6:7], v[229:230]
	v_fma_f64 v[172:173], v[172:173], v[6:7], -v[8:9]
	v_add_f64 v[229:230], v[231:232], 0
	scratch_load_b128 v[6:9], off, off offset:752
	v_fma_f64 v[233:234], v[4:5], v[10:11], v[233:234]
	v_fma_f64 v[235:236], v[2:3], v[10:11], -v[12:13]
	scratch_load_b128 v[10:13], off, off offset:768
	ds_load_b128 v[2:5], v1 offset:1520
	s_waitcnt vmcnt(10)
	v_mul_f64 v[231:232], v[180:181], v[16:17]
	v_mul_f64 v[16:17], v[182:183], v[16:17]
	v_add_f64 v[169:170], v[169:170], v[172:173]
	v_add_f64 v[229:230], v[229:230], v[174:175]
	ds_load_b128 v[172:175], v1 offset:1536
	s_waitcnt vmcnt(9) lgkmcnt(1)
	v_mul_f64 v[237:238], v[2:3], v[20:21]
	v_mul_f64 v[20:21], v[4:5], v[20:21]
	v_fma_f64 v[182:183], v[182:183], v[14:15], v[231:232]
	v_fma_f64 v[180:181], v[180:181], v[14:15], -v[16:17]
	scratch_load_b128 v[14:17], off, off offset:784
	v_add_f64 v[169:170], v[169:170], v[235:236]
	v_add_f64 v[229:230], v[229:230], v[233:234]
	v_fma_f64 v[233:234], v[4:5], v[18:19], v[237:238]
	v_fma_f64 v[235:236], v[2:3], v[18:19], -v[20:21]
	scratch_load_b128 v[18:21], off, off offset:800
	ds_load_b128 v[2:5], v1 offset:1552
	s_waitcnt vmcnt(10) lgkmcnt(1)
	v_mul_f64 v[231:232], v[172:173], v[24:25]
	v_mul_f64 v[24:25], v[174:175], v[24:25]
	s_waitcnt vmcnt(9) lgkmcnt(0)
	v_mul_f64 v[237:238], v[2:3], v[28:29]
	v_mul_f64 v[28:29], v[4:5], v[28:29]
	v_add_f64 v[169:170], v[169:170], v[180:181]
	v_add_f64 v[229:230], v[229:230], v[182:183]
	ds_load_b128 v[180:183], v1 offset:1568
	v_fma_f64 v[174:175], v[174:175], v[22:23], v[231:232]
	v_fma_f64 v[172:173], v[172:173], v[22:23], -v[24:25]
	scratch_load_b128 v[22:25], off, off offset:816
	v_add_f64 v[169:170], v[169:170], v[235:236]
	v_add_f64 v[229:230], v[229:230], v[233:234]
	v_fma_f64 v[233:234], v[4:5], v[26:27], v[237:238]
	v_fma_f64 v[235:236], v[2:3], v[26:27], -v[28:29]
	scratch_load_b128 v[26:29], off, off offset:832
	ds_load_b128 v[2:5], v1 offset:1584
	s_waitcnt vmcnt(10) lgkmcnt(1)
	v_mul_f64 v[231:232], v[180:181], v[32:33]
	v_mul_f64 v[32:33], v[182:183], v[32:33]
	s_waitcnt vmcnt(9) lgkmcnt(0)
	v_mul_f64 v[237:238], v[2:3], v[40:41]
	v_mul_f64 v[40:41], v[4:5], v[40:41]
	v_add_f64 v[169:170], v[169:170], v[172:173]
	v_add_f64 v[229:230], v[229:230], v[174:175]
	ds_load_b128 v[172:175], v1 offset:1600
	v_fma_f64 v[182:183], v[182:183], v[30:31], v[231:232]
	v_fma_f64 v[180:181], v[180:181], v[30:31], -v[32:33]
	scratch_load_b128 v[30:33], off, off offset:848
	v_add_f64 v[169:170], v[169:170], v[235:236]
	v_add_f64 v[229:230], v[229:230], v[233:234]
	v_fma_f64 v[235:236], v[4:5], v[38:39], v[237:238]
	v_fma_f64 v[237:238], v[2:3], v[38:39], -v[40:41]
	scratch_load_b128 v[38:41], off, off offset:864
	ds_load_b128 v[2:5], v1 offset:1616
	s_waitcnt vmcnt(9) lgkmcnt(1)
	v_mul_f64 v[231:232], v[172:173], v[178:179]
	v_mul_f64 v[233:234], v[174:175], v[178:179]
	v_add_f64 v[169:170], v[169:170], v[180:181]
	v_add_f64 v[182:183], v[229:230], v[182:183]
	ds_load_b128 v[178:181], v1 offset:1632
	v_fma_f64 v[174:175], v[174:175], v[176:177], v[231:232]
	v_fma_f64 v[172:173], v[172:173], v[176:177], -v[233:234]
	s_waitcnt vmcnt(8) lgkmcnt(1)
	v_mul_f64 v[229:230], v[2:3], v[36:37]
	v_mul_f64 v[36:37], v[4:5], v[36:37]
	v_add_f64 v[169:170], v[169:170], v[237:238]
	v_add_f64 v[176:177], v[182:183], v[235:236]
	s_delay_alu instid0(VALU_DEP_4)
	v_fma_f64 v[229:230], v[4:5], v[34:35], v[229:230]
	s_waitcnt vmcnt(7) lgkmcnt(0)
	v_mul_f64 v[182:183], v[178:179], v[8:9]
	v_mul_f64 v[8:9], v[180:181], v[8:9]
	v_fma_f64 v[231:232], v[2:3], v[34:35], -v[36:37]
	ds_load_b128 v[2:5], v1 offset:1648
	ds_load_b128 v[34:37], v1 offset:1664
	v_add_f64 v[169:170], v[169:170], v[172:173]
	v_add_f64 v[172:173], v[176:177], v[174:175]
	s_waitcnt vmcnt(6) lgkmcnt(1)
	v_mul_f64 v[174:175], v[2:3], v[12:13]
	v_mul_f64 v[12:13], v[4:5], v[12:13]
	v_fma_f64 v[176:177], v[180:181], v[6:7], v[182:183]
	v_fma_f64 v[6:7], v[178:179], v[6:7], -v[8:9]
	v_add_f64 v[8:9], v[169:170], v[231:232]
	v_add_f64 v[169:170], v[172:173], v[229:230]
	s_waitcnt vmcnt(5) lgkmcnt(0)
	v_mul_f64 v[172:173], v[34:35], v[16:17]
	v_mul_f64 v[16:17], v[36:37], v[16:17]
	v_fma_f64 v[174:175], v[4:5], v[10:11], v[174:175]
	v_fma_f64 v[10:11], v[2:3], v[10:11], -v[12:13]
	v_add_f64 v[12:13], v[8:9], v[6:7]
	v_add_f64 v[169:170], v[169:170], v[176:177]
	ds_load_b128 v[2:5], v1 offset:1680
	ds_load_b128 v[6:9], v1 offset:1696
	v_fma_f64 v[36:37], v[36:37], v[14:15], v[172:173]
	v_fma_f64 v[14:15], v[34:35], v[14:15], -v[16:17]
	s_waitcnt vmcnt(4) lgkmcnt(1)
	v_mul_f64 v[176:177], v[2:3], v[20:21]
	v_mul_f64 v[20:21], v[4:5], v[20:21]
	s_waitcnt vmcnt(3) lgkmcnt(0)
	v_mul_f64 v[16:17], v[6:7], v[24:25]
	v_mul_f64 v[24:25], v[8:9], v[24:25]
	v_add_f64 v[10:11], v[12:13], v[10:11]
	v_add_f64 v[12:13], v[169:170], v[174:175]
	v_fma_f64 v[34:35], v[4:5], v[18:19], v[176:177]
	v_fma_f64 v[18:19], v[2:3], v[18:19], -v[20:21]
	v_fma_f64 v[8:9], v[8:9], v[22:23], v[16:17]
	v_fma_f64 v[6:7], v[6:7], v[22:23], -v[24:25]
	v_add_f64 v[14:15], v[10:11], v[14:15]
	v_add_f64 v[20:21], v[12:13], v[36:37]
	ds_load_b128 v[2:5], v1 offset:1712
	ds_load_b128 v[10:13], v1 offset:1728
	s_waitcnt vmcnt(2) lgkmcnt(1)
	v_mul_f64 v[36:37], v[2:3], v[28:29]
	v_mul_f64 v[28:29], v[4:5], v[28:29]
	v_add_f64 v[14:15], v[14:15], v[18:19]
	v_add_f64 v[16:17], v[20:21], v[34:35]
	s_waitcnt vmcnt(1) lgkmcnt(0)
	v_mul_f64 v[18:19], v[10:11], v[32:33]
	v_mul_f64 v[20:21], v[12:13], v[32:33]
	v_fma_f64 v[22:23], v[4:5], v[26:27], v[36:37]
	v_fma_f64 v[24:25], v[2:3], v[26:27], -v[28:29]
	ds_load_b128 v[2:5], v1 offset:1744
	v_add_f64 v[6:7], v[14:15], v[6:7]
	v_add_f64 v[8:9], v[16:17], v[8:9]
	v_fma_f64 v[12:13], v[12:13], v[30:31], v[18:19]
	v_fma_f64 v[10:11], v[10:11], v[30:31], -v[20:21]
	s_waitcnt vmcnt(0) lgkmcnt(0)
	v_mul_f64 v[14:15], v[2:3], v[40:41]
	v_mul_f64 v[16:17], v[4:5], v[40:41]
	v_add_f64 v[6:7], v[6:7], v[24:25]
	v_add_f64 v[8:9], v[8:9], v[22:23]
	s_delay_alu instid0(VALU_DEP_4) | instskip(NEXT) | instid1(VALU_DEP_4)
	v_fma_f64 v[4:5], v[4:5], v[38:39], v[14:15]
	v_fma_f64 v[2:3], v[2:3], v[38:39], -v[16:17]
	s_delay_alu instid0(VALU_DEP_4) | instskip(NEXT) | instid1(VALU_DEP_4)
	v_add_f64 v[6:7], v[6:7], v[10:11]
	v_add_f64 v[8:9], v[8:9], v[12:13]
	s_delay_alu instid0(VALU_DEP_2) | instskip(NEXT) | instid1(VALU_DEP_2)
	v_add_f64 v[2:3], v[6:7], v[2:3]
	v_add_f64 v[4:5], v[8:9], v[4:5]
	s_delay_alu instid0(VALU_DEP_2) | instskip(NEXT) | instid1(VALU_DEP_2)
	v_add_f64 v[2:3], v[42:43], -v[2:3]
	v_add_f64 v[4:5], v[44:45], -v[4:5]
	scratch_store_b128 off, v[2:5], off offset:560
	v_cmpx_lt_u32_e32 34, v156
	s_cbranch_execz .LBB118_275
; %bb.274:
	scratch_load_b128 v[5:8], v221, off
	v_mov_b32_e32 v2, v1
	v_mov_b32_e32 v3, v1
	v_mov_b32_e32 v4, v1
	scratch_store_b128 off, v[1:4], off offset:544
	s_waitcnt vmcnt(0)
	ds_store_b128 v211, v[5:8]
.LBB118_275:
	s_or_b32 exec_lo, exec_lo, s2
	s_waitcnt lgkmcnt(0)
	s_waitcnt_vscnt null, 0x0
	s_barrier
	buffer_gl0_inv
	s_clause 0x8
	scratch_load_b128 v[2:5], off, off offset:560
	scratch_load_b128 v[6:9], off, off offset:576
	scratch_load_b128 v[10:13], off, off offset:592
	scratch_load_b128 v[14:17], off, off offset:608
	scratch_load_b128 v[18:21], off, off offset:624
	scratch_load_b128 v[22:25], off, off offset:640
	scratch_load_b128 v[26:29], off, off offset:656
	scratch_load_b128 v[30:33], off, off offset:672
	scratch_load_b128 v[34:37], off, off offset:688
	ds_load_b128 v[38:41], v1 offset:1440
	ds_load_b128 v[42:45], v1 offset:1456
	s_clause 0x1
	scratch_load_b128 v[172:175], off, off offset:544
	scratch_load_b128 v[176:179], off, off offset:704
	s_mov_b32 s2, exec_lo
	ds_load_b128 v[180:183], v1 offset:1488
	s_waitcnt vmcnt(10) lgkmcnt(2)
	v_mul_f64 v[169:170], v[40:41], v[4:5]
	v_mul_f64 v[4:5], v[38:39], v[4:5]
	s_waitcnt vmcnt(9) lgkmcnt(1)
	v_mul_f64 v[229:230], v[42:43], v[8:9]
	v_mul_f64 v[8:9], v[44:45], v[8:9]
	s_delay_alu instid0(VALU_DEP_4) | instskip(NEXT) | instid1(VALU_DEP_4)
	v_fma_f64 v[169:170], v[38:39], v[2:3], -v[169:170]
	v_fma_f64 v[231:232], v[40:41], v[2:3], v[4:5]
	ds_load_b128 v[2:5], v1 offset:1472
	scratch_load_b128 v[38:41], off, off offset:720
	v_fma_f64 v[44:45], v[44:45], v[6:7], v[229:230]
	v_fma_f64 v[42:43], v[42:43], v[6:7], -v[8:9]
	scratch_load_b128 v[6:9], off, off offset:736
	s_waitcnt vmcnt(10) lgkmcnt(0)
	v_mul_f64 v[233:234], v[2:3], v[12:13]
	v_mul_f64 v[12:13], v[4:5], v[12:13]
	v_add_f64 v[169:170], v[169:170], 0
	v_add_f64 v[229:230], v[231:232], 0
	s_waitcnt vmcnt(9)
	v_mul_f64 v[231:232], v[180:181], v[16:17]
	v_mul_f64 v[16:17], v[182:183], v[16:17]
	v_fma_f64 v[233:234], v[4:5], v[10:11], v[233:234]
	v_fma_f64 v[235:236], v[2:3], v[10:11], -v[12:13]
	ds_load_b128 v[2:5], v1 offset:1504
	scratch_load_b128 v[10:13], off, off offset:752
	v_add_f64 v[169:170], v[169:170], v[42:43]
	v_add_f64 v[229:230], v[229:230], v[44:45]
	ds_load_b128 v[42:45], v1 offset:1520
	v_fma_f64 v[182:183], v[182:183], v[14:15], v[231:232]
	v_fma_f64 v[180:181], v[180:181], v[14:15], -v[16:17]
	scratch_load_b128 v[14:17], off, off offset:768
	s_waitcnt vmcnt(10) lgkmcnt(1)
	v_mul_f64 v[237:238], v[2:3], v[20:21]
	v_mul_f64 v[20:21], v[4:5], v[20:21]
	s_waitcnt vmcnt(9) lgkmcnt(0)
	v_mul_f64 v[231:232], v[42:43], v[24:25]
	v_mul_f64 v[24:25], v[44:45], v[24:25]
	v_add_f64 v[169:170], v[169:170], v[235:236]
	v_add_f64 v[229:230], v[229:230], v[233:234]
	v_fma_f64 v[233:234], v[4:5], v[18:19], v[237:238]
	v_fma_f64 v[235:236], v[2:3], v[18:19], -v[20:21]
	ds_load_b128 v[2:5], v1 offset:1536
	scratch_load_b128 v[18:21], off, off offset:784
	v_fma_f64 v[44:45], v[44:45], v[22:23], v[231:232]
	v_fma_f64 v[42:43], v[42:43], v[22:23], -v[24:25]
	scratch_load_b128 v[22:25], off, off offset:800
	v_add_f64 v[169:170], v[169:170], v[180:181]
	v_add_f64 v[229:230], v[229:230], v[182:183]
	ds_load_b128 v[180:183], v1 offset:1552
	s_waitcnt vmcnt(10) lgkmcnt(1)
	v_mul_f64 v[237:238], v[2:3], v[28:29]
	v_mul_f64 v[28:29], v[4:5], v[28:29]
	s_waitcnt vmcnt(9) lgkmcnt(0)
	v_mul_f64 v[231:232], v[180:181], v[32:33]
	v_mul_f64 v[32:33], v[182:183], v[32:33]
	v_add_f64 v[169:170], v[169:170], v[235:236]
	v_add_f64 v[229:230], v[229:230], v[233:234]
	v_fma_f64 v[233:234], v[4:5], v[26:27], v[237:238]
	v_fma_f64 v[235:236], v[2:3], v[26:27], -v[28:29]
	ds_load_b128 v[2:5], v1 offset:1568
	scratch_load_b128 v[26:29], off, off offset:816
	v_fma_f64 v[182:183], v[182:183], v[30:31], v[231:232]
	v_fma_f64 v[180:181], v[180:181], v[30:31], -v[32:33]
	scratch_load_b128 v[30:33], off, off offset:832
	v_add_f64 v[169:170], v[169:170], v[42:43]
	v_add_f64 v[229:230], v[229:230], v[44:45]
	ds_load_b128 v[42:45], v1 offset:1584
	s_waitcnt vmcnt(10) lgkmcnt(1)
	v_mul_f64 v[237:238], v[2:3], v[36:37]
	v_mul_f64 v[36:37], v[4:5], v[36:37]
	s_waitcnt vmcnt(8) lgkmcnt(0)
	v_mul_f64 v[231:232], v[42:43], v[178:179]
	v_add_f64 v[169:170], v[169:170], v[235:236]
	v_add_f64 v[229:230], v[229:230], v[233:234]
	v_mul_f64 v[233:234], v[44:45], v[178:179]
	v_fma_f64 v[235:236], v[4:5], v[34:35], v[237:238]
	v_fma_f64 v[237:238], v[2:3], v[34:35], -v[36:37]
	ds_load_b128 v[2:5], v1 offset:1600
	scratch_load_b128 v[34:37], off, off offset:848
	v_fma_f64 v[44:45], v[44:45], v[176:177], v[231:232]
	v_add_f64 v[169:170], v[169:170], v[180:181]
	v_add_f64 v[182:183], v[229:230], v[182:183]
	ds_load_b128 v[178:181], v1 offset:1616
	v_fma_f64 v[176:177], v[42:43], v[176:177], -v[233:234]
	s_waitcnt vmcnt(8) lgkmcnt(1)
	v_mul_f64 v[229:230], v[2:3], v[40:41]
	v_mul_f64 v[239:240], v[4:5], v[40:41]
	scratch_load_b128 v[40:43], off, off offset:864
	s_waitcnt vmcnt(8) lgkmcnt(0)
	v_mul_f64 v[233:234], v[178:179], v[8:9]
	v_mul_f64 v[8:9], v[180:181], v[8:9]
	v_add_f64 v[169:170], v[169:170], v[237:238]
	v_add_f64 v[182:183], v[182:183], v[235:236]
	v_fma_f64 v[235:236], v[4:5], v[38:39], v[229:230]
	v_fma_f64 v[38:39], v[2:3], v[38:39], -v[239:240]
	ds_load_b128 v[2:5], v1 offset:1632
	ds_load_b128 v[229:232], v1 offset:1648
	v_fma_f64 v[180:181], v[180:181], v[6:7], v[233:234]
	v_fma_f64 v[6:7], v[178:179], v[6:7], -v[8:9]
	v_add_f64 v[169:170], v[169:170], v[176:177]
	v_add_f64 v[44:45], v[182:183], v[44:45]
	s_waitcnt vmcnt(7) lgkmcnt(1)
	v_mul_f64 v[176:177], v[2:3], v[12:13]
	v_mul_f64 v[12:13], v[4:5], v[12:13]
	s_delay_alu instid0(VALU_DEP_4) | instskip(NEXT) | instid1(VALU_DEP_4)
	v_add_f64 v[8:9], v[169:170], v[38:39]
	v_add_f64 v[38:39], v[44:45], v[235:236]
	s_waitcnt vmcnt(6) lgkmcnt(0)
	v_mul_f64 v[44:45], v[229:230], v[16:17]
	v_mul_f64 v[16:17], v[231:232], v[16:17]
	v_fma_f64 v[169:170], v[4:5], v[10:11], v[176:177]
	v_fma_f64 v[10:11], v[2:3], v[10:11], -v[12:13]
	v_add_f64 v[12:13], v[8:9], v[6:7]
	v_add_f64 v[38:39], v[38:39], v[180:181]
	ds_load_b128 v[2:5], v1 offset:1664
	ds_load_b128 v[6:9], v1 offset:1680
	v_fma_f64 v[44:45], v[231:232], v[14:15], v[44:45]
	v_fma_f64 v[14:15], v[229:230], v[14:15], -v[16:17]
	s_waitcnt vmcnt(5) lgkmcnt(1)
	v_mul_f64 v[176:177], v[2:3], v[20:21]
	v_mul_f64 v[20:21], v[4:5], v[20:21]
	s_waitcnt vmcnt(4) lgkmcnt(0)
	v_mul_f64 v[16:17], v[6:7], v[24:25]
	v_mul_f64 v[24:25], v[8:9], v[24:25]
	v_add_f64 v[10:11], v[12:13], v[10:11]
	v_add_f64 v[12:13], v[38:39], v[169:170]
	v_fma_f64 v[38:39], v[4:5], v[18:19], v[176:177]
	v_fma_f64 v[18:19], v[2:3], v[18:19], -v[20:21]
	v_fma_f64 v[8:9], v[8:9], v[22:23], v[16:17]
	v_fma_f64 v[6:7], v[6:7], v[22:23], -v[24:25]
	v_add_f64 v[14:15], v[10:11], v[14:15]
	v_add_f64 v[20:21], v[12:13], v[44:45]
	ds_load_b128 v[2:5], v1 offset:1696
	ds_load_b128 v[10:13], v1 offset:1712
	s_waitcnt vmcnt(3) lgkmcnt(1)
	v_mul_f64 v[44:45], v[2:3], v[28:29]
	v_mul_f64 v[28:29], v[4:5], v[28:29]
	v_add_f64 v[14:15], v[14:15], v[18:19]
	v_add_f64 v[16:17], v[20:21], v[38:39]
	s_waitcnt vmcnt(2) lgkmcnt(0)
	v_mul_f64 v[18:19], v[10:11], v[32:33]
	v_mul_f64 v[20:21], v[12:13], v[32:33]
	v_fma_f64 v[22:23], v[4:5], v[26:27], v[44:45]
	v_fma_f64 v[24:25], v[2:3], v[26:27], -v[28:29]
	v_add_f64 v[14:15], v[14:15], v[6:7]
	v_add_f64 v[16:17], v[16:17], v[8:9]
	ds_load_b128 v[2:5], v1 offset:1728
	ds_load_b128 v[6:9], v1 offset:1744
	v_fma_f64 v[12:13], v[12:13], v[30:31], v[18:19]
	v_fma_f64 v[10:11], v[10:11], v[30:31], -v[20:21]
	s_waitcnt vmcnt(1) lgkmcnt(1)
	v_mul_f64 v[26:27], v[2:3], v[36:37]
	v_mul_f64 v[28:29], v[4:5], v[36:37]
	s_waitcnt vmcnt(0) lgkmcnt(0)
	v_mul_f64 v[18:19], v[6:7], v[42:43]
	v_add_f64 v[14:15], v[14:15], v[24:25]
	v_add_f64 v[16:17], v[16:17], v[22:23]
	v_mul_f64 v[20:21], v[8:9], v[42:43]
	v_fma_f64 v[4:5], v[4:5], v[34:35], v[26:27]
	v_fma_f64 v[1:2], v[2:3], v[34:35], -v[28:29]
	v_fma_f64 v[8:9], v[8:9], v[40:41], v[18:19]
	v_add_f64 v[10:11], v[14:15], v[10:11]
	v_add_f64 v[12:13], v[16:17], v[12:13]
	v_fma_f64 v[6:7], v[6:7], v[40:41], -v[20:21]
	s_delay_alu instid0(VALU_DEP_3) | instskip(NEXT) | instid1(VALU_DEP_3)
	v_add_f64 v[1:2], v[10:11], v[1:2]
	v_add_f64 v[3:4], v[12:13], v[4:5]
	s_delay_alu instid0(VALU_DEP_2) | instskip(NEXT) | instid1(VALU_DEP_2)
	v_add_f64 v[1:2], v[1:2], v[6:7]
	v_add_f64 v[3:4], v[3:4], v[8:9]
	s_delay_alu instid0(VALU_DEP_2) | instskip(NEXT) | instid1(VALU_DEP_2)
	v_add_f64 v[1:2], v[172:173], -v[1:2]
	v_add_f64 v[3:4], v[174:175], -v[3:4]
	scratch_store_b128 off, v[1:4], off offset:544
	v_cmpx_lt_u32_e32 33, v156
	s_cbranch_execz .LBB118_277
; %bb.276:
	scratch_load_b128 v[1:4], v222, off
	v_mov_b32_e32 v5, 0
	s_delay_alu instid0(VALU_DEP_1)
	v_mov_b32_e32 v6, v5
	v_mov_b32_e32 v7, v5
	;; [unrolled: 1-line block ×3, first 2 shown]
	scratch_store_b128 off, v[5:8], off offset:528
	s_waitcnt vmcnt(0)
	ds_store_b128 v211, v[1:4]
.LBB118_277:
	s_or_b32 exec_lo, exec_lo, s2
	s_waitcnt lgkmcnt(0)
	s_waitcnt_vscnt null, 0x0
	s_barrier
	buffer_gl0_inv
	s_clause 0x7
	scratch_load_b128 v[2:5], off, off offset:544
	scratch_load_b128 v[6:9], off, off offset:560
	;; [unrolled: 1-line block ×8, first 2 shown]
	v_mov_b32_e32 v1, 0
	s_mov_b32 s2, exec_lo
	ds_load_b128 v[34:37], v1 offset:1424
	s_clause 0x1
	scratch_load_b128 v[38:41], off, off offset:672
	scratch_load_b128 v[42:45], off, off offset:528
	ds_load_b128 v[172:175], v1 offset:1440
	scratch_load_b128 v[176:179], off, off offset:688
	ds_load_b128 v[180:183], v1 offset:1472
	s_waitcnt vmcnt(10) lgkmcnt(2)
	v_mul_f64 v[169:170], v[36:37], v[4:5]
	v_mul_f64 v[4:5], v[34:35], v[4:5]
	s_delay_alu instid0(VALU_DEP_2) | instskip(NEXT) | instid1(VALU_DEP_2)
	v_fma_f64 v[169:170], v[34:35], v[2:3], -v[169:170]
	v_fma_f64 v[231:232], v[36:37], v[2:3], v[4:5]
	ds_load_b128 v[2:5], v1 offset:1456
	s_waitcnt vmcnt(9) lgkmcnt(2)
	v_mul_f64 v[229:230], v[172:173], v[8:9]
	v_mul_f64 v[8:9], v[174:175], v[8:9]
	scratch_load_b128 v[34:37], off, off offset:704
	s_waitcnt vmcnt(9) lgkmcnt(0)
	v_mul_f64 v[233:234], v[2:3], v[12:13]
	v_mul_f64 v[12:13], v[4:5], v[12:13]
	v_add_f64 v[169:170], v[169:170], 0
	v_fma_f64 v[174:175], v[174:175], v[6:7], v[229:230]
	v_fma_f64 v[172:173], v[172:173], v[6:7], -v[8:9]
	v_add_f64 v[229:230], v[231:232], 0
	scratch_load_b128 v[6:9], off, off offset:720
	v_fma_f64 v[233:234], v[4:5], v[10:11], v[233:234]
	v_fma_f64 v[235:236], v[2:3], v[10:11], -v[12:13]
	scratch_load_b128 v[10:13], off, off offset:736
	ds_load_b128 v[2:5], v1 offset:1488
	s_waitcnt vmcnt(10)
	v_mul_f64 v[231:232], v[180:181], v[16:17]
	v_mul_f64 v[16:17], v[182:183], v[16:17]
	v_add_f64 v[169:170], v[169:170], v[172:173]
	v_add_f64 v[229:230], v[229:230], v[174:175]
	ds_load_b128 v[172:175], v1 offset:1504
	s_waitcnt vmcnt(9) lgkmcnt(1)
	v_mul_f64 v[237:238], v[2:3], v[20:21]
	v_mul_f64 v[20:21], v[4:5], v[20:21]
	v_fma_f64 v[182:183], v[182:183], v[14:15], v[231:232]
	v_fma_f64 v[180:181], v[180:181], v[14:15], -v[16:17]
	scratch_load_b128 v[14:17], off, off offset:752
	v_add_f64 v[169:170], v[169:170], v[235:236]
	v_add_f64 v[229:230], v[229:230], v[233:234]
	v_fma_f64 v[233:234], v[4:5], v[18:19], v[237:238]
	v_fma_f64 v[235:236], v[2:3], v[18:19], -v[20:21]
	scratch_load_b128 v[18:21], off, off offset:768
	ds_load_b128 v[2:5], v1 offset:1520
	s_waitcnt vmcnt(10) lgkmcnt(1)
	v_mul_f64 v[231:232], v[172:173], v[24:25]
	v_mul_f64 v[24:25], v[174:175], v[24:25]
	s_waitcnt vmcnt(9) lgkmcnt(0)
	v_mul_f64 v[237:238], v[2:3], v[28:29]
	v_mul_f64 v[28:29], v[4:5], v[28:29]
	v_add_f64 v[169:170], v[169:170], v[180:181]
	v_add_f64 v[229:230], v[229:230], v[182:183]
	ds_load_b128 v[180:183], v1 offset:1536
	v_fma_f64 v[174:175], v[174:175], v[22:23], v[231:232]
	v_fma_f64 v[172:173], v[172:173], v[22:23], -v[24:25]
	scratch_load_b128 v[22:25], off, off offset:784
	v_add_f64 v[169:170], v[169:170], v[235:236]
	v_add_f64 v[229:230], v[229:230], v[233:234]
	v_fma_f64 v[233:234], v[4:5], v[26:27], v[237:238]
	v_fma_f64 v[235:236], v[2:3], v[26:27], -v[28:29]
	scratch_load_b128 v[26:29], off, off offset:800
	ds_load_b128 v[2:5], v1 offset:1552
	s_waitcnt vmcnt(10) lgkmcnt(1)
	v_mul_f64 v[231:232], v[180:181], v[32:33]
	v_mul_f64 v[32:33], v[182:183], v[32:33]
	s_waitcnt vmcnt(9) lgkmcnt(0)
	v_mul_f64 v[237:238], v[2:3], v[40:41]
	v_mul_f64 v[40:41], v[4:5], v[40:41]
	v_add_f64 v[169:170], v[169:170], v[172:173]
	v_add_f64 v[229:230], v[229:230], v[174:175]
	ds_load_b128 v[172:175], v1 offset:1568
	v_fma_f64 v[182:183], v[182:183], v[30:31], v[231:232]
	v_fma_f64 v[180:181], v[180:181], v[30:31], -v[32:33]
	scratch_load_b128 v[30:33], off, off offset:816
	v_add_f64 v[169:170], v[169:170], v[235:236]
	v_add_f64 v[229:230], v[229:230], v[233:234]
	v_fma_f64 v[235:236], v[4:5], v[38:39], v[237:238]
	v_fma_f64 v[237:238], v[2:3], v[38:39], -v[40:41]
	scratch_load_b128 v[38:41], off, off offset:832
	ds_load_b128 v[2:5], v1 offset:1584
	s_waitcnt vmcnt(9) lgkmcnt(1)
	v_mul_f64 v[231:232], v[172:173], v[178:179]
	v_mul_f64 v[233:234], v[174:175], v[178:179]
	v_add_f64 v[169:170], v[169:170], v[180:181]
	v_add_f64 v[182:183], v[229:230], v[182:183]
	ds_load_b128 v[178:181], v1 offset:1600
	v_fma_f64 v[231:232], v[174:175], v[176:177], v[231:232]
	v_fma_f64 v[176:177], v[172:173], v[176:177], -v[233:234]
	scratch_load_b128 v[172:175], off, off offset:848
	s_waitcnt vmcnt(9) lgkmcnt(1)
	v_mul_f64 v[229:230], v[2:3], v[36:37]
	v_mul_f64 v[36:37], v[4:5], v[36:37]
	v_add_f64 v[169:170], v[169:170], v[237:238]
	v_add_f64 v[182:183], v[182:183], v[235:236]
	s_delay_alu instid0(VALU_DEP_4) | instskip(NEXT) | instid1(VALU_DEP_4)
	v_fma_f64 v[235:236], v[4:5], v[34:35], v[229:230]
	v_fma_f64 v[237:238], v[2:3], v[34:35], -v[36:37]
	scratch_load_b128 v[34:37], off, off offset:864
	ds_load_b128 v[2:5], v1 offset:1616
	s_waitcnt vmcnt(9) lgkmcnt(1)
	v_mul_f64 v[233:234], v[178:179], v[8:9]
	v_mul_f64 v[8:9], v[180:181], v[8:9]
	v_add_f64 v[169:170], v[169:170], v[176:177]
	v_add_f64 v[176:177], v[182:183], v[231:232]
	s_waitcnt vmcnt(8) lgkmcnt(0)
	v_mul_f64 v[182:183], v[2:3], v[12:13]
	v_mul_f64 v[12:13], v[4:5], v[12:13]
	ds_load_b128 v[229:232], v1 offset:1632
	v_fma_f64 v[180:181], v[180:181], v[6:7], v[233:234]
	v_fma_f64 v[6:7], v[178:179], v[6:7], -v[8:9]
	v_add_f64 v[8:9], v[169:170], v[237:238]
	v_add_f64 v[169:170], v[176:177], v[235:236]
	s_waitcnt vmcnt(7) lgkmcnt(0)
	v_mul_f64 v[176:177], v[229:230], v[16:17]
	v_mul_f64 v[16:17], v[231:232], v[16:17]
	v_fma_f64 v[178:179], v[4:5], v[10:11], v[182:183]
	v_fma_f64 v[10:11], v[2:3], v[10:11], -v[12:13]
	v_add_f64 v[12:13], v[8:9], v[6:7]
	v_add_f64 v[169:170], v[169:170], v[180:181]
	ds_load_b128 v[2:5], v1 offset:1648
	ds_load_b128 v[6:9], v1 offset:1664
	v_fma_f64 v[176:177], v[231:232], v[14:15], v[176:177]
	v_fma_f64 v[14:15], v[229:230], v[14:15], -v[16:17]
	s_waitcnt vmcnt(6) lgkmcnt(1)
	v_mul_f64 v[180:181], v[2:3], v[20:21]
	v_mul_f64 v[20:21], v[4:5], v[20:21]
	s_waitcnt vmcnt(5) lgkmcnt(0)
	v_mul_f64 v[16:17], v[6:7], v[24:25]
	v_mul_f64 v[24:25], v[8:9], v[24:25]
	v_add_f64 v[10:11], v[12:13], v[10:11]
	v_add_f64 v[12:13], v[169:170], v[178:179]
	v_fma_f64 v[169:170], v[4:5], v[18:19], v[180:181]
	v_fma_f64 v[18:19], v[2:3], v[18:19], -v[20:21]
	v_fma_f64 v[8:9], v[8:9], v[22:23], v[16:17]
	v_fma_f64 v[6:7], v[6:7], v[22:23], -v[24:25]
	v_add_f64 v[14:15], v[10:11], v[14:15]
	v_add_f64 v[20:21], v[12:13], v[176:177]
	ds_load_b128 v[2:5], v1 offset:1680
	ds_load_b128 v[10:13], v1 offset:1696
	s_waitcnt vmcnt(4) lgkmcnt(1)
	v_mul_f64 v[176:177], v[2:3], v[28:29]
	v_mul_f64 v[28:29], v[4:5], v[28:29]
	v_add_f64 v[14:15], v[14:15], v[18:19]
	v_add_f64 v[16:17], v[20:21], v[169:170]
	s_waitcnt vmcnt(3) lgkmcnt(0)
	v_mul_f64 v[18:19], v[10:11], v[32:33]
	v_mul_f64 v[20:21], v[12:13], v[32:33]
	v_fma_f64 v[22:23], v[4:5], v[26:27], v[176:177]
	v_fma_f64 v[24:25], v[2:3], v[26:27], -v[28:29]
	v_add_f64 v[14:15], v[14:15], v[6:7]
	v_add_f64 v[16:17], v[16:17], v[8:9]
	ds_load_b128 v[2:5], v1 offset:1712
	ds_load_b128 v[6:9], v1 offset:1728
	v_fma_f64 v[12:13], v[12:13], v[30:31], v[18:19]
	v_fma_f64 v[10:11], v[10:11], v[30:31], -v[20:21]
	s_waitcnt vmcnt(2) lgkmcnt(1)
	v_mul_f64 v[26:27], v[2:3], v[40:41]
	v_mul_f64 v[28:29], v[4:5], v[40:41]
	s_waitcnt vmcnt(1) lgkmcnt(0)
	v_mul_f64 v[18:19], v[6:7], v[174:175]
	v_mul_f64 v[20:21], v[8:9], v[174:175]
	v_add_f64 v[14:15], v[14:15], v[24:25]
	v_add_f64 v[16:17], v[16:17], v[22:23]
	v_fma_f64 v[22:23], v[4:5], v[38:39], v[26:27]
	v_fma_f64 v[24:25], v[2:3], v[38:39], -v[28:29]
	ds_load_b128 v[2:5], v1 offset:1744
	v_fma_f64 v[8:9], v[8:9], v[172:173], v[18:19]
	v_fma_f64 v[6:7], v[6:7], v[172:173], -v[20:21]
	v_add_f64 v[10:11], v[14:15], v[10:11]
	v_add_f64 v[12:13], v[16:17], v[12:13]
	s_waitcnt vmcnt(0) lgkmcnt(0)
	v_mul_f64 v[14:15], v[2:3], v[36:37]
	v_mul_f64 v[16:17], v[4:5], v[36:37]
	s_delay_alu instid0(VALU_DEP_4) | instskip(NEXT) | instid1(VALU_DEP_4)
	v_add_f64 v[10:11], v[10:11], v[24:25]
	v_add_f64 v[12:13], v[12:13], v[22:23]
	s_delay_alu instid0(VALU_DEP_4) | instskip(NEXT) | instid1(VALU_DEP_4)
	v_fma_f64 v[4:5], v[4:5], v[34:35], v[14:15]
	v_fma_f64 v[2:3], v[2:3], v[34:35], -v[16:17]
	s_delay_alu instid0(VALU_DEP_4) | instskip(NEXT) | instid1(VALU_DEP_4)
	v_add_f64 v[6:7], v[10:11], v[6:7]
	v_add_f64 v[8:9], v[12:13], v[8:9]
	s_delay_alu instid0(VALU_DEP_2) | instskip(NEXT) | instid1(VALU_DEP_2)
	v_add_f64 v[2:3], v[6:7], v[2:3]
	v_add_f64 v[4:5], v[8:9], v[4:5]
	s_delay_alu instid0(VALU_DEP_2) | instskip(NEXT) | instid1(VALU_DEP_2)
	v_add_f64 v[2:3], v[42:43], -v[2:3]
	v_add_f64 v[4:5], v[44:45], -v[4:5]
	scratch_store_b128 off, v[2:5], off offset:528
	v_cmpx_lt_u32_e32 32, v156
	s_cbranch_execz .LBB118_279
; %bb.278:
	scratch_load_b128 v[5:8], v223, off
	v_mov_b32_e32 v2, v1
	v_mov_b32_e32 v3, v1
	;; [unrolled: 1-line block ×3, first 2 shown]
	scratch_store_b128 off, v[1:4], off offset:512
	s_waitcnt vmcnt(0)
	ds_store_b128 v211, v[5:8]
.LBB118_279:
	s_or_b32 exec_lo, exec_lo, s2
	s_waitcnt lgkmcnt(0)
	s_waitcnt_vscnt null, 0x0
	s_barrier
	buffer_gl0_inv
	s_clause 0x8
	scratch_load_b128 v[2:5], off, off offset:528
	scratch_load_b128 v[6:9], off, off offset:544
	;; [unrolled: 1-line block ×9, first 2 shown]
	ds_load_b128 v[38:41], v1 offset:1408
	ds_load_b128 v[42:45], v1 offset:1424
	s_clause 0x1
	scratch_load_b128 v[172:175], off, off offset:512
	scratch_load_b128 v[176:179], off, off offset:672
	s_mov_b32 s2, exec_lo
	ds_load_b128 v[180:183], v1 offset:1456
	s_waitcnt vmcnt(10) lgkmcnt(2)
	v_mul_f64 v[169:170], v[40:41], v[4:5]
	v_mul_f64 v[4:5], v[38:39], v[4:5]
	s_waitcnt vmcnt(9) lgkmcnt(1)
	v_mul_f64 v[229:230], v[42:43], v[8:9]
	v_mul_f64 v[8:9], v[44:45], v[8:9]
	s_delay_alu instid0(VALU_DEP_4) | instskip(NEXT) | instid1(VALU_DEP_4)
	v_fma_f64 v[169:170], v[38:39], v[2:3], -v[169:170]
	v_fma_f64 v[231:232], v[40:41], v[2:3], v[4:5]
	ds_load_b128 v[2:5], v1 offset:1440
	scratch_load_b128 v[38:41], off, off offset:688
	v_fma_f64 v[44:45], v[44:45], v[6:7], v[229:230]
	v_fma_f64 v[42:43], v[42:43], v[6:7], -v[8:9]
	scratch_load_b128 v[6:9], off, off offset:704
	s_waitcnt vmcnt(10) lgkmcnt(0)
	v_mul_f64 v[233:234], v[2:3], v[12:13]
	v_mul_f64 v[12:13], v[4:5], v[12:13]
	v_add_f64 v[169:170], v[169:170], 0
	v_add_f64 v[229:230], v[231:232], 0
	s_waitcnt vmcnt(9)
	v_mul_f64 v[231:232], v[180:181], v[16:17]
	v_mul_f64 v[16:17], v[182:183], v[16:17]
	v_fma_f64 v[233:234], v[4:5], v[10:11], v[233:234]
	v_fma_f64 v[235:236], v[2:3], v[10:11], -v[12:13]
	ds_load_b128 v[2:5], v1 offset:1472
	scratch_load_b128 v[10:13], off, off offset:720
	v_add_f64 v[169:170], v[169:170], v[42:43]
	v_add_f64 v[229:230], v[229:230], v[44:45]
	ds_load_b128 v[42:45], v1 offset:1488
	v_fma_f64 v[182:183], v[182:183], v[14:15], v[231:232]
	v_fma_f64 v[180:181], v[180:181], v[14:15], -v[16:17]
	scratch_load_b128 v[14:17], off, off offset:736
	s_waitcnt vmcnt(10) lgkmcnt(1)
	v_mul_f64 v[237:238], v[2:3], v[20:21]
	v_mul_f64 v[20:21], v[4:5], v[20:21]
	s_waitcnt vmcnt(9) lgkmcnt(0)
	v_mul_f64 v[231:232], v[42:43], v[24:25]
	v_mul_f64 v[24:25], v[44:45], v[24:25]
	v_add_f64 v[169:170], v[169:170], v[235:236]
	v_add_f64 v[229:230], v[229:230], v[233:234]
	v_fma_f64 v[233:234], v[4:5], v[18:19], v[237:238]
	v_fma_f64 v[235:236], v[2:3], v[18:19], -v[20:21]
	ds_load_b128 v[2:5], v1 offset:1504
	scratch_load_b128 v[18:21], off, off offset:752
	v_fma_f64 v[44:45], v[44:45], v[22:23], v[231:232]
	v_fma_f64 v[42:43], v[42:43], v[22:23], -v[24:25]
	scratch_load_b128 v[22:25], off, off offset:768
	v_add_f64 v[169:170], v[169:170], v[180:181]
	v_add_f64 v[229:230], v[229:230], v[182:183]
	ds_load_b128 v[180:183], v1 offset:1520
	s_waitcnt vmcnt(10) lgkmcnt(1)
	v_mul_f64 v[237:238], v[2:3], v[28:29]
	v_mul_f64 v[28:29], v[4:5], v[28:29]
	s_waitcnt vmcnt(9) lgkmcnt(0)
	v_mul_f64 v[231:232], v[180:181], v[32:33]
	v_mul_f64 v[32:33], v[182:183], v[32:33]
	v_add_f64 v[169:170], v[169:170], v[235:236]
	v_add_f64 v[229:230], v[229:230], v[233:234]
	v_fma_f64 v[233:234], v[4:5], v[26:27], v[237:238]
	v_fma_f64 v[235:236], v[2:3], v[26:27], -v[28:29]
	ds_load_b128 v[2:5], v1 offset:1536
	scratch_load_b128 v[26:29], off, off offset:784
	v_fma_f64 v[182:183], v[182:183], v[30:31], v[231:232]
	v_fma_f64 v[180:181], v[180:181], v[30:31], -v[32:33]
	scratch_load_b128 v[30:33], off, off offset:800
	v_add_f64 v[169:170], v[169:170], v[42:43]
	v_add_f64 v[229:230], v[229:230], v[44:45]
	ds_load_b128 v[42:45], v1 offset:1552
	s_waitcnt vmcnt(10) lgkmcnt(1)
	v_mul_f64 v[237:238], v[2:3], v[36:37]
	v_mul_f64 v[36:37], v[4:5], v[36:37]
	s_waitcnt vmcnt(8) lgkmcnt(0)
	v_mul_f64 v[231:232], v[42:43], v[178:179]
	v_add_f64 v[169:170], v[169:170], v[235:236]
	v_add_f64 v[229:230], v[229:230], v[233:234]
	v_mul_f64 v[233:234], v[44:45], v[178:179]
	v_fma_f64 v[235:236], v[4:5], v[34:35], v[237:238]
	v_fma_f64 v[237:238], v[2:3], v[34:35], -v[36:37]
	ds_load_b128 v[2:5], v1 offset:1568
	scratch_load_b128 v[34:37], off, off offset:816
	v_fma_f64 v[44:45], v[44:45], v[176:177], v[231:232]
	v_add_f64 v[169:170], v[169:170], v[180:181]
	v_add_f64 v[182:183], v[229:230], v[182:183]
	ds_load_b128 v[178:181], v1 offset:1584
	v_fma_f64 v[176:177], v[42:43], v[176:177], -v[233:234]
	s_waitcnt vmcnt(8) lgkmcnt(1)
	v_mul_f64 v[229:230], v[2:3], v[40:41]
	v_mul_f64 v[239:240], v[4:5], v[40:41]
	scratch_load_b128 v[40:43], off, off offset:832
	v_add_f64 v[169:170], v[169:170], v[237:238]
	v_add_f64 v[182:183], v[182:183], v[235:236]
	s_waitcnt vmcnt(8) lgkmcnt(0)
	v_mul_f64 v[237:238], v[178:179], v[8:9]
	v_mul_f64 v[8:9], v[180:181], v[8:9]
	ds_load_b128 v[233:236], v1 offset:1616
	v_fma_f64 v[241:242], v[4:5], v[38:39], v[229:230]
	v_fma_f64 v[38:39], v[2:3], v[38:39], -v[239:240]
	ds_load_b128 v[2:5], v1 offset:1600
	scratch_load_b128 v[229:232], off, off offset:848
	v_add_f64 v[169:170], v[169:170], v[176:177]
	v_add_f64 v[44:45], v[182:183], v[44:45]
	v_fma_f64 v[180:181], v[180:181], v[6:7], v[237:238]
	s_waitcnt vmcnt(8) lgkmcnt(0)
	v_mul_f64 v[176:177], v[2:3], v[12:13]
	v_mul_f64 v[12:13], v[4:5], v[12:13]
	v_fma_f64 v[178:179], v[178:179], v[6:7], -v[8:9]
	scratch_load_b128 v[6:9], off, off offset:864
	v_add_f64 v[38:39], v[169:170], v[38:39]
	v_add_f64 v[44:45], v[44:45], v[241:242]
	s_waitcnt vmcnt(8)
	v_mul_f64 v[169:170], v[233:234], v[16:17]
	v_mul_f64 v[16:17], v[235:236], v[16:17]
	v_fma_f64 v[176:177], v[4:5], v[10:11], v[176:177]
	v_fma_f64 v[182:183], v[2:3], v[10:11], -v[12:13]
	ds_load_b128 v[2:5], v1 offset:1632
	ds_load_b128 v[10:13], v1 offset:1648
	v_add_f64 v[38:39], v[38:39], v[178:179]
	v_add_f64 v[44:45], v[44:45], v[180:181]
	s_waitcnt vmcnt(7) lgkmcnt(1)
	v_mul_f64 v[178:179], v[2:3], v[20:21]
	v_mul_f64 v[20:21], v[4:5], v[20:21]
	v_fma_f64 v[169:170], v[235:236], v[14:15], v[169:170]
	v_fma_f64 v[14:15], v[233:234], v[14:15], -v[16:17]
	v_add_f64 v[16:17], v[38:39], v[182:183]
	v_add_f64 v[38:39], v[44:45], v[176:177]
	s_waitcnt vmcnt(6) lgkmcnt(0)
	v_mul_f64 v[44:45], v[10:11], v[24:25]
	v_mul_f64 v[24:25], v[12:13], v[24:25]
	v_fma_f64 v[176:177], v[4:5], v[18:19], v[178:179]
	v_fma_f64 v[18:19], v[2:3], v[18:19], -v[20:21]
	v_add_f64 v[20:21], v[16:17], v[14:15]
	v_add_f64 v[38:39], v[38:39], v[169:170]
	ds_load_b128 v[2:5], v1 offset:1664
	ds_load_b128 v[14:17], v1 offset:1680
	v_fma_f64 v[12:13], v[12:13], v[22:23], v[44:45]
	v_fma_f64 v[10:11], v[10:11], v[22:23], -v[24:25]
	s_waitcnt vmcnt(5) lgkmcnt(1)
	v_mul_f64 v[169:170], v[2:3], v[28:29]
	v_mul_f64 v[28:29], v[4:5], v[28:29]
	s_waitcnt vmcnt(4) lgkmcnt(0)
	v_mul_f64 v[22:23], v[14:15], v[32:33]
	v_mul_f64 v[24:25], v[16:17], v[32:33]
	v_add_f64 v[18:19], v[20:21], v[18:19]
	v_add_f64 v[20:21], v[38:39], v[176:177]
	v_fma_f64 v[32:33], v[4:5], v[26:27], v[169:170]
	v_fma_f64 v[26:27], v[2:3], v[26:27], -v[28:29]
	v_fma_f64 v[16:17], v[16:17], v[30:31], v[22:23]
	v_fma_f64 v[14:15], v[14:15], v[30:31], -v[24:25]
	v_add_f64 v[18:19], v[18:19], v[10:11]
	v_add_f64 v[20:21], v[20:21], v[12:13]
	ds_load_b128 v[2:5], v1 offset:1696
	ds_load_b128 v[10:13], v1 offset:1712
	s_waitcnt vmcnt(3) lgkmcnt(1)
	v_mul_f64 v[28:29], v[2:3], v[36:37]
	v_mul_f64 v[36:37], v[4:5], v[36:37]
	s_waitcnt vmcnt(2) lgkmcnt(0)
	v_mul_f64 v[22:23], v[10:11], v[42:43]
	v_add_f64 v[18:19], v[18:19], v[26:27]
	v_add_f64 v[20:21], v[20:21], v[32:33]
	v_mul_f64 v[24:25], v[12:13], v[42:43]
	v_fma_f64 v[26:27], v[4:5], v[34:35], v[28:29]
	v_fma_f64 v[28:29], v[2:3], v[34:35], -v[36:37]
	v_fma_f64 v[12:13], v[12:13], v[40:41], v[22:23]
	v_add_f64 v[18:19], v[18:19], v[14:15]
	v_add_f64 v[20:21], v[20:21], v[16:17]
	ds_load_b128 v[2:5], v1 offset:1728
	ds_load_b128 v[14:17], v1 offset:1744
	v_fma_f64 v[10:11], v[10:11], v[40:41], -v[24:25]
	s_waitcnt vmcnt(1) lgkmcnt(1)
	v_mul_f64 v[30:31], v[2:3], v[231:232]
	v_mul_f64 v[32:33], v[4:5], v[231:232]
	s_waitcnt vmcnt(0) lgkmcnt(0)
	v_mul_f64 v[22:23], v[14:15], v[8:9]
	v_mul_f64 v[8:9], v[16:17], v[8:9]
	v_add_f64 v[18:19], v[18:19], v[28:29]
	v_add_f64 v[20:21], v[20:21], v[26:27]
	v_fma_f64 v[4:5], v[4:5], v[229:230], v[30:31]
	v_fma_f64 v[1:2], v[2:3], v[229:230], -v[32:33]
	v_fma_f64 v[16:17], v[16:17], v[6:7], v[22:23]
	v_fma_f64 v[6:7], v[14:15], v[6:7], -v[8:9]
	v_add_f64 v[10:11], v[18:19], v[10:11]
	v_add_f64 v[12:13], v[20:21], v[12:13]
	s_delay_alu instid0(VALU_DEP_2) | instskip(NEXT) | instid1(VALU_DEP_2)
	v_add_f64 v[1:2], v[10:11], v[1:2]
	v_add_f64 v[3:4], v[12:13], v[4:5]
	s_delay_alu instid0(VALU_DEP_2) | instskip(NEXT) | instid1(VALU_DEP_2)
	;; [unrolled: 3-line block ×3, first 2 shown]
	v_add_f64 v[1:2], v[172:173], -v[1:2]
	v_add_f64 v[3:4], v[174:175], -v[3:4]
	scratch_store_b128 off, v[1:4], off offset:512
	v_cmpx_lt_u32_e32 31, v156
	s_cbranch_execz .LBB118_281
; %bb.280:
	scratch_load_b128 v[1:4], v224, off
	v_mov_b32_e32 v5, 0
	s_delay_alu instid0(VALU_DEP_1)
	v_mov_b32_e32 v6, v5
	v_mov_b32_e32 v7, v5
	;; [unrolled: 1-line block ×3, first 2 shown]
	scratch_store_b128 off, v[5:8], off offset:496
	s_waitcnt vmcnt(0)
	ds_store_b128 v211, v[1:4]
.LBB118_281:
	s_or_b32 exec_lo, exec_lo, s2
	s_waitcnt lgkmcnt(0)
	s_waitcnt_vscnt null, 0x0
	s_barrier
	buffer_gl0_inv
	s_clause 0x7
	scratch_load_b128 v[2:5], off, off offset:512
	scratch_load_b128 v[6:9], off, off offset:528
	;; [unrolled: 1-line block ×8, first 2 shown]
	v_mov_b32_e32 v1, 0
	s_mov_b32 s2, exec_lo
	ds_load_b128 v[34:37], v1 offset:1392
	s_clause 0x1
	scratch_load_b128 v[38:41], off, off offset:640
	scratch_load_b128 v[42:45], off, off offset:496
	ds_load_b128 v[172:175], v1 offset:1408
	scratch_load_b128 v[176:179], off, off offset:656
	ds_load_b128 v[180:183], v1 offset:1440
	s_waitcnt vmcnt(10) lgkmcnt(2)
	v_mul_f64 v[169:170], v[36:37], v[4:5]
	v_mul_f64 v[4:5], v[34:35], v[4:5]
	s_delay_alu instid0(VALU_DEP_2) | instskip(NEXT) | instid1(VALU_DEP_2)
	v_fma_f64 v[169:170], v[34:35], v[2:3], -v[169:170]
	v_fma_f64 v[231:232], v[36:37], v[2:3], v[4:5]
	ds_load_b128 v[2:5], v1 offset:1424
	s_waitcnt vmcnt(9) lgkmcnt(2)
	v_mul_f64 v[229:230], v[172:173], v[8:9]
	v_mul_f64 v[8:9], v[174:175], v[8:9]
	scratch_load_b128 v[34:37], off, off offset:672
	s_waitcnt vmcnt(9) lgkmcnt(0)
	v_mul_f64 v[233:234], v[2:3], v[12:13]
	v_mul_f64 v[12:13], v[4:5], v[12:13]
	v_add_f64 v[169:170], v[169:170], 0
	v_fma_f64 v[174:175], v[174:175], v[6:7], v[229:230]
	v_fma_f64 v[172:173], v[172:173], v[6:7], -v[8:9]
	v_add_f64 v[229:230], v[231:232], 0
	scratch_load_b128 v[6:9], off, off offset:688
	v_fma_f64 v[233:234], v[4:5], v[10:11], v[233:234]
	v_fma_f64 v[235:236], v[2:3], v[10:11], -v[12:13]
	scratch_load_b128 v[10:13], off, off offset:704
	ds_load_b128 v[2:5], v1 offset:1456
	s_waitcnt vmcnt(10)
	v_mul_f64 v[231:232], v[180:181], v[16:17]
	v_mul_f64 v[16:17], v[182:183], v[16:17]
	v_add_f64 v[169:170], v[169:170], v[172:173]
	v_add_f64 v[229:230], v[229:230], v[174:175]
	ds_load_b128 v[172:175], v1 offset:1472
	s_waitcnt vmcnt(9) lgkmcnt(1)
	v_mul_f64 v[237:238], v[2:3], v[20:21]
	v_mul_f64 v[20:21], v[4:5], v[20:21]
	v_fma_f64 v[182:183], v[182:183], v[14:15], v[231:232]
	v_fma_f64 v[180:181], v[180:181], v[14:15], -v[16:17]
	scratch_load_b128 v[14:17], off, off offset:720
	v_add_f64 v[169:170], v[169:170], v[235:236]
	v_add_f64 v[229:230], v[229:230], v[233:234]
	v_fma_f64 v[233:234], v[4:5], v[18:19], v[237:238]
	v_fma_f64 v[235:236], v[2:3], v[18:19], -v[20:21]
	scratch_load_b128 v[18:21], off, off offset:736
	ds_load_b128 v[2:5], v1 offset:1488
	s_waitcnt vmcnt(10) lgkmcnt(1)
	v_mul_f64 v[231:232], v[172:173], v[24:25]
	v_mul_f64 v[24:25], v[174:175], v[24:25]
	s_waitcnt vmcnt(9) lgkmcnt(0)
	v_mul_f64 v[237:238], v[2:3], v[28:29]
	v_mul_f64 v[28:29], v[4:5], v[28:29]
	v_add_f64 v[169:170], v[169:170], v[180:181]
	v_add_f64 v[229:230], v[229:230], v[182:183]
	ds_load_b128 v[180:183], v1 offset:1504
	v_fma_f64 v[174:175], v[174:175], v[22:23], v[231:232]
	v_fma_f64 v[172:173], v[172:173], v[22:23], -v[24:25]
	scratch_load_b128 v[22:25], off, off offset:752
	v_add_f64 v[169:170], v[169:170], v[235:236]
	v_add_f64 v[229:230], v[229:230], v[233:234]
	v_fma_f64 v[233:234], v[4:5], v[26:27], v[237:238]
	v_fma_f64 v[235:236], v[2:3], v[26:27], -v[28:29]
	scratch_load_b128 v[26:29], off, off offset:768
	ds_load_b128 v[2:5], v1 offset:1520
	s_waitcnt vmcnt(10) lgkmcnt(1)
	v_mul_f64 v[231:232], v[180:181], v[32:33]
	v_mul_f64 v[32:33], v[182:183], v[32:33]
	s_waitcnt vmcnt(9) lgkmcnt(0)
	v_mul_f64 v[237:238], v[2:3], v[40:41]
	v_mul_f64 v[40:41], v[4:5], v[40:41]
	v_add_f64 v[169:170], v[169:170], v[172:173]
	v_add_f64 v[229:230], v[229:230], v[174:175]
	ds_load_b128 v[172:175], v1 offset:1536
	v_fma_f64 v[182:183], v[182:183], v[30:31], v[231:232]
	v_fma_f64 v[180:181], v[180:181], v[30:31], -v[32:33]
	scratch_load_b128 v[30:33], off, off offset:784
	v_add_f64 v[169:170], v[169:170], v[235:236]
	v_add_f64 v[229:230], v[229:230], v[233:234]
	v_fma_f64 v[235:236], v[4:5], v[38:39], v[237:238]
	v_fma_f64 v[237:238], v[2:3], v[38:39], -v[40:41]
	scratch_load_b128 v[38:41], off, off offset:800
	ds_load_b128 v[2:5], v1 offset:1552
	s_waitcnt vmcnt(9) lgkmcnt(1)
	v_mul_f64 v[231:232], v[172:173], v[178:179]
	v_mul_f64 v[233:234], v[174:175], v[178:179]
	v_add_f64 v[169:170], v[169:170], v[180:181]
	v_add_f64 v[182:183], v[229:230], v[182:183]
	ds_load_b128 v[178:181], v1 offset:1568
	v_fma_f64 v[231:232], v[174:175], v[176:177], v[231:232]
	v_fma_f64 v[176:177], v[172:173], v[176:177], -v[233:234]
	scratch_load_b128 v[172:175], off, off offset:816
	s_waitcnt vmcnt(9) lgkmcnt(1)
	v_mul_f64 v[229:230], v[2:3], v[36:37]
	v_mul_f64 v[36:37], v[4:5], v[36:37]
	v_add_f64 v[169:170], v[169:170], v[237:238]
	v_add_f64 v[182:183], v[182:183], v[235:236]
	s_delay_alu instid0(VALU_DEP_4) | instskip(NEXT) | instid1(VALU_DEP_4)
	v_fma_f64 v[235:236], v[4:5], v[34:35], v[229:230]
	v_fma_f64 v[237:238], v[2:3], v[34:35], -v[36:37]
	scratch_load_b128 v[34:37], off, off offset:832
	ds_load_b128 v[2:5], v1 offset:1584
	s_waitcnt vmcnt(9) lgkmcnt(1)
	v_mul_f64 v[233:234], v[178:179], v[8:9]
	v_mul_f64 v[8:9], v[180:181], v[8:9]
	v_add_f64 v[169:170], v[169:170], v[176:177]
	v_add_f64 v[176:177], v[182:183], v[231:232]
	s_waitcnt vmcnt(8) lgkmcnt(0)
	v_mul_f64 v[182:183], v[2:3], v[12:13]
	v_mul_f64 v[12:13], v[4:5], v[12:13]
	ds_load_b128 v[229:232], v1 offset:1600
	v_fma_f64 v[180:181], v[180:181], v[6:7], v[233:234]
	v_fma_f64 v[178:179], v[178:179], v[6:7], -v[8:9]
	scratch_load_b128 v[6:9], off, off offset:848
	v_add_f64 v[169:170], v[169:170], v[237:238]
	v_add_f64 v[176:177], v[176:177], v[235:236]
	v_fma_f64 v[182:183], v[4:5], v[10:11], v[182:183]
	v_fma_f64 v[235:236], v[2:3], v[10:11], -v[12:13]
	scratch_load_b128 v[10:13], off, off offset:864
	ds_load_b128 v[2:5], v1 offset:1616
	s_waitcnt vmcnt(9) lgkmcnt(1)
	v_mul_f64 v[233:234], v[229:230], v[16:17]
	v_mul_f64 v[16:17], v[231:232], v[16:17]
	s_waitcnt vmcnt(8) lgkmcnt(0)
	v_mul_f64 v[237:238], v[2:3], v[20:21]
	v_mul_f64 v[20:21], v[4:5], v[20:21]
	v_add_f64 v[169:170], v[169:170], v[178:179]
	v_add_f64 v[180:181], v[176:177], v[180:181]
	ds_load_b128 v[176:179], v1 offset:1632
	v_fma_f64 v[231:232], v[231:232], v[14:15], v[233:234]
	v_fma_f64 v[14:15], v[229:230], v[14:15], -v[16:17]
	v_add_f64 v[16:17], v[169:170], v[235:236]
	v_add_f64 v[169:170], v[180:181], v[182:183]
	s_waitcnt vmcnt(7) lgkmcnt(0)
	v_mul_f64 v[180:181], v[176:177], v[24:25]
	v_mul_f64 v[24:25], v[178:179], v[24:25]
	v_fma_f64 v[182:183], v[4:5], v[18:19], v[237:238]
	v_fma_f64 v[18:19], v[2:3], v[18:19], -v[20:21]
	v_add_f64 v[20:21], v[16:17], v[14:15]
	v_add_f64 v[169:170], v[169:170], v[231:232]
	ds_load_b128 v[2:5], v1 offset:1648
	ds_load_b128 v[14:17], v1 offset:1664
	v_fma_f64 v[178:179], v[178:179], v[22:23], v[180:181]
	v_fma_f64 v[22:23], v[176:177], v[22:23], -v[24:25]
	s_waitcnt vmcnt(6) lgkmcnt(1)
	v_mul_f64 v[229:230], v[2:3], v[28:29]
	v_mul_f64 v[28:29], v[4:5], v[28:29]
	s_waitcnt vmcnt(5) lgkmcnt(0)
	v_mul_f64 v[24:25], v[14:15], v[32:33]
	v_mul_f64 v[32:33], v[16:17], v[32:33]
	v_add_f64 v[18:19], v[20:21], v[18:19]
	v_add_f64 v[20:21], v[169:170], v[182:183]
	v_fma_f64 v[169:170], v[4:5], v[26:27], v[229:230]
	v_fma_f64 v[26:27], v[2:3], v[26:27], -v[28:29]
	v_fma_f64 v[16:17], v[16:17], v[30:31], v[24:25]
	v_fma_f64 v[14:15], v[14:15], v[30:31], -v[32:33]
	v_add_f64 v[22:23], v[18:19], v[22:23]
	v_add_f64 v[28:29], v[20:21], v[178:179]
	ds_load_b128 v[2:5], v1 offset:1680
	ds_load_b128 v[18:21], v1 offset:1696
	s_waitcnt vmcnt(4) lgkmcnt(1)
	v_mul_f64 v[176:177], v[2:3], v[40:41]
	v_mul_f64 v[40:41], v[4:5], v[40:41]
	v_add_f64 v[22:23], v[22:23], v[26:27]
	v_add_f64 v[24:25], v[28:29], v[169:170]
	s_waitcnt vmcnt(3) lgkmcnt(0)
	v_mul_f64 v[26:27], v[18:19], v[174:175]
	v_mul_f64 v[28:29], v[20:21], v[174:175]
	v_fma_f64 v[30:31], v[4:5], v[38:39], v[176:177]
	v_fma_f64 v[32:33], v[2:3], v[38:39], -v[40:41]
	v_add_f64 v[22:23], v[22:23], v[14:15]
	v_add_f64 v[24:25], v[24:25], v[16:17]
	ds_load_b128 v[2:5], v1 offset:1712
	ds_load_b128 v[14:17], v1 offset:1728
	v_fma_f64 v[20:21], v[20:21], v[172:173], v[26:27]
	v_fma_f64 v[18:19], v[18:19], v[172:173], -v[28:29]
	s_waitcnt vmcnt(2) lgkmcnt(1)
	v_mul_f64 v[38:39], v[2:3], v[36:37]
	v_mul_f64 v[36:37], v[4:5], v[36:37]
	v_add_f64 v[22:23], v[22:23], v[32:33]
	v_add_f64 v[24:25], v[24:25], v[30:31]
	s_waitcnt vmcnt(1) lgkmcnt(0)
	v_mul_f64 v[26:27], v[14:15], v[8:9]
	v_mul_f64 v[8:9], v[16:17], v[8:9]
	v_fma_f64 v[28:29], v[4:5], v[34:35], v[38:39]
	v_fma_f64 v[30:31], v[2:3], v[34:35], -v[36:37]
	ds_load_b128 v[2:5], v1 offset:1744
	v_add_f64 v[18:19], v[22:23], v[18:19]
	v_add_f64 v[20:21], v[24:25], v[20:21]
	v_fma_f64 v[16:17], v[16:17], v[6:7], v[26:27]
	v_fma_f64 v[6:7], v[14:15], v[6:7], -v[8:9]
	s_waitcnt vmcnt(0) lgkmcnt(0)
	v_mul_f64 v[22:23], v[2:3], v[12:13]
	v_mul_f64 v[12:13], v[4:5], v[12:13]
	v_add_f64 v[8:9], v[18:19], v[30:31]
	v_add_f64 v[14:15], v[20:21], v[28:29]
	s_delay_alu instid0(VALU_DEP_4) | instskip(NEXT) | instid1(VALU_DEP_4)
	v_fma_f64 v[4:5], v[4:5], v[10:11], v[22:23]
	v_fma_f64 v[2:3], v[2:3], v[10:11], -v[12:13]
	s_delay_alu instid0(VALU_DEP_4) | instskip(NEXT) | instid1(VALU_DEP_4)
	v_add_f64 v[6:7], v[8:9], v[6:7]
	v_add_f64 v[8:9], v[14:15], v[16:17]
	s_delay_alu instid0(VALU_DEP_2) | instskip(NEXT) | instid1(VALU_DEP_2)
	v_add_f64 v[2:3], v[6:7], v[2:3]
	v_add_f64 v[4:5], v[8:9], v[4:5]
	s_delay_alu instid0(VALU_DEP_2) | instskip(NEXT) | instid1(VALU_DEP_2)
	v_add_f64 v[2:3], v[42:43], -v[2:3]
	v_add_f64 v[4:5], v[44:45], -v[4:5]
	scratch_store_b128 off, v[2:5], off offset:496
	v_cmpx_lt_u32_e32 30, v156
	s_cbranch_execz .LBB118_283
; %bb.282:
	scratch_load_b128 v[5:8], v225, off
	v_mov_b32_e32 v2, v1
	v_mov_b32_e32 v3, v1
	;; [unrolled: 1-line block ×3, first 2 shown]
	scratch_store_b128 off, v[1:4], off offset:480
	s_waitcnt vmcnt(0)
	ds_store_b128 v211, v[5:8]
.LBB118_283:
	s_or_b32 exec_lo, exec_lo, s2
	s_waitcnt lgkmcnt(0)
	s_waitcnt_vscnt null, 0x0
	s_barrier
	buffer_gl0_inv
	s_clause 0x8
	scratch_load_b128 v[2:5], off, off offset:496
	scratch_load_b128 v[6:9], off, off offset:512
	scratch_load_b128 v[10:13], off, off offset:528
	scratch_load_b128 v[14:17], off, off offset:544
	scratch_load_b128 v[18:21], off, off offset:560
	scratch_load_b128 v[22:25], off, off offset:576
	scratch_load_b128 v[26:29], off, off offset:592
	scratch_load_b128 v[30:33], off, off offset:608
	scratch_load_b128 v[34:37], off, off offset:624
	ds_load_b128 v[38:41], v1 offset:1376
	ds_load_b128 v[42:45], v1 offset:1392
	s_clause 0x1
	scratch_load_b128 v[172:175], off, off offset:480
	scratch_load_b128 v[176:179], off, off offset:640
	s_mov_b32 s2, exec_lo
	ds_load_b128 v[180:183], v1 offset:1424
	s_waitcnt vmcnt(10) lgkmcnt(2)
	v_mul_f64 v[169:170], v[40:41], v[4:5]
	v_mul_f64 v[4:5], v[38:39], v[4:5]
	s_waitcnt vmcnt(9) lgkmcnt(1)
	v_mul_f64 v[229:230], v[42:43], v[8:9]
	v_mul_f64 v[8:9], v[44:45], v[8:9]
	s_delay_alu instid0(VALU_DEP_4) | instskip(NEXT) | instid1(VALU_DEP_4)
	v_fma_f64 v[169:170], v[38:39], v[2:3], -v[169:170]
	v_fma_f64 v[231:232], v[40:41], v[2:3], v[4:5]
	ds_load_b128 v[2:5], v1 offset:1408
	scratch_load_b128 v[38:41], off, off offset:656
	v_fma_f64 v[44:45], v[44:45], v[6:7], v[229:230]
	v_fma_f64 v[42:43], v[42:43], v[6:7], -v[8:9]
	scratch_load_b128 v[6:9], off, off offset:672
	s_waitcnt vmcnt(10) lgkmcnt(0)
	v_mul_f64 v[233:234], v[2:3], v[12:13]
	v_mul_f64 v[12:13], v[4:5], v[12:13]
	v_add_f64 v[169:170], v[169:170], 0
	v_add_f64 v[229:230], v[231:232], 0
	s_waitcnt vmcnt(9)
	v_mul_f64 v[231:232], v[180:181], v[16:17]
	v_mul_f64 v[16:17], v[182:183], v[16:17]
	v_fma_f64 v[233:234], v[4:5], v[10:11], v[233:234]
	v_fma_f64 v[235:236], v[2:3], v[10:11], -v[12:13]
	ds_load_b128 v[2:5], v1 offset:1440
	scratch_load_b128 v[10:13], off, off offset:688
	v_add_f64 v[169:170], v[169:170], v[42:43]
	v_add_f64 v[229:230], v[229:230], v[44:45]
	ds_load_b128 v[42:45], v1 offset:1456
	v_fma_f64 v[182:183], v[182:183], v[14:15], v[231:232]
	v_fma_f64 v[180:181], v[180:181], v[14:15], -v[16:17]
	scratch_load_b128 v[14:17], off, off offset:704
	s_waitcnt vmcnt(10) lgkmcnt(1)
	v_mul_f64 v[237:238], v[2:3], v[20:21]
	v_mul_f64 v[20:21], v[4:5], v[20:21]
	s_waitcnt vmcnt(9) lgkmcnt(0)
	v_mul_f64 v[231:232], v[42:43], v[24:25]
	v_mul_f64 v[24:25], v[44:45], v[24:25]
	v_add_f64 v[169:170], v[169:170], v[235:236]
	v_add_f64 v[229:230], v[229:230], v[233:234]
	v_fma_f64 v[233:234], v[4:5], v[18:19], v[237:238]
	v_fma_f64 v[235:236], v[2:3], v[18:19], -v[20:21]
	ds_load_b128 v[2:5], v1 offset:1472
	scratch_load_b128 v[18:21], off, off offset:720
	v_fma_f64 v[44:45], v[44:45], v[22:23], v[231:232]
	v_fma_f64 v[42:43], v[42:43], v[22:23], -v[24:25]
	scratch_load_b128 v[22:25], off, off offset:736
	v_add_f64 v[169:170], v[169:170], v[180:181]
	v_add_f64 v[229:230], v[229:230], v[182:183]
	ds_load_b128 v[180:183], v1 offset:1488
	s_waitcnt vmcnt(10) lgkmcnt(1)
	v_mul_f64 v[237:238], v[2:3], v[28:29]
	v_mul_f64 v[28:29], v[4:5], v[28:29]
	s_waitcnt vmcnt(9) lgkmcnt(0)
	v_mul_f64 v[231:232], v[180:181], v[32:33]
	v_mul_f64 v[32:33], v[182:183], v[32:33]
	v_add_f64 v[169:170], v[169:170], v[235:236]
	v_add_f64 v[229:230], v[229:230], v[233:234]
	v_fma_f64 v[233:234], v[4:5], v[26:27], v[237:238]
	v_fma_f64 v[235:236], v[2:3], v[26:27], -v[28:29]
	ds_load_b128 v[2:5], v1 offset:1504
	scratch_load_b128 v[26:29], off, off offset:752
	v_fma_f64 v[182:183], v[182:183], v[30:31], v[231:232]
	v_fma_f64 v[180:181], v[180:181], v[30:31], -v[32:33]
	scratch_load_b128 v[30:33], off, off offset:768
	v_add_f64 v[169:170], v[169:170], v[42:43]
	v_add_f64 v[229:230], v[229:230], v[44:45]
	ds_load_b128 v[42:45], v1 offset:1520
	s_waitcnt vmcnt(10) lgkmcnt(1)
	v_mul_f64 v[237:238], v[2:3], v[36:37]
	v_mul_f64 v[36:37], v[4:5], v[36:37]
	s_waitcnt vmcnt(8) lgkmcnt(0)
	v_mul_f64 v[231:232], v[42:43], v[178:179]
	v_add_f64 v[169:170], v[169:170], v[235:236]
	v_add_f64 v[229:230], v[229:230], v[233:234]
	v_mul_f64 v[233:234], v[44:45], v[178:179]
	v_fma_f64 v[235:236], v[4:5], v[34:35], v[237:238]
	v_fma_f64 v[237:238], v[2:3], v[34:35], -v[36:37]
	ds_load_b128 v[2:5], v1 offset:1536
	scratch_load_b128 v[34:37], off, off offset:784
	v_fma_f64 v[44:45], v[44:45], v[176:177], v[231:232]
	v_add_f64 v[169:170], v[169:170], v[180:181]
	v_add_f64 v[182:183], v[229:230], v[182:183]
	ds_load_b128 v[178:181], v1 offset:1552
	v_fma_f64 v[176:177], v[42:43], v[176:177], -v[233:234]
	s_waitcnt vmcnt(8) lgkmcnt(1)
	v_mul_f64 v[229:230], v[2:3], v[40:41]
	v_mul_f64 v[239:240], v[4:5], v[40:41]
	scratch_load_b128 v[40:43], off, off offset:800
	v_add_f64 v[169:170], v[169:170], v[237:238]
	v_add_f64 v[182:183], v[182:183], v[235:236]
	s_waitcnt vmcnt(8) lgkmcnt(0)
	v_mul_f64 v[237:238], v[178:179], v[8:9]
	v_mul_f64 v[8:9], v[180:181], v[8:9]
	ds_load_b128 v[233:236], v1 offset:1584
	v_fma_f64 v[241:242], v[4:5], v[38:39], v[229:230]
	v_fma_f64 v[38:39], v[2:3], v[38:39], -v[239:240]
	ds_load_b128 v[2:5], v1 offset:1568
	scratch_load_b128 v[229:232], off, off offset:816
	v_add_f64 v[169:170], v[169:170], v[176:177]
	v_add_f64 v[44:45], v[182:183], v[44:45]
	v_fma_f64 v[180:181], v[180:181], v[6:7], v[237:238]
	s_waitcnt vmcnt(8) lgkmcnt(0)
	v_mul_f64 v[176:177], v[2:3], v[12:13]
	v_mul_f64 v[12:13], v[4:5], v[12:13]
	v_fma_f64 v[178:179], v[178:179], v[6:7], -v[8:9]
	scratch_load_b128 v[6:9], off, off offset:832
	v_add_f64 v[38:39], v[169:170], v[38:39]
	v_add_f64 v[44:45], v[44:45], v[241:242]
	s_waitcnt vmcnt(8)
	v_mul_f64 v[169:170], v[233:234], v[16:17]
	v_mul_f64 v[16:17], v[235:236], v[16:17]
	v_fma_f64 v[182:183], v[4:5], v[10:11], v[176:177]
	v_fma_f64 v[237:238], v[2:3], v[10:11], -v[12:13]
	ds_load_b128 v[2:5], v1 offset:1600
	scratch_load_b128 v[10:13], off, off offset:848
	v_add_f64 v[38:39], v[38:39], v[178:179]
	v_add_f64 v[44:45], v[44:45], v[180:181]
	ds_load_b128 v[176:179], v1 offset:1616
	s_waitcnt vmcnt(8) lgkmcnt(1)
	v_mul_f64 v[180:181], v[2:3], v[20:21]
	v_mul_f64 v[20:21], v[4:5], v[20:21]
	v_fma_f64 v[169:170], v[235:236], v[14:15], v[169:170]
	v_fma_f64 v[233:234], v[233:234], v[14:15], -v[16:17]
	scratch_load_b128 v[14:17], off, off offset:864
	v_add_f64 v[38:39], v[38:39], v[237:238]
	v_add_f64 v[44:45], v[44:45], v[182:183]
	s_waitcnt vmcnt(8) lgkmcnt(0)
	v_mul_f64 v[182:183], v[176:177], v[24:25]
	v_mul_f64 v[24:25], v[178:179], v[24:25]
	v_fma_f64 v[180:181], v[4:5], v[18:19], v[180:181]
	v_fma_f64 v[235:236], v[2:3], v[18:19], -v[20:21]
	ds_load_b128 v[2:5], v1 offset:1632
	ds_load_b128 v[18:21], v1 offset:1648
	v_add_f64 v[38:39], v[38:39], v[233:234]
	v_add_f64 v[44:45], v[44:45], v[169:170]
	s_waitcnt vmcnt(7) lgkmcnt(1)
	v_mul_f64 v[169:170], v[2:3], v[28:29]
	v_mul_f64 v[28:29], v[4:5], v[28:29]
	v_fma_f64 v[178:179], v[178:179], v[22:23], v[182:183]
	v_fma_f64 v[22:23], v[176:177], v[22:23], -v[24:25]
	v_add_f64 v[24:25], v[38:39], v[235:236]
	v_add_f64 v[38:39], v[44:45], v[180:181]
	s_waitcnt vmcnt(6) lgkmcnt(0)
	v_mul_f64 v[44:45], v[18:19], v[32:33]
	v_mul_f64 v[32:33], v[20:21], v[32:33]
	v_fma_f64 v[169:170], v[4:5], v[26:27], v[169:170]
	v_fma_f64 v[26:27], v[2:3], v[26:27], -v[28:29]
	v_add_f64 v[28:29], v[24:25], v[22:23]
	v_add_f64 v[38:39], v[38:39], v[178:179]
	ds_load_b128 v[2:5], v1 offset:1664
	ds_load_b128 v[22:25], v1 offset:1680
	v_fma_f64 v[20:21], v[20:21], v[30:31], v[44:45]
	v_fma_f64 v[18:19], v[18:19], v[30:31], -v[32:33]
	s_waitcnt vmcnt(5) lgkmcnt(1)
	v_mul_f64 v[176:177], v[2:3], v[36:37]
	v_mul_f64 v[36:37], v[4:5], v[36:37]
	s_waitcnt vmcnt(4) lgkmcnt(0)
	v_mul_f64 v[30:31], v[22:23], v[42:43]
	v_add_f64 v[26:27], v[28:29], v[26:27]
	v_add_f64 v[28:29], v[38:39], v[169:170]
	v_mul_f64 v[32:33], v[24:25], v[42:43]
	v_fma_f64 v[38:39], v[4:5], v[34:35], v[176:177]
	v_fma_f64 v[34:35], v[2:3], v[34:35], -v[36:37]
	v_fma_f64 v[24:25], v[24:25], v[40:41], v[30:31]
	v_add_f64 v[26:27], v[26:27], v[18:19]
	v_add_f64 v[28:29], v[28:29], v[20:21]
	ds_load_b128 v[2:5], v1 offset:1696
	ds_load_b128 v[18:21], v1 offset:1712
	v_fma_f64 v[22:23], v[22:23], v[40:41], -v[32:33]
	s_waitcnt vmcnt(3) lgkmcnt(1)
	v_mul_f64 v[36:37], v[2:3], v[231:232]
	v_mul_f64 v[42:43], v[4:5], v[231:232]
	s_waitcnt vmcnt(2) lgkmcnt(0)
	v_mul_f64 v[30:31], v[18:19], v[8:9]
	v_mul_f64 v[8:9], v[20:21], v[8:9]
	v_add_f64 v[26:27], v[26:27], v[34:35]
	v_add_f64 v[28:29], v[28:29], v[38:39]
	v_fma_f64 v[32:33], v[4:5], v[229:230], v[36:37]
	v_fma_f64 v[34:35], v[2:3], v[229:230], -v[42:43]
	v_fma_f64 v[20:21], v[20:21], v[6:7], v[30:31]
	v_fma_f64 v[6:7], v[18:19], v[6:7], -v[8:9]
	v_add_f64 v[26:27], v[26:27], v[22:23]
	v_add_f64 v[28:29], v[28:29], v[24:25]
	ds_load_b128 v[2:5], v1 offset:1728
	ds_load_b128 v[22:25], v1 offset:1744
	s_waitcnt vmcnt(1) lgkmcnt(1)
	v_mul_f64 v[36:37], v[2:3], v[12:13]
	v_mul_f64 v[12:13], v[4:5], v[12:13]
	v_add_f64 v[8:9], v[26:27], v[34:35]
	v_add_f64 v[18:19], v[28:29], v[32:33]
	s_waitcnt vmcnt(0) lgkmcnt(0)
	v_mul_f64 v[26:27], v[22:23], v[16:17]
	v_mul_f64 v[16:17], v[24:25], v[16:17]
	v_fma_f64 v[4:5], v[4:5], v[10:11], v[36:37]
	v_fma_f64 v[1:2], v[2:3], v[10:11], -v[12:13]
	v_add_f64 v[6:7], v[8:9], v[6:7]
	v_add_f64 v[8:9], v[18:19], v[20:21]
	v_fma_f64 v[10:11], v[24:25], v[14:15], v[26:27]
	v_fma_f64 v[12:13], v[22:23], v[14:15], -v[16:17]
	s_delay_alu instid0(VALU_DEP_4) | instskip(NEXT) | instid1(VALU_DEP_4)
	v_add_f64 v[1:2], v[6:7], v[1:2]
	v_add_f64 v[3:4], v[8:9], v[4:5]
	s_delay_alu instid0(VALU_DEP_2) | instskip(NEXT) | instid1(VALU_DEP_2)
	v_add_f64 v[1:2], v[1:2], v[12:13]
	v_add_f64 v[3:4], v[3:4], v[10:11]
	s_delay_alu instid0(VALU_DEP_2) | instskip(NEXT) | instid1(VALU_DEP_2)
	v_add_f64 v[1:2], v[172:173], -v[1:2]
	v_add_f64 v[3:4], v[174:175], -v[3:4]
	scratch_store_b128 off, v[1:4], off offset:480
	v_cmpx_lt_u32_e32 29, v156
	s_cbranch_execz .LBB118_285
; %bb.284:
	scratch_load_b128 v[1:4], v226, off
	v_mov_b32_e32 v5, 0
	s_delay_alu instid0(VALU_DEP_1)
	v_mov_b32_e32 v6, v5
	v_mov_b32_e32 v7, v5
	;; [unrolled: 1-line block ×3, first 2 shown]
	scratch_store_b128 off, v[5:8], off offset:464
	s_waitcnt vmcnt(0)
	ds_store_b128 v211, v[1:4]
.LBB118_285:
	s_or_b32 exec_lo, exec_lo, s2
	s_waitcnt lgkmcnt(0)
	s_waitcnt_vscnt null, 0x0
	s_barrier
	buffer_gl0_inv
	s_clause 0x7
	scratch_load_b128 v[2:5], off, off offset:480
	scratch_load_b128 v[6:9], off, off offset:496
	;; [unrolled: 1-line block ×8, first 2 shown]
	v_mov_b32_e32 v1, 0
	s_mov_b32 s2, exec_lo
	ds_load_b128 v[34:37], v1 offset:1360
	s_clause 0x1
	scratch_load_b128 v[38:41], off, off offset:608
	scratch_load_b128 v[42:45], off, off offset:464
	ds_load_b128 v[172:175], v1 offset:1376
	scratch_load_b128 v[176:179], off, off offset:624
	ds_load_b128 v[180:183], v1 offset:1408
	s_waitcnt vmcnt(10) lgkmcnt(2)
	v_mul_f64 v[169:170], v[36:37], v[4:5]
	v_mul_f64 v[4:5], v[34:35], v[4:5]
	s_delay_alu instid0(VALU_DEP_2) | instskip(NEXT) | instid1(VALU_DEP_2)
	v_fma_f64 v[169:170], v[34:35], v[2:3], -v[169:170]
	v_fma_f64 v[231:232], v[36:37], v[2:3], v[4:5]
	ds_load_b128 v[2:5], v1 offset:1392
	s_waitcnt vmcnt(9) lgkmcnt(2)
	v_mul_f64 v[229:230], v[172:173], v[8:9]
	v_mul_f64 v[8:9], v[174:175], v[8:9]
	scratch_load_b128 v[34:37], off, off offset:640
	s_waitcnt vmcnt(9) lgkmcnt(0)
	v_mul_f64 v[233:234], v[2:3], v[12:13]
	v_mul_f64 v[12:13], v[4:5], v[12:13]
	v_add_f64 v[169:170], v[169:170], 0
	v_fma_f64 v[174:175], v[174:175], v[6:7], v[229:230]
	v_fma_f64 v[172:173], v[172:173], v[6:7], -v[8:9]
	v_add_f64 v[229:230], v[231:232], 0
	scratch_load_b128 v[6:9], off, off offset:656
	v_fma_f64 v[233:234], v[4:5], v[10:11], v[233:234]
	v_fma_f64 v[235:236], v[2:3], v[10:11], -v[12:13]
	scratch_load_b128 v[10:13], off, off offset:672
	ds_load_b128 v[2:5], v1 offset:1424
	s_waitcnt vmcnt(10)
	v_mul_f64 v[231:232], v[180:181], v[16:17]
	v_mul_f64 v[16:17], v[182:183], v[16:17]
	v_add_f64 v[169:170], v[169:170], v[172:173]
	v_add_f64 v[229:230], v[229:230], v[174:175]
	ds_load_b128 v[172:175], v1 offset:1440
	s_waitcnt vmcnt(9) lgkmcnt(1)
	v_mul_f64 v[237:238], v[2:3], v[20:21]
	v_mul_f64 v[20:21], v[4:5], v[20:21]
	v_fma_f64 v[182:183], v[182:183], v[14:15], v[231:232]
	v_fma_f64 v[180:181], v[180:181], v[14:15], -v[16:17]
	scratch_load_b128 v[14:17], off, off offset:688
	v_add_f64 v[169:170], v[169:170], v[235:236]
	v_add_f64 v[229:230], v[229:230], v[233:234]
	v_fma_f64 v[233:234], v[4:5], v[18:19], v[237:238]
	v_fma_f64 v[235:236], v[2:3], v[18:19], -v[20:21]
	scratch_load_b128 v[18:21], off, off offset:704
	ds_load_b128 v[2:5], v1 offset:1456
	s_waitcnt vmcnt(10) lgkmcnt(1)
	v_mul_f64 v[231:232], v[172:173], v[24:25]
	v_mul_f64 v[24:25], v[174:175], v[24:25]
	s_waitcnt vmcnt(9) lgkmcnt(0)
	v_mul_f64 v[237:238], v[2:3], v[28:29]
	v_mul_f64 v[28:29], v[4:5], v[28:29]
	v_add_f64 v[169:170], v[169:170], v[180:181]
	v_add_f64 v[229:230], v[229:230], v[182:183]
	ds_load_b128 v[180:183], v1 offset:1472
	v_fma_f64 v[174:175], v[174:175], v[22:23], v[231:232]
	v_fma_f64 v[172:173], v[172:173], v[22:23], -v[24:25]
	scratch_load_b128 v[22:25], off, off offset:720
	v_add_f64 v[169:170], v[169:170], v[235:236]
	v_add_f64 v[229:230], v[229:230], v[233:234]
	v_fma_f64 v[233:234], v[4:5], v[26:27], v[237:238]
	v_fma_f64 v[235:236], v[2:3], v[26:27], -v[28:29]
	scratch_load_b128 v[26:29], off, off offset:736
	ds_load_b128 v[2:5], v1 offset:1488
	s_waitcnt vmcnt(10) lgkmcnt(1)
	v_mul_f64 v[231:232], v[180:181], v[32:33]
	v_mul_f64 v[32:33], v[182:183], v[32:33]
	s_waitcnt vmcnt(9) lgkmcnt(0)
	v_mul_f64 v[237:238], v[2:3], v[40:41]
	v_mul_f64 v[40:41], v[4:5], v[40:41]
	v_add_f64 v[169:170], v[169:170], v[172:173]
	v_add_f64 v[229:230], v[229:230], v[174:175]
	ds_load_b128 v[172:175], v1 offset:1504
	v_fma_f64 v[182:183], v[182:183], v[30:31], v[231:232]
	v_fma_f64 v[180:181], v[180:181], v[30:31], -v[32:33]
	scratch_load_b128 v[30:33], off, off offset:752
	v_add_f64 v[169:170], v[169:170], v[235:236]
	v_add_f64 v[229:230], v[229:230], v[233:234]
	v_fma_f64 v[235:236], v[4:5], v[38:39], v[237:238]
	v_fma_f64 v[237:238], v[2:3], v[38:39], -v[40:41]
	scratch_load_b128 v[38:41], off, off offset:768
	ds_load_b128 v[2:5], v1 offset:1520
	s_waitcnt vmcnt(9) lgkmcnt(1)
	v_mul_f64 v[231:232], v[172:173], v[178:179]
	v_mul_f64 v[233:234], v[174:175], v[178:179]
	v_add_f64 v[169:170], v[169:170], v[180:181]
	v_add_f64 v[182:183], v[229:230], v[182:183]
	ds_load_b128 v[178:181], v1 offset:1536
	v_fma_f64 v[231:232], v[174:175], v[176:177], v[231:232]
	v_fma_f64 v[176:177], v[172:173], v[176:177], -v[233:234]
	scratch_load_b128 v[172:175], off, off offset:784
	s_waitcnt vmcnt(9) lgkmcnt(1)
	v_mul_f64 v[229:230], v[2:3], v[36:37]
	v_mul_f64 v[36:37], v[4:5], v[36:37]
	v_add_f64 v[169:170], v[169:170], v[237:238]
	v_add_f64 v[182:183], v[182:183], v[235:236]
	s_delay_alu instid0(VALU_DEP_4) | instskip(NEXT) | instid1(VALU_DEP_4)
	v_fma_f64 v[235:236], v[4:5], v[34:35], v[229:230]
	v_fma_f64 v[237:238], v[2:3], v[34:35], -v[36:37]
	scratch_load_b128 v[34:37], off, off offset:800
	ds_load_b128 v[2:5], v1 offset:1552
	s_waitcnt vmcnt(9) lgkmcnt(1)
	v_mul_f64 v[233:234], v[178:179], v[8:9]
	v_mul_f64 v[8:9], v[180:181], v[8:9]
	v_add_f64 v[169:170], v[169:170], v[176:177]
	v_add_f64 v[176:177], v[182:183], v[231:232]
	s_waitcnt vmcnt(8) lgkmcnt(0)
	v_mul_f64 v[182:183], v[2:3], v[12:13]
	v_mul_f64 v[12:13], v[4:5], v[12:13]
	ds_load_b128 v[229:232], v1 offset:1568
	v_fma_f64 v[180:181], v[180:181], v[6:7], v[233:234]
	v_fma_f64 v[178:179], v[178:179], v[6:7], -v[8:9]
	scratch_load_b128 v[6:9], off, off offset:816
	v_add_f64 v[169:170], v[169:170], v[237:238]
	v_add_f64 v[176:177], v[176:177], v[235:236]
	v_fma_f64 v[182:183], v[4:5], v[10:11], v[182:183]
	v_fma_f64 v[235:236], v[2:3], v[10:11], -v[12:13]
	scratch_load_b128 v[10:13], off, off offset:832
	ds_load_b128 v[2:5], v1 offset:1584
	s_waitcnt vmcnt(9) lgkmcnt(1)
	v_mul_f64 v[233:234], v[229:230], v[16:17]
	v_mul_f64 v[16:17], v[231:232], v[16:17]
	s_waitcnt vmcnt(8) lgkmcnt(0)
	v_mul_f64 v[237:238], v[2:3], v[20:21]
	v_mul_f64 v[20:21], v[4:5], v[20:21]
	v_add_f64 v[169:170], v[169:170], v[178:179]
	v_add_f64 v[180:181], v[176:177], v[180:181]
	ds_load_b128 v[176:179], v1 offset:1600
	v_fma_f64 v[231:232], v[231:232], v[14:15], v[233:234]
	v_fma_f64 v[229:230], v[229:230], v[14:15], -v[16:17]
	scratch_load_b128 v[14:17], off, off offset:848
	v_add_f64 v[169:170], v[169:170], v[235:236]
	v_add_f64 v[180:181], v[180:181], v[182:183]
	v_fma_f64 v[235:236], v[4:5], v[18:19], v[237:238]
	v_fma_f64 v[237:238], v[2:3], v[18:19], -v[20:21]
	scratch_load_b128 v[18:21], off, off offset:864
	ds_load_b128 v[2:5], v1 offset:1616
	s_waitcnt vmcnt(9) lgkmcnt(1)
	v_mul_f64 v[233:234], v[176:177], v[24:25]
	v_mul_f64 v[24:25], v[178:179], v[24:25]
	v_add_f64 v[169:170], v[169:170], v[229:230]
	v_add_f64 v[229:230], v[180:181], v[231:232]
	s_waitcnt vmcnt(8) lgkmcnt(0)
	v_mul_f64 v[231:232], v[2:3], v[28:29]
	v_mul_f64 v[28:29], v[4:5], v[28:29]
	ds_load_b128 v[180:183], v1 offset:1632
	v_fma_f64 v[178:179], v[178:179], v[22:23], v[233:234]
	v_fma_f64 v[22:23], v[176:177], v[22:23], -v[24:25]
	s_waitcnt vmcnt(7) lgkmcnt(0)
	v_mul_f64 v[176:177], v[180:181], v[32:33]
	v_mul_f64 v[32:33], v[182:183], v[32:33]
	v_add_f64 v[24:25], v[169:170], v[237:238]
	v_add_f64 v[169:170], v[229:230], v[235:236]
	v_fma_f64 v[229:230], v[4:5], v[26:27], v[231:232]
	v_fma_f64 v[26:27], v[2:3], v[26:27], -v[28:29]
	v_fma_f64 v[176:177], v[182:183], v[30:31], v[176:177]
	v_fma_f64 v[30:31], v[180:181], v[30:31], -v[32:33]
	v_add_f64 v[28:29], v[24:25], v[22:23]
	v_add_f64 v[169:170], v[169:170], v[178:179]
	ds_load_b128 v[2:5], v1 offset:1648
	ds_load_b128 v[22:25], v1 offset:1664
	s_waitcnt vmcnt(6) lgkmcnt(1)
	v_mul_f64 v[178:179], v[2:3], v[40:41]
	v_mul_f64 v[40:41], v[4:5], v[40:41]
	s_waitcnt vmcnt(5) lgkmcnt(0)
	v_mul_f64 v[32:33], v[22:23], v[174:175]
	v_add_f64 v[26:27], v[28:29], v[26:27]
	v_add_f64 v[28:29], v[169:170], v[229:230]
	v_mul_f64 v[169:170], v[24:25], v[174:175]
	v_fma_f64 v[174:175], v[4:5], v[38:39], v[178:179]
	v_fma_f64 v[38:39], v[2:3], v[38:39], -v[40:41]
	v_fma_f64 v[24:25], v[24:25], v[172:173], v[32:33]
	v_add_f64 v[30:31], v[26:27], v[30:31]
	v_add_f64 v[40:41], v[28:29], v[176:177]
	ds_load_b128 v[2:5], v1 offset:1680
	ds_load_b128 v[26:29], v1 offset:1696
	v_fma_f64 v[22:23], v[22:23], v[172:173], -v[169:170]
	s_waitcnt vmcnt(4) lgkmcnt(1)
	v_mul_f64 v[176:177], v[2:3], v[36:37]
	v_mul_f64 v[36:37], v[4:5], v[36:37]
	v_add_f64 v[30:31], v[30:31], v[38:39]
	v_add_f64 v[32:33], v[40:41], v[174:175]
	s_waitcnt vmcnt(3) lgkmcnt(0)
	v_mul_f64 v[38:39], v[26:27], v[8:9]
	v_mul_f64 v[8:9], v[28:29], v[8:9]
	v_fma_f64 v[40:41], v[4:5], v[34:35], v[176:177]
	v_fma_f64 v[34:35], v[2:3], v[34:35], -v[36:37]
	v_add_f64 v[30:31], v[30:31], v[22:23]
	v_add_f64 v[32:33], v[32:33], v[24:25]
	ds_load_b128 v[2:5], v1 offset:1712
	ds_load_b128 v[22:25], v1 offset:1728
	v_fma_f64 v[28:29], v[28:29], v[6:7], v[38:39]
	v_fma_f64 v[6:7], v[26:27], v[6:7], -v[8:9]
	s_waitcnt vmcnt(2) lgkmcnt(1)
	v_mul_f64 v[36:37], v[2:3], v[12:13]
	v_mul_f64 v[12:13], v[4:5], v[12:13]
	v_add_f64 v[8:9], v[30:31], v[34:35]
	v_add_f64 v[26:27], v[32:33], v[40:41]
	s_waitcnt vmcnt(1) lgkmcnt(0)
	v_mul_f64 v[30:31], v[22:23], v[16:17]
	v_mul_f64 v[16:17], v[24:25], v[16:17]
	v_fma_f64 v[32:33], v[4:5], v[10:11], v[36:37]
	v_fma_f64 v[10:11], v[2:3], v[10:11], -v[12:13]
	ds_load_b128 v[2:5], v1 offset:1744
	v_add_f64 v[6:7], v[8:9], v[6:7]
	v_add_f64 v[8:9], v[26:27], v[28:29]
	v_fma_f64 v[24:25], v[24:25], v[14:15], v[30:31]
	v_fma_f64 v[14:15], v[22:23], v[14:15], -v[16:17]
	s_waitcnt vmcnt(0) lgkmcnt(0)
	v_mul_f64 v[12:13], v[2:3], v[20:21]
	v_mul_f64 v[20:21], v[4:5], v[20:21]
	v_add_f64 v[6:7], v[6:7], v[10:11]
	v_add_f64 v[8:9], v[8:9], v[32:33]
	s_delay_alu instid0(VALU_DEP_4) | instskip(NEXT) | instid1(VALU_DEP_4)
	v_fma_f64 v[4:5], v[4:5], v[18:19], v[12:13]
	v_fma_f64 v[2:3], v[2:3], v[18:19], -v[20:21]
	s_delay_alu instid0(VALU_DEP_4) | instskip(NEXT) | instid1(VALU_DEP_4)
	v_add_f64 v[6:7], v[6:7], v[14:15]
	v_add_f64 v[8:9], v[8:9], v[24:25]
	s_delay_alu instid0(VALU_DEP_2) | instskip(NEXT) | instid1(VALU_DEP_2)
	v_add_f64 v[2:3], v[6:7], v[2:3]
	v_add_f64 v[4:5], v[8:9], v[4:5]
	s_delay_alu instid0(VALU_DEP_2) | instskip(NEXT) | instid1(VALU_DEP_2)
	v_add_f64 v[2:3], v[42:43], -v[2:3]
	v_add_f64 v[4:5], v[44:45], -v[4:5]
	scratch_store_b128 off, v[2:5], off offset:464
	v_cmpx_lt_u32_e32 28, v156
	s_cbranch_execz .LBB118_287
; %bb.286:
	scratch_load_b128 v[5:8], v227, off
	v_mov_b32_e32 v2, v1
	v_mov_b32_e32 v3, v1
	;; [unrolled: 1-line block ×3, first 2 shown]
	scratch_store_b128 off, v[1:4], off offset:448
	s_waitcnt vmcnt(0)
	ds_store_b128 v211, v[5:8]
.LBB118_287:
	s_or_b32 exec_lo, exec_lo, s2
	s_waitcnt lgkmcnt(0)
	s_waitcnt_vscnt null, 0x0
	s_barrier
	buffer_gl0_inv
	s_clause 0x8
	scratch_load_b128 v[2:5], off, off offset:464
	scratch_load_b128 v[6:9], off, off offset:480
	;; [unrolled: 1-line block ×9, first 2 shown]
	ds_load_b128 v[38:41], v1 offset:1344
	ds_load_b128 v[42:45], v1 offset:1360
	s_clause 0x1
	scratch_load_b128 v[172:175], off, off offset:448
	scratch_load_b128 v[176:179], off, off offset:608
	s_mov_b32 s2, exec_lo
	ds_load_b128 v[180:183], v1 offset:1392
	s_waitcnt vmcnt(10) lgkmcnt(2)
	v_mul_f64 v[169:170], v[40:41], v[4:5]
	v_mul_f64 v[4:5], v[38:39], v[4:5]
	s_waitcnt vmcnt(9) lgkmcnt(1)
	v_mul_f64 v[229:230], v[42:43], v[8:9]
	v_mul_f64 v[8:9], v[44:45], v[8:9]
	s_delay_alu instid0(VALU_DEP_4) | instskip(NEXT) | instid1(VALU_DEP_4)
	v_fma_f64 v[169:170], v[38:39], v[2:3], -v[169:170]
	v_fma_f64 v[231:232], v[40:41], v[2:3], v[4:5]
	ds_load_b128 v[2:5], v1 offset:1376
	scratch_load_b128 v[38:41], off, off offset:624
	v_fma_f64 v[44:45], v[44:45], v[6:7], v[229:230]
	v_fma_f64 v[42:43], v[42:43], v[6:7], -v[8:9]
	scratch_load_b128 v[6:9], off, off offset:640
	s_waitcnt vmcnt(10) lgkmcnt(0)
	v_mul_f64 v[233:234], v[2:3], v[12:13]
	v_mul_f64 v[12:13], v[4:5], v[12:13]
	v_add_f64 v[169:170], v[169:170], 0
	v_add_f64 v[229:230], v[231:232], 0
	s_waitcnt vmcnt(9)
	v_mul_f64 v[231:232], v[180:181], v[16:17]
	v_mul_f64 v[16:17], v[182:183], v[16:17]
	v_fma_f64 v[233:234], v[4:5], v[10:11], v[233:234]
	v_fma_f64 v[235:236], v[2:3], v[10:11], -v[12:13]
	ds_load_b128 v[2:5], v1 offset:1408
	scratch_load_b128 v[10:13], off, off offset:656
	v_add_f64 v[169:170], v[169:170], v[42:43]
	v_add_f64 v[229:230], v[229:230], v[44:45]
	ds_load_b128 v[42:45], v1 offset:1424
	v_fma_f64 v[182:183], v[182:183], v[14:15], v[231:232]
	v_fma_f64 v[180:181], v[180:181], v[14:15], -v[16:17]
	scratch_load_b128 v[14:17], off, off offset:672
	s_waitcnt vmcnt(10) lgkmcnt(1)
	v_mul_f64 v[237:238], v[2:3], v[20:21]
	v_mul_f64 v[20:21], v[4:5], v[20:21]
	s_waitcnt vmcnt(9) lgkmcnt(0)
	v_mul_f64 v[231:232], v[42:43], v[24:25]
	v_mul_f64 v[24:25], v[44:45], v[24:25]
	v_add_f64 v[169:170], v[169:170], v[235:236]
	v_add_f64 v[229:230], v[229:230], v[233:234]
	v_fma_f64 v[233:234], v[4:5], v[18:19], v[237:238]
	v_fma_f64 v[235:236], v[2:3], v[18:19], -v[20:21]
	ds_load_b128 v[2:5], v1 offset:1440
	scratch_load_b128 v[18:21], off, off offset:688
	v_fma_f64 v[44:45], v[44:45], v[22:23], v[231:232]
	v_fma_f64 v[42:43], v[42:43], v[22:23], -v[24:25]
	scratch_load_b128 v[22:25], off, off offset:704
	v_add_f64 v[169:170], v[169:170], v[180:181]
	v_add_f64 v[229:230], v[229:230], v[182:183]
	ds_load_b128 v[180:183], v1 offset:1456
	s_waitcnt vmcnt(10) lgkmcnt(1)
	v_mul_f64 v[237:238], v[2:3], v[28:29]
	v_mul_f64 v[28:29], v[4:5], v[28:29]
	s_waitcnt vmcnt(9) lgkmcnt(0)
	v_mul_f64 v[231:232], v[180:181], v[32:33]
	v_mul_f64 v[32:33], v[182:183], v[32:33]
	v_add_f64 v[169:170], v[169:170], v[235:236]
	v_add_f64 v[229:230], v[229:230], v[233:234]
	v_fma_f64 v[233:234], v[4:5], v[26:27], v[237:238]
	v_fma_f64 v[235:236], v[2:3], v[26:27], -v[28:29]
	ds_load_b128 v[2:5], v1 offset:1472
	scratch_load_b128 v[26:29], off, off offset:720
	v_fma_f64 v[182:183], v[182:183], v[30:31], v[231:232]
	v_fma_f64 v[180:181], v[180:181], v[30:31], -v[32:33]
	scratch_load_b128 v[30:33], off, off offset:736
	v_add_f64 v[169:170], v[169:170], v[42:43]
	v_add_f64 v[229:230], v[229:230], v[44:45]
	ds_load_b128 v[42:45], v1 offset:1488
	s_waitcnt vmcnt(10) lgkmcnt(1)
	v_mul_f64 v[237:238], v[2:3], v[36:37]
	v_mul_f64 v[36:37], v[4:5], v[36:37]
	s_waitcnt vmcnt(8) lgkmcnt(0)
	v_mul_f64 v[231:232], v[42:43], v[178:179]
	v_add_f64 v[169:170], v[169:170], v[235:236]
	v_add_f64 v[229:230], v[229:230], v[233:234]
	v_mul_f64 v[233:234], v[44:45], v[178:179]
	v_fma_f64 v[235:236], v[4:5], v[34:35], v[237:238]
	v_fma_f64 v[237:238], v[2:3], v[34:35], -v[36:37]
	ds_load_b128 v[2:5], v1 offset:1504
	scratch_load_b128 v[34:37], off, off offset:752
	v_fma_f64 v[44:45], v[44:45], v[176:177], v[231:232]
	v_add_f64 v[169:170], v[169:170], v[180:181]
	v_add_f64 v[182:183], v[229:230], v[182:183]
	ds_load_b128 v[178:181], v1 offset:1520
	v_fma_f64 v[176:177], v[42:43], v[176:177], -v[233:234]
	s_waitcnt vmcnt(8) lgkmcnt(1)
	v_mul_f64 v[229:230], v[2:3], v[40:41]
	v_mul_f64 v[239:240], v[4:5], v[40:41]
	scratch_load_b128 v[40:43], off, off offset:768
	v_add_f64 v[169:170], v[169:170], v[237:238]
	v_add_f64 v[182:183], v[182:183], v[235:236]
	s_waitcnt vmcnt(8) lgkmcnt(0)
	v_mul_f64 v[237:238], v[178:179], v[8:9]
	v_mul_f64 v[8:9], v[180:181], v[8:9]
	ds_load_b128 v[233:236], v1 offset:1552
	v_fma_f64 v[241:242], v[4:5], v[38:39], v[229:230]
	v_fma_f64 v[38:39], v[2:3], v[38:39], -v[239:240]
	ds_load_b128 v[2:5], v1 offset:1536
	scratch_load_b128 v[229:232], off, off offset:784
	v_add_f64 v[169:170], v[169:170], v[176:177]
	v_add_f64 v[44:45], v[182:183], v[44:45]
	v_fma_f64 v[180:181], v[180:181], v[6:7], v[237:238]
	s_waitcnt vmcnt(8) lgkmcnt(0)
	v_mul_f64 v[176:177], v[2:3], v[12:13]
	v_mul_f64 v[12:13], v[4:5], v[12:13]
	v_fma_f64 v[178:179], v[178:179], v[6:7], -v[8:9]
	scratch_load_b128 v[6:9], off, off offset:800
	v_add_f64 v[38:39], v[169:170], v[38:39]
	v_add_f64 v[44:45], v[44:45], v[241:242]
	s_waitcnt vmcnt(8)
	v_mul_f64 v[169:170], v[233:234], v[16:17]
	v_mul_f64 v[16:17], v[235:236], v[16:17]
	v_fma_f64 v[182:183], v[4:5], v[10:11], v[176:177]
	v_fma_f64 v[237:238], v[2:3], v[10:11], -v[12:13]
	ds_load_b128 v[2:5], v1 offset:1568
	scratch_load_b128 v[10:13], off, off offset:816
	v_add_f64 v[38:39], v[38:39], v[178:179]
	v_add_f64 v[44:45], v[44:45], v[180:181]
	ds_load_b128 v[176:179], v1 offset:1584
	s_waitcnt vmcnt(8) lgkmcnt(1)
	v_mul_f64 v[180:181], v[2:3], v[20:21]
	v_mul_f64 v[20:21], v[4:5], v[20:21]
	v_fma_f64 v[169:170], v[235:236], v[14:15], v[169:170]
	v_fma_f64 v[233:234], v[233:234], v[14:15], -v[16:17]
	scratch_load_b128 v[14:17], off, off offset:832
	s_waitcnt vmcnt(8) lgkmcnt(0)
	v_mul_f64 v[235:236], v[176:177], v[24:25]
	v_mul_f64 v[24:25], v[178:179], v[24:25]
	v_add_f64 v[38:39], v[38:39], v[237:238]
	v_add_f64 v[44:45], v[44:45], v[182:183]
	v_fma_f64 v[237:238], v[4:5], v[18:19], v[180:181]
	v_fma_f64 v[239:240], v[2:3], v[18:19], -v[20:21]
	ds_load_b128 v[2:5], v1 offset:1600
	ds_load_b128 v[180:183], v1 offset:1616
	scratch_load_b128 v[18:21], off, off offset:848
	v_fma_f64 v[178:179], v[178:179], v[22:23], v[235:236]
	v_fma_f64 v[176:177], v[176:177], v[22:23], -v[24:25]
	scratch_load_b128 v[22:25], off, off offset:864
	v_add_f64 v[38:39], v[38:39], v[233:234]
	v_add_f64 v[44:45], v[44:45], v[169:170]
	s_waitcnt vmcnt(9) lgkmcnt(1)
	v_mul_f64 v[169:170], v[2:3], v[28:29]
	v_mul_f64 v[28:29], v[4:5], v[28:29]
	s_waitcnt vmcnt(8) lgkmcnt(0)
	v_mul_f64 v[233:234], v[180:181], v[32:33]
	v_mul_f64 v[32:33], v[182:183], v[32:33]
	v_add_f64 v[38:39], v[38:39], v[239:240]
	v_add_f64 v[44:45], v[44:45], v[237:238]
	v_fma_f64 v[169:170], v[4:5], v[26:27], v[169:170]
	v_fma_f64 v[235:236], v[2:3], v[26:27], -v[28:29]
	ds_load_b128 v[2:5], v1 offset:1632
	ds_load_b128 v[26:29], v1 offset:1648
	v_add_f64 v[38:39], v[38:39], v[176:177]
	v_add_f64 v[44:45], v[44:45], v[178:179]
	s_waitcnt vmcnt(7) lgkmcnt(1)
	v_mul_f64 v[176:177], v[2:3], v[36:37]
	v_mul_f64 v[36:37], v[4:5], v[36:37]
	v_fma_f64 v[178:179], v[182:183], v[30:31], v[233:234]
	v_fma_f64 v[30:31], v[180:181], v[30:31], -v[32:33]
	v_add_f64 v[32:33], v[38:39], v[235:236]
	v_add_f64 v[38:39], v[44:45], v[169:170]
	s_waitcnt vmcnt(6) lgkmcnt(0)
	v_mul_f64 v[44:45], v[26:27], v[42:43]
	v_mul_f64 v[42:43], v[28:29], v[42:43]
	v_fma_f64 v[169:170], v[4:5], v[34:35], v[176:177]
	v_fma_f64 v[34:35], v[2:3], v[34:35], -v[36:37]
	v_add_f64 v[36:37], v[32:33], v[30:31]
	v_add_f64 v[38:39], v[38:39], v[178:179]
	ds_load_b128 v[2:5], v1 offset:1664
	ds_load_b128 v[30:33], v1 offset:1680
	v_fma_f64 v[28:29], v[28:29], v[40:41], v[44:45]
	v_fma_f64 v[26:27], v[26:27], v[40:41], -v[42:43]
	s_waitcnt vmcnt(5) lgkmcnt(1)
	v_mul_f64 v[176:177], v[2:3], v[231:232]
	v_mul_f64 v[178:179], v[4:5], v[231:232]
	v_add_f64 v[34:35], v[36:37], v[34:35]
	v_add_f64 v[36:37], v[38:39], v[169:170]
	s_waitcnt vmcnt(4) lgkmcnt(0)
	v_mul_f64 v[38:39], v[30:31], v[8:9]
	v_mul_f64 v[8:9], v[32:33], v[8:9]
	v_fma_f64 v[40:41], v[4:5], v[229:230], v[176:177]
	v_fma_f64 v[42:43], v[2:3], v[229:230], -v[178:179]
	v_add_f64 v[34:35], v[34:35], v[26:27]
	v_add_f64 v[36:37], v[36:37], v[28:29]
	ds_load_b128 v[2:5], v1 offset:1696
	ds_load_b128 v[26:29], v1 offset:1712
	v_fma_f64 v[32:33], v[32:33], v[6:7], v[38:39]
	v_fma_f64 v[6:7], v[30:31], v[6:7], -v[8:9]
	s_waitcnt vmcnt(3) lgkmcnt(1)
	v_mul_f64 v[44:45], v[2:3], v[12:13]
	v_mul_f64 v[12:13], v[4:5], v[12:13]
	;; [unrolled: 16-line block ×3, first 2 shown]
	s_waitcnt vmcnt(0) lgkmcnt(0)
	v_mul_f64 v[16:17], v[6:7], v[24:25]
	v_mul_f64 v[24:25], v[8:9], v[24:25]
	v_add_f64 v[10:11], v[12:13], v[10:11]
	v_add_f64 v[12:13], v[30:31], v[36:37]
	v_fma_f64 v[4:5], v[4:5], v[18:19], v[32:33]
	v_fma_f64 v[1:2], v[2:3], v[18:19], -v[20:21]
	v_fma_f64 v[8:9], v[8:9], v[22:23], v[16:17]
	v_fma_f64 v[6:7], v[6:7], v[22:23], -v[24:25]
	v_add_f64 v[10:11], v[10:11], v[14:15]
	v_add_f64 v[12:13], v[12:13], v[28:29]
	s_delay_alu instid0(VALU_DEP_2) | instskip(NEXT) | instid1(VALU_DEP_2)
	v_add_f64 v[1:2], v[10:11], v[1:2]
	v_add_f64 v[3:4], v[12:13], v[4:5]
	s_delay_alu instid0(VALU_DEP_2) | instskip(NEXT) | instid1(VALU_DEP_2)
	;; [unrolled: 3-line block ×3, first 2 shown]
	v_add_f64 v[1:2], v[172:173], -v[1:2]
	v_add_f64 v[3:4], v[174:175], -v[3:4]
	scratch_store_b128 off, v[1:4], off offset:448
	v_cmpx_lt_u32_e32 27, v156
	s_cbranch_execz .LBB118_289
; %bb.288:
	scratch_load_b128 v[1:4], v228, off
	v_mov_b32_e32 v5, 0
	s_delay_alu instid0(VALU_DEP_1)
	v_mov_b32_e32 v6, v5
	v_mov_b32_e32 v7, v5
	;; [unrolled: 1-line block ×3, first 2 shown]
	scratch_store_b128 off, v[5:8], off offset:432
	s_waitcnt vmcnt(0)
	ds_store_b128 v211, v[1:4]
.LBB118_289:
	s_or_b32 exec_lo, exec_lo, s2
	s_waitcnt lgkmcnt(0)
	s_waitcnt_vscnt null, 0x0
	s_barrier
	buffer_gl0_inv
	s_clause 0x7
	scratch_load_b128 v[2:5], off, off offset:448
	scratch_load_b128 v[6:9], off, off offset:464
	;; [unrolled: 1-line block ×8, first 2 shown]
	v_mov_b32_e32 v1, 0
	s_mov_b32 s2, exec_lo
	ds_load_b128 v[38:41], v1 offset:1328
	s_clause 0x1
	scratch_load_b128 v[34:37], off, off offset:576
	scratch_load_b128 v[42:45], off, off offset:432
	ds_load_b128 v[172:175], v1 offset:1344
	scratch_load_b128 v[176:179], off, off offset:592
	ds_load_b128 v[180:183], v1 offset:1376
	s_waitcnt vmcnt(10) lgkmcnt(2)
	v_mul_f64 v[169:170], v[40:41], v[4:5]
	v_mul_f64 v[4:5], v[38:39], v[4:5]
	s_delay_alu instid0(VALU_DEP_2) | instskip(NEXT) | instid1(VALU_DEP_2)
	v_fma_f64 v[169:170], v[38:39], v[2:3], -v[169:170]
	v_fma_f64 v[231:232], v[40:41], v[2:3], v[4:5]
	ds_load_b128 v[2:5], v1 offset:1360
	s_waitcnt vmcnt(9) lgkmcnt(2)
	v_mul_f64 v[229:230], v[172:173], v[8:9]
	v_mul_f64 v[8:9], v[174:175], v[8:9]
	scratch_load_b128 v[38:41], off, off offset:608
	s_waitcnt vmcnt(9) lgkmcnt(0)
	v_mul_f64 v[233:234], v[2:3], v[12:13]
	v_mul_f64 v[12:13], v[4:5], v[12:13]
	v_add_f64 v[169:170], v[169:170], 0
	v_fma_f64 v[174:175], v[174:175], v[6:7], v[229:230]
	v_fma_f64 v[172:173], v[172:173], v[6:7], -v[8:9]
	v_add_f64 v[229:230], v[231:232], 0
	scratch_load_b128 v[6:9], off, off offset:624
	v_fma_f64 v[233:234], v[4:5], v[10:11], v[233:234]
	v_fma_f64 v[235:236], v[2:3], v[10:11], -v[12:13]
	scratch_load_b128 v[10:13], off, off offset:640
	ds_load_b128 v[2:5], v1 offset:1392
	s_waitcnt vmcnt(10)
	v_mul_f64 v[231:232], v[180:181], v[16:17]
	v_mul_f64 v[16:17], v[182:183], v[16:17]
	v_add_f64 v[169:170], v[169:170], v[172:173]
	v_add_f64 v[229:230], v[229:230], v[174:175]
	ds_load_b128 v[172:175], v1 offset:1408
	s_waitcnt vmcnt(9) lgkmcnt(1)
	v_mul_f64 v[237:238], v[2:3], v[20:21]
	v_mul_f64 v[20:21], v[4:5], v[20:21]
	v_fma_f64 v[182:183], v[182:183], v[14:15], v[231:232]
	v_fma_f64 v[180:181], v[180:181], v[14:15], -v[16:17]
	scratch_load_b128 v[14:17], off, off offset:656
	v_add_f64 v[169:170], v[169:170], v[235:236]
	v_add_f64 v[229:230], v[229:230], v[233:234]
	v_fma_f64 v[233:234], v[4:5], v[18:19], v[237:238]
	v_fma_f64 v[235:236], v[2:3], v[18:19], -v[20:21]
	scratch_load_b128 v[18:21], off, off offset:672
	ds_load_b128 v[2:5], v1 offset:1424
	s_waitcnt vmcnt(10) lgkmcnt(1)
	v_mul_f64 v[231:232], v[172:173], v[24:25]
	v_mul_f64 v[24:25], v[174:175], v[24:25]
	s_waitcnt vmcnt(9) lgkmcnt(0)
	v_mul_f64 v[237:238], v[2:3], v[28:29]
	v_mul_f64 v[28:29], v[4:5], v[28:29]
	v_add_f64 v[169:170], v[169:170], v[180:181]
	v_add_f64 v[229:230], v[229:230], v[182:183]
	ds_load_b128 v[180:183], v1 offset:1440
	v_fma_f64 v[174:175], v[174:175], v[22:23], v[231:232]
	v_fma_f64 v[172:173], v[172:173], v[22:23], -v[24:25]
	scratch_load_b128 v[22:25], off, off offset:688
	v_add_f64 v[169:170], v[169:170], v[235:236]
	v_add_f64 v[229:230], v[229:230], v[233:234]
	v_fma_f64 v[233:234], v[4:5], v[26:27], v[237:238]
	v_fma_f64 v[235:236], v[2:3], v[26:27], -v[28:29]
	scratch_load_b128 v[26:29], off, off offset:704
	ds_load_b128 v[2:5], v1 offset:1456
	s_waitcnt vmcnt(10) lgkmcnt(1)
	v_mul_f64 v[231:232], v[180:181], v[32:33]
	v_mul_f64 v[32:33], v[182:183], v[32:33]
	s_waitcnt vmcnt(9) lgkmcnt(0)
	v_mul_f64 v[237:238], v[2:3], v[36:37]
	v_mul_f64 v[36:37], v[4:5], v[36:37]
	v_add_f64 v[169:170], v[169:170], v[172:173]
	v_add_f64 v[229:230], v[229:230], v[174:175]
	ds_load_b128 v[172:175], v1 offset:1472
	v_fma_f64 v[182:183], v[182:183], v[30:31], v[231:232]
	v_fma_f64 v[180:181], v[180:181], v[30:31], -v[32:33]
	scratch_load_b128 v[30:33], off, off offset:720
	v_add_f64 v[169:170], v[169:170], v[235:236]
	v_add_f64 v[229:230], v[229:230], v[233:234]
	v_fma_f64 v[235:236], v[4:5], v[34:35], v[237:238]
	v_fma_f64 v[237:238], v[2:3], v[34:35], -v[36:37]
	scratch_load_b128 v[34:37], off, off offset:736
	ds_load_b128 v[2:5], v1 offset:1488
	s_waitcnt vmcnt(9) lgkmcnt(1)
	v_mul_f64 v[231:232], v[172:173], v[178:179]
	v_mul_f64 v[233:234], v[174:175], v[178:179]
	v_add_f64 v[169:170], v[169:170], v[180:181]
	v_add_f64 v[182:183], v[229:230], v[182:183]
	ds_load_b128 v[178:181], v1 offset:1504
	v_fma_f64 v[231:232], v[174:175], v[176:177], v[231:232]
	v_fma_f64 v[176:177], v[172:173], v[176:177], -v[233:234]
	scratch_load_b128 v[172:175], off, off offset:752
	s_waitcnt vmcnt(9) lgkmcnt(1)
	v_mul_f64 v[229:230], v[2:3], v[40:41]
	v_mul_f64 v[40:41], v[4:5], v[40:41]
	v_add_f64 v[169:170], v[169:170], v[237:238]
	v_add_f64 v[182:183], v[182:183], v[235:236]
	s_delay_alu instid0(VALU_DEP_4) | instskip(NEXT) | instid1(VALU_DEP_4)
	v_fma_f64 v[235:236], v[4:5], v[38:39], v[229:230]
	v_fma_f64 v[237:238], v[2:3], v[38:39], -v[40:41]
	scratch_load_b128 v[38:41], off, off offset:768
	ds_load_b128 v[2:5], v1 offset:1520
	s_waitcnt vmcnt(9) lgkmcnt(1)
	v_mul_f64 v[233:234], v[178:179], v[8:9]
	v_mul_f64 v[8:9], v[180:181], v[8:9]
	v_add_f64 v[169:170], v[169:170], v[176:177]
	v_add_f64 v[176:177], v[182:183], v[231:232]
	s_waitcnt vmcnt(8) lgkmcnt(0)
	v_mul_f64 v[182:183], v[2:3], v[12:13]
	v_mul_f64 v[12:13], v[4:5], v[12:13]
	ds_load_b128 v[229:232], v1 offset:1536
	v_fma_f64 v[180:181], v[180:181], v[6:7], v[233:234]
	v_fma_f64 v[178:179], v[178:179], v[6:7], -v[8:9]
	scratch_load_b128 v[6:9], off, off offset:784
	v_add_f64 v[169:170], v[169:170], v[237:238]
	v_add_f64 v[176:177], v[176:177], v[235:236]
	v_fma_f64 v[182:183], v[4:5], v[10:11], v[182:183]
	v_fma_f64 v[235:236], v[2:3], v[10:11], -v[12:13]
	scratch_load_b128 v[10:13], off, off offset:800
	ds_load_b128 v[2:5], v1 offset:1552
	s_waitcnt vmcnt(9) lgkmcnt(1)
	v_mul_f64 v[233:234], v[229:230], v[16:17]
	v_mul_f64 v[16:17], v[231:232], v[16:17]
	s_waitcnt vmcnt(8) lgkmcnt(0)
	v_mul_f64 v[237:238], v[2:3], v[20:21]
	v_mul_f64 v[20:21], v[4:5], v[20:21]
	v_add_f64 v[169:170], v[169:170], v[178:179]
	v_add_f64 v[180:181], v[176:177], v[180:181]
	ds_load_b128 v[176:179], v1 offset:1568
	v_fma_f64 v[231:232], v[231:232], v[14:15], v[233:234]
	v_fma_f64 v[229:230], v[229:230], v[14:15], -v[16:17]
	scratch_load_b128 v[14:17], off, off offset:816
	v_add_f64 v[169:170], v[169:170], v[235:236]
	v_add_f64 v[180:181], v[180:181], v[182:183]
	v_fma_f64 v[235:236], v[4:5], v[18:19], v[237:238]
	v_fma_f64 v[237:238], v[2:3], v[18:19], -v[20:21]
	scratch_load_b128 v[18:21], off, off offset:832
	ds_load_b128 v[2:5], v1 offset:1584
	s_waitcnt vmcnt(9) lgkmcnt(1)
	v_mul_f64 v[233:234], v[176:177], v[24:25]
	v_mul_f64 v[24:25], v[178:179], v[24:25]
	v_add_f64 v[169:170], v[169:170], v[229:230]
	v_add_f64 v[229:230], v[180:181], v[231:232]
	s_waitcnt vmcnt(8) lgkmcnt(0)
	v_mul_f64 v[231:232], v[2:3], v[28:29]
	v_mul_f64 v[28:29], v[4:5], v[28:29]
	ds_load_b128 v[180:183], v1 offset:1600
	v_fma_f64 v[178:179], v[178:179], v[22:23], v[233:234]
	v_fma_f64 v[176:177], v[176:177], v[22:23], -v[24:25]
	scratch_load_b128 v[22:25], off, off offset:848
	v_add_f64 v[169:170], v[169:170], v[237:238]
	v_add_f64 v[229:230], v[229:230], v[235:236]
	v_fma_f64 v[231:232], v[4:5], v[26:27], v[231:232]
	v_fma_f64 v[235:236], v[2:3], v[26:27], -v[28:29]
	scratch_load_b128 v[26:29], off, off offset:864
	ds_load_b128 v[2:5], v1 offset:1616
	s_waitcnt vmcnt(9) lgkmcnt(1)
	v_mul_f64 v[233:234], v[180:181], v[32:33]
	v_mul_f64 v[32:33], v[182:183], v[32:33]
	s_waitcnt vmcnt(8) lgkmcnt(0)
	v_mul_f64 v[237:238], v[2:3], v[36:37]
	v_mul_f64 v[36:37], v[4:5], v[36:37]
	v_add_f64 v[169:170], v[169:170], v[176:177]
	v_add_f64 v[229:230], v[229:230], v[178:179]
	ds_load_b128 v[176:179], v1 offset:1632
	v_fma_f64 v[182:183], v[182:183], v[30:31], v[233:234]
	v_fma_f64 v[30:31], v[180:181], v[30:31], -v[32:33]
	s_waitcnt vmcnt(7) lgkmcnt(0)
	v_mul_f64 v[180:181], v[176:177], v[174:175]
	v_mul_f64 v[174:175], v[178:179], v[174:175]
	v_add_f64 v[32:33], v[169:170], v[235:236]
	v_add_f64 v[169:170], v[229:230], v[231:232]
	v_fma_f64 v[229:230], v[4:5], v[34:35], v[237:238]
	v_fma_f64 v[34:35], v[2:3], v[34:35], -v[36:37]
	v_fma_f64 v[178:179], v[178:179], v[172:173], v[180:181]
	v_fma_f64 v[172:173], v[176:177], v[172:173], -v[174:175]
	v_add_f64 v[36:37], v[32:33], v[30:31]
	v_add_f64 v[169:170], v[169:170], v[182:183]
	ds_load_b128 v[2:5], v1 offset:1648
	ds_load_b128 v[30:33], v1 offset:1664
	s_waitcnt vmcnt(6) lgkmcnt(1)
	v_mul_f64 v[182:183], v[2:3], v[40:41]
	v_mul_f64 v[40:41], v[4:5], v[40:41]
	v_add_f64 v[34:35], v[36:37], v[34:35]
	v_add_f64 v[36:37], v[169:170], v[229:230]
	s_waitcnt vmcnt(5) lgkmcnt(0)
	v_mul_f64 v[169:170], v[30:31], v[8:9]
	v_mul_f64 v[8:9], v[32:33], v[8:9]
	v_fma_f64 v[174:175], v[4:5], v[38:39], v[182:183]
	v_fma_f64 v[38:39], v[2:3], v[38:39], -v[40:41]
	v_add_f64 v[40:41], v[34:35], v[172:173]
	v_add_f64 v[172:173], v[36:37], v[178:179]
	ds_load_b128 v[2:5], v1 offset:1680
	ds_load_b128 v[34:37], v1 offset:1696
	v_fma_f64 v[32:33], v[32:33], v[6:7], v[169:170]
	v_fma_f64 v[6:7], v[30:31], v[6:7], -v[8:9]
	s_waitcnt vmcnt(4) lgkmcnt(1)
	v_mul_f64 v[176:177], v[2:3], v[12:13]
	v_mul_f64 v[12:13], v[4:5], v[12:13]
	v_add_f64 v[8:9], v[40:41], v[38:39]
	v_add_f64 v[30:31], v[172:173], v[174:175]
	s_waitcnt vmcnt(3) lgkmcnt(0)
	v_mul_f64 v[38:39], v[34:35], v[16:17]
	v_mul_f64 v[16:17], v[36:37], v[16:17]
	v_fma_f64 v[40:41], v[4:5], v[10:11], v[176:177]
	v_fma_f64 v[10:11], v[2:3], v[10:11], -v[12:13]
	v_add_f64 v[12:13], v[8:9], v[6:7]
	v_add_f64 v[30:31], v[30:31], v[32:33]
	ds_load_b128 v[2:5], v1 offset:1712
	ds_load_b128 v[6:9], v1 offset:1728
	v_fma_f64 v[36:37], v[36:37], v[14:15], v[38:39]
	v_fma_f64 v[14:15], v[34:35], v[14:15], -v[16:17]
	s_waitcnt vmcnt(2) lgkmcnt(1)
	v_mul_f64 v[32:33], v[2:3], v[20:21]
	v_mul_f64 v[20:21], v[4:5], v[20:21]
	s_waitcnt vmcnt(1) lgkmcnt(0)
	v_mul_f64 v[16:17], v[6:7], v[24:25]
	v_mul_f64 v[24:25], v[8:9], v[24:25]
	v_add_f64 v[10:11], v[12:13], v[10:11]
	v_add_f64 v[12:13], v[30:31], v[40:41]
	v_fma_f64 v[30:31], v[4:5], v[18:19], v[32:33]
	v_fma_f64 v[18:19], v[2:3], v[18:19], -v[20:21]
	ds_load_b128 v[2:5], v1 offset:1744
	v_fma_f64 v[8:9], v[8:9], v[22:23], v[16:17]
	v_fma_f64 v[6:7], v[6:7], v[22:23], -v[24:25]
	v_add_f64 v[10:11], v[10:11], v[14:15]
	v_add_f64 v[12:13], v[12:13], v[36:37]
	s_waitcnt vmcnt(0) lgkmcnt(0)
	v_mul_f64 v[14:15], v[2:3], v[28:29]
	v_mul_f64 v[20:21], v[4:5], v[28:29]
	s_delay_alu instid0(VALU_DEP_4) | instskip(NEXT) | instid1(VALU_DEP_4)
	v_add_f64 v[10:11], v[10:11], v[18:19]
	v_add_f64 v[12:13], v[12:13], v[30:31]
	s_delay_alu instid0(VALU_DEP_4) | instskip(NEXT) | instid1(VALU_DEP_4)
	v_fma_f64 v[4:5], v[4:5], v[26:27], v[14:15]
	v_fma_f64 v[2:3], v[2:3], v[26:27], -v[20:21]
	s_delay_alu instid0(VALU_DEP_4) | instskip(NEXT) | instid1(VALU_DEP_4)
	v_add_f64 v[6:7], v[10:11], v[6:7]
	v_add_f64 v[8:9], v[12:13], v[8:9]
	s_delay_alu instid0(VALU_DEP_2) | instskip(NEXT) | instid1(VALU_DEP_2)
	v_add_f64 v[2:3], v[6:7], v[2:3]
	v_add_f64 v[4:5], v[8:9], v[4:5]
	s_delay_alu instid0(VALU_DEP_2) | instskip(NEXT) | instid1(VALU_DEP_2)
	v_add_f64 v[2:3], v[42:43], -v[2:3]
	v_add_f64 v[4:5], v[44:45], -v[4:5]
	scratch_store_b128 off, v[2:5], off offset:432
	v_cmpx_lt_u32_e32 26, v156
	s_cbranch_execz .LBB118_291
; %bb.290:
	scratch_load_b128 v[5:8], v185, off
	v_mov_b32_e32 v2, v1
	v_mov_b32_e32 v3, v1
	;; [unrolled: 1-line block ×3, first 2 shown]
	scratch_store_b128 off, v[1:4], off offset:416
	s_waitcnt vmcnt(0)
	ds_store_b128 v211, v[5:8]
.LBB118_291:
	s_or_b32 exec_lo, exec_lo, s2
	s_waitcnt lgkmcnt(0)
	s_waitcnt_vscnt null, 0x0
	s_barrier
	buffer_gl0_inv
	s_clause 0x8
	scratch_load_b128 v[2:5], off, off offset:432
	scratch_load_b128 v[6:9], off, off offset:448
	;; [unrolled: 1-line block ×9, first 2 shown]
	ds_load_b128 v[42:45], v1 offset:1312
	ds_load_b128 v[38:41], v1 offset:1328
	s_clause 0x1
	scratch_load_b128 v[172:175], off, off offset:416
	scratch_load_b128 v[176:179], off, off offset:576
	s_mov_b32 s2, exec_lo
	ds_load_b128 v[180:183], v1 offset:1360
	s_waitcnt vmcnt(10) lgkmcnt(2)
	v_mul_f64 v[169:170], v[44:45], v[4:5]
	v_mul_f64 v[4:5], v[42:43], v[4:5]
	s_waitcnt vmcnt(9) lgkmcnt(1)
	v_mul_f64 v[229:230], v[38:39], v[8:9]
	v_mul_f64 v[8:9], v[40:41], v[8:9]
	s_delay_alu instid0(VALU_DEP_4) | instskip(NEXT) | instid1(VALU_DEP_4)
	v_fma_f64 v[169:170], v[42:43], v[2:3], -v[169:170]
	v_fma_f64 v[231:232], v[44:45], v[2:3], v[4:5]
	ds_load_b128 v[2:5], v1 offset:1344
	scratch_load_b128 v[42:45], off, off offset:592
	v_fma_f64 v[40:41], v[40:41], v[6:7], v[229:230]
	v_fma_f64 v[38:39], v[38:39], v[6:7], -v[8:9]
	scratch_load_b128 v[6:9], off, off offset:608
	s_waitcnt vmcnt(10) lgkmcnt(0)
	v_mul_f64 v[233:234], v[2:3], v[12:13]
	v_mul_f64 v[12:13], v[4:5], v[12:13]
	v_add_f64 v[169:170], v[169:170], 0
	v_add_f64 v[229:230], v[231:232], 0
	s_waitcnt vmcnt(9)
	v_mul_f64 v[231:232], v[180:181], v[16:17]
	v_mul_f64 v[16:17], v[182:183], v[16:17]
	v_fma_f64 v[233:234], v[4:5], v[10:11], v[233:234]
	v_fma_f64 v[235:236], v[2:3], v[10:11], -v[12:13]
	ds_load_b128 v[2:5], v1 offset:1376
	scratch_load_b128 v[10:13], off, off offset:624
	v_add_f64 v[169:170], v[169:170], v[38:39]
	v_add_f64 v[229:230], v[229:230], v[40:41]
	ds_load_b128 v[38:41], v1 offset:1392
	v_fma_f64 v[182:183], v[182:183], v[14:15], v[231:232]
	v_fma_f64 v[180:181], v[180:181], v[14:15], -v[16:17]
	scratch_load_b128 v[14:17], off, off offset:640
	s_waitcnt vmcnt(10) lgkmcnt(1)
	v_mul_f64 v[237:238], v[2:3], v[20:21]
	v_mul_f64 v[20:21], v[4:5], v[20:21]
	s_waitcnt vmcnt(9) lgkmcnt(0)
	v_mul_f64 v[231:232], v[38:39], v[24:25]
	v_mul_f64 v[24:25], v[40:41], v[24:25]
	v_add_f64 v[169:170], v[169:170], v[235:236]
	v_add_f64 v[229:230], v[229:230], v[233:234]
	v_fma_f64 v[233:234], v[4:5], v[18:19], v[237:238]
	v_fma_f64 v[235:236], v[2:3], v[18:19], -v[20:21]
	ds_load_b128 v[2:5], v1 offset:1408
	scratch_load_b128 v[18:21], off, off offset:656
	v_fma_f64 v[40:41], v[40:41], v[22:23], v[231:232]
	v_fma_f64 v[38:39], v[38:39], v[22:23], -v[24:25]
	scratch_load_b128 v[22:25], off, off offset:672
	v_add_f64 v[169:170], v[169:170], v[180:181]
	v_add_f64 v[229:230], v[229:230], v[182:183]
	ds_load_b128 v[180:183], v1 offset:1424
	s_waitcnt vmcnt(10) lgkmcnt(1)
	v_mul_f64 v[237:238], v[2:3], v[28:29]
	v_mul_f64 v[28:29], v[4:5], v[28:29]
	s_waitcnt vmcnt(9) lgkmcnt(0)
	v_mul_f64 v[231:232], v[180:181], v[32:33]
	v_mul_f64 v[32:33], v[182:183], v[32:33]
	v_add_f64 v[169:170], v[169:170], v[235:236]
	v_add_f64 v[229:230], v[229:230], v[233:234]
	v_fma_f64 v[233:234], v[4:5], v[26:27], v[237:238]
	v_fma_f64 v[235:236], v[2:3], v[26:27], -v[28:29]
	ds_load_b128 v[2:5], v1 offset:1440
	scratch_load_b128 v[26:29], off, off offset:688
	v_fma_f64 v[182:183], v[182:183], v[30:31], v[231:232]
	v_fma_f64 v[180:181], v[180:181], v[30:31], -v[32:33]
	scratch_load_b128 v[30:33], off, off offset:704
	v_add_f64 v[169:170], v[169:170], v[38:39]
	v_add_f64 v[229:230], v[229:230], v[40:41]
	ds_load_b128 v[38:41], v1 offset:1456
	s_waitcnt vmcnt(10) lgkmcnt(1)
	v_mul_f64 v[237:238], v[2:3], v[36:37]
	v_mul_f64 v[36:37], v[4:5], v[36:37]
	s_waitcnt vmcnt(8) lgkmcnt(0)
	v_mul_f64 v[231:232], v[38:39], v[178:179]
	v_add_f64 v[169:170], v[169:170], v[235:236]
	v_add_f64 v[229:230], v[229:230], v[233:234]
	v_mul_f64 v[233:234], v[40:41], v[178:179]
	v_fma_f64 v[235:236], v[4:5], v[34:35], v[237:238]
	v_fma_f64 v[237:238], v[2:3], v[34:35], -v[36:37]
	ds_load_b128 v[2:5], v1 offset:1472
	scratch_load_b128 v[34:37], off, off offset:720
	v_fma_f64 v[231:232], v[40:41], v[176:177], v[231:232]
	v_add_f64 v[169:170], v[169:170], v[180:181]
	v_add_f64 v[182:183], v[229:230], v[182:183]
	ds_load_b128 v[178:181], v1 offset:1488
	v_fma_f64 v[176:177], v[38:39], v[176:177], -v[233:234]
	scratch_load_b128 v[38:41], off, off offset:736
	s_waitcnt vmcnt(9) lgkmcnt(1)
	v_mul_f64 v[229:230], v[2:3], v[44:45]
	v_mul_f64 v[44:45], v[4:5], v[44:45]
	s_waitcnt vmcnt(8) lgkmcnt(0)
	v_mul_f64 v[233:234], v[178:179], v[8:9]
	v_mul_f64 v[8:9], v[180:181], v[8:9]
	v_add_f64 v[169:170], v[169:170], v[237:238]
	v_add_f64 v[182:183], v[182:183], v[235:236]
	v_fma_f64 v[235:236], v[4:5], v[42:43], v[229:230]
	v_fma_f64 v[237:238], v[2:3], v[42:43], -v[44:45]
	ds_load_b128 v[2:5], v1 offset:1504
	scratch_load_b128 v[42:45], off, off offset:752
	v_fma_f64 v[180:181], v[180:181], v[6:7], v[233:234]
	v_fma_f64 v[178:179], v[178:179], v[6:7], -v[8:9]
	scratch_load_b128 v[6:9], off, off offset:768
	v_add_f64 v[169:170], v[169:170], v[176:177]
	v_add_f64 v[176:177], v[182:183], v[231:232]
	ds_load_b128 v[229:232], v1 offset:1520
	s_waitcnt vmcnt(9) lgkmcnt(1)
	v_mul_f64 v[182:183], v[2:3], v[12:13]
	v_mul_f64 v[12:13], v[4:5], v[12:13]
	s_waitcnt vmcnt(8) lgkmcnt(0)
	v_mul_f64 v[233:234], v[229:230], v[16:17]
	v_mul_f64 v[16:17], v[231:232], v[16:17]
	v_add_f64 v[169:170], v[169:170], v[237:238]
	v_add_f64 v[176:177], v[176:177], v[235:236]
	v_fma_f64 v[182:183], v[4:5], v[10:11], v[182:183]
	v_fma_f64 v[235:236], v[2:3], v[10:11], -v[12:13]
	ds_load_b128 v[2:5], v1 offset:1536
	scratch_load_b128 v[10:13], off, off offset:784
	v_fma_f64 v[231:232], v[231:232], v[14:15], v[233:234]
	v_fma_f64 v[229:230], v[229:230], v[14:15], -v[16:17]
	scratch_load_b128 v[14:17], off, off offset:800
	v_add_f64 v[169:170], v[169:170], v[178:179]
	v_add_f64 v[180:181], v[176:177], v[180:181]
	ds_load_b128 v[176:179], v1 offset:1552
	;; [unrolled: 18-line block ×4, first 2 shown]
	s_waitcnt vmcnt(9) lgkmcnt(1)
	v_mul_f64 v[237:238], v[2:3], v[36:37]
	v_mul_f64 v[36:37], v[4:5], v[36:37]
	v_add_f64 v[169:170], v[169:170], v[235:236]
	v_add_f64 v[229:230], v[229:230], v[231:232]
	s_waitcnt vmcnt(8) lgkmcnt(0)
	v_mul_f64 v[231:232], v[176:177], v[40:41]
	v_mul_f64 v[40:41], v[178:179], v[40:41]
	v_fma_f64 v[233:234], v[4:5], v[34:35], v[237:238]
	v_fma_f64 v[235:236], v[2:3], v[34:35], -v[36:37]
	ds_load_b128 v[2:5], v1 offset:1632
	ds_load_b128 v[34:37], v1 offset:1648
	v_add_f64 v[169:170], v[169:170], v[180:181]
	v_add_f64 v[180:181], v[229:230], v[182:183]
	s_waitcnt vmcnt(7) lgkmcnt(1)
	v_mul_f64 v[182:183], v[2:3], v[44:45]
	v_mul_f64 v[44:45], v[4:5], v[44:45]
	v_fma_f64 v[178:179], v[178:179], v[38:39], v[231:232]
	v_fma_f64 v[38:39], v[176:177], v[38:39], -v[40:41]
	s_waitcnt vmcnt(6) lgkmcnt(0)
	v_mul_f64 v[176:177], v[34:35], v[8:9]
	v_mul_f64 v[8:9], v[36:37], v[8:9]
	v_add_f64 v[40:41], v[169:170], v[235:236]
	v_add_f64 v[169:170], v[180:181], v[233:234]
	v_fma_f64 v[180:181], v[4:5], v[42:43], v[182:183]
	v_fma_f64 v[42:43], v[2:3], v[42:43], -v[44:45]
	v_fma_f64 v[36:37], v[36:37], v[6:7], v[176:177]
	v_fma_f64 v[6:7], v[34:35], v[6:7], -v[8:9]
	v_add_f64 v[44:45], v[40:41], v[38:39]
	v_add_f64 v[169:170], v[169:170], v[178:179]
	ds_load_b128 v[2:5], v1 offset:1664
	ds_load_b128 v[38:41], v1 offset:1680
	s_waitcnt vmcnt(5) lgkmcnt(1)
	v_mul_f64 v[178:179], v[2:3], v[12:13]
	v_mul_f64 v[12:13], v[4:5], v[12:13]
	v_add_f64 v[8:9], v[44:45], v[42:43]
	v_add_f64 v[34:35], v[169:170], v[180:181]
	s_waitcnt vmcnt(4) lgkmcnt(0)
	v_mul_f64 v[42:43], v[38:39], v[16:17]
	v_mul_f64 v[16:17], v[40:41], v[16:17]
	v_fma_f64 v[44:45], v[4:5], v[10:11], v[178:179]
	v_fma_f64 v[10:11], v[2:3], v[10:11], -v[12:13]
	v_add_f64 v[12:13], v[8:9], v[6:7]
	v_add_f64 v[34:35], v[34:35], v[36:37]
	ds_load_b128 v[2:5], v1 offset:1696
	ds_load_b128 v[6:9], v1 offset:1712
	v_fma_f64 v[40:41], v[40:41], v[14:15], v[42:43]
	v_fma_f64 v[14:15], v[38:39], v[14:15], -v[16:17]
	s_waitcnt vmcnt(3) lgkmcnt(1)
	v_mul_f64 v[36:37], v[2:3], v[20:21]
	v_mul_f64 v[20:21], v[4:5], v[20:21]
	s_waitcnt vmcnt(2) lgkmcnt(0)
	v_mul_f64 v[16:17], v[6:7], v[24:25]
	v_mul_f64 v[24:25], v[8:9], v[24:25]
	v_add_f64 v[10:11], v[12:13], v[10:11]
	v_add_f64 v[12:13], v[34:35], v[44:45]
	v_fma_f64 v[34:35], v[4:5], v[18:19], v[36:37]
	v_fma_f64 v[18:19], v[2:3], v[18:19], -v[20:21]
	v_fma_f64 v[8:9], v[8:9], v[22:23], v[16:17]
	v_fma_f64 v[6:7], v[6:7], v[22:23], -v[24:25]
	v_add_f64 v[14:15], v[10:11], v[14:15]
	v_add_f64 v[20:21], v[12:13], v[40:41]
	ds_load_b128 v[2:5], v1 offset:1728
	ds_load_b128 v[10:13], v1 offset:1744
	s_waitcnt vmcnt(1) lgkmcnt(1)
	v_mul_f64 v[36:37], v[2:3], v[28:29]
	v_mul_f64 v[28:29], v[4:5], v[28:29]
	v_add_f64 v[14:15], v[14:15], v[18:19]
	v_add_f64 v[16:17], v[20:21], v[34:35]
	s_waitcnt vmcnt(0) lgkmcnt(0)
	v_mul_f64 v[18:19], v[10:11], v[32:33]
	v_mul_f64 v[20:21], v[12:13], v[32:33]
	v_fma_f64 v[4:5], v[4:5], v[26:27], v[36:37]
	v_fma_f64 v[1:2], v[2:3], v[26:27], -v[28:29]
	v_add_f64 v[6:7], v[14:15], v[6:7]
	v_add_f64 v[8:9], v[16:17], v[8:9]
	v_fma_f64 v[12:13], v[12:13], v[30:31], v[18:19]
	v_fma_f64 v[10:11], v[10:11], v[30:31], -v[20:21]
	s_delay_alu instid0(VALU_DEP_4) | instskip(NEXT) | instid1(VALU_DEP_4)
	v_add_f64 v[1:2], v[6:7], v[1:2]
	v_add_f64 v[3:4], v[8:9], v[4:5]
	s_delay_alu instid0(VALU_DEP_2) | instskip(NEXT) | instid1(VALU_DEP_2)
	v_add_f64 v[1:2], v[1:2], v[10:11]
	v_add_f64 v[3:4], v[3:4], v[12:13]
	s_delay_alu instid0(VALU_DEP_2) | instskip(NEXT) | instid1(VALU_DEP_2)
	v_add_f64 v[1:2], v[172:173], -v[1:2]
	v_add_f64 v[3:4], v[174:175], -v[3:4]
	scratch_store_b128 off, v[1:4], off offset:416
	v_cmpx_lt_u32_e32 25, v156
	s_cbranch_execz .LBB118_293
; %bb.292:
	scratch_load_b128 v[1:4], v186, off
	v_mov_b32_e32 v5, 0
	s_delay_alu instid0(VALU_DEP_1)
	v_mov_b32_e32 v6, v5
	v_mov_b32_e32 v7, v5
	;; [unrolled: 1-line block ×3, first 2 shown]
	scratch_store_b128 off, v[5:8], off offset:400
	s_waitcnt vmcnt(0)
	ds_store_b128 v211, v[1:4]
.LBB118_293:
	s_or_b32 exec_lo, exec_lo, s2
	s_waitcnt lgkmcnt(0)
	s_waitcnt_vscnt null, 0x0
	s_barrier
	buffer_gl0_inv
	s_clause 0x7
	scratch_load_b128 v[2:5], off, off offset:416
	scratch_load_b128 v[6:9], off, off offset:432
	;; [unrolled: 1-line block ×8, first 2 shown]
	v_mov_b32_e32 v1, 0
	s_mov_b32 s2, exec_lo
	ds_load_b128 v[38:41], v1 offset:1296
	s_clause 0x1
	scratch_load_b128 v[34:37], off, off offset:544
	scratch_load_b128 v[42:45], off, off offset:400
	ds_load_b128 v[172:175], v1 offset:1312
	scratch_load_b128 v[176:179], off, off offset:560
	ds_load_b128 v[180:183], v1 offset:1344
	s_waitcnt vmcnt(10) lgkmcnt(2)
	v_mul_f64 v[169:170], v[40:41], v[4:5]
	v_mul_f64 v[4:5], v[38:39], v[4:5]
	s_delay_alu instid0(VALU_DEP_2) | instskip(NEXT) | instid1(VALU_DEP_2)
	v_fma_f64 v[169:170], v[38:39], v[2:3], -v[169:170]
	v_fma_f64 v[231:232], v[40:41], v[2:3], v[4:5]
	ds_load_b128 v[2:5], v1 offset:1328
	s_waitcnt vmcnt(9) lgkmcnt(2)
	v_mul_f64 v[229:230], v[172:173], v[8:9]
	v_mul_f64 v[8:9], v[174:175], v[8:9]
	scratch_load_b128 v[38:41], off, off offset:576
	s_waitcnt vmcnt(9) lgkmcnt(0)
	v_mul_f64 v[233:234], v[2:3], v[12:13]
	v_mul_f64 v[12:13], v[4:5], v[12:13]
	v_add_f64 v[169:170], v[169:170], 0
	v_fma_f64 v[174:175], v[174:175], v[6:7], v[229:230]
	v_fma_f64 v[172:173], v[172:173], v[6:7], -v[8:9]
	v_add_f64 v[229:230], v[231:232], 0
	scratch_load_b128 v[6:9], off, off offset:592
	v_fma_f64 v[233:234], v[4:5], v[10:11], v[233:234]
	v_fma_f64 v[235:236], v[2:3], v[10:11], -v[12:13]
	scratch_load_b128 v[10:13], off, off offset:608
	ds_load_b128 v[2:5], v1 offset:1360
	s_waitcnt vmcnt(10)
	v_mul_f64 v[231:232], v[180:181], v[16:17]
	v_mul_f64 v[16:17], v[182:183], v[16:17]
	v_add_f64 v[169:170], v[169:170], v[172:173]
	v_add_f64 v[229:230], v[229:230], v[174:175]
	ds_load_b128 v[172:175], v1 offset:1376
	s_waitcnt vmcnt(9) lgkmcnt(1)
	v_mul_f64 v[237:238], v[2:3], v[20:21]
	v_mul_f64 v[20:21], v[4:5], v[20:21]
	v_fma_f64 v[182:183], v[182:183], v[14:15], v[231:232]
	v_fma_f64 v[180:181], v[180:181], v[14:15], -v[16:17]
	scratch_load_b128 v[14:17], off, off offset:624
	v_add_f64 v[169:170], v[169:170], v[235:236]
	v_add_f64 v[229:230], v[229:230], v[233:234]
	v_fma_f64 v[233:234], v[4:5], v[18:19], v[237:238]
	v_fma_f64 v[235:236], v[2:3], v[18:19], -v[20:21]
	scratch_load_b128 v[18:21], off, off offset:640
	ds_load_b128 v[2:5], v1 offset:1392
	s_waitcnt vmcnt(10) lgkmcnt(1)
	v_mul_f64 v[231:232], v[172:173], v[24:25]
	v_mul_f64 v[24:25], v[174:175], v[24:25]
	s_waitcnt vmcnt(9) lgkmcnt(0)
	v_mul_f64 v[237:238], v[2:3], v[28:29]
	v_mul_f64 v[28:29], v[4:5], v[28:29]
	v_add_f64 v[169:170], v[169:170], v[180:181]
	v_add_f64 v[229:230], v[229:230], v[182:183]
	ds_load_b128 v[180:183], v1 offset:1408
	v_fma_f64 v[174:175], v[174:175], v[22:23], v[231:232]
	v_fma_f64 v[172:173], v[172:173], v[22:23], -v[24:25]
	scratch_load_b128 v[22:25], off, off offset:656
	v_add_f64 v[169:170], v[169:170], v[235:236]
	v_add_f64 v[229:230], v[229:230], v[233:234]
	v_fma_f64 v[233:234], v[4:5], v[26:27], v[237:238]
	v_fma_f64 v[235:236], v[2:3], v[26:27], -v[28:29]
	scratch_load_b128 v[26:29], off, off offset:672
	ds_load_b128 v[2:5], v1 offset:1424
	s_waitcnt vmcnt(10) lgkmcnt(1)
	v_mul_f64 v[231:232], v[180:181], v[32:33]
	v_mul_f64 v[32:33], v[182:183], v[32:33]
	s_waitcnt vmcnt(9) lgkmcnt(0)
	v_mul_f64 v[237:238], v[2:3], v[36:37]
	v_mul_f64 v[36:37], v[4:5], v[36:37]
	v_add_f64 v[169:170], v[169:170], v[172:173]
	v_add_f64 v[229:230], v[229:230], v[174:175]
	ds_load_b128 v[172:175], v1 offset:1440
	v_fma_f64 v[182:183], v[182:183], v[30:31], v[231:232]
	v_fma_f64 v[180:181], v[180:181], v[30:31], -v[32:33]
	scratch_load_b128 v[30:33], off, off offset:688
	v_add_f64 v[169:170], v[169:170], v[235:236]
	v_add_f64 v[229:230], v[229:230], v[233:234]
	v_fma_f64 v[235:236], v[4:5], v[34:35], v[237:238]
	v_fma_f64 v[237:238], v[2:3], v[34:35], -v[36:37]
	scratch_load_b128 v[34:37], off, off offset:704
	ds_load_b128 v[2:5], v1 offset:1456
	s_waitcnt vmcnt(9) lgkmcnt(1)
	v_mul_f64 v[231:232], v[172:173], v[178:179]
	v_mul_f64 v[233:234], v[174:175], v[178:179]
	v_add_f64 v[169:170], v[169:170], v[180:181]
	v_add_f64 v[182:183], v[229:230], v[182:183]
	ds_load_b128 v[178:181], v1 offset:1472
	v_fma_f64 v[231:232], v[174:175], v[176:177], v[231:232]
	v_fma_f64 v[176:177], v[172:173], v[176:177], -v[233:234]
	scratch_load_b128 v[172:175], off, off offset:720
	s_waitcnt vmcnt(9) lgkmcnt(1)
	v_mul_f64 v[229:230], v[2:3], v[40:41]
	v_mul_f64 v[40:41], v[4:5], v[40:41]
	v_add_f64 v[169:170], v[169:170], v[237:238]
	v_add_f64 v[182:183], v[182:183], v[235:236]
	s_delay_alu instid0(VALU_DEP_4) | instskip(NEXT) | instid1(VALU_DEP_4)
	v_fma_f64 v[235:236], v[4:5], v[38:39], v[229:230]
	v_fma_f64 v[237:238], v[2:3], v[38:39], -v[40:41]
	scratch_load_b128 v[38:41], off, off offset:736
	ds_load_b128 v[2:5], v1 offset:1488
	s_waitcnt vmcnt(9) lgkmcnt(1)
	v_mul_f64 v[233:234], v[178:179], v[8:9]
	v_mul_f64 v[8:9], v[180:181], v[8:9]
	v_add_f64 v[169:170], v[169:170], v[176:177]
	v_add_f64 v[176:177], v[182:183], v[231:232]
	s_waitcnt vmcnt(8) lgkmcnt(0)
	v_mul_f64 v[182:183], v[2:3], v[12:13]
	v_mul_f64 v[12:13], v[4:5], v[12:13]
	ds_load_b128 v[229:232], v1 offset:1504
	v_fma_f64 v[180:181], v[180:181], v[6:7], v[233:234]
	v_fma_f64 v[178:179], v[178:179], v[6:7], -v[8:9]
	scratch_load_b128 v[6:9], off, off offset:752
	v_add_f64 v[169:170], v[169:170], v[237:238]
	v_add_f64 v[176:177], v[176:177], v[235:236]
	v_fma_f64 v[182:183], v[4:5], v[10:11], v[182:183]
	v_fma_f64 v[235:236], v[2:3], v[10:11], -v[12:13]
	scratch_load_b128 v[10:13], off, off offset:768
	ds_load_b128 v[2:5], v1 offset:1520
	s_waitcnt vmcnt(9) lgkmcnt(1)
	v_mul_f64 v[233:234], v[229:230], v[16:17]
	v_mul_f64 v[16:17], v[231:232], v[16:17]
	s_waitcnt vmcnt(8) lgkmcnt(0)
	v_mul_f64 v[237:238], v[2:3], v[20:21]
	v_mul_f64 v[20:21], v[4:5], v[20:21]
	v_add_f64 v[169:170], v[169:170], v[178:179]
	v_add_f64 v[180:181], v[176:177], v[180:181]
	ds_load_b128 v[176:179], v1 offset:1536
	v_fma_f64 v[231:232], v[231:232], v[14:15], v[233:234]
	v_fma_f64 v[229:230], v[229:230], v[14:15], -v[16:17]
	scratch_load_b128 v[14:17], off, off offset:784
	v_add_f64 v[169:170], v[169:170], v[235:236]
	v_add_f64 v[180:181], v[180:181], v[182:183]
	v_fma_f64 v[235:236], v[4:5], v[18:19], v[237:238]
	v_fma_f64 v[237:238], v[2:3], v[18:19], -v[20:21]
	scratch_load_b128 v[18:21], off, off offset:800
	ds_load_b128 v[2:5], v1 offset:1552
	s_waitcnt vmcnt(9) lgkmcnt(1)
	v_mul_f64 v[233:234], v[176:177], v[24:25]
	v_mul_f64 v[24:25], v[178:179], v[24:25]
	v_add_f64 v[169:170], v[169:170], v[229:230]
	v_add_f64 v[229:230], v[180:181], v[231:232]
	s_waitcnt vmcnt(8) lgkmcnt(0)
	v_mul_f64 v[231:232], v[2:3], v[28:29]
	v_mul_f64 v[28:29], v[4:5], v[28:29]
	ds_load_b128 v[180:183], v1 offset:1568
	v_fma_f64 v[178:179], v[178:179], v[22:23], v[233:234]
	v_fma_f64 v[176:177], v[176:177], v[22:23], -v[24:25]
	scratch_load_b128 v[22:25], off, off offset:816
	v_add_f64 v[169:170], v[169:170], v[237:238]
	v_add_f64 v[229:230], v[229:230], v[235:236]
	v_fma_f64 v[231:232], v[4:5], v[26:27], v[231:232]
	v_fma_f64 v[235:236], v[2:3], v[26:27], -v[28:29]
	scratch_load_b128 v[26:29], off, off offset:832
	ds_load_b128 v[2:5], v1 offset:1584
	s_waitcnt vmcnt(9) lgkmcnt(1)
	v_mul_f64 v[233:234], v[180:181], v[32:33]
	v_mul_f64 v[32:33], v[182:183], v[32:33]
	s_waitcnt vmcnt(8) lgkmcnt(0)
	v_mul_f64 v[237:238], v[2:3], v[36:37]
	v_mul_f64 v[36:37], v[4:5], v[36:37]
	v_add_f64 v[169:170], v[169:170], v[176:177]
	v_add_f64 v[229:230], v[229:230], v[178:179]
	ds_load_b128 v[176:179], v1 offset:1600
	v_fma_f64 v[182:183], v[182:183], v[30:31], v[233:234]
	v_fma_f64 v[180:181], v[180:181], v[30:31], -v[32:33]
	scratch_load_b128 v[30:33], off, off offset:848
	v_fma_f64 v[233:234], v[4:5], v[34:35], v[237:238]
	v_add_f64 v[169:170], v[169:170], v[235:236]
	v_add_f64 v[229:230], v[229:230], v[231:232]
	v_fma_f64 v[235:236], v[2:3], v[34:35], -v[36:37]
	scratch_load_b128 v[34:37], off, off offset:864
	ds_load_b128 v[2:5], v1 offset:1616
	s_waitcnt vmcnt(9) lgkmcnt(1)
	v_mul_f64 v[231:232], v[176:177], v[174:175]
	v_mul_f64 v[174:175], v[178:179], v[174:175]
	s_waitcnt vmcnt(8) lgkmcnt(0)
	v_mul_f64 v[237:238], v[2:3], v[40:41]
	v_mul_f64 v[40:41], v[4:5], v[40:41]
	v_add_f64 v[169:170], v[169:170], v[180:181]
	v_add_f64 v[229:230], v[229:230], v[182:183]
	ds_load_b128 v[180:183], v1 offset:1632
	v_fma_f64 v[178:179], v[178:179], v[172:173], v[231:232]
	v_fma_f64 v[172:173], v[176:177], v[172:173], -v[174:175]
	v_fma_f64 v[231:232], v[2:3], v[38:39], -v[40:41]
	v_add_f64 v[169:170], v[169:170], v[235:236]
	v_add_f64 v[174:175], v[229:230], v[233:234]
	s_waitcnt vmcnt(7) lgkmcnt(0)
	v_mul_f64 v[176:177], v[180:181], v[8:9]
	v_mul_f64 v[8:9], v[182:183], v[8:9]
	v_fma_f64 v[229:230], v[4:5], v[38:39], v[237:238]
	ds_load_b128 v[2:5], v1 offset:1648
	ds_load_b128 v[38:41], v1 offset:1664
	v_add_f64 v[169:170], v[169:170], v[172:173]
	v_add_f64 v[172:173], v[174:175], v[178:179]
	s_waitcnt vmcnt(6) lgkmcnt(1)
	v_mul_f64 v[174:175], v[2:3], v[12:13]
	v_mul_f64 v[12:13], v[4:5], v[12:13]
	v_fma_f64 v[176:177], v[182:183], v[6:7], v[176:177]
	v_fma_f64 v[6:7], v[180:181], v[6:7], -v[8:9]
	v_add_f64 v[8:9], v[169:170], v[231:232]
	v_add_f64 v[169:170], v[172:173], v[229:230]
	s_waitcnt vmcnt(5) lgkmcnt(0)
	v_mul_f64 v[172:173], v[38:39], v[16:17]
	v_mul_f64 v[16:17], v[40:41], v[16:17]
	v_fma_f64 v[174:175], v[4:5], v[10:11], v[174:175]
	v_fma_f64 v[10:11], v[2:3], v[10:11], -v[12:13]
	v_add_f64 v[12:13], v[8:9], v[6:7]
	v_add_f64 v[169:170], v[169:170], v[176:177]
	ds_load_b128 v[2:5], v1 offset:1680
	ds_load_b128 v[6:9], v1 offset:1696
	v_fma_f64 v[40:41], v[40:41], v[14:15], v[172:173]
	v_fma_f64 v[14:15], v[38:39], v[14:15], -v[16:17]
	s_waitcnt vmcnt(4) lgkmcnt(1)
	v_mul_f64 v[176:177], v[2:3], v[20:21]
	v_mul_f64 v[20:21], v[4:5], v[20:21]
	s_waitcnt vmcnt(3) lgkmcnt(0)
	v_mul_f64 v[16:17], v[6:7], v[24:25]
	v_mul_f64 v[24:25], v[8:9], v[24:25]
	v_add_f64 v[10:11], v[12:13], v[10:11]
	v_add_f64 v[12:13], v[169:170], v[174:175]
	v_fma_f64 v[38:39], v[4:5], v[18:19], v[176:177]
	v_fma_f64 v[18:19], v[2:3], v[18:19], -v[20:21]
	v_fma_f64 v[8:9], v[8:9], v[22:23], v[16:17]
	v_fma_f64 v[6:7], v[6:7], v[22:23], -v[24:25]
	v_add_f64 v[14:15], v[10:11], v[14:15]
	v_add_f64 v[20:21], v[12:13], v[40:41]
	ds_load_b128 v[2:5], v1 offset:1712
	ds_load_b128 v[10:13], v1 offset:1728
	s_waitcnt vmcnt(2) lgkmcnt(1)
	v_mul_f64 v[40:41], v[2:3], v[28:29]
	v_mul_f64 v[28:29], v[4:5], v[28:29]
	v_add_f64 v[14:15], v[14:15], v[18:19]
	v_add_f64 v[16:17], v[20:21], v[38:39]
	s_waitcnt vmcnt(1) lgkmcnt(0)
	v_mul_f64 v[18:19], v[10:11], v[32:33]
	v_mul_f64 v[20:21], v[12:13], v[32:33]
	v_fma_f64 v[22:23], v[4:5], v[26:27], v[40:41]
	v_fma_f64 v[24:25], v[2:3], v[26:27], -v[28:29]
	ds_load_b128 v[2:5], v1 offset:1744
	v_add_f64 v[6:7], v[14:15], v[6:7]
	v_add_f64 v[8:9], v[16:17], v[8:9]
	v_fma_f64 v[12:13], v[12:13], v[30:31], v[18:19]
	v_fma_f64 v[10:11], v[10:11], v[30:31], -v[20:21]
	s_waitcnt vmcnt(0) lgkmcnt(0)
	v_mul_f64 v[14:15], v[2:3], v[36:37]
	v_mul_f64 v[16:17], v[4:5], v[36:37]
	v_add_f64 v[6:7], v[6:7], v[24:25]
	v_add_f64 v[8:9], v[8:9], v[22:23]
	s_delay_alu instid0(VALU_DEP_4) | instskip(NEXT) | instid1(VALU_DEP_4)
	v_fma_f64 v[4:5], v[4:5], v[34:35], v[14:15]
	v_fma_f64 v[2:3], v[2:3], v[34:35], -v[16:17]
	s_delay_alu instid0(VALU_DEP_4) | instskip(NEXT) | instid1(VALU_DEP_4)
	v_add_f64 v[6:7], v[6:7], v[10:11]
	v_add_f64 v[8:9], v[8:9], v[12:13]
	s_delay_alu instid0(VALU_DEP_2) | instskip(NEXT) | instid1(VALU_DEP_2)
	v_add_f64 v[2:3], v[6:7], v[2:3]
	v_add_f64 v[4:5], v[8:9], v[4:5]
	s_delay_alu instid0(VALU_DEP_2) | instskip(NEXT) | instid1(VALU_DEP_2)
	v_add_f64 v[2:3], v[42:43], -v[2:3]
	v_add_f64 v[4:5], v[44:45], -v[4:5]
	scratch_store_b128 off, v[2:5], off offset:400
	v_cmpx_lt_u32_e32 24, v156
	s_cbranch_execz .LBB118_295
; %bb.294:
	scratch_load_b128 v[5:8], v187, off
	v_mov_b32_e32 v2, v1
	v_mov_b32_e32 v3, v1
	;; [unrolled: 1-line block ×3, first 2 shown]
	scratch_store_b128 off, v[1:4], off offset:384
	s_waitcnt vmcnt(0)
	ds_store_b128 v211, v[5:8]
.LBB118_295:
	s_or_b32 exec_lo, exec_lo, s2
	s_waitcnt lgkmcnt(0)
	s_waitcnt_vscnt null, 0x0
	s_barrier
	buffer_gl0_inv
	s_clause 0x8
	scratch_load_b128 v[2:5], off, off offset:400
	scratch_load_b128 v[6:9], off, off offset:416
	;; [unrolled: 1-line block ×9, first 2 shown]
	ds_load_b128 v[42:45], v1 offset:1280
	ds_load_b128 v[38:41], v1 offset:1296
	s_clause 0x1
	scratch_load_b128 v[172:175], off, off offset:384
	scratch_load_b128 v[176:179], off, off offset:544
	s_mov_b32 s2, exec_lo
	ds_load_b128 v[180:183], v1 offset:1328
	s_waitcnt vmcnt(10) lgkmcnt(2)
	v_mul_f64 v[169:170], v[44:45], v[4:5]
	v_mul_f64 v[4:5], v[42:43], v[4:5]
	s_waitcnt vmcnt(9) lgkmcnt(1)
	v_mul_f64 v[229:230], v[38:39], v[8:9]
	v_mul_f64 v[8:9], v[40:41], v[8:9]
	s_delay_alu instid0(VALU_DEP_4) | instskip(NEXT) | instid1(VALU_DEP_4)
	v_fma_f64 v[169:170], v[42:43], v[2:3], -v[169:170]
	v_fma_f64 v[231:232], v[44:45], v[2:3], v[4:5]
	ds_load_b128 v[2:5], v1 offset:1312
	scratch_load_b128 v[42:45], off, off offset:560
	v_fma_f64 v[40:41], v[40:41], v[6:7], v[229:230]
	v_fma_f64 v[38:39], v[38:39], v[6:7], -v[8:9]
	scratch_load_b128 v[6:9], off, off offset:576
	s_waitcnt vmcnt(10) lgkmcnt(0)
	v_mul_f64 v[233:234], v[2:3], v[12:13]
	v_mul_f64 v[12:13], v[4:5], v[12:13]
	v_add_f64 v[169:170], v[169:170], 0
	v_add_f64 v[229:230], v[231:232], 0
	s_waitcnt vmcnt(9)
	v_mul_f64 v[231:232], v[180:181], v[16:17]
	v_mul_f64 v[16:17], v[182:183], v[16:17]
	v_fma_f64 v[233:234], v[4:5], v[10:11], v[233:234]
	v_fma_f64 v[235:236], v[2:3], v[10:11], -v[12:13]
	ds_load_b128 v[2:5], v1 offset:1344
	scratch_load_b128 v[10:13], off, off offset:592
	v_add_f64 v[169:170], v[169:170], v[38:39]
	v_add_f64 v[229:230], v[229:230], v[40:41]
	ds_load_b128 v[38:41], v1 offset:1360
	v_fma_f64 v[182:183], v[182:183], v[14:15], v[231:232]
	v_fma_f64 v[180:181], v[180:181], v[14:15], -v[16:17]
	scratch_load_b128 v[14:17], off, off offset:608
	s_waitcnt vmcnt(10) lgkmcnt(1)
	v_mul_f64 v[237:238], v[2:3], v[20:21]
	v_mul_f64 v[20:21], v[4:5], v[20:21]
	s_waitcnt vmcnt(9) lgkmcnt(0)
	v_mul_f64 v[231:232], v[38:39], v[24:25]
	v_mul_f64 v[24:25], v[40:41], v[24:25]
	v_add_f64 v[169:170], v[169:170], v[235:236]
	v_add_f64 v[229:230], v[229:230], v[233:234]
	v_fma_f64 v[233:234], v[4:5], v[18:19], v[237:238]
	v_fma_f64 v[235:236], v[2:3], v[18:19], -v[20:21]
	ds_load_b128 v[2:5], v1 offset:1376
	scratch_load_b128 v[18:21], off, off offset:624
	v_fma_f64 v[40:41], v[40:41], v[22:23], v[231:232]
	v_fma_f64 v[38:39], v[38:39], v[22:23], -v[24:25]
	scratch_load_b128 v[22:25], off, off offset:640
	v_add_f64 v[169:170], v[169:170], v[180:181]
	v_add_f64 v[229:230], v[229:230], v[182:183]
	ds_load_b128 v[180:183], v1 offset:1392
	s_waitcnt vmcnt(10) lgkmcnt(1)
	v_mul_f64 v[237:238], v[2:3], v[28:29]
	v_mul_f64 v[28:29], v[4:5], v[28:29]
	s_waitcnt vmcnt(9) lgkmcnt(0)
	v_mul_f64 v[231:232], v[180:181], v[32:33]
	v_mul_f64 v[32:33], v[182:183], v[32:33]
	v_add_f64 v[169:170], v[169:170], v[235:236]
	v_add_f64 v[229:230], v[229:230], v[233:234]
	v_fma_f64 v[233:234], v[4:5], v[26:27], v[237:238]
	v_fma_f64 v[235:236], v[2:3], v[26:27], -v[28:29]
	ds_load_b128 v[2:5], v1 offset:1408
	scratch_load_b128 v[26:29], off, off offset:656
	v_fma_f64 v[182:183], v[182:183], v[30:31], v[231:232]
	v_fma_f64 v[180:181], v[180:181], v[30:31], -v[32:33]
	scratch_load_b128 v[30:33], off, off offset:672
	v_add_f64 v[169:170], v[169:170], v[38:39]
	v_add_f64 v[229:230], v[229:230], v[40:41]
	ds_load_b128 v[38:41], v1 offset:1424
	s_waitcnt vmcnt(10) lgkmcnt(1)
	v_mul_f64 v[237:238], v[2:3], v[36:37]
	v_mul_f64 v[36:37], v[4:5], v[36:37]
	s_waitcnt vmcnt(8) lgkmcnt(0)
	v_mul_f64 v[231:232], v[38:39], v[178:179]
	v_add_f64 v[169:170], v[169:170], v[235:236]
	v_add_f64 v[229:230], v[229:230], v[233:234]
	v_mul_f64 v[233:234], v[40:41], v[178:179]
	v_fma_f64 v[235:236], v[4:5], v[34:35], v[237:238]
	v_fma_f64 v[237:238], v[2:3], v[34:35], -v[36:37]
	ds_load_b128 v[2:5], v1 offset:1440
	scratch_load_b128 v[34:37], off, off offset:688
	v_fma_f64 v[231:232], v[40:41], v[176:177], v[231:232]
	v_add_f64 v[169:170], v[169:170], v[180:181]
	v_add_f64 v[182:183], v[229:230], v[182:183]
	ds_load_b128 v[178:181], v1 offset:1456
	v_fma_f64 v[176:177], v[38:39], v[176:177], -v[233:234]
	scratch_load_b128 v[38:41], off, off offset:704
	s_waitcnt vmcnt(9) lgkmcnt(1)
	v_mul_f64 v[229:230], v[2:3], v[44:45]
	v_mul_f64 v[44:45], v[4:5], v[44:45]
	s_waitcnt vmcnt(8) lgkmcnt(0)
	v_mul_f64 v[233:234], v[178:179], v[8:9]
	v_mul_f64 v[8:9], v[180:181], v[8:9]
	v_add_f64 v[169:170], v[169:170], v[237:238]
	v_add_f64 v[182:183], v[182:183], v[235:236]
	v_fma_f64 v[235:236], v[4:5], v[42:43], v[229:230]
	v_fma_f64 v[237:238], v[2:3], v[42:43], -v[44:45]
	ds_load_b128 v[2:5], v1 offset:1472
	scratch_load_b128 v[42:45], off, off offset:720
	v_fma_f64 v[180:181], v[180:181], v[6:7], v[233:234]
	v_fma_f64 v[178:179], v[178:179], v[6:7], -v[8:9]
	scratch_load_b128 v[6:9], off, off offset:736
	v_add_f64 v[169:170], v[169:170], v[176:177]
	v_add_f64 v[176:177], v[182:183], v[231:232]
	ds_load_b128 v[229:232], v1 offset:1488
	s_waitcnt vmcnt(9) lgkmcnt(1)
	v_mul_f64 v[182:183], v[2:3], v[12:13]
	v_mul_f64 v[12:13], v[4:5], v[12:13]
	s_waitcnt vmcnt(8) lgkmcnt(0)
	v_mul_f64 v[233:234], v[229:230], v[16:17]
	v_mul_f64 v[16:17], v[231:232], v[16:17]
	v_add_f64 v[169:170], v[169:170], v[237:238]
	v_add_f64 v[176:177], v[176:177], v[235:236]
	v_fma_f64 v[182:183], v[4:5], v[10:11], v[182:183]
	v_fma_f64 v[235:236], v[2:3], v[10:11], -v[12:13]
	ds_load_b128 v[2:5], v1 offset:1504
	scratch_load_b128 v[10:13], off, off offset:752
	v_fma_f64 v[231:232], v[231:232], v[14:15], v[233:234]
	v_fma_f64 v[229:230], v[229:230], v[14:15], -v[16:17]
	scratch_load_b128 v[14:17], off, off offset:768
	v_add_f64 v[169:170], v[169:170], v[178:179]
	v_add_f64 v[180:181], v[176:177], v[180:181]
	ds_load_b128 v[176:179], v1 offset:1520
	;; [unrolled: 18-line block ×4, first 2 shown]
	s_waitcnt vmcnt(9) lgkmcnt(1)
	v_mul_f64 v[237:238], v[2:3], v[36:37]
	v_mul_f64 v[36:37], v[4:5], v[36:37]
	v_add_f64 v[169:170], v[169:170], v[235:236]
	v_add_f64 v[229:230], v[229:230], v[231:232]
	s_waitcnt vmcnt(8) lgkmcnt(0)
	v_mul_f64 v[231:232], v[176:177], v[40:41]
	v_mul_f64 v[40:41], v[178:179], v[40:41]
	v_fma_f64 v[233:234], v[4:5], v[34:35], v[237:238]
	v_fma_f64 v[235:236], v[2:3], v[34:35], -v[36:37]
	ds_load_b128 v[2:5], v1 offset:1600
	scratch_load_b128 v[34:37], off, off offset:848
	v_add_f64 v[169:170], v[169:170], v[180:181]
	v_add_f64 v[229:230], v[229:230], v[182:183]
	ds_load_b128 v[180:183], v1 offset:1616
	s_waitcnt vmcnt(8) lgkmcnt(1)
	v_mul_f64 v[237:238], v[2:3], v[44:45]
	v_mul_f64 v[44:45], v[4:5], v[44:45]
	v_fma_f64 v[178:179], v[178:179], v[38:39], v[231:232]
	v_fma_f64 v[176:177], v[176:177], v[38:39], -v[40:41]
	scratch_load_b128 v[38:41], off, off offset:864
	s_waitcnt vmcnt(8) lgkmcnt(0)
	v_mul_f64 v[231:232], v[180:181], v[8:9]
	v_mul_f64 v[8:9], v[182:183], v[8:9]
	v_add_f64 v[169:170], v[169:170], v[235:236]
	v_add_f64 v[229:230], v[229:230], v[233:234]
	v_fma_f64 v[233:234], v[4:5], v[42:43], v[237:238]
	v_fma_f64 v[235:236], v[2:3], v[42:43], -v[44:45]
	ds_load_b128 v[2:5], v1 offset:1632
	ds_load_b128 v[42:45], v1 offset:1648
	v_fma_f64 v[182:183], v[182:183], v[6:7], v[231:232]
	v_fma_f64 v[6:7], v[180:181], v[6:7], -v[8:9]
	v_add_f64 v[169:170], v[169:170], v[176:177]
	v_add_f64 v[176:177], v[229:230], v[178:179]
	s_waitcnt vmcnt(7) lgkmcnt(1)
	v_mul_f64 v[178:179], v[2:3], v[12:13]
	v_mul_f64 v[12:13], v[4:5], v[12:13]
	s_delay_alu instid0(VALU_DEP_4) | instskip(NEXT) | instid1(VALU_DEP_4)
	v_add_f64 v[8:9], v[169:170], v[235:236]
	v_add_f64 v[169:170], v[176:177], v[233:234]
	s_waitcnt vmcnt(6) lgkmcnt(0)
	v_mul_f64 v[176:177], v[42:43], v[16:17]
	v_mul_f64 v[16:17], v[44:45], v[16:17]
	v_fma_f64 v[178:179], v[4:5], v[10:11], v[178:179]
	v_fma_f64 v[10:11], v[2:3], v[10:11], -v[12:13]
	v_add_f64 v[12:13], v[8:9], v[6:7]
	v_add_f64 v[169:170], v[169:170], v[182:183]
	ds_load_b128 v[2:5], v1 offset:1664
	ds_load_b128 v[6:9], v1 offset:1680
	v_fma_f64 v[44:45], v[44:45], v[14:15], v[176:177]
	v_fma_f64 v[14:15], v[42:43], v[14:15], -v[16:17]
	s_waitcnt vmcnt(5) lgkmcnt(1)
	v_mul_f64 v[180:181], v[2:3], v[20:21]
	v_mul_f64 v[20:21], v[4:5], v[20:21]
	s_waitcnt vmcnt(4) lgkmcnt(0)
	v_mul_f64 v[16:17], v[6:7], v[24:25]
	v_mul_f64 v[24:25], v[8:9], v[24:25]
	v_add_f64 v[10:11], v[12:13], v[10:11]
	v_add_f64 v[12:13], v[169:170], v[178:179]
	v_fma_f64 v[42:43], v[4:5], v[18:19], v[180:181]
	v_fma_f64 v[18:19], v[2:3], v[18:19], -v[20:21]
	v_fma_f64 v[8:9], v[8:9], v[22:23], v[16:17]
	v_fma_f64 v[6:7], v[6:7], v[22:23], -v[24:25]
	v_add_f64 v[14:15], v[10:11], v[14:15]
	v_add_f64 v[20:21], v[12:13], v[44:45]
	ds_load_b128 v[2:5], v1 offset:1696
	ds_load_b128 v[10:13], v1 offset:1712
	s_waitcnt vmcnt(3) lgkmcnt(1)
	v_mul_f64 v[44:45], v[2:3], v[28:29]
	v_mul_f64 v[28:29], v[4:5], v[28:29]
	v_add_f64 v[14:15], v[14:15], v[18:19]
	v_add_f64 v[16:17], v[20:21], v[42:43]
	s_waitcnt vmcnt(2) lgkmcnt(0)
	v_mul_f64 v[18:19], v[10:11], v[32:33]
	v_mul_f64 v[20:21], v[12:13], v[32:33]
	v_fma_f64 v[22:23], v[4:5], v[26:27], v[44:45]
	v_fma_f64 v[24:25], v[2:3], v[26:27], -v[28:29]
	v_add_f64 v[14:15], v[14:15], v[6:7]
	v_add_f64 v[16:17], v[16:17], v[8:9]
	ds_load_b128 v[2:5], v1 offset:1728
	ds_load_b128 v[6:9], v1 offset:1744
	v_fma_f64 v[12:13], v[12:13], v[30:31], v[18:19]
	v_fma_f64 v[10:11], v[10:11], v[30:31], -v[20:21]
	s_waitcnt vmcnt(1) lgkmcnt(1)
	v_mul_f64 v[26:27], v[2:3], v[36:37]
	v_mul_f64 v[28:29], v[4:5], v[36:37]
	s_waitcnt vmcnt(0) lgkmcnt(0)
	v_mul_f64 v[18:19], v[6:7], v[40:41]
	v_mul_f64 v[20:21], v[8:9], v[40:41]
	v_add_f64 v[14:15], v[14:15], v[24:25]
	v_add_f64 v[16:17], v[16:17], v[22:23]
	v_fma_f64 v[4:5], v[4:5], v[34:35], v[26:27]
	v_fma_f64 v[1:2], v[2:3], v[34:35], -v[28:29]
	v_fma_f64 v[8:9], v[8:9], v[38:39], v[18:19]
	v_fma_f64 v[6:7], v[6:7], v[38:39], -v[20:21]
	v_add_f64 v[10:11], v[14:15], v[10:11]
	v_add_f64 v[12:13], v[16:17], v[12:13]
	s_delay_alu instid0(VALU_DEP_2) | instskip(NEXT) | instid1(VALU_DEP_2)
	v_add_f64 v[1:2], v[10:11], v[1:2]
	v_add_f64 v[3:4], v[12:13], v[4:5]
	s_delay_alu instid0(VALU_DEP_2) | instskip(NEXT) | instid1(VALU_DEP_2)
	;; [unrolled: 3-line block ×3, first 2 shown]
	v_add_f64 v[1:2], v[172:173], -v[1:2]
	v_add_f64 v[3:4], v[174:175], -v[3:4]
	scratch_store_b128 off, v[1:4], off offset:384
	v_cmpx_lt_u32_e32 23, v156
	s_cbranch_execz .LBB118_297
; %bb.296:
	scratch_load_b128 v[1:4], v188, off
	v_mov_b32_e32 v5, 0
	s_delay_alu instid0(VALU_DEP_1)
	v_mov_b32_e32 v6, v5
	v_mov_b32_e32 v7, v5
	;; [unrolled: 1-line block ×3, first 2 shown]
	scratch_store_b128 off, v[5:8], off offset:368
	s_waitcnt vmcnt(0)
	ds_store_b128 v211, v[1:4]
.LBB118_297:
	s_or_b32 exec_lo, exec_lo, s2
	s_waitcnt lgkmcnt(0)
	s_waitcnt_vscnt null, 0x0
	s_barrier
	buffer_gl0_inv
	s_clause 0x7
	scratch_load_b128 v[2:5], off, off offset:384
	scratch_load_b128 v[6:9], off, off offset:400
	scratch_load_b128 v[10:13], off, off offset:416
	scratch_load_b128 v[14:17], off, off offset:432
	scratch_load_b128 v[18:21], off, off offset:448
	scratch_load_b128 v[22:25], off, off offset:464
	scratch_load_b128 v[26:29], off, off offset:480
	scratch_load_b128 v[30:33], off, off offset:496
	v_mov_b32_e32 v1, 0
	s_mov_b32 s2, exec_lo
	ds_load_b128 v[38:41], v1 offset:1264
	s_clause 0x1
	scratch_load_b128 v[34:37], off, off offset:512
	scratch_load_b128 v[42:45], off, off offset:368
	ds_load_b128 v[172:175], v1 offset:1280
	scratch_load_b128 v[176:179], off, off offset:528
	ds_load_b128 v[180:183], v1 offset:1312
	s_waitcnt vmcnt(10) lgkmcnt(2)
	v_mul_f64 v[169:170], v[40:41], v[4:5]
	v_mul_f64 v[4:5], v[38:39], v[4:5]
	s_delay_alu instid0(VALU_DEP_2) | instskip(NEXT) | instid1(VALU_DEP_2)
	v_fma_f64 v[169:170], v[38:39], v[2:3], -v[169:170]
	v_fma_f64 v[231:232], v[40:41], v[2:3], v[4:5]
	ds_load_b128 v[2:5], v1 offset:1296
	s_waitcnt vmcnt(9) lgkmcnt(2)
	v_mul_f64 v[229:230], v[172:173], v[8:9]
	v_mul_f64 v[8:9], v[174:175], v[8:9]
	scratch_load_b128 v[38:41], off, off offset:544
	s_waitcnt vmcnt(9) lgkmcnt(0)
	v_mul_f64 v[233:234], v[2:3], v[12:13]
	v_mul_f64 v[12:13], v[4:5], v[12:13]
	v_add_f64 v[169:170], v[169:170], 0
	v_fma_f64 v[174:175], v[174:175], v[6:7], v[229:230]
	v_fma_f64 v[172:173], v[172:173], v[6:7], -v[8:9]
	v_add_f64 v[229:230], v[231:232], 0
	scratch_load_b128 v[6:9], off, off offset:560
	v_fma_f64 v[233:234], v[4:5], v[10:11], v[233:234]
	v_fma_f64 v[235:236], v[2:3], v[10:11], -v[12:13]
	scratch_load_b128 v[10:13], off, off offset:576
	ds_load_b128 v[2:5], v1 offset:1328
	s_waitcnt vmcnt(10)
	v_mul_f64 v[231:232], v[180:181], v[16:17]
	v_mul_f64 v[16:17], v[182:183], v[16:17]
	v_add_f64 v[169:170], v[169:170], v[172:173]
	v_add_f64 v[229:230], v[229:230], v[174:175]
	ds_load_b128 v[172:175], v1 offset:1344
	s_waitcnt vmcnt(9) lgkmcnt(1)
	v_mul_f64 v[237:238], v[2:3], v[20:21]
	v_mul_f64 v[20:21], v[4:5], v[20:21]
	v_fma_f64 v[182:183], v[182:183], v[14:15], v[231:232]
	v_fma_f64 v[180:181], v[180:181], v[14:15], -v[16:17]
	scratch_load_b128 v[14:17], off, off offset:592
	v_add_f64 v[169:170], v[169:170], v[235:236]
	v_add_f64 v[229:230], v[229:230], v[233:234]
	v_fma_f64 v[233:234], v[4:5], v[18:19], v[237:238]
	v_fma_f64 v[235:236], v[2:3], v[18:19], -v[20:21]
	scratch_load_b128 v[18:21], off, off offset:608
	ds_load_b128 v[2:5], v1 offset:1360
	s_waitcnt vmcnt(10) lgkmcnt(1)
	v_mul_f64 v[231:232], v[172:173], v[24:25]
	v_mul_f64 v[24:25], v[174:175], v[24:25]
	s_waitcnt vmcnt(9) lgkmcnt(0)
	v_mul_f64 v[237:238], v[2:3], v[28:29]
	v_mul_f64 v[28:29], v[4:5], v[28:29]
	v_add_f64 v[169:170], v[169:170], v[180:181]
	v_add_f64 v[229:230], v[229:230], v[182:183]
	ds_load_b128 v[180:183], v1 offset:1376
	v_fma_f64 v[174:175], v[174:175], v[22:23], v[231:232]
	v_fma_f64 v[172:173], v[172:173], v[22:23], -v[24:25]
	scratch_load_b128 v[22:25], off, off offset:624
	v_add_f64 v[169:170], v[169:170], v[235:236]
	v_add_f64 v[229:230], v[229:230], v[233:234]
	v_fma_f64 v[233:234], v[4:5], v[26:27], v[237:238]
	v_fma_f64 v[235:236], v[2:3], v[26:27], -v[28:29]
	scratch_load_b128 v[26:29], off, off offset:640
	ds_load_b128 v[2:5], v1 offset:1392
	s_waitcnt vmcnt(10) lgkmcnt(1)
	v_mul_f64 v[231:232], v[180:181], v[32:33]
	v_mul_f64 v[32:33], v[182:183], v[32:33]
	s_waitcnt vmcnt(9) lgkmcnt(0)
	v_mul_f64 v[237:238], v[2:3], v[36:37]
	v_mul_f64 v[36:37], v[4:5], v[36:37]
	v_add_f64 v[169:170], v[169:170], v[172:173]
	v_add_f64 v[229:230], v[229:230], v[174:175]
	ds_load_b128 v[172:175], v1 offset:1408
	v_fma_f64 v[182:183], v[182:183], v[30:31], v[231:232]
	v_fma_f64 v[180:181], v[180:181], v[30:31], -v[32:33]
	scratch_load_b128 v[30:33], off, off offset:656
	v_add_f64 v[169:170], v[169:170], v[235:236]
	v_add_f64 v[229:230], v[229:230], v[233:234]
	v_fma_f64 v[235:236], v[4:5], v[34:35], v[237:238]
	v_fma_f64 v[237:238], v[2:3], v[34:35], -v[36:37]
	scratch_load_b128 v[34:37], off, off offset:672
	ds_load_b128 v[2:5], v1 offset:1424
	s_waitcnt vmcnt(9) lgkmcnt(1)
	v_mul_f64 v[231:232], v[172:173], v[178:179]
	v_mul_f64 v[233:234], v[174:175], v[178:179]
	v_add_f64 v[169:170], v[169:170], v[180:181]
	v_add_f64 v[182:183], v[229:230], v[182:183]
	ds_load_b128 v[178:181], v1 offset:1440
	v_fma_f64 v[231:232], v[174:175], v[176:177], v[231:232]
	v_fma_f64 v[176:177], v[172:173], v[176:177], -v[233:234]
	scratch_load_b128 v[172:175], off, off offset:688
	s_waitcnt vmcnt(9) lgkmcnt(1)
	v_mul_f64 v[229:230], v[2:3], v[40:41]
	v_mul_f64 v[40:41], v[4:5], v[40:41]
	v_add_f64 v[169:170], v[169:170], v[237:238]
	v_add_f64 v[182:183], v[182:183], v[235:236]
	s_delay_alu instid0(VALU_DEP_4) | instskip(NEXT) | instid1(VALU_DEP_4)
	v_fma_f64 v[235:236], v[4:5], v[38:39], v[229:230]
	v_fma_f64 v[237:238], v[2:3], v[38:39], -v[40:41]
	scratch_load_b128 v[38:41], off, off offset:704
	ds_load_b128 v[2:5], v1 offset:1456
	s_waitcnt vmcnt(9) lgkmcnt(1)
	v_mul_f64 v[233:234], v[178:179], v[8:9]
	v_mul_f64 v[8:9], v[180:181], v[8:9]
	v_add_f64 v[169:170], v[169:170], v[176:177]
	v_add_f64 v[176:177], v[182:183], v[231:232]
	s_waitcnt vmcnt(8) lgkmcnt(0)
	v_mul_f64 v[182:183], v[2:3], v[12:13]
	v_mul_f64 v[12:13], v[4:5], v[12:13]
	ds_load_b128 v[229:232], v1 offset:1472
	v_fma_f64 v[180:181], v[180:181], v[6:7], v[233:234]
	v_fma_f64 v[178:179], v[178:179], v[6:7], -v[8:9]
	scratch_load_b128 v[6:9], off, off offset:720
	v_add_f64 v[169:170], v[169:170], v[237:238]
	v_add_f64 v[176:177], v[176:177], v[235:236]
	v_fma_f64 v[182:183], v[4:5], v[10:11], v[182:183]
	v_fma_f64 v[235:236], v[2:3], v[10:11], -v[12:13]
	scratch_load_b128 v[10:13], off, off offset:736
	ds_load_b128 v[2:5], v1 offset:1488
	s_waitcnt vmcnt(9) lgkmcnt(1)
	v_mul_f64 v[233:234], v[229:230], v[16:17]
	v_mul_f64 v[16:17], v[231:232], v[16:17]
	s_waitcnt vmcnt(8) lgkmcnt(0)
	v_mul_f64 v[237:238], v[2:3], v[20:21]
	v_mul_f64 v[20:21], v[4:5], v[20:21]
	v_add_f64 v[169:170], v[169:170], v[178:179]
	v_add_f64 v[180:181], v[176:177], v[180:181]
	ds_load_b128 v[176:179], v1 offset:1504
	v_fma_f64 v[231:232], v[231:232], v[14:15], v[233:234]
	v_fma_f64 v[229:230], v[229:230], v[14:15], -v[16:17]
	scratch_load_b128 v[14:17], off, off offset:752
	v_add_f64 v[169:170], v[169:170], v[235:236]
	v_add_f64 v[180:181], v[180:181], v[182:183]
	v_fma_f64 v[235:236], v[4:5], v[18:19], v[237:238]
	v_fma_f64 v[237:238], v[2:3], v[18:19], -v[20:21]
	scratch_load_b128 v[18:21], off, off offset:768
	ds_load_b128 v[2:5], v1 offset:1520
	s_waitcnt vmcnt(9) lgkmcnt(1)
	v_mul_f64 v[233:234], v[176:177], v[24:25]
	v_mul_f64 v[24:25], v[178:179], v[24:25]
	v_add_f64 v[169:170], v[169:170], v[229:230]
	v_add_f64 v[229:230], v[180:181], v[231:232]
	s_waitcnt vmcnt(8) lgkmcnt(0)
	v_mul_f64 v[231:232], v[2:3], v[28:29]
	v_mul_f64 v[28:29], v[4:5], v[28:29]
	ds_load_b128 v[180:183], v1 offset:1536
	v_fma_f64 v[178:179], v[178:179], v[22:23], v[233:234]
	v_fma_f64 v[176:177], v[176:177], v[22:23], -v[24:25]
	scratch_load_b128 v[22:25], off, off offset:784
	v_add_f64 v[169:170], v[169:170], v[237:238]
	v_add_f64 v[229:230], v[229:230], v[235:236]
	v_fma_f64 v[231:232], v[4:5], v[26:27], v[231:232]
	v_fma_f64 v[235:236], v[2:3], v[26:27], -v[28:29]
	scratch_load_b128 v[26:29], off, off offset:800
	ds_load_b128 v[2:5], v1 offset:1552
	s_waitcnt vmcnt(9) lgkmcnt(1)
	v_mul_f64 v[233:234], v[180:181], v[32:33]
	v_mul_f64 v[32:33], v[182:183], v[32:33]
	s_waitcnt vmcnt(8) lgkmcnt(0)
	v_mul_f64 v[237:238], v[2:3], v[36:37]
	v_mul_f64 v[36:37], v[4:5], v[36:37]
	v_add_f64 v[169:170], v[169:170], v[176:177]
	v_add_f64 v[229:230], v[229:230], v[178:179]
	ds_load_b128 v[176:179], v1 offset:1568
	v_fma_f64 v[182:183], v[182:183], v[30:31], v[233:234]
	v_fma_f64 v[180:181], v[180:181], v[30:31], -v[32:33]
	scratch_load_b128 v[30:33], off, off offset:816
	v_fma_f64 v[233:234], v[4:5], v[34:35], v[237:238]
	v_add_f64 v[169:170], v[169:170], v[235:236]
	v_add_f64 v[229:230], v[229:230], v[231:232]
	v_fma_f64 v[235:236], v[2:3], v[34:35], -v[36:37]
	scratch_load_b128 v[34:37], off, off offset:832
	ds_load_b128 v[2:5], v1 offset:1584
	s_waitcnt vmcnt(9) lgkmcnt(1)
	v_mul_f64 v[231:232], v[176:177], v[174:175]
	v_mul_f64 v[174:175], v[178:179], v[174:175]
	s_waitcnt vmcnt(8) lgkmcnt(0)
	v_mul_f64 v[237:238], v[2:3], v[40:41]
	v_mul_f64 v[40:41], v[4:5], v[40:41]
	v_add_f64 v[169:170], v[169:170], v[180:181]
	v_add_f64 v[229:230], v[229:230], v[182:183]
	ds_load_b128 v[180:183], v1 offset:1600
	v_fma_f64 v[178:179], v[178:179], v[172:173], v[231:232]
	v_fma_f64 v[176:177], v[176:177], v[172:173], -v[174:175]
	scratch_load_b128 v[172:175], off, off offset:848
	v_add_f64 v[169:170], v[169:170], v[235:236]
	v_add_f64 v[229:230], v[229:230], v[233:234]
	v_fma_f64 v[233:234], v[4:5], v[38:39], v[237:238]
	v_fma_f64 v[235:236], v[2:3], v[38:39], -v[40:41]
	scratch_load_b128 v[38:41], off, off offset:864
	ds_load_b128 v[2:5], v1 offset:1616
	s_waitcnt vmcnt(9) lgkmcnt(1)
	v_mul_f64 v[231:232], v[180:181], v[8:9]
	v_mul_f64 v[8:9], v[182:183], v[8:9]
	s_waitcnt vmcnt(8) lgkmcnt(0)
	v_mul_f64 v[237:238], v[2:3], v[12:13]
	v_mul_f64 v[12:13], v[4:5], v[12:13]
	v_add_f64 v[169:170], v[169:170], v[176:177]
	v_add_f64 v[229:230], v[229:230], v[178:179]
	ds_load_b128 v[176:179], v1 offset:1632
	v_fma_f64 v[182:183], v[182:183], v[6:7], v[231:232]
	v_fma_f64 v[6:7], v[180:181], v[6:7], -v[8:9]
	s_waitcnt vmcnt(7) lgkmcnt(0)
	v_mul_f64 v[180:181], v[176:177], v[16:17]
	v_mul_f64 v[16:17], v[178:179], v[16:17]
	v_add_f64 v[8:9], v[169:170], v[235:236]
	v_add_f64 v[169:170], v[229:230], v[233:234]
	v_fma_f64 v[229:230], v[4:5], v[10:11], v[237:238]
	v_fma_f64 v[10:11], v[2:3], v[10:11], -v[12:13]
	v_fma_f64 v[178:179], v[178:179], v[14:15], v[180:181]
	v_fma_f64 v[14:15], v[176:177], v[14:15], -v[16:17]
	v_add_f64 v[12:13], v[8:9], v[6:7]
	v_add_f64 v[169:170], v[169:170], v[182:183]
	ds_load_b128 v[2:5], v1 offset:1648
	ds_load_b128 v[6:9], v1 offset:1664
	s_waitcnt vmcnt(6) lgkmcnt(1)
	v_mul_f64 v[182:183], v[2:3], v[20:21]
	v_mul_f64 v[20:21], v[4:5], v[20:21]
	s_waitcnt vmcnt(5) lgkmcnt(0)
	v_mul_f64 v[16:17], v[6:7], v[24:25]
	v_mul_f64 v[24:25], v[8:9], v[24:25]
	v_add_f64 v[10:11], v[12:13], v[10:11]
	v_add_f64 v[12:13], v[169:170], v[229:230]
	v_fma_f64 v[169:170], v[4:5], v[18:19], v[182:183]
	v_fma_f64 v[18:19], v[2:3], v[18:19], -v[20:21]
	v_fma_f64 v[8:9], v[8:9], v[22:23], v[16:17]
	v_fma_f64 v[6:7], v[6:7], v[22:23], -v[24:25]
	v_add_f64 v[14:15], v[10:11], v[14:15]
	v_add_f64 v[20:21], v[12:13], v[178:179]
	ds_load_b128 v[2:5], v1 offset:1680
	ds_load_b128 v[10:13], v1 offset:1696
	s_waitcnt vmcnt(4) lgkmcnt(1)
	v_mul_f64 v[176:177], v[2:3], v[28:29]
	v_mul_f64 v[28:29], v[4:5], v[28:29]
	v_add_f64 v[14:15], v[14:15], v[18:19]
	v_add_f64 v[16:17], v[20:21], v[169:170]
	s_waitcnt vmcnt(3) lgkmcnt(0)
	v_mul_f64 v[18:19], v[10:11], v[32:33]
	v_mul_f64 v[20:21], v[12:13], v[32:33]
	v_fma_f64 v[22:23], v[4:5], v[26:27], v[176:177]
	v_fma_f64 v[24:25], v[2:3], v[26:27], -v[28:29]
	v_add_f64 v[14:15], v[14:15], v[6:7]
	v_add_f64 v[16:17], v[16:17], v[8:9]
	ds_load_b128 v[2:5], v1 offset:1712
	ds_load_b128 v[6:9], v1 offset:1728
	v_fma_f64 v[12:13], v[12:13], v[30:31], v[18:19]
	v_fma_f64 v[10:11], v[10:11], v[30:31], -v[20:21]
	s_waitcnt vmcnt(2) lgkmcnt(1)
	v_mul_f64 v[26:27], v[2:3], v[36:37]
	v_mul_f64 v[28:29], v[4:5], v[36:37]
	s_waitcnt vmcnt(1) lgkmcnt(0)
	v_mul_f64 v[18:19], v[6:7], v[174:175]
	v_mul_f64 v[20:21], v[8:9], v[174:175]
	v_add_f64 v[14:15], v[14:15], v[24:25]
	v_add_f64 v[16:17], v[16:17], v[22:23]
	v_fma_f64 v[22:23], v[4:5], v[34:35], v[26:27]
	v_fma_f64 v[24:25], v[2:3], v[34:35], -v[28:29]
	ds_load_b128 v[2:5], v1 offset:1744
	v_fma_f64 v[8:9], v[8:9], v[172:173], v[18:19]
	v_fma_f64 v[6:7], v[6:7], v[172:173], -v[20:21]
	v_add_f64 v[10:11], v[14:15], v[10:11]
	v_add_f64 v[12:13], v[16:17], v[12:13]
	s_waitcnt vmcnt(0) lgkmcnt(0)
	v_mul_f64 v[14:15], v[2:3], v[40:41]
	v_mul_f64 v[16:17], v[4:5], v[40:41]
	s_delay_alu instid0(VALU_DEP_4) | instskip(NEXT) | instid1(VALU_DEP_4)
	v_add_f64 v[10:11], v[10:11], v[24:25]
	v_add_f64 v[12:13], v[12:13], v[22:23]
	s_delay_alu instid0(VALU_DEP_4) | instskip(NEXT) | instid1(VALU_DEP_4)
	v_fma_f64 v[4:5], v[4:5], v[38:39], v[14:15]
	v_fma_f64 v[2:3], v[2:3], v[38:39], -v[16:17]
	s_delay_alu instid0(VALU_DEP_4) | instskip(NEXT) | instid1(VALU_DEP_4)
	v_add_f64 v[6:7], v[10:11], v[6:7]
	v_add_f64 v[8:9], v[12:13], v[8:9]
	s_delay_alu instid0(VALU_DEP_2) | instskip(NEXT) | instid1(VALU_DEP_2)
	v_add_f64 v[2:3], v[6:7], v[2:3]
	v_add_f64 v[4:5], v[8:9], v[4:5]
	s_delay_alu instid0(VALU_DEP_2) | instskip(NEXT) | instid1(VALU_DEP_2)
	v_add_f64 v[2:3], v[42:43], -v[2:3]
	v_add_f64 v[4:5], v[44:45], -v[4:5]
	scratch_store_b128 off, v[2:5], off offset:368
	v_cmpx_lt_u32_e32 22, v156
	s_cbranch_execz .LBB118_299
; %bb.298:
	scratch_load_b128 v[5:8], v189, off
	v_mov_b32_e32 v2, v1
	v_mov_b32_e32 v3, v1
	;; [unrolled: 1-line block ×3, first 2 shown]
	scratch_store_b128 off, v[1:4], off offset:352
	s_waitcnt vmcnt(0)
	ds_store_b128 v211, v[5:8]
.LBB118_299:
	s_or_b32 exec_lo, exec_lo, s2
	s_waitcnt lgkmcnt(0)
	s_waitcnt_vscnt null, 0x0
	s_barrier
	buffer_gl0_inv
	s_clause 0x8
	scratch_load_b128 v[2:5], off, off offset:368
	scratch_load_b128 v[6:9], off, off offset:384
	;; [unrolled: 1-line block ×9, first 2 shown]
	ds_load_b128 v[42:45], v1 offset:1248
	ds_load_b128 v[38:41], v1 offset:1264
	s_clause 0x1
	scratch_load_b128 v[172:175], off, off offset:352
	scratch_load_b128 v[176:179], off, off offset:512
	s_mov_b32 s2, exec_lo
	ds_load_b128 v[180:183], v1 offset:1296
	s_waitcnt vmcnt(10) lgkmcnt(2)
	v_mul_f64 v[169:170], v[44:45], v[4:5]
	v_mul_f64 v[4:5], v[42:43], v[4:5]
	s_waitcnt vmcnt(9) lgkmcnt(1)
	v_mul_f64 v[229:230], v[38:39], v[8:9]
	v_mul_f64 v[8:9], v[40:41], v[8:9]
	s_delay_alu instid0(VALU_DEP_4) | instskip(NEXT) | instid1(VALU_DEP_4)
	v_fma_f64 v[169:170], v[42:43], v[2:3], -v[169:170]
	v_fma_f64 v[231:232], v[44:45], v[2:3], v[4:5]
	ds_load_b128 v[2:5], v1 offset:1280
	scratch_load_b128 v[42:45], off, off offset:528
	v_fma_f64 v[40:41], v[40:41], v[6:7], v[229:230]
	v_fma_f64 v[38:39], v[38:39], v[6:7], -v[8:9]
	scratch_load_b128 v[6:9], off, off offset:544
	s_waitcnt vmcnt(10) lgkmcnt(0)
	v_mul_f64 v[233:234], v[2:3], v[12:13]
	v_mul_f64 v[12:13], v[4:5], v[12:13]
	v_add_f64 v[169:170], v[169:170], 0
	v_add_f64 v[229:230], v[231:232], 0
	s_waitcnt vmcnt(9)
	v_mul_f64 v[231:232], v[180:181], v[16:17]
	v_mul_f64 v[16:17], v[182:183], v[16:17]
	v_fma_f64 v[233:234], v[4:5], v[10:11], v[233:234]
	v_fma_f64 v[235:236], v[2:3], v[10:11], -v[12:13]
	ds_load_b128 v[2:5], v1 offset:1312
	scratch_load_b128 v[10:13], off, off offset:560
	v_add_f64 v[169:170], v[169:170], v[38:39]
	v_add_f64 v[229:230], v[229:230], v[40:41]
	ds_load_b128 v[38:41], v1 offset:1328
	v_fma_f64 v[182:183], v[182:183], v[14:15], v[231:232]
	v_fma_f64 v[180:181], v[180:181], v[14:15], -v[16:17]
	scratch_load_b128 v[14:17], off, off offset:576
	s_waitcnt vmcnt(10) lgkmcnt(1)
	v_mul_f64 v[237:238], v[2:3], v[20:21]
	v_mul_f64 v[20:21], v[4:5], v[20:21]
	s_waitcnt vmcnt(9) lgkmcnt(0)
	v_mul_f64 v[231:232], v[38:39], v[24:25]
	v_mul_f64 v[24:25], v[40:41], v[24:25]
	v_add_f64 v[169:170], v[169:170], v[235:236]
	v_add_f64 v[229:230], v[229:230], v[233:234]
	v_fma_f64 v[233:234], v[4:5], v[18:19], v[237:238]
	v_fma_f64 v[235:236], v[2:3], v[18:19], -v[20:21]
	ds_load_b128 v[2:5], v1 offset:1344
	scratch_load_b128 v[18:21], off, off offset:592
	v_fma_f64 v[40:41], v[40:41], v[22:23], v[231:232]
	v_fma_f64 v[38:39], v[38:39], v[22:23], -v[24:25]
	scratch_load_b128 v[22:25], off, off offset:608
	v_add_f64 v[169:170], v[169:170], v[180:181]
	v_add_f64 v[229:230], v[229:230], v[182:183]
	ds_load_b128 v[180:183], v1 offset:1360
	s_waitcnt vmcnt(10) lgkmcnt(1)
	v_mul_f64 v[237:238], v[2:3], v[28:29]
	v_mul_f64 v[28:29], v[4:5], v[28:29]
	s_waitcnt vmcnt(9) lgkmcnt(0)
	v_mul_f64 v[231:232], v[180:181], v[32:33]
	v_mul_f64 v[32:33], v[182:183], v[32:33]
	v_add_f64 v[169:170], v[169:170], v[235:236]
	v_add_f64 v[229:230], v[229:230], v[233:234]
	v_fma_f64 v[233:234], v[4:5], v[26:27], v[237:238]
	v_fma_f64 v[235:236], v[2:3], v[26:27], -v[28:29]
	ds_load_b128 v[2:5], v1 offset:1376
	scratch_load_b128 v[26:29], off, off offset:624
	v_fma_f64 v[182:183], v[182:183], v[30:31], v[231:232]
	v_fma_f64 v[180:181], v[180:181], v[30:31], -v[32:33]
	scratch_load_b128 v[30:33], off, off offset:640
	v_add_f64 v[169:170], v[169:170], v[38:39]
	v_add_f64 v[229:230], v[229:230], v[40:41]
	ds_load_b128 v[38:41], v1 offset:1392
	s_waitcnt vmcnt(10) lgkmcnt(1)
	v_mul_f64 v[237:238], v[2:3], v[36:37]
	v_mul_f64 v[36:37], v[4:5], v[36:37]
	s_waitcnt vmcnt(8) lgkmcnt(0)
	v_mul_f64 v[231:232], v[38:39], v[178:179]
	v_add_f64 v[169:170], v[169:170], v[235:236]
	v_add_f64 v[229:230], v[229:230], v[233:234]
	v_mul_f64 v[233:234], v[40:41], v[178:179]
	v_fma_f64 v[235:236], v[4:5], v[34:35], v[237:238]
	v_fma_f64 v[237:238], v[2:3], v[34:35], -v[36:37]
	ds_load_b128 v[2:5], v1 offset:1408
	scratch_load_b128 v[34:37], off, off offset:656
	v_fma_f64 v[231:232], v[40:41], v[176:177], v[231:232]
	v_add_f64 v[169:170], v[169:170], v[180:181]
	v_add_f64 v[182:183], v[229:230], v[182:183]
	ds_load_b128 v[178:181], v1 offset:1424
	v_fma_f64 v[176:177], v[38:39], v[176:177], -v[233:234]
	scratch_load_b128 v[38:41], off, off offset:672
	s_waitcnt vmcnt(9) lgkmcnt(1)
	v_mul_f64 v[229:230], v[2:3], v[44:45]
	v_mul_f64 v[44:45], v[4:5], v[44:45]
	s_waitcnt vmcnt(8) lgkmcnt(0)
	v_mul_f64 v[233:234], v[178:179], v[8:9]
	v_mul_f64 v[8:9], v[180:181], v[8:9]
	v_add_f64 v[169:170], v[169:170], v[237:238]
	v_add_f64 v[182:183], v[182:183], v[235:236]
	v_fma_f64 v[235:236], v[4:5], v[42:43], v[229:230]
	v_fma_f64 v[237:238], v[2:3], v[42:43], -v[44:45]
	ds_load_b128 v[2:5], v1 offset:1440
	scratch_load_b128 v[42:45], off, off offset:688
	v_fma_f64 v[180:181], v[180:181], v[6:7], v[233:234]
	v_fma_f64 v[178:179], v[178:179], v[6:7], -v[8:9]
	scratch_load_b128 v[6:9], off, off offset:704
	v_add_f64 v[169:170], v[169:170], v[176:177]
	v_add_f64 v[176:177], v[182:183], v[231:232]
	ds_load_b128 v[229:232], v1 offset:1456
	s_waitcnt vmcnt(9) lgkmcnt(1)
	v_mul_f64 v[182:183], v[2:3], v[12:13]
	v_mul_f64 v[12:13], v[4:5], v[12:13]
	s_waitcnt vmcnt(8) lgkmcnt(0)
	v_mul_f64 v[233:234], v[229:230], v[16:17]
	v_mul_f64 v[16:17], v[231:232], v[16:17]
	v_add_f64 v[169:170], v[169:170], v[237:238]
	v_add_f64 v[176:177], v[176:177], v[235:236]
	v_fma_f64 v[182:183], v[4:5], v[10:11], v[182:183]
	v_fma_f64 v[235:236], v[2:3], v[10:11], -v[12:13]
	ds_load_b128 v[2:5], v1 offset:1472
	scratch_load_b128 v[10:13], off, off offset:720
	v_fma_f64 v[231:232], v[231:232], v[14:15], v[233:234]
	v_fma_f64 v[229:230], v[229:230], v[14:15], -v[16:17]
	scratch_load_b128 v[14:17], off, off offset:736
	v_add_f64 v[169:170], v[169:170], v[178:179]
	v_add_f64 v[180:181], v[176:177], v[180:181]
	ds_load_b128 v[176:179], v1 offset:1488
	;; [unrolled: 18-line block ×4, first 2 shown]
	s_waitcnt vmcnt(9) lgkmcnt(1)
	v_mul_f64 v[237:238], v[2:3], v[36:37]
	v_mul_f64 v[36:37], v[4:5], v[36:37]
	v_add_f64 v[169:170], v[169:170], v[235:236]
	v_add_f64 v[229:230], v[229:230], v[231:232]
	s_waitcnt vmcnt(8) lgkmcnt(0)
	v_mul_f64 v[231:232], v[176:177], v[40:41]
	v_mul_f64 v[40:41], v[178:179], v[40:41]
	v_fma_f64 v[233:234], v[4:5], v[34:35], v[237:238]
	v_fma_f64 v[235:236], v[2:3], v[34:35], -v[36:37]
	ds_load_b128 v[2:5], v1 offset:1568
	scratch_load_b128 v[34:37], off, off offset:816
	v_add_f64 v[169:170], v[169:170], v[180:181]
	v_add_f64 v[229:230], v[229:230], v[182:183]
	ds_load_b128 v[180:183], v1 offset:1584
	s_waitcnt vmcnt(8) lgkmcnt(1)
	v_mul_f64 v[237:238], v[2:3], v[44:45]
	v_mul_f64 v[44:45], v[4:5], v[44:45]
	v_fma_f64 v[178:179], v[178:179], v[38:39], v[231:232]
	v_fma_f64 v[176:177], v[176:177], v[38:39], -v[40:41]
	scratch_load_b128 v[38:41], off, off offset:832
	s_waitcnt vmcnt(8) lgkmcnt(0)
	v_mul_f64 v[231:232], v[180:181], v[8:9]
	v_mul_f64 v[8:9], v[182:183], v[8:9]
	v_add_f64 v[169:170], v[169:170], v[235:236]
	v_add_f64 v[229:230], v[229:230], v[233:234]
	v_fma_f64 v[233:234], v[4:5], v[42:43], v[237:238]
	v_fma_f64 v[235:236], v[2:3], v[42:43], -v[44:45]
	ds_load_b128 v[2:5], v1 offset:1600
	scratch_load_b128 v[42:45], off, off offset:848
	v_fma_f64 v[182:183], v[182:183], v[6:7], v[231:232]
	v_fma_f64 v[180:181], v[180:181], v[6:7], -v[8:9]
	scratch_load_b128 v[6:9], off, off offset:864
	v_add_f64 v[169:170], v[169:170], v[176:177]
	v_add_f64 v[229:230], v[229:230], v[178:179]
	ds_load_b128 v[176:179], v1 offset:1616
	s_waitcnt vmcnt(9) lgkmcnt(1)
	v_mul_f64 v[237:238], v[2:3], v[12:13]
	v_mul_f64 v[12:13], v[4:5], v[12:13]
	s_waitcnt vmcnt(8) lgkmcnt(0)
	v_mul_f64 v[231:232], v[176:177], v[16:17]
	v_mul_f64 v[16:17], v[178:179], v[16:17]
	v_add_f64 v[169:170], v[169:170], v[235:236]
	v_add_f64 v[229:230], v[229:230], v[233:234]
	v_fma_f64 v[233:234], v[4:5], v[10:11], v[237:238]
	v_fma_f64 v[235:236], v[2:3], v[10:11], -v[12:13]
	ds_load_b128 v[2:5], v1 offset:1632
	ds_load_b128 v[10:13], v1 offset:1648
	v_fma_f64 v[178:179], v[178:179], v[14:15], v[231:232]
	v_fma_f64 v[14:15], v[176:177], v[14:15], -v[16:17]
	v_add_f64 v[169:170], v[169:170], v[180:181]
	v_add_f64 v[180:181], v[229:230], v[182:183]
	s_waitcnt vmcnt(7) lgkmcnt(1)
	v_mul_f64 v[182:183], v[2:3], v[20:21]
	v_mul_f64 v[20:21], v[4:5], v[20:21]
	s_waitcnt vmcnt(6) lgkmcnt(0)
	v_mul_f64 v[176:177], v[10:11], v[24:25]
	v_mul_f64 v[24:25], v[12:13], v[24:25]
	v_add_f64 v[16:17], v[169:170], v[235:236]
	v_add_f64 v[169:170], v[180:181], v[233:234]
	v_fma_f64 v[180:181], v[4:5], v[18:19], v[182:183]
	v_fma_f64 v[18:19], v[2:3], v[18:19], -v[20:21]
	v_fma_f64 v[12:13], v[12:13], v[22:23], v[176:177]
	v_fma_f64 v[10:11], v[10:11], v[22:23], -v[24:25]
	v_add_f64 v[20:21], v[16:17], v[14:15]
	v_add_f64 v[169:170], v[169:170], v[178:179]
	ds_load_b128 v[2:5], v1 offset:1664
	ds_load_b128 v[14:17], v1 offset:1680
	s_waitcnt vmcnt(5) lgkmcnt(1)
	v_mul_f64 v[178:179], v[2:3], v[28:29]
	v_mul_f64 v[28:29], v[4:5], v[28:29]
	s_waitcnt vmcnt(4) lgkmcnt(0)
	v_mul_f64 v[22:23], v[14:15], v[32:33]
	v_mul_f64 v[24:25], v[16:17], v[32:33]
	v_add_f64 v[18:19], v[20:21], v[18:19]
	v_add_f64 v[20:21], v[169:170], v[180:181]
	v_fma_f64 v[32:33], v[4:5], v[26:27], v[178:179]
	v_fma_f64 v[26:27], v[2:3], v[26:27], -v[28:29]
	v_fma_f64 v[16:17], v[16:17], v[30:31], v[22:23]
	v_fma_f64 v[14:15], v[14:15], v[30:31], -v[24:25]
	v_add_f64 v[18:19], v[18:19], v[10:11]
	v_add_f64 v[20:21], v[20:21], v[12:13]
	ds_load_b128 v[2:5], v1 offset:1696
	ds_load_b128 v[10:13], v1 offset:1712
	;; [unrolled: 16-line block ×3, first 2 shown]
	s_waitcnt vmcnt(1) lgkmcnt(1)
	v_mul_f64 v[30:31], v[2:3], v[44:45]
	v_mul_f64 v[32:33], v[4:5], v[44:45]
	s_waitcnt vmcnt(0) lgkmcnt(0)
	v_mul_f64 v[22:23], v[14:15], v[8:9]
	v_mul_f64 v[8:9], v[16:17], v[8:9]
	v_add_f64 v[18:19], v[18:19], v[28:29]
	v_add_f64 v[20:21], v[20:21], v[26:27]
	v_fma_f64 v[4:5], v[4:5], v[42:43], v[30:31]
	v_fma_f64 v[1:2], v[2:3], v[42:43], -v[32:33]
	v_fma_f64 v[16:17], v[16:17], v[6:7], v[22:23]
	v_fma_f64 v[6:7], v[14:15], v[6:7], -v[8:9]
	v_add_f64 v[10:11], v[18:19], v[10:11]
	v_add_f64 v[12:13], v[20:21], v[12:13]
	s_delay_alu instid0(VALU_DEP_2) | instskip(NEXT) | instid1(VALU_DEP_2)
	v_add_f64 v[1:2], v[10:11], v[1:2]
	v_add_f64 v[3:4], v[12:13], v[4:5]
	s_delay_alu instid0(VALU_DEP_2) | instskip(NEXT) | instid1(VALU_DEP_2)
	;; [unrolled: 3-line block ×3, first 2 shown]
	v_add_f64 v[1:2], v[172:173], -v[1:2]
	v_add_f64 v[3:4], v[174:175], -v[3:4]
	scratch_store_b128 off, v[1:4], off offset:352
	v_cmpx_lt_u32_e32 21, v156
	s_cbranch_execz .LBB118_301
; %bb.300:
	scratch_load_b128 v[1:4], v190, off
	v_mov_b32_e32 v5, 0
	s_delay_alu instid0(VALU_DEP_1)
	v_mov_b32_e32 v6, v5
	v_mov_b32_e32 v7, v5
	;; [unrolled: 1-line block ×3, first 2 shown]
	scratch_store_b128 off, v[5:8], off offset:336
	s_waitcnt vmcnt(0)
	ds_store_b128 v211, v[1:4]
.LBB118_301:
	s_or_b32 exec_lo, exec_lo, s2
	s_waitcnt lgkmcnt(0)
	s_waitcnt_vscnt null, 0x0
	s_barrier
	buffer_gl0_inv
	s_clause 0x7
	scratch_load_b128 v[2:5], off, off offset:352
	scratch_load_b128 v[6:9], off, off offset:368
	;; [unrolled: 1-line block ×8, first 2 shown]
	v_mov_b32_e32 v1, 0
	s_mov_b32 s2, exec_lo
	ds_load_b128 v[38:41], v1 offset:1232
	s_clause 0x1
	scratch_load_b128 v[34:37], off, off offset:480
	scratch_load_b128 v[42:45], off, off offset:336
	ds_load_b128 v[172:175], v1 offset:1248
	scratch_load_b128 v[176:179], off, off offset:496
	ds_load_b128 v[180:183], v1 offset:1280
	s_waitcnt vmcnt(10) lgkmcnt(2)
	v_mul_f64 v[169:170], v[40:41], v[4:5]
	v_mul_f64 v[4:5], v[38:39], v[4:5]
	s_delay_alu instid0(VALU_DEP_2) | instskip(NEXT) | instid1(VALU_DEP_2)
	v_fma_f64 v[169:170], v[38:39], v[2:3], -v[169:170]
	v_fma_f64 v[231:232], v[40:41], v[2:3], v[4:5]
	ds_load_b128 v[2:5], v1 offset:1264
	s_waitcnt vmcnt(9) lgkmcnt(2)
	v_mul_f64 v[229:230], v[172:173], v[8:9]
	v_mul_f64 v[8:9], v[174:175], v[8:9]
	scratch_load_b128 v[38:41], off, off offset:512
	s_waitcnt vmcnt(9) lgkmcnt(0)
	v_mul_f64 v[233:234], v[2:3], v[12:13]
	v_mul_f64 v[12:13], v[4:5], v[12:13]
	v_add_f64 v[169:170], v[169:170], 0
	v_fma_f64 v[174:175], v[174:175], v[6:7], v[229:230]
	v_fma_f64 v[172:173], v[172:173], v[6:7], -v[8:9]
	v_add_f64 v[229:230], v[231:232], 0
	scratch_load_b128 v[6:9], off, off offset:528
	v_fma_f64 v[233:234], v[4:5], v[10:11], v[233:234]
	v_fma_f64 v[235:236], v[2:3], v[10:11], -v[12:13]
	scratch_load_b128 v[10:13], off, off offset:544
	ds_load_b128 v[2:5], v1 offset:1296
	s_waitcnt vmcnt(10)
	v_mul_f64 v[231:232], v[180:181], v[16:17]
	v_mul_f64 v[16:17], v[182:183], v[16:17]
	v_add_f64 v[169:170], v[169:170], v[172:173]
	v_add_f64 v[229:230], v[229:230], v[174:175]
	ds_load_b128 v[172:175], v1 offset:1312
	s_waitcnt vmcnt(9) lgkmcnt(1)
	v_mul_f64 v[237:238], v[2:3], v[20:21]
	v_mul_f64 v[20:21], v[4:5], v[20:21]
	v_fma_f64 v[182:183], v[182:183], v[14:15], v[231:232]
	v_fma_f64 v[180:181], v[180:181], v[14:15], -v[16:17]
	scratch_load_b128 v[14:17], off, off offset:560
	v_add_f64 v[169:170], v[169:170], v[235:236]
	v_add_f64 v[229:230], v[229:230], v[233:234]
	v_fma_f64 v[233:234], v[4:5], v[18:19], v[237:238]
	v_fma_f64 v[235:236], v[2:3], v[18:19], -v[20:21]
	scratch_load_b128 v[18:21], off, off offset:576
	ds_load_b128 v[2:5], v1 offset:1328
	s_waitcnt vmcnt(10) lgkmcnt(1)
	v_mul_f64 v[231:232], v[172:173], v[24:25]
	v_mul_f64 v[24:25], v[174:175], v[24:25]
	s_waitcnt vmcnt(9) lgkmcnt(0)
	v_mul_f64 v[237:238], v[2:3], v[28:29]
	v_mul_f64 v[28:29], v[4:5], v[28:29]
	v_add_f64 v[169:170], v[169:170], v[180:181]
	v_add_f64 v[229:230], v[229:230], v[182:183]
	ds_load_b128 v[180:183], v1 offset:1344
	v_fma_f64 v[174:175], v[174:175], v[22:23], v[231:232]
	v_fma_f64 v[172:173], v[172:173], v[22:23], -v[24:25]
	scratch_load_b128 v[22:25], off, off offset:592
	v_add_f64 v[169:170], v[169:170], v[235:236]
	v_add_f64 v[229:230], v[229:230], v[233:234]
	v_fma_f64 v[233:234], v[4:5], v[26:27], v[237:238]
	v_fma_f64 v[235:236], v[2:3], v[26:27], -v[28:29]
	scratch_load_b128 v[26:29], off, off offset:608
	ds_load_b128 v[2:5], v1 offset:1360
	s_waitcnt vmcnt(10) lgkmcnt(1)
	v_mul_f64 v[231:232], v[180:181], v[32:33]
	v_mul_f64 v[32:33], v[182:183], v[32:33]
	s_waitcnt vmcnt(9) lgkmcnt(0)
	v_mul_f64 v[237:238], v[2:3], v[36:37]
	v_mul_f64 v[36:37], v[4:5], v[36:37]
	v_add_f64 v[169:170], v[169:170], v[172:173]
	v_add_f64 v[229:230], v[229:230], v[174:175]
	ds_load_b128 v[172:175], v1 offset:1376
	v_fma_f64 v[182:183], v[182:183], v[30:31], v[231:232]
	v_fma_f64 v[180:181], v[180:181], v[30:31], -v[32:33]
	scratch_load_b128 v[30:33], off, off offset:624
	v_add_f64 v[169:170], v[169:170], v[235:236]
	v_add_f64 v[229:230], v[229:230], v[233:234]
	v_fma_f64 v[235:236], v[4:5], v[34:35], v[237:238]
	v_fma_f64 v[237:238], v[2:3], v[34:35], -v[36:37]
	scratch_load_b128 v[34:37], off, off offset:640
	ds_load_b128 v[2:5], v1 offset:1392
	s_waitcnt vmcnt(9) lgkmcnt(1)
	v_mul_f64 v[231:232], v[172:173], v[178:179]
	v_mul_f64 v[233:234], v[174:175], v[178:179]
	v_add_f64 v[169:170], v[169:170], v[180:181]
	v_add_f64 v[182:183], v[229:230], v[182:183]
	ds_load_b128 v[178:181], v1 offset:1408
	v_fma_f64 v[231:232], v[174:175], v[176:177], v[231:232]
	v_fma_f64 v[176:177], v[172:173], v[176:177], -v[233:234]
	scratch_load_b128 v[172:175], off, off offset:656
	s_waitcnt vmcnt(9) lgkmcnt(1)
	v_mul_f64 v[229:230], v[2:3], v[40:41]
	v_mul_f64 v[40:41], v[4:5], v[40:41]
	v_add_f64 v[169:170], v[169:170], v[237:238]
	v_add_f64 v[182:183], v[182:183], v[235:236]
	s_delay_alu instid0(VALU_DEP_4) | instskip(NEXT) | instid1(VALU_DEP_4)
	v_fma_f64 v[235:236], v[4:5], v[38:39], v[229:230]
	v_fma_f64 v[237:238], v[2:3], v[38:39], -v[40:41]
	scratch_load_b128 v[38:41], off, off offset:672
	ds_load_b128 v[2:5], v1 offset:1424
	s_waitcnt vmcnt(9) lgkmcnt(1)
	v_mul_f64 v[233:234], v[178:179], v[8:9]
	v_mul_f64 v[8:9], v[180:181], v[8:9]
	v_add_f64 v[169:170], v[169:170], v[176:177]
	v_add_f64 v[176:177], v[182:183], v[231:232]
	s_waitcnt vmcnt(8) lgkmcnt(0)
	v_mul_f64 v[182:183], v[2:3], v[12:13]
	v_mul_f64 v[12:13], v[4:5], v[12:13]
	ds_load_b128 v[229:232], v1 offset:1440
	v_fma_f64 v[180:181], v[180:181], v[6:7], v[233:234]
	v_fma_f64 v[178:179], v[178:179], v[6:7], -v[8:9]
	scratch_load_b128 v[6:9], off, off offset:688
	v_add_f64 v[169:170], v[169:170], v[237:238]
	v_add_f64 v[176:177], v[176:177], v[235:236]
	v_fma_f64 v[182:183], v[4:5], v[10:11], v[182:183]
	v_fma_f64 v[235:236], v[2:3], v[10:11], -v[12:13]
	scratch_load_b128 v[10:13], off, off offset:704
	ds_load_b128 v[2:5], v1 offset:1456
	s_waitcnt vmcnt(9) lgkmcnt(1)
	v_mul_f64 v[233:234], v[229:230], v[16:17]
	v_mul_f64 v[16:17], v[231:232], v[16:17]
	s_waitcnt vmcnt(8) lgkmcnt(0)
	v_mul_f64 v[237:238], v[2:3], v[20:21]
	v_mul_f64 v[20:21], v[4:5], v[20:21]
	v_add_f64 v[169:170], v[169:170], v[178:179]
	v_add_f64 v[180:181], v[176:177], v[180:181]
	ds_load_b128 v[176:179], v1 offset:1472
	v_fma_f64 v[231:232], v[231:232], v[14:15], v[233:234]
	v_fma_f64 v[229:230], v[229:230], v[14:15], -v[16:17]
	scratch_load_b128 v[14:17], off, off offset:720
	v_add_f64 v[169:170], v[169:170], v[235:236]
	v_add_f64 v[180:181], v[180:181], v[182:183]
	v_fma_f64 v[235:236], v[4:5], v[18:19], v[237:238]
	v_fma_f64 v[237:238], v[2:3], v[18:19], -v[20:21]
	scratch_load_b128 v[18:21], off, off offset:736
	ds_load_b128 v[2:5], v1 offset:1488
	s_waitcnt vmcnt(9) lgkmcnt(1)
	v_mul_f64 v[233:234], v[176:177], v[24:25]
	v_mul_f64 v[24:25], v[178:179], v[24:25]
	v_add_f64 v[169:170], v[169:170], v[229:230]
	v_add_f64 v[229:230], v[180:181], v[231:232]
	s_waitcnt vmcnt(8) lgkmcnt(0)
	v_mul_f64 v[231:232], v[2:3], v[28:29]
	v_mul_f64 v[28:29], v[4:5], v[28:29]
	ds_load_b128 v[180:183], v1 offset:1504
	v_fma_f64 v[178:179], v[178:179], v[22:23], v[233:234]
	v_fma_f64 v[176:177], v[176:177], v[22:23], -v[24:25]
	scratch_load_b128 v[22:25], off, off offset:752
	v_add_f64 v[169:170], v[169:170], v[237:238]
	v_add_f64 v[229:230], v[229:230], v[235:236]
	v_fma_f64 v[231:232], v[4:5], v[26:27], v[231:232]
	v_fma_f64 v[235:236], v[2:3], v[26:27], -v[28:29]
	scratch_load_b128 v[26:29], off, off offset:768
	ds_load_b128 v[2:5], v1 offset:1520
	s_waitcnt vmcnt(9) lgkmcnt(1)
	v_mul_f64 v[233:234], v[180:181], v[32:33]
	v_mul_f64 v[32:33], v[182:183], v[32:33]
	s_waitcnt vmcnt(8) lgkmcnt(0)
	v_mul_f64 v[237:238], v[2:3], v[36:37]
	v_mul_f64 v[36:37], v[4:5], v[36:37]
	v_add_f64 v[169:170], v[169:170], v[176:177]
	v_add_f64 v[229:230], v[229:230], v[178:179]
	ds_load_b128 v[176:179], v1 offset:1536
	v_fma_f64 v[182:183], v[182:183], v[30:31], v[233:234]
	v_fma_f64 v[180:181], v[180:181], v[30:31], -v[32:33]
	scratch_load_b128 v[30:33], off, off offset:784
	v_fma_f64 v[233:234], v[4:5], v[34:35], v[237:238]
	v_add_f64 v[169:170], v[169:170], v[235:236]
	v_add_f64 v[229:230], v[229:230], v[231:232]
	v_fma_f64 v[235:236], v[2:3], v[34:35], -v[36:37]
	scratch_load_b128 v[34:37], off, off offset:800
	ds_load_b128 v[2:5], v1 offset:1552
	s_waitcnt vmcnt(9) lgkmcnt(1)
	v_mul_f64 v[231:232], v[176:177], v[174:175]
	v_mul_f64 v[174:175], v[178:179], v[174:175]
	s_waitcnt vmcnt(8) lgkmcnt(0)
	v_mul_f64 v[237:238], v[2:3], v[40:41]
	v_mul_f64 v[40:41], v[4:5], v[40:41]
	v_add_f64 v[169:170], v[169:170], v[180:181]
	v_add_f64 v[229:230], v[229:230], v[182:183]
	ds_load_b128 v[180:183], v1 offset:1568
	v_fma_f64 v[178:179], v[178:179], v[172:173], v[231:232]
	v_fma_f64 v[176:177], v[176:177], v[172:173], -v[174:175]
	scratch_load_b128 v[172:175], off, off offset:816
	v_add_f64 v[169:170], v[169:170], v[235:236]
	v_add_f64 v[229:230], v[229:230], v[233:234]
	v_fma_f64 v[233:234], v[4:5], v[38:39], v[237:238]
	v_fma_f64 v[235:236], v[2:3], v[38:39], -v[40:41]
	scratch_load_b128 v[38:41], off, off offset:832
	ds_load_b128 v[2:5], v1 offset:1584
	s_waitcnt vmcnt(9) lgkmcnt(1)
	v_mul_f64 v[231:232], v[180:181], v[8:9]
	v_mul_f64 v[8:9], v[182:183], v[8:9]
	s_waitcnt vmcnt(8) lgkmcnt(0)
	v_mul_f64 v[237:238], v[2:3], v[12:13]
	v_mul_f64 v[12:13], v[4:5], v[12:13]
	v_add_f64 v[169:170], v[169:170], v[176:177]
	v_add_f64 v[229:230], v[229:230], v[178:179]
	ds_load_b128 v[176:179], v1 offset:1600
	v_fma_f64 v[182:183], v[182:183], v[6:7], v[231:232]
	v_fma_f64 v[180:181], v[180:181], v[6:7], -v[8:9]
	scratch_load_b128 v[6:9], off, off offset:848
	v_add_f64 v[169:170], v[169:170], v[235:236]
	v_add_f64 v[229:230], v[229:230], v[233:234]
	v_fma_f64 v[233:234], v[4:5], v[10:11], v[237:238]
	v_fma_f64 v[235:236], v[2:3], v[10:11], -v[12:13]
	scratch_load_b128 v[10:13], off, off offset:864
	ds_load_b128 v[2:5], v1 offset:1616
	s_waitcnt vmcnt(9) lgkmcnt(1)
	v_mul_f64 v[231:232], v[176:177], v[16:17]
	v_mul_f64 v[16:17], v[178:179], v[16:17]
	s_waitcnt vmcnt(8) lgkmcnt(0)
	v_mul_f64 v[237:238], v[2:3], v[20:21]
	v_mul_f64 v[20:21], v[4:5], v[20:21]
	v_add_f64 v[169:170], v[169:170], v[180:181]
	v_add_f64 v[229:230], v[229:230], v[182:183]
	ds_load_b128 v[180:183], v1 offset:1632
	v_fma_f64 v[178:179], v[178:179], v[14:15], v[231:232]
	v_fma_f64 v[14:15], v[176:177], v[14:15], -v[16:17]
	s_waitcnt vmcnt(7) lgkmcnt(0)
	v_mul_f64 v[176:177], v[180:181], v[24:25]
	v_mul_f64 v[24:25], v[182:183], v[24:25]
	v_add_f64 v[16:17], v[169:170], v[235:236]
	v_add_f64 v[169:170], v[229:230], v[233:234]
	v_fma_f64 v[229:230], v[4:5], v[18:19], v[237:238]
	v_fma_f64 v[18:19], v[2:3], v[18:19], -v[20:21]
	v_fma_f64 v[176:177], v[182:183], v[22:23], v[176:177]
	v_fma_f64 v[22:23], v[180:181], v[22:23], -v[24:25]
	v_add_f64 v[20:21], v[16:17], v[14:15]
	v_add_f64 v[169:170], v[169:170], v[178:179]
	ds_load_b128 v[2:5], v1 offset:1648
	ds_load_b128 v[14:17], v1 offset:1664
	s_waitcnt vmcnt(6) lgkmcnt(1)
	v_mul_f64 v[178:179], v[2:3], v[28:29]
	v_mul_f64 v[28:29], v[4:5], v[28:29]
	s_waitcnt vmcnt(5) lgkmcnt(0)
	v_mul_f64 v[24:25], v[14:15], v[32:33]
	v_mul_f64 v[32:33], v[16:17], v[32:33]
	v_add_f64 v[18:19], v[20:21], v[18:19]
	v_add_f64 v[20:21], v[169:170], v[229:230]
	v_fma_f64 v[169:170], v[4:5], v[26:27], v[178:179]
	v_fma_f64 v[26:27], v[2:3], v[26:27], -v[28:29]
	v_fma_f64 v[16:17], v[16:17], v[30:31], v[24:25]
	v_fma_f64 v[14:15], v[14:15], v[30:31], -v[32:33]
	v_add_f64 v[22:23], v[18:19], v[22:23]
	v_add_f64 v[28:29], v[20:21], v[176:177]
	ds_load_b128 v[2:5], v1 offset:1680
	ds_load_b128 v[18:21], v1 offset:1696
	s_waitcnt vmcnt(4) lgkmcnt(1)
	v_mul_f64 v[176:177], v[2:3], v[36:37]
	v_mul_f64 v[36:37], v[4:5], v[36:37]
	v_add_f64 v[22:23], v[22:23], v[26:27]
	v_add_f64 v[24:25], v[28:29], v[169:170]
	s_waitcnt vmcnt(3) lgkmcnt(0)
	v_mul_f64 v[26:27], v[18:19], v[174:175]
	v_mul_f64 v[28:29], v[20:21], v[174:175]
	v_fma_f64 v[30:31], v[4:5], v[34:35], v[176:177]
	v_fma_f64 v[32:33], v[2:3], v[34:35], -v[36:37]
	v_add_f64 v[22:23], v[22:23], v[14:15]
	v_add_f64 v[24:25], v[24:25], v[16:17]
	ds_load_b128 v[2:5], v1 offset:1712
	ds_load_b128 v[14:17], v1 offset:1728
	v_fma_f64 v[20:21], v[20:21], v[172:173], v[26:27]
	v_fma_f64 v[18:19], v[18:19], v[172:173], -v[28:29]
	s_waitcnt vmcnt(2) lgkmcnt(1)
	v_mul_f64 v[34:35], v[2:3], v[40:41]
	v_mul_f64 v[36:37], v[4:5], v[40:41]
	s_waitcnt vmcnt(1) lgkmcnt(0)
	v_mul_f64 v[26:27], v[14:15], v[8:9]
	v_mul_f64 v[8:9], v[16:17], v[8:9]
	v_add_f64 v[22:23], v[22:23], v[32:33]
	v_add_f64 v[24:25], v[24:25], v[30:31]
	v_fma_f64 v[28:29], v[4:5], v[38:39], v[34:35]
	v_fma_f64 v[30:31], v[2:3], v[38:39], -v[36:37]
	ds_load_b128 v[2:5], v1 offset:1744
	v_fma_f64 v[16:17], v[16:17], v[6:7], v[26:27]
	v_fma_f64 v[6:7], v[14:15], v[6:7], -v[8:9]
	v_add_f64 v[18:19], v[22:23], v[18:19]
	v_add_f64 v[20:21], v[24:25], v[20:21]
	s_waitcnt vmcnt(0) lgkmcnt(0)
	v_mul_f64 v[22:23], v[2:3], v[12:13]
	v_mul_f64 v[12:13], v[4:5], v[12:13]
	s_delay_alu instid0(VALU_DEP_4) | instskip(NEXT) | instid1(VALU_DEP_4)
	v_add_f64 v[8:9], v[18:19], v[30:31]
	v_add_f64 v[14:15], v[20:21], v[28:29]
	s_delay_alu instid0(VALU_DEP_4) | instskip(NEXT) | instid1(VALU_DEP_4)
	v_fma_f64 v[4:5], v[4:5], v[10:11], v[22:23]
	v_fma_f64 v[2:3], v[2:3], v[10:11], -v[12:13]
	s_delay_alu instid0(VALU_DEP_4) | instskip(NEXT) | instid1(VALU_DEP_4)
	v_add_f64 v[6:7], v[8:9], v[6:7]
	v_add_f64 v[8:9], v[14:15], v[16:17]
	s_delay_alu instid0(VALU_DEP_2) | instskip(NEXT) | instid1(VALU_DEP_2)
	v_add_f64 v[2:3], v[6:7], v[2:3]
	v_add_f64 v[4:5], v[8:9], v[4:5]
	s_delay_alu instid0(VALU_DEP_2) | instskip(NEXT) | instid1(VALU_DEP_2)
	v_add_f64 v[2:3], v[42:43], -v[2:3]
	v_add_f64 v[4:5], v[44:45], -v[4:5]
	scratch_store_b128 off, v[2:5], off offset:336
	v_cmpx_lt_u32_e32 20, v156
	s_cbranch_execz .LBB118_303
; %bb.302:
	scratch_load_b128 v[5:8], v191, off
	v_mov_b32_e32 v2, v1
	v_mov_b32_e32 v3, v1
	;; [unrolled: 1-line block ×3, first 2 shown]
	scratch_store_b128 off, v[1:4], off offset:320
	s_waitcnt vmcnt(0)
	ds_store_b128 v211, v[5:8]
.LBB118_303:
	s_or_b32 exec_lo, exec_lo, s2
	s_waitcnt lgkmcnt(0)
	s_waitcnt_vscnt null, 0x0
	s_barrier
	buffer_gl0_inv
	s_clause 0x8
	scratch_load_b128 v[2:5], off, off offset:336
	scratch_load_b128 v[6:9], off, off offset:352
	;; [unrolled: 1-line block ×9, first 2 shown]
	ds_load_b128 v[42:45], v1 offset:1216
	ds_load_b128 v[38:41], v1 offset:1232
	s_clause 0x1
	scratch_load_b128 v[172:175], off, off offset:320
	scratch_load_b128 v[176:179], off, off offset:480
	s_mov_b32 s2, exec_lo
	ds_load_b128 v[180:183], v1 offset:1264
	s_waitcnt vmcnt(10) lgkmcnt(2)
	v_mul_f64 v[169:170], v[44:45], v[4:5]
	v_mul_f64 v[4:5], v[42:43], v[4:5]
	s_waitcnt vmcnt(9) lgkmcnt(1)
	v_mul_f64 v[229:230], v[38:39], v[8:9]
	v_mul_f64 v[8:9], v[40:41], v[8:9]
	s_delay_alu instid0(VALU_DEP_4) | instskip(NEXT) | instid1(VALU_DEP_4)
	v_fma_f64 v[169:170], v[42:43], v[2:3], -v[169:170]
	v_fma_f64 v[231:232], v[44:45], v[2:3], v[4:5]
	ds_load_b128 v[2:5], v1 offset:1248
	scratch_load_b128 v[42:45], off, off offset:496
	v_fma_f64 v[40:41], v[40:41], v[6:7], v[229:230]
	v_fma_f64 v[38:39], v[38:39], v[6:7], -v[8:9]
	scratch_load_b128 v[6:9], off, off offset:512
	s_waitcnt vmcnt(10) lgkmcnt(0)
	v_mul_f64 v[233:234], v[2:3], v[12:13]
	v_mul_f64 v[12:13], v[4:5], v[12:13]
	v_add_f64 v[169:170], v[169:170], 0
	v_add_f64 v[229:230], v[231:232], 0
	s_waitcnt vmcnt(9)
	v_mul_f64 v[231:232], v[180:181], v[16:17]
	v_mul_f64 v[16:17], v[182:183], v[16:17]
	v_fma_f64 v[233:234], v[4:5], v[10:11], v[233:234]
	v_fma_f64 v[235:236], v[2:3], v[10:11], -v[12:13]
	ds_load_b128 v[2:5], v1 offset:1280
	scratch_load_b128 v[10:13], off, off offset:528
	v_add_f64 v[169:170], v[169:170], v[38:39]
	v_add_f64 v[229:230], v[229:230], v[40:41]
	ds_load_b128 v[38:41], v1 offset:1296
	v_fma_f64 v[182:183], v[182:183], v[14:15], v[231:232]
	v_fma_f64 v[180:181], v[180:181], v[14:15], -v[16:17]
	scratch_load_b128 v[14:17], off, off offset:544
	s_waitcnt vmcnt(10) lgkmcnt(1)
	v_mul_f64 v[237:238], v[2:3], v[20:21]
	v_mul_f64 v[20:21], v[4:5], v[20:21]
	s_waitcnt vmcnt(9) lgkmcnt(0)
	v_mul_f64 v[231:232], v[38:39], v[24:25]
	v_mul_f64 v[24:25], v[40:41], v[24:25]
	v_add_f64 v[169:170], v[169:170], v[235:236]
	v_add_f64 v[229:230], v[229:230], v[233:234]
	v_fma_f64 v[233:234], v[4:5], v[18:19], v[237:238]
	v_fma_f64 v[235:236], v[2:3], v[18:19], -v[20:21]
	ds_load_b128 v[2:5], v1 offset:1312
	scratch_load_b128 v[18:21], off, off offset:560
	v_fma_f64 v[40:41], v[40:41], v[22:23], v[231:232]
	v_fma_f64 v[38:39], v[38:39], v[22:23], -v[24:25]
	scratch_load_b128 v[22:25], off, off offset:576
	v_add_f64 v[169:170], v[169:170], v[180:181]
	v_add_f64 v[229:230], v[229:230], v[182:183]
	ds_load_b128 v[180:183], v1 offset:1328
	s_waitcnt vmcnt(10) lgkmcnt(1)
	v_mul_f64 v[237:238], v[2:3], v[28:29]
	v_mul_f64 v[28:29], v[4:5], v[28:29]
	s_waitcnt vmcnt(9) lgkmcnt(0)
	v_mul_f64 v[231:232], v[180:181], v[32:33]
	v_mul_f64 v[32:33], v[182:183], v[32:33]
	v_add_f64 v[169:170], v[169:170], v[235:236]
	v_add_f64 v[229:230], v[229:230], v[233:234]
	v_fma_f64 v[233:234], v[4:5], v[26:27], v[237:238]
	v_fma_f64 v[235:236], v[2:3], v[26:27], -v[28:29]
	ds_load_b128 v[2:5], v1 offset:1344
	scratch_load_b128 v[26:29], off, off offset:592
	v_fma_f64 v[182:183], v[182:183], v[30:31], v[231:232]
	v_fma_f64 v[180:181], v[180:181], v[30:31], -v[32:33]
	scratch_load_b128 v[30:33], off, off offset:608
	v_add_f64 v[169:170], v[169:170], v[38:39]
	v_add_f64 v[229:230], v[229:230], v[40:41]
	ds_load_b128 v[38:41], v1 offset:1360
	s_waitcnt vmcnt(10) lgkmcnt(1)
	v_mul_f64 v[237:238], v[2:3], v[36:37]
	v_mul_f64 v[36:37], v[4:5], v[36:37]
	s_waitcnt vmcnt(8) lgkmcnt(0)
	v_mul_f64 v[231:232], v[38:39], v[178:179]
	v_add_f64 v[169:170], v[169:170], v[235:236]
	v_add_f64 v[229:230], v[229:230], v[233:234]
	v_mul_f64 v[233:234], v[40:41], v[178:179]
	v_fma_f64 v[235:236], v[4:5], v[34:35], v[237:238]
	v_fma_f64 v[237:238], v[2:3], v[34:35], -v[36:37]
	ds_load_b128 v[2:5], v1 offset:1376
	scratch_load_b128 v[34:37], off, off offset:624
	v_fma_f64 v[231:232], v[40:41], v[176:177], v[231:232]
	v_add_f64 v[169:170], v[169:170], v[180:181]
	v_add_f64 v[182:183], v[229:230], v[182:183]
	ds_load_b128 v[178:181], v1 offset:1392
	v_fma_f64 v[176:177], v[38:39], v[176:177], -v[233:234]
	scratch_load_b128 v[38:41], off, off offset:640
	s_waitcnt vmcnt(9) lgkmcnt(1)
	v_mul_f64 v[229:230], v[2:3], v[44:45]
	v_mul_f64 v[44:45], v[4:5], v[44:45]
	s_waitcnt vmcnt(8) lgkmcnt(0)
	v_mul_f64 v[233:234], v[178:179], v[8:9]
	v_mul_f64 v[8:9], v[180:181], v[8:9]
	v_add_f64 v[169:170], v[169:170], v[237:238]
	v_add_f64 v[182:183], v[182:183], v[235:236]
	v_fma_f64 v[235:236], v[4:5], v[42:43], v[229:230]
	v_fma_f64 v[237:238], v[2:3], v[42:43], -v[44:45]
	ds_load_b128 v[2:5], v1 offset:1408
	scratch_load_b128 v[42:45], off, off offset:656
	v_fma_f64 v[180:181], v[180:181], v[6:7], v[233:234]
	v_fma_f64 v[178:179], v[178:179], v[6:7], -v[8:9]
	scratch_load_b128 v[6:9], off, off offset:672
	v_add_f64 v[169:170], v[169:170], v[176:177]
	v_add_f64 v[176:177], v[182:183], v[231:232]
	ds_load_b128 v[229:232], v1 offset:1424
	s_waitcnt vmcnt(9) lgkmcnt(1)
	v_mul_f64 v[182:183], v[2:3], v[12:13]
	v_mul_f64 v[12:13], v[4:5], v[12:13]
	s_waitcnt vmcnt(8) lgkmcnt(0)
	v_mul_f64 v[233:234], v[229:230], v[16:17]
	v_mul_f64 v[16:17], v[231:232], v[16:17]
	v_add_f64 v[169:170], v[169:170], v[237:238]
	v_add_f64 v[176:177], v[176:177], v[235:236]
	v_fma_f64 v[182:183], v[4:5], v[10:11], v[182:183]
	v_fma_f64 v[235:236], v[2:3], v[10:11], -v[12:13]
	ds_load_b128 v[2:5], v1 offset:1440
	scratch_load_b128 v[10:13], off, off offset:688
	v_fma_f64 v[231:232], v[231:232], v[14:15], v[233:234]
	v_fma_f64 v[229:230], v[229:230], v[14:15], -v[16:17]
	scratch_load_b128 v[14:17], off, off offset:704
	v_add_f64 v[169:170], v[169:170], v[178:179]
	v_add_f64 v[180:181], v[176:177], v[180:181]
	ds_load_b128 v[176:179], v1 offset:1456
	;; [unrolled: 18-line block ×4, first 2 shown]
	s_waitcnt vmcnt(9) lgkmcnt(1)
	v_mul_f64 v[237:238], v[2:3], v[36:37]
	v_mul_f64 v[36:37], v[4:5], v[36:37]
	v_add_f64 v[169:170], v[169:170], v[235:236]
	v_add_f64 v[229:230], v[229:230], v[231:232]
	s_waitcnt vmcnt(8) lgkmcnt(0)
	v_mul_f64 v[231:232], v[176:177], v[40:41]
	v_mul_f64 v[40:41], v[178:179], v[40:41]
	v_fma_f64 v[233:234], v[4:5], v[34:35], v[237:238]
	v_fma_f64 v[235:236], v[2:3], v[34:35], -v[36:37]
	ds_load_b128 v[2:5], v1 offset:1536
	scratch_load_b128 v[34:37], off, off offset:784
	v_add_f64 v[169:170], v[169:170], v[180:181]
	v_add_f64 v[229:230], v[229:230], v[182:183]
	ds_load_b128 v[180:183], v1 offset:1552
	s_waitcnt vmcnt(8) lgkmcnt(1)
	v_mul_f64 v[237:238], v[2:3], v[44:45]
	v_mul_f64 v[44:45], v[4:5], v[44:45]
	v_fma_f64 v[178:179], v[178:179], v[38:39], v[231:232]
	v_fma_f64 v[176:177], v[176:177], v[38:39], -v[40:41]
	scratch_load_b128 v[38:41], off, off offset:800
	s_waitcnt vmcnt(8) lgkmcnt(0)
	v_mul_f64 v[231:232], v[180:181], v[8:9]
	v_mul_f64 v[8:9], v[182:183], v[8:9]
	v_add_f64 v[169:170], v[169:170], v[235:236]
	v_add_f64 v[229:230], v[229:230], v[233:234]
	v_fma_f64 v[233:234], v[4:5], v[42:43], v[237:238]
	v_fma_f64 v[235:236], v[2:3], v[42:43], -v[44:45]
	ds_load_b128 v[2:5], v1 offset:1568
	scratch_load_b128 v[42:45], off, off offset:816
	v_fma_f64 v[182:183], v[182:183], v[6:7], v[231:232]
	v_fma_f64 v[180:181], v[180:181], v[6:7], -v[8:9]
	scratch_load_b128 v[6:9], off, off offset:832
	v_add_f64 v[169:170], v[169:170], v[176:177]
	v_add_f64 v[229:230], v[229:230], v[178:179]
	ds_load_b128 v[176:179], v1 offset:1584
	s_waitcnt vmcnt(9) lgkmcnt(1)
	v_mul_f64 v[237:238], v[2:3], v[12:13]
	v_mul_f64 v[12:13], v[4:5], v[12:13]
	s_waitcnt vmcnt(8) lgkmcnt(0)
	v_mul_f64 v[231:232], v[176:177], v[16:17]
	v_mul_f64 v[16:17], v[178:179], v[16:17]
	v_add_f64 v[169:170], v[169:170], v[235:236]
	v_add_f64 v[229:230], v[229:230], v[233:234]
	v_fma_f64 v[233:234], v[4:5], v[10:11], v[237:238]
	v_fma_f64 v[235:236], v[2:3], v[10:11], -v[12:13]
	ds_load_b128 v[2:5], v1 offset:1600
	scratch_load_b128 v[10:13], off, off offset:848
	v_fma_f64 v[178:179], v[178:179], v[14:15], v[231:232]
	v_fma_f64 v[176:177], v[176:177], v[14:15], -v[16:17]
	scratch_load_b128 v[14:17], off, off offset:864
	v_add_f64 v[169:170], v[169:170], v[180:181]
	v_add_f64 v[229:230], v[229:230], v[182:183]
	ds_load_b128 v[180:183], v1 offset:1616
	s_waitcnt vmcnt(9) lgkmcnt(1)
	v_mul_f64 v[237:238], v[2:3], v[20:21]
	v_mul_f64 v[20:21], v[4:5], v[20:21]
	s_waitcnt vmcnt(8) lgkmcnt(0)
	v_mul_f64 v[231:232], v[180:181], v[24:25]
	v_mul_f64 v[24:25], v[182:183], v[24:25]
	v_add_f64 v[169:170], v[169:170], v[235:236]
	v_add_f64 v[229:230], v[229:230], v[233:234]
	v_fma_f64 v[233:234], v[4:5], v[18:19], v[237:238]
	v_fma_f64 v[235:236], v[2:3], v[18:19], -v[20:21]
	ds_load_b128 v[2:5], v1 offset:1632
	ds_load_b128 v[18:21], v1 offset:1648
	v_fma_f64 v[182:183], v[182:183], v[22:23], v[231:232]
	v_fma_f64 v[22:23], v[180:181], v[22:23], -v[24:25]
	v_add_f64 v[169:170], v[169:170], v[176:177]
	v_add_f64 v[176:177], v[229:230], v[178:179]
	s_waitcnt vmcnt(7) lgkmcnt(1)
	v_mul_f64 v[178:179], v[2:3], v[28:29]
	v_mul_f64 v[28:29], v[4:5], v[28:29]
	s_delay_alu instid0(VALU_DEP_4) | instskip(NEXT) | instid1(VALU_DEP_4)
	v_add_f64 v[24:25], v[169:170], v[235:236]
	v_add_f64 v[169:170], v[176:177], v[233:234]
	s_waitcnt vmcnt(6) lgkmcnt(0)
	v_mul_f64 v[176:177], v[18:19], v[32:33]
	v_mul_f64 v[32:33], v[20:21], v[32:33]
	v_fma_f64 v[178:179], v[4:5], v[26:27], v[178:179]
	v_fma_f64 v[26:27], v[2:3], v[26:27], -v[28:29]
	v_add_f64 v[28:29], v[24:25], v[22:23]
	v_add_f64 v[169:170], v[169:170], v[182:183]
	ds_load_b128 v[2:5], v1 offset:1664
	ds_load_b128 v[22:25], v1 offset:1680
	v_fma_f64 v[20:21], v[20:21], v[30:31], v[176:177]
	v_fma_f64 v[18:19], v[18:19], v[30:31], -v[32:33]
	s_waitcnt vmcnt(5) lgkmcnt(1)
	v_mul_f64 v[180:181], v[2:3], v[36:37]
	v_mul_f64 v[36:37], v[4:5], v[36:37]
	s_waitcnt vmcnt(4) lgkmcnt(0)
	v_mul_f64 v[30:31], v[22:23], v[40:41]
	v_mul_f64 v[32:33], v[24:25], v[40:41]
	v_add_f64 v[26:27], v[28:29], v[26:27]
	v_add_f64 v[28:29], v[169:170], v[178:179]
	v_fma_f64 v[40:41], v[4:5], v[34:35], v[180:181]
	v_fma_f64 v[34:35], v[2:3], v[34:35], -v[36:37]
	v_fma_f64 v[24:25], v[24:25], v[38:39], v[30:31]
	v_fma_f64 v[22:23], v[22:23], v[38:39], -v[32:33]
	v_add_f64 v[26:27], v[26:27], v[18:19]
	v_add_f64 v[28:29], v[28:29], v[20:21]
	ds_load_b128 v[2:5], v1 offset:1696
	ds_load_b128 v[18:21], v1 offset:1712
	s_waitcnt vmcnt(3) lgkmcnt(1)
	v_mul_f64 v[36:37], v[2:3], v[44:45]
	v_mul_f64 v[44:45], v[4:5], v[44:45]
	s_waitcnt vmcnt(2) lgkmcnt(0)
	v_mul_f64 v[30:31], v[18:19], v[8:9]
	v_mul_f64 v[8:9], v[20:21], v[8:9]
	v_add_f64 v[26:27], v[26:27], v[34:35]
	v_add_f64 v[28:29], v[28:29], v[40:41]
	v_fma_f64 v[32:33], v[4:5], v[42:43], v[36:37]
	v_fma_f64 v[34:35], v[2:3], v[42:43], -v[44:45]
	v_fma_f64 v[20:21], v[20:21], v[6:7], v[30:31]
	v_fma_f64 v[6:7], v[18:19], v[6:7], -v[8:9]
	v_add_f64 v[26:27], v[26:27], v[22:23]
	v_add_f64 v[28:29], v[28:29], v[24:25]
	ds_load_b128 v[2:5], v1 offset:1728
	ds_load_b128 v[22:25], v1 offset:1744
	s_waitcnt vmcnt(1) lgkmcnt(1)
	v_mul_f64 v[36:37], v[2:3], v[12:13]
	v_mul_f64 v[12:13], v[4:5], v[12:13]
	v_add_f64 v[8:9], v[26:27], v[34:35]
	v_add_f64 v[18:19], v[28:29], v[32:33]
	s_waitcnt vmcnt(0) lgkmcnt(0)
	v_mul_f64 v[26:27], v[22:23], v[16:17]
	v_mul_f64 v[16:17], v[24:25], v[16:17]
	v_fma_f64 v[4:5], v[4:5], v[10:11], v[36:37]
	v_fma_f64 v[1:2], v[2:3], v[10:11], -v[12:13]
	v_add_f64 v[6:7], v[8:9], v[6:7]
	v_add_f64 v[8:9], v[18:19], v[20:21]
	v_fma_f64 v[10:11], v[24:25], v[14:15], v[26:27]
	v_fma_f64 v[12:13], v[22:23], v[14:15], -v[16:17]
	s_delay_alu instid0(VALU_DEP_4) | instskip(NEXT) | instid1(VALU_DEP_4)
	v_add_f64 v[1:2], v[6:7], v[1:2]
	v_add_f64 v[3:4], v[8:9], v[4:5]
	s_delay_alu instid0(VALU_DEP_2) | instskip(NEXT) | instid1(VALU_DEP_2)
	v_add_f64 v[1:2], v[1:2], v[12:13]
	v_add_f64 v[3:4], v[3:4], v[10:11]
	s_delay_alu instid0(VALU_DEP_2) | instskip(NEXT) | instid1(VALU_DEP_2)
	v_add_f64 v[1:2], v[172:173], -v[1:2]
	v_add_f64 v[3:4], v[174:175], -v[3:4]
	scratch_store_b128 off, v[1:4], off offset:320
	v_cmpx_lt_u32_e32 19, v156
	s_cbranch_execz .LBB118_305
; %bb.304:
	scratch_load_b128 v[1:4], v192, off
	v_mov_b32_e32 v5, 0
	s_delay_alu instid0(VALU_DEP_1)
	v_mov_b32_e32 v6, v5
	v_mov_b32_e32 v7, v5
	;; [unrolled: 1-line block ×3, first 2 shown]
	scratch_store_b128 off, v[5:8], off offset:304
	s_waitcnt vmcnt(0)
	ds_store_b128 v211, v[1:4]
.LBB118_305:
	s_or_b32 exec_lo, exec_lo, s2
	s_waitcnt lgkmcnt(0)
	s_waitcnt_vscnt null, 0x0
	s_barrier
	buffer_gl0_inv
	s_clause 0x7
	scratch_load_b128 v[2:5], off, off offset:320
	scratch_load_b128 v[6:9], off, off offset:336
	;; [unrolled: 1-line block ×8, first 2 shown]
	v_mov_b32_e32 v1, 0
	s_mov_b32 s2, exec_lo
	ds_load_b128 v[38:41], v1 offset:1200
	s_clause 0x1
	scratch_load_b128 v[34:37], off, off offset:448
	scratch_load_b128 v[42:45], off, off offset:304
	ds_load_b128 v[172:175], v1 offset:1216
	scratch_load_b128 v[176:179], off, off offset:464
	ds_load_b128 v[180:183], v1 offset:1248
	s_waitcnt vmcnt(10) lgkmcnt(2)
	v_mul_f64 v[169:170], v[40:41], v[4:5]
	v_mul_f64 v[4:5], v[38:39], v[4:5]
	s_delay_alu instid0(VALU_DEP_2) | instskip(NEXT) | instid1(VALU_DEP_2)
	v_fma_f64 v[169:170], v[38:39], v[2:3], -v[169:170]
	v_fma_f64 v[231:232], v[40:41], v[2:3], v[4:5]
	ds_load_b128 v[2:5], v1 offset:1232
	s_waitcnt vmcnt(9) lgkmcnt(2)
	v_mul_f64 v[229:230], v[172:173], v[8:9]
	v_mul_f64 v[8:9], v[174:175], v[8:9]
	scratch_load_b128 v[38:41], off, off offset:480
	s_waitcnt vmcnt(9) lgkmcnt(0)
	v_mul_f64 v[233:234], v[2:3], v[12:13]
	v_mul_f64 v[12:13], v[4:5], v[12:13]
	v_add_f64 v[169:170], v[169:170], 0
	v_fma_f64 v[174:175], v[174:175], v[6:7], v[229:230]
	v_fma_f64 v[172:173], v[172:173], v[6:7], -v[8:9]
	v_add_f64 v[229:230], v[231:232], 0
	scratch_load_b128 v[6:9], off, off offset:496
	v_fma_f64 v[233:234], v[4:5], v[10:11], v[233:234]
	v_fma_f64 v[235:236], v[2:3], v[10:11], -v[12:13]
	scratch_load_b128 v[10:13], off, off offset:512
	ds_load_b128 v[2:5], v1 offset:1264
	s_waitcnt vmcnt(10)
	v_mul_f64 v[231:232], v[180:181], v[16:17]
	v_mul_f64 v[16:17], v[182:183], v[16:17]
	v_add_f64 v[169:170], v[169:170], v[172:173]
	v_add_f64 v[229:230], v[229:230], v[174:175]
	ds_load_b128 v[172:175], v1 offset:1280
	s_waitcnt vmcnt(9) lgkmcnt(1)
	v_mul_f64 v[237:238], v[2:3], v[20:21]
	v_mul_f64 v[20:21], v[4:5], v[20:21]
	v_fma_f64 v[182:183], v[182:183], v[14:15], v[231:232]
	v_fma_f64 v[180:181], v[180:181], v[14:15], -v[16:17]
	scratch_load_b128 v[14:17], off, off offset:528
	v_add_f64 v[169:170], v[169:170], v[235:236]
	v_add_f64 v[229:230], v[229:230], v[233:234]
	v_fma_f64 v[233:234], v[4:5], v[18:19], v[237:238]
	v_fma_f64 v[235:236], v[2:3], v[18:19], -v[20:21]
	scratch_load_b128 v[18:21], off, off offset:544
	ds_load_b128 v[2:5], v1 offset:1296
	s_waitcnt vmcnt(10) lgkmcnt(1)
	v_mul_f64 v[231:232], v[172:173], v[24:25]
	v_mul_f64 v[24:25], v[174:175], v[24:25]
	s_waitcnt vmcnt(9) lgkmcnt(0)
	v_mul_f64 v[237:238], v[2:3], v[28:29]
	v_mul_f64 v[28:29], v[4:5], v[28:29]
	v_add_f64 v[169:170], v[169:170], v[180:181]
	v_add_f64 v[229:230], v[229:230], v[182:183]
	ds_load_b128 v[180:183], v1 offset:1312
	v_fma_f64 v[174:175], v[174:175], v[22:23], v[231:232]
	v_fma_f64 v[172:173], v[172:173], v[22:23], -v[24:25]
	scratch_load_b128 v[22:25], off, off offset:560
	v_add_f64 v[169:170], v[169:170], v[235:236]
	v_add_f64 v[229:230], v[229:230], v[233:234]
	v_fma_f64 v[233:234], v[4:5], v[26:27], v[237:238]
	v_fma_f64 v[235:236], v[2:3], v[26:27], -v[28:29]
	scratch_load_b128 v[26:29], off, off offset:576
	ds_load_b128 v[2:5], v1 offset:1328
	s_waitcnt vmcnt(10) lgkmcnt(1)
	v_mul_f64 v[231:232], v[180:181], v[32:33]
	v_mul_f64 v[32:33], v[182:183], v[32:33]
	s_waitcnt vmcnt(9) lgkmcnt(0)
	v_mul_f64 v[237:238], v[2:3], v[36:37]
	v_mul_f64 v[36:37], v[4:5], v[36:37]
	v_add_f64 v[169:170], v[169:170], v[172:173]
	v_add_f64 v[229:230], v[229:230], v[174:175]
	ds_load_b128 v[172:175], v1 offset:1344
	v_fma_f64 v[182:183], v[182:183], v[30:31], v[231:232]
	v_fma_f64 v[180:181], v[180:181], v[30:31], -v[32:33]
	scratch_load_b128 v[30:33], off, off offset:592
	v_add_f64 v[169:170], v[169:170], v[235:236]
	v_add_f64 v[229:230], v[229:230], v[233:234]
	v_fma_f64 v[235:236], v[4:5], v[34:35], v[237:238]
	v_fma_f64 v[237:238], v[2:3], v[34:35], -v[36:37]
	scratch_load_b128 v[34:37], off, off offset:608
	ds_load_b128 v[2:5], v1 offset:1360
	s_waitcnt vmcnt(9) lgkmcnt(1)
	v_mul_f64 v[231:232], v[172:173], v[178:179]
	v_mul_f64 v[233:234], v[174:175], v[178:179]
	v_add_f64 v[169:170], v[169:170], v[180:181]
	v_add_f64 v[182:183], v[229:230], v[182:183]
	ds_load_b128 v[178:181], v1 offset:1376
	v_fma_f64 v[231:232], v[174:175], v[176:177], v[231:232]
	v_fma_f64 v[176:177], v[172:173], v[176:177], -v[233:234]
	scratch_load_b128 v[172:175], off, off offset:624
	s_waitcnt vmcnt(9) lgkmcnt(1)
	v_mul_f64 v[229:230], v[2:3], v[40:41]
	v_mul_f64 v[40:41], v[4:5], v[40:41]
	v_add_f64 v[169:170], v[169:170], v[237:238]
	v_add_f64 v[182:183], v[182:183], v[235:236]
	s_delay_alu instid0(VALU_DEP_4) | instskip(NEXT) | instid1(VALU_DEP_4)
	v_fma_f64 v[235:236], v[4:5], v[38:39], v[229:230]
	v_fma_f64 v[237:238], v[2:3], v[38:39], -v[40:41]
	scratch_load_b128 v[38:41], off, off offset:640
	ds_load_b128 v[2:5], v1 offset:1392
	s_waitcnt vmcnt(9) lgkmcnt(1)
	v_mul_f64 v[233:234], v[178:179], v[8:9]
	v_mul_f64 v[8:9], v[180:181], v[8:9]
	v_add_f64 v[169:170], v[169:170], v[176:177]
	v_add_f64 v[176:177], v[182:183], v[231:232]
	s_waitcnt vmcnt(8) lgkmcnt(0)
	v_mul_f64 v[182:183], v[2:3], v[12:13]
	v_mul_f64 v[12:13], v[4:5], v[12:13]
	ds_load_b128 v[229:232], v1 offset:1408
	v_fma_f64 v[180:181], v[180:181], v[6:7], v[233:234]
	v_fma_f64 v[178:179], v[178:179], v[6:7], -v[8:9]
	scratch_load_b128 v[6:9], off, off offset:656
	v_add_f64 v[169:170], v[169:170], v[237:238]
	v_add_f64 v[176:177], v[176:177], v[235:236]
	v_fma_f64 v[182:183], v[4:5], v[10:11], v[182:183]
	v_fma_f64 v[235:236], v[2:3], v[10:11], -v[12:13]
	scratch_load_b128 v[10:13], off, off offset:672
	ds_load_b128 v[2:5], v1 offset:1424
	s_waitcnt vmcnt(9) lgkmcnt(1)
	v_mul_f64 v[233:234], v[229:230], v[16:17]
	v_mul_f64 v[16:17], v[231:232], v[16:17]
	s_waitcnt vmcnt(8) lgkmcnt(0)
	v_mul_f64 v[237:238], v[2:3], v[20:21]
	v_mul_f64 v[20:21], v[4:5], v[20:21]
	v_add_f64 v[169:170], v[169:170], v[178:179]
	v_add_f64 v[180:181], v[176:177], v[180:181]
	ds_load_b128 v[176:179], v1 offset:1440
	v_fma_f64 v[231:232], v[231:232], v[14:15], v[233:234]
	v_fma_f64 v[229:230], v[229:230], v[14:15], -v[16:17]
	scratch_load_b128 v[14:17], off, off offset:688
	v_add_f64 v[169:170], v[169:170], v[235:236]
	v_add_f64 v[180:181], v[180:181], v[182:183]
	v_fma_f64 v[235:236], v[4:5], v[18:19], v[237:238]
	v_fma_f64 v[237:238], v[2:3], v[18:19], -v[20:21]
	scratch_load_b128 v[18:21], off, off offset:704
	ds_load_b128 v[2:5], v1 offset:1456
	s_waitcnt vmcnt(9) lgkmcnt(1)
	v_mul_f64 v[233:234], v[176:177], v[24:25]
	v_mul_f64 v[24:25], v[178:179], v[24:25]
	v_add_f64 v[169:170], v[169:170], v[229:230]
	v_add_f64 v[229:230], v[180:181], v[231:232]
	s_waitcnt vmcnt(8) lgkmcnt(0)
	v_mul_f64 v[231:232], v[2:3], v[28:29]
	v_mul_f64 v[28:29], v[4:5], v[28:29]
	ds_load_b128 v[180:183], v1 offset:1472
	v_fma_f64 v[178:179], v[178:179], v[22:23], v[233:234]
	v_fma_f64 v[176:177], v[176:177], v[22:23], -v[24:25]
	scratch_load_b128 v[22:25], off, off offset:720
	v_add_f64 v[169:170], v[169:170], v[237:238]
	v_add_f64 v[229:230], v[229:230], v[235:236]
	v_fma_f64 v[231:232], v[4:5], v[26:27], v[231:232]
	v_fma_f64 v[235:236], v[2:3], v[26:27], -v[28:29]
	scratch_load_b128 v[26:29], off, off offset:736
	ds_load_b128 v[2:5], v1 offset:1488
	s_waitcnt vmcnt(9) lgkmcnt(1)
	v_mul_f64 v[233:234], v[180:181], v[32:33]
	v_mul_f64 v[32:33], v[182:183], v[32:33]
	s_waitcnt vmcnt(8) lgkmcnt(0)
	v_mul_f64 v[237:238], v[2:3], v[36:37]
	v_mul_f64 v[36:37], v[4:5], v[36:37]
	v_add_f64 v[169:170], v[169:170], v[176:177]
	v_add_f64 v[229:230], v[229:230], v[178:179]
	ds_load_b128 v[176:179], v1 offset:1504
	v_fma_f64 v[182:183], v[182:183], v[30:31], v[233:234]
	v_fma_f64 v[180:181], v[180:181], v[30:31], -v[32:33]
	scratch_load_b128 v[30:33], off, off offset:752
	v_fma_f64 v[233:234], v[4:5], v[34:35], v[237:238]
	v_add_f64 v[169:170], v[169:170], v[235:236]
	v_add_f64 v[229:230], v[229:230], v[231:232]
	v_fma_f64 v[235:236], v[2:3], v[34:35], -v[36:37]
	scratch_load_b128 v[34:37], off, off offset:768
	ds_load_b128 v[2:5], v1 offset:1520
	s_waitcnt vmcnt(9) lgkmcnt(1)
	v_mul_f64 v[231:232], v[176:177], v[174:175]
	v_mul_f64 v[174:175], v[178:179], v[174:175]
	s_waitcnt vmcnt(8) lgkmcnt(0)
	v_mul_f64 v[237:238], v[2:3], v[40:41]
	v_mul_f64 v[40:41], v[4:5], v[40:41]
	v_add_f64 v[169:170], v[169:170], v[180:181]
	v_add_f64 v[229:230], v[229:230], v[182:183]
	ds_load_b128 v[180:183], v1 offset:1536
	v_fma_f64 v[178:179], v[178:179], v[172:173], v[231:232]
	v_fma_f64 v[176:177], v[176:177], v[172:173], -v[174:175]
	scratch_load_b128 v[172:175], off, off offset:784
	v_add_f64 v[169:170], v[169:170], v[235:236]
	v_add_f64 v[229:230], v[229:230], v[233:234]
	v_fma_f64 v[233:234], v[4:5], v[38:39], v[237:238]
	v_fma_f64 v[235:236], v[2:3], v[38:39], -v[40:41]
	scratch_load_b128 v[38:41], off, off offset:800
	ds_load_b128 v[2:5], v1 offset:1552
	s_waitcnt vmcnt(9) lgkmcnt(1)
	v_mul_f64 v[231:232], v[180:181], v[8:9]
	v_mul_f64 v[8:9], v[182:183], v[8:9]
	s_waitcnt vmcnt(8) lgkmcnt(0)
	v_mul_f64 v[237:238], v[2:3], v[12:13]
	v_mul_f64 v[12:13], v[4:5], v[12:13]
	v_add_f64 v[169:170], v[169:170], v[176:177]
	v_add_f64 v[229:230], v[229:230], v[178:179]
	ds_load_b128 v[176:179], v1 offset:1568
	v_fma_f64 v[182:183], v[182:183], v[6:7], v[231:232]
	v_fma_f64 v[180:181], v[180:181], v[6:7], -v[8:9]
	scratch_load_b128 v[6:9], off, off offset:816
	v_add_f64 v[169:170], v[169:170], v[235:236]
	v_add_f64 v[229:230], v[229:230], v[233:234]
	v_fma_f64 v[233:234], v[4:5], v[10:11], v[237:238]
	;; [unrolled: 18-line block ×3, first 2 shown]
	v_fma_f64 v[235:236], v[2:3], v[18:19], -v[20:21]
	scratch_load_b128 v[18:21], off, off offset:864
	ds_load_b128 v[2:5], v1 offset:1616
	s_waitcnt vmcnt(9) lgkmcnt(1)
	v_mul_f64 v[231:232], v[180:181], v[24:25]
	v_mul_f64 v[24:25], v[182:183], v[24:25]
	s_waitcnt vmcnt(8) lgkmcnt(0)
	v_mul_f64 v[237:238], v[2:3], v[28:29]
	v_mul_f64 v[28:29], v[4:5], v[28:29]
	v_add_f64 v[169:170], v[169:170], v[176:177]
	v_add_f64 v[229:230], v[229:230], v[178:179]
	ds_load_b128 v[176:179], v1 offset:1632
	v_fma_f64 v[182:183], v[182:183], v[22:23], v[231:232]
	v_fma_f64 v[22:23], v[180:181], v[22:23], -v[24:25]
	s_waitcnt vmcnt(7) lgkmcnt(0)
	v_mul_f64 v[180:181], v[176:177], v[32:33]
	v_mul_f64 v[32:33], v[178:179], v[32:33]
	v_add_f64 v[24:25], v[169:170], v[235:236]
	v_add_f64 v[169:170], v[229:230], v[233:234]
	v_fma_f64 v[229:230], v[4:5], v[26:27], v[237:238]
	v_fma_f64 v[26:27], v[2:3], v[26:27], -v[28:29]
	v_fma_f64 v[178:179], v[178:179], v[30:31], v[180:181]
	v_fma_f64 v[30:31], v[176:177], v[30:31], -v[32:33]
	v_add_f64 v[28:29], v[24:25], v[22:23]
	v_add_f64 v[169:170], v[169:170], v[182:183]
	ds_load_b128 v[2:5], v1 offset:1648
	ds_load_b128 v[22:25], v1 offset:1664
	s_waitcnt vmcnt(6) lgkmcnt(1)
	v_mul_f64 v[182:183], v[2:3], v[36:37]
	v_mul_f64 v[36:37], v[4:5], v[36:37]
	s_waitcnt vmcnt(5) lgkmcnt(0)
	v_mul_f64 v[32:33], v[22:23], v[174:175]
	v_add_f64 v[26:27], v[28:29], v[26:27]
	v_add_f64 v[28:29], v[169:170], v[229:230]
	v_mul_f64 v[169:170], v[24:25], v[174:175]
	v_fma_f64 v[174:175], v[4:5], v[34:35], v[182:183]
	v_fma_f64 v[34:35], v[2:3], v[34:35], -v[36:37]
	v_fma_f64 v[24:25], v[24:25], v[172:173], v[32:33]
	v_add_f64 v[30:31], v[26:27], v[30:31]
	v_add_f64 v[36:37], v[28:29], v[178:179]
	ds_load_b128 v[2:5], v1 offset:1680
	ds_load_b128 v[26:29], v1 offset:1696
	v_fma_f64 v[22:23], v[22:23], v[172:173], -v[169:170]
	s_waitcnt vmcnt(4) lgkmcnt(1)
	v_mul_f64 v[176:177], v[2:3], v[40:41]
	v_mul_f64 v[40:41], v[4:5], v[40:41]
	v_add_f64 v[30:31], v[30:31], v[34:35]
	v_add_f64 v[32:33], v[36:37], v[174:175]
	s_waitcnt vmcnt(3) lgkmcnt(0)
	v_mul_f64 v[34:35], v[26:27], v[8:9]
	v_mul_f64 v[8:9], v[28:29], v[8:9]
	v_fma_f64 v[36:37], v[4:5], v[38:39], v[176:177]
	v_fma_f64 v[38:39], v[2:3], v[38:39], -v[40:41]
	v_add_f64 v[30:31], v[30:31], v[22:23]
	v_add_f64 v[32:33], v[32:33], v[24:25]
	ds_load_b128 v[2:5], v1 offset:1712
	ds_load_b128 v[22:25], v1 offset:1728
	v_fma_f64 v[28:29], v[28:29], v[6:7], v[34:35]
	v_fma_f64 v[6:7], v[26:27], v[6:7], -v[8:9]
	s_waitcnt vmcnt(2) lgkmcnt(1)
	v_mul_f64 v[40:41], v[2:3], v[12:13]
	v_mul_f64 v[12:13], v[4:5], v[12:13]
	v_add_f64 v[8:9], v[30:31], v[38:39]
	v_add_f64 v[26:27], v[32:33], v[36:37]
	s_waitcnt vmcnt(1) lgkmcnt(0)
	v_mul_f64 v[30:31], v[22:23], v[16:17]
	v_mul_f64 v[16:17], v[24:25], v[16:17]
	v_fma_f64 v[32:33], v[4:5], v[10:11], v[40:41]
	v_fma_f64 v[10:11], v[2:3], v[10:11], -v[12:13]
	ds_load_b128 v[2:5], v1 offset:1744
	v_add_f64 v[6:7], v[8:9], v[6:7]
	v_add_f64 v[8:9], v[26:27], v[28:29]
	v_fma_f64 v[24:25], v[24:25], v[14:15], v[30:31]
	v_fma_f64 v[14:15], v[22:23], v[14:15], -v[16:17]
	s_waitcnt vmcnt(0) lgkmcnt(0)
	v_mul_f64 v[12:13], v[2:3], v[20:21]
	v_mul_f64 v[20:21], v[4:5], v[20:21]
	v_add_f64 v[6:7], v[6:7], v[10:11]
	v_add_f64 v[8:9], v[8:9], v[32:33]
	s_delay_alu instid0(VALU_DEP_4) | instskip(NEXT) | instid1(VALU_DEP_4)
	v_fma_f64 v[4:5], v[4:5], v[18:19], v[12:13]
	v_fma_f64 v[2:3], v[2:3], v[18:19], -v[20:21]
	s_delay_alu instid0(VALU_DEP_4) | instskip(NEXT) | instid1(VALU_DEP_4)
	v_add_f64 v[6:7], v[6:7], v[14:15]
	v_add_f64 v[8:9], v[8:9], v[24:25]
	s_delay_alu instid0(VALU_DEP_2) | instskip(NEXT) | instid1(VALU_DEP_2)
	v_add_f64 v[2:3], v[6:7], v[2:3]
	v_add_f64 v[4:5], v[8:9], v[4:5]
	s_delay_alu instid0(VALU_DEP_2) | instskip(NEXT) | instid1(VALU_DEP_2)
	v_add_f64 v[2:3], v[42:43], -v[2:3]
	v_add_f64 v[4:5], v[44:45], -v[4:5]
	scratch_store_b128 off, v[2:5], off offset:304
	v_cmpx_lt_u32_e32 18, v156
	s_cbranch_execz .LBB118_307
; %bb.306:
	scratch_load_b128 v[5:8], v193, off
	v_mov_b32_e32 v2, v1
	v_mov_b32_e32 v3, v1
	;; [unrolled: 1-line block ×3, first 2 shown]
	scratch_store_b128 off, v[1:4], off offset:288
	s_waitcnt vmcnt(0)
	ds_store_b128 v211, v[5:8]
.LBB118_307:
	s_or_b32 exec_lo, exec_lo, s2
	s_waitcnt lgkmcnt(0)
	s_waitcnt_vscnt null, 0x0
	s_barrier
	buffer_gl0_inv
	s_clause 0x8
	scratch_load_b128 v[2:5], off, off offset:304
	scratch_load_b128 v[6:9], off, off offset:320
	;; [unrolled: 1-line block ×9, first 2 shown]
	ds_load_b128 v[42:45], v1 offset:1184
	ds_load_b128 v[38:41], v1 offset:1200
	s_clause 0x1
	scratch_load_b128 v[172:175], off, off offset:288
	scratch_load_b128 v[176:179], off, off offset:448
	s_mov_b32 s2, exec_lo
	ds_load_b128 v[180:183], v1 offset:1232
	s_waitcnt vmcnt(10) lgkmcnt(2)
	v_mul_f64 v[169:170], v[44:45], v[4:5]
	v_mul_f64 v[4:5], v[42:43], v[4:5]
	s_waitcnt vmcnt(9) lgkmcnt(1)
	v_mul_f64 v[229:230], v[38:39], v[8:9]
	v_mul_f64 v[8:9], v[40:41], v[8:9]
	s_delay_alu instid0(VALU_DEP_4) | instskip(NEXT) | instid1(VALU_DEP_4)
	v_fma_f64 v[169:170], v[42:43], v[2:3], -v[169:170]
	v_fma_f64 v[231:232], v[44:45], v[2:3], v[4:5]
	ds_load_b128 v[2:5], v1 offset:1216
	scratch_load_b128 v[42:45], off, off offset:464
	v_fma_f64 v[40:41], v[40:41], v[6:7], v[229:230]
	v_fma_f64 v[38:39], v[38:39], v[6:7], -v[8:9]
	scratch_load_b128 v[6:9], off, off offset:480
	s_waitcnt vmcnt(10) lgkmcnt(0)
	v_mul_f64 v[233:234], v[2:3], v[12:13]
	v_mul_f64 v[12:13], v[4:5], v[12:13]
	v_add_f64 v[169:170], v[169:170], 0
	v_add_f64 v[229:230], v[231:232], 0
	s_waitcnt vmcnt(9)
	v_mul_f64 v[231:232], v[180:181], v[16:17]
	v_mul_f64 v[16:17], v[182:183], v[16:17]
	v_fma_f64 v[233:234], v[4:5], v[10:11], v[233:234]
	v_fma_f64 v[235:236], v[2:3], v[10:11], -v[12:13]
	ds_load_b128 v[2:5], v1 offset:1248
	scratch_load_b128 v[10:13], off, off offset:496
	v_add_f64 v[169:170], v[169:170], v[38:39]
	v_add_f64 v[229:230], v[229:230], v[40:41]
	ds_load_b128 v[38:41], v1 offset:1264
	v_fma_f64 v[182:183], v[182:183], v[14:15], v[231:232]
	v_fma_f64 v[180:181], v[180:181], v[14:15], -v[16:17]
	scratch_load_b128 v[14:17], off, off offset:512
	s_waitcnt vmcnt(10) lgkmcnt(1)
	v_mul_f64 v[237:238], v[2:3], v[20:21]
	v_mul_f64 v[20:21], v[4:5], v[20:21]
	s_waitcnt vmcnt(9) lgkmcnt(0)
	v_mul_f64 v[231:232], v[38:39], v[24:25]
	v_mul_f64 v[24:25], v[40:41], v[24:25]
	v_add_f64 v[169:170], v[169:170], v[235:236]
	v_add_f64 v[229:230], v[229:230], v[233:234]
	v_fma_f64 v[233:234], v[4:5], v[18:19], v[237:238]
	v_fma_f64 v[235:236], v[2:3], v[18:19], -v[20:21]
	ds_load_b128 v[2:5], v1 offset:1280
	scratch_load_b128 v[18:21], off, off offset:528
	v_fma_f64 v[40:41], v[40:41], v[22:23], v[231:232]
	v_fma_f64 v[38:39], v[38:39], v[22:23], -v[24:25]
	scratch_load_b128 v[22:25], off, off offset:544
	v_add_f64 v[169:170], v[169:170], v[180:181]
	v_add_f64 v[229:230], v[229:230], v[182:183]
	ds_load_b128 v[180:183], v1 offset:1296
	s_waitcnt vmcnt(10) lgkmcnt(1)
	v_mul_f64 v[237:238], v[2:3], v[28:29]
	v_mul_f64 v[28:29], v[4:5], v[28:29]
	s_waitcnt vmcnt(9) lgkmcnt(0)
	v_mul_f64 v[231:232], v[180:181], v[32:33]
	v_mul_f64 v[32:33], v[182:183], v[32:33]
	v_add_f64 v[169:170], v[169:170], v[235:236]
	v_add_f64 v[229:230], v[229:230], v[233:234]
	v_fma_f64 v[233:234], v[4:5], v[26:27], v[237:238]
	v_fma_f64 v[235:236], v[2:3], v[26:27], -v[28:29]
	ds_load_b128 v[2:5], v1 offset:1312
	scratch_load_b128 v[26:29], off, off offset:560
	v_fma_f64 v[182:183], v[182:183], v[30:31], v[231:232]
	v_fma_f64 v[180:181], v[180:181], v[30:31], -v[32:33]
	scratch_load_b128 v[30:33], off, off offset:576
	v_add_f64 v[169:170], v[169:170], v[38:39]
	v_add_f64 v[229:230], v[229:230], v[40:41]
	ds_load_b128 v[38:41], v1 offset:1328
	s_waitcnt vmcnt(10) lgkmcnt(1)
	v_mul_f64 v[237:238], v[2:3], v[36:37]
	v_mul_f64 v[36:37], v[4:5], v[36:37]
	s_waitcnt vmcnt(8) lgkmcnt(0)
	v_mul_f64 v[231:232], v[38:39], v[178:179]
	v_add_f64 v[169:170], v[169:170], v[235:236]
	v_add_f64 v[229:230], v[229:230], v[233:234]
	v_mul_f64 v[233:234], v[40:41], v[178:179]
	v_fma_f64 v[235:236], v[4:5], v[34:35], v[237:238]
	v_fma_f64 v[237:238], v[2:3], v[34:35], -v[36:37]
	ds_load_b128 v[2:5], v1 offset:1344
	scratch_load_b128 v[34:37], off, off offset:592
	v_fma_f64 v[231:232], v[40:41], v[176:177], v[231:232]
	v_add_f64 v[169:170], v[169:170], v[180:181]
	v_add_f64 v[182:183], v[229:230], v[182:183]
	ds_load_b128 v[178:181], v1 offset:1360
	v_fma_f64 v[176:177], v[38:39], v[176:177], -v[233:234]
	scratch_load_b128 v[38:41], off, off offset:608
	s_waitcnt vmcnt(9) lgkmcnt(1)
	v_mul_f64 v[229:230], v[2:3], v[44:45]
	v_mul_f64 v[44:45], v[4:5], v[44:45]
	s_waitcnt vmcnt(8) lgkmcnt(0)
	v_mul_f64 v[233:234], v[178:179], v[8:9]
	v_mul_f64 v[8:9], v[180:181], v[8:9]
	v_add_f64 v[169:170], v[169:170], v[237:238]
	v_add_f64 v[182:183], v[182:183], v[235:236]
	v_fma_f64 v[235:236], v[4:5], v[42:43], v[229:230]
	v_fma_f64 v[237:238], v[2:3], v[42:43], -v[44:45]
	ds_load_b128 v[2:5], v1 offset:1376
	scratch_load_b128 v[42:45], off, off offset:624
	v_fma_f64 v[180:181], v[180:181], v[6:7], v[233:234]
	v_fma_f64 v[178:179], v[178:179], v[6:7], -v[8:9]
	scratch_load_b128 v[6:9], off, off offset:640
	v_add_f64 v[169:170], v[169:170], v[176:177]
	v_add_f64 v[176:177], v[182:183], v[231:232]
	ds_load_b128 v[229:232], v1 offset:1392
	s_waitcnt vmcnt(9) lgkmcnt(1)
	v_mul_f64 v[182:183], v[2:3], v[12:13]
	v_mul_f64 v[12:13], v[4:5], v[12:13]
	s_waitcnt vmcnt(8) lgkmcnt(0)
	v_mul_f64 v[233:234], v[229:230], v[16:17]
	v_mul_f64 v[16:17], v[231:232], v[16:17]
	v_add_f64 v[169:170], v[169:170], v[237:238]
	v_add_f64 v[176:177], v[176:177], v[235:236]
	v_fma_f64 v[182:183], v[4:5], v[10:11], v[182:183]
	v_fma_f64 v[235:236], v[2:3], v[10:11], -v[12:13]
	ds_load_b128 v[2:5], v1 offset:1408
	scratch_load_b128 v[10:13], off, off offset:656
	v_fma_f64 v[231:232], v[231:232], v[14:15], v[233:234]
	v_fma_f64 v[229:230], v[229:230], v[14:15], -v[16:17]
	scratch_load_b128 v[14:17], off, off offset:672
	v_add_f64 v[169:170], v[169:170], v[178:179]
	v_add_f64 v[180:181], v[176:177], v[180:181]
	ds_load_b128 v[176:179], v1 offset:1424
	s_waitcnt vmcnt(9) lgkmcnt(1)
	v_mul_f64 v[237:238], v[2:3], v[20:21]
	v_mul_f64 v[20:21], v[4:5], v[20:21]
	s_waitcnt vmcnt(8) lgkmcnt(0)
	v_mul_f64 v[233:234], v[176:177], v[24:25]
	v_mul_f64 v[24:25], v[178:179], v[24:25]
	v_add_f64 v[169:170], v[169:170], v[235:236]
	v_add_f64 v[180:181], v[180:181], v[182:183]
	v_fma_f64 v[235:236], v[4:5], v[18:19], v[237:238]
	v_fma_f64 v[237:238], v[2:3], v[18:19], -v[20:21]
	ds_load_b128 v[2:5], v1 offset:1440
	scratch_load_b128 v[18:21], off, off offset:688
	v_fma_f64 v[178:179], v[178:179], v[22:23], v[233:234]
	v_fma_f64 v[176:177], v[176:177], v[22:23], -v[24:25]
	scratch_load_b128 v[22:25], off, off offset:704
	v_add_f64 v[169:170], v[169:170], v[229:230]
	v_add_f64 v[229:230], v[180:181], v[231:232]
	ds_load_b128 v[180:183], v1 offset:1456
	s_waitcnt vmcnt(9) lgkmcnt(1)
	v_mul_f64 v[231:232], v[2:3], v[28:29]
	v_mul_f64 v[28:29], v[4:5], v[28:29]
	s_waitcnt vmcnt(8) lgkmcnt(0)
	v_mul_f64 v[233:234], v[180:181], v[32:33]
	v_mul_f64 v[32:33], v[182:183], v[32:33]
	v_add_f64 v[169:170], v[169:170], v[237:238]
	v_add_f64 v[229:230], v[229:230], v[235:236]
	v_fma_f64 v[231:232], v[4:5], v[26:27], v[231:232]
	v_fma_f64 v[235:236], v[2:3], v[26:27], -v[28:29]
	ds_load_b128 v[2:5], v1 offset:1472
	scratch_load_b128 v[26:29], off, off offset:720
	v_fma_f64 v[182:183], v[182:183], v[30:31], v[233:234]
	v_fma_f64 v[180:181], v[180:181], v[30:31], -v[32:33]
	scratch_load_b128 v[30:33], off, off offset:736
	v_add_f64 v[169:170], v[169:170], v[176:177]
	v_add_f64 v[229:230], v[229:230], v[178:179]
	ds_load_b128 v[176:179], v1 offset:1488
	s_waitcnt vmcnt(9) lgkmcnt(1)
	v_mul_f64 v[237:238], v[2:3], v[36:37]
	v_mul_f64 v[36:37], v[4:5], v[36:37]
	v_add_f64 v[169:170], v[169:170], v[235:236]
	v_add_f64 v[229:230], v[229:230], v[231:232]
	s_waitcnt vmcnt(8) lgkmcnt(0)
	v_mul_f64 v[231:232], v[176:177], v[40:41]
	v_mul_f64 v[40:41], v[178:179], v[40:41]
	v_fma_f64 v[233:234], v[4:5], v[34:35], v[237:238]
	v_fma_f64 v[235:236], v[2:3], v[34:35], -v[36:37]
	ds_load_b128 v[2:5], v1 offset:1504
	scratch_load_b128 v[34:37], off, off offset:752
	v_add_f64 v[169:170], v[169:170], v[180:181]
	v_add_f64 v[229:230], v[229:230], v[182:183]
	ds_load_b128 v[180:183], v1 offset:1520
	s_waitcnt vmcnt(8) lgkmcnt(1)
	v_mul_f64 v[237:238], v[2:3], v[44:45]
	v_mul_f64 v[44:45], v[4:5], v[44:45]
	v_fma_f64 v[178:179], v[178:179], v[38:39], v[231:232]
	v_fma_f64 v[176:177], v[176:177], v[38:39], -v[40:41]
	scratch_load_b128 v[38:41], off, off offset:768
	s_waitcnt vmcnt(8) lgkmcnt(0)
	v_mul_f64 v[231:232], v[180:181], v[8:9]
	v_mul_f64 v[8:9], v[182:183], v[8:9]
	v_add_f64 v[169:170], v[169:170], v[235:236]
	v_add_f64 v[229:230], v[229:230], v[233:234]
	v_fma_f64 v[233:234], v[4:5], v[42:43], v[237:238]
	v_fma_f64 v[235:236], v[2:3], v[42:43], -v[44:45]
	ds_load_b128 v[2:5], v1 offset:1536
	scratch_load_b128 v[42:45], off, off offset:784
	v_fma_f64 v[182:183], v[182:183], v[6:7], v[231:232]
	v_fma_f64 v[180:181], v[180:181], v[6:7], -v[8:9]
	scratch_load_b128 v[6:9], off, off offset:800
	v_add_f64 v[169:170], v[169:170], v[176:177]
	v_add_f64 v[229:230], v[229:230], v[178:179]
	ds_load_b128 v[176:179], v1 offset:1552
	s_waitcnt vmcnt(9) lgkmcnt(1)
	v_mul_f64 v[237:238], v[2:3], v[12:13]
	v_mul_f64 v[12:13], v[4:5], v[12:13]
	s_waitcnt vmcnt(8) lgkmcnt(0)
	v_mul_f64 v[231:232], v[176:177], v[16:17]
	v_mul_f64 v[16:17], v[178:179], v[16:17]
	v_add_f64 v[169:170], v[169:170], v[235:236]
	v_add_f64 v[229:230], v[229:230], v[233:234]
	v_fma_f64 v[233:234], v[4:5], v[10:11], v[237:238]
	v_fma_f64 v[235:236], v[2:3], v[10:11], -v[12:13]
	ds_load_b128 v[2:5], v1 offset:1568
	scratch_load_b128 v[10:13], off, off offset:816
	v_fma_f64 v[178:179], v[178:179], v[14:15], v[231:232]
	v_fma_f64 v[176:177], v[176:177], v[14:15], -v[16:17]
	scratch_load_b128 v[14:17], off, off offset:832
	v_add_f64 v[169:170], v[169:170], v[180:181]
	v_add_f64 v[229:230], v[229:230], v[182:183]
	ds_load_b128 v[180:183], v1 offset:1584
	s_waitcnt vmcnt(9) lgkmcnt(1)
	v_mul_f64 v[237:238], v[2:3], v[20:21]
	v_mul_f64 v[20:21], v[4:5], v[20:21]
	;; [unrolled: 18-line block ×3, first 2 shown]
	s_waitcnt vmcnt(8) lgkmcnt(0)
	v_mul_f64 v[231:232], v[176:177], v[32:33]
	v_mul_f64 v[32:33], v[178:179], v[32:33]
	v_add_f64 v[169:170], v[169:170], v[235:236]
	v_add_f64 v[229:230], v[229:230], v[233:234]
	v_fma_f64 v[233:234], v[4:5], v[26:27], v[237:238]
	v_fma_f64 v[235:236], v[2:3], v[26:27], -v[28:29]
	ds_load_b128 v[2:5], v1 offset:1632
	ds_load_b128 v[26:29], v1 offset:1648
	v_fma_f64 v[178:179], v[178:179], v[30:31], v[231:232]
	v_fma_f64 v[30:31], v[176:177], v[30:31], -v[32:33]
	v_add_f64 v[169:170], v[169:170], v[180:181]
	v_add_f64 v[180:181], v[229:230], v[182:183]
	s_waitcnt vmcnt(7) lgkmcnt(1)
	v_mul_f64 v[182:183], v[2:3], v[36:37]
	v_mul_f64 v[36:37], v[4:5], v[36:37]
	s_waitcnt vmcnt(6) lgkmcnt(0)
	v_mul_f64 v[176:177], v[26:27], v[40:41]
	v_mul_f64 v[40:41], v[28:29], v[40:41]
	v_add_f64 v[32:33], v[169:170], v[235:236]
	v_add_f64 v[169:170], v[180:181], v[233:234]
	v_fma_f64 v[180:181], v[4:5], v[34:35], v[182:183]
	v_fma_f64 v[34:35], v[2:3], v[34:35], -v[36:37]
	v_fma_f64 v[28:29], v[28:29], v[38:39], v[176:177]
	v_fma_f64 v[26:27], v[26:27], v[38:39], -v[40:41]
	v_add_f64 v[36:37], v[32:33], v[30:31]
	v_add_f64 v[169:170], v[169:170], v[178:179]
	ds_load_b128 v[2:5], v1 offset:1664
	ds_load_b128 v[30:33], v1 offset:1680
	s_waitcnt vmcnt(5) lgkmcnt(1)
	v_mul_f64 v[178:179], v[2:3], v[44:45]
	v_mul_f64 v[44:45], v[4:5], v[44:45]
	s_waitcnt vmcnt(4) lgkmcnt(0)
	v_mul_f64 v[38:39], v[30:31], v[8:9]
	v_mul_f64 v[8:9], v[32:33], v[8:9]
	v_add_f64 v[34:35], v[36:37], v[34:35]
	v_add_f64 v[36:37], v[169:170], v[180:181]
	v_fma_f64 v[40:41], v[4:5], v[42:43], v[178:179]
	v_fma_f64 v[42:43], v[2:3], v[42:43], -v[44:45]
	v_fma_f64 v[32:33], v[32:33], v[6:7], v[38:39]
	v_fma_f64 v[6:7], v[30:31], v[6:7], -v[8:9]
	v_add_f64 v[34:35], v[34:35], v[26:27]
	v_add_f64 v[36:37], v[36:37], v[28:29]
	ds_load_b128 v[2:5], v1 offset:1696
	ds_load_b128 v[26:29], v1 offset:1712
	s_waitcnt vmcnt(3) lgkmcnt(1)
	v_mul_f64 v[44:45], v[2:3], v[12:13]
	v_mul_f64 v[12:13], v[4:5], v[12:13]
	v_add_f64 v[8:9], v[34:35], v[42:43]
	v_add_f64 v[30:31], v[36:37], v[40:41]
	s_waitcnt vmcnt(2) lgkmcnt(0)
	v_mul_f64 v[34:35], v[26:27], v[16:17]
	v_mul_f64 v[16:17], v[28:29], v[16:17]
	v_fma_f64 v[36:37], v[4:5], v[10:11], v[44:45]
	v_fma_f64 v[10:11], v[2:3], v[10:11], -v[12:13]
	v_add_f64 v[12:13], v[8:9], v[6:7]
	v_add_f64 v[30:31], v[30:31], v[32:33]
	ds_load_b128 v[2:5], v1 offset:1728
	ds_load_b128 v[6:9], v1 offset:1744
	v_fma_f64 v[28:29], v[28:29], v[14:15], v[34:35]
	v_fma_f64 v[14:15], v[26:27], v[14:15], -v[16:17]
	s_waitcnt vmcnt(1) lgkmcnt(1)
	v_mul_f64 v[32:33], v[2:3], v[20:21]
	v_mul_f64 v[20:21], v[4:5], v[20:21]
	s_waitcnt vmcnt(0) lgkmcnt(0)
	v_mul_f64 v[16:17], v[6:7], v[24:25]
	v_mul_f64 v[24:25], v[8:9], v[24:25]
	v_add_f64 v[10:11], v[12:13], v[10:11]
	v_add_f64 v[12:13], v[30:31], v[36:37]
	v_fma_f64 v[4:5], v[4:5], v[18:19], v[32:33]
	v_fma_f64 v[1:2], v[2:3], v[18:19], -v[20:21]
	v_fma_f64 v[8:9], v[8:9], v[22:23], v[16:17]
	v_fma_f64 v[6:7], v[6:7], v[22:23], -v[24:25]
	v_add_f64 v[10:11], v[10:11], v[14:15]
	v_add_f64 v[12:13], v[12:13], v[28:29]
	s_delay_alu instid0(VALU_DEP_2) | instskip(NEXT) | instid1(VALU_DEP_2)
	v_add_f64 v[1:2], v[10:11], v[1:2]
	v_add_f64 v[3:4], v[12:13], v[4:5]
	s_delay_alu instid0(VALU_DEP_2) | instskip(NEXT) | instid1(VALU_DEP_2)
	;; [unrolled: 3-line block ×3, first 2 shown]
	v_add_f64 v[1:2], v[172:173], -v[1:2]
	v_add_f64 v[3:4], v[174:175], -v[3:4]
	scratch_store_b128 off, v[1:4], off offset:288
	v_cmpx_lt_u32_e32 17, v156
	s_cbranch_execz .LBB118_309
; %bb.308:
	scratch_load_b128 v[1:4], v194, off
	v_mov_b32_e32 v5, 0
	s_delay_alu instid0(VALU_DEP_1)
	v_mov_b32_e32 v6, v5
	v_mov_b32_e32 v7, v5
	;; [unrolled: 1-line block ×3, first 2 shown]
	scratch_store_b128 off, v[5:8], off offset:272
	s_waitcnt vmcnt(0)
	ds_store_b128 v211, v[1:4]
.LBB118_309:
	s_or_b32 exec_lo, exec_lo, s2
	s_waitcnt lgkmcnt(0)
	s_waitcnt_vscnt null, 0x0
	s_barrier
	buffer_gl0_inv
	s_clause 0x7
	scratch_load_b128 v[2:5], off, off offset:288
	scratch_load_b128 v[6:9], off, off offset:304
	scratch_load_b128 v[10:13], off, off offset:320
	scratch_load_b128 v[14:17], off, off offset:336
	scratch_load_b128 v[18:21], off, off offset:352
	scratch_load_b128 v[22:25], off, off offset:368
	scratch_load_b128 v[26:29], off, off offset:384
	scratch_load_b128 v[30:33], off, off offset:400
	v_mov_b32_e32 v1, 0
	s_mov_b32 s2, exec_lo
	ds_load_b128 v[38:41], v1 offset:1168
	s_clause 0x1
	scratch_load_b128 v[34:37], off, off offset:416
	scratch_load_b128 v[42:45], off, off offset:272
	ds_load_b128 v[172:175], v1 offset:1184
	scratch_load_b128 v[176:179], off, off offset:432
	ds_load_b128 v[180:183], v1 offset:1216
	s_waitcnt vmcnt(10) lgkmcnt(2)
	v_mul_f64 v[169:170], v[40:41], v[4:5]
	v_mul_f64 v[4:5], v[38:39], v[4:5]
	s_delay_alu instid0(VALU_DEP_2) | instskip(NEXT) | instid1(VALU_DEP_2)
	v_fma_f64 v[169:170], v[38:39], v[2:3], -v[169:170]
	v_fma_f64 v[231:232], v[40:41], v[2:3], v[4:5]
	ds_load_b128 v[2:5], v1 offset:1200
	s_waitcnt vmcnt(9) lgkmcnt(2)
	v_mul_f64 v[229:230], v[172:173], v[8:9]
	v_mul_f64 v[8:9], v[174:175], v[8:9]
	scratch_load_b128 v[38:41], off, off offset:448
	s_waitcnt vmcnt(9) lgkmcnt(0)
	v_mul_f64 v[233:234], v[2:3], v[12:13]
	v_mul_f64 v[12:13], v[4:5], v[12:13]
	v_add_f64 v[169:170], v[169:170], 0
	v_fma_f64 v[174:175], v[174:175], v[6:7], v[229:230]
	v_fma_f64 v[172:173], v[172:173], v[6:7], -v[8:9]
	v_add_f64 v[229:230], v[231:232], 0
	scratch_load_b128 v[6:9], off, off offset:464
	v_fma_f64 v[233:234], v[4:5], v[10:11], v[233:234]
	v_fma_f64 v[235:236], v[2:3], v[10:11], -v[12:13]
	scratch_load_b128 v[10:13], off, off offset:480
	ds_load_b128 v[2:5], v1 offset:1232
	s_waitcnt vmcnt(10)
	v_mul_f64 v[231:232], v[180:181], v[16:17]
	v_mul_f64 v[16:17], v[182:183], v[16:17]
	v_add_f64 v[169:170], v[169:170], v[172:173]
	v_add_f64 v[229:230], v[229:230], v[174:175]
	ds_load_b128 v[172:175], v1 offset:1248
	s_waitcnt vmcnt(9) lgkmcnt(1)
	v_mul_f64 v[237:238], v[2:3], v[20:21]
	v_mul_f64 v[20:21], v[4:5], v[20:21]
	v_fma_f64 v[182:183], v[182:183], v[14:15], v[231:232]
	v_fma_f64 v[180:181], v[180:181], v[14:15], -v[16:17]
	scratch_load_b128 v[14:17], off, off offset:496
	v_add_f64 v[169:170], v[169:170], v[235:236]
	v_add_f64 v[229:230], v[229:230], v[233:234]
	v_fma_f64 v[233:234], v[4:5], v[18:19], v[237:238]
	v_fma_f64 v[235:236], v[2:3], v[18:19], -v[20:21]
	scratch_load_b128 v[18:21], off, off offset:512
	ds_load_b128 v[2:5], v1 offset:1264
	s_waitcnt vmcnt(10) lgkmcnt(1)
	v_mul_f64 v[231:232], v[172:173], v[24:25]
	v_mul_f64 v[24:25], v[174:175], v[24:25]
	s_waitcnt vmcnt(9) lgkmcnt(0)
	v_mul_f64 v[237:238], v[2:3], v[28:29]
	v_mul_f64 v[28:29], v[4:5], v[28:29]
	v_add_f64 v[169:170], v[169:170], v[180:181]
	v_add_f64 v[229:230], v[229:230], v[182:183]
	ds_load_b128 v[180:183], v1 offset:1280
	v_fma_f64 v[174:175], v[174:175], v[22:23], v[231:232]
	v_fma_f64 v[172:173], v[172:173], v[22:23], -v[24:25]
	scratch_load_b128 v[22:25], off, off offset:528
	v_add_f64 v[169:170], v[169:170], v[235:236]
	v_add_f64 v[229:230], v[229:230], v[233:234]
	v_fma_f64 v[233:234], v[4:5], v[26:27], v[237:238]
	v_fma_f64 v[235:236], v[2:3], v[26:27], -v[28:29]
	scratch_load_b128 v[26:29], off, off offset:544
	ds_load_b128 v[2:5], v1 offset:1296
	s_waitcnt vmcnt(10) lgkmcnt(1)
	v_mul_f64 v[231:232], v[180:181], v[32:33]
	v_mul_f64 v[32:33], v[182:183], v[32:33]
	s_waitcnt vmcnt(9) lgkmcnt(0)
	v_mul_f64 v[237:238], v[2:3], v[36:37]
	v_mul_f64 v[36:37], v[4:5], v[36:37]
	v_add_f64 v[169:170], v[169:170], v[172:173]
	v_add_f64 v[229:230], v[229:230], v[174:175]
	ds_load_b128 v[172:175], v1 offset:1312
	v_fma_f64 v[182:183], v[182:183], v[30:31], v[231:232]
	v_fma_f64 v[180:181], v[180:181], v[30:31], -v[32:33]
	scratch_load_b128 v[30:33], off, off offset:560
	v_add_f64 v[169:170], v[169:170], v[235:236]
	v_add_f64 v[229:230], v[229:230], v[233:234]
	v_fma_f64 v[235:236], v[4:5], v[34:35], v[237:238]
	v_fma_f64 v[237:238], v[2:3], v[34:35], -v[36:37]
	scratch_load_b128 v[34:37], off, off offset:576
	ds_load_b128 v[2:5], v1 offset:1328
	s_waitcnt vmcnt(9) lgkmcnt(1)
	v_mul_f64 v[231:232], v[172:173], v[178:179]
	v_mul_f64 v[233:234], v[174:175], v[178:179]
	v_add_f64 v[169:170], v[169:170], v[180:181]
	v_add_f64 v[182:183], v[229:230], v[182:183]
	ds_load_b128 v[178:181], v1 offset:1344
	v_fma_f64 v[231:232], v[174:175], v[176:177], v[231:232]
	v_fma_f64 v[176:177], v[172:173], v[176:177], -v[233:234]
	scratch_load_b128 v[172:175], off, off offset:592
	s_waitcnt vmcnt(9) lgkmcnt(1)
	v_mul_f64 v[229:230], v[2:3], v[40:41]
	v_mul_f64 v[40:41], v[4:5], v[40:41]
	v_add_f64 v[169:170], v[169:170], v[237:238]
	v_add_f64 v[182:183], v[182:183], v[235:236]
	s_delay_alu instid0(VALU_DEP_4) | instskip(NEXT) | instid1(VALU_DEP_4)
	v_fma_f64 v[235:236], v[4:5], v[38:39], v[229:230]
	v_fma_f64 v[237:238], v[2:3], v[38:39], -v[40:41]
	scratch_load_b128 v[38:41], off, off offset:608
	ds_load_b128 v[2:5], v1 offset:1360
	s_waitcnt vmcnt(9) lgkmcnt(1)
	v_mul_f64 v[233:234], v[178:179], v[8:9]
	v_mul_f64 v[8:9], v[180:181], v[8:9]
	v_add_f64 v[169:170], v[169:170], v[176:177]
	v_add_f64 v[176:177], v[182:183], v[231:232]
	s_waitcnt vmcnt(8) lgkmcnt(0)
	v_mul_f64 v[182:183], v[2:3], v[12:13]
	v_mul_f64 v[12:13], v[4:5], v[12:13]
	ds_load_b128 v[229:232], v1 offset:1376
	v_fma_f64 v[180:181], v[180:181], v[6:7], v[233:234]
	v_fma_f64 v[178:179], v[178:179], v[6:7], -v[8:9]
	scratch_load_b128 v[6:9], off, off offset:624
	v_add_f64 v[169:170], v[169:170], v[237:238]
	v_add_f64 v[176:177], v[176:177], v[235:236]
	v_fma_f64 v[182:183], v[4:5], v[10:11], v[182:183]
	v_fma_f64 v[235:236], v[2:3], v[10:11], -v[12:13]
	scratch_load_b128 v[10:13], off, off offset:640
	ds_load_b128 v[2:5], v1 offset:1392
	s_waitcnt vmcnt(9) lgkmcnt(1)
	v_mul_f64 v[233:234], v[229:230], v[16:17]
	v_mul_f64 v[16:17], v[231:232], v[16:17]
	s_waitcnt vmcnt(8) lgkmcnt(0)
	v_mul_f64 v[237:238], v[2:3], v[20:21]
	v_mul_f64 v[20:21], v[4:5], v[20:21]
	v_add_f64 v[169:170], v[169:170], v[178:179]
	v_add_f64 v[180:181], v[176:177], v[180:181]
	ds_load_b128 v[176:179], v1 offset:1408
	v_fma_f64 v[231:232], v[231:232], v[14:15], v[233:234]
	v_fma_f64 v[229:230], v[229:230], v[14:15], -v[16:17]
	scratch_load_b128 v[14:17], off, off offset:656
	v_add_f64 v[169:170], v[169:170], v[235:236]
	v_add_f64 v[180:181], v[180:181], v[182:183]
	v_fma_f64 v[235:236], v[4:5], v[18:19], v[237:238]
	v_fma_f64 v[237:238], v[2:3], v[18:19], -v[20:21]
	scratch_load_b128 v[18:21], off, off offset:672
	ds_load_b128 v[2:5], v1 offset:1424
	s_waitcnt vmcnt(9) lgkmcnt(1)
	v_mul_f64 v[233:234], v[176:177], v[24:25]
	v_mul_f64 v[24:25], v[178:179], v[24:25]
	v_add_f64 v[169:170], v[169:170], v[229:230]
	v_add_f64 v[229:230], v[180:181], v[231:232]
	s_waitcnt vmcnt(8) lgkmcnt(0)
	v_mul_f64 v[231:232], v[2:3], v[28:29]
	v_mul_f64 v[28:29], v[4:5], v[28:29]
	ds_load_b128 v[180:183], v1 offset:1440
	v_fma_f64 v[178:179], v[178:179], v[22:23], v[233:234]
	v_fma_f64 v[176:177], v[176:177], v[22:23], -v[24:25]
	scratch_load_b128 v[22:25], off, off offset:688
	v_add_f64 v[169:170], v[169:170], v[237:238]
	v_add_f64 v[229:230], v[229:230], v[235:236]
	v_fma_f64 v[231:232], v[4:5], v[26:27], v[231:232]
	v_fma_f64 v[235:236], v[2:3], v[26:27], -v[28:29]
	scratch_load_b128 v[26:29], off, off offset:704
	ds_load_b128 v[2:5], v1 offset:1456
	s_waitcnt vmcnt(9) lgkmcnt(1)
	v_mul_f64 v[233:234], v[180:181], v[32:33]
	v_mul_f64 v[32:33], v[182:183], v[32:33]
	s_waitcnt vmcnt(8) lgkmcnt(0)
	v_mul_f64 v[237:238], v[2:3], v[36:37]
	v_mul_f64 v[36:37], v[4:5], v[36:37]
	v_add_f64 v[169:170], v[169:170], v[176:177]
	v_add_f64 v[229:230], v[229:230], v[178:179]
	ds_load_b128 v[176:179], v1 offset:1472
	v_fma_f64 v[182:183], v[182:183], v[30:31], v[233:234]
	v_fma_f64 v[180:181], v[180:181], v[30:31], -v[32:33]
	scratch_load_b128 v[30:33], off, off offset:720
	v_fma_f64 v[233:234], v[4:5], v[34:35], v[237:238]
	v_add_f64 v[169:170], v[169:170], v[235:236]
	v_add_f64 v[229:230], v[229:230], v[231:232]
	v_fma_f64 v[235:236], v[2:3], v[34:35], -v[36:37]
	scratch_load_b128 v[34:37], off, off offset:736
	ds_load_b128 v[2:5], v1 offset:1488
	s_waitcnt vmcnt(9) lgkmcnt(1)
	v_mul_f64 v[231:232], v[176:177], v[174:175]
	v_mul_f64 v[174:175], v[178:179], v[174:175]
	s_waitcnt vmcnt(8) lgkmcnt(0)
	v_mul_f64 v[237:238], v[2:3], v[40:41]
	v_mul_f64 v[40:41], v[4:5], v[40:41]
	v_add_f64 v[169:170], v[169:170], v[180:181]
	v_add_f64 v[229:230], v[229:230], v[182:183]
	ds_load_b128 v[180:183], v1 offset:1504
	v_fma_f64 v[178:179], v[178:179], v[172:173], v[231:232]
	v_fma_f64 v[176:177], v[176:177], v[172:173], -v[174:175]
	scratch_load_b128 v[172:175], off, off offset:752
	v_add_f64 v[169:170], v[169:170], v[235:236]
	v_add_f64 v[229:230], v[229:230], v[233:234]
	v_fma_f64 v[233:234], v[4:5], v[38:39], v[237:238]
	v_fma_f64 v[235:236], v[2:3], v[38:39], -v[40:41]
	scratch_load_b128 v[38:41], off, off offset:768
	ds_load_b128 v[2:5], v1 offset:1520
	s_waitcnt vmcnt(9) lgkmcnt(1)
	v_mul_f64 v[231:232], v[180:181], v[8:9]
	v_mul_f64 v[8:9], v[182:183], v[8:9]
	s_waitcnt vmcnt(8) lgkmcnt(0)
	v_mul_f64 v[237:238], v[2:3], v[12:13]
	v_mul_f64 v[12:13], v[4:5], v[12:13]
	v_add_f64 v[169:170], v[169:170], v[176:177]
	v_add_f64 v[229:230], v[229:230], v[178:179]
	ds_load_b128 v[176:179], v1 offset:1536
	v_fma_f64 v[182:183], v[182:183], v[6:7], v[231:232]
	v_fma_f64 v[180:181], v[180:181], v[6:7], -v[8:9]
	scratch_load_b128 v[6:9], off, off offset:784
	v_add_f64 v[169:170], v[169:170], v[235:236]
	v_add_f64 v[229:230], v[229:230], v[233:234]
	v_fma_f64 v[233:234], v[4:5], v[10:11], v[237:238]
	;; [unrolled: 18-line block ×4, first 2 shown]
	v_fma_f64 v[235:236], v[2:3], v[26:27], -v[28:29]
	scratch_load_b128 v[26:29], off, off offset:864
	ds_load_b128 v[2:5], v1 offset:1616
	s_waitcnt vmcnt(9) lgkmcnt(1)
	v_mul_f64 v[231:232], v[176:177], v[32:33]
	v_mul_f64 v[32:33], v[178:179], v[32:33]
	s_waitcnt vmcnt(8) lgkmcnt(0)
	v_mul_f64 v[237:238], v[2:3], v[36:37]
	v_mul_f64 v[36:37], v[4:5], v[36:37]
	v_add_f64 v[169:170], v[169:170], v[180:181]
	v_add_f64 v[229:230], v[229:230], v[182:183]
	ds_load_b128 v[180:183], v1 offset:1632
	v_fma_f64 v[178:179], v[178:179], v[30:31], v[231:232]
	v_fma_f64 v[30:31], v[176:177], v[30:31], -v[32:33]
	s_waitcnt vmcnt(7) lgkmcnt(0)
	v_mul_f64 v[176:177], v[180:181], v[174:175]
	v_mul_f64 v[174:175], v[182:183], v[174:175]
	v_add_f64 v[32:33], v[169:170], v[235:236]
	v_add_f64 v[169:170], v[229:230], v[233:234]
	v_fma_f64 v[229:230], v[4:5], v[34:35], v[237:238]
	v_fma_f64 v[34:35], v[2:3], v[34:35], -v[36:37]
	v_fma_f64 v[176:177], v[182:183], v[172:173], v[176:177]
	v_fma_f64 v[172:173], v[180:181], v[172:173], -v[174:175]
	v_add_f64 v[36:37], v[32:33], v[30:31]
	v_add_f64 v[169:170], v[169:170], v[178:179]
	ds_load_b128 v[2:5], v1 offset:1648
	ds_load_b128 v[30:33], v1 offset:1664
	s_waitcnt vmcnt(6) lgkmcnt(1)
	v_mul_f64 v[178:179], v[2:3], v[40:41]
	v_mul_f64 v[40:41], v[4:5], v[40:41]
	v_add_f64 v[34:35], v[36:37], v[34:35]
	v_add_f64 v[36:37], v[169:170], v[229:230]
	s_waitcnt vmcnt(5) lgkmcnt(0)
	v_mul_f64 v[169:170], v[30:31], v[8:9]
	v_mul_f64 v[8:9], v[32:33], v[8:9]
	v_fma_f64 v[174:175], v[4:5], v[38:39], v[178:179]
	v_fma_f64 v[38:39], v[2:3], v[38:39], -v[40:41]
	v_add_f64 v[40:41], v[34:35], v[172:173]
	v_add_f64 v[172:173], v[36:37], v[176:177]
	ds_load_b128 v[2:5], v1 offset:1680
	ds_load_b128 v[34:37], v1 offset:1696
	v_fma_f64 v[32:33], v[32:33], v[6:7], v[169:170]
	v_fma_f64 v[6:7], v[30:31], v[6:7], -v[8:9]
	s_waitcnt vmcnt(4) lgkmcnt(1)
	v_mul_f64 v[176:177], v[2:3], v[12:13]
	v_mul_f64 v[12:13], v[4:5], v[12:13]
	v_add_f64 v[8:9], v[40:41], v[38:39]
	v_add_f64 v[30:31], v[172:173], v[174:175]
	s_waitcnt vmcnt(3) lgkmcnt(0)
	v_mul_f64 v[38:39], v[34:35], v[16:17]
	v_mul_f64 v[16:17], v[36:37], v[16:17]
	v_fma_f64 v[40:41], v[4:5], v[10:11], v[176:177]
	v_fma_f64 v[10:11], v[2:3], v[10:11], -v[12:13]
	v_add_f64 v[12:13], v[8:9], v[6:7]
	v_add_f64 v[30:31], v[30:31], v[32:33]
	ds_load_b128 v[2:5], v1 offset:1712
	ds_load_b128 v[6:9], v1 offset:1728
	v_fma_f64 v[36:37], v[36:37], v[14:15], v[38:39]
	v_fma_f64 v[14:15], v[34:35], v[14:15], -v[16:17]
	s_waitcnt vmcnt(2) lgkmcnt(1)
	v_mul_f64 v[32:33], v[2:3], v[20:21]
	v_mul_f64 v[20:21], v[4:5], v[20:21]
	s_waitcnt vmcnt(1) lgkmcnt(0)
	v_mul_f64 v[16:17], v[6:7], v[24:25]
	v_mul_f64 v[24:25], v[8:9], v[24:25]
	v_add_f64 v[10:11], v[12:13], v[10:11]
	v_add_f64 v[12:13], v[30:31], v[40:41]
	v_fma_f64 v[30:31], v[4:5], v[18:19], v[32:33]
	v_fma_f64 v[18:19], v[2:3], v[18:19], -v[20:21]
	ds_load_b128 v[2:5], v1 offset:1744
	v_fma_f64 v[8:9], v[8:9], v[22:23], v[16:17]
	v_fma_f64 v[6:7], v[6:7], v[22:23], -v[24:25]
	v_add_f64 v[10:11], v[10:11], v[14:15]
	v_add_f64 v[12:13], v[12:13], v[36:37]
	s_waitcnt vmcnt(0) lgkmcnt(0)
	v_mul_f64 v[14:15], v[2:3], v[28:29]
	v_mul_f64 v[20:21], v[4:5], v[28:29]
	s_delay_alu instid0(VALU_DEP_4) | instskip(NEXT) | instid1(VALU_DEP_4)
	v_add_f64 v[10:11], v[10:11], v[18:19]
	v_add_f64 v[12:13], v[12:13], v[30:31]
	s_delay_alu instid0(VALU_DEP_4) | instskip(NEXT) | instid1(VALU_DEP_4)
	v_fma_f64 v[4:5], v[4:5], v[26:27], v[14:15]
	v_fma_f64 v[2:3], v[2:3], v[26:27], -v[20:21]
	s_delay_alu instid0(VALU_DEP_4) | instskip(NEXT) | instid1(VALU_DEP_4)
	v_add_f64 v[6:7], v[10:11], v[6:7]
	v_add_f64 v[8:9], v[12:13], v[8:9]
	s_delay_alu instid0(VALU_DEP_2) | instskip(NEXT) | instid1(VALU_DEP_2)
	v_add_f64 v[2:3], v[6:7], v[2:3]
	v_add_f64 v[4:5], v[8:9], v[4:5]
	s_delay_alu instid0(VALU_DEP_2) | instskip(NEXT) | instid1(VALU_DEP_2)
	v_add_f64 v[2:3], v[42:43], -v[2:3]
	v_add_f64 v[4:5], v[44:45], -v[4:5]
	scratch_store_b128 off, v[2:5], off offset:272
	v_cmpx_lt_u32_e32 16, v156
	s_cbranch_execz .LBB118_311
; %bb.310:
	scratch_load_b128 v[5:8], v195, off
	v_mov_b32_e32 v2, v1
	v_mov_b32_e32 v3, v1
	;; [unrolled: 1-line block ×3, first 2 shown]
	scratch_store_b128 off, v[1:4], off offset:256
	s_waitcnt vmcnt(0)
	ds_store_b128 v211, v[5:8]
.LBB118_311:
	s_or_b32 exec_lo, exec_lo, s2
	s_waitcnt lgkmcnt(0)
	s_waitcnt_vscnt null, 0x0
	s_barrier
	buffer_gl0_inv
	s_clause 0x8
	scratch_load_b128 v[2:5], off, off offset:272
	scratch_load_b128 v[6:9], off, off offset:288
	;; [unrolled: 1-line block ×9, first 2 shown]
	ds_load_b128 v[42:45], v1 offset:1152
	ds_load_b128 v[38:41], v1 offset:1168
	s_clause 0x1
	scratch_load_b128 v[172:175], off, off offset:256
	scratch_load_b128 v[176:179], off, off offset:416
	s_mov_b32 s2, exec_lo
	ds_load_b128 v[180:183], v1 offset:1200
	s_waitcnt vmcnt(10) lgkmcnt(2)
	v_mul_f64 v[169:170], v[44:45], v[4:5]
	v_mul_f64 v[4:5], v[42:43], v[4:5]
	s_waitcnt vmcnt(9) lgkmcnt(1)
	v_mul_f64 v[229:230], v[38:39], v[8:9]
	v_mul_f64 v[8:9], v[40:41], v[8:9]
	s_delay_alu instid0(VALU_DEP_4) | instskip(NEXT) | instid1(VALU_DEP_4)
	v_fma_f64 v[169:170], v[42:43], v[2:3], -v[169:170]
	v_fma_f64 v[231:232], v[44:45], v[2:3], v[4:5]
	ds_load_b128 v[2:5], v1 offset:1184
	scratch_load_b128 v[42:45], off, off offset:432
	v_fma_f64 v[40:41], v[40:41], v[6:7], v[229:230]
	v_fma_f64 v[38:39], v[38:39], v[6:7], -v[8:9]
	scratch_load_b128 v[6:9], off, off offset:448
	s_waitcnt vmcnt(10) lgkmcnt(0)
	v_mul_f64 v[233:234], v[2:3], v[12:13]
	v_mul_f64 v[12:13], v[4:5], v[12:13]
	v_add_f64 v[169:170], v[169:170], 0
	v_add_f64 v[229:230], v[231:232], 0
	s_waitcnt vmcnt(9)
	v_mul_f64 v[231:232], v[180:181], v[16:17]
	v_mul_f64 v[16:17], v[182:183], v[16:17]
	v_fma_f64 v[233:234], v[4:5], v[10:11], v[233:234]
	v_fma_f64 v[235:236], v[2:3], v[10:11], -v[12:13]
	ds_load_b128 v[2:5], v1 offset:1216
	scratch_load_b128 v[10:13], off, off offset:464
	v_add_f64 v[169:170], v[169:170], v[38:39]
	v_add_f64 v[229:230], v[229:230], v[40:41]
	ds_load_b128 v[38:41], v1 offset:1232
	v_fma_f64 v[182:183], v[182:183], v[14:15], v[231:232]
	v_fma_f64 v[180:181], v[180:181], v[14:15], -v[16:17]
	scratch_load_b128 v[14:17], off, off offset:480
	s_waitcnt vmcnt(10) lgkmcnt(1)
	v_mul_f64 v[237:238], v[2:3], v[20:21]
	v_mul_f64 v[20:21], v[4:5], v[20:21]
	s_waitcnt vmcnt(9) lgkmcnt(0)
	v_mul_f64 v[231:232], v[38:39], v[24:25]
	v_mul_f64 v[24:25], v[40:41], v[24:25]
	v_add_f64 v[169:170], v[169:170], v[235:236]
	v_add_f64 v[229:230], v[229:230], v[233:234]
	v_fma_f64 v[233:234], v[4:5], v[18:19], v[237:238]
	v_fma_f64 v[235:236], v[2:3], v[18:19], -v[20:21]
	ds_load_b128 v[2:5], v1 offset:1248
	scratch_load_b128 v[18:21], off, off offset:496
	v_fma_f64 v[40:41], v[40:41], v[22:23], v[231:232]
	v_fma_f64 v[38:39], v[38:39], v[22:23], -v[24:25]
	scratch_load_b128 v[22:25], off, off offset:512
	v_add_f64 v[169:170], v[169:170], v[180:181]
	v_add_f64 v[229:230], v[229:230], v[182:183]
	ds_load_b128 v[180:183], v1 offset:1264
	s_waitcnt vmcnt(10) lgkmcnt(1)
	v_mul_f64 v[237:238], v[2:3], v[28:29]
	v_mul_f64 v[28:29], v[4:5], v[28:29]
	s_waitcnt vmcnt(9) lgkmcnt(0)
	v_mul_f64 v[231:232], v[180:181], v[32:33]
	v_mul_f64 v[32:33], v[182:183], v[32:33]
	v_add_f64 v[169:170], v[169:170], v[235:236]
	v_add_f64 v[229:230], v[229:230], v[233:234]
	v_fma_f64 v[233:234], v[4:5], v[26:27], v[237:238]
	v_fma_f64 v[235:236], v[2:3], v[26:27], -v[28:29]
	ds_load_b128 v[2:5], v1 offset:1280
	scratch_load_b128 v[26:29], off, off offset:528
	v_fma_f64 v[182:183], v[182:183], v[30:31], v[231:232]
	v_fma_f64 v[180:181], v[180:181], v[30:31], -v[32:33]
	scratch_load_b128 v[30:33], off, off offset:544
	v_add_f64 v[169:170], v[169:170], v[38:39]
	v_add_f64 v[229:230], v[229:230], v[40:41]
	ds_load_b128 v[38:41], v1 offset:1296
	s_waitcnt vmcnt(10) lgkmcnt(1)
	v_mul_f64 v[237:238], v[2:3], v[36:37]
	v_mul_f64 v[36:37], v[4:5], v[36:37]
	s_waitcnt vmcnt(8) lgkmcnt(0)
	v_mul_f64 v[231:232], v[38:39], v[178:179]
	v_add_f64 v[169:170], v[169:170], v[235:236]
	v_add_f64 v[229:230], v[229:230], v[233:234]
	v_mul_f64 v[233:234], v[40:41], v[178:179]
	v_fma_f64 v[235:236], v[4:5], v[34:35], v[237:238]
	v_fma_f64 v[237:238], v[2:3], v[34:35], -v[36:37]
	ds_load_b128 v[2:5], v1 offset:1312
	scratch_load_b128 v[34:37], off, off offset:560
	v_fma_f64 v[231:232], v[40:41], v[176:177], v[231:232]
	v_add_f64 v[169:170], v[169:170], v[180:181]
	v_add_f64 v[182:183], v[229:230], v[182:183]
	ds_load_b128 v[178:181], v1 offset:1328
	v_fma_f64 v[176:177], v[38:39], v[176:177], -v[233:234]
	scratch_load_b128 v[38:41], off, off offset:576
	s_waitcnt vmcnt(9) lgkmcnt(1)
	v_mul_f64 v[229:230], v[2:3], v[44:45]
	v_mul_f64 v[44:45], v[4:5], v[44:45]
	s_waitcnt vmcnt(8) lgkmcnt(0)
	v_mul_f64 v[233:234], v[178:179], v[8:9]
	v_mul_f64 v[8:9], v[180:181], v[8:9]
	v_add_f64 v[169:170], v[169:170], v[237:238]
	v_add_f64 v[182:183], v[182:183], v[235:236]
	v_fma_f64 v[235:236], v[4:5], v[42:43], v[229:230]
	v_fma_f64 v[237:238], v[2:3], v[42:43], -v[44:45]
	ds_load_b128 v[2:5], v1 offset:1344
	scratch_load_b128 v[42:45], off, off offset:592
	v_fma_f64 v[180:181], v[180:181], v[6:7], v[233:234]
	v_fma_f64 v[178:179], v[178:179], v[6:7], -v[8:9]
	scratch_load_b128 v[6:9], off, off offset:608
	v_add_f64 v[169:170], v[169:170], v[176:177]
	v_add_f64 v[176:177], v[182:183], v[231:232]
	ds_load_b128 v[229:232], v1 offset:1360
	s_waitcnt vmcnt(9) lgkmcnt(1)
	v_mul_f64 v[182:183], v[2:3], v[12:13]
	v_mul_f64 v[12:13], v[4:5], v[12:13]
	s_waitcnt vmcnt(8) lgkmcnt(0)
	v_mul_f64 v[233:234], v[229:230], v[16:17]
	v_mul_f64 v[16:17], v[231:232], v[16:17]
	v_add_f64 v[169:170], v[169:170], v[237:238]
	v_add_f64 v[176:177], v[176:177], v[235:236]
	v_fma_f64 v[182:183], v[4:5], v[10:11], v[182:183]
	v_fma_f64 v[235:236], v[2:3], v[10:11], -v[12:13]
	ds_load_b128 v[2:5], v1 offset:1376
	scratch_load_b128 v[10:13], off, off offset:624
	v_fma_f64 v[231:232], v[231:232], v[14:15], v[233:234]
	v_fma_f64 v[229:230], v[229:230], v[14:15], -v[16:17]
	scratch_load_b128 v[14:17], off, off offset:640
	v_add_f64 v[169:170], v[169:170], v[178:179]
	v_add_f64 v[180:181], v[176:177], v[180:181]
	ds_load_b128 v[176:179], v1 offset:1392
	;; [unrolled: 18-line block ×4, first 2 shown]
	s_waitcnt vmcnt(9) lgkmcnt(1)
	v_mul_f64 v[237:238], v[2:3], v[36:37]
	v_mul_f64 v[36:37], v[4:5], v[36:37]
	v_add_f64 v[169:170], v[169:170], v[235:236]
	v_add_f64 v[229:230], v[229:230], v[231:232]
	s_waitcnt vmcnt(8) lgkmcnt(0)
	v_mul_f64 v[231:232], v[176:177], v[40:41]
	v_mul_f64 v[40:41], v[178:179], v[40:41]
	v_fma_f64 v[233:234], v[4:5], v[34:35], v[237:238]
	v_fma_f64 v[235:236], v[2:3], v[34:35], -v[36:37]
	ds_load_b128 v[2:5], v1 offset:1472
	scratch_load_b128 v[34:37], off, off offset:720
	v_add_f64 v[169:170], v[169:170], v[180:181]
	v_add_f64 v[229:230], v[229:230], v[182:183]
	ds_load_b128 v[180:183], v1 offset:1488
	s_waitcnt vmcnt(8) lgkmcnt(1)
	v_mul_f64 v[237:238], v[2:3], v[44:45]
	v_mul_f64 v[44:45], v[4:5], v[44:45]
	v_fma_f64 v[178:179], v[178:179], v[38:39], v[231:232]
	v_fma_f64 v[176:177], v[176:177], v[38:39], -v[40:41]
	scratch_load_b128 v[38:41], off, off offset:736
	s_waitcnt vmcnt(8) lgkmcnt(0)
	v_mul_f64 v[231:232], v[180:181], v[8:9]
	v_mul_f64 v[8:9], v[182:183], v[8:9]
	v_add_f64 v[169:170], v[169:170], v[235:236]
	v_add_f64 v[229:230], v[229:230], v[233:234]
	v_fma_f64 v[233:234], v[4:5], v[42:43], v[237:238]
	v_fma_f64 v[235:236], v[2:3], v[42:43], -v[44:45]
	ds_load_b128 v[2:5], v1 offset:1504
	scratch_load_b128 v[42:45], off, off offset:752
	v_fma_f64 v[182:183], v[182:183], v[6:7], v[231:232]
	v_fma_f64 v[180:181], v[180:181], v[6:7], -v[8:9]
	scratch_load_b128 v[6:9], off, off offset:768
	v_add_f64 v[169:170], v[169:170], v[176:177]
	v_add_f64 v[229:230], v[229:230], v[178:179]
	ds_load_b128 v[176:179], v1 offset:1520
	s_waitcnt vmcnt(9) lgkmcnt(1)
	v_mul_f64 v[237:238], v[2:3], v[12:13]
	v_mul_f64 v[12:13], v[4:5], v[12:13]
	s_waitcnt vmcnt(8) lgkmcnt(0)
	v_mul_f64 v[231:232], v[176:177], v[16:17]
	v_mul_f64 v[16:17], v[178:179], v[16:17]
	v_add_f64 v[169:170], v[169:170], v[235:236]
	v_add_f64 v[229:230], v[229:230], v[233:234]
	v_fma_f64 v[233:234], v[4:5], v[10:11], v[237:238]
	v_fma_f64 v[235:236], v[2:3], v[10:11], -v[12:13]
	ds_load_b128 v[2:5], v1 offset:1536
	scratch_load_b128 v[10:13], off, off offset:784
	v_fma_f64 v[178:179], v[178:179], v[14:15], v[231:232]
	v_fma_f64 v[176:177], v[176:177], v[14:15], -v[16:17]
	scratch_load_b128 v[14:17], off, off offset:800
	v_add_f64 v[169:170], v[169:170], v[180:181]
	v_add_f64 v[229:230], v[229:230], v[182:183]
	ds_load_b128 v[180:183], v1 offset:1552
	s_waitcnt vmcnt(9) lgkmcnt(1)
	v_mul_f64 v[237:238], v[2:3], v[20:21]
	v_mul_f64 v[20:21], v[4:5], v[20:21]
	;; [unrolled: 18-line block ×4, first 2 shown]
	s_waitcnt vmcnt(8) lgkmcnt(0)
	v_mul_f64 v[231:232], v[180:181], v[40:41]
	v_mul_f64 v[40:41], v[182:183], v[40:41]
	v_add_f64 v[169:170], v[169:170], v[235:236]
	v_add_f64 v[229:230], v[229:230], v[233:234]
	v_fma_f64 v[233:234], v[4:5], v[34:35], v[237:238]
	v_fma_f64 v[235:236], v[2:3], v[34:35], -v[36:37]
	ds_load_b128 v[2:5], v1 offset:1632
	ds_load_b128 v[34:37], v1 offset:1648
	v_fma_f64 v[182:183], v[182:183], v[38:39], v[231:232]
	v_fma_f64 v[38:39], v[180:181], v[38:39], -v[40:41]
	v_add_f64 v[169:170], v[169:170], v[176:177]
	v_add_f64 v[176:177], v[229:230], v[178:179]
	s_waitcnt vmcnt(7) lgkmcnt(1)
	v_mul_f64 v[178:179], v[2:3], v[44:45]
	v_mul_f64 v[44:45], v[4:5], v[44:45]
	s_delay_alu instid0(VALU_DEP_4) | instskip(NEXT) | instid1(VALU_DEP_4)
	v_add_f64 v[40:41], v[169:170], v[235:236]
	v_add_f64 v[169:170], v[176:177], v[233:234]
	s_waitcnt vmcnt(6) lgkmcnt(0)
	v_mul_f64 v[176:177], v[34:35], v[8:9]
	v_mul_f64 v[8:9], v[36:37], v[8:9]
	v_fma_f64 v[178:179], v[4:5], v[42:43], v[178:179]
	v_fma_f64 v[42:43], v[2:3], v[42:43], -v[44:45]
	v_add_f64 v[44:45], v[40:41], v[38:39]
	v_add_f64 v[169:170], v[169:170], v[182:183]
	ds_load_b128 v[2:5], v1 offset:1664
	ds_load_b128 v[38:41], v1 offset:1680
	v_fma_f64 v[36:37], v[36:37], v[6:7], v[176:177]
	v_fma_f64 v[6:7], v[34:35], v[6:7], -v[8:9]
	s_waitcnt vmcnt(5) lgkmcnt(1)
	v_mul_f64 v[180:181], v[2:3], v[12:13]
	v_mul_f64 v[12:13], v[4:5], v[12:13]
	v_add_f64 v[8:9], v[44:45], v[42:43]
	v_add_f64 v[34:35], v[169:170], v[178:179]
	s_waitcnt vmcnt(4) lgkmcnt(0)
	v_mul_f64 v[42:43], v[38:39], v[16:17]
	v_mul_f64 v[16:17], v[40:41], v[16:17]
	v_fma_f64 v[44:45], v[4:5], v[10:11], v[180:181]
	v_fma_f64 v[10:11], v[2:3], v[10:11], -v[12:13]
	v_add_f64 v[12:13], v[8:9], v[6:7]
	v_add_f64 v[34:35], v[34:35], v[36:37]
	ds_load_b128 v[2:5], v1 offset:1696
	ds_load_b128 v[6:9], v1 offset:1712
	v_fma_f64 v[40:41], v[40:41], v[14:15], v[42:43]
	v_fma_f64 v[14:15], v[38:39], v[14:15], -v[16:17]
	s_waitcnt vmcnt(3) lgkmcnt(1)
	v_mul_f64 v[36:37], v[2:3], v[20:21]
	v_mul_f64 v[20:21], v[4:5], v[20:21]
	s_waitcnt vmcnt(2) lgkmcnt(0)
	v_mul_f64 v[16:17], v[6:7], v[24:25]
	v_mul_f64 v[24:25], v[8:9], v[24:25]
	v_add_f64 v[10:11], v[12:13], v[10:11]
	v_add_f64 v[12:13], v[34:35], v[44:45]
	v_fma_f64 v[34:35], v[4:5], v[18:19], v[36:37]
	v_fma_f64 v[18:19], v[2:3], v[18:19], -v[20:21]
	v_fma_f64 v[8:9], v[8:9], v[22:23], v[16:17]
	v_fma_f64 v[6:7], v[6:7], v[22:23], -v[24:25]
	v_add_f64 v[14:15], v[10:11], v[14:15]
	v_add_f64 v[20:21], v[12:13], v[40:41]
	ds_load_b128 v[2:5], v1 offset:1728
	ds_load_b128 v[10:13], v1 offset:1744
	s_waitcnt vmcnt(1) lgkmcnt(1)
	v_mul_f64 v[36:37], v[2:3], v[28:29]
	v_mul_f64 v[28:29], v[4:5], v[28:29]
	v_add_f64 v[14:15], v[14:15], v[18:19]
	v_add_f64 v[16:17], v[20:21], v[34:35]
	s_waitcnt vmcnt(0) lgkmcnt(0)
	v_mul_f64 v[18:19], v[10:11], v[32:33]
	v_mul_f64 v[20:21], v[12:13], v[32:33]
	v_fma_f64 v[4:5], v[4:5], v[26:27], v[36:37]
	v_fma_f64 v[1:2], v[2:3], v[26:27], -v[28:29]
	v_add_f64 v[6:7], v[14:15], v[6:7]
	v_add_f64 v[8:9], v[16:17], v[8:9]
	v_fma_f64 v[12:13], v[12:13], v[30:31], v[18:19]
	v_fma_f64 v[10:11], v[10:11], v[30:31], -v[20:21]
	s_delay_alu instid0(VALU_DEP_4) | instskip(NEXT) | instid1(VALU_DEP_4)
	v_add_f64 v[1:2], v[6:7], v[1:2]
	v_add_f64 v[3:4], v[8:9], v[4:5]
	s_delay_alu instid0(VALU_DEP_2) | instskip(NEXT) | instid1(VALU_DEP_2)
	v_add_f64 v[1:2], v[1:2], v[10:11]
	v_add_f64 v[3:4], v[3:4], v[12:13]
	s_delay_alu instid0(VALU_DEP_2) | instskip(NEXT) | instid1(VALU_DEP_2)
	v_add_f64 v[1:2], v[172:173], -v[1:2]
	v_add_f64 v[3:4], v[174:175], -v[3:4]
	scratch_store_b128 off, v[1:4], off offset:256
	v_cmpx_lt_u32_e32 15, v156
	s_cbranch_execz .LBB118_313
; %bb.312:
	scratch_load_b128 v[1:4], v196, off
	v_mov_b32_e32 v5, 0
	s_delay_alu instid0(VALU_DEP_1)
	v_mov_b32_e32 v6, v5
	v_mov_b32_e32 v7, v5
	v_mov_b32_e32 v8, v5
	scratch_store_b128 off, v[5:8], off offset:240
	s_waitcnt vmcnt(0)
	ds_store_b128 v211, v[1:4]
.LBB118_313:
	s_or_b32 exec_lo, exec_lo, s2
	s_waitcnt lgkmcnt(0)
	s_waitcnt_vscnt null, 0x0
	s_barrier
	buffer_gl0_inv
	s_clause 0x7
	scratch_load_b128 v[2:5], off, off offset:256
	scratch_load_b128 v[6:9], off, off offset:272
	;; [unrolled: 1-line block ×8, first 2 shown]
	v_mov_b32_e32 v1, 0
	s_mov_b32 s2, exec_lo
	ds_load_b128 v[38:41], v1 offset:1136
	s_clause 0x1
	scratch_load_b128 v[34:37], off, off offset:384
	scratch_load_b128 v[42:45], off, off offset:240
	ds_load_b128 v[172:175], v1 offset:1152
	scratch_load_b128 v[176:179], off, off offset:400
	ds_load_b128 v[180:183], v1 offset:1184
	s_waitcnt vmcnt(10) lgkmcnt(2)
	v_mul_f64 v[169:170], v[40:41], v[4:5]
	v_mul_f64 v[4:5], v[38:39], v[4:5]
	s_delay_alu instid0(VALU_DEP_2) | instskip(NEXT) | instid1(VALU_DEP_2)
	v_fma_f64 v[169:170], v[38:39], v[2:3], -v[169:170]
	v_fma_f64 v[231:232], v[40:41], v[2:3], v[4:5]
	ds_load_b128 v[2:5], v1 offset:1168
	s_waitcnt vmcnt(9) lgkmcnt(2)
	v_mul_f64 v[229:230], v[172:173], v[8:9]
	v_mul_f64 v[8:9], v[174:175], v[8:9]
	scratch_load_b128 v[38:41], off, off offset:416
	s_waitcnt vmcnt(9) lgkmcnt(0)
	v_mul_f64 v[233:234], v[2:3], v[12:13]
	v_mul_f64 v[12:13], v[4:5], v[12:13]
	v_add_f64 v[169:170], v[169:170], 0
	v_fma_f64 v[174:175], v[174:175], v[6:7], v[229:230]
	v_fma_f64 v[172:173], v[172:173], v[6:7], -v[8:9]
	v_add_f64 v[229:230], v[231:232], 0
	scratch_load_b128 v[6:9], off, off offset:432
	v_fma_f64 v[233:234], v[4:5], v[10:11], v[233:234]
	v_fma_f64 v[235:236], v[2:3], v[10:11], -v[12:13]
	scratch_load_b128 v[10:13], off, off offset:448
	ds_load_b128 v[2:5], v1 offset:1200
	s_waitcnt vmcnt(10)
	v_mul_f64 v[231:232], v[180:181], v[16:17]
	v_mul_f64 v[16:17], v[182:183], v[16:17]
	v_add_f64 v[169:170], v[169:170], v[172:173]
	v_add_f64 v[229:230], v[229:230], v[174:175]
	ds_load_b128 v[172:175], v1 offset:1216
	s_waitcnt vmcnt(9) lgkmcnt(1)
	v_mul_f64 v[237:238], v[2:3], v[20:21]
	v_mul_f64 v[20:21], v[4:5], v[20:21]
	v_fma_f64 v[182:183], v[182:183], v[14:15], v[231:232]
	v_fma_f64 v[180:181], v[180:181], v[14:15], -v[16:17]
	scratch_load_b128 v[14:17], off, off offset:464
	v_add_f64 v[169:170], v[169:170], v[235:236]
	v_add_f64 v[229:230], v[229:230], v[233:234]
	v_fma_f64 v[233:234], v[4:5], v[18:19], v[237:238]
	v_fma_f64 v[235:236], v[2:3], v[18:19], -v[20:21]
	scratch_load_b128 v[18:21], off, off offset:480
	ds_load_b128 v[2:5], v1 offset:1232
	s_waitcnt vmcnt(10) lgkmcnt(1)
	v_mul_f64 v[231:232], v[172:173], v[24:25]
	v_mul_f64 v[24:25], v[174:175], v[24:25]
	s_waitcnt vmcnt(9) lgkmcnt(0)
	v_mul_f64 v[237:238], v[2:3], v[28:29]
	v_mul_f64 v[28:29], v[4:5], v[28:29]
	v_add_f64 v[169:170], v[169:170], v[180:181]
	v_add_f64 v[229:230], v[229:230], v[182:183]
	ds_load_b128 v[180:183], v1 offset:1248
	v_fma_f64 v[174:175], v[174:175], v[22:23], v[231:232]
	v_fma_f64 v[172:173], v[172:173], v[22:23], -v[24:25]
	scratch_load_b128 v[22:25], off, off offset:496
	v_add_f64 v[169:170], v[169:170], v[235:236]
	v_add_f64 v[229:230], v[229:230], v[233:234]
	v_fma_f64 v[233:234], v[4:5], v[26:27], v[237:238]
	v_fma_f64 v[235:236], v[2:3], v[26:27], -v[28:29]
	scratch_load_b128 v[26:29], off, off offset:512
	ds_load_b128 v[2:5], v1 offset:1264
	s_waitcnt vmcnt(10) lgkmcnt(1)
	v_mul_f64 v[231:232], v[180:181], v[32:33]
	v_mul_f64 v[32:33], v[182:183], v[32:33]
	s_waitcnt vmcnt(9) lgkmcnt(0)
	v_mul_f64 v[237:238], v[2:3], v[36:37]
	v_mul_f64 v[36:37], v[4:5], v[36:37]
	v_add_f64 v[169:170], v[169:170], v[172:173]
	v_add_f64 v[229:230], v[229:230], v[174:175]
	ds_load_b128 v[172:175], v1 offset:1280
	v_fma_f64 v[182:183], v[182:183], v[30:31], v[231:232]
	v_fma_f64 v[180:181], v[180:181], v[30:31], -v[32:33]
	scratch_load_b128 v[30:33], off, off offset:528
	v_add_f64 v[169:170], v[169:170], v[235:236]
	v_add_f64 v[229:230], v[229:230], v[233:234]
	v_fma_f64 v[235:236], v[4:5], v[34:35], v[237:238]
	v_fma_f64 v[237:238], v[2:3], v[34:35], -v[36:37]
	scratch_load_b128 v[34:37], off, off offset:544
	ds_load_b128 v[2:5], v1 offset:1296
	s_waitcnt vmcnt(9) lgkmcnt(1)
	v_mul_f64 v[231:232], v[172:173], v[178:179]
	v_mul_f64 v[233:234], v[174:175], v[178:179]
	v_add_f64 v[169:170], v[169:170], v[180:181]
	v_add_f64 v[182:183], v[229:230], v[182:183]
	ds_load_b128 v[178:181], v1 offset:1312
	v_fma_f64 v[231:232], v[174:175], v[176:177], v[231:232]
	v_fma_f64 v[176:177], v[172:173], v[176:177], -v[233:234]
	scratch_load_b128 v[172:175], off, off offset:560
	s_waitcnt vmcnt(9) lgkmcnt(1)
	v_mul_f64 v[229:230], v[2:3], v[40:41]
	v_mul_f64 v[40:41], v[4:5], v[40:41]
	v_add_f64 v[169:170], v[169:170], v[237:238]
	v_add_f64 v[182:183], v[182:183], v[235:236]
	s_delay_alu instid0(VALU_DEP_4) | instskip(NEXT) | instid1(VALU_DEP_4)
	v_fma_f64 v[235:236], v[4:5], v[38:39], v[229:230]
	v_fma_f64 v[237:238], v[2:3], v[38:39], -v[40:41]
	scratch_load_b128 v[38:41], off, off offset:576
	ds_load_b128 v[2:5], v1 offset:1328
	s_waitcnt vmcnt(9) lgkmcnt(1)
	v_mul_f64 v[233:234], v[178:179], v[8:9]
	v_mul_f64 v[8:9], v[180:181], v[8:9]
	v_add_f64 v[169:170], v[169:170], v[176:177]
	v_add_f64 v[176:177], v[182:183], v[231:232]
	s_waitcnt vmcnt(8) lgkmcnt(0)
	v_mul_f64 v[182:183], v[2:3], v[12:13]
	v_mul_f64 v[12:13], v[4:5], v[12:13]
	ds_load_b128 v[229:232], v1 offset:1344
	v_fma_f64 v[180:181], v[180:181], v[6:7], v[233:234]
	v_fma_f64 v[178:179], v[178:179], v[6:7], -v[8:9]
	scratch_load_b128 v[6:9], off, off offset:592
	v_add_f64 v[169:170], v[169:170], v[237:238]
	v_add_f64 v[176:177], v[176:177], v[235:236]
	v_fma_f64 v[182:183], v[4:5], v[10:11], v[182:183]
	v_fma_f64 v[235:236], v[2:3], v[10:11], -v[12:13]
	scratch_load_b128 v[10:13], off, off offset:608
	ds_load_b128 v[2:5], v1 offset:1360
	s_waitcnt vmcnt(9) lgkmcnt(1)
	v_mul_f64 v[233:234], v[229:230], v[16:17]
	v_mul_f64 v[16:17], v[231:232], v[16:17]
	s_waitcnt vmcnt(8) lgkmcnt(0)
	v_mul_f64 v[237:238], v[2:3], v[20:21]
	v_mul_f64 v[20:21], v[4:5], v[20:21]
	v_add_f64 v[169:170], v[169:170], v[178:179]
	v_add_f64 v[180:181], v[176:177], v[180:181]
	ds_load_b128 v[176:179], v1 offset:1376
	v_fma_f64 v[231:232], v[231:232], v[14:15], v[233:234]
	v_fma_f64 v[229:230], v[229:230], v[14:15], -v[16:17]
	scratch_load_b128 v[14:17], off, off offset:624
	v_add_f64 v[169:170], v[169:170], v[235:236]
	v_add_f64 v[180:181], v[180:181], v[182:183]
	v_fma_f64 v[235:236], v[4:5], v[18:19], v[237:238]
	v_fma_f64 v[237:238], v[2:3], v[18:19], -v[20:21]
	scratch_load_b128 v[18:21], off, off offset:640
	ds_load_b128 v[2:5], v1 offset:1392
	s_waitcnt vmcnt(9) lgkmcnt(1)
	v_mul_f64 v[233:234], v[176:177], v[24:25]
	v_mul_f64 v[24:25], v[178:179], v[24:25]
	v_add_f64 v[169:170], v[169:170], v[229:230]
	v_add_f64 v[229:230], v[180:181], v[231:232]
	s_waitcnt vmcnt(8) lgkmcnt(0)
	v_mul_f64 v[231:232], v[2:3], v[28:29]
	v_mul_f64 v[28:29], v[4:5], v[28:29]
	ds_load_b128 v[180:183], v1 offset:1408
	v_fma_f64 v[178:179], v[178:179], v[22:23], v[233:234]
	v_fma_f64 v[176:177], v[176:177], v[22:23], -v[24:25]
	scratch_load_b128 v[22:25], off, off offset:656
	v_add_f64 v[169:170], v[169:170], v[237:238]
	v_add_f64 v[229:230], v[229:230], v[235:236]
	v_fma_f64 v[231:232], v[4:5], v[26:27], v[231:232]
	v_fma_f64 v[235:236], v[2:3], v[26:27], -v[28:29]
	scratch_load_b128 v[26:29], off, off offset:672
	ds_load_b128 v[2:5], v1 offset:1424
	s_waitcnt vmcnt(9) lgkmcnt(1)
	v_mul_f64 v[233:234], v[180:181], v[32:33]
	v_mul_f64 v[32:33], v[182:183], v[32:33]
	s_waitcnt vmcnt(8) lgkmcnt(0)
	v_mul_f64 v[237:238], v[2:3], v[36:37]
	v_mul_f64 v[36:37], v[4:5], v[36:37]
	v_add_f64 v[169:170], v[169:170], v[176:177]
	v_add_f64 v[229:230], v[229:230], v[178:179]
	ds_load_b128 v[176:179], v1 offset:1440
	v_fma_f64 v[182:183], v[182:183], v[30:31], v[233:234]
	v_fma_f64 v[180:181], v[180:181], v[30:31], -v[32:33]
	scratch_load_b128 v[30:33], off, off offset:688
	v_fma_f64 v[233:234], v[4:5], v[34:35], v[237:238]
	v_add_f64 v[169:170], v[169:170], v[235:236]
	v_add_f64 v[229:230], v[229:230], v[231:232]
	v_fma_f64 v[235:236], v[2:3], v[34:35], -v[36:37]
	scratch_load_b128 v[34:37], off, off offset:704
	ds_load_b128 v[2:5], v1 offset:1456
	s_waitcnt vmcnt(9) lgkmcnt(1)
	v_mul_f64 v[231:232], v[176:177], v[174:175]
	v_mul_f64 v[174:175], v[178:179], v[174:175]
	s_waitcnt vmcnt(8) lgkmcnt(0)
	v_mul_f64 v[237:238], v[2:3], v[40:41]
	v_mul_f64 v[40:41], v[4:5], v[40:41]
	v_add_f64 v[169:170], v[169:170], v[180:181]
	v_add_f64 v[229:230], v[229:230], v[182:183]
	ds_load_b128 v[180:183], v1 offset:1472
	v_fma_f64 v[178:179], v[178:179], v[172:173], v[231:232]
	v_fma_f64 v[176:177], v[176:177], v[172:173], -v[174:175]
	scratch_load_b128 v[172:175], off, off offset:720
	v_add_f64 v[169:170], v[169:170], v[235:236]
	v_add_f64 v[229:230], v[229:230], v[233:234]
	v_fma_f64 v[233:234], v[4:5], v[38:39], v[237:238]
	v_fma_f64 v[235:236], v[2:3], v[38:39], -v[40:41]
	scratch_load_b128 v[38:41], off, off offset:736
	ds_load_b128 v[2:5], v1 offset:1488
	s_waitcnt vmcnt(9) lgkmcnt(1)
	v_mul_f64 v[231:232], v[180:181], v[8:9]
	v_mul_f64 v[8:9], v[182:183], v[8:9]
	s_waitcnt vmcnt(8) lgkmcnt(0)
	v_mul_f64 v[237:238], v[2:3], v[12:13]
	v_mul_f64 v[12:13], v[4:5], v[12:13]
	v_add_f64 v[169:170], v[169:170], v[176:177]
	v_add_f64 v[229:230], v[229:230], v[178:179]
	ds_load_b128 v[176:179], v1 offset:1504
	v_fma_f64 v[182:183], v[182:183], v[6:7], v[231:232]
	v_fma_f64 v[180:181], v[180:181], v[6:7], -v[8:9]
	scratch_load_b128 v[6:9], off, off offset:752
	v_add_f64 v[169:170], v[169:170], v[235:236]
	v_add_f64 v[229:230], v[229:230], v[233:234]
	v_fma_f64 v[233:234], v[4:5], v[10:11], v[237:238]
	;; [unrolled: 18-line block ×5, first 2 shown]
	v_fma_f64 v[237:238], v[2:3], v[34:35], -v[36:37]
	scratch_load_b128 v[34:37], off, off offset:864
	ds_load_b128 v[2:5], v1 offset:1616
	s_waitcnt vmcnt(9) lgkmcnt(1)
	v_mul_f64 v[231:232], v[180:181], v[174:175]
	v_mul_f64 v[233:234], v[182:183], v[174:175]
	v_add_f64 v[169:170], v[169:170], v[176:177]
	v_add_f64 v[178:179], v[229:230], v[178:179]
	s_waitcnt vmcnt(8) lgkmcnt(0)
	v_mul_f64 v[229:230], v[2:3], v[40:41]
	v_mul_f64 v[40:41], v[4:5], v[40:41]
	ds_load_b128 v[174:177], v1 offset:1632
	v_fma_f64 v[182:183], v[182:183], v[172:173], v[231:232]
	v_fma_f64 v[172:173], v[180:181], v[172:173], -v[233:234]
	s_waitcnt vmcnt(7) lgkmcnt(0)
	v_mul_f64 v[180:181], v[174:175], v[8:9]
	v_mul_f64 v[8:9], v[176:177], v[8:9]
	v_add_f64 v[169:170], v[169:170], v[237:238]
	v_add_f64 v[178:179], v[178:179], v[235:236]
	v_fma_f64 v[229:230], v[4:5], v[38:39], v[229:230]
	v_fma_f64 v[231:232], v[2:3], v[38:39], -v[40:41]
	ds_load_b128 v[2:5], v1 offset:1648
	ds_load_b128 v[38:41], v1 offset:1664
	v_fma_f64 v[176:177], v[176:177], v[6:7], v[180:181]
	v_fma_f64 v[6:7], v[174:175], v[6:7], -v[8:9]
	v_add_f64 v[169:170], v[169:170], v[172:173]
	v_add_f64 v[172:173], v[178:179], v[182:183]
	s_waitcnt vmcnt(6) lgkmcnt(1)
	v_mul_f64 v[178:179], v[2:3], v[12:13]
	v_mul_f64 v[12:13], v[4:5], v[12:13]
	s_delay_alu instid0(VALU_DEP_4) | instskip(NEXT) | instid1(VALU_DEP_4)
	v_add_f64 v[8:9], v[169:170], v[231:232]
	v_add_f64 v[169:170], v[172:173], v[229:230]
	s_waitcnt vmcnt(5) lgkmcnt(0)
	v_mul_f64 v[172:173], v[38:39], v[16:17]
	v_mul_f64 v[16:17], v[40:41], v[16:17]
	v_fma_f64 v[174:175], v[4:5], v[10:11], v[178:179]
	v_fma_f64 v[10:11], v[2:3], v[10:11], -v[12:13]
	v_add_f64 v[12:13], v[8:9], v[6:7]
	v_add_f64 v[169:170], v[169:170], v[176:177]
	ds_load_b128 v[2:5], v1 offset:1680
	ds_load_b128 v[6:9], v1 offset:1696
	v_fma_f64 v[40:41], v[40:41], v[14:15], v[172:173]
	v_fma_f64 v[14:15], v[38:39], v[14:15], -v[16:17]
	s_waitcnt vmcnt(4) lgkmcnt(1)
	v_mul_f64 v[176:177], v[2:3], v[20:21]
	v_mul_f64 v[20:21], v[4:5], v[20:21]
	s_waitcnt vmcnt(3) lgkmcnt(0)
	v_mul_f64 v[16:17], v[6:7], v[24:25]
	v_mul_f64 v[24:25], v[8:9], v[24:25]
	v_add_f64 v[10:11], v[12:13], v[10:11]
	v_add_f64 v[12:13], v[169:170], v[174:175]
	v_fma_f64 v[38:39], v[4:5], v[18:19], v[176:177]
	v_fma_f64 v[18:19], v[2:3], v[18:19], -v[20:21]
	v_fma_f64 v[8:9], v[8:9], v[22:23], v[16:17]
	v_fma_f64 v[6:7], v[6:7], v[22:23], -v[24:25]
	v_add_f64 v[14:15], v[10:11], v[14:15]
	v_add_f64 v[20:21], v[12:13], v[40:41]
	ds_load_b128 v[2:5], v1 offset:1712
	ds_load_b128 v[10:13], v1 offset:1728
	s_waitcnt vmcnt(2) lgkmcnt(1)
	v_mul_f64 v[40:41], v[2:3], v[28:29]
	v_mul_f64 v[28:29], v[4:5], v[28:29]
	v_add_f64 v[14:15], v[14:15], v[18:19]
	v_add_f64 v[16:17], v[20:21], v[38:39]
	s_waitcnt vmcnt(1) lgkmcnt(0)
	v_mul_f64 v[18:19], v[10:11], v[32:33]
	v_mul_f64 v[20:21], v[12:13], v[32:33]
	v_fma_f64 v[22:23], v[4:5], v[26:27], v[40:41]
	v_fma_f64 v[24:25], v[2:3], v[26:27], -v[28:29]
	ds_load_b128 v[2:5], v1 offset:1744
	v_add_f64 v[6:7], v[14:15], v[6:7]
	v_add_f64 v[8:9], v[16:17], v[8:9]
	v_fma_f64 v[12:13], v[12:13], v[30:31], v[18:19]
	v_fma_f64 v[10:11], v[10:11], v[30:31], -v[20:21]
	s_waitcnt vmcnt(0) lgkmcnt(0)
	v_mul_f64 v[14:15], v[2:3], v[36:37]
	v_mul_f64 v[16:17], v[4:5], v[36:37]
	v_add_f64 v[6:7], v[6:7], v[24:25]
	v_add_f64 v[8:9], v[8:9], v[22:23]
	s_delay_alu instid0(VALU_DEP_4) | instskip(NEXT) | instid1(VALU_DEP_4)
	v_fma_f64 v[4:5], v[4:5], v[34:35], v[14:15]
	v_fma_f64 v[2:3], v[2:3], v[34:35], -v[16:17]
	s_delay_alu instid0(VALU_DEP_4) | instskip(NEXT) | instid1(VALU_DEP_4)
	v_add_f64 v[6:7], v[6:7], v[10:11]
	v_add_f64 v[8:9], v[8:9], v[12:13]
	s_delay_alu instid0(VALU_DEP_2) | instskip(NEXT) | instid1(VALU_DEP_2)
	v_add_f64 v[2:3], v[6:7], v[2:3]
	v_add_f64 v[4:5], v[8:9], v[4:5]
	s_delay_alu instid0(VALU_DEP_2) | instskip(NEXT) | instid1(VALU_DEP_2)
	v_add_f64 v[2:3], v[42:43], -v[2:3]
	v_add_f64 v[4:5], v[44:45], -v[4:5]
	scratch_store_b128 off, v[2:5], off offset:240
	v_cmpx_lt_u32_e32 14, v156
	s_cbranch_execz .LBB118_315
; %bb.314:
	scratch_load_b128 v[5:8], v197, off
	v_mov_b32_e32 v2, v1
	v_mov_b32_e32 v3, v1
	;; [unrolled: 1-line block ×3, first 2 shown]
	scratch_store_b128 off, v[1:4], off offset:224
	s_waitcnt vmcnt(0)
	ds_store_b128 v211, v[5:8]
.LBB118_315:
	s_or_b32 exec_lo, exec_lo, s2
	s_waitcnt lgkmcnt(0)
	s_waitcnt_vscnt null, 0x0
	s_barrier
	buffer_gl0_inv
	s_clause 0x8
	scratch_load_b128 v[2:5], off, off offset:240
	scratch_load_b128 v[6:9], off, off offset:256
	;; [unrolled: 1-line block ×9, first 2 shown]
	ds_load_b128 v[42:45], v1 offset:1120
	ds_load_b128 v[38:41], v1 offset:1136
	s_clause 0x1
	scratch_load_b128 v[172:175], off, off offset:224
	scratch_load_b128 v[176:179], off, off offset:384
	s_mov_b32 s2, exec_lo
	ds_load_b128 v[180:183], v1 offset:1168
	s_waitcnt vmcnt(10) lgkmcnt(2)
	v_mul_f64 v[169:170], v[44:45], v[4:5]
	v_mul_f64 v[4:5], v[42:43], v[4:5]
	s_waitcnt vmcnt(9) lgkmcnt(1)
	v_mul_f64 v[229:230], v[38:39], v[8:9]
	v_mul_f64 v[8:9], v[40:41], v[8:9]
	s_delay_alu instid0(VALU_DEP_4) | instskip(NEXT) | instid1(VALU_DEP_4)
	v_fma_f64 v[169:170], v[42:43], v[2:3], -v[169:170]
	v_fma_f64 v[231:232], v[44:45], v[2:3], v[4:5]
	ds_load_b128 v[2:5], v1 offset:1152
	scratch_load_b128 v[42:45], off, off offset:400
	v_fma_f64 v[40:41], v[40:41], v[6:7], v[229:230]
	v_fma_f64 v[38:39], v[38:39], v[6:7], -v[8:9]
	scratch_load_b128 v[6:9], off, off offset:416
	s_waitcnt vmcnt(10) lgkmcnt(0)
	v_mul_f64 v[233:234], v[2:3], v[12:13]
	v_mul_f64 v[12:13], v[4:5], v[12:13]
	v_add_f64 v[169:170], v[169:170], 0
	v_add_f64 v[229:230], v[231:232], 0
	s_waitcnt vmcnt(9)
	v_mul_f64 v[231:232], v[180:181], v[16:17]
	v_mul_f64 v[16:17], v[182:183], v[16:17]
	v_fma_f64 v[233:234], v[4:5], v[10:11], v[233:234]
	v_fma_f64 v[235:236], v[2:3], v[10:11], -v[12:13]
	ds_load_b128 v[2:5], v1 offset:1184
	scratch_load_b128 v[10:13], off, off offset:432
	v_add_f64 v[169:170], v[169:170], v[38:39]
	v_add_f64 v[229:230], v[229:230], v[40:41]
	ds_load_b128 v[38:41], v1 offset:1200
	v_fma_f64 v[182:183], v[182:183], v[14:15], v[231:232]
	v_fma_f64 v[180:181], v[180:181], v[14:15], -v[16:17]
	scratch_load_b128 v[14:17], off, off offset:448
	s_waitcnt vmcnt(10) lgkmcnt(1)
	v_mul_f64 v[237:238], v[2:3], v[20:21]
	v_mul_f64 v[20:21], v[4:5], v[20:21]
	s_waitcnt vmcnt(9) lgkmcnt(0)
	v_mul_f64 v[231:232], v[38:39], v[24:25]
	v_mul_f64 v[24:25], v[40:41], v[24:25]
	v_add_f64 v[169:170], v[169:170], v[235:236]
	v_add_f64 v[229:230], v[229:230], v[233:234]
	v_fma_f64 v[233:234], v[4:5], v[18:19], v[237:238]
	v_fma_f64 v[235:236], v[2:3], v[18:19], -v[20:21]
	ds_load_b128 v[2:5], v1 offset:1216
	scratch_load_b128 v[18:21], off, off offset:464
	v_fma_f64 v[40:41], v[40:41], v[22:23], v[231:232]
	v_fma_f64 v[38:39], v[38:39], v[22:23], -v[24:25]
	scratch_load_b128 v[22:25], off, off offset:480
	v_add_f64 v[169:170], v[169:170], v[180:181]
	v_add_f64 v[229:230], v[229:230], v[182:183]
	ds_load_b128 v[180:183], v1 offset:1232
	s_waitcnt vmcnt(10) lgkmcnt(1)
	v_mul_f64 v[237:238], v[2:3], v[28:29]
	v_mul_f64 v[28:29], v[4:5], v[28:29]
	s_waitcnt vmcnt(9) lgkmcnt(0)
	v_mul_f64 v[231:232], v[180:181], v[32:33]
	v_mul_f64 v[32:33], v[182:183], v[32:33]
	v_add_f64 v[169:170], v[169:170], v[235:236]
	v_add_f64 v[229:230], v[229:230], v[233:234]
	v_fma_f64 v[233:234], v[4:5], v[26:27], v[237:238]
	v_fma_f64 v[235:236], v[2:3], v[26:27], -v[28:29]
	ds_load_b128 v[2:5], v1 offset:1248
	scratch_load_b128 v[26:29], off, off offset:496
	v_fma_f64 v[182:183], v[182:183], v[30:31], v[231:232]
	v_fma_f64 v[180:181], v[180:181], v[30:31], -v[32:33]
	scratch_load_b128 v[30:33], off, off offset:512
	v_add_f64 v[169:170], v[169:170], v[38:39]
	v_add_f64 v[229:230], v[229:230], v[40:41]
	ds_load_b128 v[38:41], v1 offset:1264
	s_waitcnt vmcnt(10) lgkmcnt(1)
	v_mul_f64 v[237:238], v[2:3], v[36:37]
	v_mul_f64 v[36:37], v[4:5], v[36:37]
	s_waitcnt vmcnt(8) lgkmcnt(0)
	v_mul_f64 v[231:232], v[38:39], v[178:179]
	v_add_f64 v[169:170], v[169:170], v[235:236]
	v_add_f64 v[229:230], v[229:230], v[233:234]
	v_mul_f64 v[233:234], v[40:41], v[178:179]
	v_fma_f64 v[235:236], v[4:5], v[34:35], v[237:238]
	v_fma_f64 v[237:238], v[2:3], v[34:35], -v[36:37]
	ds_load_b128 v[2:5], v1 offset:1280
	scratch_load_b128 v[34:37], off, off offset:528
	v_fma_f64 v[231:232], v[40:41], v[176:177], v[231:232]
	v_add_f64 v[169:170], v[169:170], v[180:181]
	v_add_f64 v[182:183], v[229:230], v[182:183]
	ds_load_b128 v[178:181], v1 offset:1296
	v_fma_f64 v[176:177], v[38:39], v[176:177], -v[233:234]
	scratch_load_b128 v[38:41], off, off offset:544
	s_waitcnt vmcnt(9) lgkmcnt(1)
	v_mul_f64 v[229:230], v[2:3], v[44:45]
	v_mul_f64 v[44:45], v[4:5], v[44:45]
	s_waitcnt vmcnt(8) lgkmcnt(0)
	v_mul_f64 v[233:234], v[178:179], v[8:9]
	v_mul_f64 v[8:9], v[180:181], v[8:9]
	v_add_f64 v[169:170], v[169:170], v[237:238]
	v_add_f64 v[182:183], v[182:183], v[235:236]
	v_fma_f64 v[235:236], v[4:5], v[42:43], v[229:230]
	v_fma_f64 v[237:238], v[2:3], v[42:43], -v[44:45]
	ds_load_b128 v[2:5], v1 offset:1312
	scratch_load_b128 v[42:45], off, off offset:560
	v_fma_f64 v[180:181], v[180:181], v[6:7], v[233:234]
	v_fma_f64 v[178:179], v[178:179], v[6:7], -v[8:9]
	scratch_load_b128 v[6:9], off, off offset:576
	v_add_f64 v[169:170], v[169:170], v[176:177]
	v_add_f64 v[176:177], v[182:183], v[231:232]
	ds_load_b128 v[229:232], v1 offset:1328
	s_waitcnt vmcnt(9) lgkmcnt(1)
	v_mul_f64 v[182:183], v[2:3], v[12:13]
	v_mul_f64 v[12:13], v[4:5], v[12:13]
	s_waitcnt vmcnt(8) lgkmcnt(0)
	v_mul_f64 v[233:234], v[229:230], v[16:17]
	v_mul_f64 v[16:17], v[231:232], v[16:17]
	v_add_f64 v[169:170], v[169:170], v[237:238]
	v_add_f64 v[176:177], v[176:177], v[235:236]
	v_fma_f64 v[182:183], v[4:5], v[10:11], v[182:183]
	v_fma_f64 v[235:236], v[2:3], v[10:11], -v[12:13]
	ds_load_b128 v[2:5], v1 offset:1344
	scratch_load_b128 v[10:13], off, off offset:592
	v_fma_f64 v[231:232], v[231:232], v[14:15], v[233:234]
	v_fma_f64 v[229:230], v[229:230], v[14:15], -v[16:17]
	scratch_load_b128 v[14:17], off, off offset:608
	v_add_f64 v[169:170], v[169:170], v[178:179]
	v_add_f64 v[180:181], v[176:177], v[180:181]
	ds_load_b128 v[176:179], v1 offset:1360
	;; [unrolled: 18-line block ×4, first 2 shown]
	s_waitcnt vmcnt(9) lgkmcnt(1)
	v_mul_f64 v[237:238], v[2:3], v[36:37]
	v_mul_f64 v[36:37], v[4:5], v[36:37]
	v_add_f64 v[169:170], v[169:170], v[235:236]
	v_add_f64 v[229:230], v[229:230], v[231:232]
	s_waitcnt vmcnt(8) lgkmcnt(0)
	v_mul_f64 v[231:232], v[176:177], v[40:41]
	v_mul_f64 v[40:41], v[178:179], v[40:41]
	v_fma_f64 v[233:234], v[4:5], v[34:35], v[237:238]
	v_fma_f64 v[235:236], v[2:3], v[34:35], -v[36:37]
	ds_load_b128 v[2:5], v1 offset:1440
	scratch_load_b128 v[34:37], off, off offset:688
	v_add_f64 v[169:170], v[169:170], v[180:181]
	v_add_f64 v[229:230], v[229:230], v[182:183]
	ds_load_b128 v[180:183], v1 offset:1456
	s_waitcnt vmcnt(8) lgkmcnt(1)
	v_mul_f64 v[237:238], v[2:3], v[44:45]
	v_mul_f64 v[44:45], v[4:5], v[44:45]
	v_fma_f64 v[178:179], v[178:179], v[38:39], v[231:232]
	v_fma_f64 v[176:177], v[176:177], v[38:39], -v[40:41]
	scratch_load_b128 v[38:41], off, off offset:704
	s_waitcnt vmcnt(8) lgkmcnt(0)
	v_mul_f64 v[231:232], v[180:181], v[8:9]
	v_mul_f64 v[8:9], v[182:183], v[8:9]
	v_add_f64 v[169:170], v[169:170], v[235:236]
	v_add_f64 v[229:230], v[229:230], v[233:234]
	v_fma_f64 v[233:234], v[4:5], v[42:43], v[237:238]
	v_fma_f64 v[235:236], v[2:3], v[42:43], -v[44:45]
	ds_load_b128 v[2:5], v1 offset:1472
	scratch_load_b128 v[42:45], off, off offset:720
	v_fma_f64 v[182:183], v[182:183], v[6:7], v[231:232]
	v_fma_f64 v[180:181], v[180:181], v[6:7], -v[8:9]
	scratch_load_b128 v[6:9], off, off offset:736
	v_add_f64 v[169:170], v[169:170], v[176:177]
	v_add_f64 v[229:230], v[229:230], v[178:179]
	ds_load_b128 v[176:179], v1 offset:1488
	s_waitcnt vmcnt(9) lgkmcnt(1)
	v_mul_f64 v[237:238], v[2:3], v[12:13]
	v_mul_f64 v[12:13], v[4:5], v[12:13]
	s_waitcnt vmcnt(8) lgkmcnt(0)
	v_mul_f64 v[231:232], v[176:177], v[16:17]
	v_mul_f64 v[16:17], v[178:179], v[16:17]
	v_add_f64 v[169:170], v[169:170], v[235:236]
	v_add_f64 v[229:230], v[229:230], v[233:234]
	v_fma_f64 v[233:234], v[4:5], v[10:11], v[237:238]
	v_fma_f64 v[235:236], v[2:3], v[10:11], -v[12:13]
	ds_load_b128 v[2:5], v1 offset:1504
	scratch_load_b128 v[10:13], off, off offset:752
	v_fma_f64 v[178:179], v[178:179], v[14:15], v[231:232]
	v_fma_f64 v[176:177], v[176:177], v[14:15], -v[16:17]
	scratch_load_b128 v[14:17], off, off offset:768
	v_add_f64 v[169:170], v[169:170], v[180:181]
	v_add_f64 v[229:230], v[229:230], v[182:183]
	ds_load_b128 v[180:183], v1 offset:1520
	s_waitcnt vmcnt(9) lgkmcnt(1)
	v_mul_f64 v[237:238], v[2:3], v[20:21]
	v_mul_f64 v[20:21], v[4:5], v[20:21]
	;; [unrolled: 18-line block ×5, first 2 shown]
	s_waitcnt vmcnt(8) lgkmcnt(0)
	v_mul_f64 v[231:232], v[176:177], v[8:9]
	v_mul_f64 v[8:9], v[178:179], v[8:9]
	v_add_f64 v[169:170], v[169:170], v[235:236]
	v_add_f64 v[229:230], v[229:230], v[233:234]
	v_fma_f64 v[233:234], v[4:5], v[42:43], v[237:238]
	v_fma_f64 v[235:236], v[2:3], v[42:43], -v[44:45]
	ds_load_b128 v[2:5], v1 offset:1632
	ds_load_b128 v[42:45], v1 offset:1648
	v_fma_f64 v[178:179], v[178:179], v[6:7], v[231:232]
	v_fma_f64 v[6:7], v[176:177], v[6:7], -v[8:9]
	v_add_f64 v[169:170], v[169:170], v[180:181]
	v_add_f64 v[180:181], v[229:230], v[182:183]
	s_waitcnt vmcnt(7) lgkmcnt(1)
	v_mul_f64 v[182:183], v[2:3], v[12:13]
	v_mul_f64 v[12:13], v[4:5], v[12:13]
	s_waitcnt vmcnt(6) lgkmcnt(0)
	v_mul_f64 v[176:177], v[42:43], v[16:17]
	v_mul_f64 v[16:17], v[44:45], v[16:17]
	v_add_f64 v[8:9], v[169:170], v[235:236]
	v_add_f64 v[169:170], v[180:181], v[233:234]
	v_fma_f64 v[180:181], v[4:5], v[10:11], v[182:183]
	v_fma_f64 v[10:11], v[2:3], v[10:11], -v[12:13]
	v_fma_f64 v[44:45], v[44:45], v[14:15], v[176:177]
	v_fma_f64 v[14:15], v[42:43], v[14:15], -v[16:17]
	v_add_f64 v[12:13], v[8:9], v[6:7]
	v_add_f64 v[169:170], v[169:170], v[178:179]
	ds_load_b128 v[2:5], v1 offset:1664
	ds_load_b128 v[6:9], v1 offset:1680
	s_waitcnt vmcnt(5) lgkmcnt(1)
	v_mul_f64 v[178:179], v[2:3], v[20:21]
	v_mul_f64 v[20:21], v[4:5], v[20:21]
	s_waitcnt vmcnt(4) lgkmcnt(0)
	v_mul_f64 v[16:17], v[6:7], v[24:25]
	v_mul_f64 v[24:25], v[8:9], v[24:25]
	v_add_f64 v[10:11], v[12:13], v[10:11]
	v_add_f64 v[12:13], v[169:170], v[180:181]
	v_fma_f64 v[42:43], v[4:5], v[18:19], v[178:179]
	v_fma_f64 v[18:19], v[2:3], v[18:19], -v[20:21]
	v_fma_f64 v[8:9], v[8:9], v[22:23], v[16:17]
	v_fma_f64 v[6:7], v[6:7], v[22:23], -v[24:25]
	v_add_f64 v[14:15], v[10:11], v[14:15]
	v_add_f64 v[20:21], v[12:13], v[44:45]
	ds_load_b128 v[2:5], v1 offset:1696
	ds_load_b128 v[10:13], v1 offset:1712
	s_waitcnt vmcnt(3) lgkmcnt(1)
	v_mul_f64 v[44:45], v[2:3], v[28:29]
	v_mul_f64 v[28:29], v[4:5], v[28:29]
	v_add_f64 v[14:15], v[14:15], v[18:19]
	v_add_f64 v[16:17], v[20:21], v[42:43]
	s_waitcnt vmcnt(2) lgkmcnt(0)
	v_mul_f64 v[18:19], v[10:11], v[32:33]
	v_mul_f64 v[20:21], v[12:13], v[32:33]
	v_fma_f64 v[22:23], v[4:5], v[26:27], v[44:45]
	v_fma_f64 v[24:25], v[2:3], v[26:27], -v[28:29]
	v_add_f64 v[14:15], v[14:15], v[6:7]
	v_add_f64 v[16:17], v[16:17], v[8:9]
	ds_load_b128 v[2:5], v1 offset:1728
	ds_load_b128 v[6:9], v1 offset:1744
	v_fma_f64 v[12:13], v[12:13], v[30:31], v[18:19]
	v_fma_f64 v[10:11], v[10:11], v[30:31], -v[20:21]
	s_waitcnt vmcnt(1) lgkmcnt(1)
	v_mul_f64 v[26:27], v[2:3], v[36:37]
	v_mul_f64 v[28:29], v[4:5], v[36:37]
	s_waitcnt vmcnt(0) lgkmcnt(0)
	v_mul_f64 v[18:19], v[6:7], v[40:41]
	v_mul_f64 v[20:21], v[8:9], v[40:41]
	v_add_f64 v[14:15], v[14:15], v[24:25]
	v_add_f64 v[16:17], v[16:17], v[22:23]
	v_fma_f64 v[4:5], v[4:5], v[34:35], v[26:27]
	v_fma_f64 v[1:2], v[2:3], v[34:35], -v[28:29]
	v_fma_f64 v[8:9], v[8:9], v[38:39], v[18:19]
	v_fma_f64 v[6:7], v[6:7], v[38:39], -v[20:21]
	v_add_f64 v[10:11], v[14:15], v[10:11]
	v_add_f64 v[12:13], v[16:17], v[12:13]
	s_delay_alu instid0(VALU_DEP_2) | instskip(NEXT) | instid1(VALU_DEP_2)
	v_add_f64 v[1:2], v[10:11], v[1:2]
	v_add_f64 v[3:4], v[12:13], v[4:5]
	s_delay_alu instid0(VALU_DEP_2) | instskip(NEXT) | instid1(VALU_DEP_2)
	;; [unrolled: 3-line block ×3, first 2 shown]
	v_add_f64 v[1:2], v[172:173], -v[1:2]
	v_add_f64 v[3:4], v[174:175], -v[3:4]
	scratch_store_b128 off, v[1:4], off offset:224
	v_cmpx_lt_u32_e32 13, v156
	s_cbranch_execz .LBB118_317
; %bb.316:
	scratch_load_b128 v[1:4], v198, off
	v_mov_b32_e32 v5, 0
	s_delay_alu instid0(VALU_DEP_1)
	v_mov_b32_e32 v6, v5
	v_mov_b32_e32 v7, v5
	;; [unrolled: 1-line block ×3, first 2 shown]
	scratch_store_b128 off, v[5:8], off offset:208
	s_waitcnt vmcnt(0)
	ds_store_b128 v211, v[1:4]
.LBB118_317:
	s_or_b32 exec_lo, exec_lo, s2
	s_waitcnt lgkmcnt(0)
	s_waitcnt_vscnt null, 0x0
	s_barrier
	buffer_gl0_inv
	s_clause 0x7
	scratch_load_b128 v[2:5], off, off offset:224
	scratch_load_b128 v[6:9], off, off offset:240
	;; [unrolled: 1-line block ×8, first 2 shown]
	v_mov_b32_e32 v1, 0
	s_mov_b32 s2, exec_lo
	ds_load_b128 v[38:41], v1 offset:1104
	s_clause 0x1
	scratch_load_b128 v[34:37], off, off offset:352
	scratch_load_b128 v[42:45], off, off offset:208
	ds_load_b128 v[172:175], v1 offset:1120
	scratch_load_b128 v[176:179], off, off offset:368
	ds_load_b128 v[180:183], v1 offset:1152
	s_waitcnt vmcnt(10) lgkmcnt(2)
	v_mul_f64 v[169:170], v[40:41], v[4:5]
	v_mul_f64 v[4:5], v[38:39], v[4:5]
	s_delay_alu instid0(VALU_DEP_2) | instskip(NEXT) | instid1(VALU_DEP_2)
	v_fma_f64 v[169:170], v[38:39], v[2:3], -v[169:170]
	v_fma_f64 v[231:232], v[40:41], v[2:3], v[4:5]
	ds_load_b128 v[2:5], v1 offset:1136
	s_waitcnt vmcnt(9) lgkmcnt(2)
	v_mul_f64 v[229:230], v[172:173], v[8:9]
	v_mul_f64 v[8:9], v[174:175], v[8:9]
	scratch_load_b128 v[38:41], off, off offset:384
	s_waitcnt vmcnt(9) lgkmcnt(0)
	v_mul_f64 v[233:234], v[2:3], v[12:13]
	v_mul_f64 v[12:13], v[4:5], v[12:13]
	v_add_f64 v[169:170], v[169:170], 0
	v_fma_f64 v[174:175], v[174:175], v[6:7], v[229:230]
	v_fma_f64 v[172:173], v[172:173], v[6:7], -v[8:9]
	v_add_f64 v[229:230], v[231:232], 0
	scratch_load_b128 v[6:9], off, off offset:400
	v_fma_f64 v[233:234], v[4:5], v[10:11], v[233:234]
	v_fma_f64 v[235:236], v[2:3], v[10:11], -v[12:13]
	scratch_load_b128 v[10:13], off, off offset:416
	ds_load_b128 v[2:5], v1 offset:1168
	s_waitcnt vmcnt(10)
	v_mul_f64 v[231:232], v[180:181], v[16:17]
	v_mul_f64 v[16:17], v[182:183], v[16:17]
	v_add_f64 v[169:170], v[169:170], v[172:173]
	v_add_f64 v[229:230], v[229:230], v[174:175]
	ds_load_b128 v[172:175], v1 offset:1184
	s_waitcnt vmcnt(9) lgkmcnt(1)
	v_mul_f64 v[237:238], v[2:3], v[20:21]
	v_mul_f64 v[20:21], v[4:5], v[20:21]
	v_fma_f64 v[182:183], v[182:183], v[14:15], v[231:232]
	v_fma_f64 v[180:181], v[180:181], v[14:15], -v[16:17]
	scratch_load_b128 v[14:17], off, off offset:432
	v_add_f64 v[169:170], v[169:170], v[235:236]
	v_add_f64 v[229:230], v[229:230], v[233:234]
	v_fma_f64 v[233:234], v[4:5], v[18:19], v[237:238]
	v_fma_f64 v[235:236], v[2:3], v[18:19], -v[20:21]
	scratch_load_b128 v[18:21], off, off offset:448
	ds_load_b128 v[2:5], v1 offset:1200
	s_waitcnt vmcnt(10) lgkmcnt(1)
	v_mul_f64 v[231:232], v[172:173], v[24:25]
	v_mul_f64 v[24:25], v[174:175], v[24:25]
	s_waitcnt vmcnt(9) lgkmcnt(0)
	v_mul_f64 v[237:238], v[2:3], v[28:29]
	v_mul_f64 v[28:29], v[4:5], v[28:29]
	v_add_f64 v[169:170], v[169:170], v[180:181]
	v_add_f64 v[229:230], v[229:230], v[182:183]
	ds_load_b128 v[180:183], v1 offset:1216
	v_fma_f64 v[174:175], v[174:175], v[22:23], v[231:232]
	v_fma_f64 v[172:173], v[172:173], v[22:23], -v[24:25]
	scratch_load_b128 v[22:25], off, off offset:464
	v_add_f64 v[169:170], v[169:170], v[235:236]
	v_add_f64 v[229:230], v[229:230], v[233:234]
	v_fma_f64 v[233:234], v[4:5], v[26:27], v[237:238]
	v_fma_f64 v[235:236], v[2:3], v[26:27], -v[28:29]
	scratch_load_b128 v[26:29], off, off offset:480
	ds_load_b128 v[2:5], v1 offset:1232
	s_waitcnt vmcnt(10) lgkmcnt(1)
	v_mul_f64 v[231:232], v[180:181], v[32:33]
	v_mul_f64 v[32:33], v[182:183], v[32:33]
	s_waitcnt vmcnt(9) lgkmcnt(0)
	v_mul_f64 v[237:238], v[2:3], v[36:37]
	v_mul_f64 v[36:37], v[4:5], v[36:37]
	v_add_f64 v[169:170], v[169:170], v[172:173]
	v_add_f64 v[229:230], v[229:230], v[174:175]
	ds_load_b128 v[172:175], v1 offset:1248
	v_fma_f64 v[182:183], v[182:183], v[30:31], v[231:232]
	v_fma_f64 v[180:181], v[180:181], v[30:31], -v[32:33]
	scratch_load_b128 v[30:33], off, off offset:496
	v_add_f64 v[169:170], v[169:170], v[235:236]
	v_add_f64 v[229:230], v[229:230], v[233:234]
	v_fma_f64 v[235:236], v[4:5], v[34:35], v[237:238]
	v_fma_f64 v[237:238], v[2:3], v[34:35], -v[36:37]
	scratch_load_b128 v[34:37], off, off offset:512
	ds_load_b128 v[2:5], v1 offset:1264
	s_waitcnt vmcnt(9) lgkmcnt(1)
	v_mul_f64 v[231:232], v[172:173], v[178:179]
	v_mul_f64 v[233:234], v[174:175], v[178:179]
	v_add_f64 v[169:170], v[169:170], v[180:181]
	v_add_f64 v[182:183], v[229:230], v[182:183]
	ds_load_b128 v[178:181], v1 offset:1280
	v_fma_f64 v[231:232], v[174:175], v[176:177], v[231:232]
	v_fma_f64 v[176:177], v[172:173], v[176:177], -v[233:234]
	scratch_load_b128 v[172:175], off, off offset:528
	s_waitcnt vmcnt(9) lgkmcnt(1)
	v_mul_f64 v[229:230], v[2:3], v[40:41]
	v_mul_f64 v[40:41], v[4:5], v[40:41]
	v_add_f64 v[169:170], v[169:170], v[237:238]
	v_add_f64 v[182:183], v[182:183], v[235:236]
	s_delay_alu instid0(VALU_DEP_4) | instskip(NEXT) | instid1(VALU_DEP_4)
	v_fma_f64 v[235:236], v[4:5], v[38:39], v[229:230]
	v_fma_f64 v[237:238], v[2:3], v[38:39], -v[40:41]
	scratch_load_b128 v[38:41], off, off offset:544
	ds_load_b128 v[2:5], v1 offset:1296
	s_waitcnt vmcnt(9) lgkmcnt(1)
	v_mul_f64 v[233:234], v[178:179], v[8:9]
	v_mul_f64 v[8:9], v[180:181], v[8:9]
	v_add_f64 v[169:170], v[169:170], v[176:177]
	v_add_f64 v[176:177], v[182:183], v[231:232]
	s_waitcnt vmcnt(8) lgkmcnt(0)
	v_mul_f64 v[182:183], v[2:3], v[12:13]
	v_mul_f64 v[12:13], v[4:5], v[12:13]
	ds_load_b128 v[229:232], v1 offset:1312
	v_fma_f64 v[180:181], v[180:181], v[6:7], v[233:234]
	v_fma_f64 v[178:179], v[178:179], v[6:7], -v[8:9]
	scratch_load_b128 v[6:9], off, off offset:560
	v_add_f64 v[169:170], v[169:170], v[237:238]
	v_add_f64 v[176:177], v[176:177], v[235:236]
	v_fma_f64 v[182:183], v[4:5], v[10:11], v[182:183]
	v_fma_f64 v[235:236], v[2:3], v[10:11], -v[12:13]
	scratch_load_b128 v[10:13], off, off offset:576
	ds_load_b128 v[2:5], v1 offset:1328
	s_waitcnt vmcnt(9) lgkmcnt(1)
	v_mul_f64 v[233:234], v[229:230], v[16:17]
	v_mul_f64 v[16:17], v[231:232], v[16:17]
	s_waitcnt vmcnt(8) lgkmcnt(0)
	v_mul_f64 v[237:238], v[2:3], v[20:21]
	v_mul_f64 v[20:21], v[4:5], v[20:21]
	v_add_f64 v[169:170], v[169:170], v[178:179]
	v_add_f64 v[180:181], v[176:177], v[180:181]
	ds_load_b128 v[176:179], v1 offset:1344
	v_fma_f64 v[231:232], v[231:232], v[14:15], v[233:234]
	v_fma_f64 v[229:230], v[229:230], v[14:15], -v[16:17]
	scratch_load_b128 v[14:17], off, off offset:592
	v_add_f64 v[169:170], v[169:170], v[235:236]
	v_add_f64 v[180:181], v[180:181], v[182:183]
	v_fma_f64 v[235:236], v[4:5], v[18:19], v[237:238]
	v_fma_f64 v[237:238], v[2:3], v[18:19], -v[20:21]
	scratch_load_b128 v[18:21], off, off offset:608
	ds_load_b128 v[2:5], v1 offset:1360
	s_waitcnt vmcnt(9) lgkmcnt(1)
	v_mul_f64 v[233:234], v[176:177], v[24:25]
	v_mul_f64 v[24:25], v[178:179], v[24:25]
	v_add_f64 v[169:170], v[169:170], v[229:230]
	v_add_f64 v[229:230], v[180:181], v[231:232]
	s_waitcnt vmcnt(8) lgkmcnt(0)
	v_mul_f64 v[231:232], v[2:3], v[28:29]
	v_mul_f64 v[28:29], v[4:5], v[28:29]
	ds_load_b128 v[180:183], v1 offset:1376
	v_fma_f64 v[178:179], v[178:179], v[22:23], v[233:234]
	v_fma_f64 v[176:177], v[176:177], v[22:23], -v[24:25]
	scratch_load_b128 v[22:25], off, off offset:624
	v_add_f64 v[169:170], v[169:170], v[237:238]
	v_add_f64 v[229:230], v[229:230], v[235:236]
	v_fma_f64 v[231:232], v[4:5], v[26:27], v[231:232]
	v_fma_f64 v[235:236], v[2:3], v[26:27], -v[28:29]
	scratch_load_b128 v[26:29], off, off offset:640
	ds_load_b128 v[2:5], v1 offset:1392
	s_waitcnt vmcnt(9) lgkmcnt(1)
	v_mul_f64 v[233:234], v[180:181], v[32:33]
	v_mul_f64 v[32:33], v[182:183], v[32:33]
	s_waitcnt vmcnt(8) lgkmcnt(0)
	v_mul_f64 v[237:238], v[2:3], v[36:37]
	v_mul_f64 v[36:37], v[4:5], v[36:37]
	v_add_f64 v[169:170], v[169:170], v[176:177]
	v_add_f64 v[229:230], v[229:230], v[178:179]
	ds_load_b128 v[176:179], v1 offset:1408
	v_fma_f64 v[182:183], v[182:183], v[30:31], v[233:234]
	v_fma_f64 v[180:181], v[180:181], v[30:31], -v[32:33]
	scratch_load_b128 v[30:33], off, off offset:656
	v_fma_f64 v[233:234], v[4:5], v[34:35], v[237:238]
	v_add_f64 v[169:170], v[169:170], v[235:236]
	v_add_f64 v[229:230], v[229:230], v[231:232]
	v_fma_f64 v[235:236], v[2:3], v[34:35], -v[36:37]
	scratch_load_b128 v[34:37], off, off offset:672
	ds_load_b128 v[2:5], v1 offset:1424
	s_waitcnt vmcnt(9) lgkmcnt(1)
	v_mul_f64 v[231:232], v[176:177], v[174:175]
	v_mul_f64 v[174:175], v[178:179], v[174:175]
	s_waitcnt vmcnt(8) lgkmcnt(0)
	v_mul_f64 v[237:238], v[2:3], v[40:41]
	v_mul_f64 v[40:41], v[4:5], v[40:41]
	v_add_f64 v[169:170], v[169:170], v[180:181]
	v_add_f64 v[229:230], v[229:230], v[182:183]
	ds_load_b128 v[180:183], v1 offset:1440
	v_fma_f64 v[178:179], v[178:179], v[172:173], v[231:232]
	v_fma_f64 v[176:177], v[176:177], v[172:173], -v[174:175]
	scratch_load_b128 v[172:175], off, off offset:688
	v_add_f64 v[169:170], v[169:170], v[235:236]
	v_add_f64 v[229:230], v[229:230], v[233:234]
	v_fma_f64 v[233:234], v[4:5], v[38:39], v[237:238]
	v_fma_f64 v[235:236], v[2:3], v[38:39], -v[40:41]
	scratch_load_b128 v[38:41], off, off offset:704
	ds_load_b128 v[2:5], v1 offset:1456
	s_waitcnt vmcnt(9) lgkmcnt(1)
	v_mul_f64 v[231:232], v[180:181], v[8:9]
	v_mul_f64 v[8:9], v[182:183], v[8:9]
	s_waitcnt vmcnt(8) lgkmcnt(0)
	v_mul_f64 v[237:238], v[2:3], v[12:13]
	v_mul_f64 v[12:13], v[4:5], v[12:13]
	v_add_f64 v[169:170], v[169:170], v[176:177]
	v_add_f64 v[229:230], v[229:230], v[178:179]
	ds_load_b128 v[176:179], v1 offset:1472
	v_fma_f64 v[182:183], v[182:183], v[6:7], v[231:232]
	v_fma_f64 v[180:181], v[180:181], v[6:7], -v[8:9]
	scratch_load_b128 v[6:9], off, off offset:720
	v_add_f64 v[169:170], v[169:170], v[235:236]
	v_add_f64 v[229:230], v[229:230], v[233:234]
	v_fma_f64 v[233:234], v[4:5], v[10:11], v[237:238]
	;; [unrolled: 18-line block ×5, first 2 shown]
	v_fma_f64 v[237:238], v[2:3], v[34:35], -v[36:37]
	scratch_load_b128 v[34:37], off, off offset:832
	ds_load_b128 v[2:5], v1 offset:1584
	s_waitcnt vmcnt(9) lgkmcnt(1)
	v_mul_f64 v[231:232], v[180:181], v[174:175]
	v_mul_f64 v[233:234], v[182:183], v[174:175]
	v_add_f64 v[169:170], v[169:170], v[176:177]
	v_add_f64 v[178:179], v[229:230], v[178:179]
	s_waitcnt vmcnt(8) lgkmcnt(0)
	v_mul_f64 v[229:230], v[2:3], v[40:41]
	v_mul_f64 v[40:41], v[4:5], v[40:41]
	ds_load_b128 v[174:177], v1 offset:1600
	v_fma_f64 v[182:183], v[182:183], v[172:173], v[231:232]
	v_fma_f64 v[172:173], v[180:181], v[172:173], -v[233:234]
	v_add_f64 v[169:170], v[169:170], v[237:238]
	v_add_f64 v[231:232], v[178:179], v[235:236]
	scratch_load_b128 v[178:181], off, off offset:848
	v_fma_f64 v[235:236], v[4:5], v[38:39], v[229:230]
	v_fma_f64 v[237:238], v[2:3], v[38:39], -v[40:41]
	scratch_load_b128 v[38:41], off, off offset:864
	ds_load_b128 v[2:5], v1 offset:1616
	s_waitcnt vmcnt(9) lgkmcnt(1)
	v_mul_f64 v[233:234], v[174:175], v[8:9]
	v_mul_f64 v[8:9], v[176:177], v[8:9]
	v_add_f64 v[169:170], v[169:170], v[172:173]
	v_add_f64 v[172:173], v[231:232], v[182:183]
	s_waitcnt vmcnt(8) lgkmcnt(0)
	v_mul_f64 v[182:183], v[2:3], v[12:13]
	v_mul_f64 v[12:13], v[4:5], v[12:13]
	ds_load_b128 v[229:232], v1 offset:1632
	v_fma_f64 v[176:177], v[176:177], v[6:7], v[233:234]
	v_fma_f64 v[6:7], v[174:175], v[6:7], -v[8:9]
	v_add_f64 v[8:9], v[169:170], v[237:238]
	v_add_f64 v[169:170], v[172:173], v[235:236]
	s_waitcnt vmcnt(7) lgkmcnt(0)
	v_mul_f64 v[172:173], v[229:230], v[16:17]
	v_mul_f64 v[16:17], v[231:232], v[16:17]
	v_fma_f64 v[174:175], v[4:5], v[10:11], v[182:183]
	v_fma_f64 v[10:11], v[2:3], v[10:11], -v[12:13]
	v_add_f64 v[12:13], v[8:9], v[6:7]
	v_add_f64 v[169:170], v[169:170], v[176:177]
	ds_load_b128 v[2:5], v1 offset:1648
	ds_load_b128 v[6:9], v1 offset:1664
	v_fma_f64 v[172:173], v[231:232], v[14:15], v[172:173]
	v_fma_f64 v[14:15], v[229:230], v[14:15], -v[16:17]
	s_waitcnt vmcnt(6) lgkmcnt(1)
	v_mul_f64 v[176:177], v[2:3], v[20:21]
	v_mul_f64 v[20:21], v[4:5], v[20:21]
	s_waitcnt vmcnt(5) lgkmcnt(0)
	v_mul_f64 v[16:17], v[6:7], v[24:25]
	v_mul_f64 v[24:25], v[8:9], v[24:25]
	v_add_f64 v[10:11], v[12:13], v[10:11]
	v_add_f64 v[12:13], v[169:170], v[174:175]
	v_fma_f64 v[169:170], v[4:5], v[18:19], v[176:177]
	v_fma_f64 v[18:19], v[2:3], v[18:19], -v[20:21]
	v_fma_f64 v[8:9], v[8:9], v[22:23], v[16:17]
	v_fma_f64 v[6:7], v[6:7], v[22:23], -v[24:25]
	v_add_f64 v[14:15], v[10:11], v[14:15]
	v_add_f64 v[20:21], v[12:13], v[172:173]
	ds_load_b128 v[2:5], v1 offset:1680
	ds_load_b128 v[10:13], v1 offset:1696
	s_waitcnt vmcnt(4) lgkmcnt(1)
	v_mul_f64 v[172:173], v[2:3], v[28:29]
	v_mul_f64 v[28:29], v[4:5], v[28:29]
	v_add_f64 v[14:15], v[14:15], v[18:19]
	v_add_f64 v[16:17], v[20:21], v[169:170]
	s_waitcnt vmcnt(3) lgkmcnt(0)
	v_mul_f64 v[18:19], v[10:11], v[32:33]
	v_mul_f64 v[20:21], v[12:13], v[32:33]
	v_fma_f64 v[22:23], v[4:5], v[26:27], v[172:173]
	v_fma_f64 v[24:25], v[2:3], v[26:27], -v[28:29]
	v_add_f64 v[14:15], v[14:15], v[6:7]
	v_add_f64 v[16:17], v[16:17], v[8:9]
	ds_load_b128 v[2:5], v1 offset:1712
	ds_load_b128 v[6:9], v1 offset:1728
	v_fma_f64 v[12:13], v[12:13], v[30:31], v[18:19]
	v_fma_f64 v[10:11], v[10:11], v[30:31], -v[20:21]
	s_waitcnt vmcnt(2) lgkmcnt(1)
	v_mul_f64 v[26:27], v[2:3], v[36:37]
	v_mul_f64 v[28:29], v[4:5], v[36:37]
	v_add_f64 v[14:15], v[14:15], v[24:25]
	v_add_f64 v[16:17], v[16:17], v[22:23]
	s_waitcnt vmcnt(1) lgkmcnt(0)
	v_mul_f64 v[18:19], v[6:7], v[180:181]
	v_mul_f64 v[20:21], v[8:9], v[180:181]
	v_fma_f64 v[22:23], v[4:5], v[34:35], v[26:27]
	v_fma_f64 v[24:25], v[2:3], v[34:35], -v[28:29]
	ds_load_b128 v[2:5], v1 offset:1744
	v_add_f64 v[10:11], v[14:15], v[10:11]
	v_add_f64 v[12:13], v[16:17], v[12:13]
	s_waitcnt vmcnt(0) lgkmcnt(0)
	v_mul_f64 v[14:15], v[2:3], v[40:41]
	v_mul_f64 v[16:17], v[4:5], v[40:41]
	v_fma_f64 v[8:9], v[8:9], v[178:179], v[18:19]
	v_fma_f64 v[6:7], v[6:7], v[178:179], -v[20:21]
	v_add_f64 v[10:11], v[10:11], v[24:25]
	v_add_f64 v[12:13], v[12:13], v[22:23]
	v_fma_f64 v[4:5], v[4:5], v[38:39], v[14:15]
	v_fma_f64 v[2:3], v[2:3], v[38:39], -v[16:17]
	s_delay_alu instid0(VALU_DEP_4) | instskip(NEXT) | instid1(VALU_DEP_4)
	v_add_f64 v[6:7], v[10:11], v[6:7]
	v_add_f64 v[8:9], v[12:13], v[8:9]
	s_delay_alu instid0(VALU_DEP_2) | instskip(NEXT) | instid1(VALU_DEP_2)
	v_add_f64 v[2:3], v[6:7], v[2:3]
	v_add_f64 v[4:5], v[8:9], v[4:5]
	s_delay_alu instid0(VALU_DEP_2) | instskip(NEXT) | instid1(VALU_DEP_2)
	v_add_f64 v[2:3], v[42:43], -v[2:3]
	v_add_f64 v[4:5], v[44:45], -v[4:5]
	scratch_store_b128 off, v[2:5], off offset:208
	v_cmpx_lt_u32_e32 12, v156
	s_cbranch_execz .LBB118_319
; %bb.318:
	scratch_load_b128 v[5:8], v199, off
	v_mov_b32_e32 v2, v1
	v_mov_b32_e32 v3, v1
	v_mov_b32_e32 v4, v1
	scratch_store_b128 off, v[1:4], off offset:192
	s_waitcnt vmcnt(0)
	ds_store_b128 v211, v[5:8]
.LBB118_319:
	s_or_b32 exec_lo, exec_lo, s2
	s_waitcnt lgkmcnt(0)
	s_waitcnt_vscnt null, 0x0
	s_barrier
	buffer_gl0_inv
	s_clause 0x8
	scratch_load_b128 v[2:5], off, off offset:208
	scratch_load_b128 v[6:9], off, off offset:224
	;; [unrolled: 1-line block ×9, first 2 shown]
	ds_load_b128 v[42:45], v1 offset:1088
	ds_load_b128 v[38:41], v1 offset:1104
	s_clause 0x1
	scratch_load_b128 v[172:175], off, off offset:192
	scratch_load_b128 v[176:179], off, off offset:352
	s_mov_b32 s2, exec_lo
	ds_load_b128 v[180:183], v1 offset:1136
	s_waitcnt vmcnt(10) lgkmcnt(2)
	v_mul_f64 v[169:170], v[44:45], v[4:5]
	v_mul_f64 v[4:5], v[42:43], v[4:5]
	s_waitcnt vmcnt(9) lgkmcnt(1)
	v_mul_f64 v[229:230], v[38:39], v[8:9]
	v_mul_f64 v[8:9], v[40:41], v[8:9]
	s_delay_alu instid0(VALU_DEP_4) | instskip(NEXT) | instid1(VALU_DEP_4)
	v_fma_f64 v[169:170], v[42:43], v[2:3], -v[169:170]
	v_fma_f64 v[231:232], v[44:45], v[2:3], v[4:5]
	ds_load_b128 v[2:5], v1 offset:1120
	scratch_load_b128 v[42:45], off, off offset:368
	v_fma_f64 v[40:41], v[40:41], v[6:7], v[229:230]
	v_fma_f64 v[38:39], v[38:39], v[6:7], -v[8:9]
	scratch_load_b128 v[6:9], off, off offset:384
	s_waitcnt vmcnt(10) lgkmcnt(0)
	v_mul_f64 v[233:234], v[2:3], v[12:13]
	v_mul_f64 v[12:13], v[4:5], v[12:13]
	v_add_f64 v[169:170], v[169:170], 0
	v_add_f64 v[229:230], v[231:232], 0
	s_waitcnt vmcnt(9)
	v_mul_f64 v[231:232], v[180:181], v[16:17]
	v_mul_f64 v[16:17], v[182:183], v[16:17]
	v_fma_f64 v[233:234], v[4:5], v[10:11], v[233:234]
	v_fma_f64 v[235:236], v[2:3], v[10:11], -v[12:13]
	ds_load_b128 v[2:5], v1 offset:1152
	scratch_load_b128 v[10:13], off, off offset:400
	v_add_f64 v[169:170], v[169:170], v[38:39]
	v_add_f64 v[229:230], v[229:230], v[40:41]
	ds_load_b128 v[38:41], v1 offset:1168
	v_fma_f64 v[182:183], v[182:183], v[14:15], v[231:232]
	v_fma_f64 v[180:181], v[180:181], v[14:15], -v[16:17]
	scratch_load_b128 v[14:17], off, off offset:416
	s_waitcnt vmcnt(10) lgkmcnt(1)
	v_mul_f64 v[237:238], v[2:3], v[20:21]
	v_mul_f64 v[20:21], v[4:5], v[20:21]
	s_waitcnt vmcnt(9) lgkmcnt(0)
	v_mul_f64 v[231:232], v[38:39], v[24:25]
	v_mul_f64 v[24:25], v[40:41], v[24:25]
	v_add_f64 v[169:170], v[169:170], v[235:236]
	v_add_f64 v[229:230], v[229:230], v[233:234]
	v_fma_f64 v[233:234], v[4:5], v[18:19], v[237:238]
	v_fma_f64 v[235:236], v[2:3], v[18:19], -v[20:21]
	ds_load_b128 v[2:5], v1 offset:1184
	scratch_load_b128 v[18:21], off, off offset:432
	v_fma_f64 v[40:41], v[40:41], v[22:23], v[231:232]
	v_fma_f64 v[38:39], v[38:39], v[22:23], -v[24:25]
	scratch_load_b128 v[22:25], off, off offset:448
	v_add_f64 v[169:170], v[169:170], v[180:181]
	v_add_f64 v[229:230], v[229:230], v[182:183]
	ds_load_b128 v[180:183], v1 offset:1200
	s_waitcnt vmcnt(10) lgkmcnt(1)
	v_mul_f64 v[237:238], v[2:3], v[28:29]
	v_mul_f64 v[28:29], v[4:5], v[28:29]
	s_waitcnt vmcnt(9) lgkmcnt(0)
	v_mul_f64 v[231:232], v[180:181], v[32:33]
	v_mul_f64 v[32:33], v[182:183], v[32:33]
	v_add_f64 v[169:170], v[169:170], v[235:236]
	v_add_f64 v[229:230], v[229:230], v[233:234]
	v_fma_f64 v[233:234], v[4:5], v[26:27], v[237:238]
	v_fma_f64 v[235:236], v[2:3], v[26:27], -v[28:29]
	ds_load_b128 v[2:5], v1 offset:1216
	scratch_load_b128 v[26:29], off, off offset:464
	v_fma_f64 v[182:183], v[182:183], v[30:31], v[231:232]
	v_fma_f64 v[180:181], v[180:181], v[30:31], -v[32:33]
	scratch_load_b128 v[30:33], off, off offset:480
	v_add_f64 v[169:170], v[169:170], v[38:39]
	v_add_f64 v[229:230], v[229:230], v[40:41]
	ds_load_b128 v[38:41], v1 offset:1232
	s_waitcnt vmcnt(10) lgkmcnt(1)
	v_mul_f64 v[237:238], v[2:3], v[36:37]
	v_mul_f64 v[36:37], v[4:5], v[36:37]
	s_waitcnt vmcnt(8) lgkmcnt(0)
	v_mul_f64 v[231:232], v[38:39], v[178:179]
	v_add_f64 v[169:170], v[169:170], v[235:236]
	v_add_f64 v[229:230], v[229:230], v[233:234]
	v_mul_f64 v[233:234], v[40:41], v[178:179]
	v_fma_f64 v[235:236], v[4:5], v[34:35], v[237:238]
	v_fma_f64 v[237:238], v[2:3], v[34:35], -v[36:37]
	ds_load_b128 v[2:5], v1 offset:1248
	scratch_load_b128 v[34:37], off, off offset:496
	v_fma_f64 v[231:232], v[40:41], v[176:177], v[231:232]
	v_add_f64 v[169:170], v[169:170], v[180:181]
	v_add_f64 v[182:183], v[229:230], v[182:183]
	ds_load_b128 v[178:181], v1 offset:1264
	v_fma_f64 v[176:177], v[38:39], v[176:177], -v[233:234]
	scratch_load_b128 v[38:41], off, off offset:512
	s_waitcnt vmcnt(9) lgkmcnt(1)
	v_mul_f64 v[229:230], v[2:3], v[44:45]
	v_mul_f64 v[44:45], v[4:5], v[44:45]
	s_waitcnt vmcnt(8) lgkmcnt(0)
	v_mul_f64 v[233:234], v[178:179], v[8:9]
	v_mul_f64 v[8:9], v[180:181], v[8:9]
	v_add_f64 v[169:170], v[169:170], v[237:238]
	v_add_f64 v[182:183], v[182:183], v[235:236]
	v_fma_f64 v[235:236], v[4:5], v[42:43], v[229:230]
	v_fma_f64 v[237:238], v[2:3], v[42:43], -v[44:45]
	ds_load_b128 v[2:5], v1 offset:1280
	scratch_load_b128 v[42:45], off, off offset:528
	v_fma_f64 v[180:181], v[180:181], v[6:7], v[233:234]
	v_fma_f64 v[178:179], v[178:179], v[6:7], -v[8:9]
	scratch_load_b128 v[6:9], off, off offset:544
	v_add_f64 v[169:170], v[169:170], v[176:177]
	v_add_f64 v[176:177], v[182:183], v[231:232]
	ds_load_b128 v[229:232], v1 offset:1296
	s_waitcnt vmcnt(9) lgkmcnt(1)
	v_mul_f64 v[182:183], v[2:3], v[12:13]
	v_mul_f64 v[12:13], v[4:5], v[12:13]
	s_waitcnt vmcnt(8) lgkmcnt(0)
	v_mul_f64 v[233:234], v[229:230], v[16:17]
	v_mul_f64 v[16:17], v[231:232], v[16:17]
	v_add_f64 v[169:170], v[169:170], v[237:238]
	v_add_f64 v[176:177], v[176:177], v[235:236]
	v_fma_f64 v[182:183], v[4:5], v[10:11], v[182:183]
	v_fma_f64 v[235:236], v[2:3], v[10:11], -v[12:13]
	ds_load_b128 v[2:5], v1 offset:1312
	scratch_load_b128 v[10:13], off, off offset:560
	v_fma_f64 v[231:232], v[231:232], v[14:15], v[233:234]
	v_fma_f64 v[229:230], v[229:230], v[14:15], -v[16:17]
	scratch_load_b128 v[14:17], off, off offset:576
	v_add_f64 v[169:170], v[169:170], v[178:179]
	v_add_f64 v[180:181], v[176:177], v[180:181]
	ds_load_b128 v[176:179], v1 offset:1328
	;; [unrolled: 18-line block ×4, first 2 shown]
	s_waitcnt vmcnt(9) lgkmcnt(1)
	v_mul_f64 v[237:238], v[2:3], v[36:37]
	v_mul_f64 v[36:37], v[4:5], v[36:37]
	v_add_f64 v[169:170], v[169:170], v[235:236]
	v_add_f64 v[229:230], v[229:230], v[231:232]
	s_waitcnt vmcnt(8) lgkmcnt(0)
	v_mul_f64 v[231:232], v[176:177], v[40:41]
	v_mul_f64 v[40:41], v[178:179], v[40:41]
	v_fma_f64 v[233:234], v[4:5], v[34:35], v[237:238]
	v_fma_f64 v[235:236], v[2:3], v[34:35], -v[36:37]
	ds_load_b128 v[2:5], v1 offset:1408
	scratch_load_b128 v[34:37], off, off offset:656
	v_add_f64 v[169:170], v[169:170], v[180:181]
	v_add_f64 v[229:230], v[229:230], v[182:183]
	ds_load_b128 v[180:183], v1 offset:1424
	s_waitcnt vmcnt(8) lgkmcnt(1)
	v_mul_f64 v[237:238], v[2:3], v[44:45]
	v_mul_f64 v[44:45], v[4:5], v[44:45]
	v_fma_f64 v[178:179], v[178:179], v[38:39], v[231:232]
	v_fma_f64 v[176:177], v[176:177], v[38:39], -v[40:41]
	scratch_load_b128 v[38:41], off, off offset:672
	s_waitcnt vmcnt(8) lgkmcnt(0)
	v_mul_f64 v[231:232], v[180:181], v[8:9]
	v_mul_f64 v[8:9], v[182:183], v[8:9]
	v_add_f64 v[169:170], v[169:170], v[235:236]
	v_add_f64 v[229:230], v[229:230], v[233:234]
	v_fma_f64 v[233:234], v[4:5], v[42:43], v[237:238]
	v_fma_f64 v[235:236], v[2:3], v[42:43], -v[44:45]
	ds_load_b128 v[2:5], v1 offset:1440
	scratch_load_b128 v[42:45], off, off offset:688
	v_fma_f64 v[182:183], v[182:183], v[6:7], v[231:232]
	v_fma_f64 v[180:181], v[180:181], v[6:7], -v[8:9]
	scratch_load_b128 v[6:9], off, off offset:704
	v_add_f64 v[169:170], v[169:170], v[176:177]
	v_add_f64 v[229:230], v[229:230], v[178:179]
	ds_load_b128 v[176:179], v1 offset:1456
	s_waitcnt vmcnt(9) lgkmcnt(1)
	v_mul_f64 v[237:238], v[2:3], v[12:13]
	v_mul_f64 v[12:13], v[4:5], v[12:13]
	s_waitcnt vmcnt(8) lgkmcnt(0)
	v_mul_f64 v[231:232], v[176:177], v[16:17]
	v_mul_f64 v[16:17], v[178:179], v[16:17]
	v_add_f64 v[169:170], v[169:170], v[235:236]
	v_add_f64 v[229:230], v[229:230], v[233:234]
	v_fma_f64 v[233:234], v[4:5], v[10:11], v[237:238]
	v_fma_f64 v[235:236], v[2:3], v[10:11], -v[12:13]
	ds_load_b128 v[2:5], v1 offset:1472
	scratch_load_b128 v[10:13], off, off offset:720
	v_fma_f64 v[178:179], v[178:179], v[14:15], v[231:232]
	v_fma_f64 v[176:177], v[176:177], v[14:15], -v[16:17]
	scratch_load_b128 v[14:17], off, off offset:736
	v_add_f64 v[169:170], v[169:170], v[180:181]
	v_add_f64 v[229:230], v[229:230], v[182:183]
	ds_load_b128 v[180:183], v1 offset:1488
	s_waitcnt vmcnt(9) lgkmcnt(1)
	v_mul_f64 v[237:238], v[2:3], v[20:21]
	v_mul_f64 v[20:21], v[4:5], v[20:21]
	;; [unrolled: 18-line block ×6, first 2 shown]
	s_waitcnt vmcnt(8) lgkmcnt(0)
	v_mul_f64 v[231:232], v[180:181], v[16:17]
	v_mul_f64 v[16:17], v[182:183], v[16:17]
	v_add_f64 v[169:170], v[169:170], v[235:236]
	v_add_f64 v[229:230], v[229:230], v[233:234]
	v_fma_f64 v[233:234], v[4:5], v[10:11], v[237:238]
	v_fma_f64 v[235:236], v[2:3], v[10:11], -v[12:13]
	ds_load_b128 v[2:5], v1 offset:1632
	ds_load_b128 v[10:13], v1 offset:1648
	v_fma_f64 v[182:183], v[182:183], v[14:15], v[231:232]
	v_fma_f64 v[14:15], v[180:181], v[14:15], -v[16:17]
	v_add_f64 v[169:170], v[169:170], v[176:177]
	v_add_f64 v[176:177], v[229:230], v[178:179]
	s_waitcnt vmcnt(7) lgkmcnt(1)
	v_mul_f64 v[178:179], v[2:3], v[20:21]
	v_mul_f64 v[20:21], v[4:5], v[20:21]
	s_delay_alu instid0(VALU_DEP_4) | instskip(NEXT) | instid1(VALU_DEP_4)
	v_add_f64 v[16:17], v[169:170], v[235:236]
	v_add_f64 v[169:170], v[176:177], v[233:234]
	s_waitcnt vmcnt(6) lgkmcnt(0)
	v_mul_f64 v[176:177], v[10:11], v[24:25]
	v_mul_f64 v[24:25], v[12:13], v[24:25]
	v_fma_f64 v[178:179], v[4:5], v[18:19], v[178:179]
	v_fma_f64 v[18:19], v[2:3], v[18:19], -v[20:21]
	v_add_f64 v[20:21], v[16:17], v[14:15]
	v_add_f64 v[169:170], v[169:170], v[182:183]
	ds_load_b128 v[2:5], v1 offset:1664
	ds_load_b128 v[14:17], v1 offset:1680
	v_fma_f64 v[12:13], v[12:13], v[22:23], v[176:177]
	v_fma_f64 v[10:11], v[10:11], v[22:23], -v[24:25]
	s_waitcnt vmcnt(5) lgkmcnt(1)
	v_mul_f64 v[180:181], v[2:3], v[28:29]
	v_mul_f64 v[28:29], v[4:5], v[28:29]
	s_waitcnt vmcnt(4) lgkmcnt(0)
	v_mul_f64 v[22:23], v[14:15], v[32:33]
	v_mul_f64 v[24:25], v[16:17], v[32:33]
	v_add_f64 v[18:19], v[20:21], v[18:19]
	v_add_f64 v[20:21], v[169:170], v[178:179]
	v_fma_f64 v[32:33], v[4:5], v[26:27], v[180:181]
	v_fma_f64 v[26:27], v[2:3], v[26:27], -v[28:29]
	v_fma_f64 v[16:17], v[16:17], v[30:31], v[22:23]
	v_fma_f64 v[14:15], v[14:15], v[30:31], -v[24:25]
	v_add_f64 v[18:19], v[18:19], v[10:11]
	v_add_f64 v[20:21], v[20:21], v[12:13]
	ds_load_b128 v[2:5], v1 offset:1696
	ds_load_b128 v[10:13], v1 offset:1712
	s_waitcnt vmcnt(3) lgkmcnt(1)
	v_mul_f64 v[28:29], v[2:3], v[36:37]
	v_mul_f64 v[36:37], v[4:5], v[36:37]
	s_waitcnt vmcnt(2) lgkmcnt(0)
	v_mul_f64 v[22:23], v[10:11], v[40:41]
	v_mul_f64 v[24:25], v[12:13], v[40:41]
	v_add_f64 v[18:19], v[18:19], v[26:27]
	v_add_f64 v[20:21], v[20:21], v[32:33]
	v_fma_f64 v[26:27], v[4:5], v[34:35], v[28:29]
	v_fma_f64 v[28:29], v[2:3], v[34:35], -v[36:37]
	v_fma_f64 v[12:13], v[12:13], v[38:39], v[22:23]
	v_fma_f64 v[10:11], v[10:11], v[38:39], -v[24:25]
	v_add_f64 v[18:19], v[18:19], v[14:15]
	v_add_f64 v[20:21], v[20:21], v[16:17]
	ds_load_b128 v[2:5], v1 offset:1728
	ds_load_b128 v[14:17], v1 offset:1744
	s_waitcnt vmcnt(1) lgkmcnt(1)
	v_mul_f64 v[30:31], v[2:3], v[44:45]
	v_mul_f64 v[32:33], v[4:5], v[44:45]
	s_waitcnt vmcnt(0) lgkmcnt(0)
	v_mul_f64 v[22:23], v[14:15], v[8:9]
	v_mul_f64 v[8:9], v[16:17], v[8:9]
	v_add_f64 v[18:19], v[18:19], v[28:29]
	v_add_f64 v[20:21], v[20:21], v[26:27]
	v_fma_f64 v[4:5], v[4:5], v[42:43], v[30:31]
	v_fma_f64 v[1:2], v[2:3], v[42:43], -v[32:33]
	v_fma_f64 v[16:17], v[16:17], v[6:7], v[22:23]
	v_fma_f64 v[6:7], v[14:15], v[6:7], -v[8:9]
	v_add_f64 v[10:11], v[18:19], v[10:11]
	v_add_f64 v[12:13], v[20:21], v[12:13]
	s_delay_alu instid0(VALU_DEP_2) | instskip(NEXT) | instid1(VALU_DEP_2)
	v_add_f64 v[1:2], v[10:11], v[1:2]
	v_add_f64 v[3:4], v[12:13], v[4:5]
	s_delay_alu instid0(VALU_DEP_2) | instskip(NEXT) | instid1(VALU_DEP_2)
	v_add_f64 v[1:2], v[1:2], v[6:7]
	v_add_f64 v[3:4], v[3:4], v[16:17]
	s_delay_alu instid0(VALU_DEP_2) | instskip(NEXT) | instid1(VALU_DEP_2)
	v_add_f64 v[1:2], v[172:173], -v[1:2]
	v_add_f64 v[3:4], v[174:175], -v[3:4]
	scratch_store_b128 off, v[1:4], off offset:192
	v_cmpx_lt_u32_e32 11, v156
	s_cbranch_execz .LBB118_321
; %bb.320:
	scratch_load_b128 v[1:4], v200, off
	v_mov_b32_e32 v5, 0
	s_delay_alu instid0(VALU_DEP_1)
	v_mov_b32_e32 v6, v5
	v_mov_b32_e32 v7, v5
	;; [unrolled: 1-line block ×3, first 2 shown]
	scratch_store_b128 off, v[5:8], off offset:176
	s_waitcnt vmcnt(0)
	ds_store_b128 v211, v[1:4]
.LBB118_321:
	s_or_b32 exec_lo, exec_lo, s2
	s_waitcnt lgkmcnt(0)
	s_waitcnt_vscnt null, 0x0
	s_barrier
	buffer_gl0_inv
	s_clause 0x7
	scratch_load_b128 v[2:5], off, off offset:192
	scratch_load_b128 v[6:9], off, off offset:208
	;; [unrolled: 1-line block ×8, first 2 shown]
	v_mov_b32_e32 v1, 0
	s_mov_b32 s2, exec_lo
	ds_load_b128 v[38:41], v1 offset:1072
	s_clause 0x1
	scratch_load_b128 v[34:37], off, off offset:320
	scratch_load_b128 v[42:45], off, off offset:176
	ds_load_b128 v[172:175], v1 offset:1088
	scratch_load_b128 v[176:179], off, off offset:336
	ds_load_b128 v[180:183], v1 offset:1120
	s_waitcnt vmcnt(10) lgkmcnt(2)
	v_mul_f64 v[169:170], v[40:41], v[4:5]
	v_mul_f64 v[4:5], v[38:39], v[4:5]
	s_delay_alu instid0(VALU_DEP_2) | instskip(NEXT) | instid1(VALU_DEP_2)
	v_fma_f64 v[169:170], v[38:39], v[2:3], -v[169:170]
	v_fma_f64 v[231:232], v[40:41], v[2:3], v[4:5]
	ds_load_b128 v[2:5], v1 offset:1104
	s_waitcnt vmcnt(9) lgkmcnt(2)
	v_mul_f64 v[229:230], v[172:173], v[8:9]
	v_mul_f64 v[8:9], v[174:175], v[8:9]
	scratch_load_b128 v[38:41], off, off offset:352
	s_waitcnt vmcnt(9) lgkmcnt(0)
	v_mul_f64 v[233:234], v[2:3], v[12:13]
	v_mul_f64 v[12:13], v[4:5], v[12:13]
	v_add_f64 v[169:170], v[169:170], 0
	v_fma_f64 v[174:175], v[174:175], v[6:7], v[229:230]
	v_fma_f64 v[172:173], v[172:173], v[6:7], -v[8:9]
	v_add_f64 v[229:230], v[231:232], 0
	scratch_load_b128 v[6:9], off, off offset:368
	v_fma_f64 v[233:234], v[4:5], v[10:11], v[233:234]
	v_fma_f64 v[235:236], v[2:3], v[10:11], -v[12:13]
	scratch_load_b128 v[10:13], off, off offset:384
	ds_load_b128 v[2:5], v1 offset:1136
	s_waitcnt vmcnt(10)
	v_mul_f64 v[231:232], v[180:181], v[16:17]
	v_mul_f64 v[16:17], v[182:183], v[16:17]
	v_add_f64 v[169:170], v[169:170], v[172:173]
	v_add_f64 v[229:230], v[229:230], v[174:175]
	ds_load_b128 v[172:175], v1 offset:1152
	s_waitcnt vmcnt(9) lgkmcnt(1)
	v_mul_f64 v[237:238], v[2:3], v[20:21]
	v_mul_f64 v[20:21], v[4:5], v[20:21]
	v_fma_f64 v[182:183], v[182:183], v[14:15], v[231:232]
	v_fma_f64 v[180:181], v[180:181], v[14:15], -v[16:17]
	scratch_load_b128 v[14:17], off, off offset:400
	v_add_f64 v[169:170], v[169:170], v[235:236]
	v_add_f64 v[229:230], v[229:230], v[233:234]
	v_fma_f64 v[233:234], v[4:5], v[18:19], v[237:238]
	v_fma_f64 v[235:236], v[2:3], v[18:19], -v[20:21]
	scratch_load_b128 v[18:21], off, off offset:416
	ds_load_b128 v[2:5], v1 offset:1168
	s_waitcnt vmcnt(10) lgkmcnt(1)
	v_mul_f64 v[231:232], v[172:173], v[24:25]
	v_mul_f64 v[24:25], v[174:175], v[24:25]
	s_waitcnt vmcnt(9) lgkmcnt(0)
	v_mul_f64 v[237:238], v[2:3], v[28:29]
	v_mul_f64 v[28:29], v[4:5], v[28:29]
	v_add_f64 v[169:170], v[169:170], v[180:181]
	v_add_f64 v[229:230], v[229:230], v[182:183]
	ds_load_b128 v[180:183], v1 offset:1184
	v_fma_f64 v[174:175], v[174:175], v[22:23], v[231:232]
	v_fma_f64 v[172:173], v[172:173], v[22:23], -v[24:25]
	scratch_load_b128 v[22:25], off, off offset:432
	v_add_f64 v[169:170], v[169:170], v[235:236]
	v_add_f64 v[229:230], v[229:230], v[233:234]
	v_fma_f64 v[233:234], v[4:5], v[26:27], v[237:238]
	v_fma_f64 v[235:236], v[2:3], v[26:27], -v[28:29]
	scratch_load_b128 v[26:29], off, off offset:448
	ds_load_b128 v[2:5], v1 offset:1200
	s_waitcnt vmcnt(10) lgkmcnt(1)
	v_mul_f64 v[231:232], v[180:181], v[32:33]
	v_mul_f64 v[32:33], v[182:183], v[32:33]
	s_waitcnt vmcnt(9) lgkmcnt(0)
	v_mul_f64 v[237:238], v[2:3], v[36:37]
	v_mul_f64 v[36:37], v[4:5], v[36:37]
	v_add_f64 v[169:170], v[169:170], v[172:173]
	v_add_f64 v[229:230], v[229:230], v[174:175]
	ds_load_b128 v[172:175], v1 offset:1216
	v_fma_f64 v[182:183], v[182:183], v[30:31], v[231:232]
	v_fma_f64 v[180:181], v[180:181], v[30:31], -v[32:33]
	scratch_load_b128 v[30:33], off, off offset:464
	v_add_f64 v[169:170], v[169:170], v[235:236]
	v_add_f64 v[229:230], v[229:230], v[233:234]
	v_fma_f64 v[235:236], v[4:5], v[34:35], v[237:238]
	v_fma_f64 v[237:238], v[2:3], v[34:35], -v[36:37]
	scratch_load_b128 v[34:37], off, off offset:480
	ds_load_b128 v[2:5], v1 offset:1232
	s_waitcnt vmcnt(9) lgkmcnt(1)
	v_mul_f64 v[231:232], v[172:173], v[178:179]
	v_mul_f64 v[233:234], v[174:175], v[178:179]
	v_add_f64 v[169:170], v[169:170], v[180:181]
	v_add_f64 v[182:183], v[229:230], v[182:183]
	ds_load_b128 v[178:181], v1 offset:1248
	v_fma_f64 v[231:232], v[174:175], v[176:177], v[231:232]
	v_fma_f64 v[176:177], v[172:173], v[176:177], -v[233:234]
	scratch_load_b128 v[172:175], off, off offset:496
	s_waitcnt vmcnt(9) lgkmcnt(1)
	v_mul_f64 v[229:230], v[2:3], v[40:41]
	v_mul_f64 v[40:41], v[4:5], v[40:41]
	v_add_f64 v[169:170], v[169:170], v[237:238]
	v_add_f64 v[182:183], v[182:183], v[235:236]
	s_delay_alu instid0(VALU_DEP_4) | instskip(NEXT) | instid1(VALU_DEP_4)
	v_fma_f64 v[235:236], v[4:5], v[38:39], v[229:230]
	v_fma_f64 v[237:238], v[2:3], v[38:39], -v[40:41]
	scratch_load_b128 v[38:41], off, off offset:512
	ds_load_b128 v[2:5], v1 offset:1264
	s_waitcnt vmcnt(9) lgkmcnt(1)
	v_mul_f64 v[233:234], v[178:179], v[8:9]
	v_mul_f64 v[8:9], v[180:181], v[8:9]
	v_add_f64 v[169:170], v[169:170], v[176:177]
	v_add_f64 v[176:177], v[182:183], v[231:232]
	s_waitcnt vmcnt(8) lgkmcnt(0)
	v_mul_f64 v[182:183], v[2:3], v[12:13]
	v_mul_f64 v[12:13], v[4:5], v[12:13]
	ds_load_b128 v[229:232], v1 offset:1280
	v_fma_f64 v[180:181], v[180:181], v[6:7], v[233:234]
	v_fma_f64 v[178:179], v[178:179], v[6:7], -v[8:9]
	scratch_load_b128 v[6:9], off, off offset:528
	v_add_f64 v[169:170], v[169:170], v[237:238]
	v_add_f64 v[176:177], v[176:177], v[235:236]
	v_fma_f64 v[182:183], v[4:5], v[10:11], v[182:183]
	v_fma_f64 v[235:236], v[2:3], v[10:11], -v[12:13]
	scratch_load_b128 v[10:13], off, off offset:544
	ds_load_b128 v[2:5], v1 offset:1296
	s_waitcnt vmcnt(9) lgkmcnt(1)
	v_mul_f64 v[233:234], v[229:230], v[16:17]
	v_mul_f64 v[16:17], v[231:232], v[16:17]
	s_waitcnt vmcnt(8) lgkmcnt(0)
	v_mul_f64 v[237:238], v[2:3], v[20:21]
	v_mul_f64 v[20:21], v[4:5], v[20:21]
	v_add_f64 v[169:170], v[169:170], v[178:179]
	v_add_f64 v[180:181], v[176:177], v[180:181]
	ds_load_b128 v[176:179], v1 offset:1312
	v_fma_f64 v[231:232], v[231:232], v[14:15], v[233:234]
	v_fma_f64 v[229:230], v[229:230], v[14:15], -v[16:17]
	scratch_load_b128 v[14:17], off, off offset:560
	v_add_f64 v[169:170], v[169:170], v[235:236]
	v_add_f64 v[180:181], v[180:181], v[182:183]
	v_fma_f64 v[235:236], v[4:5], v[18:19], v[237:238]
	v_fma_f64 v[237:238], v[2:3], v[18:19], -v[20:21]
	scratch_load_b128 v[18:21], off, off offset:576
	ds_load_b128 v[2:5], v1 offset:1328
	s_waitcnt vmcnt(9) lgkmcnt(1)
	v_mul_f64 v[233:234], v[176:177], v[24:25]
	v_mul_f64 v[24:25], v[178:179], v[24:25]
	v_add_f64 v[169:170], v[169:170], v[229:230]
	v_add_f64 v[229:230], v[180:181], v[231:232]
	s_waitcnt vmcnt(8) lgkmcnt(0)
	v_mul_f64 v[231:232], v[2:3], v[28:29]
	v_mul_f64 v[28:29], v[4:5], v[28:29]
	ds_load_b128 v[180:183], v1 offset:1344
	v_fma_f64 v[178:179], v[178:179], v[22:23], v[233:234]
	v_fma_f64 v[176:177], v[176:177], v[22:23], -v[24:25]
	scratch_load_b128 v[22:25], off, off offset:592
	v_add_f64 v[169:170], v[169:170], v[237:238]
	v_add_f64 v[229:230], v[229:230], v[235:236]
	v_fma_f64 v[231:232], v[4:5], v[26:27], v[231:232]
	v_fma_f64 v[235:236], v[2:3], v[26:27], -v[28:29]
	scratch_load_b128 v[26:29], off, off offset:608
	ds_load_b128 v[2:5], v1 offset:1360
	s_waitcnt vmcnt(9) lgkmcnt(1)
	v_mul_f64 v[233:234], v[180:181], v[32:33]
	v_mul_f64 v[32:33], v[182:183], v[32:33]
	s_waitcnt vmcnt(8) lgkmcnt(0)
	v_mul_f64 v[237:238], v[2:3], v[36:37]
	v_mul_f64 v[36:37], v[4:5], v[36:37]
	v_add_f64 v[169:170], v[169:170], v[176:177]
	v_add_f64 v[229:230], v[229:230], v[178:179]
	ds_load_b128 v[176:179], v1 offset:1376
	v_fma_f64 v[182:183], v[182:183], v[30:31], v[233:234]
	v_fma_f64 v[180:181], v[180:181], v[30:31], -v[32:33]
	scratch_load_b128 v[30:33], off, off offset:624
	v_fma_f64 v[233:234], v[4:5], v[34:35], v[237:238]
	v_add_f64 v[169:170], v[169:170], v[235:236]
	v_add_f64 v[229:230], v[229:230], v[231:232]
	v_fma_f64 v[235:236], v[2:3], v[34:35], -v[36:37]
	scratch_load_b128 v[34:37], off, off offset:640
	ds_load_b128 v[2:5], v1 offset:1392
	s_waitcnt vmcnt(9) lgkmcnt(1)
	v_mul_f64 v[231:232], v[176:177], v[174:175]
	v_mul_f64 v[174:175], v[178:179], v[174:175]
	s_waitcnt vmcnt(8) lgkmcnt(0)
	v_mul_f64 v[237:238], v[2:3], v[40:41]
	v_mul_f64 v[40:41], v[4:5], v[40:41]
	v_add_f64 v[169:170], v[169:170], v[180:181]
	v_add_f64 v[229:230], v[229:230], v[182:183]
	ds_load_b128 v[180:183], v1 offset:1408
	v_fma_f64 v[178:179], v[178:179], v[172:173], v[231:232]
	v_fma_f64 v[176:177], v[176:177], v[172:173], -v[174:175]
	scratch_load_b128 v[172:175], off, off offset:656
	v_add_f64 v[169:170], v[169:170], v[235:236]
	v_add_f64 v[229:230], v[229:230], v[233:234]
	v_fma_f64 v[233:234], v[4:5], v[38:39], v[237:238]
	v_fma_f64 v[235:236], v[2:3], v[38:39], -v[40:41]
	scratch_load_b128 v[38:41], off, off offset:672
	ds_load_b128 v[2:5], v1 offset:1424
	s_waitcnt vmcnt(9) lgkmcnt(1)
	v_mul_f64 v[231:232], v[180:181], v[8:9]
	v_mul_f64 v[8:9], v[182:183], v[8:9]
	s_waitcnt vmcnt(8) lgkmcnt(0)
	v_mul_f64 v[237:238], v[2:3], v[12:13]
	v_mul_f64 v[12:13], v[4:5], v[12:13]
	v_add_f64 v[169:170], v[169:170], v[176:177]
	v_add_f64 v[229:230], v[229:230], v[178:179]
	ds_load_b128 v[176:179], v1 offset:1440
	v_fma_f64 v[182:183], v[182:183], v[6:7], v[231:232]
	v_fma_f64 v[180:181], v[180:181], v[6:7], -v[8:9]
	scratch_load_b128 v[6:9], off, off offset:688
	v_add_f64 v[169:170], v[169:170], v[235:236]
	v_add_f64 v[229:230], v[229:230], v[233:234]
	v_fma_f64 v[233:234], v[4:5], v[10:11], v[237:238]
	v_fma_f64 v[235:236], v[2:3], v[10:11], -v[12:13]
	scratch_load_b128 v[10:13], off, off offset:704
	ds_load_b128 v[2:5], v1 offset:1456
	s_waitcnt vmcnt(9) lgkmcnt(1)
	v_mul_f64 v[231:232], v[176:177], v[16:17]
	v_mul_f64 v[16:17], v[178:179], v[16:17]
	s_waitcnt vmcnt(8) lgkmcnt(0)
	v_mul_f64 v[237:238], v[2:3], v[20:21]
	v_mul_f64 v[20:21], v[4:5], v[20:21]
	v_add_f64 v[169:170], v[169:170], v[180:181]
	v_add_f64 v[229:230], v[229:230], v[182:183]
	ds_load_b128 v[180:183], v1 offset:1472
	v_fma_f64 v[178:179], v[178:179], v[14:15], v[231:232]
	v_fma_f64 v[176:177], v[176:177], v[14:15], -v[16:17]
	scratch_load_b128 v[14:17], off, off offset:720
	v_add_f64 v[169:170], v[169:170], v[235:236]
	v_add_f64 v[229:230], v[229:230], v[233:234]
	v_fma_f64 v[233:234], v[4:5], v[18:19], v[237:238]
	v_fma_f64 v[235:236], v[2:3], v[18:19], -v[20:21]
	scratch_load_b128 v[18:21], off, off offset:736
	ds_load_b128 v[2:5], v1 offset:1488
	s_waitcnt vmcnt(9) lgkmcnt(1)
	v_mul_f64 v[231:232], v[180:181], v[24:25]
	v_mul_f64 v[24:25], v[182:183], v[24:25]
	s_waitcnt vmcnt(8) lgkmcnt(0)
	v_mul_f64 v[237:238], v[2:3], v[28:29]
	v_mul_f64 v[28:29], v[4:5], v[28:29]
	v_add_f64 v[169:170], v[169:170], v[176:177]
	v_add_f64 v[229:230], v[229:230], v[178:179]
	ds_load_b128 v[176:179], v1 offset:1504
	v_fma_f64 v[182:183], v[182:183], v[22:23], v[231:232]
	v_fma_f64 v[180:181], v[180:181], v[22:23], -v[24:25]
	scratch_load_b128 v[22:25], off, off offset:752
	v_add_f64 v[169:170], v[169:170], v[235:236]
	v_add_f64 v[229:230], v[229:230], v[233:234]
	v_fma_f64 v[233:234], v[4:5], v[26:27], v[237:238]
	v_fma_f64 v[235:236], v[2:3], v[26:27], -v[28:29]
	scratch_load_b128 v[26:29], off, off offset:768
	ds_load_b128 v[2:5], v1 offset:1520
	s_waitcnt vmcnt(9) lgkmcnt(1)
	v_mul_f64 v[231:232], v[176:177], v[32:33]
	v_mul_f64 v[32:33], v[178:179], v[32:33]
	s_waitcnt vmcnt(8) lgkmcnt(0)
	v_mul_f64 v[237:238], v[2:3], v[36:37]
	v_mul_f64 v[36:37], v[4:5], v[36:37]
	v_add_f64 v[169:170], v[169:170], v[180:181]
	v_add_f64 v[229:230], v[229:230], v[182:183]
	ds_load_b128 v[180:183], v1 offset:1536
	v_fma_f64 v[178:179], v[178:179], v[30:31], v[231:232]
	v_fma_f64 v[176:177], v[176:177], v[30:31], -v[32:33]
	scratch_load_b128 v[30:33], off, off offset:784
	v_add_f64 v[169:170], v[169:170], v[235:236]
	v_add_f64 v[229:230], v[229:230], v[233:234]
	v_fma_f64 v[235:236], v[4:5], v[34:35], v[237:238]
	v_fma_f64 v[237:238], v[2:3], v[34:35], -v[36:37]
	scratch_load_b128 v[34:37], off, off offset:800
	ds_load_b128 v[2:5], v1 offset:1552
	s_waitcnt vmcnt(9) lgkmcnt(1)
	v_mul_f64 v[231:232], v[180:181], v[174:175]
	v_mul_f64 v[233:234], v[182:183], v[174:175]
	v_add_f64 v[169:170], v[169:170], v[176:177]
	v_add_f64 v[178:179], v[229:230], v[178:179]
	s_waitcnt vmcnt(8) lgkmcnt(0)
	v_mul_f64 v[229:230], v[2:3], v[40:41]
	v_mul_f64 v[40:41], v[4:5], v[40:41]
	ds_load_b128 v[174:177], v1 offset:1568
	v_fma_f64 v[182:183], v[182:183], v[172:173], v[231:232]
	v_fma_f64 v[172:173], v[180:181], v[172:173], -v[233:234]
	v_add_f64 v[169:170], v[169:170], v[237:238]
	v_add_f64 v[231:232], v[178:179], v[235:236]
	scratch_load_b128 v[178:181], off, off offset:816
	v_fma_f64 v[235:236], v[4:5], v[38:39], v[229:230]
	v_fma_f64 v[237:238], v[2:3], v[38:39], -v[40:41]
	scratch_load_b128 v[38:41], off, off offset:832
	ds_load_b128 v[2:5], v1 offset:1584
	s_waitcnt vmcnt(9) lgkmcnt(1)
	v_mul_f64 v[233:234], v[174:175], v[8:9]
	v_mul_f64 v[8:9], v[176:177], v[8:9]
	v_add_f64 v[169:170], v[169:170], v[172:173]
	v_add_f64 v[172:173], v[231:232], v[182:183]
	s_waitcnt vmcnt(8) lgkmcnt(0)
	v_mul_f64 v[182:183], v[2:3], v[12:13]
	v_mul_f64 v[12:13], v[4:5], v[12:13]
	ds_load_b128 v[229:232], v1 offset:1600
	v_fma_f64 v[176:177], v[176:177], v[6:7], v[233:234]
	v_fma_f64 v[174:175], v[174:175], v[6:7], -v[8:9]
	scratch_load_b128 v[6:9], off, off offset:848
	v_add_f64 v[169:170], v[169:170], v[237:238]
	v_add_f64 v[172:173], v[172:173], v[235:236]
	v_fma_f64 v[182:183], v[4:5], v[10:11], v[182:183]
	v_fma_f64 v[235:236], v[2:3], v[10:11], -v[12:13]
	scratch_load_b128 v[10:13], off, off offset:864
	ds_load_b128 v[2:5], v1 offset:1616
	s_waitcnt vmcnt(9) lgkmcnt(1)
	v_mul_f64 v[233:234], v[229:230], v[16:17]
	v_mul_f64 v[16:17], v[231:232], v[16:17]
	s_waitcnt vmcnt(8) lgkmcnt(0)
	v_mul_f64 v[237:238], v[2:3], v[20:21]
	v_mul_f64 v[20:21], v[4:5], v[20:21]
	v_add_f64 v[169:170], v[169:170], v[174:175]
	v_add_f64 v[176:177], v[172:173], v[176:177]
	ds_load_b128 v[172:175], v1 offset:1632
	v_fma_f64 v[231:232], v[231:232], v[14:15], v[233:234]
	v_fma_f64 v[14:15], v[229:230], v[14:15], -v[16:17]
	v_add_f64 v[16:17], v[169:170], v[235:236]
	v_add_f64 v[169:170], v[176:177], v[182:183]
	s_waitcnt vmcnt(7) lgkmcnt(0)
	v_mul_f64 v[176:177], v[172:173], v[24:25]
	v_mul_f64 v[24:25], v[174:175], v[24:25]
	v_fma_f64 v[182:183], v[4:5], v[18:19], v[237:238]
	v_fma_f64 v[18:19], v[2:3], v[18:19], -v[20:21]
	v_add_f64 v[20:21], v[16:17], v[14:15]
	v_add_f64 v[169:170], v[169:170], v[231:232]
	ds_load_b128 v[2:5], v1 offset:1648
	ds_load_b128 v[14:17], v1 offset:1664
	v_fma_f64 v[174:175], v[174:175], v[22:23], v[176:177]
	v_fma_f64 v[22:23], v[172:173], v[22:23], -v[24:25]
	s_waitcnt vmcnt(6) lgkmcnt(1)
	v_mul_f64 v[229:230], v[2:3], v[28:29]
	v_mul_f64 v[28:29], v[4:5], v[28:29]
	s_waitcnt vmcnt(5) lgkmcnt(0)
	v_mul_f64 v[24:25], v[14:15], v[32:33]
	v_mul_f64 v[32:33], v[16:17], v[32:33]
	v_add_f64 v[18:19], v[20:21], v[18:19]
	v_add_f64 v[20:21], v[169:170], v[182:183]
	v_fma_f64 v[169:170], v[4:5], v[26:27], v[229:230]
	v_fma_f64 v[26:27], v[2:3], v[26:27], -v[28:29]
	v_fma_f64 v[16:17], v[16:17], v[30:31], v[24:25]
	v_fma_f64 v[14:15], v[14:15], v[30:31], -v[32:33]
	v_add_f64 v[22:23], v[18:19], v[22:23]
	v_add_f64 v[28:29], v[20:21], v[174:175]
	ds_load_b128 v[2:5], v1 offset:1680
	ds_load_b128 v[18:21], v1 offset:1696
	s_waitcnt vmcnt(4) lgkmcnt(1)
	v_mul_f64 v[172:173], v[2:3], v[36:37]
	v_mul_f64 v[36:37], v[4:5], v[36:37]
	v_add_f64 v[22:23], v[22:23], v[26:27]
	v_add_f64 v[24:25], v[28:29], v[169:170]
	s_waitcnt vmcnt(3) lgkmcnt(0)
	v_mul_f64 v[26:27], v[18:19], v[180:181]
	v_mul_f64 v[28:29], v[20:21], v[180:181]
	v_fma_f64 v[30:31], v[4:5], v[34:35], v[172:173]
	v_fma_f64 v[32:33], v[2:3], v[34:35], -v[36:37]
	v_add_f64 v[22:23], v[22:23], v[14:15]
	v_add_f64 v[24:25], v[24:25], v[16:17]
	ds_load_b128 v[2:5], v1 offset:1712
	ds_load_b128 v[14:17], v1 offset:1728
	v_fma_f64 v[20:21], v[20:21], v[178:179], v[26:27]
	v_fma_f64 v[18:19], v[18:19], v[178:179], -v[28:29]
	s_waitcnt vmcnt(2) lgkmcnt(1)
	v_mul_f64 v[34:35], v[2:3], v[40:41]
	v_mul_f64 v[36:37], v[4:5], v[40:41]
	s_waitcnt vmcnt(1) lgkmcnt(0)
	v_mul_f64 v[26:27], v[14:15], v[8:9]
	v_mul_f64 v[8:9], v[16:17], v[8:9]
	v_add_f64 v[22:23], v[22:23], v[32:33]
	v_add_f64 v[24:25], v[24:25], v[30:31]
	v_fma_f64 v[28:29], v[4:5], v[38:39], v[34:35]
	v_fma_f64 v[30:31], v[2:3], v[38:39], -v[36:37]
	ds_load_b128 v[2:5], v1 offset:1744
	v_fma_f64 v[16:17], v[16:17], v[6:7], v[26:27]
	v_fma_f64 v[6:7], v[14:15], v[6:7], -v[8:9]
	v_add_f64 v[18:19], v[22:23], v[18:19]
	v_add_f64 v[20:21], v[24:25], v[20:21]
	s_waitcnt vmcnt(0) lgkmcnt(0)
	v_mul_f64 v[22:23], v[2:3], v[12:13]
	v_mul_f64 v[12:13], v[4:5], v[12:13]
	s_delay_alu instid0(VALU_DEP_4) | instskip(NEXT) | instid1(VALU_DEP_4)
	v_add_f64 v[8:9], v[18:19], v[30:31]
	v_add_f64 v[14:15], v[20:21], v[28:29]
	s_delay_alu instid0(VALU_DEP_4) | instskip(NEXT) | instid1(VALU_DEP_4)
	v_fma_f64 v[4:5], v[4:5], v[10:11], v[22:23]
	v_fma_f64 v[2:3], v[2:3], v[10:11], -v[12:13]
	s_delay_alu instid0(VALU_DEP_4) | instskip(NEXT) | instid1(VALU_DEP_4)
	v_add_f64 v[6:7], v[8:9], v[6:7]
	v_add_f64 v[8:9], v[14:15], v[16:17]
	s_delay_alu instid0(VALU_DEP_2) | instskip(NEXT) | instid1(VALU_DEP_2)
	v_add_f64 v[2:3], v[6:7], v[2:3]
	v_add_f64 v[4:5], v[8:9], v[4:5]
	s_delay_alu instid0(VALU_DEP_2) | instskip(NEXT) | instid1(VALU_DEP_2)
	v_add_f64 v[2:3], v[42:43], -v[2:3]
	v_add_f64 v[4:5], v[44:45], -v[4:5]
	scratch_store_b128 off, v[2:5], off offset:176
	v_cmpx_lt_u32_e32 10, v156
	s_cbranch_execz .LBB118_323
; %bb.322:
	scratch_load_b128 v[5:8], v201, off
	v_mov_b32_e32 v2, v1
	v_mov_b32_e32 v3, v1
	;; [unrolled: 1-line block ×3, first 2 shown]
	scratch_store_b128 off, v[1:4], off offset:160
	s_waitcnt vmcnt(0)
	ds_store_b128 v211, v[5:8]
.LBB118_323:
	s_or_b32 exec_lo, exec_lo, s2
	s_waitcnt lgkmcnt(0)
	s_waitcnt_vscnt null, 0x0
	s_barrier
	buffer_gl0_inv
	s_clause 0x8
	scratch_load_b128 v[2:5], off, off offset:176
	scratch_load_b128 v[6:9], off, off offset:192
	;; [unrolled: 1-line block ×9, first 2 shown]
	ds_load_b128 v[42:45], v1 offset:1056
	ds_load_b128 v[38:41], v1 offset:1072
	s_clause 0x1
	scratch_load_b128 v[172:175], off, off offset:160
	scratch_load_b128 v[176:179], off, off offset:320
	s_mov_b32 s2, exec_lo
	ds_load_b128 v[180:183], v1 offset:1104
	s_waitcnt vmcnt(10) lgkmcnt(2)
	v_mul_f64 v[169:170], v[44:45], v[4:5]
	v_mul_f64 v[4:5], v[42:43], v[4:5]
	s_waitcnt vmcnt(9) lgkmcnt(1)
	v_mul_f64 v[229:230], v[38:39], v[8:9]
	v_mul_f64 v[8:9], v[40:41], v[8:9]
	s_delay_alu instid0(VALU_DEP_4) | instskip(NEXT) | instid1(VALU_DEP_4)
	v_fma_f64 v[169:170], v[42:43], v[2:3], -v[169:170]
	v_fma_f64 v[231:232], v[44:45], v[2:3], v[4:5]
	ds_load_b128 v[2:5], v1 offset:1088
	scratch_load_b128 v[42:45], off, off offset:336
	v_fma_f64 v[40:41], v[40:41], v[6:7], v[229:230]
	v_fma_f64 v[38:39], v[38:39], v[6:7], -v[8:9]
	scratch_load_b128 v[6:9], off, off offset:352
	s_waitcnt vmcnt(10) lgkmcnt(0)
	v_mul_f64 v[233:234], v[2:3], v[12:13]
	v_mul_f64 v[12:13], v[4:5], v[12:13]
	v_add_f64 v[169:170], v[169:170], 0
	v_add_f64 v[229:230], v[231:232], 0
	s_waitcnt vmcnt(9)
	v_mul_f64 v[231:232], v[180:181], v[16:17]
	v_mul_f64 v[16:17], v[182:183], v[16:17]
	v_fma_f64 v[233:234], v[4:5], v[10:11], v[233:234]
	v_fma_f64 v[235:236], v[2:3], v[10:11], -v[12:13]
	ds_load_b128 v[2:5], v1 offset:1120
	scratch_load_b128 v[10:13], off, off offset:368
	v_add_f64 v[169:170], v[169:170], v[38:39]
	v_add_f64 v[229:230], v[229:230], v[40:41]
	ds_load_b128 v[38:41], v1 offset:1136
	v_fma_f64 v[182:183], v[182:183], v[14:15], v[231:232]
	v_fma_f64 v[180:181], v[180:181], v[14:15], -v[16:17]
	scratch_load_b128 v[14:17], off, off offset:384
	s_waitcnt vmcnt(10) lgkmcnt(1)
	v_mul_f64 v[237:238], v[2:3], v[20:21]
	v_mul_f64 v[20:21], v[4:5], v[20:21]
	s_waitcnt vmcnt(9) lgkmcnt(0)
	v_mul_f64 v[231:232], v[38:39], v[24:25]
	v_mul_f64 v[24:25], v[40:41], v[24:25]
	v_add_f64 v[169:170], v[169:170], v[235:236]
	v_add_f64 v[229:230], v[229:230], v[233:234]
	v_fma_f64 v[233:234], v[4:5], v[18:19], v[237:238]
	v_fma_f64 v[235:236], v[2:3], v[18:19], -v[20:21]
	ds_load_b128 v[2:5], v1 offset:1152
	scratch_load_b128 v[18:21], off, off offset:400
	v_fma_f64 v[40:41], v[40:41], v[22:23], v[231:232]
	v_fma_f64 v[38:39], v[38:39], v[22:23], -v[24:25]
	scratch_load_b128 v[22:25], off, off offset:416
	v_add_f64 v[169:170], v[169:170], v[180:181]
	v_add_f64 v[229:230], v[229:230], v[182:183]
	ds_load_b128 v[180:183], v1 offset:1168
	s_waitcnt vmcnt(10) lgkmcnt(1)
	v_mul_f64 v[237:238], v[2:3], v[28:29]
	v_mul_f64 v[28:29], v[4:5], v[28:29]
	s_waitcnt vmcnt(9) lgkmcnt(0)
	v_mul_f64 v[231:232], v[180:181], v[32:33]
	v_mul_f64 v[32:33], v[182:183], v[32:33]
	v_add_f64 v[169:170], v[169:170], v[235:236]
	v_add_f64 v[229:230], v[229:230], v[233:234]
	v_fma_f64 v[233:234], v[4:5], v[26:27], v[237:238]
	v_fma_f64 v[235:236], v[2:3], v[26:27], -v[28:29]
	ds_load_b128 v[2:5], v1 offset:1184
	scratch_load_b128 v[26:29], off, off offset:432
	v_fma_f64 v[182:183], v[182:183], v[30:31], v[231:232]
	v_fma_f64 v[180:181], v[180:181], v[30:31], -v[32:33]
	scratch_load_b128 v[30:33], off, off offset:448
	v_add_f64 v[169:170], v[169:170], v[38:39]
	v_add_f64 v[229:230], v[229:230], v[40:41]
	ds_load_b128 v[38:41], v1 offset:1200
	s_waitcnt vmcnt(10) lgkmcnt(1)
	v_mul_f64 v[237:238], v[2:3], v[36:37]
	v_mul_f64 v[36:37], v[4:5], v[36:37]
	s_waitcnt vmcnt(8) lgkmcnt(0)
	v_mul_f64 v[231:232], v[38:39], v[178:179]
	v_add_f64 v[169:170], v[169:170], v[235:236]
	v_add_f64 v[229:230], v[229:230], v[233:234]
	v_mul_f64 v[233:234], v[40:41], v[178:179]
	v_fma_f64 v[235:236], v[4:5], v[34:35], v[237:238]
	v_fma_f64 v[237:238], v[2:3], v[34:35], -v[36:37]
	ds_load_b128 v[2:5], v1 offset:1216
	scratch_load_b128 v[34:37], off, off offset:464
	v_fma_f64 v[231:232], v[40:41], v[176:177], v[231:232]
	v_add_f64 v[169:170], v[169:170], v[180:181]
	v_add_f64 v[182:183], v[229:230], v[182:183]
	ds_load_b128 v[178:181], v1 offset:1232
	v_fma_f64 v[176:177], v[38:39], v[176:177], -v[233:234]
	scratch_load_b128 v[38:41], off, off offset:480
	s_waitcnt vmcnt(9) lgkmcnt(1)
	v_mul_f64 v[229:230], v[2:3], v[44:45]
	v_mul_f64 v[44:45], v[4:5], v[44:45]
	s_waitcnt vmcnt(8) lgkmcnt(0)
	v_mul_f64 v[233:234], v[178:179], v[8:9]
	v_mul_f64 v[8:9], v[180:181], v[8:9]
	v_add_f64 v[169:170], v[169:170], v[237:238]
	v_add_f64 v[182:183], v[182:183], v[235:236]
	v_fma_f64 v[235:236], v[4:5], v[42:43], v[229:230]
	v_fma_f64 v[237:238], v[2:3], v[42:43], -v[44:45]
	ds_load_b128 v[2:5], v1 offset:1248
	scratch_load_b128 v[42:45], off, off offset:496
	v_fma_f64 v[180:181], v[180:181], v[6:7], v[233:234]
	v_fma_f64 v[178:179], v[178:179], v[6:7], -v[8:9]
	scratch_load_b128 v[6:9], off, off offset:512
	v_add_f64 v[169:170], v[169:170], v[176:177]
	v_add_f64 v[176:177], v[182:183], v[231:232]
	ds_load_b128 v[229:232], v1 offset:1264
	s_waitcnt vmcnt(9) lgkmcnt(1)
	v_mul_f64 v[182:183], v[2:3], v[12:13]
	v_mul_f64 v[12:13], v[4:5], v[12:13]
	s_waitcnt vmcnt(8) lgkmcnt(0)
	v_mul_f64 v[233:234], v[229:230], v[16:17]
	v_mul_f64 v[16:17], v[231:232], v[16:17]
	v_add_f64 v[169:170], v[169:170], v[237:238]
	v_add_f64 v[176:177], v[176:177], v[235:236]
	v_fma_f64 v[182:183], v[4:5], v[10:11], v[182:183]
	v_fma_f64 v[235:236], v[2:3], v[10:11], -v[12:13]
	ds_load_b128 v[2:5], v1 offset:1280
	scratch_load_b128 v[10:13], off, off offset:528
	v_fma_f64 v[231:232], v[231:232], v[14:15], v[233:234]
	v_fma_f64 v[229:230], v[229:230], v[14:15], -v[16:17]
	scratch_load_b128 v[14:17], off, off offset:544
	v_add_f64 v[169:170], v[169:170], v[178:179]
	v_add_f64 v[180:181], v[176:177], v[180:181]
	ds_load_b128 v[176:179], v1 offset:1296
	;; [unrolled: 18-line block ×4, first 2 shown]
	s_waitcnt vmcnt(9) lgkmcnt(1)
	v_mul_f64 v[237:238], v[2:3], v[36:37]
	v_mul_f64 v[36:37], v[4:5], v[36:37]
	v_add_f64 v[169:170], v[169:170], v[235:236]
	v_add_f64 v[229:230], v[229:230], v[231:232]
	s_waitcnt vmcnt(8) lgkmcnt(0)
	v_mul_f64 v[231:232], v[176:177], v[40:41]
	v_mul_f64 v[40:41], v[178:179], v[40:41]
	v_fma_f64 v[233:234], v[4:5], v[34:35], v[237:238]
	v_fma_f64 v[235:236], v[2:3], v[34:35], -v[36:37]
	ds_load_b128 v[2:5], v1 offset:1376
	scratch_load_b128 v[34:37], off, off offset:624
	v_add_f64 v[169:170], v[169:170], v[180:181]
	v_add_f64 v[229:230], v[229:230], v[182:183]
	ds_load_b128 v[180:183], v1 offset:1392
	s_waitcnt vmcnt(8) lgkmcnt(1)
	v_mul_f64 v[237:238], v[2:3], v[44:45]
	v_mul_f64 v[44:45], v[4:5], v[44:45]
	v_fma_f64 v[178:179], v[178:179], v[38:39], v[231:232]
	v_fma_f64 v[176:177], v[176:177], v[38:39], -v[40:41]
	scratch_load_b128 v[38:41], off, off offset:640
	s_waitcnt vmcnt(8) lgkmcnt(0)
	v_mul_f64 v[231:232], v[180:181], v[8:9]
	v_mul_f64 v[8:9], v[182:183], v[8:9]
	v_add_f64 v[169:170], v[169:170], v[235:236]
	v_add_f64 v[229:230], v[229:230], v[233:234]
	v_fma_f64 v[233:234], v[4:5], v[42:43], v[237:238]
	v_fma_f64 v[235:236], v[2:3], v[42:43], -v[44:45]
	ds_load_b128 v[2:5], v1 offset:1408
	scratch_load_b128 v[42:45], off, off offset:656
	v_fma_f64 v[182:183], v[182:183], v[6:7], v[231:232]
	v_fma_f64 v[180:181], v[180:181], v[6:7], -v[8:9]
	scratch_load_b128 v[6:9], off, off offset:672
	v_add_f64 v[169:170], v[169:170], v[176:177]
	v_add_f64 v[229:230], v[229:230], v[178:179]
	ds_load_b128 v[176:179], v1 offset:1424
	s_waitcnt vmcnt(9) lgkmcnt(1)
	v_mul_f64 v[237:238], v[2:3], v[12:13]
	v_mul_f64 v[12:13], v[4:5], v[12:13]
	s_waitcnt vmcnt(8) lgkmcnt(0)
	v_mul_f64 v[231:232], v[176:177], v[16:17]
	v_mul_f64 v[16:17], v[178:179], v[16:17]
	v_add_f64 v[169:170], v[169:170], v[235:236]
	v_add_f64 v[229:230], v[229:230], v[233:234]
	v_fma_f64 v[233:234], v[4:5], v[10:11], v[237:238]
	v_fma_f64 v[235:236], v[2:3], v[10:11], -v[12:13]
	ds_load_b128 v[2:5], v1 offset:1440
	scratch_load_b128 v[10:13], off, off offset:688
	v_fma_f64 v[178:179], v[178:179], v[14:15], v[231:232]
	v_fma_f64 v[176:177], v[176:177], v[14:15], -v[16:17]
	scratch_load_b128 v[14:17], off, off offset:704
	v_add_f64 v[169:170], v[169:170], v[180:181]
	v_add_f64 v[229:230], v[229:230], v[182:183]
	ds_load_b128 v[180:183], v1 offset:1456
	s_waitcnt vmcnt(9) lgkmcnt(1)
	v_mul_f64 v[237:238], v[2:3], v[20:21]
	v_mul_f64 v[20:21], v[4:5], v[20:21]
	;; [unrolled: 18-line block ×7, first 2 shown]
	s_waitcnt vmcnt(8) lgkmcnt(0)
	v_mul_f64 v[231:232], v[176:177], v[24:25]
	v_mul_f64 v[24:25], v[178:179], v[24:25]
	v_add_f64 v[169:170], v[169:170], v[235:236]
	v_add_f64 v[229:230], v[229:230], v[233:234]
	v_fma_f64 v[233:234], v[4:5], v[18:19], v[237:238]
	v_fma_f64 v[235:236], v[2:3], v[18:19], -v[20:21]
	ds_load_b128 v[2:5], v1 offset:1632
	ds_load_b128 v[18:21], v1 offset:1648
	v_fma_f64 v[178:179], v[178:179], v[22:23], v[231:232]
	v_fma_f64 v[22:23], v[176:177], v[22:23], -v[24:25]
	v_add_f64 v[169:170], v[169:170], v[180:181]
	v_add_f64 v[180:181], v[229:230], v[182:183]
	s_waitcnt vmcnt(7) lgkmcnt(1)
	v_mul_f64 v[182:183], v[2:3], v[28:29]
	v_mul_f64 v[28:29], v[4:5], v[28:29]
	s_waitcnt vmcnt(6) lgkmcnt(0)
	v_mul_f64 v[176:177], v[18:19], v[32:33]
	v_mul_f64 v[32:33], v[20:21], v[32:33]
	v_add_f64 v[24:25], v[169:170], v[235:236]
	v_add_f64 v[169:170], v[180:181], v[233:234]
	v_fma_f64 v[180:181], v[4:5], v[26:27], v[182:183]
	v_fma_f64 v[26:27], v[2:3], v[26:27], -v[28:29]
	v_fma_f64 v[20:21], v[20:21], v[30:31], v[176:177]
	v_fma_f64 v[18:19], v[18:19], v[30:31], -v[32:33]
	v_add_f64 v[28:29], v[24:25], v[22:23]
	v_add_f64 v[169:170], v[169:170], v[178:179]
	ds_load_b128 v[2:5], v1 offset:1664
	ds_load_b128 v[22:25], v1 offset:1680
	s_waitcnt vmcnt(5) lgkmcnt(1)
	v_mul_f64 v[178:179], v[2:3], v[36:37]
	v_mul_f64 v[36:37], v[4:5], v[36:37]
	s_waitcnt vmcnt(4) lgkmcnt(0)
	v_mul_f64 v[30:31], v[22:23], v[40:41]
	v_mul_f64 v[32:33], v[24:25], v[40:41]
	v_add_f64 v[26:27], v[28:29], v[26:27]
	v_add_f64 v[28:29], v[169:170], v[180:181]
	v_fma_f64 v[40:41], v[4:5], v[34:35], v[178:179]
	v_fma_f64 v[34:35], v[2:3], v[34:35], -v[36:37]
	v_fma_f64 v[24:25], v[24:25], v[38:39], v[30:31]
	v_fma_f64 v[22:23], v[22:23], v[38:39], -v[32:33]
	v_add_f64 v[26:27], v[26:27], v[18:19]
	v_add_f64 v[28:29], v[28:29], v[20:21]
	ds_load_b128 v[2:5], v1 offset:1696
	ds_load_b128 v[18:21], v1 offset:1712
	;; [unrolled: 16-line block ×3, first 2 shown]
	s_waitcnt vmcnt(1) lgkmcnt(1)
	v_mul_f64 v[36:37], v[2:3], v[12:13]
	v_mul_f64 v[12:13], v[4:5], v[12:13]
	v_add_f64 v[8:9], v[26:27], v[34:35]
	v_add_f64 v[18:19], v[28:29], v[32:33]
	s_waitcnt vmcnt(0) lgkmcnt(0)
	v_mul_f64 v[26:27], v[22:23], v[16:17]
	v_mul_f64 v[16:17], v[24:25], v[16:17]
	v_fma_f64 v[4:5], v[4:5], v[10:11], v[36:37]
	v_fma_f64 v[1:2], v[2:3], v[10:11], -v[12:13]
	v_add_f64 v[6:7], v[8:9], v[6:7]
	v_add_f64 v[8:9], v[18:19], v[20:21]
	v_fma_f64 v[10:11], v[24:25], v[14:15], v[26:27]
	v_fma_f64 v[12:13], v[22:23], v[14:15], -v[16:17]
	s_delay_alu instid0(VALU_DEP_4) | instskip(NEXT) | instid1(VALU_DEP_4)
	v_add_f64 v[1:2], v[6:7], v[1:2]
	v_add_f64 v[3:4], v[8:9], v[4:5]
	s_delay_alu instid0(VALU_DEP_2) | instskip(NEXT) | instid1(VALU_DEP_2)
	v_add_f64 v[1:2], v[1:2], v[12:13]
	v_add_f64 v[3:4], v[3:4], v[10:11]
	s_delay_alu instid0(VALU_DEP_2) | instskip(NEXT) | instid1(VALU_DEP_2)
	v_add_f64 v[1:2], v[172:173], -v[1:2]
	v_add_f64 v[3:4], v[174:175], -v[3:4]
	scratch_store_b128 off, v[1:4], off offset:160
	v_cmpx_lt_u32_e32 9, v156
	s_cbranch_execz .LBB118_325
; %bb.324:
	scratch_load_b128 v[1:4], v202, off
	v_mov_b32_e32 v5, 0
	s_delay_alu instid0(VALU_DEP_1)
	v_mov_b32_e32 v6, v5
	v_mov_b32_e32 v7, v5
	v_mov_b32_e32 v8, v5
	scratch_store_b128 off, v[5:8], off offset:144
	s_waitcnt vmcnt(0)
	ds_store_b128 v211, v[1:4]
.LBB118_325:
	s_or_b32 exec_lo, exec_lo, s2
	s_waitcnt lgkmcnt(0)
	s_waitcnt_vscnt null, 0x0
	s_barrier
	buffer_gl0_inv
	s_clause 0x7
	scratch_load_b128 v[2:5], off, off offset:160
	scratch_load_b128 v[6:9], off, off offset:176
	;; [unrolled: 1-line block ×8, first 2 shown]
	v_mov_b32_e32 v1, 0
	s_mov_b32 s2, exec_lo
	ds_load_b128 v[38:41], v1 offset:1040
	s_clause 0x1
	scratch_load_b128 v[34:37], off, off offset:288
	scratch_load_b128 v[42:45], off, off offset:144
	ds_load_b128 v[172:175], v1 offset:1056
	scratch_load_b128 v[176:179], off, off offset:304
	ds_load_b128 v[180:183], v1 offset:1088
	s_waitcnt vmcnt(10) lgkmcnt(2)
	v_mul_f64 v[169:170], v[40:41], v[4:5]
	v_mul_f64 v[4:5], v[38:39], v[4:5]
	s_delay_alu instid0(VALU_DEP_2) | instskip(NEXT) | instid1(VALU_DEP_2)
	v_fma_f64 v[169:170], v[38:39], v[2:3], -v[169:170]
	v_fma_f64 v[231:232], v[40:41], v[2:3], v[4:5]
	ds_load_b128 v[2:5], v1 offset:1072
	s_waitcnt vmcnt(9) lgkmcnt(2)
	v_mul_f64 v[229:230], v[172:173], v[8:9]
	v_mul_f64 v[8:9], v[174:175], v[8:9]
	scratch_load_b128 v[38:41], off, off offset:320
	s_waitcnt vmcnt(9) lgkmcnt(0)
	v_mul_f64 v[233:234], v[2:3], v[12:13]
	v_mul_f64 v[12:13], v[4:5], v[12:13]
	v_add_f64 v[169:170], v[169:170], 0
	v_fma_f64 v[174:175], v[174:175], v[6:7], v[229:230]
	v_fma_f64 v[172:173], v[172:173], v[6:7], -v[8:9]
	v_add_f64 v[229:230], v[231:232], 0
	scratch_load_b128 v[6:9], off, off offset:336
	v_fma_f64 v[233:234], v[4:5], v[10:11], v[233:234]
	v_fma_f64 v[235:236], v[2:3], v[10:11], -v[12:13]
	scratch_load_b128 v[10:13], off, off offset:352
	ds_load_b128 v[2:5], v1 offset:1104
	s_waitcnt vmcnt(10)
	v_mul_f64 v[231:232], v[180:181], v[16:17]
	v_mul_f64 v[16:17], v[182:183], v[16:17]
	v_add_f64 v[169:170], v[169:170], v[172:173]
	v_add_f64 v[229:230], v[229:230], v[174:175]
	ds_load_b128 v[172:175], v1 offset:1120
	s_waitcnt vmcnt(9) lgkmcnt(1)
	v_mul_f64 v[237:238], v[2:3], v[20:21]
	v_mul_f64 v[20:21], v[4:5], v[20:21]
	v_fma_f64 v[182:183], v[182:183], v[14:15], v[231:232]
	v_fma_f64 v[180:181], v[180:181], v[14:15], -v[16:17]
	scratch_load_b128 v[14:17], off, off offset:368
	v_add_f64 v[169:170], v[169:170], v[235:236]
	v_add_f64 v[229:230], v[229:230], v[233:234]
	v_fma_f64 v[233:234], v[4:5], v[18:19], v[237:238]
	v_fma_f64 v[235:236], v[2:3], v[18:19], -v[20:21]
	scratch_load_b128 v[18:21], off, off offset:384
	ds_load_b128 v[2:5], v1 offset:1136
	s_waitcnt vmcnt(10) lgkmcnt(1)
	v_mul_f64 v[231:232], v[172:173], v[24:25]
	v_mul_f64 v[24:25], v[174:175], v[24:25]
	s_waitcnt vmcnt(9) lgkmcnt(0)
	v_mul_f64 v[237:238], v[2:3], v[28:29]
	v_mul_f64 v[28:29], v[4:5], v[28:29]
	v_add_f64 v[169:170], v[169:170], v[180:181]
	v_add_f64 v[229:230], v[229:230], v[182:183]
	ds_load_b128 v[180:183], v1 offset:1152
	v_fma_f64 v[174:175], v[174:175], v[22:23], v[231:232]
	v_fma_f64 v[172:173], v[172:173], v[22:23], -v[24:25]
	scratch_load_b128 v[22:25], off, off offset:400
	v_add_f64 v[169:170], v[169:170], v[235:236]
	v_add_f64 v[229:230], v[229:230], v[233:234]
	v_fma_f64 v[233:234], v[4:5], v[26:27], v[237:238]
	v_fma_f64 v[235:236], v[2:3], v[26:27], -v[28:29]
	scratch_load_b128 v[26:29], off, off offset:416
	ds_load_b128 v[2:5], v1 offset:1168
	s_waitcnt vmcnt(10) lgkmcnt(1)
	v_mul_f64 v[231:232], v[180:181], v[32:33]
	v_mul_f64 v[32:33], v[182:183], v[32:33]
	s_waitcnt vmcnt(9) lgkmcnt(0)
	v_mul_f64 v[237:238], v[2:3], v[36:37]
	v_mul_f64 v[36:37], v[4:5], v[36:37]
	v_add_f64 v[169:170], v[169:170], v[172:173]
	v_add_f64 v[229:230], v[229:230], v[174:175]
	ds_load_b128 v[172:175], v1 offset:1184
	v_fma_f64 v[182:183], v[182:183], v[30:31], v[231:232]
	v_fma_f64 v[180:181], v[180:181], v[30:31], -v[32:33]
	scratch_load_b128 v[30:33], off, off offset:432
	v_add_f64 v[169:170], v[169:170], v[235:236]
	v_add_f64 v[229:230], v[229:230], v[233:234]
	v_fma_f64 v[235:236], v[4:5], v[34:35], v[237:238]
	v_fma_f64 v[237:238], v[2:3], v[34:35], -v[36:37]
	scratch_load_b128 v[34:37], off, off offset:448
	ds_load_b128 v[2:5], v1 offset:1200
	s_waitcnt vmcnt(9) lgkmcnt(1)
	v_mul_f64 v[231:232], v[172:173], v[178:179]
	v_mul_f64 v[233:234], v[174:175], v[178:179]
	v_add_f64 v[169:170], v[169:170], v[180:181]
	v_add_f64 v[182:183], v[229:230], v[182:183]
	ds_load_b128 v[178:181], v1 offset:1216
	v_fma_f64 v[231:232], v[174:175], v[176:177], v[231:232]
	v_fma_f64 v[176:177], v[172:173], v[176:177], -v[233:234]
	scratch_load_b128 v[172:175], off, off offset:464
	s_waitcnt vmcnt(9) lgkmcnt(1)
	v_mul_f64 v[229:230], v[2:3], v[40:41]
	v_mul_f64 v[40:41], v[4:5], v[40:41]
	v_add_f64 v[169:170], v[169:170], v[237:238]
	v_add_f64 v[182:183], v[182:183], v[235:236]
	s_delay_alu instid0(VALU_DEP_4) | instskip(NEXT) | instid1(VALU_DEP_4)
	v_fma_f64 v[235:236], v[4:5], v[38:39], v[229:230]
	v_fma_f64 v[237:238], v[2:3], v[38:39], -v[40:41]
	scratch_load_b128 v[38:41], off, off offset:480
	ds_load_b128 v[2:5], v1 offset:1232
	s_waitcnt vmcnt(9) lgkmcnt(1)
	v_mul_f64 v[233:234], v[178:179], v[8:9]
	v_mul_f64 v[8:9], v[180:181], v[8:9]
	v_add_f64 v[169:170], v[169:170], v[176:177]
	v_add_f64 v[176:177], v[182:183], v[231:232]
	s_waitcnt vmcnt(8) lgkmcnt(0)
	v_mul_f64 v[182:183], v[2:3], v[12:13]
	v_mul_f64 v[12:13], v[4:5], v[12:13]
	ds_load_b128 v[229:232], v1 offset:1248
	v_fma_f64 v[180:181], v[180:181], v[6:7], v[233:234]
	v_fma_f64 v[178:179], v[178:179], v[6:7], -v[8:9]
	scratch_load_b128 v[6:9], off, off offset:496
	v_add_f64 v[169:170], v[169:170], v[237:238]
	v_add_f64 v[176:177], v[176:177], v[235:236]
	v_fma_f64 v[182:183], v[4:5], v[10:11], v[182:183]
	v_fma_f64 v[235:236], v[2:3], v[10:11], -v[12:13]
	scratch_load_b128 v[10:13], off, off offset:512
	ds_load_b128 v[2:5], v1 offset:1264
	s_waitcnt vmcnt(9) lgkmcnt(1)
	v_mul_f64 v[233:234], v[229:230], v[16:17]
	v_mul_f64 v[16:17], v[231:232], v[16:17]
	s_waitcnt vmcnt(8) lgkmcnt(0)
	v_mul_f64 v[237:238], v[2:3], v[20:21]
	v_mul_f64 v[20:21], v[4:5], v[20:21]
	v_add_f64 v[169:170], v[169:170], v[178:179]
	v_add_f64 v[180:181], v[176:177], v[180:181]
	ds_load_b128 v[176:179], v1 offset:1280
	v_fma_f64 v[231:232], v[231:232], v[14:15], v[233:234]
	v_fma_f64 v[229:230], v[229:230], v[14:15], -v[16:17]
	scratch_load_b128 v[14:17], off, off offset:528
	v_add_f64 v[169:170], v[169:170], v[235:236]
	v_add_f64 v[180:181], v[180:181], v[182:183]
	v_fma_f64 v[235:236], v[4:5], v[18:19], v[237:238]
	v_fma_f64 v[237:238], v[2:3], v[18:19], -v[20:21]
	scratch_load_b128 v[18:21], off, off offset:544
	ds_load_b128 v[2:5], v1 offset:1296
	s_waitcnt vmcnt(9) lgkmcnt(1)
	v_mul_f64 v[233:234], v[176:177], v[24:25]
	v_mul_f64 v[24:25], v[178:179], v[24:25]
	v_add_f64 v[169:170], v[169:170], v[229:230]
	v_add_f64 v[229:230], v[180:181], v[231:232]
	s_waitcnt vmcnt(8) lgkmcnt(0)
	v_mul_f64 v[231:232], v[2:3], v[28:29]
	v_mul_f64 v[28:29], v[4:5], v[28:29]
	ds_load_b128 v[180:183], v1 offset:1312
	v_fma_f64 v[178:179], v[178:179], v[22:23], v[233:234]
	v_fma_f64 v[176:177], v[176:177], v[22:23], -v[24:25]
	scratch_load_b128 v[22:25], off, off offset:560
	v_add_f64 v[169:170], v[169:170], v[237:238]
	v_add_f64 v[229:230], v[229:230], v[235:236]
	v_fma_f64 v[231:232], v[4:5], v[26:27], v[231:232]
	v_fma_f64 v[235:236], v[2:3], v[26:27], -v[28:29]
	scratch_load_b128 v[26:29], off, off offset:576
	ds_load_b128 v[2:5], v1 offset:1328
	s_waitcnt vmcnt(9) lgkmcnt(1)
	v_mul_f64 v[233:234], v[180:181], v[32:33]
	v_mul_f64 v[32:33], v[182:183], v[32:33]
	s_waitcnt vmcnt(8) lgkmcnt(0)
	v_mul_f64 v[237:238], v[2:3], v[36:37]
	v_mul_f64 v[36:37], v[4:5], v[36:37]
	v_add_f64 v[169:170], v[169:170], v[176:177]
	v_add_f64 v[229:230], v[229:230], v[178:179]
	ds_load_b128 v[176:179], v1 offset:1344
	v_fma_f64 v[182:183], v[182:183], v[30:31], v[233:234]
	v_fma_f64 v[180:181], v[180:181], v[30:31], -v[32:33]
	scratch_load_b128 v[30:33], off, off offset:592
	v_fma_f64 v[233:234], v[4:5], v[34:35], v[237:238]
	v_add_f64 v[169:170], v[169:170], v[235:236]
	v_add_f64 v[229:230], v[229:230], v[231:232]
	v_fma_f64 v[235:236], v[2:3], v[34:35], -v[36:37]
	scratch_load_b128 v[34:37], off, off offset:608
	ds_load_b128 v[2:5], v1 offset:1360
	s_waitcnt vmcnt(9) lgkmcnt(1)
	v_mul_f64 v[231:232], v[176:177], v[174:175]
	v_mul_f64 v[174:175], v[178:179], v[174:175]
	s_waitcnt vmcnt(8) lgkmcnt(0)
	v_mul_f64 v[237:238], v[2:3], v[40:41]
	v_mul_f64 v[40:41], v[4:5], v[40:41]
	v_add_f64 v[169:170], v[169:170], v[180:181]
	v_add_f64 v[229:230], v[229:230], v[182:183]
	ds_load_b128 v[180:183], v1 offset:1376
	v_fma_f64 v[178:179], v[178:179], v[172:173], v[231:232]
	v_fma_f64 v[176:177], v[176:177], v[172:173], -v[174:175]
	scratch_load_b128 v[172:175], off, off offset:624
	v_add_f64 v[169:170], v[169:170], v[235:236]
	v_add_f64 v[229:230], v[229:230], v[233:234]
	v_fma_f64 v[233:234], v[4:5], v[38:39], v[237:238]
	v_fma_f64 v[235:236], v[2:3], v[38:39], -v[40:41]
	scratch_load_b128 v[38:41], off, off offset:640
	ds_load_b128 v[2:5], v1 offset:1392
	s_waitcnt vmcnt(9) lgkmcnt(1)
	v_mul_f64 v[231:232], v[180:181], v[8:9]
	v_mul_f64 v[8:9], v[182:183], v[8:9]
	s_waitcnt vmcnt(8) lgkmcnt(0)
	v_mul_f64 v[237:238], v[2:3], v[12:13]
	v_mul_f64 v[12:13], v[4:5], v[12:13]
	v_add_f64 v[169:170], v[169:170], v[176:177]
	v_add_f64 v[229:230], v[229:230], v[178:179]
	ds_load_b128 v[176:179], v1 offset:1408
	v_fma_f64 v[182:183], v[182:183], v[6:7], v[231:232]
	v_fma_f64 v[180:181], v[180:181], v[6:7], -v[8:9]
	scratch_load_b128 v[6:9], off, off offset:656
	v_add_f64 v[169:170], v[169:170], v[235:236]
	v_add_f64 v[229:230], v[229:230], v[233:234]
	v_fma_f64 v[233:234], v[4:5], v[10:11], v[237:238]
	;; [unrolled: 18-line block ×5, first 2 shown]
	v_fma_f64 v[237:238], v[2:3], v[34:35], -v[36:37]
	scratch_load_b128 v[34:37], off, off offset:768
	ds_load_b128 v[2:5], v1 offset:1520
	s_waitcnt vmcnt(9) lgkmcnt(1)
	v_mul_f64 v[231:232], v[180:181], v[174:175]
	v_mul_f64 v[233:234], v[182:183], v[174:175]
	v_add_f64 v[169:170], v[169:170], v[176:177]
	v_add_f64 v[178:179], v[229:230], v[178:179]
	s_waitcnt vmcnt(8) lgkmcnt(0)
	v_mul_f64 v[229:230], v[2:3], v[40:41]
	v_mul_f64 v[40:41], v[4:5], v[40:41]
	ds_load_b128 v[174:177], v1 offset:1536
	v_fma_f64 v[182:183], v[182:183], v[172:173], v[231:232]
	v_fma_f64 v[172:173], v[180:181], v[172:173], -v[233:234]
	v_add_f64 v[169:170], v[169:170], v[237:238]
	v_add_f64 v[231:232], v[178:179], v[235:236]
	scratch_load_b128 v[178:181], off, off offset:784
	v_fma_f64 v[235:236], v[4:5], v[38:39], v[229:230]
	v_fma_f64 v[237:238], v[2:3], v[38:39], -v[40:41]
	scratch_load_b128 v[38:41], off, off offset:800
	ds_load_b128 v[2:5], v1 offset:1552
	s_waitcnt vmcnt(9) lgkmcnt(1)
	v_mul_f64 v[233:234], v[174:175], v[8:9]
	v_mul_f64 v[8:9], v[176:177], v[8:9]
	v_add_f64 v[169:170], v[169:170], v[172:173]
	v_add_f64 v[172:173], v[231:232], v[182:183]
	s_waitcnt vmcnt(8) lgkmcnt(0)
	v_mul_f64 v[182:183], v[2:3], v[12:13]
	v_mul_f64 v[12:13], v[4:5], v[12:13]
	ds_load_b128 v[229:232], v1 offset:1568
	v_fma_f64 v[176:177], v[176:177], v[6:7], v[233:234]
	v_fma_f64 v[174:175], v[174:175], v[6:7], -v[8:9]
	scratch_load_b128 v[6:9], off, off offset:816
	v_add_f64 v[169:170], v[169:170], v[237:238]
	v_add_f64 v[172:173], v[172:173], v[235:236]
	v_fma_f64 v[182:183], v[4:5], v[10:11], v[182:183]
	v_fma_f64 v[235:236], v[2:3], v[10:11], -v[12:13]
	scratch_load_b128 v[10:13], off, off offset:832
	ds_load_b128 v[2:5], v1 offset:1584
	s_waitcnt vmcnt(9) lgkmcnt(1)
	v_mul_f64 v[233:234], v[229:230], v[16:17]
	v_mul_f64 v[16:17], v[231:232], v[16:17]
	s_waitcnt vmcnt(8) lgkmcnt(0)
	v_mul_f64 v[237:238], v[2:3], v[20:21]
	v_mul_f64 v[20:21], v[4:5], v[20:21]
	v_add_f64 v[169:170], v[169:170], v[174:175]
	v_add_f64 v[176:177], v[172:173], v[176:177]
	ds_load_b128 v[172:175], v1 offset:1600
	v_fma_f64 v[231:232], v[231:232], v[14:15], v[233:234]
	v_fma_f64 v[229:230], v[229:230], v[14:15], -v[16:17]
	scratch_load_b128 v[14:17], off, off offset:848
	v_fma_f64 v[233:234], v[4:5], v[18:19], v[237:238]
	v_add_f64 v[169:170], v[169:170], v[235:236]
	v_add_f64 v[176:177], v[176:177], v[182:183]
	v_fma_f64 v[235:236], v[2:3], v[18:19], -v[20:21]
	scratch_load_b128 v[18:21], off, off offset:864
	ds_load_b128 v[2:5], v1 offset:1616
	s_waitcnt vmcnt(9) lgkmcnt(1)
	v_mul_f64 v[182:183], v[172:173], v[24:25]
	v_mul_f64 v[24:25], v[174:175], v[24:25]
	s_waitcnt vmcnt(8) lgkmcnt(0)
	v_mul_f64 v[237:238], v[2:3], v[28:29]
	v_mul_f64 v[28:29], v[4:5], v[28:29]
	v_add_f64 v[169:170], v[169:170], v[229:230]
	v_add_f64 v[176:177], v[176:177], v[231:232]
	ds_load_b128 v[229:232], v1 offset:1632
	v_fma_f64 v[174:175], v[174:175], v[22:23], v[182:183]
	v_fma_f64 v[22:23], v[172:173], v[22:23], -v[24:25]
	s_waitcnt vmcnt(7) lgkmcnt(0)
	v_mul_f64 v[172:173], v[229:230], v[32:33]
	v_mul_f64 v[32:33], v[231:232], v[32:33]
	v_add_f64 v[24:25], v[169:170], v[235:236]
	v_add_f64 v[169:170], v[176:177], v[233:234]
	v_fma_f64 v[176:177], v[4:5], v[26:27], v[237:238]
	v_fma_f64 v[26:27], v[2:3], v[26:27], -v[28:29]
	v_fma_f64 v[172:173], v[231:232], v[30:31], v[172:173]
	v_fma_f64 v[30:31], v[229:230], v[30:31], -v[32:33]
	v_add_f64 v[28:29], v[24:25], v[22:23]
	v_add_f64 v[169:170], v[169:170], v[174:175]
	ds_load_b128 v[2:5], v1 offset:1648
	ds_load_b128 v[22:25], v1 offset:1664
	s_waitcnt vmcnt(6) lgkmcnt(1)
	v_mul_f64 v[174:175], v[2:3], v[36:37]
	v_mul_f64 v[36:37], v[4:5], v[36:37]
	v_add_f64 v[26:27], v[28:29], v[26:27]
	v_add_f64 v[28:29], v[169:170], v[176:177]
	s_waitcnt vmcnt(5) lgkmcnt(0)
	v_mul_f64 v[32:33], v[22:23], v[180:181]
	v_mul_f64 v[169:170], v[24:25], v[180:181]
	v_fma_f64 v[174:175], v[4:5], v[34:35], v[174:175]
	v_fma_f64 v[34:35], v[2:3], v[34:35], -v[36:37]
	v_add_f64 v[30:31], v[26:27], v[30:31]
	v_add_f64 v[36:37], v[28:29], v[172:173]
	ds_load_b128 v[2:5], v1 offset:1680
	ds_load_b128 v[26:29], v1 offset:1696
	v_fma_f64 v[24:25], v[24:25], v[178:179], v[32:33]
	v_fma_f64 v[22:23], v[22:23], v[178:179], -v[169:170]
	s_waitcnt vmcnt(4) lgkmcnt(1)
	v_mul_f64 v[172:173], v[2:3], v[40:41]
	v_mul_f64 v[40:41], v[4:5], v[40:41]
	v_add_f64 v[30:31], v[30:31], v[34:35]
	v_add_f64 v[32:33], v[36:37], v[174:175]
	s_waitcnt vmcnt(3) lgkmcnt(0)
	v_mul_f64 v[34:35], v[26:27], v[8:9]
	v_mul_f64 v[8:9], v[28:29], v[8:9]
	v_fma_f64 v[36:37], v[4:5], v[38:39], v[172:173]
	v_fma_f64 v[38:39], v[2:3], v[38:39], -v[40:41]
	v_add_f64 v[30:31], v[30:31], v[22:23]
	v_add_f64 v[32:33], v[32:33], v[24:25]
	ds_load_b128 v[2:5], v1 offset:1712
	ds_load_b128 v[22:25], v1 offset:1728
	v_fma_f64 v[28:29], v[28:29], v[6:7], v[34:35]
	v_fma_f64 v[6:7], v[26:27], v[6:7], -v[8:9]
	s_waitcnt vmcnt(2) lgkmcnt(1)
	v_mul_f64 v[40:41], v[2:3], v[12:13]
	v_mul_f64 v[12:13], v[4:5], v[12:13]
	v_add_f64 v[8:9], v[30:31], v[38:39]
	v_add_f64 v[26:27], v[32:33], v[36:37]
	s_waitcnt vmcnt(1) lgkmcnt(0)
	v_mul_f64 v[30:31], v[22:23], v[16:17]
	v_mul_f64 v[16:17], v[24:25], v[16:17]
	v_fma_f64 v[32:33], v[4:5], v[10:11], v[40:41]
	v_fma_f64 v[10:11], v[2:3], v[10:11], -v[12:13]
	ds_load_b128 v[2:5], v1 offset:1744
	v_add_f64 v[6:7], v[8:9], v[6:7]
	v_add_f64 v[8:9], v[26:27], v[28:29]
	v_fma_f64 v[24:25], v[24:25], v[14:15], v[30:31]
	v_fma_f64 v[14:15], v[22:23], v[14:15], -v[16:17]
	s_waitcnt vmcnt(0) lgkmcnt(0)
	v_mul_f64 v[12:13], v[2:3], v[20:21]
	v_mul_f64 v[20:21], v[4:5], v[20:21]
	v_add_f64 v[6:7], v[6:7], v[10:11]
	v_add_f64 v[8:9], v[8:9], v[32:33]
	s_delay_alu instid0(VALU_DEP_4) | instskip(NEXT) | instid1(VALU_DEP_4)
	v_fma_f64 v[4:5], v[4:5], v[18:19], v[12:13]
	v_fma_f64 v[2:3], v[2:3], v[18:19], -v[20:21]
	s_delay_alu instid0(VALU_DEP_4) | instskip(NEXT) | instid1(VALU_DEP_4)
	v_add_f64 v[6:7], v[6:7], v[14:15]
	v_add_f64 v[8:9], v[8:9], v[24:25]
	s_delay_alu instid0(VALU_DEP_2) | instskip(NEXT) | instid1(VALU_DEP_2)
	v_add_f64 v[2:3], v[6:7], v[2:3]
	v_add_f64 v[4:5], v[8:9], v[4:5]
	s_delay_alu instid0(VALU_DEP_2) | instskip(NEXT) | instid1(VALU_DEP_2)
	v_add_f64 v[2:3], v[42:43], -v[2:3]
	v_add_f64 v[4:5], v[44:45], -v[4:5]
	scratch_store_b128 off, v[2:5], off offset:144
	v_cmpx_lt_u32_e32 8, v156
	s_cbranch_execz .LBB118_327
; %bb.326:
	scratch_load_b128 v[5:8], v203, off
	v_mov_b32_e32 v2, v1
	v_mov_b32_e32 v3, v1
	;; [unrolled: 1-line block ×3, first 2 shown]
	scratch_store_b128 off, v[1:4], off offset:128
	s_waitcnt vmcnt(0)
	ds_store_b128 v211, v[5:8]
.LBB118_327:
	s_or_b32 exec_lo, exec_lo, s2
	s_waitcnt lgkmcnt(0)
	s_waitcnt_vscnt null, 0x0
	s_barrier
	buffer_gl0_inv
	s_clause 0x8
	scratch_load_b128 v[2:5], off, off offset:144
	scratch_load_b128 v[6:9], off, off offset:160
	scratch_load_b128 v[10:13], off, off offset:176
	scratch_load_b128 v[14:17], off, off offset:192
	scratch_load_b128 v[18:21], off, off offset:208
	scratch_load_b128 v[22:25], off, off offset:224
	scratch_load_b128 v[26:29], off, off offset:240
	scratch_load_b128 v[30:33], off, off offset:256
	scratch_load_b128 v[34:37], off, off offset:272
	ds_load_b128 v[42:45], v1 offset:1024
	ds_load_b128 v[38:41], v1 offset:1040
	s_clause 0x1
	scratch_load_b128 v[172:175], off, off offset:128
	scratch_load_b128 v[176:179], off, off offset:288
	s_mov_b32 s2, exec_lo
	ds_load_b128 v[180:183], v1 offset:1072
	s_waitcnt vmcnt(10) lgkmcnt(2)
	v_mul_f64 v[169:170], v[44:45], v[4:5]
	v_mul_f64 v[4:5], v[42:43], v[4:5]
	s_waitcnt vmcnt(9) lgkmcnt(1)
	v_mul_f64 v[229:230], v[38:39], v[8:9]
	v_mul_f64 v[8:9], v[40:41], v[8:9]
	s_delay_alu instid0(VALU_DEP_4) | instskip(NEXT) | instid1(VALU_DEP_4)
	v_fma_f64 v[169:170], v[42:43], v[2:3], -v[169:170]
	v_fma_f64 v[231:232], v[44:45], v[2:3], v[4:5]
	ds_load_b128 v[2:5], v1 offset:1056
	scratch_load_b128 v[42:45], off, off offset:304
	v_fma_f64 v[40:41], v[40:41], v[6:7], v[229:230]
	v_fma_f64 v[38:39], v[38:39], v[6:7], -v[8:9]
	scratch_load_b128 v[6:9], off, off offset:320
	s_waitcnt vmcnt(10) lgkmcnt(0)
	v_mul_f64 v[233:234], v[2:3], v[12:13]
	v_mul_f64 v[12:13], v[4:5], v[12:13]
	v_add_f64 v[169:170], v[169:170], 0
	v_add_f64 v[229:230], v[231:232], 0
	s_waitcnt vmcnt(9)
	v_mul_f64 v[231:232], v[180:181], v[16:17]
	v_mul_f64 v[16:17], v[182:183], v[16:17]
	v_fma_f64 v[233:234], v[4:5], v[10:11], v[233:234]
	v_fma_f64 v[235:236], v[2:3], v[10:11], -v[12:13]
	ds_load_b128 v[2:5], v1 offset:1088
	scratch_load_b128 v[10:13], off, off offset:336
	v_add_f64 v[169:170], v[169:170], v[38:39]
	v_add_f64 v[229:230], v[229:230], v[40:41]
	ds_load_b128 v[38:41], v1 offset:1104
	v_fma_f64 v[182:183], v[182:183], v[14:15], v[231:232]
	v_fma_f64 v[180:181], v[180:181], v[14:15], -v[16:17]
	scratch_load_b128 v[14:17], off, off offset:352
	s_waitcnt vmcnt(10) lgkmcnt(1)
	v_mul_f64 v[237:238], v[2:3], v[20:21]
	v_mul_f64 v[20:21], v[4:5], v[20:21]
	s_waitcnt vmcnt(9) lgkmcnt(0)
	v_mul_f64 v[231:232], v[38:39], v[24:25]
	v_mul_f64 v[24:25], v[40:41], v[24:25]
	v_add_f64 v[169:170], v[169:170], v[235:236]
	v_add_f64 v[229:230], v[229:230], v[233:234]
	v_fma_f64 v[233:234], v[4:5], v[18:19], v[237:238]
	v_fma_f64 v[235:236], v[2:3], v[18:19], -v[20:21]
	ds_load_b128 v[2:5], v1 offset:1120
	scratch_load_b128 v[18:21], off, off offset:368
	v_fma_f64 v[40:41], v[40:41], v[22:23], v[231:232]
	v_fma_f64 v[38:39], v[38:39], v[22:23], -v[24:25]
	scratch_load_b128 v[22:25], off, off offset:384
	v_add_f64 v[169:170], v[169:170], v[180:181]
	v_add_f64 v[229:230], v[229:230], v[182:183]
	ds_load_b128 v[180:183], v1 offset:1136
	s_waitcnt vmcnt(10) lgkmcnt(1)
	v_mul_f64 v[237:238], v[2:3], v[28:29]
	v_mul_f64 v[28:29], v[4:5], v[28:29]
	s_waitcnt vmcnt(9) lgkmcnt(0)
	v_mul_f64 v[231:232], v[180:181], v[32:33]
	v_mul_f64 v[32:33], v[182:183], v[32:33]
	v_add_f64 v[169:170], v[169:170], v[235:236]
	v_add_f64 v[229:230], v[229:230], v[233:234]
	v_fma_f64 v[233:234], v[4:5], v[26:27], v[237:238]
	v_fma_f64 v[235:236], v[2:3], v[26:27], -v[28:29]
	ds_load_b128 v[2:5], v1 offset:1152
	scratch_load_b128 v[26:29], off, off offset:400
	v_fma_f64 v[182:183], v[182:183], v[30:31], v[231:232]
	v_fma_f64 v[180:181], v[180:181], v[30:31], -v[32:33]
	scratch_load_b128 v[30:33], off, off offset:416
	v_add_f64 v[169:170], v[169:170], v[38:39]
	v_add_f64 v[229:230], v[229:230], v[40:41]
	ds_load_b128 v[38:41], v1 offset:1168
	s_waitcnt vmcnt(10) lgkmcnt(1)
	v_mul_f64 v[237:238], v[2:3], v[36:37]
	v_mul_f64 v[36:37], v[4:5], v[36:37]
	s_waitcnt vmcnt(8) lgkmcnt(0)
	v_mul_f64 v[231:232], v[38:39], v[178:179]
	v_add_f64 v[169:170], v[169:170], v[235:236]
	v_add_f64 v[229:230], v[229:230], v[233:234]
	v_mul_f64 v[233:234], v[40:41], v[178:179]
	v_fma_f64 v[235:236], v[4:5], v[34:35], v[237:238]
	v_fma_f64 v[237:238], v[2:3], v[34:35], -v[36:37]
	ds_load_b128 v[2:5], v1 offset:1184
	scratch_load_b128 v[34:37], off, off offset:432
	v_fma_f64 v[231:232], v[40:41], v[176:177], v[231:232]
	v_add_f64 v[169:170], v[169:170], v[180:181]
	v_add_f64 v[182:183], v[229:230], v[182:183]
	ds_load_b128 v[178:181], v1 offset:1200
	v_fma_f64 v[176:177], v[38:39], v[176:177], -v[233:234]
	scratch_load_b128 v[38:41], off, off offset:448
	s_waitcnt vmcnt(9) lgkmcnt(1)
	v_mul_f64 v[229:230], v[2:3], v[44:45]
	v_mul_f64 v[44:45], v[4:5], v[44:45]
	s_waitcnt vmcnt(8) lgkmcnt(0)
	v_mul_f64 v[233:234], v[178:179], v[8:9]
	v_mul_f64 v[8:9], v[180:181], v[8:9]
	v_add_f64 v[169:170], v[169:170], v[237:238]
	v_add_f64 v[182:183], v[182:183], v[235:236]
	v_fma_f64 v[235:236], v[4:5], v[42:43], v[229:230]
	v_fma_f64 v[237:238], v[2:3], v[42:43], -v[44:45]
	ds_load_b128 v[2:5], v1 offset:1216
	scratch_load_b128 v[42:45], off, off offset:464
	v_fma_f64 v[180:181], v[180:181], v[6:7], v[233:234]
	v_fma_f64 v[178:179], v[178:179], v[6:7], -v[8:9]
	scratch_load_b128 v[6:9], off, off offset:480
	v_add_f64 v[169:170], v[169:170], v[176:177]
	v_add_f64 v[176:177], v[182:183], v[231:232]
	ds_load_b128 v[229:232], v1 offset:1232
	s_waitcnt vmcnt(9) lgkmcnt(1)
	v_mul_f64 v[182:183], v[2:3], v[12:13]
	v_mul_f64 v[12:13], v[4:5], v[12:13]
	s_waitcnt vmcnt(8) lgkmcnt(0)
	v_mul_f64 v[233:234], v[229:230], v[16:17]
	v_mul_f64 v[16:17], v[231:232], v[16:17]
	v_add_f64 v[169:170], v[169:170], v[237:238]
	v_add_f64 v[176:177], v[176:177], v[235:236]
	v_fma_f64 v[182:183], v[4:5], v[10:11], v[182:183]
	v_fma_f64 v[235:236], v[2:3], v[10:11], -v[12:13]
	ds_load_b128 v[2:5], v1 offset:1248
	scratch_load_b128 v[10:13], off, off offset:496
	v_fma_f64 v[231:232], v[231:232], v[14:15], v[233:234]
	v_fma_f64 v[229:230], v[229:230], v[14:15], -v[16:17]
	scratch_load_b128 v[14:17], off, off offset:512
	v_add_f64 v[169:170], v[169:170], v[178:179]
	v_add_f64 v[180:181], v[176:177], v[180:181]
	ds_load_b128 v[176:179], v1 offset:1264
	;; [unrolled: 18-line block ×4, first 2 shown]
	s_waitcnt vmcnt(9) lgkmcnt(1)
	v_mul_f64 v[237:238], v[2:3], v[36:37]
	v_mul_f64 v[36:37], v[4:5], v[36:37]
	v_add_f64 v[169:170], v[169:170], v[235:236]
	v_add_f64 v[229:230], v[229:230], v[231:232]
	s_waitcnt vmcnt(8) lgkmcnt(0)
	v_mul_f64 v[231:232], v[176:177], v[40:41]
	v_mul_f64 v[40:41], v[178:179], v[40:41]
	v_fma_f64 v[233:234], v[4:5], v[34:35], v[237:238]
	v_fma_f64 v[235:236], v[2:3], v[34:35], -v[36:37]
	ds_load_b128 v[2:5], v1 offset:1344
	scratch_load_b128 v[34:37], off, off offset:592
	v_add_f64 v[169:170], v[169:170], v[180:181]
	v_add_f64 v[229:230], v[229:230], v[182:183]
	ds_load_b128 v[180:183], v1 offset:1360
	s_waitcnt vmcnt(8) lgkmcnt(1)
	v_mul_f64 v[237:238], v[2:3], v[44:45]
	v_mul_f64 v[44:45], v[4:5], v[44:45]
	v_fma_f64 v[178:179], v[178:179], v[38:39], v[231:232]
	v_fma_f64 v[176:177], v[176:177], v[38:39], -v[40:41]
	scratch_load_b128 v[38:41], off, off offset:608
	s_waitcnt vmcnt(8) lgkmcnt(0)
	v_mul_f64 v[231:232], v[180:181], v[8:9]
	v_mul_f64 v[8:9], v[182:183], v[8:9]
	v_add_f64 v[169:170], v[169:170], v[235:236]
	v_add_f64 v[229:230], v[229:230], v[233:234]
	v_fma_f64 v[233:234], v[4:5], v[42:43], v[237:238]
	v_fma_f64 v[235:236], v[2:3], v[42:43], -v[44:45]
	ds_load_b128 v[2:5], v1 offset:1376
	scratch_load_b128 v[42:45], off, off offset:624
	v_fma_f64 v[182:183], v[182:183], v[6:7], v[231:232]
	v_fma_f64 v[180:181], v[180:181], v[6:7], -v[8:9]
	scratch_load_b128 v[6:9], off, off offset:640
	v_add_f64 v[169:170], v[169:170], v[176:177]
	v_add_f64 v[229:230], v[229:230], v[178:179]
	ds_load_b128 v[176:179], v1 offset:1392
	s_waitcnt vmcnt(9) lgkmcnt(1)
	v_mul_f64 v[237:238], v[2:3], v[12:13]
	v_mul_f64 v[12:13], v[4:5], v[12:13]
	s_waitcnt vmcnt(8) lgkmcnt(0)
	v_mul_f64 v[231:232], v[176:177], v[16:17]
	v_mul_f64 v[16:17], v[178:179], v[16:17]
	v_add_f64 v[169:170], v[169:170], v[235:236]
	v_add_f64 v[229:230], v[229:230], v[233:234]
	v_fma_f64 v[233:234], v[4:5], v[10:11], v[237:238]
	v_fma_f64 v[235:236], v[2:3], v[10:11], -v[12:13]
	ds_load_b128 v[2:5], v1 offset:1408
	scratch_load_b128 v[10:13], off, off offset:656
	v_fma_f64 v[178:179], v[178:179], v[14:15], v[231:232]
	v_fma_f64 v[176:177], v[176:177], v[14:15], -v[16:17]
	scratch_load_b128 v[14:17], off, off offset:672
	v_add_f64 v[169:170], v[169:170], v[180:181]
	v_add_f64 v[229:230], v[229:230], v[182:183]
	ds_load_b128 v[180:183], v1 offset:1424
	s_waitcnt vmcnt(9) lgkmcnt(1)
	v_mul_f64 v[237:238], v[2:3], v[20:21]
	v_mul_f64 v[20:21], v[4:5], v[20:21]
	;; [unrolled: 18-line block ×8, first 2 shown]
	s_waitcnt vmcnt(8) lgkmcnt(0)
	v_mul_f64 v[231:232], v[180:181], v[32:33]
	v_mul_f64 v[32:33], v[182:183], v[32:33]
	v_add_f64 v[169:170], v[169:170], v[235:236]
	v_add_f64 v[229:230], v[229:230], v[233:234]
	v_fma_f64 v[233:234], v[4:5], v[26:27], v[237:238]
	v_fma_f64 v[235:236], v[2:3], v[26:27], -v[28:29]
	ds_load_b128 v[2:5], v1 offset:1632
	ds_load_b128 v[26:29], v1 offset:1648
	v_fma_f64 v[182:183], v[182:183], v[30:31], v[231:232]
	v_fma_f64 v[30:31], v[180:181], v[30:31], -v[32:33]
	v_add_f64 v[169:170], v[169:170], v[176:177]
	v_add_f64 v[176:177], v[229:230], v[178:179]
	s_waitcnt vmcnt(7) lgkmcnt(1)
	v_mul_f64 v[178:179], v[2:3], v[36:37]
	v_mul_f64 v[36:37], v[4:5], v[36:37]
	s_delay_alu instid0(VALU_DEP_4) | instskip(NEXT) | instid1(VALU_DEP_4)
	v_add_f64 v[32:33], v[169:170], v[235:236]
	v_add_f64 v[169:170], v[176:177], v[233:234]
	s_waitcnt vmcnt(6) lgkmcnt(0)
	v_mul_f64 v[176:177], v[26:27], v[40:41]
	v_mul_f64 v[40:41], v[28:29], v[40:41]
	v_fma_f64 v[178:179], v[4:5], v[34:35], v[178:179]
	v_fma_f64 v[34:35], v[2:3], v[34:35], -v[36:37]
	v_add_f64 v[36:37], v[32:33], v[30:31]
	v_add_f64 v[169:170], v[169:170], v[182:183]
	ds_load_b128 v[2:5], v1 offset:1664
	ds_load_b128 v[30:33], v1 offset:1680
	v_fma_f64 v[28:29], v[28:29], v[38:39], v[176:177]
	v_fma_f64 v[26:27], v[26:27], v[38:39], -v[40:41]
	s_waitcnt vmcnt(5) lgkmcnt(1)
	v_mul_f64 v[180:181], v[2:3], v[44:45]
	v_mul_f64 v[44:45], v[4:5], v[44:45]
	s_waitcnt vmcnt(4) lgkmcnt(0)
	v_mul_f64 v[38:39], v[30:31], v[8:9]
	v_mul_f64 v[8:9], v[32:33], v[8:9]
	v_add_f64 v[34:35], v[36:37], v[34:35]
	v_add_f64 v[36:37], v[169:170], v[178:179]
	v_fma_f64 v[40:41], v[4:5], v[42:43], v[180:181]
	v_fma_f64 v[42:43], v[2:3], v[42:43], -v[44:45]
	v_fma_f64 v[32:33], v[32:33], v[6:7], v[38:39]
	v_fma_f64 v[6:7], v[30:31], v[6:7], -v[8:9]
	v_add_f64 v[34:35], v[34:35], v[26:27]
	v_add_f64 v[36:37], v[36:37], v[28:29]
	ds_load_b128 v[2:5], v1 offset:1696
	ds_load_b128 v[26:29], v1 offset:1712
	s_waitcnt vmcnt(3) lgkmcnt(1)
	v_mul_f64 v[44:45], v[2:3], v[12:13]
	v_mul_f64 v[12:13], v[4:5], v[12:13]
	v_add_f64 v[8:9], v[34:35], v[42:43]
	v_add_f64 v[30:31], v[36:37], v[40:41]
	s_waitcnt vmcnt(2) lgkmcnt(0)
	v_mul_f64 v[34:35], v[26:27], v[16:17]
	v_mul_f64 v[16:17], v[28:29], v[16:17]
	v_fma_f64 v[36:37], v[4:5], v[10:11], v[44:45]
	v_fma_f64 v[10:11], v[2:3], v[10:11], -v[12:13]
	v_add_f64 v[12:13], v[8:9], v[6:7]
	v_add_f64 v[30:31], v[30:31], v[32:33]
	ds_load_b128 v[2:5], v1 offset:1728
	ds_load_b128 v[6:9], v1 offset:1744
	v_fma_f64 v[28:29], v[28:29], v[14:15], v[34:35]
	v_fma_f64 v[14:15], v[26:27], v[14:15], -v[16:17]
	s_waitcnt vmcnt(1) lgkmcnt(1)
	v_mul_f64 v[32:33], v[2:3], v[20:21]
	v_mul_f64 v[20:21], v[4:5], v[20:21]
	s_waitcnt vmcnt(0) lgkmcnt(0)
	v_mul_f64 v[16:17], v[6:7], v[24:25]
	v_mul_f64 v[24:25], v[8:9], v[24:25]
	v_add_f64 v[10:11], v[12:13], v[10:11]
	v_add_f64 v[12:13], v[30:31], v[36:37]
	v_fma_f64 v[4:5], v[4:5], v[18:19], v[32:33]
	v_fma_f64 v[1:2], v[2:3], v[18:19], -v[20:21]
	v_fma_f64 v[8:9], v[8:9], v[22:23], v[16:17]
	v_fma_f64 v[6:7], v[6:7], v[22:23], -v[24:25]
	v_add_f64 v[10:11], v[10:11], v[14:15]
	v_add_f64 v[12:13], v[12:13], v[28:29]
	s_delay_alu instid0(VALU_DEP_2) | instskip(NEXT) | instid1(VALU_DEP_2)
	v_add_f64 v[1:2], v[10:11], v[1:2]
	v_add_f64 v[3:4], v[12:13], v[4:5]
	s_delay_alu instid0(VALU_DEP_2) | instskip(NEXT) | instid1(VALU_DEP_2)
	;; [unrolled: 3-line block ×3, first 2 shown]
	v_add_f64 v[1:2], v[172:173], -v[1:2]
	v_add_f64 v[3:4], v[174:175], -v[3:4]
	scratch_store_b128 off, v[1:4], off offset:128
	v_cmpx_lt_u32_e32 7, v156
	s_cbranch_execz .LBB118_329
; %bb.328:
	scratch_load_b128 v[1:4], v204, off
	v_mov_b32_e32 v5, 0
	s_delay_alu instid0(VALU_DEP_1)
	v_mov_b32_e32 v6, v5
	v_mov_b32_e32 v7, v5
	;; [unrolled: 1-line block ×3, first 2 shown]
	scratch_store_b128 off, v[5:8], off offset:112
	s_waitcnt vmcnt(0)
	ds_store_b128 v211, v[1:4]
.LBB118_329:
	s_or_b32 exec_lo, exec_lo, s2
	s_waitcnt lgkmcnt(0)
	s_waitcnt_vscnt null, 0x0
	s_barrier
	buffer_gl0_inv
	s_clause 0x7
	scratch_load_b128 v[2:5], off, off offset:128
	scratch_load_b128 v[6:9], off, off offset:144
	;; [unrolled: 1-line block ×8, first 2 shown]
	v_mov_b32_e32 v1, 0
	s_mov_b32 s2, exec_lo
	ds_load_b128 v[38:41], v1 offset:1008
	s_clause 0x1
	scratch_load_b128 v[34:37], off, off offset:256
	scratch_load_b128 v[42:45], off, off offset:112
	ds_load_b128 v[172:175], v1 offset:1024
	scratch_load_b128 v[176:179], off, off offset:272
	ds_load_b128 v[180:183], v1 offset:1056
	s_waitcnt vmcnt(10) lgkmcnt(2)
	v_mul_f64 v[169:170], v[40:41], v[4:5]
	v_mul_f64 v[4:5], v[38:39], v[4:5]
	s_delay_alu instid0(VALU_DEP_2) | instskip(NEXT) | instid1(VALU_DEP_2)
	v_fma_f64 v[169:170], v[38:39], v[2:3], -v[169:170]
	v_fma_f64 v[231:232], v[40:41], v[2:3], v[4:5]
	ds_load_b128 v[2:5], v1 offset:1040
	s_waitcnt vmcnt(9) lgkmcnt(2)
	v_mul_f64 v[229:230], v[172:173], v[8:9]
	v_mul_f64 v[8:9], v[174:175], v[8:9]
	scratch_load_b128 v[38:41], off, off offset:288
	s_waitcnt vmcnt(9) lgkmcnt(0)
	v_mul_f64 v[233:234], v[2:3], v[12:13]
	v_mul_f64 v[12:13], v[4:5], v[12:13]
	v_add_f64 v[169:170], v[169:170], 0
	v_fma_f64 v[174:175], v[174:175], v[6:7], v[229:230]
	v_fma_f64 v[172:173], v[172:173], v[6:7], -v[8:9]
	v_add_f64 v[229:230], v[231:232], 0
	scratch_load_b128 v[6:9], off, off offset:304
	v_fma_f64 v[233:234], v[4:5], v[10:11], v[233:234]
	v_fma_f64 v[235:236], v[2:3], v[10:11], -v[12:13]
	scratch_load_b128 v[10:13], off, off offset:320
	ds_load_b128 v[2:5], v1 offset:1072
	s_waitcnt vmcnt(10)
	v_mul_f64 v[231:232], v[180:181], v[16:17]
	v_mul_f64 v[16:17], v[182:183], v[16:17]
	v_add_f64 v[169:170], v[169:170], v[172:173]
	v_add_f64 v[229:230], v[229:230], v[174:175]
	ds_load_b128 v[172:175], v1 offset:1088
	s_waitcnt vmcnt(9) lgkmcnt(1)
	v_mul_f64 v[237:238], v[2:3], v[20:21]
	v_mul_f64 v[20:21], v[4:5], v[20:21]
	v_fma_f64 v[182:183], v[182:183], v[14:15], v[231:232]
	v_fma_f64 v[180:181], v[180:181], v[14:15], -v[16:17]
	scratch_load_b128 v[14:17], off, off offset:336
	v_add_f64 v[169:170], v[169:170], v[235:236]
	v_add_f64 v[229:230], v[229:230], v[233:234]
	v_fma_f64 v[233:234], v[4:5], v[18:19], v[237:238]
	v_fma_f64 v[235:236], v[2:3], v[18:19], -v[20:21]
	scratch_load_b128 v[18:21], off, off offset:352
	ds_load_b128 v[2:5], v1 offset:1104
	s_waitcnt vmcnt(10) lgkmcnt(1)
	v_mul_f64 v[231:232], v[172:173], v[24:25]
	v_mul_f64 v[24:25], v[174:175], v[24:25]
	s_waitcnt vmcnt(9) lgkmcnt(0)
	v_mul_f64 v[237:238], v[2:3], v[28:29]
	v_mul_f64 v[28:29], v[4:5], v[28:29]
	v_add_f64 v[169:170], v[169:170], v[180:181]
	v_add_f64 v[229:230], v[229:230], v[182:183]
	ds_load_b128 v[180:183], v1 offset:1120
	v_fma_f64 v[174:175], v[174:175], v[22:23], v[231:232]
	v_fma_f64 v[172:173], v[172:173], v[22:23], -v[24:25]
	scratch_load_b128 v[22:25], off, off offset:368
	v_add_f64 v[169:170], v[169:170], v[235:236]
	v_add_f64 v[229:230], v[229:230], v[233:234]
	v_fma_f64 v[233:234], v[4:5], v[26:27], v[237:238]
	v_fma_f64 v[235:236], v[2:3], v[26:27], -v[28:29]
	scratch_load_b128 v[26:29], off, off offset:384
	ds_load_b128 v[2:5], v1 offset:1136
	s_waitcnt vmcnt(10) lgkmcnt(1)
	v_mul_f64 v[231:232], v[180:181], v[32:33]
	v_mul_f64 v[32:33], v[182:183], v[32:33]
	s_waitcnt vmcnt(9) lgkmcnt(0)
	v_mul_f64 v[237:238], v[2:3], v[36:37]
	v_mul_f64 v[36:37], v[4:5], v[36:37]
	v_add_f64 v[169:170], v[169:170], v[172:173]
	v_add_f64 v[229:230], v[229:230], v[174:175]
	ds_load_b128 v[172:175], v1 offset:1152
	v_fma_f64 v[182:183], v[182:183], v[30:31], v[231:232]
	v_fma_f64 v[180:181], v[180:181], v[30:31], -v[32:33]
	scratch_load_b128 v[30:33], off, off offset:400
	v_add_f64 v[169:170], v[169:170], v[235:236]
	v_add_f64 v[229:230], v[229:230], v[233:234]
	v_fma_f64 v[235:236], v[4:5], v[34:35], v[237:238]
	v_fma_f64 v[237:238], v[2:3], v[34:35], -v[36:37]
	scratch_load_b128 v[34:37], off, off offset:416
	ds_load_b128 v[2:5], v1 offset:1168
	s_waitcnt vmcnt(9) lgkmcnt(1)
	v_mul_f64 v[231:232], v[172:173], v[178:179]
	v_mul_f64 v[233:234], v[174:175], v[178:179]
	v_add_f64 v[169:170], v[169:170], v[180:181]
	v_add_f64 v[182:183], v[229:230], v[182:183]
	ds_load_b128 v[178:181], v1 offset:1184
	v_fma_f64 v[231:232], v[174:175], v[176:177], v[231:232]
	v_fma_f64 v[176:177], v[172:173], v[176:177], -v[233:234]
	scratch_load_b128 v[172:175], off, off offset:432
	s_waitcnt vmcnt(9) lgkmcnt(1)
	v_mul_f64 v[229:230], v[2:3], v[40:41]
	v_mul_f64 v[40:41], v[4:5], v[40:41]
	v_add_f64 v[169:170], v[169:170], v[237:238]
	v_add_f64 v[182:183], v[182:183], v[235:236]
	s_delay_alu instid0(VALU_DEP_4) | instskip(NEXT) | instid1(VALU_DEP_4)
	v_fma_f64 v[235:236], v[4:5], v[38:39], v[229:230]
	v_fma_f64 v[237:238], v[2:3], v[38:39], -v[40:41]
	scratch_load_b128 v[38:41], off, off offset:448
	ds_load_b128 v[2:5], v1 offset:1200
	s_waitcnt vmcnt(9) lgkmcnt(1)
	v_mul_f64 v[233:234], v[178:179], v[8:9]
	v_mul_f64 v[8:9], v[180:181], v[8:9]
	v_add_f64 v[169:170], v[169:170], v[176:177]
	v_add_f64 v[176:177], v[182:183], v[231:232]
	s_waitcnt vmcnt(8) lgkmcnt(0)
	v_mul_f64 v[182:183], v[2:3], v[12:13]
	v_mul_f64 v[12:13], v[4:5], v[12:13]
	ds_load_b128 v[229:232], v1 offset:1216
	v_fma_f64 v[180:181], v[180:181], v[6:7], v[233:234]
	v_fma_f64 v[178:179], v[178:179], v[6:7], -v[8:9]
	scratch_load_b128 v[6:9], off, off offset:464
	v_add_f64 v[169:170], v[169:170], v[237:238]
	v_add_f64 v[176:177], v[176:177], v[235:236]
	v_fma_f64 v[182:183], v[4:5], v[10:11], v[182:183]
	v_fma_f64 v[235:236], v[2:3], v[10:11], -v[12:13]
	scratch_load_b128 v[10:13], off, off offset:480
	ds_load_b128 v[2:5], v1 offset:1232
	s_waitcnt vmcnt(9) lgkmcnt(1)
	v_mul_f64 v[233:234], v[229:230], v[16:17]
	v_mul_f64 v[16:17], v[231:232], v[16:17]
	s_waitcnt vmcnt(8) lgkmcnt(0)
	v_mul_f64 v[237:238], v[2:3], v[20:21]
	v_mul_f64 v[20:21], v[4:5], v[20:21]
	v_add_f64 v[169:170], v[169:170], v[178:179]
	v_add_f64 v[180:181], v[176:177], v[180:181]
	ds_load_b128 v[176:179], v1 offset:1248
	v_fma_f64 v[231:232], v[231:232], v[14:15], v[233:234]
	v_fma_f64 v[229:230], v[229:230], v[14:15], -v[16:17]
	scratch_load_b128 v[14:17], off, off offset:496
	v_add_f64 v[169:170], v[169:170], v[235:236]
	v_add_f64 v[180:181], v[180:181], v[182:183]
	v_fma_f64 v[235:236], v[4:5], v[18:19], v[237:238]
	v_fma_f64 v[237:238], v[2:3], v[18:19], -v[20:21]
	scratch_load_b128 v[18:21], off, off offset:512
	ds_load_b128 v[2:5], v1 offset:1264
	s_waitcnt vmcnt(9) lgkmcnt(1)
	v_mul_f64 v[233:234], v[176:177], v[24:25]
	v_mul_f64 v[24:25], v[178:179], v[24:25]
	v_add_f64 v[169:170], v[169:170], v[229:230]
	v_add_f64 v[229:230], v[180:181], v[231:232]
	s_waitcnt vmcnt(8) lgkmcnt(0)
	v_mul_f64 v[231:232], v[2:3], v[28:29]
	v_mul_f64 v[28:29], v[4:5], v[28:29]
	ds_load_b128 v[180:183], v1 offset:1280
	v_fma_f64 v[178:179], v[178:179], v[22:23], v[233:234]
	v_fma_f64 v[176:177], v[176:177], v[22:23], -v[24:25]
	scratch_load_b128 v[22:25], off, off offset:528
	v_add_f64 v[169:170], v[169:170], v[237:238]
	v_add_f64 v[229:230], v[229:230], v[235:236]
	v_fma_f64 v[231:232], v[4:5], v[26:27], v[231:232]
	v_fma_f64 v[235:236], v[2:3], v[26:27], -v[28:29]
	scratch_load_b128 v[26:29], off, off offset:544
	ds_load_b128 v[2:5], v1 offset:1296
	s_waitcnt vmcnt(9) lgkmcnt(1)
	v_mul_f64 v[233:234], v[180:181], v[32:33]
	v_mul_f64 v[32:33], v[182:183], v[32:33]
	s_waitcnt vmcnt(8) lgkmcnt(0)
	v_mul_f64 v[237:238], v[2:3], v[36:37]
	v_mul_f64 v[36:37], v[4:5], v[36:37]
	v_add_f64 v[169:170], v[169:170], v[176:177]
	v_add_f64 v[229:230], v[229:230], v[178:179]
	ds_load_b128 v[176:179], v1 offset:1312
	v_fma_f64 v[182:183], v[182:183], v[30:31], v[233:234]
	v_fma_f64 v[180:181], v[180:181], v[30:31], -v[32:33]
	scratch_load_b128 v[30:33], off, off offset:560
	v_fma_f64 v[233:234], v[4:5], v[34:35], v[237:238]
	v_add_f64 v[169:170], v[169:170], v[235:236]
	v_add_f64 v[229:230], v[229:230], v[231:232]
	v_fma_f64 v[235:236], v[2:3], v[34:35], -v[36:37]
	scratch_load_b128 v[34:37], off, off offset:576
	ds_load_b128 v[2:5], v1 offset:1328
	s_waitcnt vmcnt(9) lgkmcnt(1)
	v_mul_f64 v[231:232], v[176:177], v[174:175]
	v_mul_f64 v[174:175], v[178:179], v[174:175]
	s_waitcnt vmcnt(8) lgkmcnt(0)
	v_mul_f64 v[237:238], v[2:3], v[40:41]
	v_mul_f64 v[40:41], v[4:5], v[40:41]
	v_add_f64 v[169:170], v[169:170], v[180:181]
	v_add_f64 v[229:230], v[229:230], v[182:183]
	ds_load_b128 v[180:183], v1 offset:1344
	v_fma_f64 v[178:179], v[178:179], v[172:173], v[231:232]
	v_fma_f64 v[176:177], v[176:177], v[172:173], -v[174:175]
	scratch_load_b128 v[172:175], off, off offset:592
	v_add_f64 v[169:170], v[169:170], v[235:236]
	v_add_f64 v[229:230], v[229:230], v[233:234]
	v_fma_f64 v[233:234], v[4:5], v[38:39], v[237:238]
	v_fma_f64 v[235:236], v[2:3], v[38:39], -v[40:41]
	scratch_load_b128 v[38:41], off, off offset:608
	ds_load_b128 v[2:5], v1 offset:1360
	s_waitcnt vmcnt(9) lgkmcnt(1)
	v_mul_f64 v[231:232], v[180:181], v[8:9]
	v_mul_f64 v[8:9], v[182:183], v[8:9]
	s_waitcnt vmcnt(8) lgkmcnt(0)
	v_mul_f64 v[237:238], v[2:3], v[12:13]
	v_mul_f64 v[12:13], v[4:5], v[12:13]
	v_add_f64 v[169:170], v[169:170], v[176:177]
	v_add_f64 v[229:230], v[229:230], v[178:179]
	ds_load_b128 v[176:179], v1 offset:1376
	v_fma_f64 v[182:183], v[182:183], v[6:7], v[231:232]
	v_fma_f64 v[180:181], v[180:181], v[6:7], -v[8:9]
	scratch_load_b128 v[6:9], off, off offset:624
	v_add_f64 v[169:170], v[169:170], v[235:236]
	v_add_f64 v[229:230], v[229:230], v[233:234]
	v_fma_f64 v[233:234], v[4:5], v[10:11], v[237:238]
	;; [unrolled: 18-line block ×5, first 2 shown]
	v_fma_f64 v[237:238], v[2:3], v[34:35], -v[36:37]
	scratch_load_b128 v[34:37], off, off offset:736
	ds_load_b128 v[2:5], v1 offset:1488
	s_waitcnt vmcnt(9) lgkmcnt(1)
	v_mul_f64 v[231:232], v[180:181], v[174:175]
	v_mul_f64 v[233:234], v[182:183], v[174:175]
	v_add_f64 v[169:170], v[169:170], v[176:177]
	v_add_f64 v[178:179], v[229:230], v[178:179]
	s_waitcnt vmcnt(8) lgkmcnt(0)
	v_mul_f64 v[229:230], v[2:3], v[40:41]
	v_mul_f64 v[40:41], v[4:5], v[40:41]
	ds_load_b128 v[174:177], v1 offset:1504
	v_fma_f64 v[182:183], v[182:183], v[172:173], v[231:232]
	v_fma_f64 v[172:173], v[180:181], v[172:173], -v[233:234]
	v_add_f64 v[169:170], v[169:170], v[237:238]
	v_add_f64 v[231:232], v[178:179], v[235:236]
	scratch_load_b128 v[178:181], off, off offset:752
	v_fma_f64 v[235:236], v[4:5], v[38:39], v[229:230]
	v_fma_f64 v[237:238], v[2:3], v[38:39], -v[40:41]
	scratch_load_b128 v[38:41], off, off offset:768
	ds_load_b128 v[2:5], v1 offset:1520
	s_waitcnt vmcnt(9) lgkmcnt(1)
	v_mul_f64 v[233:234], v[174:175], v[8:9]
	v_mul_f64 v[8:9], v[176:177], v[8:9]
	v_add_f64 v[169:170], v[169:170], v[172:173]
	v_add_f64 v[172:173], v[231:232], v[182:183]
	s_waitcnt vmcnt(8) lgkmcnt(0)
	v_mul_f64 v[182:183], v[2:3], v[12:13]
	v_mul_f64 v[12:13], v[4:5], v[12:13]
	ds_load_b128 v[229:232], v1 offset:1536
	v_fma_f64 v[176:177], v[176:177], v[6:7], v[233:234]
	v_fma_f64 v[174:175], v[174:175], v[6:7], -v[8:9]
	scratch_load_b128 v[6:9], off, off offset:784
	v_add_f64 v[169:170], v[169:170], v[237:238]
	v_add_f64 v[172:173], v[172:173], v[235:236]
	v_fma_f64 v[182:183], v[4:5], v[10:11], v[182:183]
	v_fma_f64 v[235:236], v[2:3], v[10:11], -v[12:13]
	scratch_load_b128 v[10:13], off, off offset:800
	ds_load_b128 v[2:5], v1 offset:1552
	s_waitcnt vmcnt(9) lgkmcnt(1)
	v_mul_f64 v[233:234], v[229:230], v[16:17]
	v_mul_f64 v[16:17], v[231:232], v[16:17]
	s_waitcnt vmcnt(8) lgkmcnt(0)
	v_mul_f64 v[237:238], v[2:3], v[20:21]
	v_mul_f64 v[20:21], v[4:5], v[20:21]
	v_add_f64 v[169:170], v[169:170], v[174:175]
	v_add_f64 v[176:177], v[172:173], v[176:177]
	ds_load_b128 v[172:175], v1 offset:1568
	v_fma_f64 v[231:232], v[231:232], v[14:15], v[233:234]
	v_fma_f64 v[229:230], v[229:230], v[14:15], -v[16:17]
	scratch_load_b128 v[14:17], off, off offset:816
	v_fma_f64 v[233:234], v[4:5], v[18:19], v[237:238]
	v_add_f64 v[169:170], v[169:170], v[235:236]
	v_add_f64 v[176:177], v[176:177], v[182:183]
	v_fma_f64 v[235:236], v[2:3], v[18:19], -v[20:21]
	scratch_load_b128 v[18:21], off, off offset:832
	ds_load_b128 v[2:5], v1 offset:1584
	s_waitcnt vmcnt(9) lgkmcnt(1)
	v_mul_f64 v[182:183], v[172:173], v[24:25]
	v_mul_f64 v[24:25], v[174:175], v[24:25]
	s_waitcnt vmcnt(8) lgkmcnt(0)
	v_mul_f64 v[237:238], v[2:3], v[28:29]
	v_mul_f64 v[28:29], v[4:5], v[28:29]
	v_add_f64 v[169:170], v[169:170], v[229:230]
	v_add_f64 v[176:177], v[176:177], v[231:232]
	ds_load_b128 v[229:232], v1 offset:1600
	v_fma_f64 v[174:175], v[174:175], v[22:23], v[182:183]
	v_fma_f64 v[172:173], v[172:173], v[22:23], -v[24:25]
	scratch_load_b128 v[22:25], off, off offset:848
	v_add_f64 v[169:170], v[169:170], v[235:236]
	v_add_f64 v[176:177], v[176:177], v[233:234]
	v_fma_f64 v[233:234], v[4:5], v[26:27], v[237:238]
	v_fma_f64 v[235:236], v[2:3], v[26:27], -v[28:29]
	scratch_load_b128 v[26:29], off, off offset:864
	ds_load_b128 v[2:5], v1 offset:1616
	s_waitcnt vmcnt(9) lgkmcnt(1)
	v_mul_f64 v[182:183], v[229:230], v[32:33]
	v_mul_f64 v[32:33], v[231:232], v[32:33]
	s_waitcnt vmcnt(8) lgkmcnt(0)
	v_mul_f64 v[237:238], v[2:3], v[36:37]
	v_mul_f64 v[36:37], v[4:5], v[36:37]
	v_add_f64 v[169:170], v[169:170], v[172:173]
	v_add_f64 v[176:177], v[176:177], v[174:175]
	ds_load_b128 v[172:175], v1 offset:1632
	v_fma_f64 v[182:183], v[231:232], v[30:31], v[182:183]
	v_fma_f64 v[30:31], v[229:230], v[30:31], -v[32:33]
	v_fma_f64 v[229:230], v[4:5], v[34:35], v[237:238]
	v_fma_f64 v[34:35], v[2:3], v[34:35], -v[36:37]
	v_add_f64 v[32:33], v[169:170], v[235:236]
	v_add_f64 v[169:170], v[176:177], v[233:234]
	s_waitcnt vmcnt(7) lgkmcnt(0)
	v_mul_f64 v[176:177], v[172:173], v[180:181]
	v_mul_f64 v[180:181], v[174:175], v[180:181]
	s_delay_alu instid0(VALU_DEP_4) | instskip(NEXT) | instid1(VALU_DEP_4)
	v_add_f64 v[36:37], v[32:33], v[30:31]
	v_add_f64 v[169:170], v[169:170], v[182:183]
	ds_load_b128 v[2:5], v1 offset:1648
	ds_load_b128 v[30:33], v1 offset:1664
	v_fma_f64 v[174:175], v[174:175], v[178:179], v[176:177]
	v_fma_f64 v[172:173], v[172:173], v[178:179], -v[180:181]
	s_waitcnt vmcnt(6) lgkmcnt(1)
	v_mul_f64 v[182:183], v[2:3], v[40:41]
	v_mul_f64 v[40:41], v[4:5], v[40:41]
	v_add_f64 v[34:35], v[36:37], v[34:35]
	v_add_f64 v[36:37], v[169:170], v[229:230]
	s_waitcnt vmcnt(5) lgkmcnt(0)
	v_mul_f64 v[169:170], v[30:31], v[8:9]
	v_mul_f64 v[8:9], v[32:33], v[8:9]
	v_fma_f64 v[176:177], v[4:5], v[38:39], v[182:183]
	v_fma_f64 v[38:39], v[2:3], v[38:39], -v[40:41]
	v_add_f64 v[40:41], v[34:35], v[172:173]
	v_add_f64 v[172:173], v[36:37], v[174:175]
	ds_load_b128 v[2:5], v1 offset:1680
	ds_load_b128 v[34:37], v1 offset:1696
	v_fma_f64 v[32:33], v[32:33], v[6:7], v[169:170]
	v_fma_f64 v[6:7], v[30:31], v[6:7], -v[8:9]
	s_waitcnt vmcnt(4) lgkmcnt(1)
	v_mul_f64 v[174:175], v[2:3], v[12:13]
	v_mul_f64 v[12:13], v[4:5], v[12:13]
	v_add_f64 v[8:9], v[40:41], v[38:39]
	v_add_f64 v[30:31], v[172:173], v[176:177]
	s_waitcnt vmcnt(3) lgkmcnt(0)
	v_mul_f64 v[38:39], v[34:35], v[16:17]
	v_mul_f64 v[16:17], v[36:37], v[16:17]
	v_fma_f64 v[40:41], v[4:5], v[10:11], v[174:175]
	v_fma_f64 v[10:11], v[2:3], v[10:11], -v[12:13]
	v_add_f64 v[12:13], v[8:9], v[6:7]
	v_add_f64 v[30:31], v[30:31], v[32:33]
	ds_load_b128 v[2:5], v1 offset:1712
	ds_load_b128 v[6:9], v1 offset:1728
	v_fma_f64 v[36:37], v[36:37], v[14:15], v[38:39]
	v_fma_f64 v[14:15], v[34:35], v[14:15], -v[16:17]
	s_waitcnt vmcnt(2) lgkmcnt(1)
	v_mul_f64 v[32:33], v[2:3], v[20:21]
	v_mul_f64 v[20:21], v[4:5], v[20:21]
	s_waitcnt vmcnt(1) lgkmcnt(0)
	v_mul_f64 v[16:17], v[6:7], v[24:25]
	v_mul_f64 v[24:25], v[8:9], v[24:25]
	v_add_f64 v[10:11], v[12:13], v[10:11]
	v_add_f64 v[12:13], v[30:31], v[40:41]
	v_fma_f64 v[30:31], v[4:5], v[18:19], v[32:33]
	v_fma_f64 v[18:19], v[2:3], v[18:19], -v[20:21]
	ds_load_b128 v[2:5], v1 offset:1744
	v_fma_f64 v[8:9], v[8:9], v[22:23], v[16:17]
	v_fma_f64 v[6:7], v[6:7], v[22:23], -v[24:25]
	v_add_f64 v[10:11], v[10:11], v[14:15]
	v_add_f64 v[12:13], v[12:13], v[36:37]
	s_waitcnt vmcnt(0) lgkmcnt(0)
	v_mul_f64 v[14:15], v[2:3], v[28:29]
	v_mul_f64 v[20:21], v[4:5], v[28:29]
	s_delay_alu instid0(VALU_DEP_4) | instskip(NEXT) | instid1(VALU_DEP_4)
	v_add_f64 v[10:11], v[10:11], v[18:19]
	v_add_f64 v[12:13], v[12:13], v[30:31]
	s_delay_alu instid0(VALU_DEP_4) | instskip(NEXT) | instid1(VALU_DEP_4)
	v_fma_f64 v[4:5], v[4:5], v[26:27], v[14:15]
	v_fma_f64 v[2:3], v[2:3], v[26:27], -v[20:21]
	s_delay_alu instid0(VALU_DEP_4) | instskip(NEXT) | instid1(VALU_DEP_4)
	v_add_f64 v[6:7], v[10:11], v[6:7]
	v_add_f64 v[8:9], v[12:13], v[8:9]
	s_delay_alu instid0(VALU_DEP_2) | instskip(NEXT) | instid1(VALU_DEP_2)
	v_add_f64 v[2:3], v[6:7], v[2:3]
	v_add_f64 v[4:5], v[8:9], v[4:5]
	s_delay_alu instid0(VALU_DEP_2) | instskip(NEXT) | instid1(VALU_DEP_2)
	v_add_f64 v[2:3], v[42:43], -v[2:3]
	v_add_f64 v[4:5], v[44:45], -v[4:5]
	scratch_store_b128 off, v[2:5], off offset:112
	v_cmpx_lt_u32_e32 6, v156
	s_cbranch_execz .LBB118_331
; %bb.330:
	scratch_load_b128 v[5:8], v205, off
	v_mov_b32_e32 v2, v1
	v_mov_b32_e32 v3, v1
	;; [unrolled: 1-line block ×3, first 2 shown]
	scratch_store_b128 off, v[1:4], off offset:96
	s_waitcnt vmcnt(0)
	ds_store_b128 v211, v[5:8]
.LBB118_331:
	s_or_b32 exec_lo, exec_lo, s2
	s_waitcnt lgkmcnt(0)
	s_waitcnt_vscnt null, 0x0
	s_barrier
	buffer_gl0_inv
	s_clause 0x8
	scratch_load_b128 v[2:5], off, off offset:112
	scratch_load_b128 v[6:9], off, off offset:128
	;; [unrolled: 1-line block ×9, first 2 shown]
	ds_load_b128 v[42:45], v1 offset:992
	ds_load_b128 v[38:41], v1 offset:1008
	s_clause 0x1
	scratch_load_b128 v[172:175], off, off offset:96
	scratch_load_b128 v[176:179], off, off offset:256
	s_mov_b32 s2, exec_lo
	ds_load_b128 v[180:183], v1 offset:1040
	s_waitcnt vmcnt(10) lgkmcnt(2)
	v_mul_f64 v[169:170], v[44:45], v[4:5]
	v_mul_f64 v[4:5], v[42:43], v[4:5]
	s_waitcnt vmcnt(9) lgkmcnt(1)
	v_mul_f64 v[229:230], v[38:39], v[8:9]
	v_mul_f64 v[8:9], v[40:41], v[8:9]
	s_delay_alu instid0(VALU_DEP_4) | instskip(NEXT) | instid1(VALU_DEP_4)
	v_fma_f64 v[169:170], v[42:43], v[2:3], -v[169:170]
	v_fma_f64 v[231:232], v[44:45], v[2:3], v[4:5]
	ds_load_b128 v[2:5], v1 offset:1024
	scratch_load_b128 v[42:45], off, off offset:272
	v_fma_f64 v[40:41], v[40:41], v[6:7], v[229:230]
	v_fma_f64 v[38:39], v[38:39], v[6:7], -v[8:9]
	scratch_load_b128 v[6:9], off, off offset:288
	s_waitcnt vmcnt(10) lgkmcnt(0)
	v_mul_f64 v[233:234], v[2:3], v[12:13]
	v_mul_f64 v[12:13], v[4:5], v[12:13]
	v_add_f64 v[169:170], v[169:170], 0
	v_add_f64 v[229:230], v[231:232], 0
	s_waitcnt vmcnt(9)
	v_mul_f64 v[231:232], v[180:181], v[16:17]
	v_mul_f64 v[16:17], v[182:183], v[16:17]
	v_fma_f64 v[233:234], v[4:5], v[10:11], v[233:234]
	v_fma_f64 v[235:236], v[2:3], v[10:11], -v[12:13]
	ds_load_b128 v[2:5], v1 offset:1056
	scratch_load_b128 v[10:13], off, off offset:304
	v_add_f64 v[169:170], v[169:170], v[38:39]
	v_add_f64 v[229:230], v[229:230], v[40:41]
	ds_load_b128 v[38:41], v1 offset:1072
	v_fma_f64 v[182:183], v[182:183], v[14:15], v[231:232]
	v_fma_f64 v[180:181], v[180:181], v[14:15], -v[16:17]
	scratch_load_b128 v[14:17], off, off offset:320
	s_waitcnt vmcnt(10) lgkmcnt(1)
	v_mul_f64 v[237:238], v[2:3], v[20:21]
	v_mul_f64 v[20:21], v[4:5], v[20:21]
	s_waitcnt vmcnt(9) lgkmcnt(0)
	v_mul_f64 v[231:232], v[38:39], v[24:25]
	v_mul_f64 v[24:25], v[40:41], v[24:25]
	v_add_f64 v[169:170], v[169:170], v[235:236]
	v_add_f64 v[229:230], v[229:230], v[233:234]
	v_fma_f64 v[233:234], v[4:5], v[18:19], v[237:238]
	v_fma_f64 v[235:236], v[2:3], v[18:19], -v[20:21]
	ds_load_b128 v[2:5], v1 offset:1088
	scratch_load_b128 v[18:21], off, off offset:336
	v_fma_f64 v[40:41], v[40:41], v[22:23], v[231:232]
	v_fma_f64 v[38:39], v[38:39], v[22:23], -v[24:25]
	scratch_load_b128 v[22:25], off, off offset:352
	v_add_f64 v[169:170], v[169:170], v[180:181]
	v_add_f64 v[229:230], v[229:230], v[182:183]
	ds_load_b128 v[180:183], v1 offset:1104
	s_waitcnt vmcnt(10) lgkmcnt(1)
	v_mul_f64 v[237:238], v[2:3], v[28:29]
	v_mul_f64 v[28:29], v[4:5], v[28:29]
	s_waitcnt vmcnt(9) lgkmcnt(0)
	v_mul_f64 v[231:232], v[180:181], v[32:33]
	v_mul_f64 v[32:33], v[182:183], v[32:33]
	v_add_f64 v[169:170], v[169:170], v[235:236]
	v_add_f64 v[229:230], v[229:230], v[233:234]
	v_fma_f64 v[233:234], v[4:5], v[26:27], v[237:238]
	v_fma_f64 v[235:236], v[2:3], v[26:27], -v[28:29]
	ds_load_b128 v[2:5], v1 offset:1120
	scratch_load_b128 v[26:29], off, off offset:368
	v_fma_f64 v[182:183], v[182:183], v[30:31], v[231:232]
	v_fma_f64 v[180:181], v[180:181], v[30:31], -v[32:33]
	scratch_load_b128 v[30:33], off, off offset:384
	v_add_f64 v[169:170], v[169:170], v[38:39]
	v_add_f64 v[229:230], v[229:230], v[40:41]
	ds_load_b128 v[38:41], v1 offset:1136
	s_waitcnt vmcnt(10) lgkmcnt(1)
	v_mul_f64 v[237:238], v[2:3], v[36:37]
	v_mul_f64 v[36:37], v[4:5], v[36:37]
	s_waitcnt vmcnt(8) lgkmcnt(0)
	v_mul_f64 v[231:232], v[38:39], v[178:179]
	v_add_f64 v[169:170], v[169:170], v[235:236]
	v_add_f64 v[229:230], v[229:230], v[233:234]
	v_mul_f64 v[233:234], v[40:41], v[178:179]
	v_fma_f64 v[235:236], v[4:5], v[34:35], v[237:238]
	v_fma_f64 v[237:238], v[2:3], v[34:35], -v[36:37]
	ds_load_b128 v[2:5], v1 offset:1152
	scratch_load_b128 v[34:37], off, off offset:400
	v_fma_f64 v[231:232], v[40:41], v[176:177], v[231:232]
	v_add_f64 v[169:170], v[169:170], v[180:181]
	v_add_f64 v[182:183], v[229:230], v[182:183]
	ds_load_b128 v[178:181], v1 offset:1168
	v_fma_f64 v[176:177], v[38:39], v[176:177], -v[233:234]
	scratch_load_b128 v[38:41], off, off offset:416
	s_waitcnt vmcnt(9) lgkmcnt(1)
	v_mul_f64 v[229:230], v[2:3], v[44:45]
	v_mul_f64 v[44:45], v[4:5], v[44:45]
	s_waitcnt vmcnt(8) lgkmcnt(0)
	v_mul_f64 v[233:234], v[178:179], v[8:9]
	v_mul_f64 v[8:9], v[180:181], v[8:9]
	v_add_f64 v[169:170], v[169:170], v[237:238]
	v_add_f64 v[182:183], v[182:183], v[235:236]
	v_fma_f64 v[235:236], v[4:5], v[42:43], v[229:230]
	v_fma_f64 v[237:238], v[2:3], v[42:43], -v[44:45]
	ds_load_b128 v[2:5], v1 offset:1184
	scratch_load_b128 v[42:45], off, off offset:432
	v_fma_f64 v[180:181], v[180:181], v[6:7], v[233:234]
	v_fma_f64 v[178:179], v[178:179], v[6:7], -v[8:9]
	scratch_load_b128 v[6:9], off, off offset:448
	v_add_f64 v[169:170], v[169:170], v[176:177]
	v_add_f64 v[176:177], v[182:183], v[231:232]
	ds_load_b128 v[229:232], v1 offset:1200
	s_waitcnt vmcnt(9) lgkmcnt(1)
	v_mul_f64 v[182:183], v[2:3], v[12:13]
	v_mul_f64 v[12:13], v[4:5], v[12:13]
	s_waitcnt vmcnt(8) lgkmcnt(0)
	v_mul_f64 v[233:234], v[229:230], v[16:17]
	v_mul_f64 v[16:17], v[231:232], v[16:17]
	v_add_f64 v[169:170], v[169:170], v[237:238]
	v_add_f64 v[176:177], v[176:177], v[235:236]
	v_fma_f64 v[182:183], v[4:5], v[10:11], v[182:183]
	v_fma_f64 v[235:236], v[2:3], v[10:11], -v[12:13]
	ds_load_b128 v[2:5], v1 offset:1216
	scratch_load_b128 v[10:13], off, off offset:464
	v_fma_f64 v[231:232], v[231:232], v[14:15], v[233:234]
	v_fma_f64 v[229:230], v[229:230], v[14:15], -v[16:17]
	scratch_load_b128 v[14:17], off, off offset:480
	v_add_f64 v[169:170], v[169:170], v[178:179]
	v_add_f64 v[180:181], v[176:177], v[180:181]
	ds_load_b128 v[176:179], v1 offset:1232
	s_waitcnt vmcnt(9) lgkmcnt(1)
	v_mul_f64 v[237:238], v[2:3], v[20:21]
	v_mul_f64 v[20:21], v[4:5], v[20:21]
	s_waitcnt vmcnt(8) lgkmcnt(0)
	v_mul_f64 v[233:234], v[176:177], v[24:25]
	v_mul_f64 v[24:25], v[178:179], v[24:25]
	v_add_f64 v[169:170], v[169:170], v[235:236]
	v_add_f64 v[180:181], v[180:181], v[182:183]
	v_fma_f64 v[235:236], v[4:5], v[18:19], v[237:238]
	v_fma_f64 v[237:238], v[2:3], v[18:19], -v[20:21]
	ds_load_b128 v[2:5], v1 offset:1248
	scratch_load_b128 v[18:21], off, off offset:496
	v_fma_f64 v[178:179], v[178:179], v[22:23], v[233:234]
	v_fma_f64 v[176:177], v[176:177], v[22:23], -v[24:25]
	scratch_load_b128 v[22:25], off, off offset:512
	v_add_f64 v[169:170], v[169:170], v[229:230]
	v_add_f64 v[229:230], v[180:181], v[231:232]
	ds_load_b128 v[180:183], v1 offset:1264
	s_waitcnt vmcnt(9) lgkmcnt(1)
	v_mul_f64 v[231:232], v[2:3], v[28:29]
	v_mul_f64 v[28:29], v[4:5], v[28:29]
	s_waitcnt vmcnt(8) lgkmcnt(0)
	v_mul_f64 v[233:234], v[180:181], v[32:33]
	v_mul_f64 v[32:33], v[182:183], v[32:33]
	v_add_f64 v[169:170], v[169:170], v[237:238]
	v_add_f64 v[229:230], v[229:230], v[235:236]
	v_fma_f64 v[231:232], v[4:5], v[26:27], v[231:232]
	v_fma_f64 v[235:236], v[2:3], v[26:27], -v[28:29]
	ds_load_b128 v[2:5], v1 offset:1280
	scratch_load_b128 v[26:29], off, off offset:528
	v_fma_f64 v[182:183], v[182:183], v[30:31], v[233:234]
	v_fma_f64 v[180:181], v[180:181], v[30:31], -v[32:33]
	scratch_load_b128 v[30:33], off, off offset:544
	v_add_f64 v[169:170], v[169:170], v[176:177]
	v_add_f64 v[229:230], v[229:230], v[178:179]
	ds_load_b128 v[176:179], v1 offset:1296
	s_waitcnt vmcnt(9) lgkmcnt(1)
	v_mul_f64 v[237:238], v[2:3], v[36:37]
	v_mul_f64 v[36:37], v[4:5], v[36:37]
	v_add_f64 v[169:170], v[169:170], v[235:236]
	v_add_f64 v[229:230], v[229:230], v[231:232]
	s_waitcnt vmcnt(8) lgkmcnt(0)
	v_mul_f64 v[231:232], v[176:177], v[40:41]
	v_mul_f64 v[40:41], v[178:179], v[40:41]
	v_fma_f64 v[233:234], v[4:5], v[34:35], v[237:238]
	v_fma_f64 v[235:236], v[2:3], v[34:35], -v[36:37]
	ds_load_b128 v[2:5], v1 offset:1312
	scratch_load_b128 v[34:37], off, off offset:560
	v_add_f64 v[169:170], v[169:170], v[180:181]
	v_add_f64 v[229:230], v[229:230], v[182:183]
	ds_load_b128 v[180:183], v1 offset:1328
	s_waitcnt vmcnt(8) lgkmcnt(1)
	v_mul_f64 v[237:238], v[2:3], v[44:45]
	v_mul_f64 v[44:45], v[4:5], v[44:45]
	v_fma_f64 v[178:179], v[178:179], v[38:39], v[231:232]
	v_fma_f64 v[176:177], v[176:177], v[38:39], -v[40:41]
	scratch_load_b128 v[38:41], off, off offset:576
	s_waitcnt vmcnt(8) lgkmcnt(0)
	v_mul_f64 v[231:232], v[180:181], v[8:9]
	v_mul_f64 v[8:9], v[182:183], v[8:9]
	v_add_f64 v[169:170], v[169:170], v[235:236]
	v_add_f64 v[229:230], v[229:230], v[233:234]
	v_fma_f64 v[233:234], v[4:5], v[42:43], v[237:238]
	v_fma_f64 v[235:236], v[2:3], v[42:43], -v[44:45]
	ds_load_b128 v[2:5], v1 offset:1344
	scratch_load_b128 v[42:45], off, off offset:592
	v_fma_f64 v[182:183], v[182:183], v[6:7], v[231:232]
	v_fma_f64 v[180:181], v[180:181], v[6:7], -v[8:9]
	scratch_load_b128 v[6:9], off, off offset:608
	v_add_f64 v[169:170], v[169:170], v[176:177]
	v_add_f64 v[229:230], v[229:230], v[178:179]
	ds_load_b128 v[176:179], v1 offset:1360
	s_waitcnt vmcnt(9) lgkmcnt(1)
	v_mul_f64 v[237:238], v[2:3], v[12:13]
	v_mul_f64 v[12:13], v[4:5], v[12:13]
	s_waitcnt vmcnt(8) lgkmcnt(0)
	v_mul_f64 v[231:232], v[176:177], v[16:17]
	v_mul_f64 v[16:17], v[178:179], v[16:17]
	v_add_f64 v[169:170], v[169:170], v[235:236]
	v_add_f64 v[229:230], v[229:230], v[233:234]
	v_fma_f64 v[233:234], v[4:5], v[10:11], v[237:238]
	v_fma_f64 v[235:236], v[2:3], v[10:11], -v[12:13]
	ds_load_b128 v[2:5], v1 offset:1376
	scratch_load_b128 v[10:13], off, off offset:624
	v_fma_f64 v[178:179], v[178:179], v[14:15], v[231:232]
	v_fma_f64 v[176:177], v[176:177], v[14:15], -v[16:17]
	scratch_load_b128 v[14:17], off, off offset:640
	v_add_f64 v[169:170], v[169:170], v[180:181]
	v_add_f64 v[229:230], v[229:230], v[182:183]
	ds_load_b128 v[180:183], v1 offset:1392
	s_waitcnt vmcnt(9) lgkmcnt(1)
	v_mul_f64 v[237:238], v[2:3], v[20:21]
	v_mul_f64 v[20:21], v[4:5], v[20:21]
	;; [unrolled: 18-line block ×9, first 2 shown]
	s_waitcnt vmcnt(8) lgkmcnt(0)
	v_mul_f64 v[231:232], v[176:177], v[40:41]
	v_mul_f64 v[40:41], v[178:179], v[40:41]
	v_add_f64 v[169:170], v[169:170], v[235:236]
	v_add_f64 v[229:230], v[229:230], v[233:234]
	v_fma_f64 v[233:234], v[4:5], v[34:35], v[237:238]
	v_fma_f64 v[235:236], v[2:3], v[34:35], -v[36:37]
	ds_load_b128 v[2:5], v1 offset:1632
	ds_load_b128 v[34:37], v1 offset:1648
	v_fma_f64 v[178:179], v[178:179], v[38:39], v[231:232]
	v_fma_f64 v[38:39], v[176:177], v[38:39], -v[40:41]
	v_add_f64 v[169:170], v[169:170], v[180:181]
	v_add_f64 v[180:181], v[229:230], v[182:183]
	s_waitcnt vmcnt(7) lgkmcnt(1)
	v_mul_f64 v[182:183], v[2:3], v[44:45]
	v_mul_f64 v[44:45], v[4:5], v[44:45]
	s_waitcnt vmcnt(6) lgkmcnt(0)
	v_mul_f64 v[176:177], v[34:35], v[8:9]
	v_mul_f64 v[8:9], v[36:37], v[8:9]
	v_add_f64 v[40:41], v[169:170], v[235:236]
	v_add_f64 v[169:170], v[180:181], v[233:234]
	v_fma_f64 v[180:181], v[4:5], v[42:43], v[182:183]
	v_fma_f64 v[42:43], v[2:3], v[42:43], -v[44:45]
	v_fma_f64 v[36:37], v[36:37], v[6:7], v[176:177]
	v_fma_f64 v[6:7], v[34:35], v[6:7], -v[8:9]
	v_add_f64 v[44:45], v[40:41], v[38:39]
	v_add_f64 v[169:170], v[169:170], v[178:179]
	ds_load_b128 v[2:5], v1 offset:1664
	ds_load_b128 v[38:41], v1 offset:1680
	s_waitcnt vmcnt(5) lgkmcnt(1)
	v_mul_f64 v[178:179], v[2:3], v[12:13]
	v_mul_f64 v[12:13], v[4:5], v[12:13]
	v_add_f64 v[8:9], v[44:45], v[42:43]
	v_add_f64 v[34:35], v[169:170], v[180:181]
	s_waitcnt vmcnt(4) lgkmcnt(0)
	v_mul_f64 v[42:43], v[38:39], v[16:17]
	v_mul_f64 v[16:17], v[40:41], v[16:17]
	v_fma_f64 v[44:45], v[4:5], v[10:11], v[178:179]
	v_fma_f64 v[10:11], v[2:3], v[10:11], -v[12:13]
	v_add_f64 v[12:13], v[8:9], v[6:7]
	v_add_f64 v[34:35], v[34:35], v[36:37]
	ds_load_b128 v[2:5], v1 offset:1696
	ds_load_b128 v[6:9], v1 offset:1712
	v_fma_f64 v[40:41], v[40:41], v[14:15], v[42:43]
	v_fma_f64 v[14:15], v[38:39], v[14:15], -v[16:17]
	s_waitcnt vmcnt(3) lgkmcnt(1)
	v_mul_f64 v[36:37], v[2:3], v[20:21]
	v_mul_f64 v[20:21], v[4:5], v[20:21]
	s_waitcnt vmcnt(2) lgkmcnt(0)
	v_mul_f64 v[16:17], v[6:7], v[24:25]
	v_mul_f64 v[24:25], v[8:9], v[24:25]
	v_add_f64 v[10:11], v[12:13], v[10:11]
	v_add_f64 v[12:13], v[34:35], v[44:45]
	v_fma_f64 v[34:35], v[4:5], v[18:19], v[36:37]
	v_fma_f64 v[18:19], v[2:3], v[18:19], -v[20:21]
	v_fma_f64 v[8:9], v[8:9], v[22:23], v[16:17]
	v_fma_f64 v[6:7], v[6:7], v[22:23], -v[24:25]
	v_add_f64 v[14:15], v[10:11], v[14:15]
	v_add_f64 v[20:21], v[12:13], v[40:41]
	ds_load_b128 v[2:5], v1 offset:1728
	ds_load_b128 v[10:13], v1 offset:1744
	s_waitcnt vmcnt(1) lgkmcnt(1)
	v_mul_f64 v[36:37], v[2:3], v[28:29]
	v_mul_f64 v[28:29], v[4:5], v[28:29]
	v_add_f64 v[14:15], v[14:15], v[18:19]
	v_add_f64 v[16:17], v[20:21], v[34:35]
	s_waitcnt vmcnt(0) lgkmcnt(0)
	v_mul_f64 v[18:19], v[10:11], v[32:33]
	v_mul_f64 v[20:21], v[12:13], v[32:33]
	v_fma_f64 v[4:5], v[4:5], v[26:27], v[36:37]
	v_fma_f64 v[1:2], v[2:3], v[26:27], -v[28:29]
	v_add_f64 v[6:7], v[14:15], v[6:7]
	v_add_f64 v[8:9], v[16:17], v[8:9]
	v_fma_f64 v[12:13], v[12:13], v[30:31], v[18:19]
	v_fma_f64 v[10:11], v[10:11], v[30:31], -v[20:21]
	s_delay_alu instid0(VALU_DEP_4) | instskip(NEXT) | instid1(VALU_DEP_4)
	v_add_f64 v[1:2], v[6:7], v[1:2]
	v_add_f64 v[3:4], v[8:9], v[4:5]
	s_delay_alu instid0(VALU_DEP_2) | instskip(NEXT) | instid1(VALU_DEP_2)
	v_add_f64 v[1:2], v[1:2], v[10:11]
	v_add_f64 v[3:4], v[3:4], v[12:13]
	s_delay_alu instid0(VALU_DEP_2) | instskip(NEXT) | instid1(VALU_DEP_2)
	v_add_f64 v[1:2], v[172:173], -v[1:2]
	v_add_f64 v[3:4], v[174:175], -v[3:4]
	scratch_store_b128 off, v[1:4], off offset:96
	v_cmpx_lt_u32_e32 5, v156
	s_cbranch_execz .LBB118_333
; %bb.332:
	scratch_load_b128 v[1:4], v206, off
	v_mov_b32_e32 v5, 0
	s_delay_alu instid0(VALU_DEP_1)
	v_mov_b32_e32 v6, v5
	v_mov_b32_e32 v7, v5
	;; [unrolled: 1-line block ×3, first 2 shown]
	scratch_store_b128 off, v[5:8], off offset:80
	s_waitcnt vmcnt(0)
	ds_store_b128 v211, v[1:4]
.LBB118_333:
	s_or_b32 exec_lo, exec_lo, s2
	s_waitcnt lgkmcnt(0)
	s_waitcnt_vscnt null, 0x0
	s_barrier
	buffer_gl0_inv
	s_clause 0x7
	scratch_load_b128 v[2:5], off, off offset:96
	scratch_load_b128 v[6:9], off, off offset:112
	;; [unrolled: 1-line block ×8, first 2 shown]
	v_mov_b32_e32 v1, 0
	s_mov_b32 s2, exec_lo
	ds_load_b128 v[38:41], v1 offset:976
	s_clause 0x1
	scratch_load_b128 v[34:37], off, off offset:224
	scratch_load_b128 v[42:45], off, off offset:80
	ds_load_b128 v[172:175], v1 offset:992
	scratch_load_b128 v[176:179], off, off offset:240
	ds_load_b128 v[180:183], v1 offset:1024
	s_waitcnt vmcnt(10) lgkmcnt(2)
	v_mul_f64 v[169:170], v[40:41], v[4:5]
	v_mul_f64 v[4:5], v[38:39], v[4:5]
	s_delay_alu instid0(VALU_DEP_2) | instskip(NEXT) | instid1(VALU_DEP_2)
	v_fma_f64 v[169:170], v[38:39], v[2:3], -v[169:170]
	v_fma_f64 v[231:232], v[40:41], v[2:3], v[4:5]
	ds_load_b128 v[2:5], v1 offset:1008
	s_waitcnt vmcnt(9) lgkmcnt(2)
	v_mul_f64 v[229:230], v[172:173], v[8:9]
	v_mul_f64 v[8:9], v[174:175], v[8:9]
	scratch_load_b128 v[38:41], off, off offset:256
	s_waitcnt vmcnt(9) lgkmcnt(0)
	v_mul_f64 v[233:234], v[2:3], v[12:13]
	v_mul_f64 v[12:13], v[4:5], v[12:13]
	v_add_f64 v[169:170], v[169:170], 0
	v_fma_f64 v[174:175], v[174:175], v[6:7], v[229:230]
	v_fma_f64 v[172:173], v[172:173], v[6:7], -v[8:9]
	v_add_f64 v[229:230], v[231:232], 0
	scratch_load_b128 v[6:9], off, off offset:272
	v_fma_f64 v[233:234], v[4:5], v[10:11], v[233:234]
	v_fma_f64 v[235:236], v[2:3], v[10:11], -v[12:13]
	scratch_load_b128 v[10:13], off, off offset:288
	ds_load_b128 v[2:5], v1 offset:1040
	s_waitcnt vmcnt(10)
	v_mul_f64 v[231:232], v[180:181], v[16:17]
	v_mul_f64 v[16:17], v[182:183], v[16:17]
	v_add_f64 v[169:170], v[169:170], v[172:173]
	v_add_f64 v[229:230], v[229:230], v[174:175]
	ds_load_b128 v[172:175], v1 offset:1056
	s_waitcnt vmcnt(9) lgkmcnt(1)
	v_mul_f64 v[237:238], v[2:3], v[20:21]
	v_mul_f64 v[20:21], v[4:5], v[20:21]
	v_fma_f64 v[182:183], v[182:183], v[14:15], v[231:232]
	v_fma_f64 v[180:181], v[180:181], v[14:15], -v[16:17]
	scratch_load_b128 v[14:17], off, off offset:304
	v_add_f64 v[169:170], v[169:170], v[235:236]
	v_add_f64 v[229:230], v[229:230], v[233:234]
	v_fma_f64 v[233:234], v[4:5], v[18:19], v[237:238]
	v_fma_f64 v[235:236], v[2:3], v[18:19], -v[20:21]
	scratch_load_b128 v[18:21], off, off offset:320
	ds_load_b128 v[2:5], v1 offset:1072
	s_waitcnt vmcnt(10) lgkmcnt(1)
	v_mul_f64 v[231:232], v[172:173], v[24:25]
	v_mul_f64 v[24:25], v[174:175], v[24:25]
	s_waitcnt vmcnt(9) lgkmcnt(0)
	v_mul_f64 v[237:238], v[2:3], v[28:29]
	v_mul_f64 v[28:29], v[4:5], v[28:29]
	v_add_f64 v[169:170], v[169:170], v[180:181]
	v_add_f64 v[229:230], v[229:230], v[182:183]
	ds_load_b128 v[180:183], v1 offset:1088
	v_fma_f64 v[174:175], v[174:175], v[22:23], v[231:232]
	v_fma_f64 v[172:173], v[172:173], v[22:23], -v[24:25]
	scratch_load_b128 v[22:25], off, off offset:336
	v_add_f64 v[169:170], v[169:170], v[235:236]
	v_add_f64 v[229:230], v[229:230], v[233:234]
	v_fma_f64 v[233:234], v[4:5], v[26:27], v[237:238]
	v_fma_f64 v[235:236], v[2:3], v[26:27], -v[28:29]
	scratch_load_b128 v[26:29], off, off offset:352
	ds_load_b128 v[2:5], v1 offset:1104
	s_waitcnt vmcnt(10) lgkmcnt(1)
	v_mul_f64 v[231:232], v[180:181], v[32:33]
	v_mul_f64 v[32:33], v[182:183], v[32:33]
	s_waitcnt vmcnt(9) lgkmcnt(0)
	v_mul_f64 v[237:238], v[2:3], v[36:37]
	v_mul_f64 v[36:37], v[4:5], v[36:37]
	v_add_f64 v[169:170], v[169:170], v[172:173]
	v_add_f64 v[229:230], v[229:230], v[174:175]
	ds_load_b128 v[172:175], v1 offset:1120
	v_fma_f64 v[182:183], v[182:183], v[30:31], v[231:232]
	v_fma_f64 v[180:181], v[180:181], v[30:31], -v[32:33]
	scratch_load_b128 v[30:33], off, off offset:368
	v_add_f64 v[169:170], v[169:170], v[235:236]
	v_add_f64 v[229:230], v[229:230], v[233:234]
	v_fma_f64 v[235:236], v[4:5], v[34:35], v[237:238]
	v_fma_f64 v[237:238], v[2:3], v[34:35], -v[36:37]
	scratch_load_b128 v[34:37], off, off offset:384
	ds_load_b128 v[2:5], v1 offset:1136
	s_waitcnt vmcnt(9) lgkmcnt(1)
	v_mul_f64 v[231:232], v[172:173], v[178:179]
	v_mul_f64 v[233:234], v[174:175], v[178:179]
	v_add_f64 v[169:170], v[169:170], v[180:181]
	v_add_f64 v[182:183], v[229:230], v[182:183]
	ds_load_b128 v[178:181], v1 offset:1152
	v_fma_f64 v[231:232], v[174:175], v[176:177], v[231:232]
	v_fma_f64 v[176:177], v[172:173], v[176:177], -v[233:234]
	scratch_load_b128 v[172:175], off, off offset:400
	s_waitcnt vmcnt(9) lgkmcnt(1)
	v_mul_f64 v[229:230], v[2:3], v[40:41]
	v_mul_f64 v[40:41], v[4:5], v[40:41]
	v_add_f64 v[169:170], v[169:170], v[237:238]
	v_add_f64 v[182:183], v[182:183], v[235:236]
	s_delay_alu instid0(VALU_DEP_4) | instskip(NEXT) | instid1(VALU_DEP_4)
	v_fma_f64 v[235:236], v[4:5], v[38:39], v[229:230]
	v_fma_f64 v[237:238], v[2:3], v[38:39], -v[40:41]
	scratch_load_b128 v[38:41], off, off offset:416
	ds_load_b128 v[2:5], v1 offset:1168
	s_waitcnt vmcnt(9) lgkmcnt(1)
	v_mul_f64 v[233:234], v[178:179], v[8:9]
	v_mul_f64 v[8:9], v[180:181], v[8:9]
	v_add_f64 v[169:170], v[169:170], v[176:177]
	v_add_f64 v[176:177], v[182:183], v[231:232]
	s_waitcnt vmcnt(8) lgkmcnt(0)
	v_mul_f64 v[182:183], v[2:3], v[12:13]
	v_mul_f64 v[12:13], v[4:5], v[12:13]
	ds_load_b128 v[229:232], v1 offset:1184
	v_fma_f64 v[180:181], v[180:181], v[6:7], v[233:234]
	v_fma_f64 v[178:179], v[178:179], v[6:7], -v[8:9]
	scratch_load_b128 v[6:9], off, off offset:432
	v_add_f64 v[169:170], v[169:170], v[237:238]
	v_add_f64 v[176:177], v[176:177], v[235:236]
	v_fma_f64 v[182:183], v[4:5], v[10:11], v[182:183]
	v_fma_f64 v[235:236], v[2:3], v[10:11], -v[12:13]
	scratch_load_b128 v[10:13], off, off offset:448
	ds_load_b128 v[2:5], v1 offset:1200
	s_waitcnt vmcnt(9) lgkmcnt(1)
	v_mul_f64 v[233:234], v[229:230], v[16:17]
	v_mul_f64 v[16:17], v[231:232], v[16:17]
	s_waitcnt vmcnt(8) lgkmcnt(0)
	v_mul_f64 v[237:238], v[2:3], v[20:21]
	v_mul_f64 v[20:21], v[4:5], v[20:21]
	v_add_f64 v[169:170], v[169:170], v[178:179]
	v_add_f64 v[180:181], v[176:177], v[180:181]
	ds_load_b128 v[176:179], v1 offset:1216
	v_fma_f64 v[231:232], v[231:232], v[14:15], v[233:234]
	v_fma_f64 v[229:230], v[229:230], v[14:15], -v[16:17]
	scratch_load_b128 v[14:17], off, off offset:464
	v_add_f64 v[169:170], v[169:170], v[235:236]
	v_add_f64 v[180:181], v[180:181], v[182:183]
	v_fma_f64 v[235:236], v[4:5], v[18:19], v[237:238]
	v_fma_f64 v[237:238], v[2:3], v[18:19], -v[20:21]
	scratch_load_b128 v[18:21], off, off offset:480
	ds_load_b128 v[2:5], v1 offset:1232
	s_waitcnt vmcnt(9) lgkmcnt(1)
	v_mul_f64 v[233:234], v[176:177], v[24:25]
	v_mul_f64 v[24:25], v[178:179], v[24:25]
	v_add_f64 v[169:170], v[169:170], v[229:230]
	v_add_f64 v[229:230], v[180:181], v[231:232]
	s_waitcnt vmcnt(8) lgkmcnt(0)
	v_mul_f64 v[231:232], v[2:3], v[28:29]
	v_mul_f64 v[28:29], v[4:5], v[28:29]
	ds_load_b128 v[180:183], v1 offset:1248
	v_fma_f64 v[178:179], v[178:179], v[22:23], v[233:234]
	v_fma_f64 v[176:177], v[176:177], v[22:23], -v[24:25]
	scratch_load_b128 v[22:25], off, off offset:496
	v_add_f64 v[169:170], v[169:170], v[237:238]
	v_add_f64 v[229:230], v[229:230], v[235:236]
	v_fma_f64 v[231:232], v[4:5], v[26:27], v[231:232]
	v_fma_f64 v[235:236], v[2:3], v[26:27], -v[28:29]
	scratch_load_b128 v[26:29], off, off offset:512
	ds_load_b128 v[2:5], v1 offset:1264
	s_waitcnt vmcnt(9) lgkmcnt(1)
	v_mul_f64 v[233:234], v[180:181], v[32:33]
	v_mul_f64 v[32:33], v[182:183], v[32:33]
	s_waitcnt vmcnt(8) lgkmcnt(0)
	v_mul_f64 v[237:238], v[2:3], v[36:37]
	v_mul_f64 v[36:37], v[4:5], v[36:37]
	v_add_f64 v[169:170], v[169:170], v[176:177]
	v_add_f64 v[229:230], v[229:230], v[178:179]
	ds_load_b128 v[176:179], v1 offset:1280
	v_fma_f64 v[182:183], v[182:183], v[30:31], v[233:234]
	v_fma_f64 v[180:181], v[180:181], v[30:31], -v[32:33]
	scratch_load_b128 v[30:33], off, off offset:528
	v_fma_f64 v[233:234], v[4:5], v[34:35], v[237:238]
	v_add_f64 v[169:170], v[169:170], v[235:236]
	v_add_f64 v[229:230], v[229:230], v[231:232]
	v_fma_f64 v[235:236], v[2:3], v[34:35], -v[36:37]
	scratch_load_b128 v[34:37], off, off offset:544
	ds_load_b128 v[2:5], v1 offset:1296
	s_waitcnt vmcnt(9) lgkmcnt(1)
	v_mul_f64 v[231:232], v[176:177], v[174:175]
	v_mul_f64 v[174:175], v[178:179], v[174:175]
	s_waitcnt vmcnt(8) lgkmcnt(0)
	v_mul_f64 v[237:238], v[2:3], v[40:41]
	v_mul_f64 v[40:41], v[4:5], v[40:41]
	v_add_f64 v[169:170], v[169:170], v[180:181]
	v_add_f64 v[229:230], v[229:230], v[182:183]
	ds_load_b128 v[180:183], v1 offset:1312
	v_fma_f64 v[178:179], v[178:179], v[172:173], v[231:232]
	v_fma_f64 v[176:177], v[176:177], v[172:173], -v[174:175]
	scratch_load_b128 v[172:175], off, off offset:560
	v_add_f64 v[169:170], v[169:170], v[235:236]
	v_add_f64 v[229:230], v[229:230], v[233:234]
	v_fma_f64 v[233:234], v[4:5], v[38:39], v[237:238]
	v_fma_f64 v[235:236], v[2:3], v[38:39], -v[40:41]
	scratch_load_b128 v[38:41], off, off offset:576
	ds_load_b128 v[2:5], v1 offset:1328
	s_waitcnt vmcnt(9) lgkmcnt(1)
	v_mul_f64 v[231:232], v[180:181], v[8:9]
	v_mul_f64 v[8:9], v[182:183], v[8:9]
	s_waitcnt vmcnt(8) lgkmcnt(0)
	v_mul_f64 v[237:238], v[2:3], v[12:13]
	v_mul_f64 v[12:13], v[4:5], v[12:13]
	v_add_f64 v[169:170], v[169:170], v[176:177]
	v_add_f64 v[229:230], v[229:230], v[178:179]
	ds_load_b128 v[176:179], v1 offset:1344
	v_fma_f64 v[182:183], v[182:183], v[6:7], v[231:232]
	v_fma_f64 v[180:181], v[180:181], v[6:7], -v[8:9]
	scratch_load_b128 v[6:9], off, off offset:592
	v_add_f64 v[169:170], v[169:170], v[235:236]
	v_add_f64 v[229:230], v[229:230], v[233:234]
	v_fma_f64 v[233:234], v[4:5], v[10:11], v[237:238]
	;; [unrolled: 18-line block ×5, first 2 shown]
	v_fma_f64 v[237:238], v[2:3], v[34:35], -v[36:37]
	scratch_load_b128 v[34:37], off, off offset:704
	ds_load_b128 v[2:5], v1 offset:1456
	s_waitcnt vmcnt(9) lgkmcnt(1)
	v_mul_f64 v[231:232], v[180:181], v[174:175]
	v_mul_f64 v[233:234], v[182:183], v[174:175]
	v_add_f64 v[169:170], v[169:170], v[176:177]
	v_add_f64 v[178:179], v[229:230], v[178:179]
	s_waitcnt vmcnt(8) lgkmcnt(0)
	v_mul_f64 v[229:230], v[2:3], v[40:41]
	v_mul_f64 v[40:41], v[4:5], v[40:41]
	ds_load_b128 v[174:177], v1 offset:1472
	v_fma_f64 v[182:183], v[182:183], v[172:173], v[231:232]
	v_fma_f64 v[172:173], v[180:181], v[172:173], -v[233:234]
	v_add_f64 v[169:170], v[169:170], v[237:238]
	v_add_f64 v[231:232], v[178:179], v[235:236]
	scratch_load_b128 v[178:181], off, off offset:720
	v_fma_f64 v[235:236], v[4:5], v[38:39], v[229:230]
	v_fma_f64 v[237:238], v[2:3], v[38:39], -v[40:41]
	scratch_load_b128 v[38:41], off, off offset:736
	ds_load_b128 v[2:5], v1 offset:1488
	s_waitcnt vmcnt(9) lgkmcnt(1)
	v_mul_f64 v[233:234], v[174:175], v[8:9]
	v_mul_f64 v[8:9], v[176:177], v[8:9]
	v_add_f64 v[169:170], v[169:170], v[172:173]
	v_add_f64 v[172:173], v[231:232], v[182:183]
	s_waitcnt vmcnt(8) lgkmcnt(0)
	v_mul_f64 v[182:183], v[2:3], v[12:13]
	v_mul_f64 v[12:13], v[4:5], v[12:13]
	ds_load_b128 v[229:232], v1 offset:1504
	v_fma_f64 v[176:177], v[176:177], v[6:7], v[233:234]
	v_fma_f64 v[174:175], v[174:175], v[6:7], -v[8:9]
	scratch_load_b128 v[6:9], off, off offset:752
	v_add_f64 v[169:170], v[169:170], v[237:238]
	v_add_f64 v[172:173], v[172:173], v[235:236]
	v_fma_f64 v[182:183], v[4:5], v[10:11], v[182:183]
	v_fma_f64 v[235:236], v[2:3], v[10:11], -v[12:13]
	scratch_load_b128 v[10:13], off, off offset:768
	ds_load_b128 v[2:5], v1 offset:1520
	s_waitcnt vmcnt(9) lgkmcnt(1)
	v_mul_f64 v[233:234], v[229:230], v[16:17]
	v_mul_f64 v[16:17], v[231:232], v[16:17]
	s_waitcnt vmcnt(8) lgkmcnt(0)
	v_mul_f64 v[237:238], v[2:3], v[20:21]
	v_mul_f64 v[20:21], v[4:5], v[20:21]
	v_add_f64 v[169:170], v[169:170], v[174:175]
	v_add_f64 v[176:177], v[172:173], v[176:177]
	ds_load_b128 v[172:175], v1 offset:1536
	v_fma_f64 v[231:232], v[231:232], v[14:15], v[233:234]
	v_fma_f64 v[229:230], v[229:230], v[14:15], -v[16:17]
	scratch_load_b128 v[14:17], off, off offset:784
	v_fma_f64 v[233:234], v[4:5], v[18:19], v[237:238]
	v_add_f64 v[169:170], v[169:170], v[235:236]
	v_add_f64 v[176:177], v[176:177], v[182:183]
	v_fma_f64 v[235:236], v[2:3], v[18:19], -v[20:21]
	scratch_load_b128 v[18:21], off, off offset:800
	ds_load_b128 v[2:5], v1 offset:1552
	s_waitcnt vmcnt(9) lgkmcnt(1)
	v_mul_f64 v[182:183], v[172:173], v[24:25]
	v_mul_f64 v[24:25], v[174:175], v[24:25]
	s_waitcnt vmcnt(8) lgkmcnt(0)
	v_mul_f64 v[237:238], v[2:3], v[28:29]
	v_mul_f64 v[28:29], v[4:5], v[28:29]
	v_add_f64 v[169:170], v[169:170], v[229:230]
	v_add_f64 v[176:177], v[176:177], v[231:232]
	ds_load_b128 v[229:232], v1 offset:1568
	v_fma_f64 v[174:175], v[174:175], v[22:23], v[182:183]
	v_fma_f64 v[172:173], v[172:173], v[22:23], -v[24:25]
	scratch_load_b128 v[22:25], off, off offset:816
	v_add_f64 v[169:170], v[169:170], v[235:236]
	v_add_f64 v[176:177], v[176:177], v[233:234]
	v_fma_f64 v[233:234], v[4:5], v[26:27], v[237:238]
	v_fma_f64 v[235:236], v[2:3], v[26:27], -v[28:29]
	scratch_load_b128 v[26:29], off, off offset:832
	ds_load_b128 v[2:5], v1 offset:1584
	s_waitcnt vmcnt(9) lgkmcnt(1)
	v_mul_f64 v[182:183], v[229:230], v[32:33]
	v_mul_f64 v[32:33], v[231:232], v[32:33]
	s_waitcnt vmcnt(8) lgkmcnt(0)
	v_mul_f64 v[237:238], v[2:3], v[36:37]
	v_mul_f64 v[36:37], v[4:5], v[36:37]
	v_add_f64 v[169:170], v[169:170], v[172:173]
	v_add_f64 v[176:177], v[176:177], v[174:175]
	ds_load_b128 v[172:175], v1 offset:1600
	v_fma_f64 v[182:183], v[231:232], v[30:31], v[182:183]
	v_fma_f64 v[229:230], v[229:230], v[30:31], -v[32:33]
	scratch_load_b128 v[30:33], off, off offset:848
	v_add_f64 v[169:170], v[169:170], v[235:236]
	v_add_f64 v[176:177], v[176:177], v[233:234]
	v_fma_f64 v[235:236], v[4:5], v[34:35], v[237:238]
	v_fma_f64 v[237:238], v[2:3], v[34:35], -v[36:37]
	scratch_load_b128 v[34:37], off, off offset:864
	ds_load_b128 v[2:5], v1 offset:1616
	s_waitcnt vmcnt(9) lgkmcnt(1)
	v_mul_f64 v[231:232], v[172:173], v[180:181]
	v_mul_f64 v[233:234], v[174:175], v[180:181]
	v_add_f64 v[169:170], v[169:170], v[229:230]
	v_add_f64 v[176:177], v[176:177], v[182:183]
	s_waitcnt vmcnt(8) lgkmcnt(0)
	v_mul_f64 v[229:230], v[2:3], v[40:41]
	v_mul_f64 v[40:41], v[4:5], v[40:41]
	ds_load_b128 v[180:183], v1 offset:1632
	v_fma_f64 v[174:175], v[174:175], v[178:179], v[231:232]
	v_fma_f64 v[172:173], v[172:173], v[178:179], -v[233:234]
	s_waitcnt vmcnt(7) lgkmcnt(0)
	v_mul_f64 v[178:179], v[180:181], v[8:9]
	v_mul_f64 v[8:9], v[182:183], v[8:9]
	v_add_f64 v[169:170], v[169:170], v[237:238]
	v_add_f64 v[176:177], v[176:177], v[235:236]
	v_fma_f64 v[229:230], v[4:5], v[38:39], v[229:230]
	v_fma_f64 v[231:232], v[2:3], v[38:39], -v[40:41]
	ds_load_b128 v[2:5], v1 offset:1648
	ds_load_b128 v[38:41], v1 offset:1664
	v_add_f64 v[169:170], v[169:170], v[172:173]
	v_add_f64 v[172:173], v[176:177], v[174:175]
	s_waitcnt vmcnt(6) lgkmcnt(1)
	v_mul_f64 v[174:175], v[2:3], v[12:13]
	v_mul_f64 v[12:13], v[4:5], v[12:13]
	v_fma_f64 v[176:177], v[182:183], v[6:7], v[178:179]
	v_fma_f64 v[6:7], v[180:181], v[6:7], -v[8:9]
	v_add_f64 v[8:9], v[169:170], v[231:232]
	v_add_f64 v[169:170], v[172:173], v[229:230]
	s_waitcnt vmcnt(5) lgkmcnt(0)
	v_mul_f64 v[172:173], v[38:39], v[16:17]
	v_mul_f64 v[16:17], v[40:41], v[16:17]
	v_fma_f64 v[174:175], v[4:5], v[10:11], v[174:175]
	v_fma_f64 v[10:11], v[2:3], v[10:11], -v[12:13]
	v_add_f64 v[12:13], v[8:9], v[6:7]
	v_add_f64 v[169:170], v[169:170], v[176:177]
	ds_load_b128 v[2:5], v1 offset:1680
	ds_load_b128 v[6:9], v1 offset:1696
	v_fma_f64 v[40:41], v[40:41], v[14:15], v[172:173]
	v_fma_f64 v[14:15], v[38:39], v[14:15], -v[16:17]
	s_waitcnt vmcnt(4) lgkmcnt(1)
	v_mul_f64 v[176:177], v[2:3], v[20:21]
	v_mul_f64 v[20:21], v[4:5], v[20:21]
	s_waitcnt vmcnt(3) lgkmcnt(0)
	v_mul_f64 v[16:17], v[6:7], v[24:25]
	v_mul_f64 v[24:25], v[8:9], v[24:25]
	v_add_f64 v[10:11], v[12:13], v[10:11]
	v_add_f64 v[12:13], v[169:170], v[174:175]
	v_fma_f64 v[38:39], v[4:5], v[18:19], v[176:177]
	v_fma_f64 v[18:19], v[2:3], v[18:19], -v[20:21]
	v_fma_f64 v[8:9], v[8:9], v[22:23], v[16:17]
	v_fma_f64 v[6:7], v[6:7], v[22:23], -v[24:25]
	v_add_f64 v[14:15], v[10:11], v[14:15]
	v_add_f64 v[20:21], v[12:13], v[40:41]
	ds_load_b128 v[2:5], v1 offset:1712
	ds_load_b128 v[10:13], v1 offset:1728
	s_waitcnt vmcnt(2) lgkmcnt(1)
	v_mul_f64 v[40:41], v[2:3], v[28:29]
	v_mul_f64 v[28:29], v[4:5], v[28:29]
	v_add_f64 v[14:15], v[14:15], v[18:19]
	v_add_f64 v[16:17], v[20:21], v[38:39]
	s_waitcnt vmcnt(1) lgkmcnt(0)
	v_mul_f64 v[18:19], v[10:11], v[32:33]
	v_mul_f64 v[20:21], v[12:13], v[32:33]
	v_fma_f64 v[22:23], v[4:5], v[26:27], v[40:41]
	v_fma_f64 v[24:25], v[2:3], v[26:27], -v[28:29]
	ds_load_b128 v[2:5], v1 offset:1744
	v_add_f64 v[6:7], v[14:15], v[6:7]
	v_add_f64 v[8:9], v[16:17], v[8:9]
	v_fma_f64 v[12:13], v[12:13], v[30:31], v[18:19]
	v_fma_f64 v[10:11], v[10:11], v[30:31], -v[20:21]
	s_waitcnt vmcnt(0) lgkmcnt(0)
	v_mul_f64 v[14:15], v[2:3], v[36:37]
	v_mul_f64 v[16:17], v[4:5], v[36:37]
	v_add_f64 v[6:7], v[6:7], v[24:25]
	v_add_f64 v[8:9], v[8:9], v[22:23]
	s_delay_alu instid0(VALU_DEP_4) | instskip(NEXT) | instid1(VALU_DEP_4)
	v_fma_f64 v[4:5], v[4:5], v[34:35], v[14:15]
	v_fma_f64 v[2:3], v[2:3], v[34:35], -v[16:17]
	s_delay_alu instid0(VALU_DEP_4) | instskip(NEXT) | instid1(VALU_DEP_4)
	v_add_f64 v[6:7], v[6:7], v[10:11]
	v_add_f64 v[8:9], v[8:9], v[12:13]
	s_delay_alu instid0(VALU_DEP_2) | instskip(NEXT) | instid1(VALU_DEP_2)
	v_add_f64 v[2:3], v[6:7], v[2:3]
	v_add_f64 v[4:5], v[8:9], v[4:5]
	s_delay_alu instid0(VALU_DEP_2) | instskip(NEXT) | instid1(VALU_DEP_2)
	v_add_f64 v[2:3], v[42:43], -v[2:3]
	v_add_f64 v[4:5], v[44:45], -v[4:5]
	scratch_store_b128 off, v[2:5], off offset:80
	v_cmpx_lt_u32_e32 4, v156
	s_cbranch_execz .LBB118_335
; %bb.334:
	scratch_load_b128 v[5:8], v207, off
	v_mov_b32_e32 v2, v1
	v_mov_b32_e32 v3, v1
	;; [unrolled: 1-line block ×3, first 2 shown]
	scratch_store_b128 off, v[1:4], off offset:64
	s_waitcnt vmcnt(0)
	ds_store_b128 v211, v[5:8]
.LBB118_335:
	s_or_b32 exec_lo, exec_lo, s2
	s_waitcnt lgkmcnt(0)
	s_waitcnt_vscnt null, 0x0
	s_barrier
	buffer_gl0_inv
	s_clause 0x8
	scratch_load_b128 v[2:5], off, off offset:80
	scratch_load_b128 v[6:9], off, off offset:96
	;; [unrolled: 1-line block ×9, first 2 shown]
	ds_load_b128 v[42:45], v1 offset:960
	ds_load_b128 v[38:41], v1 offset:976
	s_clause 0x1
	scratch_load_b128 v[172:175], off, off offset:64
	scratch_load_b128 v[176:179], off, off offset:224
	s_mov_b32 s2, exec_lo
	ds_load_b128 v[180:183], v1 offset:1008
	s_waitcnt vmcnt(10) lgkmcnt(2)
	v_mul_f64 v[169:170], v[44:45], v[4:5]
	v_mul_f64 v[4:5], v[42:43], v[4:5]
	s_waitcnt vmcnt(9) lgkmcnt(1)
	v_mul_f64 v[229:230], v[38:39], v[8:9]
	v_mul_f64 v[8:9], v[40:41], v[8:9]
	s_delay_alu instid0(VALU_DEP_4) | instskip(NEXT) | instid1(VALU_DEP_4)
	v_fma_f64 v[169:170], v[42:43], v[2:3], -v[169:170]
	v_fma_f64 v[231:232], v[44:45], v[2:3], v[4:5]
	ds_load_b128 v[2:5], v1 offset:992
	scratch_load_b128 v[42:45], off, off offset:240
	v_fma_f64 v[40:41], v[40:41], v[6:7], v[229:230]
	v_fma_f64 v[38:39], v[38:39], v[6:7], -v[8:9]
	scratch_load_b128 v[6:9], off, off offset:256
	s_waitcnt vmcnt(10) lgkmcnt(0)
	v_mul_f64 v[233:234], v[2:3], v[12:13]
	v_mul_f64 v[12:13], v[4:5], v[12:13]
	v_add_f64 v[169:170], v[169:170], 0
	v_add_f64 v[229:230], v[231:232], 0
	s_waitcnt vmcnt(9)
	v_mul_f64 v[231:232], v[180:181], v[16:17]
	v_mul_f64 v[16:17], v[182:183], v[16:17]
	v_fma_f64 v[233:234], v[4:5], v[10:11], v[233:234]
	v_fma_f64 v[235:236], v[2:3], v[10:11], -v[12:13]
	ds_load_b128 v[2:5], v1 offset:1024
	scratch_load_b128 v[10:13], off, off offset:272
	v_add_f64 v[169:170], v[169:170], v[38:39]
	v_add_f64 v[229:230], v[229:230], v[40:41]
	ds_load_b128 v[38:41], v1 offset:1040
	v_fma_f64 v[182:183], v[182:183], v[14:15], v[231:232]
	v_fma_f64 v[180:181], v[180:181], v[14:15], -v[16:17]
	scratch_load_b128 v[14:17], off, off offset:288
	s_waitcnt vmcnt(10) lgkmcnt(1)
	v_mul_f64 v[237:238], v[2:3], v[20:21]
	v_mul_f64 v[20:21], v[4:5], v[20:21]
	s_waitcnt vmcnt(9) lgkmcnt(0)
	v_mul_f64 v[231:232], v[38:39], v[24:25]
	v_mul_f64 v[24:25], v[40:41], v[24:25]
	v_add_f64 v[169:170], v[169:170], v[235:236]
	v_add_f64 v[229:230], v[229:230], v[233:234]
	v_fma_f64 v[233:234], v[4:5], v[18:19], v[237:238]
	v_fma_f64 v[235:236], v[2:3], v[18:19], -v[20:21]
	ds_load_b128 v[2:5], v1 offset:1056
	scratch_load_b128 v[18:21], off, off offset:304
	v_fma_f64 v[40:41], v[40:41], v[22:23], v[231:232]
	v_fma_f64 v[38:39], v[38:39], v[22:23], -v[24:25]
	scratch_load_b128 v[22:25], off, off offset:320
	v_add_f64 v[169:170], v[169:170], v[180:181]
	v_add_f64 v[229:230], v[229:230], v[182:183]
	ds_load_b128 v[180:183], v1 offset:1072
	s_waitcnt vmcnt(10) lgkmcnt(1)
	v_mul_f64 v[237:238], v[2:3], v[28:29]
	v_mul_f64 v[28:29], v[4:5], v[28:29]
	s_waitcnt vmcnt(9) lgkmcnt(0)
	v_mul_f64 v[231:232], v[180:181], v[32:33]
	v_mul_f64 v[32:33], v[182:183], v[32:33]
	v_add_f64 v[169:170], v[169:170], v[235:236]
	v_add_f64 v[229:230], v[229:230], v[233:234]
	v_fma_f64 v[233:234], v[4:5], v[26:27], v[237:238]
	v_fma_f64 v[235:236], v[2:3], v[26:27], -v[28:29]
	ds_load_b128 v[2:5], v1 offset:1088
	scratch_load_b128 v[26:29], off, off offset:336
	v_fma_f64 v[182:183], v[182:183], v[30:31], v[231:232]
	v_fma_f64 v[180:181], v[180:181], v[30:31], -v[32:33]
	scratch_load_b128 v[30:33], off, off offset:352
	v_add_f64 v[169:170], v[169:170], v[38:39]
	v_add_f64 v[229:230], v[229:230], v[40:41]
	ds_load_b128 v[38:41], v1 offset:1104
	s_waitcnt vmcnt(10) lgkmcnt(1)
	v_mul_f64 v[237:238], v[2:3], v[36:37]
	v_mul_f64 v[36:37], v[4:5], v[36:37]
	s_waitcnt vmcnt(8) lgkmcnt(0)
	v_mul_f64 v[231:232], v[38:39], v[178:179]
	v_add_f64 v[169:170], v[169:170], v[235:236]
	v_add_f64 v[229:230], v[229:230], v[233:234]
	v_mul_f64 v[233:234], v[40:41], v[178:179]
	v_fma_f64 v[235:236], v[4:5], v[34:35], v[237:238]
	v_fma_f64 v[237:238], v[2:3], v[34:35], -v[36:37]
	ds_load_b128 v[2:5], v1 offset:1120
	scratch_load_b128 v[34:37], off, off offset:368
	v_fma_f64 v[231:232], v[40:41], v[176:177], v[231:232]
	v_add_f64 v[169:170], v[169:170], v[180:181]
	v_add_f64 v[182:183], v[229:230], v[182:183]
	ds_load_b128 v[178:181], v1 offset:1136
	v_fma_f64 v[176:177], v[38:39], v[176:177], -v[233:234]
	scratch_load_b128 v[38:41], off, off offset:384
	s_waitcnt vmcnt(9) lgkmcnt(1)
	v_mul_f64 v[229:230], v[2:3], v[44:45]
	v_mul_f64 v[44:45], v[4:5], v[44:45]
	s_waitcnt vmcnt(8) lgkmcnt(0)
	v_mul_f64 v[233:234], v[178:179], v[8:9]
	v_mul_f64 v[8:9], v[180:181], v[8:9]
	v_add_f64 v[169:170], v[169:170], v[237:238]
	v_add_f64 v[182:183], v[182:183], v[235:236]
	v_fma_f64 v[235:236], v[4:5], v[42:43], v[229:230]
	v_fma_f64 v[237:238], v[2:3], v[42:43], -v[44:45]
	ds_load_b128 v[2:5], v1 offset:1152
	scratch_load_b128 v[42:45], off, off offset:400
	v_fma_f64 v[180:181], v[180:181], v[6:7], v[233:234]
	v_fma_f64 v[178:179], v[178:179], v[6:7], -v[8:9]
	scratch_load_b128 v[6:9], off, off offset:416
	v_add_f64 v[169:170], v[169:170], v[176:177]
	v_add_f64 v[176:177], v[182:183], v[231:232]
	ds_load_b128 v[229:232], v1 offset:1168
	s_waitcnt vmcnt(9) lgkmcnt(1)
	v_mul_f64 v[182:183], v[2:3], v[12:13]
	v_mul_f64 v[12:13], v[4:5], v[12:13]
	s_waitcnt vmcnt(8) lgkmcnt(0)
	v_mul_f64 v[233:234], v[229:230], v[16:17]
	v_mul_f64 v[16:17], v[231:232], v[16:17]
	v_add_f64 v[169:170], v[169:170], v[237:238]
	v_add_f64 v[176:177], v[176:177], v[235:236]
	v_fma_f64 v[182:183], v[4:5], v[10:11], v[182:183]
	v_fma_f64 v[235:236], v[2:3], v[10:11], -v[12:13]
	ds_load_b128 v[2:5], v1 offset:1184
	scratch_load_b128 v[10:13], off, off offset:432
	v_fma_f64 v[231:232], v[231:232], v[14:15], v[233:234]
	v_fma_f64 v[229:230], v[229:230], v[14:15], -v[16:17]
	scratch_load_b128 v[14:17], off, off offset:448
	v_add_f64 v[169:170], v[169:170], v[178:179]
	v_add_f64 v[180:181], v[176:177], v[180:181]
	ds_load_b128 v[176:179], v1 offset:1200
	s_waitcnt vmcnt(9) lgkmcnt(1)
	v_mul_f64 v[237:238], v[2:3], v[20:21]
	v_mul_f64 v[20:21], v[4:5], v[20:21]
	s_waitcnt vmcnt(8) lgkmcnt(0)
	v_mul_f64 v[233:234], v[176:177], v[24:25]
	v_mul_f64 v[24:25], v[178:179], v[24:25]
	v_add_f64 v[169:170], v[169:170], v[235:236]
	v_add_f64 v[180:181], v[180:181], v[182:183]
	v_fma_f64 v[235:236], v[4:5], v[18:19], v[237:238]
	v_fma_f64 v[237:238], v[2:3], v[18:19], -v[20:21]
	ds_load_b128 v[2:5], v1 offset:1216
	scratch_load_b128 v[18:21], off, off offset:464
	v_fma_f64 v[178:179], v[178:179], v[22:23], v[233:234]
	v_fma_f64 v[176:177], v[176:177], v[22:23], -v[24:25]
	scratch_load_b128 v[22:25], off, off offset:480
	v_add_f64 v[169:170], v[169:170], v[229:230]
	v_add_f64 v[229:230], v[180:181], v[231:232]
	ds_load_b128 v[180:183], v1 offset:1232
	s_waitcnt vmcnt(9) lgkmcnt(1)
	v_mul_f64 v[231:232], v[2:3], v[28:29]
	v_mul_f64 v[28:29], v[4:5], v[28:29]
	s_waitcnt vmcnt(8) lgkmcnt(0)
	v_mul_f64 v[233:234], v[180:181], v[32:33]
	v_mul_f64 v[32:33], v[182:183], v[32:33]
	v_add_f64 v[169:170], v[169:170], v[237:238]
	v_add_f64 v[229:230], v[229:230], v[235:236]
	v_fma_f64 v[231:232], v[4:5], v[26:27], v[231:232]
	v_fma_f64 v[235:236], v[2:3], v[26:27], -v[28:29]
	ds_load_b128 v[2:5], v1 offset:1248
	scratch_load_b128 v[26:29], off, off offset:496
	v_fma_f64 v[182:183], v[182:183], v[30:31], v[233:234]
	v_fma_f64 v[180:181], v[180:181], v[30:31], -v[32:33]
	scratch_load_b128 v[30:33], off, off offset:512
	v_add_f64 v[169:170], v[169:170], v[176:177]
	v_add_f64 v[229:230], v[229:230], v[178:179]
	ds_load_b128 v[176:179], v1 offset:1264
	s_waitcnt vmcnt(9) lgkmcnt(1)
	v_mul_f64 v[237:238], v[2:3], v[36:37]
	v_mul_f64 v[36:37], v[4:5], v[36:37]
	v_add_f64 v[169:170], v[169:170], v[235:236]
	v_add_f64 v[229:230], v[229:230], v[231:232]
	s_waitcnt vmcnt(8) lgkmcnt(0)
	v_mul_f64 v[231:232], v[176:177], v[40:41]
	v_mul_f64 v[40:41], v[178:179], v[40:41]
	v_fma_f64 v[233:234], v[4:5], v[34:35], v[237:238]
	v_fma_f64 v[235:236], v[2:3], v[34:35], -v[36:37]
	ds_load_b128 v[2:5], v1 offset:1280
	scratch_load_b128 v[34:37], off, off offset:528
	v_add_f64 v[169:170], v[169:170], v[180:181]
	v_add_f64 v[229:230], v[229:230], v[182:183]
	ds_load_b128 v[180:183], v1 offset:1296
	s_waitcnt vmcnt(8) lgkmcnt(1)
	v_mul_f64 v[237:238], v[2:3], v[44:45]
	v_mul_f64 v[44:45], v[4:5], v[44:45]
	v_fma_f64 v[178:179], v[178:179], v[38:39], v[231:232]
	v_fma_f64 v[176:177], v[176:177], v[38:39], -v[40:41]
	scratch_load_b128 v[38:41], off, off offset:544
	s_waitcnt vmcnt(8) lgkmcnt(0)
	v_mul_f64 v[231:232], v[180:181], v[8:9]
	v_mul_f64 v[8:9], v[182:183], v[8:9]
	v_add_f64 v[169:170], v[169:170], v[235:236]
	v_add_f64 v[229:230], v[229:230], v[233:234]
	v_fma_f64 v[233:234], v[4:5], v[42:43], v[237:238]
	v_fma_f64 v[235:236], v[2:3], v[42:43], -v[44:45]
	ds_load_b128 v[2:5], v1 offset:1312
	scratch_load_b128 v[42:45], off, off offset:560
	v_fma_f64 v[182:183], v[182:183], v[6:7], v[231:232]
	v_fma_f64 v[180:181], v[180:181], v[6:7], -v[8:9]
	scratch_load_b128 v[6:9], off, off offset:576
	v_add_f64 v[169:170], v[169:170], v[176:177]
	v_add_f64 v[229:230], v[229:230], v[178:179]
	ds_load_b128 v[176:179], v1 offset:1328
	s_waitcnt vmcnt(9) lgkmcnt(1)
	v_mul_f64 v[237:238], v[2:3], v[12:13]
	v_mul_f64 v[12:13], v[4:5], v[12:13]
	s_waitcnt vmcnt(8) lgkmcnt(0)
	v_mul_f64 v[231:232], v[176:177], v[16:17]
	v_mul_f64 v[16:17], v[178:179], v[16:17]
	v_add_f64 v[169:170], v[169:170], v[235:236]
	v_add_f64 v[229:230], v[229:230], v[233:234]
	v_fma_f64 v[233:234], v[4:5], v[10:11], v[237:238]
	v_fma_f64 v[235:236], v[2:3], v[10:11], -v[12:13]
	ds_load_b128 v[2:5], v1 offset:1344
	scratch_load_b128 v[10:13], off, off offset:592
	v_fma_f64 v[178:179], v[178:179], v[14:15], v[231:232]
	v_fma_f64 v[176:177], v[176:177], v[14:15], -v[16:17]
	scratch_load_b128 v[14:17], off, off offset:608
	v_add_f64 v[169:170], v[169:170], v[180:181]
	v_add_f64 v[229:230], v[229:230], v[182:183]
	ds_load_b128 v[180:183], v1 offset:1360
	s_waitcnt vmcnt(9) lgkmcnt(1)
	v_mul_f64 v[237:238], v[2:3], v[20:21]
	v_mul_f64 v[20:21], v[4:5], v[20:21]
	;; [unrolled: 18-line block ×10, first 2 shown]
	s_waitcnt vmcnt(8) lgkmcnt(0)
	v_mul_f64 v[231:232], v[180:181], v[8:9]
	v_mul_f64 v[8:9], v[182:183], v[8:9]
	v_add_f64 v[169:170], v[169:170], v[235:236]
	v_add_f64 v[229:230], v[229:230], v[233:234]
	v_fma_f64 v[233:234], v[4:5], v[42:43], v[237:238]
	v_fma_f64 v[235:236], v[2:3], v[42:43], -v[44:45]
	ds_load_b128 v[2:5], v1 offset:1632
	ds_load_b128 v[42:45], v1 offset:1648
	v_fma_f64 v[182:183], v[182:183], v[6:7], v[231:232]
	v_fma_f64 v[6:7], v[180:181], v[6:7], -v[8:9]
	v_add_f64 v[169:170], v[169:170], v[176:177]
	v_add_f64 v[176:177], v[229:230], v[178:179]
	s_waitcnt vmcnt(7) lgkmcnt(1)
	v_mul_f64 v[178:179], v[2:3], v[12:13]
	v_mul_f64 v[12:13], v[4:5], v[12:13]
	s_delay_alu instid0(VALU_DEP_4) | instskip(NEXT) | instid1(VALU_DEP_4)
	v_add_f64 v[8:9], v[169:170], v[235:236]
	v_add_f64 v[169:170], v[176:177], v[233:234]
	s_waitcnt vmcnt(6) lgkmcnt(0)
	v_mul_f64 v[176:177], v[42:43], v[16:17]
	v_mul_f64 v[16:17], v[44:45], v[16:17]
	v_fma_f64 v[178:179], v[4:5], v[10:11], v[178:179]
	v_fma_f64 v[10:11], v[2:3], v[10:11], -v[12:13]
	v_add_f64 v[12:13], v[8:9], v[6:7]
	v_add_f64 v[169:170], v[169:170], v[182:183]
	ds_load_b128 v[2:5], v1 offset:1664
	ds_load_b128 v[6:9], v1 offset:1680
	v_fma_f64 v[44:45], v[44:45], v[14:15], v[176:177]
	v_fma_f64 v[14:15], v[42:43], v[14:15], -v[16:17]
	s_waitcnt vmcnt(5) lgkmcnt(1)
	v_mul_f64 v[180:181], v[2:3], v[20:21]
	v_mul_f64 v[20:21], v[4:5], v[20:21]
	s_waitcnt vmcnt(4) lgkmcnt(0)
	v_mul_f64 v[16:17], v[6:7], v[24:25]
	v_mul_f64 v[24:25], v[8:9], v[24:25]
	v_add_f64 v[10:11], v[12:13], v[10:11]
	v_add_f64 v[12:13], v[169:170], v[178:179]
	v_fma_f64 v[42:43], v[4:5], v[18:19], v[180:181]
	v_fma_f64 v[18:19], v[2:3], v[18:19], -v[20:21]
	v_fma_f64 v[8:9], v[8:9], v[22:23], v[16:17]
	v_fma_f64 v[6:7], v[6:7], v[22:23], -v[24:25]
	v_add_f64 v[14:15], v[10:11], v[14:15]
	v_add_f64 v[20:21], v[12:13], v[44:45]
	ds_load_b128 v[2:5], v1 offset:1696
	ds_load_b128 v[10:13], v1 offset:1712
	s_waitcnt vmcnt(3) lgkmcnt(1)
	v_mul_f64 v[44:45], v[2:3], v[28:29]
	v_mul_f64 v[28:29], v[4:5], v[28:29]
	v_add_f64 v[14:15], v[14:15], v[18:19]
	v_add_f64 v[16:17], v[20:21], v[42:43]
	s_waitcnt vmcnt(2) lgkmcnt(0)
	v_mul_f64 v[18:19], v[10:11], v[32:33]
	v_mul_f64 v[20:21], v[12:13], v[32:33]
	v_fma_f64 v[22:23], v[4:5], v[26:27], v[44:45]
	v_fma_f64 v[24:25], v[2:3], v[26:27], -v[28:29]
	v_add_f64 v[14:15], v[14:15], v[6:7]
	v_add_f64 v[16:17], v[16:17], v[8:9]
	ds_load_b128 v[2:5], v1 offset:1728
	ds_load_b128 v[6:9], v1 offset:1744
	v_fma_f64 v[12:13], v[12:13], v[30:31], v[18:19]
	v_fma_f64 v[10:11], v[10:11], v[30:31], -v[20:21]
	s_waitcnt vmcnt(1) lgkmcnt(1)
	v_mul_f64 v[26:27], v[2:3], v[36:37]
	v_mul_f64 v[28:29], v[4:5], v[36:37]
	s_waitcnt vmcnt(0) lgkmcnt(0)
	v_mul_f64 v[18:19], v[6:7], v[40:41]
	v_mul_f64 v[20:21], v[8:9], v[40:41]
	v_add_f64 v[14:15], v[14:15], v[24:25]
	v_add_f64 v[16:17], v[16:17], v[22:23]
	v_fma_f64 v[4:5], v[4:5], v[34:35], v[26:27]
	v_fma_f64 v[1:2], v[2:3], v[34:35], -v[28:29]
	v_fma_f64 v[8:9], v[8:9], v[38:39], v[18:19]
	v_fma_f64 v[6:7], v[6:7], v[38:39], -v[20:21]
	v_add_f64 v[10:11], v[14:15], v[10:11]
	v_add_f64 v[12:13], v[16:17], v[12:13]
	s_delay_alu instid0(VALU_DEP_2) | instskip(NEXT) | instid1(VALU_DEP_2)
	v_add_f64 v[1:2], v[10:11], v[1:2]
	v_add_f64 v[3:4], v[12:13], v[4:5]
	s_delay_alu instid0(VALU_DEP_2) | instskip(NEXT) | instid1(VALU_DEP_2)
	;; [unrolled: 3-line block ×3, first 2 shown]
	v_add_f64 v[1:2], v[172:173], -v[1:2]
	v_add_f64 v[3:4], v[174:175], -v[3:4]
	scratch_store_b128 off, v[1:4], off offset:64
	v_cmpx_lt_u32_e32 3, v156
	s_cbranch_execz .LBB118_337
; %bb.336:
	scratch_load_b128 v[1:4], v208, off
	v_mov_b32_e32 v5, 0
	s_delay_alu instid0(VALU_DEP_1)
	v_mov_b32_e32 v6, v5
	v_mov_b32_e32 v7, v5
	;; [unrolled: 1-line block ×3, first 2 shown]
	scratch_store_b128 off, v[5:8], off offset:48
	s_waitcnt vmcnt(0)
	ds_store_b128 v211, v[1:4]
.LBB118_337:
	s_or_b32 exec_lo, exec_lo, s2
	s_waitcnt lgkmcnt(0)
	s_waitcnt_vscnt null, 0x0
	s_barrier
	buffer_gl0_inv
	s_clause 0x7
	scratch_load_b128 v[2:5], off, off offset:64
	scratch_load_b128 v[6:9], off, off offset:80
	scratch_load_b128 v[10:13], off, off offset:96
	scratch_load_b128 v[14:17], off, off offset:112
	scratch_load_b128 v[18:21], off, off offset:128
	scratch_load_b128 v[22:25], off, off offset:144
	scratch_load_b128 v[26:29], off, off offset:160
	scratch_load_b128 v[30:33], off, off offset:176
	v_mov_b32_e32 v1, 0
	s_mov_b32 s2, exec_lo
	ds_load_b128 v[38:41], v1 offset:944
	s_clause 0x1
	scratch_load_b128 v[34:37], off, off offset:192
	scratch_load_b128 v[42:45], off, off offset:48
	ds_load_b128 v[172:175], v1 offset:960
	scratch_load_b128 v[176:179], off, off offset:208
	ds_load_b128 v[180:183], v1 offset:992
	s_waitcnt vmcnt(10) lgkmcnt(2)
	v_mul_f64 v[169:170], v[40:41], v[4:5]
	v_mul_f64 v[4:5], v[38:39], v[4:5]
	s_delay_alu instid0(VALU_DEP_2) | instskip(NEXT) | instid1(VALU_DEP_2)
	v_fma_f64 v[169:170], v[38:39], v[2:3], -v[169:170]
	v_fma_f64 v[231:232], v[40:41], v[2:3], v[4:5]
	ds_load_b128 v[2:5], v1 offset:976
	s_waitcnt vmcnt(9) lgkmcnt(2)
	v_mul_f64 v[229:230], v[172:173], v[8:9]
	v_mul_f64 v[8:9], v[174:175], v[8:9]
	scratch_load_b128 v[38:41], off, off offset:224
	s_waitcnt vmcnt(9) lgkmcnt(0)
	v_mul_f64 v[233:234], v[2:3], v[12:13]
	v_mul_f64 v[12:13], v[4:5], v[12:13]
	v_add_f64 v[169:170], v[169:170], 0
	v_fma_f64 v[174:175], v[174:175], v[6:7], v[229:230]
	v_fma_f64 v[172:173], v[172:173], v[6:7], -v[8:9]
	v_add_f64 v[229:230], v[231:232], 0
	scratch_load_b128 v[6:9], off, off offset:240
	v_fma_f64 v[233:234], v[4:5], v[10:11], v[233:234]
	v_fma_f64 v[235:236], v[2:3], v[10:11], -v[12:13]
	scratch_load_b128 v[10:13], off, off offset:256
	ds_load_b128 v[2:5], v1 offset:1008
	s_waitcnt vmcnt(10)
	v_mul_f64 v[231:232], v[180:181], v[16:17]
	v_mul_f64 v[16:17], v[182:183], v[16:17]
	v_add_f64 v[169:170], v[169:170], v[172:173]
	v_add_f64 v[229:230], v[229:230], v[174:175]
	ds_load_b128 v[172:175], v1 offset:1024
	s_waitcnt vmcnt(9) lgkmcnt(1)
	v_mul_f64 v[237:238], v[2:3], v[20:21]
	v_mul_f64 v[20:21], v[4:5], v[20:21]
	v_fma_f64 v[182:183], v[182:183], v[14:15], v[231:232]
	v_fma_f64 v[180:181], v[180:181], v[14:15], -v[16:17]
	scratch_load_b128 v[14:17], off, off offset:272
	v_add_f64 v[169:170], v[169:170], v[235:236]
	v_add_f64 v[229:230], v[229:230], v[233:234]
	v_fma_f64 v[233:234], v[4:5], v[18:19], v[237:238]
	v_fma_f64 v[235:236], v[2:3], v[18:19], -v[20:21]
	scratch_load_b128 v[18:21], off, off offset:288
	ds_load_b128 v[2:5], v1 offset:1040
	s_waitcnt vmcnt(10) lgkmcnt(1)
	v_mul_f64 v[231:232], v[172:173], v[24:25]
	v_mul_f64 v[24:25], v[174:175], v[24:25]
	s_waitcnt vmcnt(9) lgkmcnt(0)
	v_mul_f64 v[237:238], v[2:3], v[28:29]
	v_mul_f64 v[28:29], v[4:5], v[28:29]
	v_add_f64 v[169:170], v[169:170], v[180:181]
	v_add_f64 v[229:230], v[229:230], v[182:183]
	ds_load_b128 v[180:183], v1 offset:1056
	v_fma_f64 v[174:175], v[174:175], v[22:23], v[231:232]
	v_fma_f64 v[172:173], v[172:173], v[22:23], -v[24:25]
	scratch_load_b128 v[22:25], off, off offset:304
	v_add_f64 v[169:170], v[169:170], v[235:236]
	v_add_f64 v[229:230], v[229:230], v[233:234]
	v_fma_f64 v[233:234], v[4:5], v[26:27], v[237:238]
	v_fma_f64 v[235:236], v[2:3], v[26:27], -v[28:29]
	scratch_load_b128 v[26:29], off, off offset:320
	ds_load_b128 v[2:5], v1 offset:1072
	s_waitcnt vmcnt(10) lgkmcnt(1)
	v_mul_f64 v[231:232], v[180:181], v[32:33]
	v_mul_f64 v[32:33], v[182:183], v[32:33]
	s_waitcnt vmcnt(9) lgkmcnt(0)
	v_mul_f64 v[237:238], v[2:3], v[36:37]
	v_mul_f64 v[36:37], v[4:5], v[36:37]
	v_add_f64 v[169:170], v[169:170], v[172:173]
	v_add_f64 v[229:230], v[229:230], v[174:175]
	ds_load_b128 v[172:175], v1 offset:1088
	v_fma_f64 v[182:183], v[182:183], v[30:31], v[231:232]
	v_fma_f64 v[180:181], v[180:181], v[30:31], -v[32:33]
	scratch_load_b128 v[30:33], off, off offset:336
	v_add_f64 v[169:170], v[169:170], v[235:236]
	v_add_f64 v[229:230], v[229:230], v[233:234]
	v_fma_f64 v[235:236], v[4:5], v[34:35], v[237:238]
	v_fma_f64 v[237:238], v[2:3], v[34:35], -v[36:37]
	scratch_load_b128 v[34:37], off, off offset:352
	ds_load_b128 v[2:5], v1 offset:1104
	s_waitcnt vmcnt(9) lgkmcnt(1)
	v_mul_f64 v[231:232], v[172:173], v[178:179]
	v_mul_f64 v[233:234], v[174:175], v[178:179]
	v_add_f64 v[169:170], v[169:170], v[180:181]
	v_add_f64 v[182:183], v[229:230], v[182:183]
	ds_load_b128 v[178:181], v1 offset:1120
	v_fma_f64 v[231:232], v[174:175], v[176:177], v[231:232]
	v_fma_f64 v[176:177], v[172:173], v[176:177], -v[233:234]
	scratch_load_b128 v[172:175], off, off offset:368
	s_waitcnt vmcnt(9) lgkmcnt(1)
	v_mul_f64 v[229:230], v[2:3], v[40:41]
	v_mul_f64 v[40:41], v[4:5], v[40:41]
	v_add_f64 v[169:170], v[169:170], v[237:238]
	v_add_f64 v[182:183], v[182:183], v[235:236]
	s_delay_alu instid0(VALU_DEP_4) | instskip(NEXT) | instid1(VALU_DEP_4)
	v_fma_f64 v[235:236], v[4:5], v[38:39], v[229:230]
	v_fma_f64 v[237:238], v[2:3], v[38:39], -v[40:41]
	scratch_load_b128 v[38:41], off, off offset:384
	ds_load_b128 v[2:5], v1 offset:1136
	s_waitcnt vmcnt(9) lgkmcnt(1)
	v_mul_f64 v[233:234], v[178:179], v[8:9]
	v_mul_f64 v[8:9], v[180:181], v[8:9]
	v_add_f64 v[169:170], v[169:170], v[176:177]
	v_add_f64 v[176:177], v[182:183], v[231:232]
	s_waitcnt vmcnt(8) lgkmcnt(0)
	v_mul_f64 v[182:183], v[2:3], v[12:13]
	v_mul_f64 v[12:13], v[4:5], v[12:13]
	ds_load_b128 v[229:232], v1 offset:1152
	v_fma_f64 v[180:181], v[180:181], v[6:7], v[233:234]
	v_fma_f64 v[178:179], v[178:179], v[6:7], -v[8:9]
	scratch_load_b128 v[6:9], off, off offset:400
	v_add_f64 v[169:170], v[169:170], v[237:238]
	v_add_f64 v[176:177], v[176:177], v[235:236]
	v_fma_f64 v[182:183], v[4:5], v[10:11], v[182:183]
	v_fma_f64 v[235:236], v[2:3], v[10:11], -v[12:13]
	scratch_load_b128 v[10:13], off, off offset:416
	ds_load_b128 v[2:5], v1 offset:1168
	s_waitcnt vmcnt(9) lgkmcnt(1)
	v_mul_f64 v[233:234], v[229:230], v[16:17]
	v_mul_f64 v[16:17], v[231:232], v[16:17]
	s_waitcnt vmcnt(8) lgkmcnt(0)
	v_mul_f64 v[237:238], v[2:3], v[20:21]
	v_mul_f64 v[20:21], v[4:5], v[20:21]
	v_add_f64 v[169:170], v[169:170], v[178:179]
	v_add_f64 v[180:181], v[176:177], v[180:181]
	ds_load_b128 v[176:179], v1 offset:1184
	v_fma_f64 v[231:232], v[231:232], v[14:15], v[233:234]
	v_fma_f64 v[229:230], v[229:230], v[14:15], -v[16:17]
	scratch_load_b128 v[14:17], off, off offset:432
	v_add_f64 v[169:170], v[169:170], v[235:236]
	v_add_f64 v[180:181], v[180:181], v[182:183]
	v_fma_f64 v[235:236], v[4:5], v[18:19], v[237:238]
	v_fma_f64 v[237:238], v[2:3], v[18:19], -v[20:21]
	scratch_load_b128 v[18:21], off, off offset:448
	ds_load_b128 v[2:5], v1 offset:1200
	s_waitcnt vmcnt(9) lgkmcnt(1)
	v_mul_f64 v[233:234], v[176:177], v[24:25]
	v_mul_f64 v[24:25], v[178:179], v[24:25]
	v_add_f64 v[169:170], v[169:170], v[229:230]
	v_add_f64 v[229:230], v[180:181], v[231:232]
	s_waitcnt vmcnt(8) lgkmcnt(0)
	v_mul_f64 v[231:232], v[2:3], v[28:29]
	v_mul_f64 v[28:29], v[4:5], v[28:29]
	ds_load_b128 v[180:183], v1 offset:1216
	v_fma_f64 v[178:179], v[178:179], v[22:23], v[233:234]
	v_fma_f64 v[176:177], v[176:177], v[22:23], -v[24:25]
	scratch_load_b128 v[22:25], off, off offset:464
	v_add_f64 v[169:170], v[169:170], v[237:238]
	v_add_f64 v[229:230], v[229:230], v[235:236]
	v_fma_f64 v[231:232], v[4:5], v[26:27], v[231:232]
	v_fma_f64 v[235:236], v[2:3], v[26:27], -v[28:29]
	scratch_load_b128 v[26:29], off, off offset:480
	ds_load_b128 v[2:5], v1 offset:1232
	s_waitcnt vmcnt(9) lgkmcnt(1)
	v_mul_f64 v[233:234], v[180:181], v[32:33]
	v_mul_f64 v[32:33], v[182:183], v[32:33]
	s_waitcnt vmcnt(8) lgkmcnt(0)
	v_mul_f64 v[237:238], v[2:3], v[36:37]
	v_mul_f64 v[36:37], v[4:5], v[36:37]
	v_add_f64 v[169:170], v[169:170], v[176:177]
	v_add_f64 v[229:230], v[229:230], v[178:179]
	ds_load_b128 v[176:179], v1 offset:1248
	v_fma_f64 v[182:183], v[182:183], v[30:31], v[233:234]
	v_fma_f64 v[180:181], v[180:181], v[30:31], -v[32:33]
	scratch_load_b128 v[30:33], off, off offset:496
	v_fma_f64 v[233:234], v[4:5], v[34:35], v[237:238]
	v_add_f64 v[169:170], v[169:170], v[235:236]
	v_add_f64 v[229:230], v[229:230], v[231:232]
	v_fma_f64 v[235:236], v[2:3], v[34:35], -v[36:37]
	scratch_load_b128 v[34:37], off, off offset:512
	ds_load_b128 v[2:5], v1 offset:1264
	s_waitcnt vmcnt(9) lgkmcnt(1)
	v_mul_f64 v[231:232], v[176:177], v[174:175]
	v_mul_f64 v[174:175], v[178:179], v[174:175]
	s_waitcnt vmcnt(8) lgkmcnt(0)
	v_mul_f64 v[237:238], v[2:3], v[40:41]
	v_mul_f64 v[40:41], v[4:5], v[40:41]
	v_add_f64 v[169:170], v[169:170], v[180:181]
	v_add_f64 v[229:230], v[229:230], v[182:183]
	ds_load_b128 v[180:183], v1 offset:1280
	v_fma_f64 v[178:179], v[178:179], v[172:173], v[231:232]
	v_fma_f64 v[176:177], v[176:177], v[172:173], -v[174:175]
	scratch_load_b128 v[172:175], off, off offset:528
	v_add_f64 v[169:170], v[169:170], v[235:236]
	v_add_f64 v[229:230], v[229:230], v[233:234]
	v_fma_f64 v[233:234], v[4:5], v[38:39], v[237:238]
	v_fma_f64 v[235:236], v[2:3], v[38:39], -v[40:41]
	scratch_load_b128 v[38:41], off, off offset:544
	ds_load_b128 v[2:5], v1 offset:1296
	s_waitcnt vmcnt(9) lgkmcnt(1)
	v_mul_f64 v[231:232], v[180:181], v[8:9]
	v_mul_f64 v[8:9], v[182:183], v[8:9]
	s_waitcnt vmcnt(8) lgkmcnt(0)
	v_mul_f64 v[237:238], v[2:3], v[12:13]
	v_mul_f64 v[12:13], v[4:5], v[12:13]
	v_add_f64 v[169:170], v[169:170], v[176:177]
	v_add_f64 v[229:230], v[229:230], v[178:179]
	ds_load_b128 v[176:179], v1 offset:1312
	v_fma_f64 v[182:183], v[182:183], v[6:7], v[231:232]
	v_fma_f64 v[180:181], v[180:181], v[6:7], -v[8:9]
	scratch_load_b128 v[6:9], off, off offset:560
	v_add_f64 v[169:170], v[169:170], v[235:236]
	v_add_f64 v[229:230], v[229:230], v[233:234]
	v_fma_f64 v[233:234], v[4:5], v[10:11], v[237:238]
	;; [unrolled: 18-line block ×5, first 2 shown]
	v_fma_f64 v[237:238], v[2:3], v[34:35], -v[36:37]
	scratch_load_b128 v[34:37], off, off offset:672
	ds_load_b128 v[2:5], v1 offset:1424
	s_waitcnt vmcnt(9) lgkmcnt(1)
	v_mul_f64 v[231:232], v[180:181], v[174:175]
	v_mul_f64 v[233:234], v[182:183], v[174:175]
	v_add_f64 v[169:170], v[169:170], v[176:177]
	v_add_f64 v[178:179], v[229:230], v[178:179]
	s_waitcnt vmcnt(8) lgkmcnt(0)
	v_mul_f64 v[229:230], v[2:3], v[40:41]
	v_mul_f64 v[40:41], v[4:5], v[40:41]
	ds_load_b128 v[174:177], v1 offset:1440
	v_fma_f64 v[182:183], v[182:183], v[172:173], v[231:232]
	v_fma_f64 v[172:173], v[180:181], v[172:173], -v[233:234]
	v_add_f64 v[169:170], v[169:170], v[237:238]
	v_add_f64 v[231:232], v[178:179], v[235:236]
	scratch_load_b128 v[178:181], off, off offset:688
	v_fma_f64 v[235:236], v[4:5], v[38:39], v[229:230]
	v_fma_f64 v[237:238], v[2:3], v[38:39], -v[40:41]
	scratch_load_b128 v[38:41], off, off offset:704
	ds_load_b128 v[2:5], v1 offset:1456
	s_waitcnt vmcnt(9) lgkmcnt(1)
	v_mul_f64 v[233:234], v[174:175], v[8:9]
	v_mul_f64 v[8:9], v[176:177], v[8:9]
	v_add_f64 v[169:170], v[169:170], v[172:173]
	v_add_f64 v[172:173], v[231:232], v[182:183]
	s_waitcnt vmcnt(8) lgkmcnt(0)
	v_mul_f64 v[182:183], v[2:3], v[12:13]
	v_mul_f64 v[12:13], v[4:5], v[12:13]
	ds_load_b128 v[229:232], v1 offset:1472
	v_fma_f64 v[176:177], v[176:177], v[6:7], v[233:234]
	v_fma_f64 v[174:175], v[174:175], v[6:7], -v[8:9]
	scratch_load_b128 v[6:9], off, off offset:720
	v_add_f64 v[169:170], v[169:170], v[237:238]
	v_add_f64 v[172:173], v[172:173], v[235:236]
	v_fma_f64 v[182:183], v[4:5], v[10:11], v[182:183]
	v_fma_f64 v[235:236], v[2:3], v[10:11], -v[12:13]
	scratch_load_b128 v[10:13], off, off offset:736
	ds_load_b128 v[2:5], v1 offset:1488
	s_waitcnt vmcnt(9) lgkmcnt(1)
	v_mul_f64 v[233:234], v[229:230], v[16:17]
	v_mul_f64 v[16:17], v[231:232], v[16:17]
	s_waitcnt vmcnt(8) lgkmcnt(0)
	v_mul_f64 v[237:238], v[2:3], v[20:21]
	v_mul_f64 v[20:21], v[4:5], v[20:21]
	v_add_f64 v[169:170], v[169:170], v[174:175]
	v_add_f64 v[176:177], v[172:173], v[176:177]
	ds_load_b128 v[172:175], v1 offset:1504
	v_fma_f64 v[231:232], v[231:232], v[14:15], v[233:234]
	v_fma_f64 v[229:230], v[229:230], v[14:15], -v[16:17]
	scratch_load_b128 v[14:17], off, off offset:752
	v_fma_f64 v[233:234], v[4:5], v[18:19], v[237:238]
	v_add_f64 v[169:170], v[169:170], v[235:236]
	v_add_f64 v[176:177], v[176:177], v[182:183]
	v_fma_f64 v[235:236], v[2:3], v[18:19], -v[20:21]
	scratch_load_b128 v[18:21], off, off offset:768
	ds_load_b128 v[2:5], v1 offset:1520
	s_waitcnt vmcnt(9) lgkmcnt(1)
	v_mul_f64 v[182:183], v[172:173], v[24:25]
	v_mul_f64 v[24:25], v[174:175], v[24:25]
	s_waitcnt vmcnt(8) lgkmcnt(0)
	v_mul_f64 v[237:238], v[2:3], v[28:29]
	v_mul_f64 v[28:29], v[4:5], v[28:29]
	v_add_f64 v[169:170], v[169:170], v[229:230]
	v_add_f64 v[176:177], v[176:177], v[231:232]
	ds_load_b128 v[229:232], v1 offset:1536
	v_fma_f64 v[174:175], v[174:175], v[22:23], v[182:183]
	v_fma_f64 v[172:173], v[172:173], v[22:23], -v[24:25]
	scratch_load_b128 v[22:25], off, off offset:784
	v_add_f64 v[169:170], v[169:170], v[235:236]
	v_add_f64 v[176:177], v[176:177], v[233:234]
	v_fma_f64 v[233:234], v[4:5], v[26:27], v[237:238]
	v_fma_f64 v[235:236], v[2:3], v[26:27], -v[28:29]
	scratch_load_b128 v[26:29], off, off offset:800
	ds_load_b128 v[2:5], v1 offset:1552
	s_waitcnt vmcnt(9) lgkmcnt(1)
	v_mul_f64 v[182:183], v[229:230], v[32:33]
	v_mul_f64 v[32:33], v[231:232], v[32:33]
	s_waitcnt vmcnt(8) lgkmcnt(0)
	v_mul_f64 v[237:238], v[2:3], v[36:37]
	v_mul_f64 v[36:37], v[4:5], v[36:37]
	v_add_f64 v[169:170], v[169:170], v[172:173]
	v_add_f64 v[176:177], v[176:177], v[174:175]
	ds_load_b128 v[172:175], v1 offset:1568
	v_fma_f64 v[182:183], v[231:232], v[30:31], v[182:183]
	v_fma_f64 v[229:230], v[229:230], v[30:31], -v[32:33]
	scratch_load_b128 v[30:33], off, off offset:816
	v_add_f64 v[169:170], v[169:170], v[235:236]
	v_add_f64 v[176:177], v[176:177], v[233:234]
	v_fma_f64 v[235:236], v[4:5], v[34:35], v[237:238]
	v_fma_f64 v[237:238], v[2:3], v[34:35], -v[36:37]
	scratch_load_b128 v[34:37], off, off offset:832
	ds_load_b128 v[2:5], v1 offset:1584
	s_waitcnt vmcnt(9) lgkmcnt(1)
	v_mul_f64 v[231:232], v[172:173], v[180:181]
	v_mul_f64 v[233:234], v[174:175], v[180:181]
	v_add_f64 v[169:170], v[169:170], v[229:230]
	v_add_f64 v[176:177], v[176:177], v[182:183]
	s_waitcnt vmcnt(8) lgkmcnt(0)
	v_mul_f64 v[229:230], v[2:3], v[40:41]
	v_mul_f64 v[40:41], v[4:5], v[40:41]
	ds_load_b128 v[180:183], v1 offset:1600
	v_fma_f64 v[231:232], v[174:175], v[178:179], v[231:232]
	v_fma_f64 v[178:179], v[172:173], v[178:179], -v[233:234]
	scratch_load_b128 v[172:175], off, off offset:848
	v_add_f64 v[169:170], v[169:170], v[237:238]
	v_add_f64 v[176:177], v[176:177], v[235:236]
	v_fma_f64 v[229:230], v[4:5], v[38:39], v[229:230]
	v_fma_f64 v[235:236], v[2:3], v[38:39], -v[40:41]
	scratch_load_b128 v[38:41], off, off offset:864
	ds_load_b128 v[2:5], v1 offset:1616
	s_waitcnt vmcnt(9) lgkmcnt(1)
	v_mul_f64 v[233:234], v[180:181], v[8:9]
	v_mul_f64 v[8:9], v[182:183], v[8:9]
	s_waitcnt vmcnt(8) lgkmcnt(0)
	v_mul_f64 v[237:238], v[2:3], v[12:13]
	v_mul_f64 v[12:13], v[4:5], v[12:13]
	v_add_f64 v[169:170], v[169:170], v[178:179]
	v_add_f64 v[231:232], v[176:177], v[231:232]
	ds_load_b128 v[176:179], v1 offset:1632
	v_fma_f64 v[182:183], v[182:183], v[6:7], v[233:234]
	v_fma_f64 v[6:7], v[180:181], v[6:7], -v[8:9]
	s_waitcnt vmcnt(7) lgkmcnt(0)
	v_mul_f64 v[180:181], v[176:177], v[16:17]
	v_mul_f64 v[16:17], v[178:179], v[16:17]
	v_add_f64 v[8:9], v[169:170], v[235:236]
	v_add_f64 v[169:170], v[231:232], v[229:230]
	v_fma_f64 v[229:230], v[4:5], v[10:11], v[237:238]
	v_fma_f64 v[10:11], v[2:3], v[10:11], -v[12:13]
	v_fma_f64 v[178:179], v[178:179], v[14:15], v[180:181]
	v_fma_f64 v[14:15], v[176:177], v[14:15], -v[16:17]
	v_add_f64 v[12:13], v[8:9], v[6:7]
	v_add_f64 v[169:170], v[169:170], v[182:183]
	ds_load_b128 v[2:5], v1 offset:1648
	ds_load_b128 v[6:9], v1 offset:1664
	s_waitcnt vmcnt(6) lgkmcnt(1)
	v_mul_f64 v[182:183], v[2:3], v[20:21]
	v_mul_f64 v[20:21], v[4:5], v[20:21]
	s_waitcnt vmcnt(5) lgkmcnt(0)
	v_mul_f64 v[16:17], v[6:7], v[24:25]
	v_mul_f64 v[24:25], v[8:9], v[24:25]
	v_add_f64 v[10:11], v[12:13], v[10:11]
	v_add_f64 v[12:13], v[169:170], v[229:230]
	v_fma_f64 v[169:170], v[4:5], v[18:19], v[182:183]
	v_fma_f64 v[18:19], v[2:3], v[18:19], -v[20:21]
	v_fma_f64 v[8:9], v[8:9], v[22:23], v[16:17]
	v_fma_f64 v[6:7], v[6:7], v[22:23], -v[24:25]
	v_add_f64 v[14:15], v[10:11], v[14:15]
	v_add_f64 v[20:21], v[12:13], v[178:179]
	ds_load_b128 v[2:5], v1 offset:1680
	ds_load_b128 v[10:13], v1 offset:1696
	s_waitcnt vmcnt(4) lgkmcnt(1)
	v_mul_f64 v[176:177], v[2:3], v[28:29]
	v_mul_f64 v[28:29], v[4:5], v[28:29]
	v_add_f64 v[14:15], v[14:15], v[18:19]
	v_add_f64 v[16:17], v[20:21], v[169:170]
	s_waitcnt vmcnt(3) lgkmcnt(0)
	v_mul_f64 v[18:19], v[10:11], v[32:33]
	v_mul_f64 v[20:21], v[12:13], v[32:33]
	v_fma_f64 v[22:23], v[4:5], v[26:27], v[176:177]
	v_fma_f64 v[24:25], v[2:3], v[26:27], -v[28:29]
	v_add_f64 v[14:15], v[14:15], v[6:7]
	v_add_f64 v[16:17], v[16:17], v[8:9]
	ds_load_b128 v[2:5], v1 offset:1712
	ds_load_b128 v[6:9], v1 offset:1728
	v_fma_f64 v[12:13], v[12:13], v[30:31], v[18:19]
	v_fma_f64 v[10:11], v[10:11], v[30:31], -v[20:21]
	s_waitcnt vmcnt(2) lgkmcnt(1)
	v_mul_f64 v[26:27], v[2:3], v[36:37]
	v_mul_f64 v[28:29], v[4:5], v[36:37]
	s_waitcnt vmcnt(1) lgkmcnt(0)
	v_mul_f64 v[18:19], v[6:7], v[174:175]
	v_mul_f64 v[20:21], v[8:9], v[174:175]
	v_add_f64 v[14:15], v[14:15], v[24:25]
	v_add_f64 v[16:17], v[16:17], v[22:23]
	v_fma_f64 v[22:23], v[4:5], v[34:35], v[26:27]
	v_fma_f64 v[24:25], v[2:3], v[34:35], -v[28:29]
	ds_load_b128 v[2:5], v1 offset:1744
	v_fma_f64 v[8:9], v[8:9], v[172:173], v[18:19]
	v_fma_f64 v[6:7], v[6:7], v[172:173], -v[20:21]
	v_add_f64 v[10:11], v[14:15], v[10:11]
	v_add_f64 v[12:13], v[16:17], v[12:13]
	s_waitcnt vmcnt(0) lgkmcnt(0)
	v_mul_f64 v[14:15], v[2:3], v[40:41]
	v_mul_f64 v[16:17], v[4:5], v[40:41]
	s_delay_alu instid0(VALU_DEP_4) | instskip(NEXT) | instid1(VALU_DEP_4)
	v_add_f64 v[10:11], v[10:11], v[24:25]
	v_add_f64 v[12:13], v[12:13], v[22:23]
	s_delay_alu instid0(VALU_DEP_4) | instskip(NEXT) | instid1(VALU_DEP_4)
	v_fma_f64 v[4:5], v[4:5], v[38:39], v[14:15]
	v_fma_f64 v[2:3], v[2:3], v[38:39], -v[16:17]
	s_delay_alu instid0(VALU_DEP_4) | instskip(NEXT) | instid1(VALU_DEP_4)
	v_add_f64 v[6:7], v[10:11], v[6:7]
	v_add_f64 v[8:9], v[12:13], v[8:9]
	s_delay_alu instid0(VALU_DEP_2) | instskip(NEXT) | instid1(VALU_DEP_2)
	v_add_f64 v[2:3], v[6:7], v[2:3]
	v_add_f64 v[4:5], v[8:9], v[4:5]
	s_delay_alu instid0(VALU_DEP_2) | instskip(NEXT) | instid1(VALU_DEP_2)
	v_add_f64 v[2:3], v[42:43], -v[2:3]
	v_add_f64 v[4:5], v[44:45], -v[4:5]
	scratch_store_b128 off, v[2:5], off offset:48
	v_cmpx_lt_u32_e32 2, v156
	s_cbranch_execz .LBB118_339
; %bb.338:
	scratch_load_b128 v[5:8], v209, off
	v_mov_b32_e32 v2, v1
	v_mov_b32_e32 v3, v1
	;; [unrolled: 1-line block ×3, first 2 shown]
	scratch_store_b128 off, v[1:4], off offset:32
	s_waitcnt vmcnt(0)
	ds_store_b128 v211, v[5:8]
.LBB118_339:
	s_or_b32 exec_lo, exec_lo, s2
	s_waitcnt lgkmcnt(0)
	s_waitcnt_vscnt null, 0x0
	s_barrier
	buffer_gl0_inv
	s_clause 0x8
	scratch_load_b128 v[2:5], off, off offset:48
	scratch_load_b128 v[6:9], off, off offset:64
	scratch_load_b128 v[10:13], off, off offset:80
	scratch_load_b128 v[14:17], off, off offset:96
	scratch_load_b128 v[18:21], off, off offset:112
	scratch_load_b128 v[22:25], off, off offset:128
	scratch_load_b128 v[26:29], off, off offset:144
	scratch_load_b128 v[30:33], off, off offset:160
	scratch_load_b128 v[34:37], off, off offset:176
	ds_load_b128 v[42:45], v1 offset:928
	ds_load_b128 v[38:41], v1 offset:944
	s_clause 0x1
	scratch_load_b128 v[172:175], off, off offset:32
	scratch_load_b128 v[176:179], off, off offset:192
	s_mov_b32 s2, exec_lo
	ds_load_b128 v[180:183], v1 offset:976
	s_waitcnt vmcnt(10) lgkmcnt(2)
	v_mul_f64 v[169:170], v[44:45], v[4:5]
	v_mul_f64 v[4:5], v[42:43], v[4:5]
	s_waitcnt vmcnt(9) lgkmcnt(1)
	v_mul_f64 v[229:230], v[38:39], v[8:9]
	v_mul_f64 v[8:9], v[40:41], v[8:9]
	s_delay_alu instid0(VALU_DEP_4) | instskip(NEXT) | instid1(VALU_DEP_4)
	v_fma_f64 v[169:170], v[42:43], v[2:3], -v[169:170]
	v_fma_f64 v[231:232], v[44:45], v[2:3], v[4:5]
	ds_load_b128 v[2:5], v1 offset:960
	scratch_load_b128 v[42:45], off, off offset:208
	v_fma_f64 v[40:41], v[40:41], v[6:7], v[229:230]
	v_fma_f64 v[38:39], v[38:39], v[6:7], -v[8:9]
	scratch_load_b128 v[6:9], off, off offset:224
	s_waitcnt vmcnt(10) lgkmcnt(0)
	v_mul_f64 v[233:234], v[2:3], v[12:13]
	v_mul_f64 v[12:13], v[4:5], v[12:13]
	v_add_f64 v[169:170], v[169:170], 0
	v_add_f64 v[229:230], v[231:232], 0
	s_waitcnt vmcnt(9)
	v_mul_f64 v[231:232], v[180:181], v[16:17]
	v_mul_f64 v[16:17], v[182:183], v[16:17]
	v_fma_f64 v[233:234], v[4:5], v[10:11], v[233:234]
	v_fma_f64 v[235:236], v[2:3], v[10:11], -v[12:13]
	ds_load_b128 v[2:5], v1 offset:992
	scratch_load_b128 v[10:13], off, off offset:240
	v_add_f64 v[169:170], v[169:170], v[38:39]
	v_add_f64 v[229:230], v[229:230], v[40:41]
	ds_load_b128 v[38:41], v1 offset:1008
	v_fma_f64 v[182:183], v[182:183], v[14:15], v[231:232]
	v_fma_f64 v[180:181], v[180:181], v[14:15], -v[16:17]
	scratch_load_b128 v[14:17], off, off offset:256
	s_waitcnt vmcnt(10) lgkmcnt(1)
	v_mul_f64 v[237:238], v[2:3], v[20:21]
	v_mul_f64 v[20:21], v[4:5], v[20:21]
	s_waitcnt vmcnt(9) lgkmcnt(0)
	v_mul_f64 v[231:232], v[38:39], v[24:25]
	v_mul_f64 v[24:25], v[40:41], v[24:25]
	v_add_f64 v[169:170], v[169:170], v[235:236]
	v_add_f64 v[229:230], v[229:230], v[233:234]
	v_fma_f64 v[233:234], v[4:5], v[18:19], v[237:238]
	v_fma_f64 v[235:236], v[2:3], v[18:19], -v[20:21]
	ds_load_b128 v[2:5], v1 offset:1024
	scratch_load_b128 v[18:21], off, off offset:272
	v_fma_f64 v[40:41], v[40:41], v[22:23], v[231:232]
	v_fma_f64 v[38:39], v[38:39], v[22:23], -v[24:25]
	scratch_load_b128 v[22:25], off, off offset:288
	v_add_f64 v[169:170], v[169:170], v[180:181]
	v_add_f64 v[229:230], v[229:230], v[182:183]
	ds_load_b128 v[180:183], v1 offset:1040
	s_waitcnt vmcnt(10) lgkmcnt(1)
	v_mul_f64 v[237:238], v[2:3], v[28:29]
	v_mul_f64 v[28:29], v[4:5], v[28:29]
	s_waitcnt vmcnt(9) lgkmcnt(0)
	v_mul_f64 v[231:232], v[180:181], v[32:33]
	v_mul_f64 v[32:33], v[182:183], v[32:33]
	v_add_f64 v[169:170], v[169:170], v[235:236]
	v_add_f64 v[229:230], v[229:230], v[233:234]
	v_fma_f64 v[233:234], v[4:5], v[26:27], v[237:238]
	v_fma_f64 v[235:236], v[2:3], v[26:27], -v[28:29]
	ds_load_b128 v[2:5], v1 offset:1056
	scratch_load_b128 v[26:29], off, off offset:304
	v_fma_f64 v[182:183], v[182:183], v[30:31], v[231:232]
	v_fma_f64 v[180:181], v[180:181], v[30:31], -v[32:33]
	scratch_load_b128 v[30:33], off, off offset:320
	v_add_f64 v[169:170], v[169:170], v[38:39]
	v_add_f64 v[229:230], v[229:230], v[40:41]
	ds_load_b128 v[38:41], v1 offset:1072
	s_waitcnt vmcnt(10) lgkmcnt(1)
	v_mul_f64 v[237:238], v[2:3], v[36:37]
	v_mul_f64 v[36:37], v[4:5], v[36:37]
	s_waitcnt vmcnt(8) lgkmcnt(0)
	v_mul_f64 v[231:232], v[38:39], v[178:179]
	v_add_f64 v[169:170], v[169:170], v[235:236]
	v_add_f64 v[229:230], v[229:230], v[233:234]
	v_mul_f64 v[233:234], v[40:41], v[178:179]
	v_fma_f64 v[235:236], v[4:5], v[34:35], v[237:238]
	v_fma_f64 v[237:238], v[2:3], v[34:35], -v[36:37]
	ds_load_b128 v[2:5], v1 offset:1088
	scratch_load_b128 v[34:37], off, off offset:336
	v_fma_f64 v[231:232], v[40:41], v[176:177], v[231:232]
	v_add_f64 v[169:170], v[169:170], v[180:181]
	v_add_f64 v[182:183], v[229:230], v[182:183]
	ds_load_b128 v[178:181], v1 offset:1104
	v_fma_f64 v[176:177], v[38:39], v[176:177], -v[233:234]
	scratch_load_b128 v[38:41], off, off offset:352
	s_waitcnt vmcnt(9) lgkmcnt(1)
	v_mul_f64 v[229:230], v[2:3], v[44:45]
	v_mul_f64 v[44:45], v[4:5], v[44:45]
	s_waitcnt vmcnt(8) lgkmcnt(0)
	v_mul_f64 v[233:234], v[178:179], v[8:9]
	v_mul_f64 v[8:9], v[180:181], v[8:9]
	v_add_f64 v[169:170], v[169:170], v[237:238]
	v_add_f64 v[182:183], v[182:183], v[235:236]
	v_fma_f64 v[235:236], v[4:5], v[42:43], v[229:230]
	v_fma_f64 v[237:238], v[2:3], v[42:43], -v[44:45]
	ds_load_b128 v[2:5], v1 offset:1120
	scratch_load_b128 v[42:45], off, off offset:368
	v_fma_f64 v[180:181], v[180:181], v[6:7], v[233:234]
	v_fma_f64 v[178:179], v[178:179], v[6:7], -v[8:9]
	scratch_load_b128 v[6:9], off, off offset:384
	v_add_f64 v[169:170], v[169:170], v[176:177]
	v_add_f64 v[176:177], v[182:183], v[231:232]
	ds_load_b128 v[229:232], v1 offset:1136
	s_waitcnt vmcnt(9) lgkmcnt(1)
	v_mul_f64 v[182:183], v[2:3], v[12:13]
	v_mul_f64 v[12:13], v[4:5], v[12:13]
	s_waitcnt vmcnt(8) lgkmcnt(0)
	v_mul_f64 v[233:234], v[229:230], v[16:17]
	v_mul_f64 v[16:17], v[231:232], v[16:17]
	v_add_f64 v[169:170], v[169:170], v[237:238]
	v_add_f64 v[176:177], v[176:177], v[235:236]
	v_fma_f64 v[182:183], v[4:5], v[10:11], v[182:183]
	v_fma_f64 v[235:236], v[2:3], v[10:11], -v[12:13]
	ds_load_b128 v[2:5], v1 offset:1152
	scratch_load_b128 v[10:13], off, off offset:400
	v_fma_f64 v[231:232], v[231:232], v[14:15], v[233:234]
	v_fma_f64 v[229:230], v[229:230], v[14:15], -v[16:17]
	scratch_load_b128 v[14:17], off, off offset:416
	v_add_f64 v[169:170], v[169:170], v[178:179]
	v_add_f64 v[180:181], v[176:177], v[180:181]
	ds_load_b128 v[176:179], v1 offset:1168
	;; [unrolled: 18-line block ×4, first 2 shown]
	s_waitcnt vmcnt(9) lgkmcnt(1)
	v_mul_f64 v[237:238], v[2:3], v[36:37]
	v_mul_f64 v[36:37], v[4:5], v[36:37]
	v_add_f64 v[169:170], v[169:170], v[235:236]
	v_add_f64 v[229:230], v[229:230], v[231:232]
	s_waitcnt vmcnt(8) lgkmcnt(0)
	v_mul_f64 v[231:232], v[176:177], v[40:41]
	v_mul_f64 v[40:41], v[178:179], v[40:41]
	v_fma_f64 v[233:234], v[4:5], v[34:35], v[237:238]
	v_fma_f64 v[235:236], v[2:3], v[34:35], -v[36:37]
	ds_load_b128 v[2:5], v1 offset:1248
	scratch_load_b128 v[34:37], off, off offset:496
	v_add_f64 v[169:170], v[169:170], v[180:181]
	v_add_f64 v[229:230], v[229:230], v[182:183]
	ds_load_b128 v[180:183], v1 offset:1264
	s_waitcnt vmcnt(8) lgkmcnt(1)
	v_mul_f64 v[237:238], v[2:3], v[44:45]
	v_mul_f64 v[44:45], v[4:5], v[44:45]
	v_fma_f64 v[178:179], v[178:179], v[38:39], v[231:232]
	v_fma_f64 v[176:177], v[176:177], v[38:39], -v[40:41]
	scratch_load_b128 v[38:41], off, off offset:512
	s_waitcnt vmcnt(8) lgkmcnt(0)
	v_mul_f64 v[231:232], v[180:181], v[8:9]
	v_mul_f64 v[8:9], v[182:183], v[8:9]
	v_add_f64 v[169:170], v[169:170], v[235:236]
	v_add_f64 v[229:230], v[229:230], v[233:234]
	v_fma_f64 v[233:234], v[4:5], v[42:43], v[237:238]
	v_fma_f64 v[235:236], v[2:3], v[42:43], -v[44:45]
	ds_load_b128 v[2:5], v1 offset:1280
	scratch_load_b128 v[42:45], off, off offset:528
	v_fma_f64 v[182:183], v[182:183], v[6:7], v[231:232]
	v_fma_f64 v[180:181], v[180:181], v[6:7], -v[8:9]
	scratch_load_b128 v[6:9], off, off offset:544
	v_add_f64 v[169:170], v[169:170], v[176:177]
	v_add_f64 v[229:230], v[229:230], v[178:179]
	ds_load_b128 v[176:179], v1 offset:1296
	s_waitcnt vmcnt(9) lgkmcnt(1)
	v_mul_f64 v[237:238], v[2:3], v[12:13]
	v_mul_f64 v[12:13], v[4:5], v[12:13]
	s_waitcnt vmcnt(8) lgkmcnt(0)
	v_mul_f64 v[231:232], v[176:177], v[16:17]
	v_mul_f64 v[16:17], v[178:179], v[16:17]
	v_add_f64 v[169:170], v[169:170], v[235:236]
	v_add_f64 v[229:230], v[229:230], v[233:234]
	v_fma_f64 v[233:234], v[4:5], v[10:11], v[237:238]
	v_fma_f64 v[235:236], v[2:3], v[10:11], -v[12:13]
	ds_load_b128 v[2:5], v1 offset:1312
	scratch_load_b128 v[10:13], off, off offset:560
	v_fma_f64 v[178:179], v[178:179], v[14:15], v[231:232]
	v_fma_f64 v[176:177], v[176:177], v[14:15], -v[16:17]
	scratch_load_b128 v[14:17], off, off offset:576
	v_add_f64 v[169:170], v[169:170], v[180:181]
	v_add_f64 v[229:230], v[229:230], v[182:183]
	ds_load_b128 v[180:183], v1 offset:1328
	s_waitcnt vmcnt(9) lgkmcnt(1)
	v_mul_f64 v[237:238], v[2:3], v[20:21]
	v_mul_f64 v[20:21], v[4:5], v[20:21]
	;; [unrolled: 18-line block ×11, first 2 shown]
	s_waitcnt vmcnt(8) lgkmcnt(0)
	v_mul_f64 v[231:232], v[176:177], v[16:17]
	v_mul_f64 v[16:17], v[178:179], v[16:17]
	v_add_f64 v[169:170], v[169:170], v[235:236]
	v_add_f64 v[229:230], v[229:230], v[233:234]
	v_fma_f64 v[233:234], v[4:5], v[10:11], v[237:238]
	v_fma_f64 v[235:236], v[2:3], v[10:11], -v[12:13]
	ds_load_b128 v[2:5], v1 offset:1632
	ds_load_b128 v[10:13], v1 offset:1648
	v_fma_f64 v[178:179], v[178:179], v[14:15], v[231:232]
	v_fma_f64 v[14:15], v[176:177], v[14:15], -v[16:17]
	v_add_f64 v[169:170], v[169:170], v[180:181]
	v_add_f64 v[180:181], v[229:230], v[182:183]
	s_waitcnt vmcnt(7) lgkmcnt(1)
	v_mul_f64 v[182:183], v[2:3], v[20:21]
	v_mul_f64 v[20:21], v[4:5], v[20:21]
	s_waitcnt vmcnt(6) lgkmcnt(0)
	v_mul_f64 v[176:177], v[10:11], v[24:25]
	v_mul_f64 v[24:25], v[12:13], v[24:25]
	v_add_f64 v[16:17], v[169:170], v[235:236]
	v_add_f64 v[169:170], v[180:181], v[233:234]
	v_fma_f64 v[180:181], v[4:5], v[18:19], v[182:183]
	v_fma_f64 v[18:19], v[2:3], v[18:19], -v[20:21]
	v_fma_f64 v[12:13], v[12:13], v[22:23], v[176:177]
	v_fma_f64 v[10:11], v[10:11], v[22:23], -v[24:25]
	v_add_f64 v[20:21], v[16:17], v[14:15]
	v_add_f64 v[169:170], v[169:170], v[178:179]
	ds_load_b128 v[2:5], v1 offset:1664
	ds_load_b128 v[14:17], v1 offset:1680
	s_waitcnt vmcnt(5) lgkmcnt(1)
	v_mul_f64 v[178:179], v[2:3], v[28:29]
	v_mul_f64 v[28:29], v[4:5], v[28:29]
	s_waitcnt vmcnt(4) lgkmcnt(0)
	v_mul_f64 v[22:23], v[14:15], v[32:33]
	v_mul_f64 v[24:25], v[16:17], v[32:33]
	v_add_f64 v[18:19], v[20:21], v[18:19]
	v_add_f64 v[20:21], v[169:170], v[180:181]
	v_fma_f64 v[32:33], v[4:5], v[26:27], v[178:179]
	v_fma_f64 v[26:27], v[2:3], v[26:27], -v[28:29]
	v_fma_f64 v[16:17], v[16:17], v[30:31], v[22:23]
	v_fma_f64 v[14:15], v[14:15], v[30:31], -v[24:25]
	v_add_f64 v[18:19], v[18:19], v[10:11]
	v_add_f64 v[20:21], v[20:21], v[12:13]
	ds_load_b128 v[2:5], v1 offset:1696
	ds_load_b128 v[10:13], v1 offset:1712
	s_waitcnt vmcnt(3) lgkmcnt(1)
	v_mul_f64 v[28:29], v[2:3], v[36:37]
	v_mul_f64 v[36:37], v[4:5], v[36:37]
	s_waitcnt vmcnt(2) lgkmcnt(0)
	v_mul_f64 v[22:23], v[10:11], v[40:41]
	v_mul_f64 v[24:25], v[12:13], v[40:41]
	v_add_f64 v[18:19], v[18:19], v[26:27]
	v_add_f64 v[20:21], v[20:21], v[32:33]
	v_fma_f64 v[26:27], v[4:5], v[34:35], v[28:29]
	v_fma_f64 v[28:29], v[2:3], v[34:35], -v[36:37]
	v_fma_f64 v[12:13], v[12:13], v[38:39], v[22:23]
	v_fma_f64 v[10:11], v[10:11], v[38:39], -v[24:25]
	v_add_f64 v[18:19], v[18:19], v[14:15]
	v_add_f64 v[20:21], v[20:21], v[16:17]
	ds_load_b128 v[2:5], v1 offset:1728
	ds_load_b128 v[14:17], v1 offset:1744
	s_waitcnt vmcnt(1) lgkmcnt(1)
	v_mul_f64 v[30:31], v[2:3], v[44:45]
	v_mul_f64 v[32:33], v[4:5], v[44:45]
	s_waitcnt vmcnt(0) lgkmcnt(0)
	v_mul_f64 v[22:23], v[14:15], v[8:9]
	v_mul_f64 v[8:9], v[16:17], v[8:9]
	v_add_f64 v[18:19], v[18:19], v[28:29]
	v_add_f64 v[20:21], v[20:21], v[26:27]
	v_fma_f64 v[4:5], v[4:5], v[42:43], v[30:31]
	v_fma_f64 v[1:2], v[2:3], v[42:43], -v[32:33]
	v_fma_f64 v[16:17], v[16:17], v[6:7], v[22:23]
	v_fma_f64 v[6:7], v[14:15], v[6:7], -v[8:9]
	v_add_f64 v[10:11], v[18:19], v[10:11]
	v_add_f64 v[12:13], v[20:21], v[12:13]
	s_delay_alu instid0(VALU_DEP_2) | instskip(NEXT) | instid1(VALU_DEP_2)
	v_add_f64 v[1:2], v[10:11], v[1:2]
	v_add_f64 v[3:4], v[12:13], v[4:5]
	s_delay_alu instid0(VALU_DEP_2) | instskip(NEXT) | instid1(VALU_DEP_2)
	;; [unrolled: 3-line block ×3, first 2 shown]
	v_add_f64 v[1:2], v[172:173], -v[1:2]
	v_add_f64 v[3:4], v[174:175], -v[3:4]
	scratch_store_b128 off, v[1:4], off offset:32
	v_cmpx_lt_u32_e32 1, v156
	s_cbranch_execz .LBB118_341
; %bb.340:
	scratch_load_b128 v[1:4], v210, off
	v_mov_b32_e32 v5, 0
	s_delay_alu instid0(VALU_DEP_1)
	v_mov_b32_e32 v6, v5
	v_mov_b32_e32 v7, v5
	;; [unrolled: 1-line block ×3, first 2 shown]
	scratch_store_b128 off, v[5:8], off offset:16
	s_waitcnt vmcnt(0)
	ds_store_b128 v211, v[1:4]
.LBB118_341:
	s_or_b32 exec_lo, exec_lo, s2
	s_waitcnt lgkmcnt(0)
	s_waitcnt_vscnt null, 0x0
	s_barrier
	buffer_gl0_inv
	s_clause 0x7
	scratch_load_b128 v[2:5], off, off offset:32
	scratch_load_b128 v[6:9], off, off offset:48
	;; [unrolled: 1-line block ×8, first 2 shown]
	v_mov_b32_e32 v1, 0
	s_mov_b32 s2, exec_lo
	ds_load_b128 v[38:41], v1 offset:912
	s_clause 0x1
	scratch_load_b128 v[34:37], off, off offset:160
	scratch_load_b128 v[42:45], off, off offset:16
	ds_load_b128 v[172:175], v1 offset:928
	scratch_load_b128 v[176:179], off, off offset:176
	ds_load_b128 v[180:183], v1 offset:960
	s_waitcnt vmcnt(10) lgkmcnt(2)
	v_mul_f64 v[169:170], v[40:41], v[4:5]
	v_mul_f64 v[4:5], v[38:39], v[4:5]
	s_delay_alu instid0(VALU_DEP_2) | instskip(NEXT) | instid1(VALU_DEP_2)
	v_fma_f64 v[169:170], v[38:39], v[2:3], -v[169:170]
	v_fma_f64 v[231:232], v[40:41], v[2:3], v[4:5]
	ds_load_b128 v[2:5], v1 offset:944
	s_waitcnt vmcnt(9) lgkmcnt(2)
	v_mul_f64 v[229:230], v[172:173], v[8:9]
	v_mul_f64 v[8:9], v[174:175], v[8:9]
	scratch_load_b128 v[38:41], off, off offset:192
	s_waitcnt vmcnt(9) lgkmcnt(0)
	v_mul_f64 v[233:234], v[2:3], v[12:13]
	v_mul_f64 v[12:13], v[4:5], v[12:13]
	v_add_f64 v[169:170], v[169:170], 0
	v_fma_f64 v[174:175], v[174:175], v[6:7], v[229:230]
	v_fma_f64 v[172:173], v[172:173], v[6:7], -v[8:9]
	v_add_f64 v[229:230], v[231:232], 0
	scratch_load_b128 v[6:9], off, off offset:208
	v_fma_f64 v[233:234], v[4:5], v[10:11], v[233:234]
	v_fma_f64 v[235:236], v[2:3], v[10:11], -v[12:13]
	scratch_load_b128 v[10:13], off, off offset:224
	ds_load_b128 v[2:5], v1 offset:976
	s_waitcnt vmcnt(10)
	v_mul_f64 v[231:232], v[180:181], v[16:17]
	v_mul_f64 v[16:17], v[182:183], v[16:17]
	v_add_f64 v[169:170], v[169:170], v[172:173]
	v_add_f64 v[229:230], v[229:230], v[174:175]
	ds_load_b128 v[172:175], v1 offset:992
	s_waitcnt vmcnt(9) lgkmcnt(1)
	v_mul_f64 v[237:238], v[2:3], v[20:21]
	v_mul_f64 v[20:21], v[4:5], v[20:21]
	v_fma_f64 v[182:183], v[182:183], v[14:15], v[231:232]
	v_fma_f64 v[180:181], v[180:181], v[14:15], -v[16:17]
	scratch_load_b128 v[14:17], off, off offset:240
	v_add_f64 v[169:170], v[169:170], v[235:236]
	v_add_f64 v[229:230], v[229:230], v[233:234]
	v_fma_f64 v[233:234], v[4:5], v[18:19], v[237:238]
	v_fma_f64 v[235:236], v[2:3], v[18:19], -v[20:21]
	scratch_load_b128 v[18:21], off, off offset:256
	ds_load_b128 v[2:5], v1 offset:1008
	s_waitcnt vmcnt(10) lgkmcnt(1)
	v_mul_f64 v[231:232], v[172:173], v[24:25]
	v_mul_f64 v[24:25], v[174:175], v[24:25]
	s_waitcnt vmcnt(9) lgkmcnt(0)
	v_mul_f64 v[237:238], v[2:3], v[28:29]
	v_mul_f64 v[28:29], v[4:5], v[28:29]
	v_add_f64 v[169:170], v[169:170], v[180:181]
	v_add_f64 v[229:230], v[229:230], v[182:183]
	ds_load_b128 v[180:183], v1 offset:1024
	v_fma_f64 v[174:175], v[174:175], v[22:23], v[231:232]
	v_fma_f64 v[172:173], v[172:173], v[22:23], -v[24:25]
	scratch_load_b128 v[22:25], off, off offset:272
	v_add_f64 v[169:170], v[169:170], v[235:236]
	v_add_f64 v[229:230], v[229:230], v[233:234]
	v_fma_f64 v[233:234], v[4:5], v[26:27], v[237:238]
	v_fma_f64 v[235:236], v[2:3], v[26:27], -v[28:29]
	scratch_load_b128 v[26:29], off, off offset:288
	ds_load_b128 v[2:5], v1 offset:1040
	s_waitcnt vmcnt(10) lgkmcnt(1)
	v_mul_f64 v[231:232], v[180:181], v[32:33]
	v_mul_f64 v[32:33], v[182:183], v[32:33]
	s_waitcnt vmcnt(9) lgkmcnt(0)
	v_mul_f64 v[237:238], v[2:3], v[36:37]
	v_mul_f64 v[36:37], v[4:5], v[36:37]
	v_add_f64 v[169:170], v[169:170], v[172:173]
	v_add_f64 v[229:230], v[229:230], v[174:175]
	ds_load_b128 v[172:175], v1 offset:1056
	v_fma_f64 v[182:183], v[182:183], v[30:31], v[231:232]
	v_fma_f64 v[180:181], v[180:181], v[30:31], -v[32:33]
	scratch_load_b128 v[30:33], off, off offset:304
	v_add_f64 v[169:170], v[169:170], v[235:236]
	v_add_f64 v[229:230], v[229:230], v[233:234]
	v_fma_f64 v[235:236], v[4:5], v[34:35], v[237:238]
	v_fma_f64 v[237:238], v[2:3], v[34:35], -v[36:37]
	scratch_load_b128 v[34:37], off, off offset:320
	ds_load_b128 v[2:5], v1 offset:1072
	s_waitcnt vmcnt(9) lgkmcnt(1)
	v_mul_f64 v[231:232], v[172:173], v[178:179]
	v_mul_f64 v[233:234], v[174:175], v[178:179]
	v_add_f64 v[169:170], v[169:170], v[180:181]
	v_add_f64 v[182:183], v[229:230], v[182:183]
	ds_load_b128 v[178:181], v1 offset:1088
	v_fma_f64 v[231:232], v[174:175], v[176:177], v[231:232]
	v_fma_f64 v[176:177], v[172:173], v[176:177], -v[233:234]
	scratch_load_b128 v[172:175], off, off offset:336
	s_waitcnt vmcnt(9) lgkmcnt(1)
	v_mul_f64 v[229:230], v[2:3], v[40:41]
	v_mul_f64 v[40:41], v[4:5], v[40:41]
	v_add_f64 v[169:170], v[169:170], v[237:238]
	v_add_f64 v[182:183], v[182:183], v[235:236]
	s_delay_alu instid0(VALU_DEP_4) | instskip(NEXT) | instid1(VALU_DEP_4)
	v_fma_f64 v[235:236], v[4:5], v[38:39], v[229:230]
	v_fma_f64 v[237:238], v[2:3], v[38:39], -v[40:41]
	scratch_load_b128 v[38:41], off, off offset:352
	ds_load_b128 v[2:5], v1 offset:1104
	s_waitcnt vmcnt(9) lgkmcnt(1)
	v_mul_f64 v[233:234], v[178:179], v[8:9]
	v_mul_f64 v[8:9], v[180:181], v[8:9]
	v_add_f64 v[169:170], v[169:170], v[176:177]
	v_add_f64 v[176:177], v[182:183], v[231:232]
	s_waitcnt vmcnt(8) lgkmcnt(0)
	v_mul_f64 v[182:183], v[2:3], v[12:13]
	v_mul_f64 v[12:13], v[4:5], v[12:13]
	ds_load_b128 v[229:232], v1 offset:1120
	v_fma_f64 v[180:181], v[180:181], v[6:7], v[233:234]
	v_fma_f64 v[178:179], v[178:179], v[6:7], -v[8:9]
	scratch_load_b128 v[6:9], off, off offset:368
	v_add_f64 v[169:170], v[169:170], v[237:238]
	v_add_f64 v[176:177], v[176:177], v[235:236]
	v_fma_f64 v[182:183], v[4:5], v[10:11], v[182:183]
	v_fma_f64 v[235:236], v[2:3], v[10:11], -v[12:13]
	scratch_load_b128 v[10:13], off, off offset:384
	ds_load_b128 v[2:5], v1 offset:1136
	s_waitcnt vmcnt(9) lgkmcnt(1)
	v_mul_f64 v[233:234], v[229:230], v[16:17]
	v_mul_f64 v[16:17], v[231:232], v[16:17]
	s_waitcnt vmcnt(8) lgkmcnt(0)
	v_mul_f64 v[237:238], v[2:3], v[20:21]
	v_mul_f64 v[20:21], v[4:5], v[20:21]
	v_add_f64 v[169:170], v[169:170], v[178:179]
	v_add_f64 v[180:181], v[176:177], v[180:181]
	ds_load_b128 v[176:179], v1 offset:1152
	v_fma_f64 v[231:232], v[231:232], v[14:15], v[233:234]
	v_fma_f64 v[229:230], v[229:230], v[14:15], -v[16:17]
	scratch_load_b128 v[14:17], off, off offset:400
	v_add_f64 v[169:170], v[169:170], v[235:236]
	v_add_f64 v[180:181], v[180:181], v[182:183]
	v_fma_f64 v[235:236], v[4:5], v[18:19], v[237:238]
	v_fma_f64 v[237:238], v[2:3], v[18:19], -v[20:21]
	scratch_load_b128 v[18:21], off, off offset:416
	ds_load_b128 v[2:5], v1 offset:1168
	s_waitcnt vmcnt(9) lgkmcnt(1)
	v_mul_f64 v[233:234], v[176:177], v[24:25]
	v_mul_f64 v[24:25], v[178:179], v[24:25]
	v_add_f64 v[169:170], v[169:170], v[229:230]
	v_add_f64 v[229:230], v[180:181], v[231:232]
	s_waitcnt vmcnt(8) lgkmcnt(0)
	v_mul_f64 v[231:232], v[2:3], v[28:29]
	v_mul_f64 v[28:29], v[4:5], v[28:29]
	ds_load_b128 v[180:183], v1 offset:1184
	v_fma_f64 v[178:179], v[178:179], v[22:23], v[233:234]
	v_fma_f64 v[176:177], v[176:177], v[22:23], -v[24:25]
	scratch_load_b128 v[22:25], off, off offset:432
	v_add_f64 v[169:170], v[169:170], v[237:238]
	v_add_f64 v[229:230], v[229:230], v[235:236]
	v_fma_f64 v[231:232], v[4:5], v[26:27], v[231:232]
	v_fma_f64 v[235:236], v[2:3], v[26:27], -v[28:29]
	scratch_load_b128 v[26:29], off, off offset:448
	ds_load_b128 v[2:5], v1 offset:1200
	s_waitcnt vmcnt(9) lgkmcnt(1)
	v_mul_f64 v[233:234], v[180:181], v[32:33]
	v_mul_f64 v[32:33], v[182:183], v[32:33]
	s_waitcnt vmcnt(8) lgkmcnt(0)
	v_mul_f64 v[237:238], v[2:3], v[36:37]
	v_mul_f64 v[36:37], v[4:5], v[36:37]
	v_add_f64 v[169:170], v[169:170], v[176:177]
	v_add_f64 v[229:230], v[229:230], v[178:179]
	ds_load_b128 v[176:179], v1 offset:1216
	v_fma_f64 v[182:183], v[182:183], v[30:31], v[233:234]
	v_fma_f64 v[180:181], v[180:181], v[30:31], -v[32:33]
	scratch_load_b128 v[30:33], off, off offset:464
	v_fma_f64 v[233:234], v[4:5], v[34:35], v[237:238]
	v_add_f64 v[169:170], v[169:170], v[235:236]
	v_add_f64 v[229:230], v[229:230], v[231:232]
	v_fma_f64 v[235:236], v[2:3], v[34:35], -v[36:37]
	scratch_load_b128 v[34:37], off, off offset:480
	ds_load_b128 v[2:5], v1 offset:1232
	s_waitcnt vmcnt(9) lgkmcnt(1)
	v_mul_f64 v[231:232], v[176:177], v[174:175]
	v_mul_f64 v[174:175], v[178:179], v[174:175]
	s_waitcnt vmcnt(8) lgkmcnt(0)
	v_mul_f64 v[237:238], v[2:3], v[40:41]
	v_mul_f64 v[40:41], v[4:5], v[40:41]
	v_add_f64 v[169:170], v[169:170], v[180:181]
	v_add_f64 v[229:230], v[229:230], v[182:183]
	ds_load_b128 v[180:183], v1 offset:1248
	v_fma_f64 v[178:179], v[178:179], v[172:173], v[231:232]
	v_fma_f64 v[176:177], v[176:177], v[172:173], -v[174:175]
	scratch_load_b128 v[172:175], off, off offset:496
	v_add_f64 v[169:170], v[169:170], v[235:236]
	v_add_f64 v[229:230], v[229:230], v[233:234]
	v_fma_f64 v[233:234], v[4:5], v[38:39], v[237:238]
	v_fma_f64 v[235:236], v[2:3], v[38:39], -v[40:41]
	scratch_load_b128 v[38:41], off, off offset:512
	ds_load_b128 v[2:5], v1 offset:1264
	s_waitcnt vmcnt(9) lgkmcnt(1)
	v_mul_f64 v[231:232], v[180:181], v[8:9]
	v_mul_f64 v[8:9], v[182:183], v[8:9]
	s_waitcnt vmcnt(8) lgkmcnt(0)
	v_mul_f64 v[237:238], v[2:3], v[12:13]
	v_mul_f64 v[12:13], v[4:5], v[12:13]
	v_add_f64 v[169:170], v[169:170], v[176:177]
	v_add_f64 v[229:230], v[229:230], v[178:179]
	ds_load_b128 v[176:179], v1 offset:1280
	v_fma_f64 v[182:183], v[182:183], v[6:7], v[231:232]
	v_fma_f64 v[180:181], v[180:181], v[6:7], -v[8:9]
	scratch_load_b128 v[6:9], off, off offset:528
	v_add_f64 v[169:170], v[169:170], v[235:236]
	v_add_f64 v[229:230], v[229:230], v[233:234]
	v_fma_f64 v[233:234], v[4:5], v[10:11], v[237:238]
	;; [unrolled: 18-line block ×5, first 2 shown]
	v_fma_f64 v[237:238], v[2:3], v[34:35], -v[36:37]
	scratch_load_b128 v[34:37], off, off offset:640
	ds_load_b128 v[2:5], v1 offset:1392
	s_waitcnt vmcnt(9) lgkmcnt(1)
	v_mul_f64 v[231:232], v[180:181], v[174:175]
	v_mul_f64 v[233:234], v[182:183], v[174:175]
	v_add_f64 v[169:170], v[169:170], v[176:177]
	v_add_f64 v[178:179], v[229:230], v[178:179]
	s_waitcnt vmcnt(8) lgkmcnt(0)
	v_mul_f64 v[229:230], v[2:3], v[40:41]
	v_mul_f64 v[40:41], v[4:5], v[40:41]
	ds_load_b128 v[174:177], v1 offset:1408
	v_fma_f64 v[182:183], v[182:183], v[172:173], v[231:232]
	v_fma_f64 v[172:173], v[180:181], v[172:173], -v[233:234]
	v_add_f64 v[169:170], v[169:170], v[237:238]
	v_add_f64 v[231:232], v[178:179], v[235:236]
	scratch_load_b128 v[178:181], off, off offset:656
	v_fma_f64 v[235:236], v[4:5], v[38:39], v[229:230]
	v_fma_f64 v[237:238], v[2:3], v[38:39], -v[40:41]
	scratch_load_b128 v[38:41], off, off offset:672
	ds_load_b128 v[2:5], v1 offset:1424
	s_waitcnt vmcnt(9) lgkmcnt(1)
	v_mul_f64 v[233:234], v[174:175], v[8:9]
	v_mul_f64 v[8:9], v[176:177], v[8:9]
	v_add_f64 v[169:170], v[169:170], v[172:173]
	v_add_f64 v[172:173], v[231:232], v[182:183]
	s_waitcnt vmcnt(8) lgkmcnt(0)
	v_mul_f64 v[182:183], v[2:3], v[12:13]
	v_mul_f64 v[12:13], v[4:5], v[12:13]
	ds_load_b128 v[229:232], v1 offset:1440
	v_fma_f64 v[176:177], v[176:177], v[6:7], v[233:234]
	v_fma_f64 v[174:175], v[174:175], v[6:7], -v[8:9]
	scratch_load_b128 v[6:9], off, off offset:688
	v_add_f64 v[169:170], v[169:170], v[237:238]
	v_add_f64 v[172:173], v[172:173], v[235:236]
	v_fma_f64 v[182:183], v[4:5], v[10:11], v[182:183]
	v_fma_f64 v[235:236], v[2:3], v[10:11], -v[12:13]
	scratch_load_b128 v[10:13], off, off offset:704
	ds_load_b128 v[2:5], v1 offset:1456
	s_waitcnt vmcnt(9) lgkmcnt(1)
	v_mul_f64 v[233:234], v[229:230], v[16:17]
	v_mul_f64 v[16:17], v[231:232], v[16:17]
	s_waitcnt vmcnt(8) lgkmcnt(0)
	v_mul_f64 v[237:238], v[2:3], v[20:21]
	v_mul_f64 v[20:21], v[4:5], v[20:21]
	v_add_f64 v[169:170], v[169:170], v[174:175]
	v_add_f64 v[176:177], v[172:173], v[176:177]
	ds_load_b128 v[172:175], v1 offset:1472
	v_fma_f64 v[231:232], v[231:232], v[14:15], v[233:234]
	v_fma_f64 v[229:230], v[229:230], v[14:15], -v[16:17]
	scratch_load_b128 v[14:17], off, off offset:720
	v_fma_f64 v[233:234], v[4:5], v[18:19], v[237:238]
	v_add_f64 v[169:170], v[169:170], v[235:236]
	v_add_f64 v[176:177], v[176:177], v[182:183]
	v_fma_f64 v[235:236], v[2:3], v[18:19], -v[20:21]
	scratch_load_b128 v[18:21], off, off offset:736
	ds_load_b128 v[2:5], v1 offset:1488
	s_waitcnt vmcnt(9) lgkmcnt(1)
	v_mul_f64 v[182:183], v[172:173], v[24:25]
	v_mul_f64 v[24:25], v[174:175], v[24:25]
	s_waitcnt vmcnt(8) lgkmcnt(0)
	v_mul_f64 v[237:238], v[2:3], v[28:29]
	v_mul_f64 v[28:29], v[4:5], v[28:29]
	v_add_f64 v[169:170], v[169:170], v[229:230]
	v_add_f64 v[176:177], v[176:177], v[231:232]
	ds_load_b128 v[229:232], v1 offset:1504
	v_fma_f64 v[174:175], v[174:175], v[22:23], v[182:183]
	v_fma_f64 v[172:173], v[172:173], v[22:23], -v[24:25]
	scratch_load_b128 v[22:25], off, off offset:752
	v_add_f64 v[169:170], v[169:170], v[235:236]
	v_add_f64 v[176:177], v[176:177], v[233:234]
	v_fma_f64 v[233:234], v[4:5], v[26:27], v[237:238]
	v_fma_f64 v[235:236], v[2:3], v[26:27], -v[28:29]
	scratch_load_b128 v[26:29], off, off offset:768
	ds_load_b128 v[2:5], v1 offset:1520
	s_waitcnt vmcnt(9) lgkmcnt(1)
	v_mul_f64 v[182:183], v[229:230], v[32:33]
	v_mul_f64 v[32:33], v[231:232], v[32:33]
	s_waitcnt vmcnt(8) lgkmcnt(0)
	v_mul_f64 v[237:238], v[2:3], v[36:37]
	v_mul_f64 v[36:37], v[4:5], v[36:37]
	v_add_f64 v[169:170], v[169:170], v[172:173]
	v_add_f64 v[176:177], v[176:177], v[174:175]
	ds_load_b128 v[172:175], v1 offset:1536
	v_fma_f64 v[182:183], v[231:232], v[30:31], v[182:183]
	v_fma_f64 v[229:230], v[229:230], v[30:31], -v[32:33]
	scratch_load_b128 v[30:33], off, off offset:784
	v_add_f64 v[169:170], v[169:170], v[235:236]
	v_add_f64 v[176:177], v[176:177], v[233:234]
	v_fma_f64 v[235:236], v[4:5], v[34:35], v[237:238]
	v_fma_f64 v[237:238], v[2:3], v[34:35], -v[36:37]
	scratch_load_b128 v[34:37], off, off offset:800
	ds_load_b128 v[2:5], v1 offset:1552
	s_waitcnt vmcnt(9) lgkmcnt(1)
	v_mul_f64 v[231:232], v[172:173], v[180:181]
	v_mul_f64 v[233:234], v[174:175], v[180:181]
	v_add_f64 v[169:170], v[169:170], v[229:230]
	v_add_f64 v[176:177], v[176:177], v[182:183]
	s_waitcnt vmcnt(8) lgkmcnt(0)
	v_mul_f64 v[229:230], v[2:3], v[40:41]
	v_mul_f64 v[40:41], v[4:5], v[40:41]
	ds_load_b128 v[180:183], v1 offset:1568
	v_fma_f64 v[231:232], v[174:175], v[178:179], v[231:232]
	v_fma_f64 v[178:179], v[172:173], v[178:179], -v[233:234]
	scratch_load_b128 v[172:175], off, off offset:816
	v_add_f64 v[169:170], v[169:170], v[237:238]
	v_add_f64 v[176:177], v[176:177], v[235:236]
	v_fma_f64 v[229:230], v[4:5], v[38:39], v[229:230]
	v_fma_f64 v[235:236], v[2:3], v[38:39], -v[40:41]
	scratch_load_b128 v[38:41], off, off offset:832
	ds_load_b128 v[2:5], v1 offset:1584
	s_waitcnt vmcnt(9) lgkmcnt(1)
	v_mul_f64 v[233:234], v[180:181], v[8:9]
	v_mul_f64 v[8:9], v[182:183], v[8:9]
	s_waitcnt vmcnt(8) lgkmcnt(0)
	v_mul_f64 v[237:238], v[2:3], v[12:13]
	v_mul_f64 v[12:13], v[4:5], v[12:13]
	v_add_f64 v[169:170], v[169:170], v[178:179]
	v_add_f64 v[231:232], v[176:177], v[231:232]
	ds_load_b128 v[176:179], v1 offset:1600
	v_fma_f64 v[182:183], v[182:183], v[6:7], v[233:234]
	v_fma_f64 v[180:181], v[180:181], v[6:7], -v[8:9]
	scratch_load_b128 v[6:9], off, off offset:848
	v_fma_f64 v[233:234], v[4:5], v[10:11], v[237:238]
	v_add_f64 v[169:170], v[169:170], v[235:236]
	v_add_f64 v[229:230], v[231:232], v[229:230]
	v_fma_f64 v[235:236], v[2:3], v[10:11], -v[12:13]
	scratch_load_b128 v[10:13], off, off offset:864
	ds_load_b128 v[2:5], v1 offset:1616
	s_waitcnt vmcnt(9) lgkmcnt(1)
	v_mul_f64 v[231:232], v[176:177], v[16:17]
	v_mul_f64 v[16:17], v[178:179], v[16:17]
	s_waitcnt vmcnt(8) lgkmcnt(0)
	v_mul_f64 v[237:238], v[2:3], v[20:21]
	v_mul_f64 v[20:21], v[4:5], v[20:21]
	v_add_f64 v[169:170], v[169:170], v[180:181]
	v_add_f64 v[229:230], v[229:230], v[182:183]
	ds_load_b128 v[180:183], v1 offset:1632
	v_fma_f64 v[178:179], v[178:179], v[14:15], v[231:232]
	v_fma_f64 v[14:15], v[176:177], v[14:15], -v[16:17]
	s_waitcnt vmcnt(7) lgkmcnt(0)
	v_mul_f64 v[176:177], v[180:181], v[24:25]
	v_mul_f64 v[24:25], v[182:183], v[24:25]
	v_add_f64 v[16:17], v[169:170], v[235:236]
	v_add_f64 v[169:170], v[229:230], v[233:234]
	v_fma_f64 v[229:230], v[4:5], v[18:19], v[237:238]
	v_fma_f64 v[18:19], v[2:3], v[18:19], -v[20:21]
	v_fma_f64 v[176:177], v[182:183], v[22:23], v[176:177]
	v_fma_f64 v[22:23], v[180:181], v[22:23], -v[24:25]
	v_add_f64 v[20:21], v[16:17], v[14:15]
	v_add_f64 v[169:170], v[169:170], v[178:179]
	ds_load_b128 v[2:5], v1 offset:1648
	ds_load_b128 v[14:17], v1 offset:1664
	s_waitcnt vmcnt(6) lgkmcnt(1)
	v_mul_f64 v[178:179], v[2:3], v[28:29]
	v_mul_f64 v[28:29], v[4:5], v[28:29]
	s_waitcnt vmcnt(5) lgkmcnt(0)
	v_mul_f64 v[24:25], v[14:15], v[32:33]
	v_mul_f64 v[32:33], v[16:17], v[32:33]
	v_add_f64 v[18:19], v[20:21], v[18:19]
	v_add_f64 v[20:21], v[169:170], v[229:230]
	v_fma_f64 v[169:170], v[4:5], v[26:27], v[178:179]
	v_fma_f64 v[26:27], v[2:3], v[26:27], -v[28:29]
	v_fma_f64 v[16:17], v[16:17], v[30:31], v[24:25]
	v_fma_f64 v[14:15], v[14:15], v[30:31], -v[32:33]
	v_add_f64 v[22:23], v[18:19], v[22:23]
	v_add_f64 v[28:29], v[20:21], v[176:177]
	ds_load_b128 v[2:5], v1 offset:1680
	ds_load_b128 v[18:21], v1 offset:1696
	s_waitcnt vmcnt(4) lgkmcnt(1)
	v_mul_f64 v[176:177], v[2:3], v[36:37]
	v_mul_f64 v[36:37], v[4:5], v[36:37]
	v_add_f64 v[22:23], v[22:23], v[26:27]
	v_add_f64 v[24:25], v[28:29], v[169:170]
	s_waitcnt vmcnt(3) lgkmcnt(0)
	v_mul_f64 v[26:27], v[18:19], v[174:175]
	v_mul_f64 v[28:29], v[20:21], v[174:175]
	v_fma_f64 v[30:31], v[4:5], v[34:35], v[176:177]
	v_fma_f64 v[32:33], v[2:3], v[34:35], -v[36:37]
	v_add_f64 v[22:23], v[22:23], v[14:15]
	v_add_f64 v[24:25], v[24:25], v[16:17]
	ds_load_b128 v[2:5], v1 offset:1712
	ds_load_b128 v[14:17], v1 offset:1728
	v_fma_f64 v[20:21], v[20:21], v[172:173], v[26:27]
	v_fma_f64 v[18:19], v[18:19], v[172:173], -v[28:29]
	s_waitcnt vmcnt(2) lgkmcnt(1)
	v_mul_f64 v[34:35], v[2:3], v[40:41]
	v_mul_f64 v[36:37], v[4:5], v[40:41]
	s_waitcnt vmcnt(1) lgkmcnt(0)
	v_mul_f64 v[26:27], v[14:15], v[8:9]
	v_mul_f64 v[8:9], v[16:17], v[8:9]
	v_add_f64 v[22:23], v[22:23], v[32:33]
	v_add_f64 v[24:25], v[24:25], v[30:31]
	v_fma_f64 v[28:29], v[4:5], v[38:39], v[34:35]
	v_fma_f64 v[30:31], v[2:3], v[38:39], -v[36:37]
	ds_load_b128 v[2:5], v1 offset:1744
	v_fma_f64 v[16:17], v[16:17], v[6:7], v[26:27]
	v_fma_f64 v[6:7], v[14:15], v[6:7], -v[8:9]
	v_add_f64 v[18:19], v[22:23], v[18:19]
	v_add_f64 v[20:21], v[24:25], v[20:21]
	s_waitcnt vmcnt(0) lgkmcnt(0)
	v_mul_f64 v[22:23], v[2:3], v[12:13]
	v_mul_f64 v[12:13], v[4:5], v[12:13]
	s_delay_alu instid0(VALU_DEP_4) | instskip(NEXT) | instid1(VALU_DEP_4)
	v_add_f64 v[8:9], v[18:19], v[30:31]
	v_add_f64 v[14:15], v[20:21], v[28:29]
	s_delay_alu instid0(VALU_DEP_4) | instskip(NEXT) | instid1(VALU_DEP_4)
	v_fma_f64 v[4:5], v[4:5], v[10:11], v[22:23]
	v_fma_f64 v[2:3], v[2:3], v[10:11], -v[12:13]
	s_delay_alu instid0(VALU_DEP_4) | instskip(NEXT) | instid1(VALU_DEP_4)
	v_add_f64 v[6:7], v[8:9], v[6:7]
	v_add_f64 v[8:9], v[14:15], v[16:17]
	s_delay_alu instid0(VALU_DEP_2) | instskip(NEXT) | instid1(VALU_DEP_2)
	v_add_f64 v[2:3], v[6:7], v[2:3]
	v_add_f64 v[4:5], v[8:9], v[4:5]
	s_delay_alu instid0(VALU_DEP_2) | instskip(NEXT) | instid1(VALU_DEP_2)
	v_add_f64 v[2:3], v[42:43], -v[2:3]
	v_add_f64 v[4:5], v[44:45], -v[4:5]
	scratch_store_b128 off, v[2:5], off offset:16
	v_cmpx_ne_u32_e32 0, v156
	s_cbranch_execz .LBB118_343
; %bb.342:
	scratch_load_b128 v[5:8], off, off
	v_mov_b32_e32 v2, v1
	v_mov_b32_e32 v3, v1
	;; [unrolled: 1-line block ×3, first 2 shown]
	scratch_store_b128 off, v[1:4], off
	s_waitcnt vmcnt(0)
	ds_store_b128 v211, v[5:8]
.LBB118_343:
	s_or_b32 exec_lo, exec_lo, s2
	s_waitcnt lgkmcnt(0)
	s_waitcnt_vscnt null, 0x0
	s_barrier
	buffer_gl0_inv
	s_clause 0x8
	scratch_load_b128 v[2:5], off, off offset:16
	scratch_load_b128 v[6:9], off, off offset:32
	;; [unrolled: 1-line block ×9, first 2 shown]
	ds_load_b128 v[42:45], v1 offset:896
	ds_load_b128 v[38:41], v1 offset:912
	s_clause 0x1
	scratch_load_b128 v[172:175], off, off
	scratch_load_b128 v[176:179], off, off offset:160
	s_and_b32 vcc_lo, exec_lo, s14
	ds_load_b128 v[180:183], v1 offset:944
	s_waitcnt vmcnt(10) lgkmcnt(2)
	v_mul_f64 v[169:170], v[44:45], v[4:5]
	v_mul_f64 v[4:5], v[42:43], v[4:5]
	s_waitcnt vmcnt(9) lgkmcnt(1)
	v_mul_f64 v[229:230], v[38:39], v[8:9]
	v_mul_f64 v[8:9], v[40:41], v[8:9]
	s_delay_alu instid0(VALU_DEP_4) | instskip(NEXT) | instid1(VALU_DEP_4)
	v_fma_f64 v[169:170], v[42:43], v[2:3], -v[169:170]
	v_fma_f64 v[231:232], v[44:45], v[2:3], v[4:5]
	ds_load_b128 v[2:5], v1 offset:928
	scratch_load_b128 v[42:45], off, off offset:176
	v_fma_f64 v[40:41], v[40:41], v[6:7], v[229:230]
	v_fma_f64 v[38:39], v[38:39], v[6:7], -v[8:9]
	scratch_load_b128 v[6:9], off, off offset:192
	s_waitcnt vmcnt(10) lgkmcnt(0)
	v_mul_f64 v[233:234], v[2:3], v[12:13]
	v_mul_f64 v[12:13], v[4:5], v[12:13]
	v_add_f64 v[169:170], v[169:170], 0
	v_add_f64 v[229:230], v[231:232], 0
	s_waitcnt vmcnt(9)
	v_mul_f64 v[231:232], v[180:181], v[16:17]
	v_mul_f64 v[16:17], v[182:183], v[16:17]
	v_fma_f64 v[233:234], v[4:5], v[10:11], v[233:234]
	v_fma_f64 v[235:236], v[2:3], v[10:11], -v[12:13]
	ds_load_b128 v[2:5], v1 offset:960
	scratch_load_b128 v[10:13], off, off offset:208
	v_add_f64 v[169:170], v[169:170], v[38:39]
	v_add_f64 v[229:230], v[229:230], v[40:41]
	ds_load_b128 v[38:41], v1 offset:976
	v_fma_f64 v[182:183], v[182:183], v[14:15], v[231:232]
	v_fma_f64 v[180:181], v[180:181], v[14:15], -v[16:17]
	scratch_load_b128 v[14:17], off, off offset:224
	s_waitcnt vmcnt(10) lgkmcnt(1)
	v_mul_f64 v[237:238], v[2:3], v[20:21]
	v_mul_f64 v[20:21], v[4:5], v[20:21]
	s_waitcnt vmcnt(9) lgkmcnt(0)
	v_mul_f64 v[231:232], v[38:39], v[24:25]
	v_mul_f64 v[24:25], v[40:41], v[24:25]
	v_add_f64 v[169:170], v[169:170], v[235:236]
	v_add_f64 v[229:230], v[229:230], v[233:234]
	v_fma_f64 v[233:234], v[4:5], v[18:19], v[237:238]
	v_fma_f64 v[235:236], v[2:3], v[18:19], -v[20:21]
	ds_load_b128 v[2:5], v1 offset:992
	scratch_load_b128 v[18:21], off, off offset:240
	v_fma_f64 v[40:41], v[40:41], v[22:23], v[231:232]
	v_fma_f64 v[38:39], v[38:39], v[22:23], -v[24:25]
	scratch_load_b128 v[22:25], off, off offset:256
	v_add_f64 v[169:170], v[169:170], v[180:181]
	v_add_f64 v[229:230], v[229:230], v[182:183]
	ds_load_b128 v[180:183], v1 offset:1008
	s_waitcnt vmcnt(10) lgkmcnt(1)
	v_mul_f64 v[237:238], v[2:3], v[28:29]
	v_mul_f64 v[28:29], v[4:5], v[28:29]
	s_waitcnt vmcnt(9) lgkmcnt(0)
	v_mul_f64 v[231:232], v[180:181], v[32:33]
	v_mul_f64 v[32:33], v[182:183], v[32:33]
	v_add_f64 v[169:170], v[169:170], v[235:236]
	v_add_f64 v[229:230], v[229:230], v[233:234]
	v_fma_f64 v[233:234], v[4:5], v[26:27], v[237:238]
	v_fma_f64 v[235:236], v[2:3], v[26:27], -v[28:29]
	ds_load_b128 v[2:5], v1 offset:1024
	scratch_load_b128 v[26:29], off, off offset:272
	v_fma_f64 v[182:183], v[182:183], v[30:31], v[231:232]
	v_fma_f64 v[180:181], v[180:181], v[30:31], -v[32:33]
	scratch_load_b128 v[30:33], off, off offset:288
	v_add_f64 v[169:170], v[169:170], v[38:39]
	v_add_f64 v[229:230], v[229:230], v[40:41]
	ds_load_b128 v[38:41], v1 offset:1040
	s_waitcnt vmcnt(10) lgkmcnt(1)
	v_mul_f64 v[237:238], v[2:3], v[36:37]
	v_mul_f64 v[36:37], v[4:5], v[36:37]
	s_waitcnt vmcnt(8) lgkmcnt(0)
	v_mul_f64 v[231:232], v[38:39], v[178:179]
	v_add_f64 v[169:170], v[169:170], v[235:236]
	v_add_f64 v[229:230], v[229:230], v[233:234]
	v_mul_f64 v[233:234], v[40:41], v[178:179]
	v_fma_f64 v[235:236], v[4:5], v[34:35], v[237:238]
	v_fma_f64 v[237:238], v[2:3], v[34:35], -v[36:37]
	ds_load_b128 v[2:5], v1 offset:1056
	scratch_load_b128 v[34:37], off, off offset:304
	v_fma_f64 v[231:232], v[40:41], v[176:177], v[231:232]
	v_add_f64 v[169:170], v[169:170], v[180:181]
	v_add_f64 v[182:183], v[229:230], v[182:183]
	ds_load_b128 v[178:181], v1 offset:1072
	v_fma_f64 v[176:177], v[38:39], v[176:177], -v[233:234]
	scratch_load_b128 v[38:41], off, off offset:320
	s_waitcnt vmcnt(9) lgkmcnt(1)
	v_mul_f64 v[229:230], v[2:3], v[44:45]
	v_mul_f64 v[44:45], v[4:5], v[44:45]
	s_waitcnt vmcnt(8) lgkmcnt(0)
	v_mul_f64 v[233:234], v[178:179], v[8:9]
	v_mul_f64 v[8:9], v[180:181], v[8:9]
	v_add_f64 v[169:170], v[169:170], v[237:238]
	v_add_f64 v[182:183], v[182:183], v[235:236]
	v_fma_f64 v[235:236], v[4:5], v[42:43], v[229:230]
	v_fma_f64 v[237:238], v[2:3], v[42:43], -v[44:45]
	ds_load_b128 v[2:5], v1 offset:1088
	scratch_load_b128 v[42:45], off, off offset:336
	v_fma_f64 v[180:181], v[180:181], v[6:7], v[233:234]
	v_fma_f64 v[178:179], v[178:179], v[6:7], -v[8:9]
	scratch_load_b128 v[6:9], off, off offset:352
	v_add_f64 v[169:170], v[169:170], v[176:177]
	v_add_f64 v[176:177], v[182:183], v[231:232]
	ds_load_b128 v[229:232], v1 offset:1104
	s_waitcnt vmcnt(9) lgkmcnt(1)
	v_mul_f64 v[182:183], v[2:3], v[12:13]
	v_mul_f64 v[12:13], v[4:5], v[12:13]
	s_waitcnt vmcnt(8) lgkmcnt(0)
	v_mul_f64 v[233:234], v[229:230], v[16:17]
	v_mul_f64 v[16:17], v[231:232], v[16:17]
	v_add_f64 v[169:170], v[169:170], v[237:238]
	v_add_f64 v[176:177], v[176:177], v[235:236]
	v_fma_f64 v[182:183], v[4:5], v[10:11], v[182:183]
	v_fma_f64 v[235:236], v[2:3], v[10:11], -v[12:13]
	ds_load_b128 v[2:5], v1 offset:1120
	scratch_load_b128 v[10:13], off, off offset:368
	v_fma_f64 v[231:232], v[231:232], v[14:15], v[233:234]
	v_fma_f64 v[229:230], v[229:230], v[14:15], -v[16:17]
	scratch_load_b128 v[14:17], off, off offset:384
	v_add_f64 v[169:170], v[169:170], v[178:179]
	v_add_f64 v[180:181], v[176:177], v[180:181]
	ds_load_b128 v[176:179], v1 offset:1136
	;; [unrolled: 18-line block ×4, first 2 shown]
	s_waitcnt vmcnt(9) lgkmcnt(1)
	v_mul_f64 v[237:238], v[2:3], v[36:37]
	v_mul_f64 v[36:37], v[4:5], v[36:37]
	v_add_f64 v[169:170], v[169:170], v[235:236]
	v_add_f64 v[229:230], v[229:230], v[231:232]
	s_waitcnt vmcnt(8) lgkmcnt(0)
	v_mul_f64 v[231:232], v[176:177], v[40:41]
	v_mul_f64 v[40:41], v[178:179], v[40:41]
	v_fma_f64 v[233:234], v[4:5], v[34:35], v[237:238]
	v_fma_f64 v[235:236], v[2:3], v[34:35], -v[36:37]
	ds_load_b128 v[2:5], v1 offset:1216
	scratch_load_b128 v[34:37], off, off offset:464
	v_add_f64 v[169:170], v[169:170], v[180:181]
	v_add_f64 v[229:230], v[229:230], v[182:183]
	ds_load_b128 v[180:183], v1 offset:1232
	s_waitcnt vmcnt(8) lgkmcnt(1)
	v_mul_f64 v[237:238], v[2:3], v[44:45]
	v_mul_f64 v[44:45], v[4:5], v[44:45]
	v_fma_f64 v[178:179], v[178:179], v[38:39], v[231:232]
	v_fma_f64 v[176:177], v[176:177], v[38:39], -v[40:41]
	scratch_load_b128 v[38:41], off, off offset:480
	s_waitcnt vmcnt(8) lgkmcnt(0)
	v_mul_f64 v[231:232], v[180:181], v[8:9]
	v_mul_f64 v[8:9], v[182:183], v[8:9]
	v_add_f64 v[169:170], v[169:170], v[235:236]
	v_add_f64 v[229:230], v[229:230], v[233:234]
	v_fma_f64 v[233:234], v[4:5], v[42:43], v[237:238]
	v_fma_f64 v[235:236], v[2:3], v[42:43], -v[44:45]
	ds_load_b128 v[2:5], v1 offset:1248
	scratch_load_b128 v[42:45], off, off offset:496
	v_fma_f64 v[182:183], v[182:183], v[6:7], v[231:232]
	v_fma_f64 v[180:181], v[180:181], v[6:7], -v[8:9]
	scratch_load_b128 v[6:9], off, off offset:512
	v_add_f64 v[169:170], v[169:170], v[176:177]
	v_add_f64 v[229:230], v[229:230], v[178:179]
	ds_load_b128 v[176:179], v1 offset:1264
	s_waitcnt vmcnt(9) lgkmcnt(1)
	v_mul_f64 v[237:238], v[2:3], v[12:13]
	v_mul_f64 v[12:13], v[4:5], v[12:13]
	s_waitcnt vmcnt(8) lgkmcnt(0)
	v_mul_f64 v[231:232], v[176:177], v[16:17]
	v_mul_f64 v[16:17], v[178:179], v[16:17]
	v_add_f64 v[169:170], v[169:170], v[235:236]
	v_add_f64 v[229:230], v[229:230], v[233:234]
	v_fma_f64 v[233:234], v[4:5], v[10:11], v[237:238]
	v_fma_f64 v[235:236], v[2:3], v[10:11], -v[12:13]
	ds_load_b128 v[2:5], v1 offset:1280
	scratch_load_b128 v[10:13], off, off offset:528
	v_fma_f64 v[178:179], v[178:179], v[14:15], v[231:232]
	v_fma_f64 v[176:177], v[176:177], v[14:15], -v[16:17]
	scratch_load_b128 v[14:17], off, off offset:544
	v_add_f64 v[169:170], v[169:170], v[180:181]
	v_add_f64 v[229:230], v[229:230], v[182:183]
	ds_load_b128 v[180:183], v1 offset:1296
	s_waitcnt vmcnt(9) lgkmcnt(1)
	v_mul_f64 v[237:238], v[2:3], v[20:21]
	v_mul_f64 v[20:21], v[4:5], v[20:21]
	;; [unrolled: 18-line block ×12, first 2 shown]
	s_waitcnt vmcnt(8) lgkmcnt(0)
	v_mul_f64 v[231:232], v[180:181], v[24:25]
	v_mul_f64 v[24:25], v[182:183], v[24:25]
	v_add_f64 v[169:170], v[169:170], v[235:236]
	v_add_f64 v[229:230], v[229:230], v[233:234]
	v_fma_f64 v[233:234], v[4:5], v[18:19], v[237:238]
	v_fma_f64 v[235:236], v[2:3], v[18:19], -v[20:21]
	ds_load_b128 v[2:5], v1 offset:1632
	ds_load_b128 v[18:21], v1 offset:1648
	v_fma_f64 v[182:183], v[182:183], v[22:23], v[231:232]
	v_fma_f64 v[22:23], v[180:181], v[22:23], -v[24:25]
	v_add_f64 v[169:170], v[169:170], v[176:177]
	v_add_f64 v[176:177], v[229:230], v[178:179]
	s_waitcnt vmcnt(7) lgkmcnt(1)
	v_mul_f64 v[178:179], v[2:3], v[28:29]
	v_mul_f64 v[28:29], v[4:5], v[28:29]
	s_delay_alu instid0(VALU_DEP_4) | instskip(NEXT) | instid1(VALU_DEP_4)
	v_add_f64 v[24:25], v[169:170], v[235:236]
	v_add_f64 v[169:170], v[176:177], v[233:234]
	s_waitcnt vmcnt(6) lgkmcnt(0)
	v_mul_f64 v[176:177], v[18:19], v[32:33]
	v_mul_f64 v[32:33], v[20:21], v[32:33]
	v_fma_f64 v[178:179], v[4:5], v[26:27], v[178:179]
	v_fma_f64 v[26:27], v[2:3], v[26:27], -v[28:29]
	v_add_f64 v[28:29], v[24:25], v[22:23]
	v_add_f64 v[169:170], v[169:170], v[182:183]
	ds_load_b128 v[2:5], v1 offset:1664
	ds_load_b128 v[22:25], v1 offset:1680
	v_fma_f64 v[20:21], v[20:21], v[30:31], v[176:177]
	v_fma_f64 v[18:19], v[18:19], v[30:31], -v[32:33]
	s_waitcnt vmcnt(5) lgkmcnt(1)
	v_mul_f64 v[180:181], v[2:3], v[36:37]
	v_mul_f64 v[36:37], v[4:5], v[36:37]
	s_waitcnt vmcnt(4) lgkmcnt(0)
	v_mul_f64 v[30:31], v[22:23], v[40:41]
	v_mul_f64 v[32:33], v[24:25], v[40:41]
	v_add_f64 v[26:27], v[28:29], v[26:27]
	v_add_f64 v[28:29], v[169:170], v[178:179]
	v_fma_f64 v[40:41], v[4:5], v[34:35], v[180:181]
	v_fma_f64 v[34:35], v[2:3], v[34:35], -v[36:37]
	v_fma_f64 v[24:25], v[24:25], v[38:39], v[30:31]
	v_fma_f64 v[22:23], v[22:23], v[38:39], -v[32:33]
	v_add_f64 v[26:27], v[26:27], v[18:19]
	v_add_f64 v[28:29], v[28:29], v[20:21]
	ds_load_b128 v[2:5], v1 offset:1696
	ds_load_b128 v[18:21], v1 offset:1712
	s_waitcnt vmcnt(3) lgkmcnt(1)
	v_mul_f64 v[36:37], v[2:3], v[44:45]
	v_mul_f64 v[44:45], v[4:5], v[44:45]
	s_waitcnt vmcnt(2) lgkmcnt(0)
	v_mul_f64 v[30:31], v[18:19], v[8:9]
	v_mul_f64 v[8:9], v[20:21], v[8:9]
	v_add_f64 v[26:27], v[26:27], v[34:35]
	v_add_f64 v[28:29], v[28:29], v[40:41]
	v_fma_f64 v[32:33], v[4:5], v[42:43], v[36:37]
	v_fma_f64 v[34:35], v[2:3], v[42:43], -v[44:45]
	v_fma_f64 v[20:21], v[20:21], v[6:7], v[30:31]
	v_fma_f64 v[6:7], v[18:19], v[6:7], -v[8:9]
	v_add_f64 v[26:27], v[26:27], v[22:23]
	v_add_f64 v[28:29], v[28:29], v[24:25]
	ds_load_b128 v[2:5], v1 offset:1728
	ds_load_b128 v[22:25], v1 offset:1744
	s_waitcnt vmcnt(1) lgkmcnt(1)
	v_mul_f64 v[36:37], v[2:3], v[12:13]
	v_mul_f64 v[12:13], v[4:5], v[12:13]
	v_add_f64 v[8:9], v[26:27], v[34:35]
	v_add_f64 v[18:19], v[28:29], v[32:33]
	s_waitcnt vmcnt(0) lgkmcnt(0)
	v_mul_f64 v[26:27], v[22:23], v[16:17]
	v_mul_f64 v[16:17], v[24:25], v[16:17]
	v_fma_f64 v[4:5], v[4:5], v[10:11], v[36:37]
	v_fma_f64 v[1:2], v[2:3], v[10:11], -v[12:13]
	v_add_f64 v[6:7], v[8:9], v[6:7]
	v_add_f64 v[8:9], v[18:19], v[20:21]
	v_fma_f64 v[10:11], v[24:25], v[14:15], v[26:27]
	v_fma_f64 v[12:13], v[22:23], v[14:15], -v[16:17]
	s_delay_alu instid0(VALU_DEP_4) | instskip(NEXT) | instid1(VALU_DEP_4)
	v_add_f64 v[1:2], v[6:7], v[1:2]
	v_add_f64 v[3:4], v[8:9], v[4:5]
	s_delay_alu instid0(VALU_DEP_2) | instskip(NEXT) | instid1(VALU_DEP_2)
	v_add_f64 v[1:2], v[1:2], v[12:13]
	v_add_f64 v[3:4], v[3:4], v[10:11]
	s_delay_alu instid0(VALU_DEP_2) | instskip(NEXT) | instid1(VALU_DEP_2)
	v_add_f64 v[1:2], v[172:173], -v[1:2]
	v_add_f64 v[3:4], v[174:175], -v[3:4]
	scratch_store_b128 off, v[1:4], off
	s_cbranch_vccz .LBB118_453
; %bb.344:
	v_dual_mov_b32 v1, s8 :: v_dual_mov_b32 v2, s9
	s_load_b64 s[0:1], s[0:1], 0x4
	flat_load_b32 v1, v[1:2] offset:212
	v_bfe_u32 v2, v0, 10, 10
	v_bfe_u32 v0, v0, 20, 10
	s_waitcnt lgkmcnt(0)
	s_lshr_b32 s0, s0, 16
	s_delay_alu instid0(VALU_DEP_2) | instskip(SKIP_1) | instid1(SALU_CYCLE_1)
	v_mul_u32_u24_e32 v2, s1, v2
	s_mul_i32 s0, s0, s1
	v_mul_u32_u24_e32 v3, s0, v156
	s_mov_b32 s0, exec_lo
	s_delay_alu instid0(VALU_DEP_1) | instskip(NEXT) | instid1(VALU_DEP_1)
	v_add3_u32 v0, v3, v2, v0
	v_lshl_add_u32 v0, v0, 4, 0x6e8
	s_waitcnt vmcnt(0)
	v_cmpx_ne_u32_e32 54, v1
	s_cbranch_execz .LBB118_346
; %bb.345:
	v_lshl_add_u32 v9, v1, 4, 0
	s_clause 0x1
	scratch_load_b128 v[1:4], v159, off
	scratch_load_b128 v[5:8], v9, off offset:-16
	s_waitcnt vmcnt(1)
	ds_store_2addr_b64 v0, v[1:2], v[3:4] offset1:1
	s_waitcnt vmcnt(0)
	s_clause 0x1
	scratch_store_b128 v159, v[5:8], off
	scratch_store_b128 v9, v[1:4], off offset:-16
.LBB118_346:
	s_or_b32 exec_lo, exec_lo, s0
	v_dual_mov_b32 v1, s8 :: v_dual_mov_b32 v2, s9
	s_mov_b32 s0, exec_lo
	flat_load_b32 v1, v[1:2] offset:208
	s_waitcnt vmcnt(0) lgkmcnt(0)
	v_cmpx_ne_u32_e32 53, v1
	s_cbranch_execz .LBB118_348
; %bb.347:
	v_lshl_add_u32 v9, v1, 4, 0
	s_clause 0x1
	scratch_load_b128 v[1:4], v162, off
	scratch_load_b128 v[5:8], v9, off offset:-16
	s_waitcnt vmcnt(1)
	ds_store_2addr_b64 v0, v[1:2], v[3:4] offset1:1
	s_waitcnt vmcnt(0)
	s_clause 0x1
	scratch_store_b128 v162, v[5:8], off
	scratch_store_b128 v9, v[1:4], off offset:-16
.LBB118_348:
	s_or_b32 exec_lo, exec_lo, s0
	v_dual_mov_b32 v1, s8 :: v_dual_mov_b32 v2, s9
	s_mov_b32 s0, exec_lo
	flat_load_b32 v1, v[1:2] offset:204
	s_waitcnt vmcnt(0) lgkmcnt(0)
	;; [unrolled: 19-line block ×52, first 2 shown]
	v_cmpx_ne_u32_e32 2, v1
	s_cbranch_execz .LBB118_450
; %bb.449:
	v_lshl_add_u32 v9, v1, 4, 0
	s_clause 0x1
	scratch_load_b128 v[1:4], v210, off
	scratch_load_b128 v[5:8], v9, off offset:-16
	s_waitcnt vmcnt(1)
	ds_store_2addr_b64 v0, v[1:2], v[3:4] offset1:1
	s_waitcnt vmcnt(0)
	s_clause 0x1
	scratch_store_b128 v210, v[5:8], off
	scratch_store_b128 v9, v[1:4], off offset:-16
.LBB118_450:
	s_or_b32 exec_lo, exec_lo, s0
	v_dual_mov_b32 v1, s8 :: v_dual_mov_b32 v2, s9
	s_mov_b32 s0, exec_lo
	flat_load_b32 v1, v[1:2]
	s_waitcnt vmcnt(0) lgkmcnt(0)
	v_cmpx_ne_u32_e32 1, v1
	s_cbranch_execz .LBB118_452
; %bb.451:
	v_lshl_add_u32 v9, v1, 4, 0
	scratch_load_b128 v[1:4], off, off
	scratch_load_b128 v[5:8], v9, off offset:-16
	s_waitcnt vmcnt(1)
	ds_store_2addr_b64 v0, v[1:2], v[3:4] offset1:1
	s_waitcnt vmcnt(0)
	scratch_store_b128 off, v[5:8], off
	scratch_store_b128 v9, v[1:4], off offset:-16
.LBB118_452:
	s_or_b32 exec_lo, exec_lo, s0
.LBB118_453:
	scratch_load_b128 v[0:3], off, off
	s_clause 0x15
	scratch_load_b128 v[4:7], v210, off
	scratch_load_b128 v[8:11], v209, off
	;; [unrolled: 1-line block ×22, first 2 shown]
	s_waitcnt vmcnt(22)
	global_store_b128 v[46:47], v[0:3], off
	s_clause 0x1
	scratch_load_b128 v[0:3], v188, off
	scratch_load_b128 v[44:47], v187, off
	s_waitcnt vmcnt(23)
	global_store_b128 v[48:49], v[4:7], off
	s_clause 0x1
	scratch_load_b128 v[4:7], v186, off
	scratch_load_b128 v[184:187], v185, off
	;; [unrolled: 5-line block ×16, first 2 shown]
	s_waitcnt vmcnt(38)
	global_store_b128 v[78:79], v[205:208], off
	s_waitcnt vmcnt(37)
	global_store_b128 v[80:81], v[229:232], off
	;; [unrolled: 2-line block ×39, first 2 shown]
	s_endpgm
	.section	.rodata,"a",@progbits
	.p2align	6, 0x0
	.amdhsa_kernel _ZN9rocsolver6v33100L18getri_kernel_smallILi55E19rocblas_complex_numIdEPKPS3_EEvT1_iilPiilS8_bb
		.amdhsa_group_segment_fixed_size 2792
		.amdhsa_private_segment_fixed_size 896
		.amdhsa_kernarg_size 60
		.amdhsa_user_sgpr_count 15
		.amdhsa_user_sgpr_dispatch_ptr 1
		.amdhsa_user_sgpr_queue_ptr 0
		.amdhsa_user_sgpr_kernarg_segment_ptr 1
		.amdhsa_user_sgpr_dispatch_id 0
		.amdhsa_user_sgpr_private_segment_size 0
		.amdhsa_wavefront_size32 1
		.amdhsa_uses_dynamic_stack 0
		.amdhsa_enable_private_segment 1
		.amdhsa_system_sgpr_workgroup_id_x 1
		.amdhsa_system_sgpr_workgroup_id_y 0
		.amdhsa_system_sgpr_workgroup_id_z 0
		.amdhsa_system_sgpr_workgroup_info 0
		.amdhsa_system_vgpr_workitem_id 2
		.amdhsa_next_free_vgpr 255
		.amdhsa_next_free_sgpr 61
		.amdhsa_reserve_vcc 1
		.amdhsa_float_round_mode_32 0
		.amdhsa_float_round_mode_16_64 0
		.amdhsa_float_denorm_mode_32 3
		.amdhsa_float_denorm_mode_16_64 3
		.amdhsa_dx10_clamp 1
		.amdhsa_ieee_mode 1
		.amdhsa_fp16_overflow 0
		.amdhsa_workgroup_processor_mode 1
		.amdhsa_memory_ordered 1
		.amdhsa_forward_progress 0
		.amdhsa_shared_vgpr_count 0
		.amdhsa_exception_fp_ieee_invalid_op 0
		.amdhsa_exception_fp_denorm_src 0
		.amdhsa_exception_fp_ieee_div_zero 0
		.amdhsa_exception_fp_ieee_overflow 0
		.amdhsa_exception_fp_ieee_underflow 0
		.amdhsa_exception_fp_ieee_inexact 0
		.amdhsa_exception_int_div_zero 0
	.end_amdhsa_kernel
	.section	.text._ZN9rocsolver6v33100L18getri_kernel_smallILi55E19rocblas_complex_numIdEPKPS3_EEvT1_iilPiilS8_bb,"axG",@progbits,_ZN9rocsolver6v33100L18getri_kernel_smallILi55E19rocblas_complex_numIdEPKPS3_EEvT1_iilPiilS8_bb,comdat
.Lfunc_end118:
	.size	_ZN9rocsolver6v33100L18getri_kernel_smallILi55E19rocblas_complex_numIdEPKPS3_EEvT1_iilPiilS8_bb, .Lfunc_end118-_ZN9rocsolver6v33100L18getri_kernel_smallILi55E19rocblas_complex_numIdEPKPS3_EEvT1_iilPiilS8_bb
                                        ; -- End function
	.section	.AMDGPU.csdata,"",@progbits
; Kernel info:
; codeLenInByte = 135024
; NumSgprs: 63
; NumVgprs: 255
; ScratchSize: 896
; MemoryBound: 0
; FloatMode: 240
; IeeeMode: 1
; LDSByteSize: 2792 bytes/workgroup (compile time only)
; SGPRBlocks: 7
; VGPRBlocks: 31
; NumSGPRsForWavesPerEU: 63
; NumVGPRsForWavesPerEU: 255
; Occupancy: 5
; WaveLimiterHint : 1
; COMPUTE_PGM_RSRC2:SCRATCH_EN: 1
; COMPUTE_PGM_RSRC2:USER_SGPR: 15
; COMPUTE_PGM_RSRC2:TRAP_HANDLER: 0
; COMPUTE_PGM_RSRC2:TGID_X_EN: 1
; COMPUTE_PGM_RSRC2:TGID_Y_EN: 0
; COMPUTE_PGM_RSRC2:TGID_Z_EN: 0
; COMPUTE_PGM_RSRC2:TIDIG_COMP_CNT: 2
	.section	.text._ZN9rocsolver6v33100L18getri_kernel_smallILi56E19rocblas_complex_numIdEPKPS3_EEvT1_iilPiilS8_bb,"axG",@progbits,_ZN9rocsolver6v33100L18getri_kernel_smallILi56E19rocblas_complex_numIdEPKPS3_EEvT1_iilPiilS8_bb,comdat
	.globl	_ZN9rocsolver6v33100L18getri_kernel_smallILi56E19rocblas_complex_numIdEPKPS3_EEvT1_iilPiilS8_bb ; -- Begin function _ZN9rocsolver6v33100L18getri_kernel_smallILi56E19rocblas_complex_numIdEPKPS3_EEvT1_iilPiilS8_bb
	.p2align	8
	.type	_ZN9rocsolver6v33100L18getri_kernel_smallILi56E19rocblas_complex_numIdEPKPS3_EEvT1_iilPiilS8_bb,@function
_ZN9rocsolver6v33100L18getri_kernel_smallILi56E19rocblas_complex_numIdEPKPS3_EEvT1_iilPiilS8_bb: ; @_ZN9rocsolver6v33100L18getri_kernel_smallILi56E19rocblas_complex_numIdEPKPS3_EEvT1_iilPiilS8_bb
; %bb.0:
	v_and_b32_e32 v154, 0x3ff, v0
	s_mov_b32 s4, exec_lo
	s_delay_alu instid0(VALU_DEP_1)
	v_cmpx_gt_u32_e32 56, v154
	s_cbranch_execz .LBB119_238
; %bb.1:
	s_mov_b32 s10, s15
	s_clause 0x2
	s_load_b32 s15, s[2:3], 0x38
	s_load_b64 s[8:9], s[2:3], 0x0
	s_load_b128 s[4:7], s[2:3], 0x28
	s_waitcnt lgkmcnt(0)
	s_bitcmp1_b32 s15, 8
	s_cselect_b32 s14, -1, 0
	s_ashr_i32 s11, s10, 31
	s_delay_alu instid0(SALU_CYCLE_1) | instskip(NEXT) | instid1(SALU_CYCLE_1)
	s_lshl_b64 s[12:13], s[10:11], 3
	s_add_u32 s8, s8, s12
	s_addc_u32 s9, s9, s13
	s_load_b64 s[12:13], s[8:9], 0x0
	s_bfe_u32 s8, s15, 0x10008
	s_delay_alu instid0(SALU_CYCLE_1)
	s_cmp_eq_u32 s8, 0
                                        ; implicit-def: $sgpr8_sgpr9
	s_cbranch_scc1 .LBB119_3
; %bb.2:
	s_clause 0x1
	s_load_b32 s8, s[2:3], 0x20
	s_load_b64 s[16:17], s[2:3], 0x18
	s_mul_i32 s5, s10, s5
	s_mul_hi_u32 s9, s10, s4
	s_mul_i32 s18, s11, s4
	s_add_i32 s5, s9, s5
	s_mul_i32 s4, s10, s4
	s_add_i32 s5, s5, s18
	s_delay_alu instid0(SALU_CYCLE_1)
	s_lshl_b64 s[4:5], s[4:5], 2
	s_waitcnt lgkmcnt(0)
	s_ashr_i32 s9, s8, 31
	s_add_u32 s16, s16, s4
	s_addc_u32 s17, s17, s5
	s_lshl_b64 s[4:5], s[8:9], 2
	s_delay_alu instid0(SALU_CYCLE_1)
	s_add_u32 s8, s16, s4
	s_addc_u32 s9, s17, s5
.LBB119_3:
	s_load_b64 s[2:3], s[2:3], 0x8
	v_lshlrev_b32_e32 v13, 4, v154
	s_movk_i32 s39, 0x210
	s_movk_i32 s41, 0x230
	;; [unrolled: 1-line block ×18, first 2 shown]
	s_waitcnt lgkmcnt(0)
	v_add3_u32 v1, s3, s3, v154
	s_ashr_i32 s5, s2, 31
	s_mov_b32 s4, s2
	s_mov_b32 s16, s3
	s_lshl_b64 s[4:5], s[4:5], 4
	v_add_nc_u32_e32 v7, s3, v1
	v_ashrrev_i32_e32 v2, 31, v1
	s_add_u32 s4, s12, s4
	s_addc_u32 s5, s13, s5
	v_add_co_u32 v42, s2, s4, v13
	v_add_nc_u32_e32 v9, s3, v7
	s_ashr_i32 s17, s3, 31
	v_add_co_ci_u32_e64 v43, null, s5, 0, s2
	v_lshlrev_b64 v[1:2], 4, v[1:2]
	s_lshl_b64 s[12:13], s[16:17], 4
	v_add_nc_u32_e32 v11, s3, v9
	v_add_co_u32 v16, vcc_lo, v42, s12
	v_ashrrev_i32_e32 v8, 31, v7
	v_add_co_ci_u32_e32 v17, vcc_lo, s13, v43, vcc_lo
	v_add_co_u32 v14, vcc_lo, s4, v1
	v_add_nc_u32_e32 v1, s3, v11
	v_ashrrev_i32_e32 v10, 31, v9
	v_lshlrev_b64 v[18:19], 4, v[7:8]
	v_ashrrev_i32_e32 v12, 31, v11
	v_add_co_ci_u32_e32 v15, vcc_lo, s5, v2, vcc_lo
	v_add_nc_u32_e32 v26, s3, v1
	v_lshlrev_b64 v[20:21], 4, v[9:10]
	v_add_co_u32 v50, vcc_lo, s4, v18
	v_lshlrev_b64 v[11:12], 4, v[11:12]
	v_ashrrev_i32_e32 v2, 31, v1
	v_add_nc_u32_e32 v28, s3, v26
	v_add_co_ci_u32_e32 v51, vcc_lo, s5, v19, vcc_lo
	v_add_co_u32 v22, vcc_lo, s4, v20
	v_add_co_ci_u32_e32 v23, vcc_lo, s5, v21, vcc_lo
	v_lshlrev_b64 v[1:2], 4, v[1:2]
	v_add_co_u32 v54, vcc_lo, s4, v11
	v_add_nc_u32_e32 v11, s3, v28
	v_ashrrev_i32_e32 v27, 31, v26
	v_add_co_ci_u32_e32 v55, vcc_lo, s5, v12, vcc_lo
	v_add_co_u32 v52, vcc_lo, s4, v1
	s_delay_alu instid0(VALU_DEP_4)
	v_add_nc_u32_e32 v1, s3, v11
	v_ashrrev_i32_e32 v29, 31, v28
	v_lshlrev_b64 v[34:35], 4, v[26:27]
	v_ashrrev_i32_e32 v12, 31, v11
	v_add_co_ci_u32_e32 v53, vcc_lo, s5, v2, vcc_lo
	v_add_nc_u32_e32 v60, s3, v1
	v_lshlrev_b64 v[36:37], 4, v[28:29]
	v_add_co_u32 v58, vcc_lo, s4, v34
	v_lshlrev_b64 v[11:12], 4, v[11:12]
	v_ashrrev_i32_e32 v2, 31, v1
	v_add_nc_u32_e32 v64, s3, v60
	v_add_co_ci_u32_e32 v59, vcc_lo, s5, v35, vcc_lo
	v_add_co_u32 v56, vcc_lo, s4, v36
	v_add_co_ci_u32_e32 v57, vcc_lo, s5, v37, vcc_lo
	v_lshlrev_b64 v[1:2], 4, v[1:2]
	v_ashrrev_i32_e32 v61, 31, v60
	v_add_co_u32 v62, vcc_lo, s4, v11
	v_add_nc_u32_e32 v11, s3, v64
	v_add_co_ci_u32_e32 v63, vcc_lo, s5, v12, vcc_lo
	s_delay_alu instid0(VALU_DEP_4) | instskip(SKIP_1) | instid1(VALU_DEP_4)
	v_lshlrev_b64 v[66:67], 4, v[60:61]
	v_add_co_u32 v60, vcc_lo, s4, v1
	v_add_nc_u32_e32 v1, s3, v11
	v_ashrrev_i32_e32 v65, 31, v64
	v_ashrrev_i32_e32 v12, 31, v11
	v_add_co_ci_u32_e32 v61, vcc_lo, s5, v2, vcc_lo
	s_delay_alu instid0(VALU_DEP_4) | instskip(NEXT) | instid1(VALU_DEP_4)
	v_add_nc_u32_e32 v68, s3, v1
	v_lshlrev_b64 v[64:65], 4, v[64:65]
	v_add_co_u32 v66, vcc_lo, s4, v66
	v_lshlrev_b64 v[11:12], 4, v[11:12]
	v_ashrrev_i32_e32 v2, 31, v1
	v_add_nc_u32_e32 v72, s3, v68
	v_add_co_ci_u32_e32 v67, vcc_lo, s5, v67, vcc_lo
	v_add_co_u32 v64, vcc_lo, s4, v64
	v_add_co_ci_u32_e32 v65, vcc_lo, s5, v65, vcc_lo
	v_lshlrev_b64 v[1:2], 4, v[1:2]
	v_ashrrev_i32_e32 v69, 31, v68
	v_add_co_u32 v70, vcc_lo, s4, v11
	v_add_nc_u32_e32 v11, s3, v72
	global_load_b128 v[3:6], v13, s[4:5]
	s_clause 0x1
	scratch_store_b64 off, v[16:17], off offset:912
	scratch_store_b64 off, v[22:23], off offset:920
	s_clause 0x1
	global_load_b128 v[7:10], v[16:17], off
	global_load_b128 v[22:25], v[22:23], off
	scratch_store_b64 off, v[14:15], off offset:904 ; 8-byte Folded Spill
	s_clause 0x2
	global_load_b128 v[14:17], v[14:15], off
	global_load_b128 v[18:21], v[50:51], off
	;; [unrolled: 1-line block ×3, first 2 shown]
	v_add_co_ci_u32_e32 v71, vcc_lo, s5, v12, vcc_lo
	s_clause 0x1
	global_load_b128 v[26:29], v[54:55], off
	global_load_b128 v[38:41], v[56:57], off
	v_lshlrev_b64 v[74:75], 4, v[68:69]
	v_add_co_u32 v68, vcc_lo, s4, v1
	v_add_nc_u32_e32 v1, s3, v11
	s_clause 0x3
	global_load_b128 v[34:37], v[58:59], off
	global_load_b128 v[126:129], v[60:61], off
	;; [unrolled: 1-line block ×4, first 2 shown]
	v_add_nc_u32_e32 v78, s3, v1
	v_ashrrev_i32_e32 v73, 31, v72
	global_load_b128 v[130:133], v[66:67], off
	v_ashrrev_i32_e32 v12, 31, v11
	v_add_co_ci_u32_e32 v69, vcc_lo, s5, v2, vcc_lo
	v_add_nc_u32_e32 v80, s3, v78
	v_lshlrev_b64 v[76:77], 4, v[72:73]
	v_ashrrev_i32_e32 v2, 31, v1
	global_load_b128 v[142:145], v[68:69], off
	v_add_co_u32 v72, vcc_lo, s4, v74
	v_lshlrev_b64 v[11:12], 4, v[11:12]
	v_add_nc_u32_e32 v82, s3, v80
	global_load_b128 v[138:141], v[70:71], off
	v_add_co_ci_u32_e32 v73, vcc_lo, s5, v75, vcc_lo
	v_add_co_u32 v74, vcc_lo, s4, v76
	v_lshlrev_b64 v[1:2], 4, v[1:2]
	global_load_b128 v[146:149], v[72:73], off
	v_ashrrev_i32_e32 v79, 31, v78
	v_add_co_ci_u32_e32 v75, vcc_lo, s5, v77, vcc_lo
	v_add_nc_u32_e32 v84, s3, v82
	v_add_co_u32 v76, vcc_lo, s4, v11
	v_ashrrev_i32_e32 v81, 31, v80
	v_add_co_ci_u32_e32 v77, vcc_lo, s5, v12, vcc_lo
	v_lshlrev_b64 v[11:12], 4, v[78:79]
	v_add_co_u32 v78, vcc_lo, s4, v1
	v_add_nc_u32_e32 v88, s3, v84
	v_add_co_ci_u32_e32 v79, vcc_lo, s5, v2, vcc_lo
	v_lshlrev_b64 v[1:2], 4, v[80:81]
	v_ashrrev_i32_e32 v83, 31, v82
	v_add_co_u32 v80, vcc_lo, s4, v11
	v_ashrrev_i32_e32 v85, 31, v84
	v_add_nc_u32_e32 v90, s3, v88
	v_add_co_ci_u32_e32 v81, vcc_lo, s5, v12, vcc_lo
	v_lshlrev_b64 v[86:87], 4, v[82:83]
	v_add_co_u32 v82, vcc_lo, s4, v1
	v_ashrrev_i32_e32 v89, 31, v88
	v_add_co_ci_u32_e32 v83, vcc_lo, s5, v2, vcc_lo
	v_lshlrev_b64 v[1:2], 4, v[84:85]
	v_ashrrev_i32_e32 v91, 31, v90
	v_add_co_u32 v84, vcc_lo, s4, v86
	v_lshlrev_b64 v[88:89], 4, v[88:89]
	v_add_co_ci_u32_e32 v85, vcc_lo, s5, v87, vcc_lo
	v_add_nc_u32_e32 v11, s3, v90
	v_add_co_u32 v86, vcc_lo, s4, v1
	v_lshlrev_b64 v[90:91], 4, v[90:91]
	v_add_co_ci_u32_e32 v87, vcc_lo, s5, v2, vcc_lo
	v_add_co_u32 v88, vcc_lo, s4, v88
	v_add_co_ci_u32_e32 v89, vcc_lo, s5, v89, vcc_lo
	s_delay_alu instid0(VALU_DEP_4)
	v_add_co_u32 v90, vcc_lo, s4, v90
	s_clause 0x1
	global_load_b128 v[150:153], v[74:75], off
	global_load_b128 v[155:158], v[76:77], off
	v_add_co_ci_u32_e32 v91, vcc_lo, s5, v91, vcc_lo
	s_clause 0x6
	global_load_b128 v[159:162], v[78:79], off
	global_load_b128 v[163:166], v[80:81], off
	;; [unrolled: 1-line block ×7, first 2 shown]
	v_add_nc_u32_e32 v94, s3, v11
	v_ashrrev_i32_e32 v12, 31, v11
	s_movk_i32 s2, 0x50
	s_movk_i32 s12, 0x90
	;; [unrolled: 1-line block ×3, first 2 shown]
	v_add_nc_u32_e32 v96, s3, v94
	v_lshlrev_b64 v[11:12], 4, v[11:12]
	v_ashrrev_i32_e32 v95, 31, v94
	s_movk_i32 s16, 0xb0
	s_movk_i32 s17, 0xc0
	v_add_nc_u32_e32 v98, s3, v96
	v_ashrrev_i32_e32 v97, 31, v96
	v_add_co_u32 v92, vcc_lo, s4, v11
	v_add_co_ci_u32_e32 v93, vcc_lo, s5, v12, vcc_lo
	s_delay_alu instid0(VALU_DEP_4)
	v_add_nc_u32_e32 v100, s3, v98
	v_lshlrev_b64 v[11:12], 4, v[94:95]
	v_ashrrev_i32_e32 v99, 31, v98
	global_load_b128 v[187:190], v[92:93], off
	s_movk_i32 s35, 0x1d0
	v_add_nc_u32_e32 v1, s3, v100
	v_ashrrev_i32_e32 v101, 31, v100
	v_add_co_u32 v94, vcc_lo, s4, v11
	v_add_co_ci_u32_e32 v95, vcc_lo, s5, v12, vcc_lo
	s_delay_alu instid0(VALU_DEP_4)
	v_add_nc_u32_e32 v104, s3, v1
	v_lshlrev_b64 v[11:12], 4, v[96:97]
	v_lshlrev_b64 v[96:97], 4, v[98:99]
	global_load_b128 v[191:194], v[94:95], off
	v_ashrrev_i32_e32 v2, 31, v1
	v_add_nc_u32_e32 v106, s3, v104
	v_ashrrev_i32_e32 v105, 31, v104
	v_add_co_u32 v98, vcc_lo, s4, v11
	v_add_co_ci_u32_e32 v99, vcc_lo, s5, v12, vcc_lo
	s_delay_alu instid0(VALU_DEP_4) | instskip(SKIP_3) | instid1(VALU_DEP_4)
	v_add_nc_u32_e32 v108, s3, v106
	v_lshlrev_b64 v[11:12], 4, v[100:101]
	v_add_co_u32 v100, vcc_lo, s4, v96
	v_add_co_ci_u32_e32 v101, vcc_lo, s5, v97, vcc_lo
	v_add_nc_u32_e32 v110, s3, v108
	v_lshlrev_b64 v[1:2], 4, v[1:2]
	v_ashrrev_i32_e32 v107, 31, v106
	v_ashrrev_i32_e32 v109, 31, v108
	s_clause 0x1
	global_load_b128 v[195:198], v[98:99], off
	global_load_b128 v[210:213], v[100:101], off
	v_add_nc_u32_e32 v112, s3, v110
	v_ashrrev_i32_e32 v111, 31, v110
	v_lshlrev_b64 v[208:209], 4, v[106:107]
	v_lshlrev_b64 v[218:219], 4, v[108:109]
	s_movk_i32 s36, 0x1e0
	v_add_nc_u32_e32 v114, s3, v112
	v_ashrrev_i32_e32 v113, 31, v112
	s_movk_i32 s37, 0x1f0
	s_movk_i32 s38, 0x200
	s_movk_i32 s40, 0x220
	v_add_nc_u32_e32 v116, s3, v114
	v_ashrrev_i32_e32 v115, 31, v114
	s_movk_i32 s42, 0x240
	s_movk_i32 s43, 0x250
	;; [unrolled: 5-line block ×6, first 2 shown]
	s_movk_i32 s56, 0x320
	v_add_nc_u32_e32 v203, s3, v201
	v_lshlrev_b64 v[199:200], 4, v[199:200]
	v_ashrrev_i32_e32 v202, 31, v201
	s_movk_i32 s57, 0x330
	s_movk_i32 s58, 0x340
	v_add_nc_u32_e32 v205, s3, v203
	v_ashrrev_i32_e32 v204, 31, v203
	v_lshlrev_b64 v[201:202], 4, v[201:202]
	s_movk_i32 s59, 0x350
	s_movk_i32 s60, 0x360
	v_add_nc_u32_e32 v207, s3, v205
	v_ashrrev_i32_e32 v206, 31, v205
	s_movk_i32 s61, 0x370
	s_bitcmp0_b32 s15, 0
	s_delay_alu instid0(VALU_DEP_2) | instskip(NEXT) | instid1(VALU_DEP_1)
	v_add_nc_u32_e32 v234, s3, v207
	v_add_nc_u32_e32 v236, s3, v234
	v_ashrrev_i32_e32 v235, 31, v234
	s_delay_alu instid0(VALU_DEP_2) | instskip(SKIP_1) | instid1(VALU_DEP_2)
	v_add_nc_u32_e32 v242, s3, v236
	v_ashrrev_i32_e32 v237, 31, v236
	v_add_nc_u32_e32 v244, s3, v242
	v_ashrrev_i32_e32 v243, 31, v242
	s_delay_alu instid0(VALU_DEP_2) | instskip(SKIP_1) | instid1(VALU_DEP_2)
	v_add_nc_u32_e32 v250, s3, v244
	v_ashrrev_i32_e32 v245, 31, v244
	;; [unrolled: 5-line block ×4, first 2 shown]
	v_add_nc_u32_e32 v48, s3, v46
	s_delay_alu instid0(VALU_DEP_2) | instskip(SKIP_1) | instid1(VALU_DEP_3)
	v_lshlrev_b64 v[44:45], 4, v[44:45]
	v_ashrrev_i32_e32 v47, 31, v46
	v_add_nc_u32_e32 v102, s3, v48
	v_ashrrev_i32_e32 v49, 31, v48
	s_delay_alu instid0(VALU_DEP_3) | instskip(SKIP_1) | instid1(VALU_DEP_3)
	v_lshlrev_b64 v[46:47], 4, v[46:47]
	s_movk_i32 s3, 0x60
	v_ashrrev_i32_e32 v103, 31, v102
	s_delay_alu instid0(VALU_DEP_1) | instskip(SKIP_3) | instid1(VALU_DEP_4)
	v_lshlrev_b64 v[96:97], 4, v[102:103]
	v_add_co_u32 v102, vcc_lo, s4, v11
	v_add_co_ci_u32_e32 v103, vcc_lo, s5, v12, vcc_lo
	v_lshlrev_b64 v[11:12], 4, v[104:105]
	v_add_co_u32 v96, vcc_lo, s4, v96
	v_add_co_ci_u32_e32 v97, vcc_lo, s5, v97, vcc_lo
	v_add_co_u32 v104, vcc_lo, s4, v1
	v_add_co_ci_u32_e32 v105, vcc_lo, s5, v2, vcc_lo
	v_add_co_u32 v106, vcc_lo, s4, v11
	v_add_co_ci_u32_e32 v107, vcc_lo, s5, v12, vcc_lo
	v_add_co_u32 v108, vcc_lo, s4, v208
	v_add_co_ci_u32_e32 v109, vcc_lo, s5, v209, vcc_lo
	v_lshlrev_b64 v[208:209], 4, v[110:111]
	v_add_co_u32 v110, vcc_lo, s4, v218
	v_add_co_ci_u32_e32 v111, vcc_lo, s5, v219, vcc_lo
	v_lshlrev_b64 v[218:219], 4, v[112:113]
	s_delay_alu instid0(VALU_DEP_4) | instskip(SKIP_2) | instid1(VALU_DEP_4)
	v_add_co_u32 v112, vcc_lo, s4, v208
	v_add_co_ci_u32_e32 v113, vcc_lo, s5, v209, vcc_lo
	v_lshlrev_b64 v[208:209], 4, v[114:115]
	v_add_co_u32 v114, vcc_lo, s4, v218
	v_add_co_ci_u32_e32 v115, vcc_lo, s5, v219, vcc_lo
	v_lshlrev_b64 v[218:219], 4, v[116:117]
	s_delay_alu instid0(VALU_DEP_4) | instskip(SKIP_2) | instid1(VALU_DEP_4)
	v_add_co_u32 v116, vcc_lo, s4, v208
	v_add_co_ci_u32_e32 v117, vcc_lo, s5, v209, vcc_lo
	v_lshlrev_b64 v[208:209], 4, v[118:119]
	v_add_co_u32 v118, vcc_lo, s4, v218
	v_add_co_ci_u32_e32 v119, vcc_lo, s5, v219, vcc_lo
	v_lshlrev_b64 v[218:219], 4, v[120:121]
	global_load_b128 v[214:217], v[96:97], off
	s_waitcnt vmcnt(29)
	scratch_store_b128 off, v[3:6], off
	s_waitcnt vmcnt(28)
	scratch_store_b128 off, v[7:10], off offset:16
	s_clause 0x1
	global_load_b128 v[1:4], v[102:103], off
	global_load_b128 v[5:8], v[104:105], off
	s_waitcnt vmcnt(28)
	scratch_store_b128 off, v[14:17], off offset:32
	s_waitcnt vmcnt(27)
	scratch_store_b128 off, v[18:21], off offset:48
	v_add_co_u32 v120, vcc_lo, s4, v208
	s_clause 0x1
	global_load_b128 v[9:12], v[106:107], off
	global_load_b128 v[14:17], v[108:109], off
	scratch_store_b128 off, v[22:25], off offset:64
	s_waitcnt vmcnt(27)
	scratch_store_b128 off, v[26:29], off offset:80
	s_clause 0x1
	global_load_b128 v[18:21], v[110:111], off
	global_load_b128 v[22:25], v[112:113], off
	scratch_store_b128 off, v[30:33], off offset:96
	s_waitcnt vmcnt(27)
	scratch_store_b128 off, v[34:37], off offset:112
	v_add_co_ci_u32_e32 v121, vcc_lo, s5, v209, vcc_lo
	s_clause 0x1
	global_load_b128 v[26:29], v[114:115], off
	global_load_b128 v[30:33], v[116:117], off
	scratch_store_b128 off, v[38:41], off offset:128
	s_waitcnt vmcnt(27)
	scratch_store_b128 off, v[122:125], off offset:144
	v_add_co_u32 v122, vcc_lo, s4, v218
	v_add_co_ci_u32_e32 v123, vcc_lo, s5, v219, vcc_lo
	v_add_co_u32 v124, vcc_lo, s4, v199
	v_add_co_ci_u32_e32 v125, vcc_lo, s5, v200, vcc_lo
	v_lshlrev_b64 v[199:200], 4, v[203:204]
	v_ashrrev_i32_e32 v208, 31, v207
	s_clause 0x1
	global_load_b128 v[34:37], v[118:119], off
	global_load_b128 v[38:41], v[120:121], off
	scratch_store_b128 off, v[126:129], off offset:160
	s_waitcnt vmcnt(27)
	scratch_store_b128 off, v[130:133], off offset:176
	v_add_co_u32 v126, vcc_lo, s4, v201
	v_lshlrev_b64 v[130:131], 4, v[205:206]
	v_add_co_ci_u32_e32 v127, vcc_lo, s5, v202, vcc_lo
	v_add_co_u32 v128, vcc_lo, s4, v199
	v_lshlrev_b64 v[132:133], 4, v[207:208]
	v_add_co_ci_u32_e32 v129, vcc_lo, s5, v200, vcc_lo
	s_clause 0x1
	global_load_b128 v[218:221], v[122:123], off
	global_load_b128 v[222:225], v[124:125], off
	scratch_store_b128 off, v[134:137], off offset:192
	s_waitcnt vmcnt(27)
	scratch_store_b128 off, v[138:141], off offset:208
	v_add_co_u32 v130, vcc_lo, s4, v130
	v_lshlrev_b64 v[134:135], 4, v[234:235]
	v_add_co_ci_u32_e32 v131, vcc_lo, s5, v131, vcc_lo
	v_add_co_u32 v132, vcc_lo, s4, v132
	v_lshlrev_b64 v[136:137], 4, v[236:237]
	v_add_co_ci_u32_e32 v133, vcc_lo, s5, v133, vcc_lo
	;; [unrolled: 3-line block ×4, first 2 shown]
	s_clause 0x1
	global_load_b128 v[226:229], v[126:127], off
	global_load_b128 v[230:233], v[128:129], off
	scratch_store_b128 off, v[142:145], off offset:224
	s_waitcnt vmcnt(28)
	scratch_store_b128 off, v[146:149], off offset:240
	v_add_co_u32 v138, vcc_lo, s4, v138
	v_lshlrev_b64 v[142:143], 4, v[250:251]
	v_add_co_ci_u32_e32 v139, vcc_lo, s5, v139, vcc_lo
	v_add_co_u32 v140, vcc_lo, s4, v140
	v_lshlrev_b64 v[144:145], 4, v[252:253]
	v_add_co_ci_u32_e32 v141, vcc_lo, s5, v141, vcc_lo
	;; [unrolled: 3-line block ×3, first 2 shown]
	v_add_co_u32 v144, vcc_lo, s4, v144
	v_add_co_ci_u32_e32 v145, vcc_lo, s5, v145, vcc_lo
	s_delay_alu instid0(VALU_DEP_4)
	v_add_co_u32 v146, vcc_lo, s4, v146
	v_add_co_ci_u32_e32 v147, vcc_lo, s5, v147, vcc_lo
	v_add_co_u32 v148, vcc_lo, s4, v44
	v_add_co_ci_u32_e32 v149, vcc_lo, s5, v45, vcc_lo
	v_lshlrev_b64 v[44:45], 4, v[48:49]
	s_clause 0x1
	global_load_b128 v[234:237], v[130:131], off
	global_load_b128 v[238:241], v[132:133], off
	s_waitcnt vmcnt(29)
	scratch_store_b128 off, v[150:153], off offset:256
	s_waitcnt vmcnt(28)
	scratch_store_b128 off, v[155:158], off offset:272
	v_add_co_u32 v150, vcc_lo, s4, v46
	s_clause 0x1
	global_load_b128 v[242:245], v[134:135], off
	global_load_b128 v[246:249], v[136:137], off
	s_waitcnt vmcnt(29)
	scratch_store_b128 off, v[159:162], off offset:288
	s_waitcnt vmcnt(28)
	scratch_store_b128 off, v[163:166], off offset:304
	v_add_co_ci_u32_e32 v151, vcc_lo, s5, v47, vcc_lo
	s_clause 0x1
	global_load_b128 v[162:165], v[138:139], off
	global_load_b128 v[250:253], v[140:141], off
	s_waitcnt vmcnt(29)
	scratch_store_b128 off, v[167:170], off offset:320
	s_waitcnt vmcnt(28)
	scratch_store_b128 off, v[171:174], off offset:336
	v_add_co_u32 v152, vcc_lo, s4, v44
	s_clause 0x1
	global_load_b128 v[155:158], v[142:143], off
	global_load_b128 v[166:169], v[144:145], off
	s_waitcnt vmcnt(29)
	scratch_store_b128 off, v[175:178], off offset:352
	s_waitcnt vmcnt(28)
	scratch_store_b128 off, v[179:182], off offset:368
	s_clause 0x1
	global_load_b128 v[170:173], v[146:147], off
	global_load_b128 v[174:177], v[148:149], off
	v_add_co_ci_u32_e32 v153, vcc_lo, s5, v45, vcc_lo
	s_waitcnt vmcnt(29)
	scratch_store_b128 off, v[183:186], off offset:384
	global_load_b128 v[178:181], v[150:151], off
	s_movk_i32 s4, 0x70
	global_load_b128 v[182:185], v[152:153], off
	s_movk_i32 s5, 0x80
	v_add_nc_u32_e64 v209, 0, 16
	v_add_nc_u32_e64 v208, 0, 32
	s_waitcnt vmcnt(30)
	scratch_store_b128 off, v[187:190], off offset:400
	v_add_nc_u32_e64 v207, 0, 48
	v_add_nc_u32_e64 v206, 0, 64
	;; [unrolled: 1-line block ×10, first 2 shown]
	s_waitcnt vmcnt(29)
	scratch_store_b128 off, v[191:194], off offset:416
	v_add_nc_u32_e64 v194, s21, 0
	v_add_nc_u32_e64 v193, s22, 0
	;; [unrolled: 1-line block ×16, first 2 shown]
	s_waitcnt vmcnt(28)
	scratch_store_b128 off, v[195:198], off offset:432
	s_waitcnt vmcnt(27)
	scratch_store_b128 off, v[210:213], off offset:448
	v_add_nc_u32_e64 v198, s17, 0
	v_add_nc_u32_e64 v197, s18, 0
	;; [unrolled: 1-line block ×11, first 2 shown]
	s_mov_b32 s3, -1
	s_waitcnt vmcnt(25)
	scratch_store_b128 off, v[1:4], off offset:464
	v_add_nc_u32_e64 v1, s39, 0
	s_waitcnt vmcnt(24)
	scratch_store_b128 off, v[5:8], off offset:480
	s_waitcnt vmcnt(23)
	s_clause 0x1
	scratch_store_b128 off, v[9:12], off offset:496
	scratch_store_b32 off, v1, off offset:900
	v_add_nc_u32_e64 v1, s41, 0
	s_waitcnt vmcnt(22)
	scratch_store_b128 off, v[14:17], off offset:512
	s_waitcnt vmcnt(21)
	scratch_store_b128 off, v[18:21], off offset:528
	;; [unrolled: 2-line block ×3, first 2 shown]
	v_add_nc_u32_e64 v24, s52, 0
	scratch_store_b32 off, v1, off offset:896 ; 4-byte Folded Spill
	v_add_nc_u32_e64 v25, s53, 0
	v_add_nc_u32_e64 v23, s54, 0
	s_waitcnt vmcnt(19)
	scratch_store_b128 off, v[26:29], off offset:560
	v_add_nc_u32_e64 v28, s48, 0
	s_waitcnt vmcnt(18)
	scratch_store_b128 off, v[30:33], off offset:576
	v_add_nc_u32_e64 v29, s49, 0
	v_add_nc_u32_e64 v27, s50, 0
	;; [unrolled: 1-line block ×3, first 2 shown]
	s_waitcnt vmcnt(17)
	scratch_store_b128 off, v[34:37], off offset:592
	s_waitcnt vmcnt(16)
	scratch_store_b128 off, v[38:41], off offset:608
	;; [unrolled: 2-line block ×17, first 2 shown]
	v_add_nc_u32_e64 v166, s55, 0
	v_add_nc_u32_e64 v165, s56, 0
	;; [unrolled: 1-line block ×7, first 2 shown]
	s_waitcnt vmcnt(0)
	s_clause 0x1
	scratch_store_b128 off, v[182:185], off offset:864
	scratch_store_b128 off, v[214:217], off offset:880
	s_cbranch_scc1 .LBB119_236
; %bb.4:
	v_cmp_eq_u32_e64 s2, 0, v154
	s_delay_alu instid0(VALU_DEP_1)
	s_and_saveexec_b32 s3, s2
	s_cbranch_execz .LBB119_6
; %bb.5:
	v_mov_b32_e32 v1, 0
	ds_store_b32 v1, v1 offset:1792
.LBB119_6:
	s_or_b32 exec_lo, exec_lo, s3
	s_waitcnt lgkmcnt(0)
	s_waitcnt_vscnt null, 0x0
	s_barrier
	buffer_gl0_inv
	scratch_load_b128 v[1:4], v13, off
	s_waitcnt vmcnt(0)
	v_cmp_eq_f64_e32 vcc_lo, 0, v[1:2]
	v_cmp_eq_f64_e64 s3, 0, v[3:4]
	s_delay_alu instid0(VALU_DEP_1) | instskip(NEXT) | instid1(SALU_CYCLE_1)
	s_and_b32 s3, vcc_lo, s3
	s_and_saveexec_b32 s4, s3
	s_cbranch_execz .LBB119_10
; %bb.7:
	v_mov_b32_e32 v1, 0
	s_mov_b32 s5, 0
	ds_load_b32 v2, v1 offset:1792
	s_waitcnt lgkmcnt(0)
	v_readfirstlane_b32 s3, v2
	v_add_nc_u32_e32 v2, 1, v154
	s_delay_alu instid0(VALU_DEP_2) | instskip(NEXT) | instid1(VALU_DEP_1)
	s_cmp_eq_u32 s3, 0
	v_cmp_gt_i32_e32 vcc_lo, s3, v2
	s_cselect_b32 s12, -1, 0
	s_delay_alu instid0(SALU_CYCLE_1) | instskip(NEXT) | instid1(SALU_CYCLE_1)
	s_or_b32 s12, s12, vcc_lo
	s_and_b32 exec_lo, exec_lo, s12
	s_cbranch_execz .LBB119_10
; %bb.8:
	v_mov_b32_e32 v3, s3
.LBB119_9:                              ; =>This Inner Loop Header: Depth=1
	ds_cmpstore_rtn_b32 v3, v1, v2, v3 offset:1792
	s_waitcnt lgkmcnt(0)
	v_cmp_ne_u32_e32 vcc_lo, 0, v3
	v_cmp_le_i32_e64 s3, v3, v2
	s_delay_alu instid0(VALU_DEP_1) | instskip(NEXT) | instid1(SALU_CYCLE_1)
	s_and_b32 s3, vcc_lo, s3
	s_and_b32 s3, exec_lo, s3
	s_delay_alu instid0(SALU_CYCLE_1) | instskip(NEXT) | instid1(SALU_CYCLE_1)
	s_or_b32 s5, s3, s5
	s_and_not1_b32 exec_lo, exec_lo, s5
	s_cbranch_execnz .LBB119_9
.LBB119_10:
	s_or_b32 exec_lo, exec_lo, s4
	v_mov_b32_e32 v1, 0
	s_barrier
	buffer_gl0_inv
	ds_load_b32 v2, v1 offset:1792
	s_and_saveexec_b32 s3, s2
	s_cbranch_execz .LBB119_12
; %bb.11:
	s_lshl_b64 s[4:5], s[10:11], 2
	s_delay_alu instid0(SALU_CYCLE_1)
	s_add_u32 s4, s6, s4
	s_addc_u32 s5, s7, s5
	s_waitcnt lgkmcnt(0)
	global_store_b32 v1, v2, s[4:5]
.LBB119_12:
	s_or_b32 exec_lo, exec_lo, s3
	s_waitcnt lgkmcnt(0)
	v_cmp_ne_u32_e32 vcc_lo, 0, v2
	s_mov_b32 s3, 0
	s_cbranch_vccnz .LBB119_236
; %bb.13:
	v_add_nc_u32_e32 v14, 0, v13
                                        ; implicit-def: $vgpr9_vgpr10
	scratch_load_b128 v[1:4], v14, off
	s_waitcnt vmcnt(0)
	v_mov_b32_e32 v5, v1
	v_cmp_gt_f64_e32 vcc_lo, 0, v[1:2]
	v_xor_b32_e32 v6, 0x80000000, v2
	v_xor_b32_e32 v7, 0x80000000, v4
	s_delay_alu instid0(VALU_DEP_2) | instskip(SKIP_1) | instid1(VALU_DEP_3)
	v_cndmask_b32_e32 v6, v2, v6, vcc_lo
	v_cmp_gt_f64_e32 vcc_lo, 0, v[3:4]
	v_dual_cndmask_b32 v8, v4, v7 :: v_dual_mov_b32 v7, v3
	s_delay_alu instid0(VALU_DEP_1) | instskip(SKIP_1) | instid1(SALU_CYCLE_1)
	v_cmp_ngt_f64_e32 vcc_lo, v[5:6], v[7:8]
                                        ; implicit-def: $vgpr5_vgpr6
	s_and_saveexec_b32 s3, vcc_lo
	s_xor_b32 s3, exec_lo, s3
	s_cbranch_execz .LBB119_15
; %bb.14:
	v_div_scale_f64 v[5:6], null, v[3:4], v[3:4], v[1:2]
	v_div_scale_f64 v[11:12], vcc_lo, v[1:2], v[3:4], v[1:2]
	s_delay_alu instid0(VALU_DEP_2) | instskip(SKIP_2) | instid1(VALU_DEP_1)
	v_rcp_f64_e32 v[7:8], v[5:6]
	s_waitcnt_depctr 0xfff
	v_fma_f64 v[9:10], -v[5:6], v[7:8], 1.0
	v_fma_f64 v[7:8], v[7:8], v[9:10], v[7:8]
	s_delay_alu instid0(VALU_DEP_1) | instskip(NEXT) | instid1(VALU_DEP_1)
	v_fma_f64 v[9:10], -v[5:6], v[7:8], 1.0
	v_fma_f64 v[7:8], v[7:8], v[9:10], v[7:8]
	s_delay_alu instid0(VALU_DEP_1) | instskip(NEXT) | instid1(VALU_DEP_1)
	v_mul_f64 v[9:10], v[11:12], v[7:8]
	v_fma_f64 v[5:6], -v[5:6], v[9:10], v[11:12]
	s_delay_alu instid0(VALU_DEP_1) | instskip(NEXT) | instid1(VALU_DEP_1)
	v_div_fmas_f64 v[5:6], v[5:6], v[7:8], v[9:10]
	v_div_fixup_f64 v[5:6], v[5:6], v[3:4], v[1:2]
	s_delay_alu instid0(VALU_DEP_1) | instskip(NEXT) | instid1(VALU_DEP_1)
	v_fma_f64 v[1:2], v[1:2], v[5:6], v[3:4]
	v_div_scale_f64 v[3:4], null, v[1:2], v[1:2], 1.0
	v_div_scale_f64 v[11:12], vcc_lo, 1.0, v[1:2], 1.0
	s_delay_alu instid0(VALU_DEP_2) | instskip(SKIP_2) | instid1(VALU_DEP_1)
	v_rcp_f64_e32 v[7:8], v[3:4]
	s_waitcnt_depctr 0xfff
	v_fma_f64 v[9:10], -v[3:4], v[7:8], 1.0
	v_fma_f64 v[7:8], v[7:8], v[9:10], v[7:8]
	s_delay_alu instid0(VALU_DEP_1) | instskip(NEXT) | instid1(VALU_DEP_1)
	v_fma_f64 v[9:10], -v[3:4], v[7:8], 1.0
	v_fma_f64 v[7:8], v[7:8], v[9:10], v[7:8]
	s_delay_alu instid0(VALU_DEP_1) | instskip(NEXT) | instid1(VALU_DEP_1)
	v_mul_f64 v[9:10], v[11:12], v[7:8]
	v_fma_f64 v[3:4], -v[3:4], v[9:10], v[11:12]
	s_delay_alu instid0(VALU_DEP_1) | instskip(NEXT) | instid1(VALU_DEP_1)
	v_div_fmas_f64 v[3:4], v[3:4], v[7:8], v[9:10]
	v_div_fixup_f64 v[7:8], v[3:4], v[1:2], 1.0
                                        ; implicit-def: $vgpr1_vgpr2
	s_delay_alu instid0(VALU_DEP_1) | instskip(SKIP_1) | instid1(VALU_DEP_2)
	v_mul_f64 v[5:6], v[5:6], v[7:8]
	v_xor_b32_e32 v8, 0x80000000, v8
	v_xor_b32_e32 v10, 0x80000000, v6
	s_delay_alu instid0(VALU_DEP_3)
	v_mov_b32_e32 v9, v5
.LBB119_15:
	s_and_not1_saveexec_b32 s3, s3
	s_cbranch_execz .LBB119_17
; %bb.16:
	v_div_scale_f64 v[5:6], null, v[1:2], v[1:2], v[3:4]
	v_div_scale_f64 v[11:12], vcc_lo, v[3:4], v[1:2], v[3:4]
	s_delay_alu instid0(VALU_DEP_2) | instskip(SKIP_2) | instid1(VALU_DEP_1)
	v_rcp_f64_e32 v[7:8], v[5:6]
	s_waitcnt_depctr 0xfff
	v_fma_f64 v[9:10], -v[5:6], v[7:8], 1.0
	v_fma_f64 v[7:8], v[7:8], v[9:10], v[7:8]
	s_delay_alu instid0(VALU_DEP_1) | instskip(NEXT) | instid1(VALU_DEP_1)
	v_fma_f64 v[9:10], -v[5:6], v[7:8], 1.0
	v_fma_f64 v[7:8], v[7:8], v[9:10], v[7:8]
	s_delay_alu instid0(VALU_DEP_1) | instskip(NEXT) | instid1(VALU_DEP_1)
	v_mul_f64 v[9:10], v[11:12], v[7:8]
	v_fma_f64 v[5:6], -v[5:6], v[9:10], v[11:12]
	s_delay_alu instid0(VALU_DEP_1) | instskip(NEXT) | instid1(VALU_DEP_1)
	v_div_fmas_f64 v[5:6], v[5:6], v[7:8], v[9:10]
	v_div_fixup_f64 v[7:8], v[5:6], v[1:2], v[3:4]
	s_delay_alu instid0(VALU_DEP_1) | instskip(NEXT) | instid1(VALU_DEP_1)
	v_fma_f64 v[1:2], v[3:4], v[7:8], v[1:2]
	v_div_scale_f64 v[3:4], null, v[1:2], v[1:2], 1.0
	s_delay_alu instid0(VALU_DEP_1) | instskip(SKIP_2) | instid1(VALU_DEP_1)
	v_rcp_f64_e32 v[5:6], v[3:4]
	s_waitcnt_depctr 0xfff
	v_fma_f64 v[9:10], -v[3:4], v[5:6], 1.0
	v_fma_f64 v[5:6], v[5:6], v[9:10], v[5:6]
	s_delay_alu instid0(VALU_DEP_1) | instskip(NEXT) | instid1(VALU_DEP_1)
	v_fma_f64 v[9:10], -v[3:4], v[5:6], 1.0
	v_fma_f64 v[5:6], v[5:6], v[9:10], v[5:6]
	v_div_scale_f64 v[9:10], vcc_lo, 1.0, v[1:2], 1.0
	s_delay_alu instid0(VALU_DEP_1) | instskip(NEXT) | instid1(VALU_DEP_1)
	v_mul_f64 v[11:12], v[9:10], v[5:6]
	v_fma_f64 v[3:4], -v[3:4], v[11:12], v[9:10]
	s_delay_alu instid0(VALU_DEP_1) | instskip(NEXT) | instid1(VALU_DEP_1)
	v_div_fmas_f64 v[3:4], v[3:4], v[5:6], v[11:12]
	v_div_fixup_f64 v[5:6], v[3:4], v[1:2], 1.0
	s_delay_alu instid0(VALU_DEP_1)
	v_mul_f64 v[7:8], v[7:8], -v[5:6]
	v_xor_b32_e32 v10, 0x80000000, v6
	v_mov_b32_e32 v9, v5
.LBB119_17:
	s_or_b32 exec_lo, exec_lo, s3
	scratch_store_b128 v14, v[5:8], off
	scratch_load_b128 v[1:4], v209, off
	v_xor_b32_e32 v12, 0x80000000, v8
	v_mov_b32_e32 v11, v7
	v_add_nc_u32_e32 v5, 0x380, v13
	ds_store_b128 v13, v[9:12]
	s_waitcnt vmcnt(0)
	ds_store_b128 v13, v[1:4] offset:896
	s_waitcnt lgkmcnt(0)
	s_waitcnt_vscnt null, 0x0
	s_barrier
	buffer_gl0_inv
	s_and_saveexec_b32 s3, s2
	s_cbranch_execz .LBB119_19
; %bb.18:
	scratch_load_b128 v[1:4], v14, off
	ds_load_b128 v[6:9], v5
	v_mov_b32_e32 v10, 0
	ds_load_b128 v[15:18], v10 offset:16
	s_waitcnt vmcnt(0) lgkmcnt(1)
	v_mul_f64 v[10:11], v[6:7], v[3:4]
	v_mul_f64 v[3:4], v[8:9], v[3:4]
	s_delay_alu instid0(VALU_DEP_2) | instskip(NEXT) | instid1(VALU_DEP_2)
	v_fma_f64 v[8:9], v[8:9], v[1:2], v[10:11]
	v_fma_f64 v[1:2], v[6:7], v[1:2], -v[3:4]
	s_delay_alu instid0(VALU_DEP_2) | instskip(NEXT) | instid1(VALU_DEP_2)
	v_add_f64 v[3:4], v[8:9], 0
	v_add_f64 v[1:2], v[1:2], 0
	s_waitcnt lgkmcnt(0)
	s_delay_alu instid0(VALU_DEP_2) | instskip(NEXT) | instid1(VALU_DEP_2)
	v_mul_f64 v[6:7], v[3:4], v[17:18]
	v_mul_f64 v[8:9], v[1:2], v[17:18]
	s_delay_alu instid0(VALU_DEP_2) | instskip(NEXT) | instid1(VALU_DEP_2)
	v_fma_f64 v[1:2], v[1:2], v[15:16], -v[6:7]
	v_fma_f64 v[3:4], v[3:4], v[15:16], v[8:9]
	scratch_store_b128 off, v[1:4], off offset:16
.LBB119_19:
	s_or_b32 exec_lo, exec_lo, s3
	s_waitcnt_vscnt null, 0x0
	s_barrier
	buffer_gl0_inv
	scratch_load_b128 v[1:4], v208, off
	s_mov_b32 s3, exec_lo
	s_waitcnt vmcnt(0)
	ds_store_b128 v5, v[1:4]
	s_waitcnt lgkmcnt(0)
	s_barrier
	buffer_gl0_inv
	v_cmpx_gt_u32_e32 2, v154
	s_cbranch_execz .LBB119_23
; %bb.20:
	scratch_load_b128 v[1:4], v14, off
	ds_load_b128 v[6:9], v5
	s_waitcnt vmcnt(0) lgkmcnt(0)
	v_mul_f64 v[10:11], v[8:9], v[3:4]
	v_mul_f64 v[3:4], v[6:7], v[3:4]
	s_delay_alu instid0(VALU_DEP_2) | instskip(NEXT) | instid1(VALU_DEP_2)
	v_fma_f64 v[6:7], v[6:7], v[1:2], -v[10:11]
	v_fma_f64 v[3:4], v[8:9], v[1:2], v[3:4]
	s_delay_alu instid0(VALU_DEP_2) | instskip(NEXT) | instid1(VALU_DEP_2)
	v_add_f64 v[1:2], v[6:7], 0
	v_add_f64 v[3:4], v[3:4], 0
	s_and_saveexec_b32 s4, s2
	s_cbranch_execz .LBB119_22
; %bb.21:
	scratch_load_b128 v[6:9], off, off offset:16
	v_mov_b32_e32 v10, 0
	ds_load_b128 v[15:18], v10 offset:912
	s_waitcnt vmcnt(0) lgkmcnt(0)
	v_mul_f64 v[10:11], v[15:16], v[8:9]
	v_mul_f64 v[8:9], v[17:18], v[8:9]
	s_delay_alu instid0(VALU_DEP_2) | instskip(NEXT) | instid1(VALU_DEP_2)
	v_fma_f64 v[10:11], v[17:18], v[6:7], v[10:11]
	v_fma_f64 v[6:7], v[15:16], v[6:7], -v[8:9]
	s_delay_alu instid0(VALU_DEP_2) | instskip(NEXT) | instid1(VALU_DEP_2)
	v_add_f64 v[3:4], v[3:4], v[10:11]
	v_add_f64 v[1:2], v[1:2], v[6:7]
.LBB119_22:
	s_or_b32 exec_lo, exec_lo, s4
	v_mov_b32_e32 v6, 0
	ds_load_b128 v[6:9], v6 offset:32
	s_waitcnt lgkmcnt(0)
	v_mul_f64 v[10:11], v[3:4], v[8:9]
	v_mul_f64 v[8:9], v[1:2], v[8:9]
	s_delay_alu instid0(VALU_DEP_2) | instskip(NEXT) | instid1(VALU_DEP_2)
	v_fma_f64 v[1:2], v[1:2], v[6:7], -v[10:11]
	v_fma_f64 v[3:4], v[3:4], v[6:7], v[8:9]
	scratch_store_b128 off, v[1:4], off offset:32
.LBB119_23:
	s_or_b32 exec_lo, exec_lo, s3
	s_waitcnt_vscnt null, 0x0
	s_barrier
	buffer_gl0_inv
	scratch_load_b128 v[1:4], v207, off
	v_add_nc_u32_e32 v6, -1, v154
	s_mov_b32 s2, exec_lo
	s_waitcnt vmcnt(0)
	ds_store_b128 v5, v[1:4]
	s_waitcnt lgkmcnt(0)
	s_barrier
	buffer_gl0_inv
	v_cmpx_gt_u32_e32 3, v154
	s_cbranch_execz .LBB119_27
; %bb.24:
	v_dual_mov_b32 v1, 0 :: v_dual_add_nc_u32 v8, 0x380, v13
	v_dual_mov_b32 v2, 0 :: v_dual_add_nc_u32 v7, -1, v154
	v_or_b32_e32 v9, 8, v14
	s_mov_b32 s3, 0
	s_delay_alu instid0(VALU_DEP_2)
	v_dual_mov_b32 v4, v2 :: v_dual_mov_b32 v3, v1
	.p2align	6
.LBB119_25:                             ; =>This Inner Loop Header: Depth=1
	scratch_load_b128 v[15:18], v9, off offset:-8
	ds_load_b128 v[19:22], v8
	v_add_nc_u32_e32 v7, 1, v7
	v_add_nc_u32_e32 v8, 16, v8
	;; [unrolled: 1-line block ×3, first 2 shown]
	s_delay_alu instid0(VALU_DEP_3) | instskip(SKIP_4) | instid1(VALU_DEP_2)
	v_cmp_lt_u32_e32 vcc_lo, 1, v7
	s_or_b32 s3, vcc_lo, s3
	s_waitcnt vmcnt(0) lgkmcnt(0)
	v_mul_f64 v[10:11], v[21:22], v[17:18]
	v_mul_f64 v[17:18], v[19:20], v[17:18]
	v_fma_f64 v[10:11], v[19:20], v[15:16], -v[10:11]
	s_delay_alu instid0(VALU_DEP_2) | instskip(NEXT) | instid1(VALU_DEP_2)
	v_fma_f64 v[15:16], v[21:22], v[15:16], v[17:18]
	v_add_f64 v[3:4], v[3:4], v[10:11]
	s_delay_alu instid0(VALU_DEP_2)
	v_add_f64 v[1:2], v[1:2], v[15:16]
	s_and_not1_b32 exec_lo, exec_lo, s3
	s_cbranch_execnz .LBB119_25
; %bb.26:
	s_or_b32 exec_lo, exec_lo, s3
	v_mov_b32_e32 v7, 0
	ds_load_b128 v[7:10], v7 offset:48
	s_waitcnt lgkmcnt(0)
	v_mul_f64 v[11:12], v[1:2], v[9:10]
	v_mul_f64 v[15:16], v[3:4], v[9:10]
	s_delay_alu instid0(VALU_DEP_2) | instskip(NEXT) | instid1(VALU_DEP_2)
	v_fma_f64 v[9:10], v[3:4], v[7:8], -v[11:12]
	v_fma_f64 v[11:12], v[1:2], v[7:8], v[15:16]
	scratch_store_b128 off, v[9:12], off offset:48
.LBB119_27:
	s_or_b32 exec_lo, exec_lo, s2
	s_waitcnt_vscnt null, 0x0
	s_barrier
	buffer_gl0_inv
	scratch_load_b128 v[1:4], v206, off
	s_mov_b32 s2, exec_lo
	s_waitcnt vmcnt(0)
	ds_store_b128 v5, v[1:4]
	s_waitcnt lgkmcnt(0)
	s_barrier
	buffer_gl0_inv
	v_cmpx_gt_u32_e32 4, v154
	s_cbranch_execz .LBB119_31
; %bb.28:
	v_dual_mov_b32 v1, 0 :: v_dual_add_nc_u32 v8, 0x380, v13
	v_dual_mov_b32 v2, 0 :: v_dual_add_nc_u32 v7, -1, v154
	v_or_b32_e32 v9, 8, v14
	s_mov_b32 s3, 0
	s_delay_alu instid0(VALU_DEP_2)
	v_dual_mov_b32 v4, v2 :: v_dual_mov_b32 v3, v1
	.p2align	6
.LBB119_29:                             ; =>This Inner Loop Header: Depth=1
	scratch_load_b128 v[15:18], v9, off offset:-8
	ds_load_b128 v[19:22], v8
	v_add_nc_u32_e32 v7, 1, v7
	v_add_nc_u32_e32 v8, 16, v8
	;; [unrolled: 1-line block ×3, first 2 shown]
	s_delay_alu instid0(VALU_DEP_3) | instskip(SKIP_4) | instid1(VALU_DEP_2)
	v_cmp_lt_u32_e32 vcc_lo, 2, v7
	s_or_b32 s3, vcc_lo, s3
	s_waitcnt vmcnt(0) lgkmcnt(0)
	v_mul_f64 v[10:11], v[21:22], v[17:18]
	v_mul_f64 v[17:18], v[19:20], v[17:18]
	v_fma_f64 v[10:11], v[19:20], v[15:16], -v[10:11]
	s_delay_alu instid0(VALU_DEP_2) | instskip(NEXT) | instid1(VALU_DEP_2)
	v_fma_f64 v[15:16], v[21:22], v[15:16], v[17:18]
	v_add_f64 v[3:4], v[3:4], v[10:11]
	s_delay_alu instid0(VALU_DEP_2)
	v_add_f64 v[1:2], v[1:2], v[15:16]
	s_and_not1_b32 exec_lo, exec_lo, s3
	s_cbranch_execnz .LBB119_29
; %bb.30:
	s_or_b32 exec_lo, exec_lo, s3
	v_mov_b32_e32 v7, 0
	ds_load_b128 v[7:10], v7 offset:64
	s_waitcnt lgkmcnt(0)
	v_mul_f64 v[11:12], v[1:2], v[9:10]
	v_mul_f64 v[15:16], v[3:4], v[9:10]
	s_delay_alu instid0(VALU_DEP_2) | instskip(NEXT) | instid1(VALU_DEP_2)
	v_fma_f64 v[9:10], v[3:4], v[7:8], -v[11:12]
	v_fma_f64 v[11:12], v[1:2], v[7:8], v[15:16]
	scratch_store_b128 off, v[9:12], off offset:64
.LBB119_31:
	s_or_b32 exec_lo, exec_lo, s2
	s_waitcnt_vscnt null, 0x0
	s_barrier
	buffer_gl0_inv
	scratch_load_b128 v[1:4], v205, off
	s_mov_b32 s2, exec_lo
	s_waitcnt vmcnt(0)
	ds_store_b128 v5, v[1:4]
	s_waitcnt lgkmcnt(0)
	s_barrier
	buffer_gl0_inv
	v_cmpx_gt_u32_e32 5, v154
	s_cbranch_execz .LBB119_35
; %bb.32:
	v_dual_mov_b32 v1, 0 :: v_dual_add_nc_u32 v8, 0x380, v13
	v_dual_mov_b32 v2, 0 :: v_dual_add_nc_u32 v7, -1, v154
	v_or_b32_e32 v9, 8, v14
	s_mov_b32 s3, 0
	s_delay_alu instid0(VALU_DEP_2)
	v_dual_mov_b32 v4, v2 :: v_dual_mov_b32 v3, v1
	.p2align	6
.LBB119_33:                             ; =>This Inner Loop Header: Depth=1
	scratch_load_b128 v[15:18], v9, off offset:-8
	ds_load_b128 v[19:22], v8
	v_add_nc_u32_e32 v7, 1, v7
	v_add_nc_u32_e32 v8, 16, v8
	;; [unrolled: 1-line block ×3, first 2 shown]
	s_delay_alu instid0(VALU_DEP_3) | instskip(SKIP_4) | instid1(VALU_DEP_2)
	v_cmp_lt_u32_e32 vcc_lo, 3, v7
	s_or_b32 s3, vcc_lo, s3
	s_waitcnt vmcnt(0) lgkmcnt(0)
	v_mul_f64 v[10:11], v[21:22], v[17:18]
	v_mul_f64 v[17:18], v[19:20], v[17:18]
	v_fma_f64 v[10:11], v[19:20], v[15:16], -v[10:11]
	s_delay_alu instid0(VALU_DEP_2) | instskip(NEXT) | instid1(VALU_DEP_2)
	v_fma_f64 v[15:16], v[21:22], v[15:16], v[17:18]
	v_add_f64 v[3:4], v[3:4], v[10:11]
	s_delay_alu instid0(VALU_DEP_2)
	v_add_f64 v[1:2], v[1:2], v[15:16]
	s_and_not1_b32 exec_lo, exec_lo, s3
	s_cbranch_execnz .LBB119_33
; %bb.34:
	s_or_b32 exec_lo, exec_lo, s3
	v_mov_b32_e32 v7, 0
	ds_load_b128 v[7:10], v7 offset:80
	s_waitcnt lgkmcnt(0)
	v_mul_f64 v[11:12], v[1:2], v[9:10]
	v_mul_f64 v[15:16], v[3:4], v[9:10]
	s_delay_alu instid0(VALU_DEP_2) | instskip(NEXT) | instid1(VALU_DEP_2)
	v_fma_f64 v[9:10], v[3:4], v[7:8], -v[11:12]
	v_fma_f64 v[11:12], v[1:2], v[7:8], v[15:16]
	scratch_store_b128 off, v[9:12], off offset:80
.LBB119_35:
	s_or_b32 exec_lo, exec_lo, s2
	s_waitcnt_vscnt null, 0x0
	s_barrier
	buffer_gl0_inv
	scratch_load_b128 v[1:4], v204, off
	s_mov_b32 s2, exec_lo
	s_waitcnt vmcnt(0)
	ds_store_b128 v5, v[1:4]
	s_waitcnt lgkmcnt(0)
	s_barrier
	buffer_gl0_inv
	v_cmpx_gt_u32_e32 6, v154
	s_cbranch_execz .LBB119_39
; %bb.36:
	v_dual_mov_b32 v1, 0 :: v_dual_add_nc_u32 v8, 0x380, v13
	v_dual_mov_b32 v2, 0 :: v_dual_add_nc_u32 v7, -1, v154
	v_or_b32_e32 v9, 8, v14
	s_mov_b32 s3, 0
	s_delay_alu instid0(VALU_DEP_2)
	v_dual_mov_b32 v4, v2 :: v_dual_mov_b32 v3, v1
	.p2align	6
.LBB119_37:                             ; =>This Inner Loop Header: Depth=1
	scratch_load_b128 v[15:18], v9, off offset:-8
	ds_load_b128 v[19:22], v8
	v_add_nc_u32_e32 v7, 1, v7
	v_add_nc_u32_e32 v8, 16, v8
	;; [unrolled: 1-line block ×3, first 2 shown]
	s_delay_alu instid0(VALU_DEP_3) | instskip(SKIP_4) | instid1(VALU_DEP_2)
	v_cmp_lt_u32_e32 vcc_lo, 4, v7
	s_or_b32 s3, vcc_lo, s3
	s_waitcnt vmcnt(0) lgkmcnt(0)
	v_mul_f64 v[10:11], v[21:22], v[17:18]
	v_mul_f64 v[17:18], v[19:20], v[17:18]
	v_fma_f64 v[10:11], v[19:20], v[15:16], -v[10:11]
	s_delay_alu instid0(VALU_DEP_2) | instskip(NEXT) | instid1(VALU_DEP_2)
	v_fma_f64 v[15:16], v[21:22], v[15:16], v[17:18]
	v_add_f64 v[3:4], v[3:4], v[10:11]
	s_delay_alu instid0(VALU_DEP_2)
	v_add_f64 v[1:2], v[1:2], v[15:16]
	s_and_not1_b32 exec_lo, exec_lo, s3
	s_cbranch_execnz .LBB119_37
; %bb.38:
	s_or_b32 exec_lo, exec_lo, s3
	v_mov_b32_e32 v7, 0
	ds_load_b128 v[7:10], v7 offset:96
	s_waitcnt lgkmcnt(0)
	v_mul_f64 v[11:12], v[1:2], v[9:10]
	v_mul_f64 v[15:16], v[3:4], v[9:10]
	s_delay_alu instid0(VALU_DEP_2) | instskip(NEXT) | instid1(VALU_DEP_2)
	v_fma_f64 v[9:10], v[3:4], v[7:8], -v[11:12]
	v_fma_f64 v[11:12], v[1:2], v[7:8], v[15:16]
	scratch_store_b128 off, v[9:12], off offset:96
.LBB119_39:
	s_or_b32 exec_lo, exec_lo, s2
	s_waitcnt_vscnt null, 0x0
	s_barrier
	buffer_gl0_inv
	scratch_load_b128 v[1:4], v203, off
	s_mov_b32 s2, exec_lo
	s_waitcnt vmcnt(0)
	ds_store_b128 v5, v[1:4]
	s_waitcnt lgkmcnt(0)
	s_barrier
	buffer_gl0_inv
	v_cmpx_gt_u32_e32 7, v154
	s_cbranch_execz .LBB119_43
; %bb.40:
	v_dual_mov_b32 v1, 0 :: v_dual_add_nc_u32 v8, 0x380, v13
	v_dual_mov_b32 v2, 0 :: v_dual_add_nc_u32 v7, -1, v154
	v_or_b32_e32 v9, 8, v14
	s_mov_b32 s3, 0
	s_delay_alu instid0(VALU_DEP_2)
	v_dual_mov_b32 v4, v2 :: v_dual_mov_b32 v3, v1
	.p2align	6
.LBB119_41:                             ; =>This Inner Loop Header: Depth=1
	scratch_load_b128 v[15:18], v9, off offset:-8
	ds_load_b128 v[19:22], v8
	v_add_nc_u32_e32 v7, 1, v7
	v_add_nc_u32_e32 v8, 16, v8
	;; [unrolled: 1-line block ×3, first 2 shown]
	s_delay_alu instid0(VALU_DEP_3) | instskip(SKIP_4) | instid1(VALU_DEP_2)
	v_cmp_lt_u32_e32 vcc_lo, 5, v7
	s_or_b32 s3, vcc_lo, s3
	s_waitcnt vmcnt(0) lgkmcnt(0)
	v_mul_f64 v[10:11], v[21:22], v[17:18]
	v_mul_f64 v[17:18], v[19:20], v[17:18]
	v_fma_f64 v[10:11], v[19:20], v[15:16], -v[10:11]
	s_delay_alu instid0(VALU_DEP_2) | instskip(NEXT) | instid1(VALU_DEP_2)
	v_fma_f64 v[15:16], v[21:22], v[15:16], v[17:18]
	v_add_f64 v[3:4], v[3:4], v[10:11]
	s_delay_alu instid0(VALU_DEP_2)
	v_add_f64 v[1:2], v[1:2], v[15:16]
	s_and_not1_b32 exec_lo, exec_lo, s3
	s_cbranch_execnz .LBB119_41
; %bb.42:
	s_or_b32 exec_lo, exec_lo, s3
	v_mov_b32_e32 v7, 0
	ds_load_b128 v[7:10], v7 offset:112
	s_waitcnt lgkmcnt(0)
	v_mul_f64 v[11:12], v[1:2], v[9:10]
	v_mul_f64 v[15:16], v[3:4], v[9:10]
	s_delay_alu instid0(VALU_DEP_2) | instskip(NEXT) | instid1(VALU_DEP_2)
	v_fma_f64 v[9:10], v[3:4], v[7:8], -v[11:12]
	v_fma_f64 v[11:12], v[1:2], v[7:8], v[15:16]
	scratch_store_b128 off, v[9:12], off offset:112
.LBB119_43:
	s_or_b32 exec_lo, exec_lo, s2
	s_waitcnt_vscnt null, 0x0
	s_barrier
	buffer_gl0_inv
	scratch_load_b128 v[1:4], v202, off
	s_mov_b32 s2, exec_lo
	s_waitcnt vmcnt(0)
	ds_store_b128 v5, v[1:4]
	s_waitcnt lgkmcnt(0)
	s_barrier
	buffer_gl0_inv
	v_cmpx_gt_u32_e32 8, v154
	s_cbranch_execz .LBB119_47
; %bb.44:
	v_dual_mov_b32 v1, 0 :: v_dual_add_nc_u32 v8, 0x380, v13
	v_dual_mov_b32 v2, 0 :: v_dual_add_nc_u32 v7, -1, v154
	v_or_b32_e32 v9, 8, v14
	s_mov_b32 s3, 0
	s_delay_alu instid0(VALU_DEP_2)
	v_dual_mov_b32 v4, v2 :: v_dual_mov_b32 v3, v1
	.p2align	6
.LBB119_45:                             ; =>This Inner Loop Header: Depth=1
	scratch_load_b128 v[15:18], v9, off offset:-8
	ds_load_b128 v[19:22], v8
	v_add_nc_u32_e32 v7, 1, v7
	v_add_nc_u32_e32 v8, 16, v8
	;; [unrolled: 1-line block ×3, first 2 shown]
	s_delay_alu instid0(VALU_DEP_3) | instskip(SKIP_4) | instid1(VALU_DEP_2)
	v_cmp_lt_u32_e32 vcc_lo, 6, v7
	s_or_b32 s3, vcc_lo, s3
	s_waitcnt vmcnt(0) lgkmcnt(0)
	v_mul_f64 v[10:11], v[21:22], v[17:18]
	v_mul_f64 v[17:18], v[19:20], v[17:18]
	v_fma_f64 v[10:11], v[19:20], v[15:16], -v[10:11]
	s_delay_alu instid0(VALU_DEP_2) | instskip(NEXT) | instid1(VALU_DEP_2)
	v_fma_f64 v[15:16], v[21:22], v[15:16], v[17:18]
	v_add_f64 v[3:4], v[3:4], v[10:11]
	s_delay_alu instid0(VALU_DEP_2)
	v_add_f64 v[1:2], v[1:2], v[15:16]
	s_and_not1_b32 exec_lo, exec_lo, s3
	s_cbranch_execnz .LBB119_45
; %bb.46:
	s_or_b32 exec_lo, exec_lo, s3
	v_mov_b32_e32 v7, 0
	ds_load_b128 v[7:10], v7 offset:128
	s_waitcnt lgkmcnt(0)
	v_mul_f64 v[11:12], v[1:2], v[9:10]
	v_mul_f64 v[15:16], v[3:4], v[9:10]
	s_delay_alu instid0(VALU_DEP_2) | instskip(NEXT) | instid1(VALU_DEP_2)
	v_fma_f64 v[9:10], v[3:4], v[7:8], -v[11:12]
	v_fma_f64 v[11:12], v[1:2], v[7:8], v[15:16]
	scratch_store_b128 off, v[9:12], off offset:128
.LBB119_47:
	s_or_b32 exec_lo, exec_lo, s2
	s_waitcnt_vscnt null, 0x0
	s_barrier
	buffer_gl0_inv
	scratch_load_b128 v[1:4], v201, off
	s_mov_b32 s2, exec_lo
	s_waitcnt vmcnt(0)
	ds_store_b128 v5, v[1:4]
	s_waitcnt lgkmcnt(0)
	s_barrier
	buffer_gl0_inv
	v_cmpx_gt_u32_e32 9, v154
	s_cbranch_execz .LBB119_51
; %bb.48:
	v_dual_mov_b32 v1, 0 :: v_dual_add_nc_u32 v8, 0x380, v13
	v_dual_mov_b32 v2, 0 :: v_dual_add_nc_u32 v7, -1, v154
	v_or_b32_e32 v9, 8, v14
	s_mov_b32 s3, 0
	s_delay_alu instid0(VALU_DEP_2)
	v_dual_mov_b32 v4, v2 :: v_dual_mov_b32 v3, v1
	.p2align	6
.LBB119_49:                             ; =>This Inner Loop Header: Depth=1
	scratch_load_b128 v[15:18], v9, off offset:-8
	ds_load_b128 v[19:22], v8
	v_add_nc_u32_e32 v7, 1, v7
	v_add_nc_u32_e32 v8, 16, v8
	;; [unrolled: 1-line block ×3, first 2 shown]
	s_delay_alu instid0(VALU_DEP_3) | instskip(SKIP_4) | instid1(VALU_DEP_2)
	v_cmp_lt_u32_e32 vcc_lo, 7, v7
	s_or_b32 s3, vcc_lo, s3
	s_waitcnt vmcnt(0) lgkmcnt(0)
	v_mul_f64 v[10:11], v[21:22], v[17:18]
	v_mul_f64 v[17:18], v[19:20], v[17:18]
	v_fma_f64 v[10:11], v[19:20], v[15:16], -v[10:11]
	s_delay_alu instid0(VALU_DEP_2) | instskip(NEXT) | instid1(VALU_DEP_2)
	v_fma_f64 v[15:16], v[21:22], v[15:16], v[17:18]
	v_add_f64 v[3:4], v[3:4], v[10:11]
	s_delay_alu instid0(VALU_DEP_2)
	v_add_f64 v[1:2], v[1:2], v[15:16]
	s_and_not1_b32 exec_lo, exec_lo, s3
	s_cbranch_execnz .LBB119_49
; %bb.50:
	s_or_b32 exec_lo, exec_lo, s3
	v_mov_b32_e32 v7, 0
	ds_load_b128 v[7:10], v7 offset:144
	s_waitcnt lgkmcnt(0)
	v_mul_f64 v[11:12], v[1:2], v[9:10]
	v_mul_f64 v[15:16], v[3:4], v[9:10]
	s_delay_alu instid0(VALU_DEP_2) | instskip(NEXT) | instid1(VALU_DEP_2)
	v_fma_f64 v[9:10], v[3:4], v[7:8], -v[11:12]
	v_fma_f64 v[11:12], v[1:2], v[7:8], v[15:16]
	scratch_store_b128 off, v[9:12], off offset:144
.LBB119_51:
	s_or_b32 exec_lo, exec_lo, s2
	s_waitcnt_vscnt null, 0x0
	s_barrier
	buffer_gl0_inv
	scratch_load_b128 v[1:4], v200, off
	s_mov_b32 s2, exec_lo
	s_waitcnt vmcnt(0)
	ds_store_b128 v5, v[1:4]
	s_waitcnt lgkmcnt(0)
	s_barrier
	buffer_gl0_inv
	v_cmpx_gt_u32_e32 10, v154
	s_cbranch_execz .LBB119_55
; %bb.52:
	v_dual_mov_b32 v1, 0 :: v_dual_add_nc_u32 v8, 0x380, v13
	v_dual_mov_b32 v2, 0 :: v_dual_add_nc_u32 v7, -1, v154
	v_or_b32_e32 v9, 8, v14
	s_mov_b32 s3, 0
	s_delay_alu instid0(VALU_DEP_2)
	v_dual_mov_b32 v4, v2 :: v_dual_mov_b32 v3, v1
	.p2align	6
.LBB119_53:                             ; =>This Inner Loop Header: Depth=1
	scratch_load_b128 v[15:18], v9, off offset:-8
	ds_load_b128 v[19:22], v8
	v_add_nc_u32_e32 v7, 1, v7
	v_add_nc_u32_e32 v8, 16, v8
	;; [unrolled: 1-line block ×3, first 2 shown]
	s_delay_alu instid0(VALU_DEP_3) | instskip(SKIP_4) | instid1(VALU_DEP_2)
	v_cmp_lt_u32_e32 vcc_lo, 8, v7
	s_or_b32 s3, vcc_lo, s3
	s_waitcnt vmcnt(0) lgkmcnt(0)
	v_mul_f64 v[10:11], v[21:22], v[17:18]
	v_mul_f64 v[17:18], v[19:20], v[17:18]
	v_fma_f64 v[10:11], v[19:20], v[15:16], -v[10:11]
	s_delay_alu instid0(VALU_DEP_2) | instskip(NEXT) | instid1(VALU_DEP_2)
	v_fma_f64 v[15:16], v[21:22], v[15:16], v[17:18]
	v_add_f64 v[3:4], v[3:4], v[10:11]
	s_delay_alu instid0(VALU_DEP_2)
	v_add_f64 v[1:2], v[1:2], v[15:16]
	s_and_not1_b32 exec_lo, exec_lo, s3
	s_cbranch_execnz .LBB119_53
; %bb.54:
	s_or_b32 exec_lo, exec_lo, s3
	v_mov_b32_e32 v7, 0
	ds_load_b128 v[7:10], v7 offset:160
	s_waitcnt lgkmcnt(0)
	v_mul_f64 v[11:12], v[1:2], v[9:10]
	v_mul_f64 v[15:16], v[3:4], v[9:10]
	s_delay_alu instid0(VALU_DEP_2) | instskip(NEXT) | instid1(VALU_DEP_2)
	v_fma_f64 v[9:10], v[3:4], v[7:8], -v[11:12]
	v_fma_f64 v[11:12], v[1:2], v[7:8], v[15:16]
	scratch_store_b128 off, v[9:12], off offset:160
.LBB119_55:
	s_or_b32 exec_lo, exec_lo, s2
	s_waitcnt_vscnt null, 0x0
	s_barrier
	buffer_gl0_inv
	scratch_load_b128 v[1:4], v199, off
	s_mov_b32 s2, exec_lo
	s_waitcnt vmcnt(0)
	ds_store_b128 v5, v[1:4]
	s_waitcnt lgkmcnt(0)
	s_barrier
	buffer_gl0_inv
	v_cmpx_gt_u32_e32 11, v154
	s_cbranch_execz .LBB119_59
; %bb.56:
	v_dual_mov_b32 v1, 0 :: v_dual_add_nc_u32 v8, 0x380, v13
	v_dual_mov_b32 v2, 0 :: v_dual_add_nc_u32 v7, -1, v154
	v_or_b32_e32 v9, 8, v14
	s_mov_b32 s3, 0
	s_delay_alu instid0(VALU_DEP_2)
	v_dual_mov_b32 v4, v2 :: v_dual_mov_b32 v3, v1
	.p2align	6
.LBB119_57:                             ; =>This Inner Loop Header: Depth=1
	scratch_load_b128 v[15:18], v9, off offset:-8
	ds_load_b128 v[19:22], v8
	v_add_nc_u32_e32 v7, 1, v7
	v_add_nc_u32_e32 v8, 16, v8
	;; [unrolled: 1-line block ×3, first 2 shown]
	s_delay_alu instid0(VALU_DEP_3) | instskip(SKIP_4) | instid1(VALU_DEP_2)
	v_cmp_lt_u32_e32 vcc_lo, 9, v7
	s_or_b32 s3, vcc_lo, s3
	s_waitcnt vmcnt(0) lgkmcnt(0)
	v_mul_f64 v[10:11], v[21:22], v[17:18]
	v_mul_f64 v[17:18], v[19:20], v[17:18]
	v_fma_f64 v[10:11], v[19:20], v[15:16], -v[10:11]
	s_delay_alu instid0(VALU_DEP_2) | instskip(NEXT) | instid1(VALU_DEP_2)
	v_fma_f64 v[15:16], v[21:22], v[15:16], v[17:18]
	v_add_f64 v[3:4], v[3:4], v[10:11]
	s_delay_alu instid0(VALU_DEP_2)
	v_add_f64 v[1:2], v[1:2], v[15:16]
	s_and_not1_b32 exec_lo, exec_lo, s3
	s_cbranch_execnz .LBB119_57
; %bb.58:
	s_or_b32 exec_lo, exec_lo, s3
	v_mov_b32_e32 v7, 0
	ds_load_b128 v[7:10], v7 offset:176
	s_waitcnt lgkmcnt(0)
	v_mul_f64 v[11:12], v[1:2], v[9:10]
	v_mul_f64 v[15:16], v[3:4], v[9:10]
	s_delay_alu instid0(VALU_DEP_2) | instskip(NEXT) | instid1(VALU_DEP_2)
	v_fma_f64 v[9:10], v[3:4], v[7:8], -v[11:12]
	v_fma_f64 v[11:12], v[1:2], v[7:8], v[15:16]
	scratch_store_b128 off, v[9:12], off offset:176
.LBB119_59:
	s_or_b32 exec_lo, exec_lo, s2
	s_waitcnt_vscnt null, 0x0
	s_barrier
	buffer_gl0_inv
	scratch_load_b128 v[1:4], v198, off
	s_mov_b32 s2, exec_lo
	s_waitcnt vmcnt(0)
	ds_store_b128 v5, v[1:4]
	s_waitcnt lgkmcnt(0)
	s_barrier
	buffer_gl0_inv
	v_cmpx_gt_u32_e32 12, v154
	s_cbranch_execz .LBB119_63
; %bb.60:
	v_dual_mov_b32 v1, 0 :: v_dual_add_nc_u32 v8, 0x380, v13
	v_dual_mov_b32 v2, 0 :: v_dual_add_nc_u32 v7, -1, v154
	v_or_b32_e32 v9, 8, v14
	s_mov_b32 s3, 0
	s_delay_alu instid0(VALU_DEP_2)
	v_dual_mov_b32 v4, v2 :: v_dual_mov_b32 v3, v1
	.p2align	6
.LBB119_61:                             ; =>This Inner Loop Header: Depth=1
	scratch_load_b128 v[15:18], v9, off offset:-8
	ds_load_b128 v[19:22], v8
	v_add_nc_u32_e32 v7, 1, v7
	v_add_nc_u32_e32 v8, 16, v8
	;; [unrolled: 1-line block ×3, first 2 shown]
	s_delay_alu instid0(VALU_DEP_3) | instskip(SKIP_4) | instid1(VALU_DEP_2)
	v_cmp_lt_u32_e32 vcc_lo, 10, v7
	s_or_b32 s3, vcc_lo, s3
	s_waitcnt vmcnt(0) lgkmcnt(0)
	v_mul_f64 v[10:11], v[21:22], v[17:18]
	v_mul_f64 v[17:18], v[19:20], v[17:18]
	v_fma_f64 v[10:11], v[19:20], v[15:16], -v[10:11]
	s_delay_alu instid0(VALU_DEP_2) | instskip(NEXT) | instid1(VALU_DEP_2)
	v_fma_f64 v[15:16], v[21:22], v[15:16], v[17:18]
	v_add_f64 v[3:4], v[3:4], v[10:11]
	s_delay_alu instid0(VALU_DEP_2)
	v_add_f64 v[1:2], v[1:2], v[15:16]
	s_and_not1_b32 exec_lo, exec_lo, s3
	s_cbranch_execnz .LBB119_61
; %bb.62:
	s_or_b32 exec_lo, exec_lo, s3
	v_mov_b32_e32 v7, 0
	ds_load_b128 v[7:10], v7 offset:192
	s_waitcnt lgkmcnt(0)
	v_mul_f64 v[11:12], v[1:2], v[9:10]
	v_mul_f64 v[15:16], v[3:4], v[9:10]
	s_delay_alu instid0(VALU_DEP_2) | instskip(NEXT) | instid1(VALU_DEP_2)
	v_fma_f64 v[9:10], v[3:4], v[7:8], -v[11:12]
	v_fma_f64 v[11:12], v[1:2], v[7:8], v[15:16]
	scratch_store_b128 off, v[9:12], off offset:192
.LBB119_63:
	s_or_b32 exec_lo, exec_lo, s2
	s_waitcnt_vscnt null, 0x0
	s_barrier
	buffer_gl0_inv
	scratch_load_b128 v[1:4], v197, off
	s_mov_b32 s2, exec_lo
	s_waitcnt vmcnt(0)
	ds_store_b128 v5, v[1:4]
	s_waitcnt lgkmcnt(0)
	s_barrier
	buffer_gl0_inv
	v_cmpx_gt_u32_e32 13, v154
	s_cbranch_execz .LBB119_67
; %bb.64:
	v_dual_mov_b32 v1, 0 :: v_dual_add_nc_u32 v8, 0x380, v13
	v_dual_mov_b32 v2, 0 :: v_dual_add_nc_u32 v7, -1, v154
	v_or_b32_e32 v9, 8, v14
	s_mov_b32 s3, 0
	s_delay_alu instid0(VALU_DEP_2)
	v_dual_mov_b32 v4, v2 :: v_dual_mov_b32 v3, v1
	.p2align	6
.LBB119_65:                             ; =>This Inner Loop Header: Depth=1
	scratch_load_b128 v[15:18], v9, off offset:-8
	ds_load_b128 v[19:22], v8
	v_add_nc_u32_e32 v7, 1, v7
	v_add_nc_u32_e32 v8, 16, v8
	;; [unrolled: 1-line block ×3, first 2 shown]
	s_delay_alu instid0(VALU_DEP_3) | instskip(SKIP_4) | instid1(VALU_DEP_2)
	v_cmp_lt_u32_e32 vcc_lo, 11, v7
	s_or_b32 s3, vcc_lo, s3
	s_waitcnt vmcnt(0) lgkmcnt(0)
	v_mul_f64 v[10:11], v[21:22], v[17:18]
	v_mul_f64 v[17:18], v[19:20], v[17:18]
	v_fma_f64 v[10:11], v[19:20], v[15:16], -v[10:11]
	s_delay_alu instid0(VALU_DEP_2) | instskip(NEXT) | instid1(VALU_DEP_2)
	v_fma_f64 v[15:16], v[21:22], v[15:16], v[17:18]
	v_add_f64 v[3:4], v[3:4], v[10:11]
	s_delay_alu instid0(VALU_DEP_2)
	v_add_f64 v[1:2], v[1:2], v[15:16]
	s_and_not1_b32 exec_lo, exec_lo, s3
	s_cbranch_execnz .LBB119_65
; %bb.66:
	s_or_b32 exec_lo, exec_lo, s3
	v_mov_b32_e32 v7, 0
	ds_load_b128 v[7:10], v7 offset:208
	s_waitcnt lgkmcnt(0)
	v_mul_f64 v[11:12], v[1:2], v[9:10]
	v_mul_f64 v[15:16], v[3:4], v[9:10]
	s_delay_alu instid0(VALU_DEP_2) | instskip(NEXT) | instid1(VALU_DEP_2)
	v_fma_f64 v[9:10], v[3:4], v[7:8], -v[11:12]
	v_fma_f64 v[11:12], v[1:2], v[7:8], v[15:16]
	scratch_store_b128 off, v[9:12], off offset:208
.LBB119_67:
	s_or_b32 exec_lo, exec_lo, s2
	s_waitcnt_vscnt null, 0x0
	s_barrier
	buffer_gl0_inv
	scratch_load_b128 v[1:4], v196, off
	s_mov_b32 s2, exec_lo
	s_waitcnt vmcnt(0)
	ds_store_b128 v5, v[1:4]
	s_waitcnt lgkmcnt(0)
	s_barrier
	buffer_gl0_inv
	v_cmpx_gt_u32_e32 14, v154
	s_cbranch_execz .LBB119_71
; %bb.68:
	v_dual_mov_b32 v1, 0 :: v_dual_add_nc_u32 v8, 0x380, v13
	v_dual_mov_b32 v2, 0 :: v_dual_add_nc_u32 v7, -1, v154
	v_or_b32_e32 v9, 8, v14
	s_mov_b32 s3, 0
	s_delay_alu instid0(VALU_DEP_2)
	v_dual_mov_b32 v4, v2 :: v_dual_mov_b32 v3, v1
	.p2align	6
.LBB119_69:                             ; =>This Inner Loop Header: Depth=1
	scratch_load_b128 v[15:18], v9, off offset:-8
	ds_load_b128 v[19:22], v8
	v_add_nc_u32_e32 v7, 1, v7
	v_add_nc_u32_e32 v8, 16, v8
	;; [unrolled: 1-line block ×3, first 2 shown]
	s_delay_alu instid0(VALU_DEP_3) | instskip(SKIP_4) | instid1(VALU_DEP_2)
	v_cmp_lt_u32_e32 vcc_lo, 12, v7
	s_or_b32 s3, vcc_lo, s3
	s_waitcnt vmcnt(0) lgkmcnt(0)
	v_mul_f64 v[10:11], v[21:22], v[17:18]
	v_mul_f64 v[17:18], v[19:20], v[17:18]
	v_fma_f64 v[10:11], v[19:20], v[15:16], -v[10:11]
	s_delay_alu instid0(VALU_DEP_2) | instskip(NEXT) | instid1(VALU_DEP_2)
	v_fma_f64 v[15:16], v[21:22], v[15:16], v[17:18]
	v_add_f64 v[3:4], v[3:4], v[10:11]
	s_delay_alu instid0(VALU_DEP_2)
	v_add_f64 v[1:2], v[1:2], v[15:16]
	s_and_not1_b32 exec_lo, exec_lo, s3
	s_cbranch_execnz .LBB119_69
; %bb.70:
	s_or_b32 exec_lo, exec_lo, s3
	v_mov_b32_e32 v7, 0
	ds_load_b128 v[7:10], v7 offset:224
	s_waitcnt lgkmcnt(0)
	v_mul_f64 v[11:12], v[1:2], v[9:10]
	v_mul_f64 v[15:16], v[3:4], v[9:10]
	s_delay_alu instid0(VALU_DEP_2) | instskip(NEXT) | instid1(VALU_DEP_2)
	v_fma_f64 v[9:10], v[3:4], v[7:8], -v[11:12]
	v_fma_f64 v[11:12], v[1:2], v[7:8], v[15:16]
	scratch_store_b128 off, v[9:12], off offset:224
.LBB119_71:
	s_or_b32 exec_lo, exec_lo, s2
	s_waitcnt_vscnt null, 0x0
	s_barrier
	buffer_gl0_inv
	scratch_load_b128 v[1:4], v195, off
	s_mov_b32 s2, exec_lo
	s_waitcnt vmcnt(0)
	ds_store_b128 v5, v[1:4]
	s_waitcnt lgkmcnt(0)
	s_barrier
	buffer_gl0_inv
	v_cmpx_gt_u32_e32 15, v154
	s_cbranch_execz .LBB119_75
; %bb.72:
	v_dual_mov_b32 v1, 0 :: v_dual_add_nc_u32 v8, 0x380, v13
	v_dual_mov_b32 v2, 0 :: v_dual_add_nc_u32 v7, -1, v154
	v_or_b32_e32 v9, 8, v14
	s_mov_b32 s3, 0
	s_delay_alu instid0(VALU_DEP_2)
	v_dual_mov_b32 v4, v2 :: v_dual_mov_b32 v3, v1
	.p2align	6
.LBB119_73:                             ; =>This Inner Loop Header: Depth=1
	scratch_load_b128 v[15:18], v9, off offset:-8
	ds_load_b128 v[19:22], v8
	v_add_nc_u32_e32 v7, 1, v7
	v_add_nc_u32_e32 v8, 16, v8
	;; [unrolled: 1-line block ×3, first 2 shown]
	s_delay_alu instid0(VALU_DEP_3) | instskip(SKIP_4) | instid1(VALU_DEP_2)
	v_cmp_lt_u32_e32 vcc_lo, 13, v7
	s_or_b32 s3, vcc_lo, s3
	s_waitcnt vmcnt(0) lgkmcnt(0)
	v_mul_f64 v[10:11], v[21:22], v[17:18]
	v_mul_f64 v[17:18], v[19:20], v[17:18]
	v_fma_f64 v[10:11], v[19:20], v[15:16], -v[10:11]
	s_delay_alu instid0(VALU_DEP_2) | instskip(NEXT) | instid1(VALU_DEP_2)
	v_fma_f64 v[15:16], v[21:22], v[15:16], v[17:18]
	v_add_f64 v[3:4], v[3:4], v[10:11]
	s_delay_alu instid0(VALU_DEP_2)
	v_add_f64 v[1:2], v[1:2], v[15:16]
	s_and_not1_b32 exec_lo, exec_lo, s3
	s_cbranch_execnz .LBB119_73
; %bb.74:
	s_or_b32 exec_lo, exec_lo, s3
	v_mov_b32_e32 v7, 0
	ds_load_b128 v[7:10], v7 offset:240
	s_waitcnt lgkmcnt(0)
	v_mul_f64 v[11:12], v[1:2], v[9:10]
	v_mul_f64 v[15:16], v[3:4], v[9:10]
	s_delay_alu instid0(VALU_DEP_2) | instskip(NEXT) | instid1(VALU_DEP_2)
	v_fma_f64 v[9:10], v[3:4], v[7:8], -v[11:12]
	v_fma_f64 v[11:12], v[1:2], v[7:8], v[15:16]
	scratch_store_b128 off, v[9:12], off offset:240
.LBB119_75:
	s_or_b32 exec_lo, exec_lo, s2
	s_waitcnt_vscnt null, 0x0
	s_barrier
	buffer_gl0_inv
	scratch_load_b128 v[1:4], v194, off
	s_mov_b32 s2, exec_lo
	s_waitcnt vmcnt(0)
	ds_store_b128 v5, v[1:4]
	s_waitcnt lgkmcnt(0)
	s_barrier
	buffer_gl0_inv
	v_cmpx_gt_u32_e32 16, v154
	s_cbranch_execz .LBB119_79
; %bb.76:
	v_dual_mov_b32 v1, 0 :: v_dual_add_nc_u32 v8, 0x380, v13
	v_dual_mov_b32 v2, 0 :: v_dual_add_nc_u32 v7, -1, v154
	v_or_b32_e32 v9, 8, v14
	s_mov_b32 s3, 0
	s_delay_alu instid0(VALU_DEP_2)
	v_dual_mov_b32 v4, v2 :: v_dual_mov_b32 v3, v1
	.p2align	6
.LBB119_77:                             ; =>This Inner Loop Header: Depth=1
	scratch_load_b128 v[15:18], v9, off offset:-8
	ds_load_b128 v[19:22], v8
	v_add_nc_u32_e32 v7, 1, v7
	v_add_nc_u32_e32 v8, 16, v8
	;; [unrolled: 1-line block ×3, first 2 shown]
	s_delay_alu instid0(VALU_DEP_3) | instskip(SKIP_4) | instid1(VALU_DEP_2)
	v_cmp_lt_u32_e32 vcc_lo, 14, v7
	s_or_b32 s3, vcc_lo, s3
	s_waitcnt vmcnt(0) lgkmcnt(0)
	v_mul_f64 v[10:11], v[21:22], v[17:18]
	v_mul_f64 v[17:18], v[19:20], v[17:18]
	v_fma_f64 v[10:11], v[19:20], v[15:16], -v[10:11]
	s_delay_alu instid0(VALU_DEP_2) | instskip(NEXT) | instid1(VALU_DEP_2)
	v_fma_f64 v[15:16], v[21:22], v[15:16], v[17:18]
	v_add_f64 v[3:4], v[3:4], v[10:11]
	s_delay_alu instid0(VALU_DEP_2)
	v_add_f64 v[1:2], v[1:2], v[15:16]
	s_and_not1_b32 exec_lo, exec_lo, s3
	s_cbranch_execnz .LBB119_77
; %bb.78:
	s_or_b32 exec_lo, exec_lo, s3
	v_mov_b32_e32 v7, 0
	ds_load_b128 v[7:10], v7 offset:256
	s_waitcnt lgkmcnt(0)
	v_mul_f64 v[11:12], v[1:2], v[9:10]
	v_mul_f64 v[15:16], v[3:4], v[9:10]
	s_delay_alu instid0(VALU_DEP_2) | instskip(NEXT) | instid1(VALU_DEP_2)
	v_fma_f64 v[9:10], v[3:4], v[7:8], -v[11:12]
	v_fma_f64 v[11:12], v[1:2], v[7:8], v[15:16]
	scratch_store_b128 off, v[9:12], off offset:256
.LBB119_79:
	s_or_b32 exec_lo, exec_lo, s2
	s_waitcnt_vscnt null, 0x0
	s_barrier
	buffer_gl0_inv
	scratch_load_b128 v[1:4], v193, off
	s_mov_b32 s2, exec_lo
	s_waitcnt vmcnt(0)
	ds_store_b128 v5, v[1:4]
	s_waitcnt lgkmcnt(0)
	s_barrier
	buffer_gl0_inv
	v_cmpx_gt_u32_e32 17, v154
	s_cbranch_execz .LBB119_83
; %bb.80:
	v_dual_mov_b32 v1, 0 :: v_dual_add_nc_u32 v8, 0x380, v13
	v_dual_mov_b32 v2, 0 :: v_dual_add_nc_u32 v7, -1, v154
	v_or_b32_e32 v9, 8, v14
	s_mov_b32 s3, 0
	s_delay_alu instid0(VALU_DEP_2)
	v_dual_mov_b32 v4, v2 :: v_dual_mov_b32 v3, v1
	.p2align	6
.LBB119_81:                             ; =>This Inner Loop Header: Depth=1
	scratch_load_b128 v[15:18], v9, off offset:-8
	ds_load_b128 v[19:22], v8
	v_add_nc_u32_e32 v7, 1, v7
	v_add_nc_u32_e32 v8, 16, v8
	;; [unrolled: 1-line block ×3, first 2 shown]
	s_delay_alu instid0(VALU_DEP_3) | instskip(SKIP_4) | instid1(VALU_DEP_2)
	v_cmp_lt_u32_e32 vcc_lo, 15, v7
	s_or_b32 s3, vcc_lo, s3
	s_waitcnt vmcnt(0) lgkmcnt(0)
	v_mul_f64 v[10:11], v[21:22], v[17:18]
	v_mul_f64 v[17:18], v[19:20], v[17:18]
	v_fma_f64 v[10:11], v[19:20], v[15:16], -v[10:11]
	s_delay_alu instid0(VALU_DEP_2) | instskip(NEXT) | instid1(VALU_DEP_2)
	v_fma_f64 v[15:16], v[21:22], v[15:16], v[17:18]
	v_add_f64 v[3:4], v[3:4], v[10:11]
	s_delay_alu instid0(VALU_DEP_2)
	v_add_f64 v[1:2], v[1:2], v[15:16]
	s_and_not1_b32 exec_lo, exec_lo, s3
	s_cbranch_execnz .LBB119_81
; %bb.82:
	s_or_b32 exec_lo, exec_lo, s3
	v_mov_b32_e32 v7, 0
	ds_load_b128 v[7:10], v7 offset:272
	s_waitcnt lgkmcnt(0)
	v_mul_f64 v[11:12], v[1:2], v[9:10]
	v_mul_f64 v[15:16], v[3:4], v[9:10]
	s_delay_alu instid0(VALU_DEP_2) | instskip(NEXT) | instid1(VALU_DEP_2)
	v_fma_f64 v[9:10], v[3:4], v[7:8], -v[11:12]
	v_fma_f64 v[11:12], v[1:2], v[7:8], v[15:16]
	scratch_store_b128 off, v[9:12], off offset:272
.LBB119_83:
	s_or_b32 exec_lo, exec_lo, s2
	s_waitcnt_vscnt null, 0x0
	s_barrier
	buffer_gl0_inv
	scratch_load_b128 v[1:4], v192, off
	s_mov_b32 s2, exec_lo
	s_waitcnt vmcnt(0)
	ds_store_b128 v5, v[1:4]
	s_waitcnt lgkmcnt(0)
	s_barrier
	buffer_gl0_inv
	v_cmpx_gt_u32_e32 18, v154
	s_cbranch_execz .LBB119_87
; %bb.84:
	v_dual_mov_b32 v1, 0 :: v_dual_add_nc_u32 v8, 0x380, v13
	v_dual_mov_b32 v2, 0 :: v_dual_add_nc_u32 v7, -1, v154
	v_or_b32_e32 v9, 8, v14
	s_mov_b32 s3, 0
	s_delay_alu instid0(VALU_DEP_2)
	v_dual_mov_b32 v4, v2 :: v_dual_mov_b32 v3, v1
	.p2align	6
.LBB119_85:                             ; =>This Inner Loop Header: Depth=1
	scratch_load_b128 v[15:18], v9, off offset:-8
	ds_load_b128 v[19:22], v8
	v_add_nc_u32_e32 v7, 1, v7
	v_add_nc_u32_e32 v8, 16, v8
	;; [unrolled: 1-line block ×3, first 2 shown]
	s_delay_alu instid0(VALU_DEP_3) | instskip(SKIP_4) | instid1(VALU_DEP_2)
	v_cmp_lt_u32_e32 vcc_lo, 16, v7
	s_or_b32 s3, vcc_lo, s3
	s_waitcnt vmcnt(0) lgkmcnt(0)
	v_mul_f64 v[10:11], v[21:22], v[17:18]
	v_mul_f64 v[17:18], v[19:20], v[17:18]
	v_fma_f64 v[10:11], v[19:20], v[15:16], -v[10:11]
	s_delay_alu instid0(VALU_DEP_2) | instskip(NEXT) | instid1(VALU_DEP_2)
	v_fma_f64 v[15:16], v[21:22], v[15:16], v[17:18]
	v_add_f64 v[3:4], v[3:4], v[10:11]
	s_delay_alu instid0(VALU_DEP_2)
	v_add_f64 v[1:2], v[1:2], v[15:16]
	s_and_not1_b32 exec_lo, exec_lo, s3
	s_cbranch_execnz .LBB119_85
; %bb.86:
	s_or_b32 exec_lo, exec_lo, s3
	v_mov_b32_e32 v7, 0
	ds_load_b128 v[7:10], v7 offset:288
	s_waitcnt lgkmcnt(0)
	v_mul_f64 v[11:12], v[1:2], v[9:10]
	v_mul_f64 v[15:16], v[3:4], v[9:10]
	s_delay_alu instid0(VALU_DEP_2) | instskip(NEXT) | instid1(VALU_DEP_2)
	v_fma_f64 v[9:10], v[3:4], v[7:8], -v[11:12]
	v_fma_f64 v[11:12], v[1:2], v[7:8], v[15:16]
	scratch_store_b128 off, v[9:12], off offset:288
.LBB119_87:
	s_or_b32 exec_lo, exec_lo, s2
	s_waitcnt_vscnt null, 0x0
	s_barrier
	buffer_gl0_inv
	scratch_load_b128 v[1:4], v191, off
	s_mov_b32 s2, exec_lo
	s_waitcnt vmcnt(0)
	ds_store_b128 v5, v[1:4]
	s_waitcnt lgkmcnt(0)
	s_barrier
	buffer_gl0_inv
	v_cmpx_gt_u32_e32 19, v154
	s_cbranch_execz .LBB119_91
; %bb.88:
	v_dual_mov_b32 v1, 0 :: v_dual_add_nc_u32 v8, 0x380, v13
	v_dual_mov_b32 v2, 0 :: v_dual_add_nc_u32 v7, -1, v154
	v_or_b32_e32 v9, 8, v14
	s_mov_b32 s3, 0
	s_delay_alu instid0(VALU_DEP_2)
	v_dual_mov_b32 v4, v2 :: v_dual_mov_b32 v3, v1
	.p2align	6
.LBB119_89:                             ; =>This Inner Loop Header: Depth=1
	scratch_load_b128 v[15:18], v9, off offset:-8
	ds_load_b128 v[19:22], v8
	v_add_nc_u32_e32 v7, 1, v7
	v_add_nc_u32_e32 v8, 16, v8
	;; [unrolled: 1-line block ×3, first 2 shown]
	s_delay_alu instid0(VALU_DEP_3) | instskip(SKIP_4) | instid1(VALU_DEP_2)
	v_cmp_lt_u32_e32 vcc_lo, 17, v7
	s_or_b32 s3, vcc_lo, s3
	s_waitcnt vmcnt(0) lgkmcnt(0)
	v_mul_f64 v[10:11], v[21:22], v[17:18]
	v_mul_f64 v[17:18], v[19:20], v[17:18]
	v_fma_f64 v[10:11], v[19:20], v[15:16], -v[10:11]
	s_delay_alu instid0(VALU_DEP_2) | instskip(NEXT) | instid1(VALU_DEP_2)
	v_fma_f64 v[15:16], v[21:22], v[15:16], v[17:18]
	v_add_f64 v[3:4], v[3:4], v[10:11]
	s_delay_alu instid0(VALU_DEP_2)
	v_add_f64 v[1:2], v[1:2], v[15:16]
	s_and_not1_b32 exec_lo, exec_lo, s3
	s_cbranch_execnz .LBB119_89
; %bb.90:
	s_or_b32 exec_lo, exec_lo, s3
	v_mov_b32_e32 v7, 0
	ds_load_b128 v[7:10], v7 offset:304
	s_waitcnt lgkmcnt(0)
	v_mul_f64 v[11:12], v[1:2], v[9:10]
	v_mul_f64 v[15:16], v[3:4], v[9:10]
	s_delay_alu instid0(VALU_DEP_2) | instskip(NEXT) | instid1(VALU_DEP_2)
	v_fma_f64 v[9:10], v[3:4], v[7:8], -v[11:12]
	v_fma_f64 v[11:12], v[1:2], v[7:8], v[15:16]
	scratch_store_b128 off, v[9:12], off offset:304
.LBB119_91:
	s_or_b32 exec_lo, exec_lo, s2
	s_waitcnt_vscnt null, 0x0
	s_barrier
	buffer_gl0_inv
	scratch_load_b128 v[1:4], v190, off
	s_mov_b32 s2, exec_lo
	s_waitcnt vmcnt(0)
	ds_store_b128 v5, v[1:4]
	s_waitcnt lgkmcnt(0)
	s_barrier
	buffer_gl0_inv
	v_cmpx_gt_u32_e32 20, v154
	s_cbranch_execz .LBB119_95
; %bb.92:
	v_dual_mov_b32 v1, 0 :: v_dual_add_nc_u32 v8, 0x380, v13
	v_dual_mov_b32 v2, 0 :: v_dual_add_nc_u32 v7, -1, v154
	v_or_b32_e32 v9, 8, v14
	s_mov_b32 s3, 0
	s_delay_alu instid0(VALU_DEP_2)
	v_dual_mov_b32 v4, v2 :: v_dual_mov_b32 v3, v1
	.p2align	6
.LBB119_93:                             ; =>This Inner Loop Header: Depth=1
	scratch_load_b128 v[15:18], v9, off offset:-8
	ds_load_b128 v[19:22], v8
	v_add_nc_u32_e32 v7, 1, v7
	v_add_nc_u32_e32 v8, 16, v8
	v_add_nc_u32_e32 v9, 16, v9
	s_delay_alu instid0(VALU_DEP_3) | instskip(SKIP_4) | instid1(VALU_DEP_2)
	v_cmp_lt_u32_e32 vcc_lo, 18, v7
	s_or_b32 s3, vcc_lo, s3
	s_waitcnt vmcnt(0) lgkmcnt(0)
	v_mul_f64 v[10:11], v[21:22], v[17:18]
	v_mul_f64 v[17:18], v[19:20], v[17:18]
	v_fma_f64 v[10:11], v[19:20], v[15:16], -v[10:11]
	s_delay_alu instid0(VALU_DEP_2) | instskip(NEXT) | instid1(VALU_DEP_2)
	v_fma_f64 v[15:16], v[21:22], v[15:16], v[17:18]
	v_add_f64 v[3:4], v[3:4], v[10:11]
	s_delay_alu instid0(VALU_DEP_2)
	v_add_f64 v[1:2], v[1:2], v[15:16]
	s_and_not1_b32 exec_lo, exec_lo, s3
	s_cbranch_execnz .LBB119_93
; %bb.94:
	s_or_b32 exec_lo, exec_lo, s3
	v_mov_b32_e32 v7, 0
	ds_load_b128 v[7:10], v7 offset:320
	s_waitcnt lgkmcnt(0)
	v_mul_f64 v[11:12], v[1:2], v[9:10]
	v_mul_f64 v[15:16], v[3:4], v[9:10]
	s_delay_alu instid0(VALU_DEP_2) | instskip(NEXT) | instid1(VALU_DEP_2)
	v_fma_f64 v[9:10], v[3:4], v[7:8], -v[11:12]
	v_fma_f64 v[11:12], v[1:2], v[7:8], v[15:16]
	scratch_store_b128 off, v[9:12], off offset:320
.LBB119_95:
	s_or_b32 exec_lo, exec_lo, s2
	s_waitcnt_vscnt null, 0x0
	s_barrier
	buffer_gl0_inv
	scratch_load_b128 v[1:4], v189, off
	s_mov_b32 s2, exec_lo
	s_waitcnt vmcnt(0)
	ds_store_b128 v5, v[1:4]
	s_waitcnt lgkmcnt(0)
	s_barrier
	buffer_gl0_inv
	v_cmpx_gt_u32_e32 21, v154
	s_cbranch_execz .LBB119_99
; %bb.96:
	v_dual_mov_b32 v1, 0 :: v_dual_add_nc_u32 v8, 0x380, v13
	v_dual_mov_b32 v2, 0 :: v_dual_add_nc_u32 v7, -1, v154
	v_or_b32_e32 v9, 8, v14
	s_mov_b32 s3, 0
	s_delay_alu instid0(VALU_DEP_2)
	v_dual_mov_b32 v4, v2 :: v_dual_mov_b32 v3, v1
	.p2align	6
.LBB119_97:                             ; =>This Inner Loop Header: Depth=1
	scratch_load_b128 v[15:18], v9, off offset:-8
	ds_load_b128 v[19:22], v8
	v_add_nc_u32_e32 v7, 1, v7
	v_add_nc_u32_e32 v8, 16, v8
	;; [unrolled: 1-line block ×3, first 2 shown]
	s_delay_alu instid0(VALU_DEP_3) | instskip(SKIP_4) | instid1(VALU_DEP_2)
	v_cmp_lt_u32_e32 vcc_lo, 19, v7
	s_or_b32 s3, vcc_lo, s3
	s_waitcnt vmcnt(0) lgkmcnt(0)
	v_mul_f64 v[10:11], v[21:22], v[17:18]
	v_mul_f64 v[17:18], v[19:20], v[17:18]
	v_fma_f64 v[10:11], v[19:20], v[15:16], -v[10:11]
	s_delay_alu instid0(VALU_DEP_2) | instskip(NEXT) | instid1(VALU_DEP_2)
	v_fma_f64 v[15:16], v[21:22], v[15:16], v[17:18]
	v_add_f64 v[3:4], v[3:4], v[10:11]
	s_delay_alu instid0(VALU_DEP_2)
	v_add_f64 v[1:2], v[1:2], v[15:16]
	s_and_not1_b32 exec_lo, exec_lo, s3
	s_cbranch_execnz .LBB119_97
; %bb.98:
	s_or_b32 exec_lo, exec_lo, s3
	v_mov_b32_e32 v7, 0
	ds_load_b128 v[7:10], v7 offset:336
	s_waitcnt lgkmcnt(0)
	v_mul_f64 v[11:12], v[1:2], v[9:10]
	v_mul_f64 v[15:16], v[3:4], v[9:10]
	s_delay_alu instid0(VALU_DEP_2) | instskip(NEXT) | instid1(VALU_DEP_2)
	v_fma_f64 v[9:10], v[3:4], v[7:8], -v[11:12]
	v_fma_f64 v[11:12], v[1:2], v[7:8], v[15:16]
	scratch_store_b128 off, v[9:12], off offset:336
.LBB119_99:
	s_or_b32 exec_lo, exec_lo, s2
	s_waitcnt_vscnt null, 0x0
	s_barrier
	buffer_gl0_inv
	scratch_load_b128 v[1:4], v187, off
	s_mov_b32 s2, exec_lo
	s_waitcnt vmcnt(0)
	ds_store_b128 v5, v[1:4]
	s_waitcnt lgkmcnt(0)
	s_barrier
	buffer_gl0_inv
	v_cmpx_gt_u32_e32 22, v154
	s_cbranch_execz .LBB119_103
; %bb.100:
	v_dual_mov_b32 v1, 0 :: v_dual_add_nc_u32 v8, 0x380, v13
	v_dual_mov_b32 v2, 0 :: v_dual_add_nc_u32 v7, -1, v154
	v_or_b32_e32 v9, 8, v14
	s_mov_b32 s3, 0
	s_delay_alu instid0(VALU_DEP_2)
	v_dual_mov_b32 v4, v2 :: v_dual_mov_b32 v3, v1
	.p2align	6
.LBB119_101:                            ; =>This Inner Loop Header: Depth=1
	scratch_load_b128 v[15:18], v9, off offset:-8
	ds_load_b128 v[19:22], v8
	v_add_nc_u32_e32 v7, 1, v7
	v_add_nc_u32_e32 v8, 16, v8
	v_add_nc_u32_e32 v9, 16, v9
	s_delay_alu instid0(VALU_DEP_3) | instskip(SKIP_4) | instid1(VALU_DEP_2)
	v_cmp_lt_u32_e32 vcc_lo, 20, v7
	s_or_b32 s3, vcc_lo, s3
	s_waitcnt vmcnt(0) lgkmcnt(0)
	v_mul_f64 v[10:11], v[21:22], v[17:18]
	v_mul_f64 v[17:18], v[19:20], v[17:18]
	v_fma_f64 v[10:11], v[19:20], v[15:16], -v[10:11]
	s_delay_alu instid0(VALU_DEP_2) | instskip(NEXT) | instid1(VALU_DEP_2)
	v_fma_f64 v[15:16], v[21:22], v[15:16], v[17:18]
	v_add_f64 v[3:4], v[3:4], v[10:11]
	s_delay_alu instid0(VALU_DEP_2)
	v_add_f64 v[1:2], v[1:2], v[15:16]
	s_and_not1_b32 exec_lo, exec_lo, s3
	s_cbranch_execnz .LBB119_101
; %bb.102:
	s_or_b32 exec_lo, exec_lo, s3
	v_mov_b32_e32 v7, 0
	ds_load_b128 v[7:10], v7 offset:352
	s_waitcnt lgkmcnt(0)
	v_mul_f64 v[11:12], v[1:2], v[9:10]
	v_mul_f64 v[15:16], v[3:4], v[9:10]
	s_delay_alu instid0(VALU_DEP_2) | instskip(NEXT) | instid1(VALU_DEP_2)
	v_fma_f64 v[9:10], v[3:4], v[7:8], -v[11:12]
	v_fma_f64 v[11:12], v[1:2], v[7:8], v[15:16]
	scratch_store_b128 off, v[9:12], off offset:352
.LBB119_103:
	s_or_b32 exec_lo, exec_lo, s2
	s_waitcnt_vscnt null, 0x0
	s_barrier
	buffer_gl0_inv
	scratch_load_b128 v[1:4], v188, off
	s_mov_b32 s2, exec_lo
	s_waitcnt vmcnt(0)
	ds_store_b128 v5, v[1:4]
	s_waitcnt lgkmcnt(0)
	s_barrier
	buffer_gl0_inv
	v_cmpx_gt_u32_e32 23, v154
	s_cbranch_execz .LBB119_107
; %bb.104:
	v_dual_mov_b32 v1, 0 :: v_dual_add_nc_u32 v8, 0x380, v13
	v_dual_mov_b32 v2, 0 :: v_dual_add_nc_u32 v7, -1, v154
	v_or_b32_e32 v9, 8, v14
	s_mov_b32 s3, 0
	s_delay_alu instid0(VALU_DEP_2)
	v_dual_mov_b32 v4, v2 :: v_dual_mov_b32 v3, v1
	.p2align	6
.LBB119_105:                            ; =>This Inner Loop Header: Depth=1
	scratch_load_b128 v[15:18], v9, off offset:-8
	ds_load_b128 v[19:22], v8
	v_add_nc_u32_e32 v7, 1, v7
	v_add_nc_u32_e32 v8, 16, v8
	;; [unrolled: 1-line block ×3, first 2 shown]
	s_delay_alu instid0(VALU_DEP_3) | instskip(SKIP_4) | instid1(VALU_DEP_2)
	v_cmp_lt_u32_e32 vcc_lo, 21, v7
	s_or_b32 s3, vcc_lo, s3
	s_waitcnt vmcnt(0) lgkmcnt(0)
	v_mul_f64 v[10:11], v[21:22], v[17:18]
	v_mul_f64 v[17:18], v[19:20], v[17:18]
	v_fma_f64 v[10:11], v[19:20], v[15:16], -v[10:11]
	s_delay_alu instid0(VALU_DEP_2) | instskip(NEXT) | instid1(VALU_DEP_2)
	v_fma_f64 v[15:16], v[21:22], v[15:16], v[17:18]
	v_add_f64 v[3:4], v[3:4], v[10:11]
	s_delay_alu instid0(VALU_DEP_2)
	v_add_f64 v[1:2], v[1:2], v[15:16]
	s_and_not1_b32 exec_lo, exec_lo, s3
	s_cbranch_execnz .LBB119_105
; %bb.106:
	s_or_b32 exec_lo, exec_lo, s3
	v_mov_b32_e32 v7, 0
	ds_load_b128 v[7:10], v7 offset:368
	s_waitcnt lgkmcnt(0)
	v_mul_f64 v[11:12], v[1:2], v[9:10]
	v_mul_f64 v[15:16], v[3:4], v[9:10]
	s_delay_alu instid0(VALU_DEP_2) | instskip(NEXT) | instid1(VALU_DEP_2)
	v_fma_f64 v[9:10], v[3:4], v[7:8], -v[11:12]
	v_fma_f64 v[11:12], v[1:2], v[7:8], v[15:16]
	scratch_store_b128 off, v[9:12], off offset:368
.LBB119_107:
	s_or_b32 exec_lo, exec_lo, s2
	s_waitcnt_vscnt null, 0x0
	s_barrier
	buffer_gl0_inv
	scratch_load_b128 v[1:4], v186, off
	s_mov_b32 s2, exec_lo
	s_waitcnt vmcnt(0)
	ds_store_b128 v5, v[1:4]
	s_waitcnt lgkmcnt(0)
	s_barrier
	buffer_gl0_inv
	v_cmpx_gt_u32_e32 24, v154
	s_cbranch_execz .LBB119_111
; %bb.108:
	v_dual_mov_b32 v1, 0 :: v_dual_add_nc_u32 v8, 0x380, v13
	v_dual_mov_b32 v2, 0 :: v_dual_add_nc_u32 v7, -1, v154
	v_or_b32_e32 v9, 8, v14
	s_mov_b32 s3, 0
	s_delay_alu instid0(VALU_DEP_2)
	v_dual_mov_b32 v4, v2 :: v_dual_mov_b32 v3, v1
	.p2align	6
.LBB119_109:                            ; =>This Inner Loop Header: Depth=1
	scratch_load_b128 v[15:18], v9, off offset:-8
	ds_load_b128 v[19:22], v8
	v_add_nc_u32_e32 v7, 1, v7
	v_add_nc_u32_e32 v8, 16, v8
	v_add_nc_u32_e32 v9, 16, v9
	s_delay_alu instid0(VALU_DEP_3) | instskip(SKIP_4) | instid1(VALU_DEP_2)
	v_cmp_lt_u32_e32 vcc_lo, 22, v7
	s_or_b32 s3, vcc_lo, s3
	s_waitcnt vmcnt(0) lgkmcnt(0)
	v_mul_f64 v[10:11], v[21:22], v[17:18]
	v_mul_f64 v[17:18], v[19:20], v[17:18]
	v_fma_f64 v[10:11], v[19:20], v[15:16], -v[10:11]
	s_delay_alu instid0(VALU_DEP_2) | instskip(NEXT) | instid1(VALU_DEP_2)
	v_fma_f64 v[15:16], v[21:22], v[15:16], v[17:18]
	v_add_f64 v[3:4], v[3:4], v[10:11]
	s_delay_alu instid0(VALU_DEP_2)
	v_add_f64 v[1:2], v[1:2], v[15:16]
	s_and_not1_b32 exec_lo, exec_lo, s3
	s_cbranch_execnz .LBB119_109
; %bb.110:
	s_or_b32 exec_lo, exec_lo, s3
	v_mov_b32_e32 v7, 0
	ds_load_b128 v[7:10], v7 offset:384
	s_waitcnt lgkmcnt(0)
	v_mul_f64 v[11:12], v[1:2], v[9:10]
	v_mul_f64 v[15:16], v[3:4], v[9:10]
	s_delay_alu instid0(VALU_DEP_2) | instskip(NEXT) | instid1(VALU_DEP_2)
	v_fma_f64 v[9:10], v[3:4], v[7:8], -v[11:12]
	v_fma_f64 v[11:12], v[1:2], v[7:8], v[15:16]
	scratch_store_b128 off, v[9:12], off offset:384
.LBB119_111:
	s_or_b32 exec_lo, exec_lo, s2
	s_waitcnt_vscnt null, 0x0
	s_barrier
	buffer_gl0_inv
	scratch_load_b128 v[1:4], v211, off
	s_mov_b32 s2, exec_lo
	s_waitcnt vmcnt(0)
	ds_store_b128 v5, v[1:4]
	s_waitcnt lgkmcnt(0)
	s_barrier
	buffer_gl0_inv
	v_cmpx_gt_u32_e32 25, v154
	s_cbranch_execz .LBB119_115
; %bb.112:
	v_dual_mov_b32 v1, 0 :: v_dual_add_nc_u32 v8, 0x380, v13
	v_dual_mov_b32 v2, 0 :: v_dual_add_nc_u32 v7, -1, v154
	v_or_b32_e32 v9, 8, v14
	s_mov_b32 s3, 0
	s_delay_alu instid0(VALU_DEP_2)
	v_dual_mov_b32 v4, v2 :: v_dual_mov_b32 v3, v1
	.p2align	6
.LBB119_113:                            ; =>This Inner Loop Header: Depth=1
	scratch_load_b128 v[15:18], v9, off offset:-8
	ds_load_b128 v[19:22], v8
	v_add_nc_u32_e32 v7, 1, v7
	v_add_nc_u32_e32 v8, 16, v8
	;; [unrolled: 1-line block ×3, first 2 shown]
	s_delay_alu instid0(VALU_DEP_3) | instskip(SKIP_4) | instid1(VALU_DEP_2)
	v_cmp_lt_u32_e32 vcc_lo, 23, v7
	s_or_b32 s3, vcc_lo, s3
	s_waitcnt vmcnt(0) lgkmcnt(0)
	v_mul_f64 v[10:11], v[21:22], v[17:18]
	v_mul_f64 v[17:18], v[19:20], v[17:18]
	v_fma_f64 v[10:11], v[19:20], v[15:16], -v[10:11]
	s_delay_alu instid0(VALU_DEP_2) | instskip(NEXT) | instid1(VALU_DEP_2)
	v_fma_f64 v[15:16], v[21:22], v[15:16], v[17:18]
	v_add_f64 v[3:4], v[3:4], v[10:11]
	s_delay_alu instid0(VALU_DEP_2)
	v_add_f64 v[1:2], v[1:2], v[15:16]
	s_and_not1_b32 exec_lo, exec_lo, s3
	s_cbranch_execnz .LBB119_113
; %bb.114:
	s_or_b32 exec_lo, exec_lo, s3
	v_mov_b32_e32 v7, 0
	ds_load_b128 v[7:10], v7 offset:400
	s_waitcnt lgkmcnt(0)
	v_mul_f64 v[11:12], v[1:2], v[9:10]
	v_mul_f64 v[15:16], v[3:4], v[9:10]
	s_delay_alu instid0(VALU_DEP_2) | instskip(NEXT) | instid1(VALU_DEP_2)
	v_fma_f64 v[9:10], v[3:4], v[7:8], -v[11:12]
	v_fma_f64 v[11:12], v[1:2], v[7:8], v[15:16]
	scratch_store_b128 off, v[9:12], off offset:400
.LBB119_115:
	s_or_b32 exec_lo, exec_lo, s2
	s_waitcnt_vscnt null, 0x0
	s_barrier
	buffer_gl0_inv
	scratch_load_b128 v[1:4], v254, off
	s_mov_b32 s2, exec_lo
	s_waitcnt vmcnt(0)
	ds_store_b128 v5, v[1:4]
	s_waitcnt lgkmcnt(0)
	s_barrier
	buffer_gl0_inv
	v_cmpx_gt_u32_e32 26, v154
	s_cbranch_execz .LBB119_119
; %bb.116:
	v_dual_mov_b32 v1, 0 :: v_dual_add_nc_u32 v8, 0x380, v13
	v_dual_mov_b32 v2, 0 :: v_dual_add_nc_u32 v7, -1, v154
	v_or_b32_e32 v9, 8, v14
	s_mov_b32 s3, 0
	s_delay_alu instid0(VALU_DEP_2)
	v_dual_mov_b32 v4, v2 :: v_dual_mov_b32 v3, v1
	.p2align	6
.LBB119_117:                            ; =>This Inner Loop Header: Depth=1
	scratch_load_b128 v[15:18], v9, off offset:-8
	ds_load_b128 v[19:22], v8
	v_add_nc_u32_e32 v7, 1, v7
	v_add_nc_u32_e32 v8, 16, v8
	;; [unrolled: 1-line block ×3, first 2 shown]
	s_delay_alu instid0(VALU_DEP_3) | instskip(SKIP_4) | instid1(VALU_DEP_2)
	v_cmp_lt_u32_e32 vcc_lo, 24, v7
	s_or_b32 s3, vcc_lo, s3
	s_waitcnt vmcnt(0) lgkmcnt(0)
	v_mul_f64 v[10:11], v[21:22], v[17:18]
	v_mul_f64 v[17:18], v[19:20], v[17:18]
	v_fma_f64 v[10:11], v[19:20], v[15:16], -v[10:11]
	s_delay_alu instid0(VALU_DEP_2) | instskip(NEXT) | instid1(VALU_DEP_2)
	v_fma_f64 v[15:16], v[21:22], v[15:16], v[17:18]
	v_add_f64 v[3:4], v[3:4], v[10:11]
	s_delay_alu instid0(VALU_DEP_2)
	v_add_f64 v[1:2], v[1:2], v[15:16]
	s_and_not1_b32 exec_lo, exec_lo, s3
	s_cbranch_execnz .LBB119_117
; %bb.118:
	s_or_b32 exec_lo, exec_lo, s3
	v_mov_b32_e32 v7, 0
	ds_load_b128 v[7:10], v7 offset:416
	s_waitcnt lgkmcnt(0)
	v_mul_f64 v[11:12], v[1:2], v[9:10]
	v_mul_f64 v[15:16], v[3:4], v[9:10]
	s_delay_alu instid0(VALU_DEP_2) | instskip(NEXT) | instid1(VALU_DEP_2)
	v_fma_f64 v[9:10], v[3:4], v[7:8], -v[11:12]
	v_fma_f64 v[11:12], v[1:2], v[7:8], v[15:16]
	scratch_store_b128 off, v[9:12], off offset:416
.LBB119_119:
	s_or_b32 exec_lo, exec_lo, s2
	s_waitcnt_vscnt null, 0x0
	s_barrier
	buffer_gl0_inv
	scratch_load_b128 v[1:4], v255, off
	s_mov_b32 s2, exec_lo
	s_waitcnt vmcnt(0)
	ds_store_b128 v5, v[1:4]
	s_waitcnt lgkmcnt(0)
	s_barrier
	buffer_gl0_inv
	v_cmpx_gt_u32_e32 27, v154
	s_cbranch_execz .LBB119_123
; %bb.120:
	v_dual_mov_b32 v1, 0 :: v_dual_add_nc_u32 v8, 0x380, v13
	v_dual_mov_b32 v2, 0 :: v_dual_add_nc_u32 v7, -1, v154
	v_or_b32_e32 v9, 8, v14
	s_mov_b32 s3, 0
	s_delay_alu instid0(VALU_DEP_2)
	v_dual_mov_b32 v4, v2 :: v_dual_mov_b32 v3, v1
	.p2align	6
.LBB119_121:                            ; =>This Inner Loop Header: Depth=1
	scratch_load_b128 v[15:18], v9, off offset:-8
	ds_load_b128 v[19:22], v8
	v_add_nc_u32_e32 v7, 1, v7
	v_add_nc_u32_e32 v8, 16, v8
	;; [unrolled: 1-line block ×3, first 2 shown]
	s_delay_alu instid0(VALU_DEP_3) | instskip(SKIP_4) | instid1(VALU_DEP_2)
	v_cmp_lt_u32_e32 vcc_lo, 25, v7
	s_or_b32 s3, vcc_lo, s3
	s_waitcnt vmcnt(0) lgkmcnt(0)
	v_mul_f64 v[10:11], v[21:22], v[17:18]
	v_mul_f64 v[17:18], v[19:20], v[17:18]
	v_fma_f64 v[10:11], v[19:20], v[15:16], -v[10:11]
	s_delay_alu instid0(VALU_DEP_2) | instskip(NEXT) | instid1(VALU_DEP_2)
	v_fma_f64 v[15:16], v[21:22], v[15:16], v[17:18]
	v_add_f64 v[3:4], v[3:4], v[10:11]
	s_delay_alu instid0(VALU_DEP_2)
	v_add_f64 v[1:2], v[1:2], v[15:16]
	s_and_not1_b32 exec_lo, exec_lo, s3
	s_cbranch_execnz .LBB119_121
; %bb.122:
	s_or_b32 exec_lo, exec_lo, s3
	v_mov_b32_e32 v7, 0
	ds_load_b128 v[7:10], v7 offset:432
	s_waitcnt lgkmcnt(0)
	v_mul_f64 v[11:12], v[1:2], v[9:10]
	v_mul_f64 v[15:16], v[3:4], v[9:10]
	s_delay_alu instid0(VALU_DEP_2) | instskip(NEXT) | instid1(VALU_DEP_2)
	v_fma_f64 v[9:10], v[3:4], v[7:8], -v[11:12]
	v_fma_f64 v[11:12], v[1:2], v[7:8], v[15:16]
	scratch_store_b128 off, v[9:12], off offset:432
.LBB119_123:
	s_or_b32 exec_lo, exec_lo, s2
	s_waitcnt_vscnt null, 0x0
	s_barrier
	buffer_gl0_inv
	scratch_load_b128 v[1:4], v161, off
	s_mov_b32 s2, exec_lo
	s_waitcnt vmcnt(0)
	ds_store_b128 v5, v[1:4]
	s_waitcnt lgkmcnt(0)
	s_barrier
	buffer_gl0_inv
	v_cmpx_gt_u32_e32 28, v154
	s_cbranch_execz .LBB119_127
; %bb.124:
	v_dual_mov_b32 v1, 0 :: v_dual_add_nc_u32 v8, 0x380, v13
	v_dual_mov_b32 v2, 0 :: v_dual_add_nc_u32 v7, -1, v154
	v_or_b32_e32 v9, 8, v14
	s_mov_b32 s3, 0
	s_delay_alu instid0(VALU_DEP_2)
	v_dual_mov_b32 v4, v2 :: v_dual_mov_b32 v3, v1
	.p2align	6
.LBB119_125:                            ; =>This Inner Loop Header: Depth=1
	scratch_load_b128 v[15:18], v9, off offset:-8
	ds_load_b128 v[19:22], v8
	v_add_nc_u32_e32 v7, 1, v7
	v_add_nc_u32_e32 v8, 16, v8
	;; [unrolled: 1-line block ×3, first 2 shown]
	s_delay_alu instid0(VALU_DEP_3) | instskip(SKIP_4) | instid1(VALU_DEP_2)
	v_cmp_lt_u32_e32 vcc_lo, 26, v7
	s_or_b32 s3, vcc_lo, s3
	s_waitcnt vmcnt(0) lgkmcnt(0)
	v_mul_f64 v[10:11], v[21:22], v[17:18]
	v_mul_f64 v[17:18], v[19:20], v[17:18]
	v_fma_f64 v[10:11], v[19:20], v[15:16], -v[10:11]
	s_delay_alu instid0(VALU_DEP_2) | instskip(NEXT) | instid1(VALU_DEP_2)
	v_fma_f64 v[15:16], v[21:22], v[15:16], v[17:18]
	v_add_f64 v[3:4], v[3:4], v[10:11]
	s_delay_alu instid0(VALU_DEP_2)
	v_add_f64 v[1:2], v[1:2], v[15:16]
	s_and_not1_b32 exec_lo, exec_lo, s3
	s_cbranch_execnz .LBB119_125
; %bb.126:
	s_or_b32 exec_lo, exec_lo, s3
	v_mov_b32_e32 v7, 0
	ds_load_b128 v[7:10], v7 offset:448
	s_waitcnt lgkmcnt(0)
	v_mul_f64 v[11:12], v[1:2], v[9:10]
	v_mul_f64 v[15:16], v[3:4], v[9:10]
	s_delay_alu instid0(VALU_DEP_2) | instskip(NEXT) | instid1(VALU_DEP_2)
	v_fma_f64 v[9:10], v[3:4], v[7:8], -v[11:12]
	v_fma_f64 v[11:12], v[1:2], v[7:8], v[15:16]
	scratch_store_b128 off, v[9:12], off offset:448
.LBB119_127:
	s_or_b32 exec_lo, exec_lo, s2
	s_waitcnt_vscnt null, 0x0
	s_barrier
	buffer_gl0_inv
	scratch_load_b128 v[1:4], v160, off
	s_mov_b32 s2, exec_lo
	s_waitcnt vmcnt(0)
	ds_store_b128 v5, v[1:4]
	s_waitcnt lgkmcnt(0)
	s_barrier
	buffer_gl0_inv
	v_cmpx_gt_u32_e32 29, v154
	s_cbranch_execz .LBB119_131
; %bb.128:
	v_dual_mov_b32 v1, 0 :: v_dual_add_nc_u32 v8, 0x380, v13
	v_dual_mov_b32 v2, 0 :: v_dual_add_nc_u32 v7, -1, v154
	v_or_b32_e32 v9, 8, v14
	s_mov_b32 s3, 0
	s_delay_alu instid0(VALU_DEP_2)
	v_dual_mov_b32 v4, v2 :: v_dual_mov_b32 v3, v1
	.p2align	6
.LBB119_129:                            ; =>This Inner Loop Header: Depth=1
	scratch_load_b128 v[15:18], v9, off offset:-8
	ds_load_b128 v[19:22], v8
	v_add_nc_u32_e32 v7, 1, v7
	v_add_nc_u32_e32 v8, 16, v8
	;; [unrolled: 1-line block ×3, first 2 shown]
	s_delay_alu instid0(VALU_DEP_3) | instskip(SKIP_4) | instid1(VALU_DEP_2)
	v_cmp_lt_u32_e32 vcc_lo, 27, v7
	s_or_b32 s3, vcc_lo, s3
	s_waitcnt vmcnt(0) lgkmcnt(0)
	v_mul_f64 v[10:11], v[21:22], v[17:18]
	v_mul_f64 v[17:18], v[19:20], v[17:18]
	v_fma_f64 v[10:11], v[19:20], v[15:16], -v[10:11]
	s_delay_alu instid0(VALU_DEP_2) | instskip(NEXT) | instid1(VALU_DEP_2)
	v_fma_f64 v[15:16], v[21:22], v[15:16], v[17:18]
	v_add_f64 v[3:4], v[3:4], v[10:11]
	s_delay_alu instid0(VALU_DEP_2)
	v_add_f64 v[1:2], v[1:2], v[15:16]
	s_and_not1_b32 exec_lo, exec_lo, s3
	s_cbranch_execnz .LBB119_129
; %bb.130:
	s_or_b32 exec_lo, exec_lo, s3
	v_mov_b32_e32 v7, 0
	ds_load_b128 v[7:10], v7 offset:464
	s_waitcnt lgkmcnt(0)
	v_mul_f64 v[11:12], v[1:2], v[9:10]
	v_mul_f64 v[15:16], v[3:4], v[9:10]
	s_delay_alu instid0(VALU_DEP_2) | instskip(NEXT) | instid1(VALU_DEP_2)
	v_fma_f64 v[9:10], v[3:4], v[7:8], -v[11:12]
	v_fma_f64 v[11:12], v[1:2], v[7:8], v[15:16]
	scratch_store_b128 off, v[9:12], off offset:464
.LBB119_131:
	s_or_b32 exec_lo, exec_lo, s2
	s_waitcnt_vscnt null, 0x0
	s_barrier
	buffer_gl0_inv
	scratch_load_b128 v[1:4], v213, off
	s_mov_b32 s2, exec_lo
	s_waitcnt vmcnt(0)
	ds_store_b128 v5, v[1:4]
	s_waitcnt lgkmcnt(0)
	s_barrier
	buffer_gl0_inv
	v_cmpx_gt_u32_e32 30, v154
	s_cbranch_execz .LBB119_135
; %bb.132:
	v_dual_mov_b32 v1, 0 :: v_dual_add_nc_u32 v8, 0x380, v13
	v_dual_mov_b32 v2, 0 :: v_dual_add_nc_u32 v7, -1, v154
	v_or_b32_e32 v9, 8, v14
	s_mov_b32 s3, 0
	s_delay_alu instid0(VALU_DEP_2)
	v_dual_mov_b32 v4, v2 :: v_dual_mov_b32 v3, v1
	.p2align	6
.LBB119_133:                            ; =>This Inner Loop Header: Depth=1
	scratch_load_b128 v[15:18], v9, off offset:-8
	ds_load_b128 v[19:22], v8
	v_add_nc_u32_e32 v7, 1, v7
	v_add_nc_u32_e32 v8, 16, v8
	;; [unrolled: 1-line block ×3, first 2 shown]
	s_delay_alu instid0(VALU_DEP_3) | instskip(SKIP_4) | instid1(VALU_DEP_2)
	v_cmp_lt_u32_e32 vcc_lo, 28, v7
	s_or_b32 s3, vcc_lo, s3
	s_waitcnt vmcnt(0) lgkmcnt(0)
	v_mul_f64 v[10:11], v[21:22], v[17:18]
	v_mul_f64 v[17:18], v[19:20], v[17:18]
	v_fma_f64 v[10:11], v[19:20], v[15:16], -v[10:11]
	s_delay_alu instid0(VALU_DEP_2) | instskip(NEXT) | instid1(VALU_DEP_2)
	v_fma_f64 v[15:16], v[21:22], v[15:16], v[17:18]
	v_add_f64 v[3:4], v[3:4], v[10:11]
	s_delay_alu instid0(VALU_DEP_2)
	v_add_f64 v[1:2], v[1:2], v[15:16]
	s_and_not1_b32 exec_lo, exec_lo, s3
	s_cbranch_execnz .LBB119_133
; %bb.134:
	s_or_b32 exec_lo, exec_lo, s3
	v_mov_b32_e32 v7, 0
	ds_load_b128 v[7:10], v7 offset:480
	s_waitcnt lgkmcnt(0)
	v_mul_f64 v[11:12], v[1:2], v[9:10]
	v_mul_f64 v[15:16], v[3:4], v[9:10]
	s_delay_alu instid0(VALU_DEP_2) | instskip(NEXT) | instid1(VALU_DEP_2)
	v_fma_f64 v[9:10], v[3:4], v[7:8], -v[11:12]
	v_fma_f64 v[11:12], v[1:2], v[7:8], v[15:16]
	scratch_store_b128 off, v[9:12], off offset:480
.LBB119_135:
	s_or_b32 exec_lo, exec_lo, s2
	s_waitcnt_vscnt null, 0x0
	s_barrier
	buffer_gl0_inv
	scratch_load_b128 v[1:4], v159, off
	s_mov_b32 s2, exec_lo
	s_waitcnt vmcnt(0)
	ds_store_b128 v5, v[1:4]
	s_waitcnt lgkmcnt(0)
	s_barrier
	buffer_gl0_inv
	v_cmpx_gt_u32_e32 31, v154
	s_cbranch_execz .LBB119_139
; %bb.136:
	v_dual_mov_b32 v1, 0 :: v_dual_add_nc_u32 v8, 0x380, v13
	v_dual_mov_b32 v2, 0 :: v_dual_add_nc_u32 v7, -1, v154
	v_or_b32_e32 v9, 8, v14
	s_mov_b32 s3, 0
	s_delay_alu instid0(VALU_DEP_2)
	v_dual_mov_b32 v4, v2 :: v_dual_mov_b32 v3, v1
	.p2align	6
.LBB119_137:                            ; =>This Inner Loop Header: Depth=1
	scratch_load_b128 v[15:18], v9, off offset:-8
	ds_load_b128 v[19:22], v8
	v_add_nc_u32_e32 v7, 1, v7
	v_add_nc_u32_e32 v8, 16, v8
	;; [unrolled: 1-line block ×3, first 2 shown]
	s_delay_alu instid0(VALU_DEP_3) | instskip(SKIP_4) | instid1(VALU_DEP_2)
	v_cmp_lt_u32_e32 vcc_lo, 29, v7
	s_or_b32 s3, vcc_lo, s3
	s_waitcnt vmcnt(0) lgkmcnt(0)
	v_mul_f64 v[10:11], v[21:22], v[17:18]
	v_mul_f64 v[17:18], v[19:20], v[17:18]
	v_fma_f64 v[10:11], v[19:20], v[15:16], -v[10:11]
	s_delay_alu instid0(VALU_DEP_2) | instskip(NEXT) | instid1(VALU_DEP_2)
	v_fma_f64 v[15:16], v[21:22], v[15:16], v[17:18]
	v_add_f64 v[3:4], v[3:4], v[10:11]
	s_delay_alu instid0(VALU_DEP_2)
	v_add_f64 v[1:2], v[1:2], v[15:16]
	s_and_not1_b32 exec_lo, exec_lo, s3
	s_cbranch_execnz .LBB119_137
; %bb.138:
	s_or_b32 exec_lo, exec_lo, s3
	v_mov_b32_e32 v7, 0
	ds_load_b128 v[7:10], v7 offset:496
	s_waitcnt lgkmcnt(0)
	v_mul_f64 v[11:12], v[1:2], v[9:10]
	v_mul_f64 v[15:16], v[3:4], v[9:10]
	s_delay_alu instid0(VALU_DEP_2) | instskip(NEXT) | instid1(VALU_DEP_2)
	v_fma_f64 v[9:10], v[3:4], v[7:8], -v[11:12]
	v_fma_f64 v[11:12], v[1:2], v[7:8], v[15:16]
	scratch_store_b128 off, v[9:12], off offset:496
.LBB119_139:
	s_or_b32 exec_lo, exec_lo, s2
	s_waitcnt_vscnt null, 0x0
	s_barrier
	buffer_gl0_inv
	scratch_load_b128 v[1:4], v212, off
	s_mov_b32 s2, exec_lo
	s_waitcnt vmcnt(0)
	ds_store_b128 v5, v[1:4]
	s_waitcnt lgkmcnt(0)
	s_barrier
	buffer_gl0_inv
	v_cmpx_gt_u32_e32 32, v154
	s_cbranch_execz .LBB119_143
; %bb.140:
	v_dual_mov_b32 v1, 0 :: v_dual_add_nc_u32 v8, 0x380, v13
	v_dual_mov_b32 v2, 0 :: v_dual_add_nc_u32 v7, -1, v154
	v_or_b32_e32 v9, 8, v14
	s_mov_b32 s3, 0
	s_delay_alu instid0(VALU_DEP_2)
	v_dual_mov_b32 v4, v2 :: v_dual_mov_b32 v3, v1
	.p2align	6
.LBB119_141:                            ; =>This Inner Loop Header: Depth=1
	scratch_load_b128 v[15:18], v9, off offset:-8
	ds_load_b128 v[19:22], v8
	v_add_nc_u32_e32 v7, 1, v7
	v_add_nc_u32_e32 v8, 16, v8
	v_add_nc_u32_e32 v9, 16, v9
	s_delay_alu instid0(VALU_DEP_3) | instskip(SKIP_4) | instid1(VALU_DEP_2)
	v_cmp_lt_u32_e32 vcc_lo, 30, v7
	s_or_b32 s3, vcc_lo, s3
	s_waitcnt vmcnt(0) lgkmcnt(0)
	v_mul_f64 v[10:11], v[21:22], v[17:18]
	v_mul_f64 v[17:18], v[19:20], v[17:18]
	v_fma_f64 v[10:11], v[19:20], v[15:16], -v[10:11]
	s_delay_alu instid0(VALU_DEP_2) | instskip(NEXT) | instid1(VALU_DEP_2)
	v_fma_f64 v[15:16], v[21:22], v[15:16], v[17:18]
	v_add_f64 v[3:4], v[3:4], v[10:11]
	s_delay_alu instid0(VALU_DEP_2)
	v_add_f64 v[1:2], v[1:2], v[15:16]
	s_and_not1_b32 exec_lo, exec_lo, s3
	s_cbranch_execnz .LBB119_141
; %bb.142:
	s_or_b32 exec_lo, exec_lo, s3
	v_mov_b32_e32 v7, 0
	ds_load_b128 v[7:10], v7 offset:512
	s_waitcnt lgkmcnt(0)
	v_mul_f64 v[11:12], v[1:2], v[9:10]
	v_mul_f64 v[15:16], v[3:4], v[9:10]
	s_delay_alu instid0(VALU_DEP_2) | instskip(NEXT) | instid1(VALU_DEP_2)
	v_fma_f64 v[9:10], v[3:4], v[7:8], -v[11:12]
	v_fma_f64 v[11:12], v[1:2], v[7:8], v[15:16]
	scratch_store_b128 off, v[9:12], off offset:512
.LBB119_143:
	s_or_b32 exec_lo, exec_lo, s2
	s_waitcnt_vscnt null, 0x0
	s_barrier
	buffer_gl0_inv
	scratch_load_b32 v1, off, off offset:900 ; 4-byte Folded Reload
	s_mov_b32 s2, exec_lo
	s_waitcnt vmcnt(0)
	scratch_load_b128 v[1:4], v1, off
	s_waitcnt vmcnt(0)
	ds_store_b128 v5, v[1:4]
	s_waitcnt lgkmcnt(0)
	s_barrier
	buffer_gl0_inv
	v_cmpx_gt_u32_e32 33, v154
	s_cbranch_execz .LBB119_147
; %bb.144:
	v_dual_mov_b32 v1, 0 :: v_dual_add_nc_u32 v8, 0x380, v13
	v_dual_mov_b32 v2, 0 :: v_dual_add_nc_u32 v7, -1, v154
	v_or_b32_e32 v9, 8, v14
	s_mov_b32 s3, 0
	s_delay_alu instid0(VALU_DEP_2)
	v_dual_mov_b32 v4, v2 :: v_dual_mov_b32 v3, v1
	.p2align	6
.LBB119_145:                            ; =>This Inner Loop Header: Depth=1
	scratch_load_b128 v[15:18], v9, off offset:-8
	ds_load_b128 v[19:22], v8
	v_add_nc_u32_e32 v7, 1, v7
	v_add_nc_u32_e32 v8, 16, v8
	;; [unrolled: 1-line block ×3, first 2 shown]
	s_delay_alu instid0(VALU_DEP_3) | instskip(SKIP_4) | instid1(VALU_DEP_2)
	v_cmp_lt_u32_e32 vcc_lo, 31, v7
	s_or_b32 s3, vcc_lo, s3
	s_waitcnt vmcnt(0) lgkmcnt(0)
	v_mul_f64 v[10:11], v[21:22], v[17:18]
	v_mul_f64 v[17:18], v[19:20], v[17:18]
	v_fma_f64 v[10:11], v[19:20], v[15:16], -v[10:11]
	s_delay_alu instid0(VALU_DEP_2) | instskip(NEXT) | instid1(VALU_DEP_2)
	v_fma_f64 v[15:16], v[21:22], v[15:16], v[17:18]
	v_add_f64 v[3:4], v[3:4], v[10:11]
	s_delay_alu instid0(VALU_DEP_2)
	v_add_f64 v[1:2], v[1:2], v[15:16]
	s_and_not1_b32 exec_lo, exec_lo, s3
	s_cbranch_execnz .LBB119_145
; %bb.146:
	s_or_b32 exec_lo, exec_lo, s3
	v_mov_b32_e32 v7, 0
	ds_load_b128 v[7:10], v7 offset:528
	s_waitcnt lgkmcnt(0)
	v_mul_f64 v[11:12], v[1:2], v[9:10]
	v_mul_f64 v[15:16], v[3:4], v[9:10]
	s_delay_alu instid0(VALU_DEP_2) | instskip(NEXT) | instid1(VALU_DEP_2)
	v_fma_f64 v[9:10], v[3:4], v[7:8], -v[11:12]
	v_fma_f64 v[11:12], v[1:2], v[7:8], v[15:16]
	scratch_store_b128 off, v[9:12], off offset:528
.LBB119_147:
	s_or_b32 exec_lo, exec_lo, s2
	s_waitcnt_vscnt null, 0x0
	s_barrier
	buffer_gl0_inv
	scratch_load_b128 v[1:4], v210, off
	s_mov_b32 s2, exec_lo
	s_waitcnt vmcnt(0)
	ds_store_b128 v5, v[1:4]
	s_waitcnt lgkmcnt(0)
	s_barrier
	buffer_gl0_inv
	v_cmpx_gt_u32_e32 34, v154
	s_cbranch_execz .LBB119_151
; %bb.148:
	v_dual_mov_b32 v1, 0 :: v_dual_add_nc_u32 v8, 0x380, v13
	v_dual_mov_b32 v2, 0 :: v_dual_add_nc_u32 v7, -1, v154
	v_or_b32_e32 v9, 8, v14
	s_mov_b32 s3, 0
	s_delay_alu instid0(VALU_DEP_2)
	v_dual_mov_b32 v4, v2 :: v_dual_mov_b32 v3, v1
	.p2align	6
.LBB119_149:                            ; =>This Inner Loop Header: Depth=1
	scratch_load_b128 v[15:18], v9, off offset:-8
	ds_load_b128 v[19:22], v8
	v_add_nc_u32_e32 v7, 1, v7
	v_add_nc_u32_e32 v8, 16, v8
	;; [unrolled: 1-line block ×3, first 2 shown]
	s_delay_alu instid0(VALU_DEP_3) | instskip(SKIP_4) | instid1(VALU_DEP_2)
	v_cmp_lt_u32_e32 vcc_lo, 32, v7
	s_or_b32 s3, vcc_lo, s3
	s_waitcnt vmcnt(0) lgkmcnt(0)
	v_mul_f64 v[10:11], v[21:22], v[17:18]
	v_mul_f64 v[17:18], v[19:20], v[17:18]
	v_fma_f64 v[10:11], v[19:20], v[15:16], -v[10:11]
	s_delay_alu instid0(VALU_DEP_2) | instskip(NEXT) | instid1(VALU_DEP_2)
	v_fma_f64 v[15:16], v[21:22], v[15:16], v[17:18]
	v_add_f64 v[3:4], v[3:4], v[10:11]
	s_delay_alu instid0(VALU_DEP_2)
	v_add_f64 v[1:2], v[1:2], v[15:16]
	s_and_not1_b32 exec_lo, exec_lo, s3
	s_cbranch_execnz .LBB119_149
; %bb.150:
	s_or_b32 exec_lo, exec_lo, s3
	v_mov_b32_e32 v7, 0
	ds_load_b128 v[7:10], v7 offset:544
	s_waitcnt lgkmcnt(0)
	v_mul_f64 v[11:12], v[1:2], v[9:10]
	v_mul_f64 v[15:16], v[3:4], v[9:10]
	s_delay_alu instid0(VALU_DEP_2) | instskip(NEXT) | instid1(VALU_DEP_2)
	v_fma_f64 v[9:10], v[3:4], v[7:8], -v[11:12]
	v_fma_f64 v[11:12], v[1:2], v[7:8], v[15:16]
	scratch_store_b128 off, v[9:12], off offset:544
.LBB119_151:
	s_or_b32 exec_lo, exec_lo, s2
	s_waitcnt_vscnt null, 0x0
	s_barrier
	buffer_gl0_inv
	scratch_load_b32 v1, off, off offset:896 ; 4-byte Folded Reload
	s_mov_b32 s2, exec_lo
	s_waitcnt vmcnt(0)
	scratch_load_b128 v[1:4], v1, off
	s_waitcnt vmcnt(0)
	ds_store_b128 v5, v[1:4]
	s_waitcnt lgkmcnt(0)
	s_barrier
	buffer_gl0_inv
	v_cmpx_gt_u32_e32 35, v154
	s_cbranch_execz .LBB119_155
; %bb.152:
	v_dual_mov_b32 v1, 0 :: v_dual_add_nc_u32 v8, 0x380, v13
	v_dual_mov_b32 v2, 0 :: v_dual_add_nc_u32 v7, -1, v154
	v_or_b32_e32 v9, 8, v14
	s_mov_b32 s3, 0
	s_delay_alu instid0(VALU_DEP_2)
	v_dual_mov_b32 v4, v2 :: v_dual_mov_b32 v3, v1
	.p2align	6
.LBB119_153:                            ; =>This Inner Loop Header: Depth=1
	scratch_load_b128 v[15:18], v9, off offset:-8
	ds_load_b128 v[19:22], v8
	v_add_nc_u32_e32 v7, 1, v7
	v_add_nc_u32_e32 v8, 16, v8
	;; [unrolled: 1-line block ×3, first 2 shown]
	s_delay_alu instid0(VALU_DEP_3) | instskip(SKIP_4) | instid1(VALU_DEP_2)
	v_cmp_lt_u32_e32 vcc_lo, 33, v7
	s_or_b32 s3, vcc_lo, s3
	s_waitcnt vmcnt(0) lgkmcnt(0)
	v_mul_f64 v[10:11], v[21:22], v[17:18]
	v_mul_f64 v[17:18], v[19:20], v[17:18]
	v_fma_f64 v[10:11], v[19:20], v[15:16], -v[10:11]
	s_delay_alu instid0(VALU_DEP_2) | instskip(NEXT) | instid1(VALU_DEP_2)
	v_fma_f64 v[15:16], v[21:22], v[15:16], v[17:18]
	v_add_f64 v[3:4], v[3:4], v[10:11]
	s_delay_alu instid0(VALU_DEP_2)
	v_add_f64 v[1:2], v[1:2], v[15:16]
	s_and_not1_b32 exec_lo, exec_lo, s3
	s_cbranch_execnz .LBB119_153
; %bb.154:
	s_or_b32 exec_lo, exec_lo, s3
	v_mov_b32_e32 v7, 0
	ds_load_b128 v[7:10], v7 offset:560
	s_waitcnt lgkmcnt(0)
	v_mul_f64 v[11:12], v[1:2], v[9:10]
	v_mul_f64 v[15:16], v[3:4], v[9:10]
	s_delay_alu instid0(VALU_DEP_2) | instskip(NEXT) | instid1(VALU_DEP_2)
	v_fma_f64 v[9:10], v[3:4], v[7:8], -v[11:12]
	v_fma_f64 v[11:12], v[1:2], v[7:8], v[15:16]
	scratch_store_b128 off, v[9:12], off offset:560
.LBB119_155:
	s_or_b32 exec_lo, exec_lo, s2
	s_waitcnt_vscnt null, 0x0
	s_barrier
	buffer_gl0_inv
	scratch_load_b128 v[1:4], v49, off
	s_mov_b32 s2, exec_lo
	s_waitcnt vmcnt(0)
	ds_store_b128 v5, v[1:4]
	s_waitcnt lgkmcnt(0)
	s_barrier
	buffer_gl0_inv
	v_cmpx_gt_u32_e32 36, v154
	s_cbranch_execz .LBB119_159
; %bb.156:
	v_dual_mov_b32 v1, 0 :: v_dual_add_nc_u32 v8, 0x380, v13
	v_dual_mov_b32 v2, 0 :: v_dual_add_nc_u32 v7, -1, v154
	v_or_b32_e32 v9, 8, v14
	s_mov_b32 s3, 0
	s_delay_alu instid0(VALU_DEP_2)
	v_dual_mov_b32 v4, v2 :: v_dual_mov_b32 v3, v1
	.p2align	6
.LBB119_157:                            ; =>This Inner Loop Header: Depth=1
	scratch_load_b128 v[15:18], v9, off offset:-8
	ds_load_b128 v[19:22], v8
	v_add_nc_u32_e32 v7, 1, v7
	v_add_nc_u32_e32 v8, 16, v8
	;; [unrolled: 1-line block ×3, first 2 shown]
	s_delay_alu instid0(VALU_DEP_3) | instskip(SKIP_4) | instid1(VALU_DEP_2)
	v_cmp_lt_u32_e32 vcc_lo, 34, v7
	s_or_b32 s3, vcc_lo, s3
	s_waitcnt vmcnt(0) lgkmcnt(0)
	v_mul_f64 v[10:11], v[21:22], v[17:18]
	v_mul_f64 v[17:18], v[19:20], v[17:18]
	v_fma_f64 v[10:11], v[19:20], v[15:16], -v[10:11]
	s_delay_alu instid0(VALU_DEP_2) | instskip(NEXT) | instid1(VALU_DEP_2)
	v_fma_f64 v[15:16], v[21:22], v[15:16], v[17:18]
	v_add_f64 v[3:4], v[3:4], v[10:11]
	s_delay_alu instid0(VALU_DEP_2)
	v_add_f64 v[1:2], v[1:2], v[15:16]
	s_and_not1_b32 exec_lo, exec_lo, s3
	s_cbranch_execnz .LBB119_157
; %bb.158:
	s_or_b32 exec_lo, exec_lo, s3
	v_mov_b32_e32 v7, 0
	ds_load_b128 v[7:10], v7 offset:576
	s_waitcnt lgkmcnt(0)
	v_mul_f64 v[11:12], v[1:2], v[9:10]
	v_mul_f64 v[15:16], v[3:4], v[9:10]
	s_delay_alu instid0(VALU_DEP_2) | instskip(NEXT) | instid1(VALU_DEP_2)
	v_fma_f64 v[9:10], v[3:4], v[7:8], -v[11:12]
	v_fma_f64 v[11:12], v[1:2], v[7:8], v[15:16]
	scratch_store_b128 off, v[9:12], off offset:576
.LBB119_159:
	s_or_b32 exec_lo, exec_lo, s2
	s_waitcnt_vscnt null, 0x0
	s_barrier
	buffer_gl0_inv
	scratch_load_b128 v[1:4], v48, off
	s_mov_b32 s2, exec_lo
	s_waitcnt vmcnt(0)
	ds_store_b128 v5, v[1:4]
	s_waitcnt lgkmcnt(0)
	s_barrier
	buffer_gl0_inv
	v_cmpx_gt_u32_e32 37, v154
	s_cbranch_execz .LBB119_163
; %bb.160:
	v_dual_mov_b32 v1, 0 :: v_dual_add_nc_u32 v8, 0x380, v13
	v_dual_mov_b32 v2, 0 :: v_dual_add_nc_u32 v7, -1, v154
	v_or_b32_e32 v9, 8, v14
	s_mov_b32 s3, 0
	s_delay_alu instid0(VALU_DEP_2)
	v_dual_mov_b32 v4, v2 :: v_dual_mov_b32 v3, v1
	.p2align	6
.LBB119_161:                            ; =>This Inner Loop Header: Depth=1
	scratch_load_b128 v[15:18], v9, off offset:-8
	ds_load_b128 v[19:22], v8
	v_add_nc_u32_e32 v7, 1, v7
	v_add_nc_u32_e32 v8, 16, v8
	v_add_nc_u32_e32 v9, 16, v9
	s_delay_alu instid0(VALU_DEP_3) | instskip(SKIP_4) | instid1(VALU_DEP_2)
	v_cmp_lt_u32_e32 vcc_lo, 35, v7
	s_or_b32 s3, vcc_lo, s3
	s_waitcnt vmcnt(0) lgkmcnt(0)
	v_mul_f64 v[10:11], v[21:22], v[17:18]
	v_mul_f64 v[17:18], v[19:20], v[17:18]
	v_fma_f64 v[10:11], v[19:20], v[15:16], -v[10:11]
	s_delay_alu instid0(VALU_DEP_2) | instskip(NEXT) | instid1(VALU_DEP_2)
	v_fma_f64 v[15:16], v[21:22], v[15:16], v[17:18]
	v_add_f64 v[3:4], v[3:4], v[10:11]
	s_delay_alu instid0(VALU_DEP_2)
	v_add_f64 v[1:2], v[1:2], v[15:16]
	s_and_not1_b32 exec_lo, exec_lo, s3
	s_cbranch_execnz .LBB119_161
; %bb.162:
	s_or_b32 exec_lo, exec_lo, s3
	v_mov_b32_e32 v7, 0
	ds_load_b128 v[7:10], v7 offset:592
	s_waitcnt lgkmcnt(0)
	v_mul_f64 v[11:12], v[1:2], v[9:10]
	v_mul_f64 v[15:16], v[3:4], v[9:10]
	s_delay_alu instid0(VALU_DEP_2) | instskip(NEXT) | instid1(VALU_DEP_2)
	v_fma_f64 v[9:10], v[3:4], v[7:8], -v[11:12]
	v_fma_f64 v[11:12], v[1:2], v[7:8], v[15:16]
	scratch_store_b128 off, v[9:12], off offset:592
.LBB119_163:
	s_or_b32 exec_lo, exec_lo, s2
	s_waitcnt_vscnt null, 0x0
	s_barrier
	buffer_gl0_inv
	scratch_load_b128 v[1:4], v46, off
	s_mov_b32 s2, exec_lo
	s_waitcnt vmcnt(0)
	ds_store_b128 v5, v[1:4]
	s_waitcnt lgkmcnt(0)
	s_barrier
	buffer_gl0_inv
	v_cmpx_gt_u32_e32 38, v154
	s_cbranch_execz .LBB119_167
; %bb.164:
	v_dual_mov_b32 v1, 0 :: v_dual_add_nc_u32 v8, 0x380, v13
	v_dual_mov_b32 v2, 0 :: v_dual_add_nc_u32 v7, -1, v154
	v_or_b32_e32 v9, 8, v14
	s_mov_b32 s3, 0
	s_delay_alu instid0(VALU_DEP_2)
	v_dual_mov_b32 v4, v2 :: v_dual_mov_b32 v3, v1
	.p2align	6
.LBB119_165:                            ; =>This Inner Loop Header: Depth=1
	scratch_load_b128 v[15:18], v9, off offset:-8
	ds_load_b128 v[19:22], v8
	v_add_nc_u32_e32 v7, 1, v7
	v_add_nc_u32_e32 v8, 16, v8
	;; [unrolled: 1-line block ×3, first 2 shown]
	s_delay_alu instid0(VALU_DEP_3) | instskip(SKIP_4) | instid1(VALU_DEP_2)
	v_cmp_lt_u32_e32 vcc_lo, 36, v7
	s_or_b32 s3, vcc_lo, s3
	s_waitcnt vmcnt(0) lgkmcnt(0)
	v_mul_f64 v[10:11], v[21:22], v[17:18]
	v_mul_f64 v[17:18], v[19:20], v[17:18]
	v_fma_f64 v[10:11], v[19:20], v[15:16], -v[10:11]
	s_delay_alu instid0(VALU_DEP_2) | instskip(NEXT) | instid1(VALU_DEP_2)
	v_fma_f64 v[15:16], v[21:22], v[15:16], v[17:18]
	v_add_f64 v[3:4], v[3:4], v[10:11]
	s_delay_alu instid0(VALU_DEP_2)
	v_add_f64 v[1:2], v[1:2], v[15:16]
	s_and_not1_b32 exec_lo, exec_lo, s3
	s_cbranch_execnz .LBB119_165
; %bb.166:
	s_or_b32 exec_lo, exec_lo, s3
	v_mov_b32_e32 v7, 0
	ds_load_b128 v[7:10], v7 offset:608
	s_waitcnt lgkmcnt(0)
	v_mul_f64 v[11:12], v[1:2], v[9:10]
	v_mul_f64 v[15:16], v[3:4], v[9:10]
	s_delay_alu instid0(VALU_DEP_2) | instskip(NEXT) | instid1(VALU_DEP_2)
	v_fma_f64 v[9:10], v[3:4], v[7:8], -v[11:12]
	v_fma_f64 v[11:12], v[1:2], v[7:8], v[15:16]
	scratch_store_b128 off, v[9:12], off offset:608
.LBB119_167:
	s_or_b32 exec_lo, exec_lo, s2
	s_waitcnt_vscnt null, 0x0
	s_barrier
	buffer_gl0_inv
	scratch_load_b128 v[1:4], v47, off
	s_mov_b32 s2, exec_lo
	s_waitcnt vmcnt(0)
	ds_store_b128 v5, v[1:4]
	s_waitcnt lgkmcnt(0)
	s_barrier
	buffer_gl0_inv
	v_cmpx_gt_u32_e32 39, v154
	s_cbranch_execz .LBB119_171
; %bb.168:
	v_dual_mov_b32 v1, 0 :: v_dual_add_nc_u32 v8, 0x380, v13
	v_dual_mov_b32 v2, 0 :: v_dual_add_nc_u32 v7, -1, v154
	v_or_b32_e32 v9, 8, v14
	s_mov_b32 s3, 0
	s_delay_alu instid0(VALU_DEP_2)
	v_dual_mov_b32 v4, v2 :: v_dual_mov_b32 v3, v1
	.p2align	6
.LBB119_169:                            ; =>This Inner Loop Header: Depth=1
	scratch_load_b128 v[15:18], v9, off offset:-8
	ds_load_b128 v[19:22], v8
	v_add_nc_u32_e32 v7, 1, v7
	v_add_nc_u32_e32 v8, 16, v8
	;; [unrolled: 1-line block ×3, first 2 shown]
	s_delay_alu instid0(VALU_DEP_3) | instskip(SKIP_4) | instid1(VALU_DEP_2)
	v_cmp_lt_u32_e32 vcc_lo, 37, v7
	s_or_b32 s3, vcc_lo, s3
	s_waitcnt vmcnt(0) lgkmcnt(0)
	v_mul_f64 v[10:11], v[21:22], v[17:18]
	v_mul_f64 v[17:18], v[19:20], v[17:18]
	v_fma_f64 v[10:11], v[19:20], v[15:16], -v[10:11]
	s_delay_alu instid0(VALU_DEP_2) | instskip(NEXT) | instid1(VALU_DEP_2)
	v_fma_f64 v[15:16], v[21:22], v[15:16], v[17:18]
	v_add_f64 v[3:4], v[3:4], v[10:11]
	s_delay_alu instid0(VALU_DEP_2)
	v_add_f64 v[1:2], v[1:2], v[15:16]
	s_and_not1_b32 exec_lo, exec_lo, s3
	s_cbranch_execnz .LBB119_169
; %bb.170:
	s_or_b32 exec_lo, exec_lo, s3
	v_mov_b32_e32 v7, 0
	ds_load_b128 v[7:10], v7 offset:624
	s_waitcnt lgkmcnt(0)
	v_mul_f64 v[11:12], v[1:2], v[9:10]
	v_mul_f64 v[15:16], v[3:4], v[9:10]
	s_delay_alu instid0(VALU_DEP_2) | instskip(NEXT) | instid1(VALU_DEP_2)
	v_fma_f64 v[9:10], v[3:4], v[7:8], -v[11:12]
	v_fma_f64 v[11:12], v[1:2], v[7:8], v[15:16]
	scratch_store_b128 off, v[9:12], off offset:624
.LBB119_171:
	s_or_b32 exec_lo, exec_lo, s2
	s_waitcnt_vscnt null, 0x0
	s_barrier
	buffer_gl0_inv
	scratch_load_b128 v[1:4], v45, off
	s_mov_b32 s2, exec_lo
	s_waitcnt vmcnt(0)
	ds_store_b128 v5, v[1:4]
	s_waitcnt lgkmcnt(0)
	s_barrier
	buffer_gl0_inv
	v_cmpx_gt_u32_e32 40, v154
	s_cbranch_execz .LBB119_175
; %bb.172:
	v_dual_mov_b32 v1, 0 :: v_dual_add_nc_u32 v8, 0x380, v13
	v_dual_mov_b32 v2, 0 :: v_dual_add_nc_u32 v7, -1, v154
	v_or_b32_e32 v9, 8, v14
	s_mov_b32 s3, 0
	s_delay_alu instid0(VALU_DEP_2)
	v_dual_mov_b32 v4, v2 :: v_dual_mov_b32 v3, v1
	.p2align	6
.LBB119_173:                            ; =>This Inner Loop Header: Depth=1
	scratch_load_b128 v[15:18], v9, off offset:-8
	ds_load_b128 v[19:22], v8
	v_add_nc_u32_e32 v7, 1, v7
	v_add_nc_u32_e32 v8, 16, v8
	;; [unrolled: 1-line block ×3, first 2 shown]
	s_delay_alu instid0(VALU_DEP_3) | instskip(SKIP_4) | instid1(VALU_DEP_2)
	v_cmp_lt_u32_e32 vcc_lo, 38, v7
	s_or_b32 s3, vcc_lo, s3
	s_waitcnt vmcnt(0) lgkmcnt(0)
	v_mul_f64 v[10:11], v[21:22], v[17:18]
	v_mul_f64 v[17:18], v[19:20], v[17:18]
	v_fma_f64 v[10:11], v[19:20], v[15:16], -v[10:11]
	s_delay_alu instid0(VALU_DEP_2) | instskip(NEXT) | instid1(VALU_DEP_2)
	v_fma_f64 v[15:16], v[21:22], v[15:16], v[17:18]
	v_add_f64 v[3:4], v[3:4], v[10:11]
	s_delay_alu instid0(VALU_DEP_2)
	v_add_f64 v[1:2], v[1:2], v[15:16]
	s_and_not1_b32 exec_lo, exec_lo, s3
	s_cbranch_execnz .LBB119_173
; %bb.174:
	s_or_b32 exec_lo, exec_lo, s3
	v_mov_b32_e32 v7, 0
	ds_load_b128 v[7:10], v7 offset:640
	s_waitcnt lgkmcnt(0)
	v_mul_f64 v[11:12], v[1:2], v[9:10]
	v_mul_f64 v[15:16], v[3:4], v[9:10]
	s_delay_alu instid0(VALU_DEP_2) | instskip(NEXT) | instid1(VALU_DEP_2)
	v_fma_f64 v[9:10], v[3:4], v[7:8], -v[11:12]
	v_fma_f64 v[11:12], v[1:2], v[7:8], v[15:16]
	scratch_store_b128 off, v[9:12], off offset:640
.LBB119_175:
	s_or_b32 exec_lo, exec_lo, s2
	s_waitcnt_vscnt null, 0x0
	s_barrier
	buffer_gl0_inv
	scratch_load_b128 v[1:4], v44, off
	s_mov_b32 s2, exec_lo
	s_waitcnt vmcnt(0)
	ds_store_b128 v5, v[1:4]
	s_waitcnt lgkmcnt(0)
	s_barrier
	buffer_gl0_inv
	v_cmpx_gt_u32_e32 41, v154
	s_cbranch_execz .LBB119_179
; %bb.176:
	v_dual_mov_b32 v1, 0 :: v_dual_add_nc_u32 v8, 0x380, v13
	v_dual_mov_b32 v2, 0 :: v_dual_add_nc_u32 v7, -1, v154
	v_or_b32_e32 v9, 8, v14
	s_mov_b32 s3, 0
	s_delay_alu instid0(VALU_DEP_2)
	v_dual_mov_b32 v4, v2 :: v_dual_mov_b32 v3, v1
	.p2align	6
.LBB119_177:                            ; =>This Inner Loop Header: Depth=1
	scratch_load_b128 v[15:18], v9, off offset:-8
	ds_load_b128 v[19:22], v8
	v_add_nc_u32_e32 v7, 1, v7
	v_add_nc_u32_e32 v8, 16, v8
	;; [unrolled: 1-line block ×3, first 2 shown]
	s_delay_alu instid0(VALU_DEP_3) | instskip(SKIP_4) | instid1(VALU_DEP_2)
	v_cmp_lt_u32_e32 vcc_lo, 39, v7
	s_or_b32 s3, vcc_lo, s3
	s_waitcnt vmcnt(0) lgkmcnt(0)
	v_mul_f64 v[10:11], v[21:22], v[17:18]
	v_mul_f64 v[17:18], v[19:20], v[17:18]
	v_fma_f64 v[10:11], v[19:20], v[15:16], -v[10:11]
	s_delay_alu instid0(VALU_DEP_2) | instskip(NEXT) | instid1(VALU_DEP_2)
	v_fma_f64 v[15:16], v[21:22], v[15:16], v[17:18]
	v_add_f64 v[3:4], v[3:4], v[10:11]
	s_delay_alu instid0(VALU_DEP_2)
	v_add_f64 v[1:2], v[1:2], v[15:16]
	s_and_not1_b32 exec_lo, exec_lo, s3
	s_cbranch_execnz .LBB119_177
; %bb.178:
	s_or_b32 exec_lo, exec_lo, s3
	v_mov_b32_e32 v7, 0
	ds_load_b128 v[7:10], v7 offset:656
	s_waitcnt lgkmcnt(0)
	v_mul_f64 v[11:12], v[1:2], v[9:10]
	v_mul_f64 v[15:16], v[3:4], v[9:10]
	s_delay_alu instid0(VALU_DEP_2) | instskip(NEXT) | instid1(VALU_DEP_2)
	v_fma_f64 v[9:10], v[3:4], v[7:8], -v[11:12]
	v_fma_f64 v[11:12], v[1:2], v[7:8], v[15:16]
	scratch_store_b128 off, v[9:12], off offset:656
.LBB119_179:
	s_or_b32 exec_lo, exec_lo, s2
	s_waitcnt_vscnt null, 0x0
	s_barrier
	buffer_gl0_inv
	scratch_load_b128 v[1:4], v28, off
	s_mov_b32 s2, exec_lo
	s_waitcnt vmcnt(0)
	ds_store_b128 v5, v[1:4]
	s_waitcnt lgkmcnt(0)
	s_barrier
	buffer_gl0_inv
	v_cmpx_gt_u32_e32 42, v154
	s_cbranch_execz .LBB119_183
; %bb.180:
	v_dual_mov_b32 v1, 0 :: v_dual_add_nc_u32 v8, 0x380, v13
	v_dual_mov_b32 v2, 0 :: v_dual_add_nc_u32 v7, -1, v154
	v_or_b32_e32 v9, 8, v14
	s_mov_b32 s3, 0
	s_delay_alu instid0(VALU_DEP_2)
	v_dual_mov_b32 v4, v2 :: v_dual_mov_b32 v3, v1
	.p2align	6
.LBB119_181:                            ; =>This Inner Loop Header: Depth=1
	scratch_load_b128 v[15:18], v9, off offset:-8
	ds_load_b128 v[19:22], v8
	v_add_nc_u32_e32 v7, 1, v7
	v_add_nc_u32_e32 v8, 16, v8
	;; [unrolled: 1-line block ×3, first 2 shown]
	s_delay_alu instid0(VALU_DEP_3) | instskip(SKIP_4) | instid1(VALU_DEP_2)
	v_cmp_lt_u32_e32 vcc_lo, 40, v7
	s_or_b32 s3, vcc_lo, s3
	s_waitcnt vmcnt(0) lgkmcnt(0)
	v_mul_f64 v[10:11], v[21:22], v[17:18]
	v_mul_f64 v[17:18], v[19:20], v[17:18]
	v_fma_f64 v[10:11], v[19:20], v[15:16], -v[10:11]
	s_delay_alu instid0(VALU_DEP_2) | instskip(NEXT) | instid1(VALU_DEP_2)
	v_fma_f64 v[15:16], v[21:22], v[15:16], v[17:18]
	v_add_f64 v[3:4], v[3:4], v[10:11]
	s_delay_alu instid0(VALU_DEP_2)
	v_add_f64 v[1:2], v[1:2], v[15:16]
	s_and_not1_b32 exec_lo, exec_lo, s3
	s_cbranch_execnz .LBB119_181
; %bb.182:
	s_or_b32 exec_lo, exec_lo, s3
	v_mov_b32_e32 v7, 0
	ds_load_b128 v[7:10], v7 offset:672
	s_waitcnt lgkmcnt(0)
	v_mul_f64 v[11:12], v[1:2], v[9:10]
	v_mul_f64 v[15:16], v[3:4], v[9:10]
	s_delay_alu instid0(VALU_DEP_2) | instskip(NEXT) | instid1(VALU_DEP_2)
	v_fma_f64 v[9:10], v[3:4], v[7:8], -v[11:12]
	v_fma_f64 v[11:12], v[1:2], v[7:8], v[15:16]
	scratch_store_b128 off, v[9:12], off offset:672
.LBB119_183:
	s_or_b32 exec_lo, exec_lo, s2
	s_waitcnt_vscnt null, 0x0
	s_barrier
	buffer_gl0_inv
	scratch_load_b128 v[1:4], v29, off
	s_mov_b32 s2, exec_lo
	s_waitcnt vmcnt(0)
	ds_store_b128 v5, v[1:4]
	s_waitcnt lgkmcnt(0)
	s_barrier
	buffer_gl0_inv
	v_cmpx_gt_u32_e32 43, v154
	s_cbranch_execz .LBB119_187
; %bb.184:
	v_dual_mov_b32 v1, 0 :: v_dual_add_nc_u32 v8, 0x380, v13
	v_dual_mov_b32 v2, 0 :: v_dual_add_nc_u32 v7, -1, v154
	v_or_b32_e32 v9, 8, v14
	s_mov_b32 s3, 0
	s_delay_alu instid0(VALU_DEP_2)
	v_dual_mov_b32 v4, v2 :: v_dual_mov_b32 v3, v1
	.p2align	6
.LBB119_185:                            ; =>This Inner Loop Header: Depth=1
	scratch_load_b128 v[15:18], v9, off offset:-8
	ds_load_b128 v[19:22], v8
	v_add_nc_u32_e32 v7, 1, v7
	v_add_nc_u32_e32 v8, 16, v8
	;; [unrolled: 1-line block ×3, first 2 shown]
	s_delay_alu instid0(VALU_DEP_3) | instskip(SKIP_4) | instid1(VALU_DEP_2)
	v_cmp_lt_u32_e32 vcc_lo, 41, v7
	s_or_b32 s3, vcc_lo, s3
	s_waitcnt vmcnt(0) lgkmcnt(0)
	v_mul_f64 v[10:11], v[21:22], v[17:18]
	v_mul_f64 v[17:18], v[19:20], v[17:18]
	v_fma_f64 v[10:11], v[19:20], v[15:16], -v[10:11]
	s_delay_alu instid0(VALU_DEP_2) | instskip(NEXT) | instid1(VALU_DEP_2)
	v_fma_f64 v[15:16], v[21:22], v[15:16], v[17:18]
	v_add_f64 v[3:4], v[3:4], v[10:11]
	s_delay_alu instid0(VALU_DEP_2)
	v_add_f64 v[1:2], v[1:2], v[15:16]
	s_and_not1_b32 exec_lo, exec_lo, s3
	s_cbranch_execnz .LBB119_185
; %bb.186:
	s_or_b32 exec_lo, exec_lo, s3
	v_mov_b32_e32 v7, 0
	ds_load_b128 v[7:10], v7 offset:688
	s_waitcnt lgkmcnt(0)
	v_mul_f64 v[11:12], v[1:2], v[9:10]
	v_mul_f64 v[15:16], v[3:4], v[9:10]
	s_delay_alu instid0(VALU_DEP_2) | instskip(NEXT) | instid1(VALU_DEP_2)
	v_fma_f64 v[9:10], v[3:4], v[7:8], -v[11:12]
	v_fma_f64 v[11:12], v[1:2], v[7:8], v[15:16]
	scratch_store_b128 off, v[9:12], off offset:688
.LBB119_187:
	s_or_b32 exec_lo, exec_lo, s2
	s_waitcnt_vscnt null, 0x0
	s_barrier
	buffer_gl0_inv
	scratch_load_b128 v[1:4], v27, off
	s_mov_b32 s2, exec_lo
	s_waitcnt vmcnt(0)
	ds_store_b128 v5, v[1:4]
	s_waitcnt lgkmcnt(0)
	s_barrier
	buffer_gl0_inv
	v_cmpx_gt_u32_e32 44, v154
	s_cbranch_execz .LBB119_191
; %bb.188:
	v_dual_mov_b32 v1, 0 :: v_dual_add_nc_u32 v8, 0x380, v13
	v_dual_mov_b32 v2, 0 :: v_dual_add_nc_u32 v7, -1, v154
	v_or_b32_e32 v9, 8, v14
	s_mov_b32 s3, 0
	s_delay_alu instid0(VALU_DEP_2)
	v_dual_mov_b32 v4, v2 :: v_dual_mov_b32 v3, v1
	.p2align	6
.LBB119_189:                            ; =>This Inner Loop Header: Depth=1
	scratch_load_b128 v[15:18], v9, off offset:-8
	ds_load_b128 v[19:22], v8
	v_add_nc_u32_e32 v7, 1, v7
	v_add_nc_u32_e32 v8, 16, v8
	;; [unrolled: 1-line block ×3, first 2 shown]
	s_delay_alu instid0(VALU_DEP_3) | instskip(SKIP_4) | instid1(VALU_DEP_2)
	v_cmp_lt_u32_e32 vcc_lo, 42, v7
	s_or_b32 s3, vcc_lo, s3
	s_waitcnt vmcnt(0) lgkmcnt(0)
	v_mul_f64 v[10:11], v[21:22], v[17:18]
	v_mul_f64 v[17:18], v[19:20], v[17:18]
	v_fma_f64 v[10:11], v[19:20], v[15:16], -v[10:11]
	s_delay_alu instid0(VALU_DEP_2) | instskip(NEXT) | instid1(VALU_DEP_2)
	v_fma_f64 v[15:16], v[21:22], v[15:16], v[17:18]
	v_add_f64 v[3:4], v[3:4], v[10:11]
	s_delay_alu instid0(VALU_DEP_2)
	v_add_f64 v[1:2], v[1:2], v[15:16]
	s_and_not1_b32 exec_lo, exec_lo, s3
	s_cbranch_execnz .LBB119_189
; %bb.190:
	s_or_b32 exec_lo, exec_lo, s3
	v_mov_b32_e32 v7, 0
	ds_load_b128 v[7:10], v7 offset:704
	s_waitcnt lgkmcnt(0)
	v_mul_f64 v[11:12], v[1:2], v[9:10]
	v_mul_f64 v[15:16], v[3:4], v[9:10]
	s_delay_alu instid0(VALU_DEP_2) | instskip(NEXT) | instid1(VALU_DEP_2)
	v_fma_f64 v[9:10], v[3:4], v[7:8], -v[11:12]
	v_fma_f64 v[11:12], v[1:2], v[7:8], v[15:16]
	scratch_store_b128 off, v[9:12], off offset:704
.LBB119_191:
	s_or_b32 exec_lo, exec_lo, s2
	s_waitcnt_vscnt null, 0x0
	s_barrier
	buffer_gl0_inv
	scratch_load_b128 v[1:4], v26, off
	s_mov_b32 s2, exec_lo
	s_waitcnt vmcnt(0)
	ds_store_b128 v5, v[1:4]
	s_waitcnt lgkmcnt(0)
	s_barrier
	buffer_gl0_inv
	v_cmpx_gt_u32_e32 45, v154
	s_cbranch_execz .LBB119_195
; %bb.192:
	v_dual_mov_b32 v1, 0 :: v_dual_add_nc_u32 v8, 0x380, v13
	v_dual_mov_b32 v2, 0 :: v_dual_add_nc_u32 v7, -1, v154
	v_or_b32_e32 v9, 8, v14
	s_mov_b32 s3, 0
	s_delay_alu instid0(VALU_DEP_2)
	v_dual_mov_b32 v4, v2 :: v_dual_mov_b32 v3, v1
	.p2align	6
.LBB119_193:                            ; =>This Inner Loop Header: Depth=1
	scratch_load_b128 v[15:18], v9, off offset:-8
	ds_load_b128 v[19:22], v8
	v_add_nc_u32_e32 v7, 1, v7
	v_add_nc_u32_e32 v8, 16, v8
	;; [unrolled: 1-line block ×3, first 2 shown]
	s_delay_alu instid0(VALU_DEP_3) | instskip(SKIP_4) | instid1(VALU_DEP_2)
	v_cmp_lt_u32_e32 vcc_lo, 43, v7
	s_or_b32 s3, vcc_lo, s3
	s_waitcnt vmcnt(0) lgkmcnt(0)
	v_mul_f64 v[10:11], v[21:22], v[17:18]
	v_mul_f64 v[17:18], v[19:20], v[17:18]
	v_fma_f64 v[10:11], v[19:20], v[15:16], -v[10:11]
	s_delay_alu instid0(VALU_DEP_2) | instskip(NEXT) | instid1(VALU_DEP_2)
	v_fma_f64 v[15:16], v[21:22], v[15:16], v[17:18]
	v_add_f64 v[3:4], v[3:4], v[10:11]
	s_delay_alu instid0(VALU_DEP_2)
	v_add_f64 v[1:2], v[1:2], v[15:16]
	s_and_not1_b32 exec_lo, exec_lo, s3
	s_cbranch_execnz .LBB119_193
; %bb.194:
	s_or_b32 exec_lo, exec_lo, s3
	v_mov_b32_e32 v7, 0
	ds_load_b128 v[7:10], v7 offset:720
	s_waitcnt lgkmcnt(0)
	v_mul_f64 v[11:12], v[1:2], v[9:10]
	v_mul_f64 v[15:16], v[3:4], v[9:10]
	s_delay_alu instid0(VALU_DEP_2) | instskip(NEXT) | instid1(VALU_DEP_2)
	v_fma_f64 v[9:10], v[3:4], v[7:8], -v[11:12]
	v_fma_f64 v[11:12], v[1:2], v[7:8], v[15:16]
	scratch_store_b128 off, v[9:12], off offset:720
.LBB119_195:
	s_or_b32 exec_lo, exec_lo, s2
	s_waitcnt_vscnt null, 0x0
	s_barrier
	buffer_gl0_inv
	scratch_load_b128 v[1:4], v24, off
	s_mov_b32 s2, exec_lo
	s_waitcnt vmcnt(0)
	ds_store_b128 v5, v[1:4]
	s_waitcnt lgkmcnt(0)
	s_barrier
	buffer_gl0_inv
	v_cmpx_gt_u32_e32 46, v154
	s_cbranch_execz .LBB119_199
; %bb.196:
	v_dual_mov_b32 v1, 0 :: v_dual_add_nc_u32 v8, 0x380, v13
	v_dual_mov_b32 v2, 0 :: v_dual_add_nc_u32 v7, -1, v154
	v_or_b32_e32 v9, 8, v14
	s_mov_b32 s3, 0
	s_delay_alu instid0(VALU_DEP_2)
	v_dual_mov_b32 v4, v2 :: v_dual_mov_b32 v3, v1
	.p2align	6
.LBB119_197:                            ; =>This Inner Loop Header: Depth=1
	scratch_load_b128 v[15:18], v9, off offset:-8
	ds_load_b128 v[19:22], v8
	v_add_nc_u32_e32 v7, 1, v7
	v_add_nc_u32_e32 v8, 16, v8
	;; [unrolled: 1-line block ×3, first 2 shown]
	s_delay_alu instid0(VALU_DEP_3) | instskip(SKIP_4) | instid1(VALU_DEP_2)
	v_cmp_lt_u32_e32 vcc_lo, 44, v7
	s_or_b32 s3, vcc_lo, s3
	s_waitcnt vmcnt(0) lgkmcnt(0)
	v_mul_f64 v[10:11], v[21:22], v[17:18]
	v_mul_f64 v[17:18], v[19:20], v[17:18]
	v_fma_f64 v[10:11], v[19:20], v[15:16], -v[10:11]
	s_delay_alu instid0(VALU_DEP_2) | instskip(NEXT) | instid1(VALU_DEP_2)
	v_fma_f64 v[15:16], v[21:22], v[15:16], v[17:18]
	v_add_f64 v[3:4], v[3:4], v[10:11]
	s_delay_alu instid0(VALU_DEP_2)
	v_add_f64 v[1:2], v[1:2], v[15:16]
	s_and_not1_b32 exec_lo, exec_lo, s3
	s_cbranch_execnz .LBB119_197
; %bb.198:
	s_or_b32 exec_lo, exec_lo, s3
	v_mov_b32_e32 v7, 0
	ds_load_b128 v[7:10], v7 offset:736
	s_waitcnt lgkmcnt(0)
	v_mul_f64 v[11:12], v[1:2], v[9:10]
	v_mul_f64 v[15:16], v[3:4], v[9:10]
	s_delay_alu instid0(VALU_DEP_2) | instskip(NEXT) | instid1(VALU_DEP_2)
	v_fma_f64 v[9:10], v[3:4], v[7:8], -v[11:12]
	v_fma_f64 v[11:12], v[1:2], v[7:8], v[15:16]
	scratch_store_b128 off, v[9:12], off offset:736
.LBB119_199:
	s_or_b32 exec_lo, exec_lo, s2
	s_waitcnt_vscnt null, 0x0
	s_barrier
	buffer_gl0_inv
	scratch_load_b128 v[1:4], v25, off
	s_mov_b32 s2, exec_lo
	s_waitcnt vmcnt(0)
	ds_store_b128 v5, v[1:4]
	s_waitcnt lgkmcnt(0)
	s_barrier
	buffer_gl0_inv
	v_cmpx_gt_u32_e32 47, v154
	s_cbranch_execz .LBB119_203
; %bb.200:
	v_dual_mov_b32 v1, 0 :: v_dual_add_nc_u32 v8, 0x380, v13
	v_dual_mov_b32 v2, 0 :: v_dual_add_nc_u32 v7, -1, v154
	v_or_b32_e32 v9, 8, v14
	s_mov_b32 s3, 0
	s_delay_alu instid0(VALU_DEP_2)
	v_dual_mov_b32 v4, v2 :: v_dual_mov_b32 v3, v1
	.p2align	6
.LBB119_201:                            ; =>This Inner Loop Header: Depth=1
	scratch_load_b128 v[15:18], v9, off offset:-8
	ds_load_b128 v[19:22], v8
	v_add_nc_u32_e32 v7, 1, v7
	v_add_nc_u32_e32 v8, 16, v8
	;; [unrolled: 1-line block ×3, first 2 shown]
	s_delay_alu instid0(VALU_DEP_3) | instskip(SKIP_4) | instid1(VALU_DEP_2)
	v_cmp_lt_u32_e32 vcc_lo, 45, v7
	s_or_b32 s3, vcc_lo, s3
	s_waitcnt vmcnt(0) lgkmcnt(0)
	v_mul_f64 v[10:11], v[21:22], v[17:18]
	v_mul_f64 v[17:18], v[19:20], v[17:18]
	v_fma_f64 v[10:11], v[19:20], v[15:16], -v[10:11]
	s_delay_alu instid0(VALU_DEP_2) | instskip(NEXT) | instid1(VALU_DEP_2)
	v_fma_f64 v[15:16], v[21:22], v[15:16], v[17:18]
	v_add_f64 v[3:4], v[3:4], v[10:11]
	s_delay_alu instid0(VALU_DEP_2)
	v_add_f64 v[1:2], v[1:2], v[15:16]
	s_and_not1_b32 exec_lo, exec_lo, s3
	s_cbranch_execnz .LBB119_201
; %bb.202:
	s_or_b32 exec_lo, exec_lo, s3
	v_mov_b32_e32 v7, 0
	ds_load_b128 v[7:10], v7 offset:752
	s_waitcnt lgkmcnt(0)
	v_mul_f64 v[11:12], v[1:2], v[9:10]
	v_mul_f64 v[15:16], v[3:4], v[9:10]
	s_delay_alu instid0(VALU_DEP_2) | instskip(NEXT) | instid1(VALU_DEP_2)
	v_fma_f64 v[9:10], v[3:4], v[7:8], -v[11:12]
	v_fma_f64 v[11:12], v[1:2], v[7:8], v[15:16]
	scratch_store_b128 off, v[9:12], off offset:752
.LBB119_203:
	s_or_b32 exec_lo, exec_lo, s2
	s_waitcnt_vscnt null, 0x0
	s_barrier
	buffer_gl0_inv
	scratch_load_b128 v[1:4], v23, off
	s_mov_b32 s2, exec_lo
	s_waitcnt vmcnt(0)
	ds_store_b128 v5, v[1:4]
	s_waitcnt lgkmcnt(0)
	s_barrier
	buffer_gl0_inv
	v_cmpx_gt_u32_e32 48, v154
	s_cbranch_execz .LBB119_207
; %bb.204:
	v_dual_mov_b32 v1, 0 :: v_dual_add_nc_u32 v8, 0x380, v13
	v_dual_mov_b32 v2, 0 :: v_dual_add_nc_u32 v7, -1, v154
	v_or_b32_e32 v9, 8, v14
	s_mov_b32 s3, 0
	s_delay_alu instid0(VALU_DEP_2)
	v_dual_mov_b32 v4, v2 :: v_dual_mov_b32 v3, v1
	.p2align	6
.LBB119_205:                            ; =>This Inner Loop Header: Depth=1
	scratch_load_b128 v[15:18], v9, off offset:-8
	ds_load_b128 v[19:22], v8
	v_add_nc_u32_e32 v7, 1, v7
	v_add_nc_u32_e32 v8, 16, v8
	;; [unrolled: 1-line block ×3, first 2 shown]
	s_delay_alu instid0(VALU_DEP_3) | instskip(SKIP_4) | instid1(VALU_DEP_2)
	v_cmp_lt_u32_e32 vcc_lo, 46, v7
	s_or_b32 s3, vcc_lo, s3
	s_waitcnt vmcnt(0) lgkmcnt(0)
	v_mul_f64 v[10:11], v[21:22], v[17:18]
	v_mul_f64 v[17:18], v[19:20], v[17:18]
	v_fma_f64 v[10:11], v[19:20], v[15:16], -v[10:11]
	s_delay_alu instid0(VALU_DEP_2) | instskip(NEXT) | instid1(VALU_DEP_2)
	v_fma_f64 v[15:16], v[21:22], v[15:16], v[17:18]
	v_add_f64 v[3:4], v[3:4], v[10:11]
	s_delay_alu instid0(VALU_DEP_2)
	v_add_f64 v[1:2], v[1:2], v[15:16]
	s_and_not1_b32 exec_lo, exec_lo, s3
	s_cbranch_execnz .LBB119_205
; %bb.206:
	s_or_b32 exec_lo, exec_lo, s3
	v_mov_b32_e32 v7, 0
	ds_load_b128 v[7:10], v7 offset:768
	s_waitcnt lgkmcnt(0)
	v_mul_f64 v[11:12], v[1:2], v[9:10]
	v_mul_f64 v[15:16], v[3:4], v[9:10]
	s_delay_alu instid0(VALU_DEP_2) | instskip(NEXT) | instid1(VALU_DEP_2)
	v_fma_f64 v[9:10], v[3:4], v[7:8], -v[11:12]
	v_fma_f64 v[11:12], v[1:2], v[7:8], v[15:16]
	scratch_store_b128 off, v[9:12], off offset:768
.LBB119_207:
	s_or_b32 exec_lo, exec_lo, s2
	s_waitcnt_vscnt null, 0x0
	s_barrier
	buffer_gl0_inv
	scratch_load_b128 v[1:4], v166, off
	s_mov_b32 s2, exec_lo
	s_waitcnt vmcnt(0)
	ds_store_b128 v5, v[1:4]
	s_waitcnt lgkmcnt(0)
	s_barrier
	buffer_gl0_inv
	v_cmpx_gt_u32_e32 49, v154
	s_cbranch_execz .LBB119_211
; %bb.208:
	v_dual_mov_b32 v1, 0 :: v_dual_add_nc_u32 v8, 0x380, v13
	v_dual_mov_b32 v2, 0 :: v_dual_add_nc_u32 v7, -1, v154
	v_or_b32_e32 v9, 8, v14
	s_mov_b32 s3, 0
	s_delay_alu instid0(VALU_DEP_2)
	v_dual_mov_b32 v4, v2 :: v_dual_mov_b32 v3, v1
	.p2align	6
.LBB119_209:                            ; =>This Inner Loop Header: Depth=1
	scratch_load_b128 v[15:18], v9, off offset:-8
	ds_load_b128 v[19:22], v8
	v_add_nc_u32_e32 v7, 1, v7
	v_add_nc_u32_e32 v8, 16, v8
	;; [unrolled: 1-line block ×3, first 2 shown]
	s_delay_alu instid0(VALU_DEP_3) | instskip(SKIP_4) | instid1(VALU_DEP_2)
	v_cmp_lt_u32_e32 vcc_lo, 47, v7
	s_or_b32 s3, vcc_lo, s3
	s_waitcnt vmcnt(0) lgkmcnt(0)
	v_mul_f64 v[10:11], v[21:22], v[17:18]
	v_mul_f64 v[17:18], v[19:20], v[17:18]
	v_fma_f64 v[10:11], v[19:20], v[15:16], -v[10:11]
	s_delay_alu instid0(VALU_DEP_2) | instskip(NEXT) | instid1(VALU_DEP_2)
	v_fma_f64 v[15:16], v[21:22], v[15:16], v[17:18]
	v_add_f64 v[3:4], v[3:4], v[10:11]
	s_delay_alu instid0(VALU_DEP_2)
	v_add_f64 v[1:2], v[1:2], v[15:16]
	s_and_not1_b32 exec_lo, exec_lo, s3
	s_cbranch_execnz .LBB119_209
; %bb.210:
	s_or_b32 exec_lo, exec_lo, s3
	v_mov_b32_e32 v7, 0
	ds_load_b128 v[7:10], v7 offset:784
	s_waitcnt lgkmcnt(0)
	v_mul_f64 v[11:12], v[1:2], v[9:10]
	v_mul_f64 v[15:16], v[3:4], v[9:10]
	s_delay_alu instid0(VALU_DEP_2) | instskip(NEXT) | instid1(VALU_DEP_2)
	v_fma_f64 v[9:10], v[3:4], v[7:8], -v[11:12]
	v_fma_f64 v[11:12], v[1:2], v[7:8], v[15:16]
	scratch_store_b128 off, v[9:12], off offset:784
.LBB119_211:
	s_or_b32 exec_lo, exec_lo, s2
	s_waitcnt_vscnt null, 0x0
	s_barrier
	buffer_gl0_inv
	scratch_load_b128 v[1:4], v165, off
	s_mov_b32 s2, exec_lo
	s_waitcnt vmcnt(0)
	ds_store_b128 v5, v[1:4]
	s_waitcnt lgkmcnt(0)
	s_barrier
	buffer_gl0_inv
	v_cmpx_gt_u32_e32 50, v154
	s_cbranch_execz .LBB119_215
; %bb.212:
	v_dual_mov_b32 v1, 0 :: v_dual_add_nc_u32 v8, 0x380, v13
	v_dual_mov_b32 v2, 0 :: v_dual_add_nc_u32 v7, -1, v154
	v_or_b32_e32 v9, 8, v14
	s_mov_b32 s3, 0
	s_delay_alu instid0(VALU_DEP_2)
	v_dual_mov_b32 v4, v2 :: v_dual_mov_b32 v3, v1
	.p2align	6
.LBB119_213:                            ; =>This Inner Loop Header: Depth=1
	scratch_load_b128 v[15:18], v9, off offset:-8
	ds_load_b128 v[19:22], v8
	v_add_nc_u32_e32 v7, 1, v7
	v_add_nc_u32_e32 v8, 16, v8
	;; [unrolled: 1-line block ×3, first 2 shown]
	s_delay_alu instid0(VALU_DEP_3) | instskip(SKIP_4) | instid1(VALU_DEP_2)
	v_cmp_lt_u32_e32 vcc_lo, 48, v7
	s_or_b32 s3, vcc_lo, s3
	s_waitcnt vmcnt(0) lgkmcnt(0)
	v_mul_f64 v[10:11], v[21:22], v[17:18]
	v_mul_f64 v[17:18], v[19:20], v[17:18]
	v_fma_f64 v[10:11], v[19:20], v[15:16], -v[10:11]
	s_delay_alu instid0(VALU_DEP_2) | instskip(NEXT) | instid1(VALU_DEP_2)
	v_fma_f64 v[15:16], v[21:22], v[15:16], v[17:18]
	v_add_f64 v[3:4], v[3:4], v[10:11]
	s_delay_alu instid0(VALU_DEP_2)
	v_add_f64 v[1:2], v[1:2], v[15:16]
	s_and_not1_b32 exec_lo, exec_lo, s3
	s_cbranch_execnz .LBB119_213
; %bb.214:
	s_or_b32 exec_lo, exec_lo, s3
	v_mov_b32_e32 v7, 0
	ds_load_b128 v[7:10], v7 offset:800
	s_waitcnt lgkmcnt(0)
	v_mul_f64 v[11:12], v[1:2], v[9:10]
	v_mul_f64 v[15:16], v[3:4], v[9:10]
	s_delay_alu instid0(VALU_DEP_2) | instskip(NEXT) | instid1(VALU_DEP_2)
	v_fma_f64 v[9:10], v[3:4], v[7:8], -v[11:12]
	v_fma_f64 v[11:12], v[1:2], v[7:8], v[15:16]
	scratch_store_b128 off, v[9:12], off offset:800
.LBB119_215:
	s_or_b32 exec_lo, exec_lo, s2
	s_waitcnt_vscnt null, 0x0
	s_barrier
	buffer_gl0_inv
	scratch_load_b128 v[1:4], v164, off
	s_mov_b32 s2, exec_lo
	s_waitcnt vmcnt(0)
	ds_store_b128 v5, v[1:4]
	s_waitcnt lgkmcnt(0)
	s_barrier
	buffer_gl0_inv
	v_cmpx_gt_u32_e32 51, v154
	s_cbranch_execz .LBB119_219
; %bb.216:
	v_dual_mov_b32 v1, 0 :: v_dual_add_nc_u32 v8, 0x380, v13
	v_dual_mov_b32 v2, 0 :: v_dual_add_nc_u32 v7, -1, v154
	v_or_b32_e32 v9, 8, v14
	s_mov_b32 s3, 0
	s_delay_alu instid0(VALU_DEP_2)
	v_dual_mov_b32 v4, v2 :: v_dual_mov_b32 v3, v1
	.p2align	6
.LBB119_217:                            ; =>This Inner Loop Header: Depth=1
	scratch_load_b128 v[15:18], v9, off offset:-8
	ds_load_b128 v[19:22], v8
	v_add_nc_u32_e32 v7, 1, v7
	v_add_nc_u32_e32 v8, 16, v8
	v_add_nc_u32_e32 v9, 16, v9
	s_delay_alu instid0(VALU_DEP_3) | instskip(SKIP_4) | instid1(VALU_DEP_2)
	v_cmp_lt_u32_e32 vcc_lo, 49, v7
	s_or_b32 s3, vcc_lo, s3
	s_waitcnt vmcnt(0) lgkmcnt(0)
	v_mul_f64 v[10:11], v[21:22], v[17:18]
	v_mul_f64 v[17:18], v[19:20], v[17:18]
	v_fma_f64 v[10:11], v[19:20], v[15:16], -v[10:11]
	s_delay_alu instid0(VALU_DEP_2) | instskip(NEXT) | instid1(VALU_DEP_2)
	v_fma_f64 v[15:16], v[21:22], v[15:16], v[17:18]
	v_add_f64 v[3:4], v[3:4], v[10:11]
	s_delay_alu instid0(VALU_DEP_2)
	v_add_f64 v[1:2], v[1:2], v[15:16]
	s_and_not1_b32 exec_lo, exec_lo, s3
	s_cbranch_execnz .LBB119_217
; %bb.218:
	s_or_b32 exec_lo, exec_lo, s3
	v_mov_b32_e32 v7, 0
	ds_load_b128 v[7:10], v7 offset:816
	s_waitcnt lgkmcnt(0)
	v_mul_f64 v[11:12], v[1:2], v[9:10]
	v_mul_f64 v[15:16], v[3:4], v[9:10]
	s_delay_alu instid0(VALU_DEP_2) | instskip(NEXT) | instid1(VALU_DEP_2)
	v_fma_f64 v[9:10], v[3:4], v[7:8], -v[11:12]
	v_fma_f64 v[11:12], v[1:2], v[7:8], v[15:16]
	scratch_store_b128 off, v[9:12], off offset:816
.LBB119_219:
	s_or_b32 exec_lo, exec_lo, s2
	s_waitcnt_vscnt null, 0x0
	s_barrier
	buffer_gl0_inv
	scratch_load_b128 v[1:4], v163, off
	s_mov_b32 s2, exec_lo
	s_waitcnt vmcnt(0)
	ds_store_b128 v5, v[1:4]
	s_waitcnt lgkmcnt(0)
	s_barrier
	buffer_gl0_inv
	v_cmpx_gt_u32_e32 52, v154
	s_cbranch_execz .LBB119_223
; %bb.220:
	v_dual_mov_b32 v1, 0 :: v_dual_add_nc_u32 v8, 0x380, v13
	v_dual_mov_b32 v2, 0 :: v_dual_add_nc_u32 v7, -1, v154
	v_or_b32_e32 v9, 8, v14
	s_mov_b32 s3, 0
	s_delay_alu instid0(VALU_DEP_2)
	v_dual_mov_b32 v4, v2 :: v_dual_mov_b32 v3, v1
	.p2align	6
.LBB119_221:                            ; =>This Inner Loop Header: Depth=1
	scratch_load_b128 v[15:18], v9, off offset:-8
	ds_load_b128 v[19:22], v8
	v_add_nc_u32_e32 v7, 1, v7
	v_add_nc_u32_e32 v8, 16, v8
	;; [unrolled: 1-line block ×3, first 2 shown]
	s_delay_alu instid0(VALU_DEP_3) | instskip(SKIP_4) | instid1(VALU_DEP_2)
	v_cmp_lt_u32_e32 vcc_lo, 50, v7
	s_or_b32 s3, vcc_lo, s3
	s_waitcnt vmcnt(0) lgkmcnt(0)
	v_mul_f64 v[10:11], v[21:22], v[17:18]
	v_mul_f64 v[17:18], v[19:20], v[17:18]
	v_fma_f64 v[10:11], v[19:20], v[15:16], -v[10:11]
	s_delay_alu instid0(VALU_DEP_2) | instskip(NEXT) | instid1(VALU_DEP_2)
	v_fma_f64 v[15:16], v[21:22], v[15:16], v[17:18]
	v_add_f64 v[3:4], v[3:4], v[10:11]
	s_delay_alu instid0(VALU_DEP_2)
	v_add_f64 v[1:2], v[1:2], v[15:16]
	s_and_not1_b32 exec_lo, exec_lo, s3
	s_cbranch_execnz .LBB119_221
; %bb.222:
	s_or_b32 exec_lo, exec_lo, s3
	v_mov_b32_e32 v7, 0
	ds_load_b128 v[7:10], v7 offset:832
	s_waitcnt lgkmcnt(0)
	v_mul_f64 v[11:12], v[1:2], v[9:10]
	v_mul_f64 v[15:16], v[3:4], v[9:10]
	s_delay_alu instid0(VALU_DEP_2) | instskip(NEXT) | instid1(VALU_DEP_2)
	v_fma_f64 v[9:10], v[3:4], v[7:8], -v[11:12]
	v_fma_f64 v[11:12], v[1:2], v[7:8], v[15:16]
	scratch_store_b128 off, v[9:12], off offset:832
.LBB119_223:
	s_or_b32 exec_lo, exec_lo, s2
	s_waitcnt_vscnt null, 0x0
	s_barrier
	buffer_gl0_inv
	scratch_load_b128 v[1:4], v162, off
	s_mov_b32 s2, exec_lo
	s_waitcnt vmcnt(0)
	ds_store_b128 v5, v[1:4]
	s_waitcnt lgkmcnt(0)
	s_barrier
	buffer_gl0_inv
	v_cmpx_gt_u32_e32 53, v154
	s_cbranch_execz .LBB119_227
; %bb.224:
	v_dual_mov_b32 v1, 0 :: v_dual_add_nc_u32 v8, 0x380, v13
	v_dual_mov_b32 v2, 0 :: v_dual_add_nc_u32 v7, -1, v154
	v_or_b32_e32 v9, 8, v14
	s_mov_b32 s3, 0
	s_delay_alu instid0(VALU_DEP_2)
	v_dual_mov_b32 v4, v2 :: v_dual_mov_b32 v3, v1
	.p2align	6
.LBB119_225:                            ; =>This Inner Loop Header: Depth=1
	scratch_load_b128 v[15:18], v9, off offset:-8
	ds_load_b128 v[19:22], v8
	v_add_nc_u32_e32 v7, 1, v7
	v_add_nc_u32_e32 v8, 16, v8
	;; [unrolled: 1-line block ×3, first 2 shown]
	s_delay_alu instid0(VALU_DEP_3) | instskip(SKIP_4) | instid1(VALU_DEP_2)
	v_cmp_lt_u32_e32 vcc_lo, 51, v7
	s_or_b32 s3, vcc_lo, s3
	s_waitcnt vmcnt(0) lgkmcnt(0)
	v_mul_f64 v[10:11], v[21:22], v[17:18]
	v_mul_f64 v[17:18], v[19:20], v[17:18]
	v_fma_f64 v[10:11], v[19:20], v[15:16], -v[10:11]
	s_delay_alu instid0(VALU_DEP_2) | instskip(NEXT) | instid1(VALU_DEP_2)
	v_fma_f64 v[15:16], v[21:22], v[15:16], v[17:18]
	v_add_f64 v[3:4], v[3:4], v[10:11]
	s_delay_alu instid0(VALU_DEP_2)
	v_add_f64 v[1:2], v[1:2], v[15:16]
	s_and_not1_b32 exec_lo, exec_lo, s3
	s_cbranch_execnz .LBB119_225
; %bb.226:
	s_or_b32 exec_lo, exec_lo, s3
	v_mov_b32_e32 v7, 0
	ds_load_b128 v[7:10], v7 offset:848
	s_waitcnt lgkmcnt(0)
	v_mul_f64 v[11:12], v[1:2], v[9:10]
	v_mul_f64 v[15:16], v[3:4], v[9:10]
	s_delay_alu instid0(VALU_DEP_2) | instskip(NEXT) | instid1(VALU_DEP_2)
	v_fma_f64 v[9:10], v[3:4], v[7:8], -v[11:12]
	v_fma_f64 v[11:12], v[1:2], v[7:8], v[15:16]
	scratch_store_b128 off, v[9:12], off offset:848
.LBB119_227:
	s_or_b32 exec_lo, exec_lo, s2
	s_waitcnt_vscnt null, 0x0
	s_barrier
	buffer_gl0_inv
	scratch_load_b128 v[1:4], v155, off
	s_mov_b32 s2, exec_lo
	s_waitcnt vmcnt(0)
	ds_store_b128 v5, v[1:4]
	s_waitcnt lgkmcnt(0)
	s_barrier
	buffer_gl0_inv
	v_cmpx_gt_u32_e32 54, v154
	s_cbranch_execz .LBB119_231
; %bb.228:
	v_dual_mov_b32 v1, 0 :: v_dual_add_nc_u32 v8, 0x380, v13
	v_dual_mov_b32 v2, 0 :: v_dual_add_nc_u32 v7, -1, v154
	v_or_b32_e32 v9, 8, v14
	s_mov_b32 s3, 0
	s_delay_alu instid0(VALU_DEP_2)
	v_dual_mov_b32 v4, v2 :: v_dual_mov_b32 v3, v1
	.p2align	6
.LBB119_229:                            ; =>This Inner Loop Header: Depth=1
	scratch_load_b128 v[10:13], v9, off offset:-8
	ds_load_b128 v[15:18], v8
	v_add_nc_u32_e32 v7, 1, v7
	v_add_nc_u32_e32 v8, 16, v8
	v_add_nc_u32_e32 v9, 16, v9
	s_delay_alu instid0(VALU_DEP_3) | instskip(SKIP_4) | instid1(VALU_DEP_2)
	v_cmp_lt_u32_e32 vcc_lo, 52, v7
	s_or_b32 s3, vcc_lo, s3
	s_waitcnt vmcnt(0) lgkmcnt(0)
	v_mul_f64 v[19:20], v[17:18], v[12:13]
	v_mul_f64 v[12:13], v[15:16], v[12:13]
	v_fma_f64 v[15:16], v[15:16], v[10:11], -v[19:20]
	s_delay_alu instid0(VALU_DEP_2) | instskip(NEXT) | instid1(VALU_DEP_2)
	v_fma_f64 v[10:11], v[17:18], v[10:11], v[12:13]
	v_add_f64 v[3:4], v[3:4], v[15:16]
	s_delay_alu instid0(VALU_DEP_2)
	v_add_f64 v[1:2], v[1:2], v[10:11]
	s_and_not1_b32 exec_lo, exec_lo, s3
	s_cbranch_execnz .LBB119_229
; %bb.230:
	s_or_b32 exec_lo, exec_lo, s3
	v_mov_b32_e32 v7, 0
	ds_load_b128 v[7:10], v7 offset:864
	s_waitcnt lgkmcnt(0)
	v_mul_f64 v[11:12], v[1:2], v[9:10]
	v_mul_f64 v[15:16], v[3:4], v[9:10]
	s_delay_alu instid0(VALU_DEP_2) | instskip(NEXT) | instid1(VALU_DEP_2)
	v_fma_f64 v[9:10], v[3:4], v[7:8], -v[11:12]
	v_fma_f64 v[11:12], v[1:2], v[7:8], v[15:16]
	scratch_store_b128 off, v[9:12], off offset:864
.LBB119_231:
	s_or_b32 exec_lo, exec_lo, s2
	s_waitcnt_vscnt null, 0x0
	s_barrier
	buffer_gl0_inv
	scratch_load_b128 v[1:4], v158, off
	s_mov_b32 s2, exec_lo
	s_waitcnt vmcnt(0)
	ds_store_b128 v5, v[1:4]
	s_waitcnt lgkmcnt(0)
	s_barrier
	buffer_gl0_inv
	v_cmpx_ne_u32_e32 55, v154
	s_cbranch_execz .LBB119_235
; %bb.232:
	v_mov_b32_e32 v1, 0
	v_mov_b32_e32 v2, 0
	v_or_b32_e32 v7, 8, v14
	s_mov_b32 s3, 0
	s_delay_alu instid0(VALU_DEP_2)
	v_dual_mov_b32 v4, v2 :: v_dual_mov_b32 v3, v1
	.p2align	6
.LBB119_233:                            ; =>This Inner Loop Header: Depth=1
	scratch_load_b128 v[8:11], v7, off offset:-8
	ds_load_b128 v[12:15], v5
	v_add_nc_u32_e32 v6, 1, v6
	v_add_nc_u32_e32 v5, 16, v5
	;; [unrolled: 1-line block ×3, first 2 shown]
	s_delay_alu instid0(VALU_DEP_3) | instskip(SKIP_4) | instid1(VALU_DEP_2)
	v_cmp_lt_u32_e32 vcc_lo, 53, v6
	s_or_b32 s3, vcc_lo, s3
	s_waitcnt vmcnt(0) lgkmcnt(0)
	v_mul_f64 v[16:17], v[14:15], v[10:11]
	v_mul_f64 v[10:11], v[12:13], v[10:11]
	v_fma_f64 v[12:13], v[12:13], v[8:9], -v[16:17]
	s_delay_alu instid0(VALU_DEP_2) | instskip(NEXT) | instid1(VALU_DEP_2)
	v_fma_f64 v[8:9], v[14:15], v[8:9], v[10:11]
	v_add_f64 v[3:4], v[3:4], v[12:13]
	s_delay_alu instid0(VALU_DEP_2)
	v_add_f64 v[1:2], v[1:2], v[8:9]
	s_and_not1_b32 exec_lo, exec_lo, s3
	s_cbranch_execnz .LBB119_233
; %bb.234:
	s_or_b32 exec_lo, exec_lo, s3
	v_mov_b32_e32 v5, 0
	ds_load_b128 v[5:8], v5 offset:880
	s_waitcnt lgkmcnt(0)
	v_mul_f64 v[9:10], v[1:2], v[7:8]
	v_mul_f64 v[7:8], v[3:4], v[7:8]
	s_delay_alu instid0(VALU_DEP_2) | instskip(NEXT) | instid1(VALU_DEP_2)
	v_fma_f64 v[3:4], v[3:4], v[5:6], -v[9:10]
	v_fma_f64 v[5:6], v[1:2], v[5:6], v[7:8]
	scratch_store_b128 off, v[3:6], off offset:880
.LBB119_235:
	s_or_b32 exec_lo, exec_lo, s2
	s_mov_b32 s3, -1
	s_waitcnt_vscnt null, 0x0
	s_barrier
	buffer_gl0_inv
.LBB119_236:
	s_and_b32 vcc_lo, exec_lo, s3
	s_cbranch_vccz .LBB119_238
; %bb.237:
	s_lshl_b64 s[2:3], s[10:11], 2
	v_mov_b32_e32 v1, 0
	s_add_u32 s2, s6, s2
	s_addc_u32 s3, s7, s3
	global_load_b32 v1, v1, s[2:3]
	s_waitcnt vmcnt(0)
	v_cmp_ne_u32_e32 vcc_lo, 0, v1
	s_cbranch_vccz .LBB119_239
.LBB119_238:
	s_endpgm
.LBB119_239:
	v_dual_mov_b32 v232, v210 :: v_dual_mov_b32 v231, v49
	v_dual_mov_b32 v230, v48 :: v_dual_mov_b32 v237, v47
	;; [unrolled: 1-line block ×6, first 2 shown]
	v_mov_b32_e32 v244, v25
	v_mov_b32_e32 v242, v23
	v_lshl_add_u32 v210, v154, 4, 0x380
	s_mov_b32 s2, exec_lo
	v_cmpx_eq_u32_e32 55, v154
	s_cbranch_execz .LBB119_241
; %bb.240:
	scratch_load_b128 v[1:4], v155, off
	v_mov_b32_e32 v5, 0
	s_delay_alu instid0(VALU_DEP_1)
	v_mov_b32_e32 v6, v5
	v_mov_b32_e32 v7, v5
	;; [unrolled: 1-line block ×3, first 2 shown]
	scratch_store_b128 off, v[5:8], off offset:864
	s_waitcnt vmcnt(0)
	ds_store_b128 v210, v[1:4]
.LBB119_241:
	s_or_b32 exec_lo, exec_lo, s2
	s_waitcnt lgkmcnt(0)
	s_waitcnt_vscnt null, 0x0
	s_barrier
	buffer_gl0_inv
	s_clause 0x1
	scratch_load_b128 v[2:5], off, off offset:880
	scratch_load_b128 v[6:9], off, off offset:864
	v_mov_b32_e32 v1, 0
	s_mov_b32 s2, exec_lo
	ds_load_b128 v[10:13], v1 offset:1776
	s_waitcnt vmcnt(1) lgkmcnt(0)
	v_mul_f64 v[14:15], v[12:13], v[4:5]
	v_mul_f64 v[4:5], v[10:11], v[4:5]
	s_delay_alu instid0(VALU_DEP_2) | instskip(NEXT) | instid1(VALU_DEP_2)
	v_fma_f64 v[10:11], v[10:11], v[2:3], -v[14:15]
	v_fma_f64 v[2:3], v[12:13], v[2:3], v[4:5]
	s_delay_alu instid0(VALU_DEP_2) | instskip(NEXT) | instid1(VALU_DEP_2)
	v_add_f64 v[4:5], v[10:11], 0
	v_add_f64 v[10:11], v[2:3], 0
	s_waitcnt vmcnt(0)
	s_delay_alu instid0(VALU_DEP_2) | instskip(NEXT) | instid1(VALU_DEP_2)
	v_add_f64 v[2:3], v[6:7], -v[4:5]
	v_add_f64 v[4:5], v[8:9], -v[10:11]
	scratch_store_b128 off, v[2:5], off offset:864
	v_cmpx_lt_u32_e32 53, v154
	s_cbranch_execz .LBB119_243
; %bb.242:
	scratch_load_b128 v[5:8], v162, off
	v_mov_b32_e32 v2, v1
	v_mov_b32_e32 v3, v1
	;; [unrolled: 1-line block ×3, first 2 shown]
	scratch_store_b128 off, v[1:4], off offset:848
	s_waitcnt vmcnt(0)
	ds_store_b128 v210, v[5:8]
.LBB119_243:
	s_or_b32 exec_lo, exec_lo, s2
	s_waitcnt lgkmcnt(0)
	s_waitcnt_vscnt null, 0x0
	s_barrier
	buffer_gl0_inv
	s_clause 0x2
	scratch_load_b128 v[2:5], off, off offset:864
	scratch_load_b128 v[6:9], off, off offset:880
	;; [unrolled: 1-line block ×3, first 2 shown]
	ds_load_b128 v[14:17], v1 offset:1760
	ds_load_b128 v[18:21], v1 offset:1776
	s_mov_b32 s2, exec_lo
	s_waitcnt vmcnt(2) lgkmcnt(1)
	v_mul_f64 v[22:23], v[16:17], v[4:5]
	v_mul_f64 v[4:5], v[14:15], v[4:5]
	s_waitcnt vmcnt(1) lgkmcnt(0)
	v_mul_f64 v[24:25], v[18:19], v[8:9]
	v_mul_f64 v[8:9], v[20:21], v[8:9]
	s_delay_alu instid0(VALU_DEP_4) | instskip(NEXT) | instid1(VALU_DEP_4)
	v_fma_f64 v[14:15], v[14:15], v[2:3], -v[22:23]
	v_fma_f64 v[1:2], v[16:17], v[2:3], v[4:5]
	s_delay_alu instid0(VALU_DEP_4) | instskip(NEXT) | instid1(VALU_DEP_4)
	v_fma_f64 v[3:4], v[20:21], v[6:7], v[24:25]
	v_fma_f64 v[5:6], v[18:19], v[6:7], -v[8:9]
	s_delay_alu instid0(VALU_DEP_4) | instskip(NEXT) | instid1(VALU_DEP_4)
	v_add_f64 v[7:8], v[14:15], 0
	v_add_f64 v[1:2], v[1:2], 0
	s_delay_alu instid0(VALU_DEP_2) | instskip(NEXT) | instid1(VALU_DEP_2)
	v_add_f64 v[5:6], v[7:8], v[5:6]
	v_add_f64 v[3:4], v[1:2], v[3:4]
	s_waitcnt vmcnt(0)
	s_delay_alu instid0(VALU_DEP_2) | instskip(NEXT) | instid1(VALU_DEP_2)
	v_add_f64 v[1:2], v[10:11], -v[5:6]
	v_add_f64 v[3:4], v[12:13], -v[3:4]
	scratch_store_b128 off, v[1:4], off offset:848
	v_cmpx_lt_u32_e32 52, v154
	s_cbranch_execz .LBB119_245
; %bb.244:
	scratch_load_b128 v[1:4], v163, off
	v_mov_b32_e32 v5, 0
	s_delay_alu instid0(VALU_DEP_1)
	v_mov_b32_e32 v6, v5
	v_mov_b32_e32 v7, v5
	v_mov_b32_e32 v8, v5
	scratch_store_b128 off, v[5:8], off offset:832
	s_waitcnt vmcnt(0)
	ds_store_b128 v210, v[1:4]
.LBB119_245:
	s_or_b32 exec_lo, exec_lo, s2
	s_waitcnt lgkmcnt(0)
	s_waitcnt_vscnt null, 0x0
	s_barrier
	buffer_gl0_inv
	s_clause 0x3
	scratch_load_b128 v[2:5], off, off offset:848
	scratch_load_b128 v[6:9], off, off offset:864
	scratch_load_b128 v[10:13], off, off offset:880
	scratch_load_b128 v[14:17], off, off offset:832
	v_mov_b32_e32 v1, 0
	ds_load_b128 v[18:21], v1 offset:1744
	ds_load_b128 v[22:25], v1 offset:1760
	s_mov_b32 s2, exec_lo
	s_waitcnt vmcnt(3) lgkmcnt(1)
	v_mul_f64 v[26:27], v[20:21], v[4:5]
	v_mul_f64 v[4:5], v[18:19], v[4:5]
	s_waitcnt vmcnt(2) lgkmcnt(0)
	v_mul_f64 v[28:29], v[22:23], v[8:9]
	v_mul_f64 v[8:9], v[24:25], v[8:9]
	s_delay_alu instid0(VALU_DEP_4) | instskip(NEXT) | instid1(VALU_DEP_4)
	v_fma_f64 v[18:19], v[18:19], v[2:3], -v[26:27]
	v_fma_f64 v[20:21], v[20:21], v[2:3], v[4:5]
	ds_load_b128 v[2:5], v1 offset:1776
	v_fma_f64 v[24:25], v[24:25], v[6:7], v[28:29]
	v_fma_f64 v[6:7], v[22:23], v[6:7], -v[8:9]
	s_waitcnt vmcnt(1) lgkmcnt(0)
	v_mul_f64 v[26:27], v[2:3], v[12:13]
	v_mul_f64 v[12:13], v[4:5], v[12:13]
	v_add_f64 v[8:9], v[18:19], 0
	v_add_f64 v[18:19], v[20:21], 0
	s_delay_alu instid0(VALU_DEP_4) | instskip(NEXT) | instid1(VALU_DEP_4)
	v_fma_f64 v[4:5], v[4:5], v[10:11], v[26:27]
	v_fma_f64 v[2:3], v[2:3], v[10:11], -v[12:13]
	s_delay_alu instid0(VALU_DEP_4) | instskip(NEXT) | instid1(VALU_DEP_4)
	v_add_f64 v[6:7], v[8:9], v[6:7]
	v_add_f64 v[8:9], v[18:19], v[24:25]
	s_delay_alu instid0(VALU_DEP_2) | instskip(NEXT) | instid1(VALU_DEP_2)
	v_add_f64 v[2:3], v[6:7], v[2:3]
	v_add_f64 v[4:5], v[8:9], v[4:5]
	s_waitcnt vmcnt(0)
	s_delay_alu instid0(VALU_DEP_2) | instskip(NEXT) | instid1(VALU_DEP_2)
	v_add_f64 v[2:3], v[14:15], -v[2:3]
	v_add_f64 v[4:5], v[16:17], -v[4:5]
	scratch_store_b128 off, v[2:5], off offset:832
	v_cmpx_lt_u32_e32 51, v154
	s_cbranch_execz .LBB119_247
; %bb.246:
	scratch_load_b128 v[5:8], v164, off
	v_mov_b32_e32 v2, v1
	v_mov_b32_e32 v3, v1
	;; [unrolled: 1-line block ×3, first 2 shown]
	scratch_store_b128 off, v[1:4], off offset:816
	s_waitcnt vmcnt(0)
	ds_store_b128 v210, v[5:8]
.LBB119_247:
	s_or_b32 exec_lo, exec_lo, s2
	s_waitcnt lgkmcnt(0)
	s_waitcnt_vscnt null, 0x0
	s_barrier
	buffer_gl0_inv
	s_clause 0x4
	scratch_load_b128 v[2:5], off, off offset:832
	scratch_load_b128 v[6:9], off, off offset:848
	;; [unrolled: 1-line block ×5, first 2 shown]
	ds_load_b128 v[22:25], v1 offset:1728
	ds_load_b128 v[26:29], v1 offset:1744
	s_mov_b32 s2, exec_lo
	s_waitcnt vmcnt(4) lgkmcnt(1)
	v_mul_f64 v[30:31], v[24:25], v[4:5]
	v_mul_f64 v[4:5], v[22:23], v[4:5]
	s_waitcnt vmcnt(3) lgkmcnt(0)
	v_mul_f64 v[32:33], v[26:27], v[8:9]
	v_mul_f64 v[8:9], v[28:29], v[8:9]
	s_delay_alu instid0(VALU_DEP_4) | instskip(NEXT) | instid1(VALU_DEP_4)
	v_fma_f64 v[30:31], v[22:23], v[2:3], -v[30:31]
	v_fma_f64 v[34:35], v[24:25], v[2:3], v[4:5]
	ds_load_b128 v[2:5], v1 offset:1760
	ds_load_b128 v[22:25], v1 offset:1776
	v_fma_f64 v[28:29], v[28:29], v[6:7], v[32:33]
	v_fma_f64 v[6:7], v[26:27], v[6:7], -v[8:9]
	s_waitcnt vmcnt(2) lgkmcnt(1)
	v_mul_f64 v[36:37], v[2:3], v[12:13]
	v_mul_f64 v[12:13], v[4:5], v[12:13]
	v_add_f64 v[8:9], v[30:31], 0
	v_add_f64 v[26:27], v[34:35], 0
	s_waitcnt vmcnt(1) lgkmcnt(0)
	v_mul_f64 v[30:31], v[22:23], v[16:17]
	v_mul_f64 v[16:17], v[24:25], v[16:17]
	v_fma_f64 v[4:5], v[4:5], v[10:11], v[36:37]
	v_fma_f64 v[1:2], v[2:3], v[10:11], -v[12:13]
	v_add_f64 v[6:7], v[8:9], v[6:7]
	v_add_f64 v[8:9], v[26:27], v[28:29]
	v_fma_f64 v[10:11], v[24:25], v[14:15], v[30:31]
	v_fma_f64 v[12:13], v[22:23], v[14:15], -v[16:17]
	s_delay_alu instid0(VALU_DEP_4) | instskip(NEXT) | instid1(VALU_DEP_4)
	v_add_f64 v[1:2], v[6:7], v[1:2]
	v_add_f64 v[3:4], v[8:9], v[4:5]
	s_delay_alu instid0(VALU_DEP_2) | instskip(NEXT) | instid1(VALU_DEP_2)
	v_add_f64 v[1:2], v[1:2], v[12:13]
	v_add_f64 v[3:4], v[3:4], v[10:11]
	s_waitcnt vmcnt(0)
	s_delay_alu instid0(VALU_DEP_2) | instskip(NEXT) | instid1(VALU_DEP_2)
	v_add_f64 v[1:2], v[18:19], -v[1:2]
	v_add_f64 v[3:4], v[20:21], -v[3:4]
	scratch_store_b128 off, v[1:4], off offset:816
	v_cmpx_lt_u32_e32 50, v154
	s_cbranch_execz .LBB119_249
; %bb.248:
	scratch_load_b128 v[1:4], v165, off
	v_mov_b32_e32 v5, 0
	s_delay_alu instid0(VALU_DEP_1)
	v_mov_b32_e32 v6, v5
	v_mov_b32_e32 v7, v5
	;; [unrolled: 1-line block ×3, first 2 shown]
	scratch_store_b128 off, v[5:8], off offset:800
	s_waitcnt vmcnt(0)
	ds_store_b128 v210, v[1:4]
.LBB119_249:
	s_or_b32 exec_lo, exec_lo, s2
	s_waitcnt lgkmcnt(0)
	s_waitcnt_vscnt null, 0x0
	s_barrier
	buffer_gl0_inv
	s_clause 0x5
	scratch_load_b128 v[2:5], off, off offset:816
	scratch_load_b128 v[6:9], off, off offset:832
	;; [unrolled: 1-line block ×6, first 2 shown]
	v_mov_b32_e32 v1, 0
	ds_load_b128 v[26:29], v1 offset:1712
	ds_load_b128 v[30:33], v1 offset:1728
	s_mov_b32 s2, exec_lo
	s_waitcnt vmcnt(5) lgkmcnt(1)
	v_mul_f64 v[34:35], v[28:29], v[4:5]
	v_mul_f64 v[4:5], v[26:27], v[4:5]
	s_waitcnt vmcnt(4) lgkmcnt(0)
	v_mul_f64 v[36:37], v[30:31], v[8:9]
	v_mul_f64 v[8:9], v[32:33], v[8:9]
	s_delay_alu instid0(VALU_DEP_4) | instskip(NEXT) | instid1(VALU_DEP_4)
	v_fma_f64 v[34:35], v[26:27], v[2:3], -v[34:35]
	v_fma_f64 v[38:39], v[28:29], v[2:3], v[4:5]
	ds_load_b128 v[2:5], v1 offset:1744
	ds_load_b128 v[26:29], v1 offset:1760
	v_fma_f64 v[32:33], v[32:33], v[6:7], v[36:37]
	v_fma_f64 v[6:7], v[30:31], v[6:7], -v[8:9]
	s_waitcnt vmcnt(3) lgkmcnt(1)
	v_mul_f64 v[40:41], v[2:3], v[12:13]
	v_mul_f64 v[12:13], v[4:5], v[12:13]
	v_add_f64 v[8:9], v[34:35], 0
	v_add_f64 v[30:31], v[38:39], 0
	s_waitcnt vmcnt(2) lgkmcnt(0)
	v_mul_f64 v[34:35], v[26:27], v[16:17]
	v_mul_f64 v[16:17], v[28:29], v[16:17]
	v_fma_f64 v[36:37], v[4:5], v[10:11], v[40:41]
	v_fma_f64 v[10:11], v[2:3], v[10:11], -v[12:13]
	ds_load_b128 v[2:5], v1 offset:1776
	v_add_f64 v[6:7], v[8:9], v[6:7]
	v_add_f64 v[8:9], v[30:31], v[32:33]
	v_fma_f64 v[28:29], v[28:29], v[14:15], v[34:35]
	v_fma_f64 v[14:15], v[26:27], v[14:15], -v[16:17]
	s_waitcnt vmcnt(1) lgkmcnt(0)
	v_mul_f64 v[12:13], v[2:3], v[20:21]
	v_mul_f64 v[20:21], v[4:5], v[20:21]
	v_add_f64 v[6:7], v[6:7], v[10:11]
	v_add_f64 v[8:9], v[8:9], v[36:37]
	s_delay_alu instid0(VALU_DEP_4) | instskip(NEXT) | instid1(VALU_DEP_4)
	v_fma_f64 v[4:5], v[4:5], v[18:19], v[12:13]
	v_fma_f64 v[2:3], v[2:3], v[18:19], -v[20:21]
	s_delay_alu instid0(VALU_DEP_4) | instskip(NEXT) | instid1(VALU_DEP_4)
	v_add_f64 v[6:7], v[6:7], v[14:15]
	v_add_f64 v[8:9], v[8:9], v[28:29]
	s_delay_alu instid0(VALU_DEP_2) | instskip(NEXT) | instid1(VALU_DEP_2)
	v_add_f64 v[2:3], v[6:7], v[2:3]
	v_add_f64 v[4:5], v[8:9], v[4:5]
	s_waitcnt vmcnt(0)
	s_delay_alu instid0(VALU_DEP_2) | instskip(NEXT) | instid1(VALU_DEP_2)
	v_add_f64 v[2:3], v[22:23], -v[2:3]
	v_add_f64 v[4:5], v[24:25], -v[4:5]
	scratch_store_b128 off, v[2:5], off offset:800
	v_cmpx_lt_u32_e32 49, v154
	s_cbranch_execz .LBB119_251
; %bb.250:
	scratch_load_b128 v[5:8], v166, off
	v_mov_b32_e32 v2, v1
	v_mov_b32_e32 v3, v1
	v_mov_b32_e32 v4, v1
	scratch_store_b128 off, v[1:4], off offset:784
	s_waitcnt vmcnt(0)
	ds_store_b128 v210, v[5:8]
.LBB119_251:
	s_or_b32 exec_lo, exec_lo, s2
	s_waitcnt lgkmcnt(0)
	s_waitcnt_vscnt null, 0x0
	s_barrier
	buffer_gl0_inv
	s_clause 0x5
	scratch_load_b128 v[2:5], off, off offset:800
	scratch_load_b128 v[6:9], off, off offset:816
	;; [unrolled: 1-line block ×6, first 2 shown]
	ds_load_b128 v[26:29], v1 offset:1696
	ds_load_b128 v[34:37], v1 offset:1712
	scratch_load_b128 v[30:33], off, off offset:784
	s_mov_b32 s2, exec_lo
	s_waitcnt vmcnt(6) lgkmcnt(1)
	v_mul_f64 v[38:39], v[28:29], v[4:5]
	v_mul_f64 v[4:5], v[26:27], v[4:5]
	s_waitcnt vmcnt(5) lgkmcnt(0)
	v_mul_f64 v[40:41], v[34:35], v[8:9]
	v_mul_f64 v[8:9], v[36:37], v[8:9]
	s_delay_alu instid0(VALU_DEP_4) | instskip(NEXT) | instid1(VALU_DEP_4)
	v_fma_f64 v[38:39], v[26:27], v[2:3], -v[38:39]
	v_fma_f64 v[44:45], v[28:29], v[2:3], v[4:5]
	ds_load_b128 v[2:5], v1 offset:1728
	ds_load_b128 v[26:29], v1 offset:1744
	v_fma_f64 v[36:37], v[36:37], v[6:7], v[40:41]
	v_fma_f64 v[6:7], v[34:35], v[6:7], -v[8:9]
	s_waitcnt vmcnt(4) lgkmcnt(1)
	v_mul_f64 v[46:47], v[2:3], v[12:13]
	v_mul_f64 v[12:13], v[4:5], v[12:13]
	v_add_f64 v[8:9], v[38:39], 0
	v_add_f64 v[34:35], v[44:45], 0
	s_waitcnt vmcnt(3) lgkmcnt(0)
	v_mul_f64 v[38:39], v[26:27], v[16:17]
	v_mul_f64 v[16:17], v[28:29], v[16:17]
	v_fma_f64 v[40:41], v[4:5], v[10:11], v[46:47]
	v_fma_f64 v[10:11], v[2:3], v[10:11], -v[12:13]
	v_add_f64 v[12:13], v[8:9], v[6:7]
	v_add_f64 v[34:35], v[34:35], v[36:37]
	ds_load_b128 v[2:5], v1 offset:1760
	ds_load_b128 v[6:9], v1 offset:1776
	v_fma_f64 v[28:29], v[28:29], v[14:15], v[38:39]
	v_fma_f64 v[14:15], v[26:27], v[14:15], -v[16:17]
	s_waitcnt vmcnt(2) lgkmcnt(1)
	v_mul_f64 v[36:37], v[2:3], v[20:21]
	v_mul_f64 v[20:21], v[4:5], v[20:21]
	s_waitcnt vmcnt(1) lgkmcnt(0)
	v_mul_f64 v[16:17], v[6:7], v[24:25]
	v_mul_f64 v[24:25], v[8:9], v[24:25]
	v_add_f64 v[10:11], v[12:13], v[10:11]
	v_add_f64 v[12:13], v[34:35], v[40:41]
	v_fma_f64 v[4:5], v[4:5], v[18:19], v[36:37]
	v_fma_f64 v[1:2], v[2:3], v[18:19], -v[20:21]
	v_fma_f64 v[8:9], v[8:9], v[22:23], v[16:17]
	v_fma_f64 v[6:7], v[6:7], v[22:23], -v[24:25]
	v_add_f64 v[10:11], v[10:11], v[14:15]
	v_add_f64 v[12:13], v[12:13], v[28:29]
	s_delay_alu instid0(VALU_DEP_2) | instskip(NEXT) | instid1(VALU_DEP_2)
	v_add_f64 v[1:2], v[10:11], v[1:2]
	v_add_f64 v[3:4], v[12:13], v[4:5]
	s_delay_alu instid0(VALU_DEP_2) | instskip(NEXT) | instid1(VALU_DEP_2)
	v_add_f64 v[1:2], v[1:2], v[6:7]
	v_add_f64 v[3:4], v[3:4], v[8:9]
	s_waitcnt vmcnt(0)
	s_delay_alu instid0(VALU_DEP_2) | instskip(NEXT) | instid1(VALU_DEP_2)
	v_add_f64 v[1:2], v[30:31], -v[1:2]
	v_add_f64 v[3:4], v[32:33], -v[3:4]
	scratch_store_b128 off, v[1:4], off offset:784
	v_cmpx_lt_u32_e32 48, v154
	s_cbranch_execz .LBB119_253
; %bb.252:
	scratch_load_b128 v[1:4], v242, off
	v_mov_b32_e32 v5, 0
	s_delay_alu instid0(VALU_DEP_1)
	v_mov_b32_e32 v6, v5
	v_mov_b32_e32 v7, v5
	v_mov_b32_e32 v8, v5
	scratch_store_b128 off, v[5:8], off offset:768
	s_waitcnt vmcnt(0)
	ds_store_b128 v210, v[1:4]
.LBB119_253:
	s_or_b32 exec_lo, exec_lo, s2
	s_waitcnt lgkmcnt(0)
	s_waitcnt_vscnt null, 0x0
	s_barrier
	buffer_gl0_inv
	s_clause 0x6
	scratch_load_b128 v[2:5], off, off offset:784
	scratch_load_b128 v[6:9], off, off offset:800
	scratch_load_b128 v[10:13], off, off offset:816
	scratch_load_b128 v[14:17], off, off offset:832
	scratch_load_b128 v[18:21], off, off offset:848
	scratch_load_b128 v[22:25], off, off offset:864
	scratch_load_b128 v[26:29], off, off offset:880
	v_mov_b32_e32 v1, 0
	scratch_load_b128 v[34:37], off, off offset:768
	s_mov_b32 s2, exec_lo
	ds_load_b128 v[30:33], v1 offset:1680
	ds_load_b128 v[38:41], v1 offset:1696
	s_waitcnt vmcnt(7) lgkmcnt(1)
	v_mul_f64 v[44:45], v[32:33], v[4:5]
	v_mul_f64 v[4:5], v[30:31], v[4:5]
	s_waitcnt vmcnt(6) lgkmcnt(0)
	v_mul_f64 v[46:47], v[38:39], v[8:9]
	v_mul_f64 v[8:9], v[40:41], v[8:9]
	s_delay_alu instid0(VALU_DEP_4) | instskip(NEXT) | instid1(VALU_DEP_4)
	v_fma_f64 v[44:45], v[30:31], v[2:3], -v[44:45]
	v_fma_f64 v[48:49], v[32:33], v[2:3], v[4:5]
	ds_load_b128 v[2:5], v1 offset:1712
	ds_load_b128 v[30:33], v1 offset:1728
	v_fma_f64 v[40:41], v[40:41], v[6:7], v[46:47]
	v_fma_f64 v[6:7], v[38:39], v[6:7], -v[8:9]
	s_waitcnt vmcnt(5) lgkmcnt(1)
	v_mul_f64 v[156:157], v[2:3], v[12:13]
	v_mul_f64 v[12:13], v[4:5], v[12:13]
	v_add_f64 v[8:9], v[44:45], 0
	v_add_f64 v[38:39], v[48:49], 0
	s_waitcnt vmcnt(4) lgkmcnt(0)
	v_mul_f64 v[44:45], v[30:31], v[16:17]
	v_mul_f64 v[16:17], v[32:33], v[16:17]
	v_fma_f64 v[46:47], v[4:5], v[10:11], v[156:157]
	v_fma_f64 v[10:11], v[2:3], v[10:11], -v[12:13]
	v_add_f64 v[12:13], v[8:9], v[6:7]
	v_add_f64 v[38:39], v[38:39], v[40:41]
	ds_load_b128 v[2:5], v1 offset:1744
	ds_load_b128 v[6:9], v1 offset:1760
	v_fma_f64 v[32:33], v[32:33], v[14:15], v[44:45]
	v_fma_f64 v[14:15], v[30:31], v[14:15], -v[16:17]
	s_waitcnt vmcnt(3) lgkmcnt(1)
	v_mul_f64 v[40:41], v[2:3], v[20:21]
	v_mul_f64 v[20:21], v[4:5], v[20:21]
	s_waitcnt vmcnt(2) lgkmcnt(0)
	v_mul_f64 v[16:17], v[6:7], v[24:25]
	v_mul_f64 v[24:25], v[8:9], v[24:25]
	v_add_f64 v[10:11], v[12:13], v[10:11]
	v_add_f64 v[12:13], v[38:39], v[46:47]
	v_fma_f64 v[30:31], v[4:5], v[18:19], v[40:41]
	v_fma_f64 v[18:19], v[2:3], v[18:19], -v[20:21]
	ds_load_b128 v[2:5], v1 offset:1776
	v_fma_f64 v[8:9], v[8:9], v[22:23], v[16:17]
	v_fma_f64 v[6:7], v[6:7], v[22:23], -v[24:25]
	v_add_f64 v[10:11], v[10:11], v[14:15]
	v_add_f64 v[12:13], v[12:13], v[32:33]
	s_waitcnt vmcnt(1) lgkmcnt(0)
	v_mul_f64 v[14:15], v[2:3], v[28:29]
	v_mul_f64 v[20:21], v[4:5], v[28:29]
	s_delay_alu instid0(VALU_DEP_4) | instskip(NEXT) | instid1(VALU_DEP_4)
	v_add_f64 v[10:11], v[10:11], v[18:19]
	v_add_f64 v[12:13], v[12:13], v[30:31]
	s_delay_alu instid0(VALU_DEP_4) | instskip(NEXT) | instid1(VALU_DEP_4)
	v_fma_f64 v[4:5], v[4:5], v[26:27], v[14:15]
	v_fma_f64 v[2:3], v[2:3], v[26:27], -v[20:21]
	s_delay_alu instid0(VALU_DEP_4) | instskip(NEXT) | instid1(VALU_DEP_4)
	v_add_f64 v[6:7], v[10:11], v[6:7]
	v_add_f64 v[8:9], v[12:13], v[8:9]
	s_delay_alu instid0(VALU_DEP_2) | instskip(NEXT) | instid1(VALU_DEP_2)
	v_add_f64 v[2:3], v[6:7], v[2:3]
	v_add_f64 v[4:5], v[8:9], v[4:5]
	s_waitcnt vmcnt(0)
	s_delay_alu instid0(VALU_DEP_2) | instskip(NEXT) | instid1(VALU_DEP_2)
	v_add_f64 v[2:3], v[34:35], -v[2:3]
	v_add_f64 v[4:5], v[36:37], -v[4:5]
	scratch_store_b128 off, v[2:5], off offset:768
	v_cmpx_lt_u32_e32 47, v154
	s_cbranch_execz .LBB119_255
; %bb.254:
	scratch_load_b128 v[5:8], v244, off
	v_mov_b32_e32 v2, v1
	v_mov_b32_e32 v3, v1
	;; [unrolled: 1-line block ×3, first 2 shown]
	scratch_store_b128 off, v[1:4], off offset:752
	s_waitcnt vmcnt(0)
	ds_store_b128 v210, v[5:8]
.LBB119_255:
	s_or_b32 exec_lo, exec_lo, s2
	s_waitcnt lgkmcnt(0)
	s_waitcnt_vscnt null, 0x0
	s_barrier
	buffer_gl0_inv
	s_clause 0x7
	scratch_load_b128 v[2:5], off, off offset:768
	scratch_load_b128 v[6:9], off, off offset:784
	;; [unrolled: 1-line block ×8, first 2 shown]
	ds_load_b128 v[34:37], v1 offset:1664
	ds_load_b128 v[38:41], v1 offset:1680
	scratch_load_b128 v[167:170], off, off offset:752
	s_mov_b32 s2, exec_lo
	s_waitcnt vmcnt(8) lgkmcnt(1)
	v_mul_f64 v[44:45], v[36:37], v[4:5]
	v_mul_f64 v[4:5], v[34:35], v[4:5]
	s_waitcnt vmcnt(7) lgkmcnt(0)
	v_mul_f64 v[46:47], v[38:39], v[8:9]
	v_mul_f64 v[8:9], v[40:41], v[8:9]
	s_delay_alu instid0(VALU_DEP_4) | instskip(NEXT) | instid1(VALU_DEP_4)
	v_fma_f64 v[44:45], v[34:35], v[2:3], -v[44:45]
	v_fma_f64 v[48:49], v[36:37], v[2:3], v[4:5]
	ds_load_b128 v[2:5], v1 offset:1696
	ds_load_b128 v[34:37], v1 offset:1712
	v_fma_f64 v[40:41], v[40:41], v[6:7], v[46:47]
	v_fma_f64 v[6:7], v[38:39], v[6:7], -v[8:9]
	s_waitcnt vmcnt(6) lgkmcnt(1)
	v_mul_f64 v[156:157], v[2:3], v[12:13]
	v_mul_f64 v[12:13], v[4:5], v[12:13]
	v_add_f64 v[8:9], v[44:45], 0
	v_add_f64 v[38:39], v[48:49], 0
	s_waitcnt vmcnt(5) lgkmcnt(0)
	v_mul_f64 v[44:45], v[34:35], v[16:17]
	v_mul_f64 v[16:17], v[36:37], v[16:17]
	v_fma_f64 v[46:47], v[4:5], v[10:11], v[156:157]
	v_fma_f64 v[10:11], v[2:3], v[10:11], -v[12:13]
	v_add_f64 v[12:13], v[8:9], v[6:7]
	v_add_f64 v[38:39], v[38:39], v[40:41]
	ds_load_b128 v[2:5], v1 offset:1728
	ds_load_b128 v[6:9], v1 offset:1744
	v_fma_f64 v[36:37], v[36:37], v[14:15], v[44:45]
	v_fma_f64 v[14:15], v[34:35], v[14:15], -v[16:17]
	s_waitcnt vmcnt(4) lgkmcnt(1)
	v_mul_f64 v[40:41], v[2:3], v[20:21]
	v_mul_f64 v[20:21], v[4:5], v[20:21]
	s_waitcnt vmcnt(3) lgkmcnt(0)
	v_mul_f64 v[16:17], v[6:7], v[24:25]
	v_mul_f64 v[24:25], v[8:9], v[24:25]
	v_add_f64 v[10:11], v[12:13], v[10:11]
	v_add_f64 v[12:13], v[38:39], v[46:47]
	v_fma_f64 v[34:35], v[4:5], v[18:19], v[40:41]
	v_fma_f64 v[18:19], v[2:3], v[18:19], -v[20:21]
	v_fma_f64 v[8:9], v[8:9], v[22:23], v[16:17]
	v_fma_f64 v[6:7], v[6:7], v[22:23], -v[24:25]
	v_add_f64 v[14:15], v[10:11], v[14:15]
	v_add_f64 v[20:21], v[12:13], v[36:37]
	ds_load_b128 v[2:5], v1 offset:1760
	ds_load_b128 v[10:13], v1 offset:1776
	s_waitcnt vmcnt(2) lgkmcnt(1)
	v_mul_f64 v[36:37], v[2:3], v[28:29]
	v_mul_f64 v[28:29], v[4:5], v[28:29]
	v_add_f64 v[14:15], v[14:15], v[18:19]
	v_add_f64 v[16:17], v[20:21], v[34:35]
	s_waitcnt vmcnt(1) lgkmcnt(0)
	v_mul_f64 v[18:19], v[10:11], v[32:33]
	v_mul_f64 v[20:21], v[12:13], v[32:33]
	v_fma_f64 v[4:5], v[4:5], v[26:27], v[36:37]
	v_fma_f64 v[1:2], v[2:3], v[26:27], -v[28:29]
	v_add_f64 v[6:7], v[14:15], v[6:7]
	v_add_f64 v[8:9], v[16:17], v[8:9]
	v_fma_f64 v[12:13], v[12:13], v[30:31], v[18:19]
	v_fma_f64 v[10:11], v[10:11], v[30:31], -v[20:21]
	s_delay_alu instid0(VALU_DEP_4) | instskip(NEXT) | instid1(VALU_DEP_4)
	v_add_f64 v[1:2], v[6:7], v[1:2]
	v_add_f64 v[3:4], v[8:9], v[4:5]
	s_delay_alu instid0(VALU_DEP_2) | instskip(NEXT) | instid1(VALU_DEP_2)
	v_add_f64 v[1:2], v[1:2], v[10:11]
	v_add_f64 v[3:4], v[3:4], v[12:13]
	s_waitcnt vmcnt(0)
	s_delay_alu instid0(VALU_DEP_2) | instskip(NEXT) | instid1(VALU_DEP_2)
	v_add_f64 v[1:2], v[167:168], -v[1:2]
	v_add_f64 v[3:4], v[169:170], -v[3:4]
	scratch_store_b128 off, v[1:4], off offset:752
	v_cmpx_lt_u32_e32 46, v154
	s_cbranch_execz .LBB119_257
; %bb.256:
	scratch_load_b128 v[1:4], v243, off
	v_mov_b32_e32 v5, 0
	s_delay_alu instid0(VALU_DEP_1)
	v_mov_b32_e32 v6, v5
	v_mov_b32_e32 v7, v5
	;; [unrolled: 1-line block ×3, first 2 shown]
	scratch_store_b128 off, v[5:8], off offset:736
	s_waitcnt vmcnt(0)
	ds_store_b128 v210, v[1:4]
.LBB119_257:
	s_or_b32 exec_lo, exec_lo, s2
	s_waitcnt lgkmcnt(0)
	s_waitcnt_vscnt null, 0x0
	s_barrier
	buffer_gl0_inv
	s_clause 0x7
	scratch_load_b128 v[2:5], off, off offset:752
	scratch_load_b128 v[6:9], off, off offset:768
	;; [unrolled: 1-line block ×8, first 2 shown]
	v_mov_b32_e32 v1, 0
	s_mov_b32 s2, exec_lo
	ds_load_b128 v[34:37], v1 offset:1648
	s_clause 0x1
	scratch_load_b128 v[38:41], off, off offset:880
	scratch_load_b128 v[167:170], off, off offset:736
	ds_load_b128 v[171:174], v1 offset:1664
	s_waitcnt vmcnt(9) lgkmcnt(1)
	v_mul_f64 v[44:45], v[36:37], v[4:5]
	v_mul_f64 v[4:5], v[34:35], v[4:5]
	s_waitcnt vmcnt(8) lgkmcnt(0)
	v_mul_f64 v[46:47], v[171:172], v[8:9]
	v_mul_f64 v[8:9], v[173:174], v[8:9]
	s_delay_alu instid0(VALU_DEP_4) | instskip(NEXT) | instid1(VALU_DEP_4)
	v_fma_f64 v[44:45], v[34:35], v[2:3], -v[44:45]
	v_fma_f64 v[48:49], v[36:37], v[2:3], v[4:5]
	ds_load_b128 v[2:5], v1 offset:1680
	ds_load_b128 v[34:37], v1 offset:1696
	v_fma_f64 v[46:47], v[173:174], v[6:7], v[46:47]
	v_fma_f64 v[6:7], v[171:172], v[6:7], -v[8:9]
	s_waitcnt vmcnt(7) lgkmcnt(1)
	v_mul_f64 v[156:157], v[2:3], v[12:13]
	v_mul_f64 v[12:13], v[4:5], v[12:13]
	v_add_f64 v[8:9], v[44:45], 0
	v_add_f64 v[44:45], v[48:49], 0
	s_waitcnt vmcnt(6) lgkmcnt(0)
	v_mul_f64 v[48:49], v[34:35], v[16:17]
	v_mul_f64 v[16:17], v[36:37], v[16:17]
	v_fma_f64 v[156:157], v[4:5], v[10:11], v[156:157]
	v_fma_f64 v[10:11], v[2:3], v[10:11], -v[12:13]
	v_add_f64 v[12:13], v[8:9], v[6:7]
	v_add_f64 v[44:45], v[44:45], v[46:47]
	ds_load_b128 v[2:5], v1 offset:1712
	ds_load_b128 v[6:9], v1 offset:1728
	v_fma_f64 v[36:37], v[36:37], v[14:15], v[48:49]
	v_fma_f64 v[14:15], v[34:35], v[14:15], -v[16:17]
	s_waitcnt vmcnt(5) lgkmcnt(1)
	v_mul_f64 v[46:47], v[2:3], v[20:21]
	v_mul_f64 v[20:21], v[4:5], v[20:21]
	s_waitcnt vmcnt(4) lgkmcnt(0)
	v_mul_f64 v[16:17], v[6:7], v[24:25]
	v_mul_f64 v[24:25], v[8:9], v[24:25]
	v_add_f64 v[10:11], v[12:13], v[10:11]
	v_add_f64 v[12:13], v[44:45], v[156:157]
	v_fma_f64 v[34:35], v[4:5], v[18:19], v[46:47]
	v_fma_f64 v[18:19], v[2:3], v[18:19], -v[20:21]
	v_fma_f64 v[8:9], v[8:9], v[22:23], v[16:17]
	v_fma_f64 v[6:7], v[6:7], v[22:23], -v[24:25]
	v_add_f64 v[14:15], v[10:11], v[14:15]
	v_add_f64 v[20:21], v[12:13], v[36:37]
	ds_load_b128 v[2:5], v1 offset:1744
	ds_load_b128 v[10:13], v1 offset:1760
	s_waitcnt vmcnt(3) lgkmcnt(1)
	v_mul_f64 v[36:37], v[2:3], v[28:29]
	v_mul_f64 v[28:29], v[4:5], v[28:29]
	v_add_f64 v[14:15], v[14:15], v[18:19]
	v_add_f64 v[16:17], v[20:21], v[34:35]
	s_waitcnt vmcnt(2) lgkmcnt(0)
	v_mul_f64 v[18:19], v[10:11], v[32:33]
	v_mul_f64 v[20:21], v[12:13], v[32:33]
	v_fma_f64 v[22:23], v[4:5], v[26:27], v[36:37]
	v_fma_f64 v[24:25], v[2:3], v[26:27], -v[28:29]
	ds_load_b128 v[2:5], v1 offset:1776
	v_add_f64 v[6:7], v[14:15], v[6:7]
	v_add_f64 v[8:9], v[16:17], v[8:9]
	v_fma_f64 v[12:13], v[12:13], v[30:31], v[18:19]
	v_fma_f64 v[10:11], v[10:11], v[30:31], -v[20:21]
	s_waitcnt vmcnt(1) lgkmcnt(0)
	v_mul_f64 v[14:15], v[2:3], v[40:41]
	v_mul_f64 v[16:17], v[4:5], v[40:41]
	v_add_f64 v[6:7], v[6:7], v[24:25]
	v_add_f64 v[8:9], v[8:9], v[22:23]
	s_delay_alu instid0(VALU_DEP_4) | instskip(NEXT) | instid1(VALU_DEP_4)
	v_fma_f64 v[4:5], v[4:5], v[38:39], v[14:15]
	v_fma_f64 v[2:3], v[2:3], v[38:39], -v[16:17]
	s_delay_alu instid0(VALU_DEP_4) | instskip(NEXT) | instid1(VALU_DEP_4)
	v_add_f64 v[6:7], v[6:7], v[10:11]
	v_add_f64 v[8:9], v[8:9], v[12:13]
	s_delay_alu instid0(VALU_DEP_2) | instskip(NEXT) | instid1(VALU_DEP_2)
	v_add_f64 v[2:3], v[6:7], v[2:3]
	v_add_f64 v[4:5], v[8:9], v[4:5]
	s_waitcnt vmcnt(0)
	s_delay_alu instid0(VALU_DEP_2) | instskip(NEXT) | instid1(VALU_DEP_2)
	v_add_f64 v[2:3], v[167:168], -v[2:3]
	v_add_f64 v[4:5], v[169:170], -v[4:5]
	scratch_store_b128 off, v[2:5], off offset:736
	v_cmpx_lt_u32_e32 45, v154
	s_cbranch_execz .LBB119_259
; %bb.258:
	scratch_load_b128 v[5:8], v238, off
	v_mov_b32_e32 v2, v1
	v_mov_b32_e32 v3, v1
	;; [unrolled: 1-line block ×3, first 2 shown]
	scratch_store_b128 off, v[1:4], off offset:720
	s_waitcnt vmcnt(0)
	ds_store_b128 v210, v[5:8]
.LBB119_259:
	s_or_b32 exec_lo, exec_lo, s2
	s_waitcnt lgkmcnt(0)
	s_waitcnt_vscnt null, 0x0
	s_barrier
	buffer_gl0_inv
	s_clause 0x8
	scratch_load_b128 v[2:5], off, off offset:736
	scratch_load_b128 v[6:9], off, off offset:752
	;; [unrolled: 1-line block ×9, first 2 shown]
	ds_load_b128 v[38:41], v1 offset:1632
	ds_load_b128 v[167:170], v1 offset:1648
	s_clause 0x1
	scratch_load_b128 v[171:174], off, off offset:720
	scratch_load_b128 v[175:178], off, off offset:880
	s_mov_b32 s2, exec_lo
	s_waitcnt vmcnt(10) lgkmcnt(1)
	v_mul_f64 v[44:45], v[40:41], v[4:5]
	v_mul_f64 v[4:5], v[38:39], v[4:5]
	s_waitcnt vmcnt(9) lgkmcnt(0)
	v_mul_f64 v[46:47], v[167:168], v[8:9]
	v_mul_f64 v[8:9], v[169:170], v[8:9]
	s_delay_alu instid0(VALU_DEP_4) | instskip(NEXT) | instid1(VALU_DEP_4)
	v_fma_f64 v[44:45], v[38:39], v[2:3], -v[44:45]
	v_fma_f64 v[48:49], v[40:41], v[2:3], v[4:5]
	ds_load_b128 v[2:5], v1 offset:1664
	ds_load_b128 v[38:41], v1 offset:1680
	v_fma_f64 v[46:47], v[169:170], v[6:7], v[46:47]
	v_fma_f64 v[6:7], v[167:168], v[6:7], -v[8:9]
	s_waitcnt vmcnt(8) lgkmcnt(1)
	v_mul_f64 v[156:157], v[2:3], v[12:13]
	v_mul_f64 v[12:13], v[4:5], v[12:13]
	v_add_f64 v[8:9], v[44:45], 0
	v_add_f64 v[44:45], v[48:49], 0
	s_waitcnt vmcnt(7) lgkmcnt(0)
	v_mul_f64 v[48:49], v[38:39], v[16:17]
	v_mul_f64 v[16:17], v[40:41], v[16:17]
	v_fma_f64 v[156:157], v[4:5], v[10:11], v[156:157]
	v_fma_f64 v[10:11], v[2:3], v[10:11], -v[12:13]
	v_add_f64 v[12:13], v[8:9], v[6:7]
	v_add_f64 v[44:45], v[44:45], v[46:47]
	ds_load_b128 v[2:5], v1 offset:1696
	ds_load_b128 v[6:9], v1 offset:1712
	v_fma_f64 v[40:41], v[40:41], v[14:15], v[48:49]
	v_fma_f64 v[14:15], v[38:39], v[14:15], -v[16:17]
	s_waitcnt vmcnt(6) lgkmcnt(1)
	v_mul_f64 v[46:47], v[2:3], v[20:21]
	v_mul_f64 v[20:21], v[4:5], v[20:21]
	s_waitcnt vmcnt(5) lgkmcnt(0)
	v_mul_f64 v[16:17], v[6:7], v[24:25]
	v_mul_f64 v[24:25], v[8:9], v[24:25]
	v_add_f64 v[10:11], v[12:13], v[10:11]
	v_add_f64 v[12:13], v[44:45], v[156:157]
	v_fma_f64 v[38:39], v[4:5], v[18:19], v[46:47]
	v_fma_f64 v[18:19], v[2:3], v[18:19], -v[20:21]
	v_fma_f64 v[8:9], v[8:9], v[22:23], v[16:17]
	v_fma_f64 v[6:7], v[6:7], v[22:23], -v[24:25]
	v_add_f64 v[14:15], v[10:11], v[14:15]
	v_add_f64 v[20:21], v[12:13], v[40:41]
	ds_load_b128 v[2:5], v1 offset:1728
	ds_load_b128 v[10:13], v1 offset:1744
	s_waitcnt vmcnt(4) lgkmcnt(1)
	v_mul_f64 v[40:41], v[2:3], v[28:29]
	v_mul_f64 v[28:29], v[4:5], v[28:29]
	v_add_f64 v[14:15], v[14:15], v[18:19]
	v_add_f64 v[16:17], v[20:21], v[38:39]
	s_waitcnt vmcnt(3) lgkmcnt(0)
	v_mul_f64 v[18:19], v[10:11], v[32:33]
	v_mul_f64 v[20:21], v[12:13], v[32:33]
	v_fma_f64 v[22:23], v[4:5], v[26:27], v[40:41]
	v_fma_f64 v[24:25], v[2:3], v[26:27], -v[28:29]
	v_add_f64 v[14:15], v[14:15], v[6:7]
	v_add_f64 v[16:17], v[16:17], v[8:9]
	ds_load_b128 v[2:5], v1 offset:1760
	ds_load_b128 v[6:9], v1 offset:1776
	v_fma_f64 v[12:13], v[12:13], v[30:31], v[18:19]
	v_fma_f64 v[10:11], v[10:11], v[30:31], -v[20:21]
	s_waitcnt vmcnt(2) lgkmcnt(1)
	v_mul_f64 v[26:27], v[2:3], v[36:37]
	v_mul_f64 v[28:29], v[4:5], v[36:37]
	s_waitcnt vmcnt(0) lgkmcnt(0)
	v_mul_f64 v[18:19], v[6:7], v[177:178]
	v_mul_f64 v[20:21], v[8:9], v[177:178]
	v_add_f64 v[14:15], v[14:15], v[24:25]
	v_add_f64 v[16:17], v[16:17], v[22:23]
	v_fma_f64 v[4:5], v[4:5], v[34:35], v[26:27]
	v_fma_f64 v[1:2], v[2:3], v[34:35], -v[28:29]
	v_fma_f64 v[8:9], v[8:9], v[175:176], v[18:19]
	v_fma_f64 v[6:7], v[6:7], v[175:176], -v[20:21]
	v_add_f64 v[10:11], v[14:15], v[10:11]
	v_add_f64 v[12:13], v[16:17], v[12:13]
	s_delay_alu instid0(VALU_DEP_2) | instskip(NEXT) | instid1(VALU_DEP_2)
	v_add_f64 v[1:2], v[10:11], v[1:2]
	v_add_f64 v[3:4], v[12:13], v[4:5]
	s_delay_alu instid0(VALU_DEP_2) | instskip(NEXT) | instid1(VALU_DEP_2)
	;; [unrolled: 3-line block ×3, first 2 shown]
	v_add_f64 v[1:2], v[171:172], -v[1:2]
	v_add_f64 v[3:4], v[173:174], -v[3:4]
	scratch_store_b128 off, v[1:4], off offset:720
	v_cmpx_lt_u32_e32 44, v154
	s_cbranch_execz .LBB119_261
; %bb.260:
	scratch_load_b128 v[1:4], v239, off
	v_mov_b32_e32 v5, 0
	s_delay_alu instid0(VALU_DEP_1)
	v_mov_b32_e32 v6, v5
	v_mov_b32_e32 v7, v5
	;; [unrolled: 1-line block ×3, first 2 shown]
	scratch_store_b128 off, v[5:8], off offset:704
	s_waitcnt vmcnt(0)
	ds_store_b128 v210, v[1:4]
.LBB119_261:
	s_or_b32 exec_lo, exec_lo, s2
	s_waitcnt lgkmcnt(0)
	s_waitcnt_vscnt null, 0x0
	s_barrier
	buffer_gl0_inv
	s_clause 0x7
	scratch_load_b128 v[2:5], off, off offset:720
	scratch_load_b128 v[6:9], off, off offset:736
	;; [unrolled: 1-line block ×8, first 2 shown]
	v_mov_b32_e32 v1, 0
	s_mov_b32 s2, exec_lo
	ds_load_b128 v[34:37], v1 offset:1616
	s_clause 0x1
	scratch_load_b128 v[38:41], off, off offset:848
	scratch_load_b128 v[167:170], off, off offset:704
	ds_load_b128 v[171:174], v1 offset:1632
	scratch_load_b128 v[175:178], off, off offset:864
	ds_load_b128 v[179:182], v1 offset:1664
	s_waitcnt vmcnt(10) lgkmcnt(2)
	v_mul_f64 v[44:45], v[36:37], v[4:5]
	v_mul_f64 v[4:5], v[34:35], v[4:5]
	s_delay_alu instid0(VALU_DEP_2) | instskip(NEXT) | instid1(VALU_DEP_2)
	v_fma_f64 v[44:45], v[34:35], v[2:3], -v[44:45]
	v_fma_f64 v[48:49], v[36:37], v[2:3], v[4:5]
	scratch_load_b128 v[34:37], off, off offset:880
	ds_load_b128 v[2:5], v1 offset:1648
	s_waitcnt vmcnt(10) lgkmcnt(2)
	v_mul_f64 v[46:47], v[171:172], v[8:9]
	v_mul_f64 v[8:9], v[173:174], v[8:9]
	s_waitcnt vmcnt(9) lgkmcnt(0)
	v_mul_f64 v[156:157], v[2:3], v[12:13]
	v_mul_f64 v[12:13], v[4:5], v[12:13]
	s_delay_alu instid0(VALU_DEP_4) | instskip(NEXT) | instid1(VALU_DEP_4)
	v_fma_f64 v[46:47], v[173:174], v[6:7], v[46:47]
	v_fma_f64 v[6:7], v[171:172], v[6:7], -v[8:9]
	v_add_f64 v[8:9], v[44:45], 0
	v_add_f64 v[44:45], v[48:49], 0
	s_waitcnt vmcnt(8)
	v_mul_f64 v[48:49], v[179:180], v[16:17]
	v_mul_f64 v[16:17], v[181:182], v[16:17]
	v_fma_f64 v[156:157], v[4:5], v[10:11], v[156:157]
	v_fma_f64 v[10:11], v[2:3], v[10:11], -v[12:13]
	v_add_f64 v[12:13], v[8:9], v[6:7]
	v_add_f64 v[44:45], v[44:45], v[46:47]
	ds_load_b128 v[2:5], v1 offset:1680
	ds_load_b128 v[6:9], v1 offset:1696
	v_fma_f64 v[48:49], v[181:182], v[14:15], v[48:49]
	v_fma_f64 v[14:15], v[179:180], v[14:15], -v[16:17]
	s_waitcnt vmcnt(7) lgkmcnt(1)
	v_mul_f64 v[46:47], v[2:3], v[20:21]
	v_mul_f64 v[20:21], v[4:5], v[20:21]
	s_waitcnt vmcnt(6) lgkmcnt(0)
	v_mul_f64 v[16:17], v[6:7], v[24:25]
	v_mul_f64 v[24:25], v[8:9], v[24:25]
	v_add_f64 v[10:11], v[12:13], v[10:11]
	v_add_f64 v[12:13], v[44:45], v[156:157]
	v_fma_f64 v[44:45], v[4:5], v[18:19], v[46:47]
	v_fma_f64 v[18:19], v[2:3], v[18:19], -v[20:21]
	v_fma_f64 v[8:9], v[8:9], v[22:23], v[16:17]
	v_fma_f64 v[6:7], v[6:7], v[22:23], -v[24:25]
	v_add_f64 v[14:15], v[10:11], v[14:15]
	v_add_f64 v[20:21], v[12:13], v[48:49]
	ds_load_b128 v[2:5], v1 offset:1712
	ds_load_b128 v[10:13], v1 offset:1728
	s_waitcnt vmcnt(5) lgkmcnt(1)
	v_mul_f64 v[46:47], v[2:3], v[28:29]
	v_mul_f64 v[28:29], v[4:5], v[28:29]
	v_add_f64 v[14:15], v[14:15], v[18:19]
	v_add_f64 v[16:17], v[20:21], v[44:45]
	s_waitcnt vmcnt(4) lgkmcnt(0)
	v_mul_f64 v[18:19], v[10:11], v[32:33]
	v_mul_f64 v[20:21], v[12:13], v[32:33]
	v_fma_f64 v[22:23], v[4:5], v[26:27], v[46:47]
	v_fma_f64 v[24:25], v[2:3], v[26:27], -v[28:29]
	v_add_f64 v[14:15], v[14:15], v[6:7]
	v_add_f64 v[16:17], v[16:17], v[8:9]
	ds_load_b128 v[2:5], v1 offset:1744
	ds_load_b128 v[6:9], v1 offset:1760
	v_fma_f64 v[12:13], v[12:13], v[30:31], v[18:19]
	v_fma_f64 v[10:11], v[10:11], v[30:31], -v[20:21]
	s_waitcnt vmcnt(3) lgkmcnt(1)
	v_mul_f64 v[26:27], v[2:3], v[40:41]
	v_mul_f64 v[28:29], v[4:5], v[40:41]
	s_waitcnt vmcnt(1) lgkmcnt(0)
	v_mul_f64 v[18:19], v[6:7], v[177:178]
	v_mul_f64 v[20:21], v[8:9], v[177:178]
	v_add_f64 v[14:15], v[14:15], v[24:25]
	v_add_f64 v[16:17], v[16:17], v[22:23]
	v_fma_f64 v[22:23], v[4:5], v[38:39], v[26:27]
	v_fma_f64 v[24:25], v[2:3], v[38:39], -v[28:29]
	ds_load_b128 v[2:5], v1 offset:1776
	v_fma_f64 v[8:9], v[8:9], v[175:176], v[18:19]
	v_fma_f64 v[6:7], v[6:7], v[175:176], -v[20:21]
	v_add_f64 v[10:11], v[14:15], v[10:11]
	v_add_f64 v[12:13], v[16:17], v[12:13]
	s_waitcnt vmcnt(0) lgkmcnt(0)
	v_mul_f64 v[14:15], v[2:3], v[36:37]
	v_mul_f64 v[16:17], v[4:5], v[36:37]
	s_delay_alu instid0(VALU_DEP_4) | instskip(NEXT) | instid1(VALU_DEP_4)
	v_add_f64 v[10:11], v[10:11], v[24:25]
	v_add_f64 v[12:13], v[12:13], v[22:23]
	s_delay_alu instid0(VALU_DEP_4) | instskip(NEXT) | instid1(VALU_DEP_4)
	v_fma_f64 v[4:5], v[4:5], v[34:35], v[14:15]
	v_fma_f64 v[2:3], v[2:3], v[34:35], -v[16:17]
	s_delay_alu instid0(VALU_DEP_4) | instskip(NEXT) | instid1(VALU_DEP_4)
	v_add_f64 v[6:7], v[10:11], v[6:7]
	v_add_f64 v[8:9], v[12:13], v[8:9]
	s_delay_alu instid0(VALU_DEP_2) | instskip(NEXT) | instid1(VALU_DEP_2)
	v_add_f64 v[2:3], v[6:7], v[2:3]
	v_add_f64 v[4:5], v[8:9], v[4:5]
	s_delay_alu instid0(VALU_DEP_2) | instskip(NEXT) | instid1(VALU_DEP_2)
	v_add_f64 v[2:3], v[167:168], -v[2:3]
	v_add_f64 v[4:5], v[169:170], -v[4:5]
	scratch_store_b128 off, v[2:5], off offset:704
	v_cmpx_lt_u32_e32 43, v154
	s_cbranch_execz .LBB119_263
; %bb.262:
	scratch_load_b128 v[5:8], v241, off
	v_mov_b32_e32 v2, v1
	v_mov_b32_e32 v3, v1
	;; [unrolled: 1-line block ×3, first 2 shown]
	scratch_store_b128 off, v[1:4], off offset:688
	s_waitcnt vmcnt(0)
	ds_store_b128 v210, v[5:8]
.LBB119_263:
	s_or_b32 exec_lo, exec_lo, s2
	s_waitcnt lgkmcnt(0)
	s_waitcnt_vscnt null, 0x0
	s_barrier
	buffer_gl0_inv
	s_clause 0x8
	scratch_load_b128 v[2:5], off, off offset:704
	scratch_load_b128 v[6:9], off, off offset:720
	;; [unrolled: 1-line block ×9, first 2 shown]
	ds_load_b128 v[38:41], v1 offset:1600
	ds_load_b128 v[167:170], v1 offset:1616
	s_clause 0x1
	scratch_load_b128 v[171:174], off, off offset:688
	scratch_load_b128 v[175:178], off, off offset:848
	s_mov_b32 s2, exec_lo
	ds_load_b128 v[179:182], v1 offset:1648
	s_waitcnt vmcnt(10) lgkmcnt(2)
	v_mul_f64 v[44:45], v[40:41], v[4:5]
	v_mul_f64 v[4:5], v[38:39], v[4:5]
	s_waitcnt vmcnt(9) lgkmcnt(1)
	v_mul_f64 v[46:47], v[167:168], v[8:9]
	v_mul_f64 v[8:9], v[169:170], v[8:9]
	s_delay_alu instid0(VALU_DEP_4) | instskip(NEXT) | instid1(VALU_DEP_4)
	v_fma_f64 v[44:45], v[38:39], v[2:3], -v[44:45]
	v_fma_f64 v[48:49], v[40:41], v[2:3], v[4:5]
	ds_load_b128 v[2:5], v1 offset:1632
	scratch_load_b128 v[38:41], off, off offset:864
	v_fma_f64 v[46:47], v[169:170], v[6:7], v[46:47]
	v_fma_f64 v[167:168], v[167:168], v[6:7], -v[8:9]
	scratch_load_b128 v[6:9], off, off offset:880
	s_waitcnt vmcnt(9) lgkmcnt(1)
	v_mul_f64 v[169:170], v[179:180], v[16:17]
	v_mul_f64 v[16:17], v[181:182], v[16:17]
	s_waitcnt lgkmcnt(0)
	v_mul_f64 v[156:157], v[2:3], v[12:13]
	v_mul_f64 v[12:13], v[4:5], v[12:13]
	v_add_f64 v[44:45], v[44:45], 0
	v_add_f64 v[48:49], v[48:49], 0
	s_delay_alu instid0(VALU_DEP_4) | instskip(NEXT) | instid1(VALU_DEP_4)
	v_fma_f64 v[156:157], v[4:5], v[10:11], v[156:157]
	v_fma_f64 v[183:184], v[2:3], v[10:11], -v[12:13]
	ds_load_b128 v[2:5], v1 offset:1664
	ds_load_b128 v[10:13], v1 offset:1680
	v_add_f64 v[44:45], v[44:45], v[167:168]
	v_add_f64 v[46:47], v[48:49], v[46:47]
	v_fma_f64 v[167:168], v[181:182], v[14:15], v[169:170]
	v_fma_f64 v[14:15], v[179:180], v[14:15], -v[16:17]
	s_waitcnt vmcnt(8) lgkmcnt(1)
	v_mul_f64 v[48:49], v[2:3], v[20:21]
	v_mul_f64 v[20:21], v[4:5], v[20:21]
	v_add_f64 v[16:17], v[44:45], v[183:184]
	v_add_f64 v[44:45], v[46:47], v[156:157]
	s_waitcnt vmcnt(7) lgkmcnt(0)
	v_mul_f64 v[46:47], v[10:11], v[24:25]
	v_mul_f64 v[24:25], v[12:13], v[24:25]
	v_fma_f64 v[48:49], v[4:5], v[18:19], v[48:49]
	v_fma_f64 v[18:19], v[2:3], v[18:19], -v[20:21]
	v_add_f64 v[20:21], v[16:17], v[14:15]
	v_add_f64 v[44:45], v[44:45], v[167:168]
	ds_load_b128 v[2:5], v1 offset:1696
	ds_load_b128 v[14:17], v1 offset:1712
	v_fma_f64 v[12:13], v[12:13], v[22:23], v[46:47]
	v_fma_f64 v[10:11], v[10:11], v[22:23], -v[24:25]
	s_waitcnt vmcnt(6) lgkmcnt(1)
	v_mul_f64 v[156:157], v[2:3], v[28:29]
	v_mul_f64 v[28:29], v[4:5], v[28:29]
	s_waitcnt vmcnt(5) lgkmcnt(0)
	v_mul_f64 v[22:23], v[14:15], v[32:33]
	v_mul_f64 v[24:25], v[16:17], v[32:33]
	v_add_f64 v[18:19], v[20:21], v[18:19]
	v_add_f64 v[20:21], v[44:45], v[48:49]
	v_fma_f64 v[32:33], v[4:5], v[26:27], v[156:157]
	v_fma_f64 v[26:27], v[2:3], v[26:27], -v[28:29]
	v_fma_f64 v[16:17], v[16:17], v[30:31], v[22:23]
	v_fma_f64 v[14:15], v[14:15], v[30:31], -v[24:25]
	v_add_f64 v[18:19], v[18:19], v[10:11]
	v_add_f64 v[20:21], v[20:21], v[12:13]
	ds_load_b128 v[2:5], v1 offset:1728
	ds_load_b128 v[10:13], v1 offset:1744
	s_waitcnt vmcnt(4) lgkmcnt(1)
	v_mul_f64 v[28:29], v[2:3], v[36:37]
	v_mul_f64 v[36:37], v[4:5], v[36:37]
	s_waitcnt vmcnt(2) lgkmcnt(0)
	v_mul_f64 v[22:23], v[10:11], v[177:178]
	v_mul_f64 v[24:25], v[12:13], v[177:178]
	v_add_f64 v[18:19], v[18:19], v[26:27]
	v_add_f64 v[20:21], v[20:21], v[32:33]
	v_fma_f64 v[26:27], v[4:5], v[34:35], v[28:29]
	v_fma_f64 v[28:29], v[2:3], v[34:35], -v[36:37]
	v_fma_f64 v[12:13], v[12:13], v[175:176], v[22:23]
	v_fma_f64 v[10:11], v[10:11], v[175:176], -v[24:25]
	v_add_f64 v[18:19], v[18:19], v[14:15]
	v_add_f64 v[20:21], v[20:21], v[16:17]
	ds_load_b128 v[2:5], v1 offset:1760
	ds_load_b128 v[14:17], v1 offset:1776
	s_waitcnt vmcnt(1) lgkmcnt(1)
	v_mul_f64 v[30:31], v[2:3], v[40:41]
	v_mul_f64 v[32:33], v[4:5], v[40:41]
	s_waitcnt vmcnt(0) lgkmcnt(0)
	v_mul_f64 v[22:23], v[14:15], v[8:9]
	v_mul_f64 v[8:9], v[16:17], v[8:9]
	v_add_f64 v[18:19], v[18:19], v[28:29]
	v_add_f64 v[20:21], v[20:21], v[26:27]
	v_fma_f64 v[4:5], v[4:5], v[38:39], v[30:31]
	v_fma_f64 v[1:2], v[2:3], v[38:39], -v[32:33]
	v_fma_f64 v[16:17], v[16:17], v[6:7], v[22:23]
	v_fma_f64 v[6:7], v[14:15], v[6:7], -v[8:9]
	v_add_f64 v[10:11], v[18:19], v[10:11]
	v_add_f64 v[12:13], v[20:21], v[12:13]
	s_delay_alu instid0(VALU_DEP_2) | instskip(NEXT) | instid1(VALU_DEP_2)
	v_add_f64 v[1:2], v[10:11], v[1:2]
	v_add_f64 v[3:4], v[12:13], v[4:5]
	s_delay_alu instid0(VALU_DEP_2) | instskip(NEXT) | instid1(VALU_DEP_2)
	;; [unrolled: 3-line block ×3, first 2 shown]
	v_add_f64 v[1:2], v[171:172], -v[1:2]
	v_add_f64 v[3:4], v[173:174], -v[3:4]
	scratch_store_b128 off, v[1:4], off offset:688
	v_cmpx_lt_u32_e32 42, v154
	s_cbranch_execz .LBB119_265
; %bb.264:
	scratch_load_b128 v[1:4], v240, off
	v_mov_b32_e32 v5, 0
	s_delay_alu instid0(VALU_DEP_1)
	v_mov_b32_e32 v6, v5
	v_mov_b32_e32 v7, v5
	;; [unrolled: 1-line block ×3, first 2 shown]
	scratch_store_b128 off, v[5:8], off offset:672
	s_waitcnt vmcnt(0)
	ds_store_b128 v210, v[1:4]
.LBB119_265:
	s_or_b32 exec_lo, exec_lo, s2
	s_waitcnt lgkmcnt(0)
	s_waitcnt_vscnt null, 0x0
	s_barrier
	buffer_gl0_inv
	s_clause 0x7
	scratch_load_b128 v[2:5], off, off offset:688
	scratch_load_b128 v[6:9], off, off offset:704
	;; [unrolled: 1-line block ×8, first 2 shown]
	v_mov_b32_e32 v1, 0
	s_clause 0x1
	scratch_load_b128 v[38:41], off, off offset:816
	scratch_load_b128 v[171:174], off, off offset:832
	s_mov_b32 s2, exec_lo
	ds_load_b128 v[34:37], v1 offset:1584
	ds_load_b128 v[167:170], v1 offset:1600
	s_waitcnt vmcnt(9) lgkmcnt(1)
	v_mul_f64 v[44:45], v[36:37], v[4:5]
	v_mul_f64 v[4:5], v[34:35], v[4:5]
	s_waitcnt vmcnt(8) lgkmcnt(0)
	v_mul_f64 v[46:47], v[167:168], v[8:9]
	v_mul_f64 v[8:9], v[169:170], v[8:9]
	s_delay_alu instid0(VALU_DEP_4) | instskip(NEXT) | instid1(VALU_DEP_4)
	v_fma_f64 v[44:45], v[34:35], v[2:3], -v[44:45]
	v_fma_f64 v[48:49], v[36:37], v[2:3], v[4:5]
	ds_load_b128 v[2:5], v1 offset:1616
	scratch_load_b128 v[34:37], off, off offset:848
	v_fma_f64 v[46:47], v[169:170], v[6:7], v[46:47]
	v_fma_f64 v[175:176], v[167:168], v[6:7], -v[8:9]
	ds_load_b128 v[6:9], v1 offset:1632
	scratch_load_b128 v[167:170], off, off offset:864
	s_waitcnt vmcnt(9) lgkmcnt(1)
	v_mul_f64 v[156:157], v[2:3], v[12:13]
	v_mul_f64 v[12:13], v[4:5], v[12:13]
	s_waitcnt vmcnt(8) lgkmcnt(0)
	v_mul_f64 v[177:178], v[6:7], v[16:17]
	v_mul_f64 v[16:17], v[8:9], v[16:17]
	v_add_f64 v[44:45], v[44:45], 0
	v_add_f64 v[48:49], v[48:49], 0
	v_fma_f64 v[156:157], v[4:5], v[10:11], v[156:157]
	v_fma_f64 v[179:180], v[2:3], v[10:11], -v[12:13]
	scratch_load_b128 v[10:13], off, off offset:880
	ds_load_b128 v[2:5], v1 offset:1648
	v_add_f64 v[44:45], v[44:45], v[175:176]
	v_add_f64 v[46:47], v[48:49], v[46:47]
	v_fma_f64 v[175:176], v[8:9], v[14:15], v[177:178]
	v_fma_f64 v[14:15], v[6:7], v[14:15], -v[16:17]
	ds_load_b128 v[6:9], v1 offset:1664
	s_waitcnt vmcnt(8) lgkmcnt(1)
	v_mul_f64 v[48:49], v[2:3], v[20:21]
	v_mul_f64 v[20:21], v[4:5], v[20:21]
	v_add_f64 v[16:17], v[44:45], v[179:180]
	v_add_f64 v[44:45], v[46:47], v[156:157]
	s_waitcnt vmcnt(7) lgkmcnt(0)
	v_mul_f64 v[46:47], v[6:7], v[24:25]
	v_mul_f64 v[24:25], v[8:9], v[24:25]
	v_fma_f64 v[48:49], v[4:5], v[18:19], v[48:49]
	v_fma_f64 v[18:19], v[2:3], v[18:19], -v[20:21]
	ds_load_b128 v[2:5], v1 offset:1680
	v_add_f64 v[14:15], v[16:17], v[14:15]
	v_add_f64 v[16:17], v[44:45], v[175:176]
	v_fma_f64 v[44:45], v[8:9], v[22:23], v[46:47]
	v_fma_f64 v[22:23], v[6:7], v[22:23], -v[24:25]
	ds_load_b128 v[6:9], v1 offset:1696
	s_waitcnt vmcnt(6) lgkmcnt(1)
	v_mul_f64 v[20:21], v[2:3], v[28:29]
	v_mul_f64 v[28:29], v[4:5], v[28:29]
	s_waitcnt vmcnt(5) lgkmcnt(0)
	v_mul_f64 v[46:47], v[6:7], v[32:33]
	v_mul_f64 v[32:33], v[8:9], v[32:33]
	v_add_f64 v[18:19], v[14:15], v[18:19]
	v_add_f64 v[24:25], v[16:17], v[48:49]
	scratch_load_b128 v[14:17], off, off offset:672
	v_fma_f64 v[20:21], v[4:5], v[26:27], v[20:21]
	v_fma_f64 v[26:27], v[2:3], v[26:27], -v[28:29]
	ds_load_b128 v[2:5], v1 offset:1712
	s_waitcnt vmcnt(5) lgkmcnt(0)
	v_mul_f64 v[28:29], v[4:5], v[40:41]
	v_add_f64 v[18:19], v[18:19], v[22:23]
	v_add_f64 v[22:23], v[24:25], v[44:45]
	v_mul_f64 v[24:25], v[2:3], v[40:41]
	v_fma_f64 v[40:41], v[8:9], v[30:31], v[46:47]
	v_fma_f64 v[30:31], v[6:7], v[30:31], -v[32:33]
	ds_load_b128 v[6:9], v1 offset:1728
	v_fma_f64 v[28:29], v[2:3], v[38:39], -v[28:29]
	v_add_f64 v[18:19], v[18:19], v[26:27]
	v_add_f64 v[20:21], v[22:23], v[20:21]
	v_fma_f64 v[24:25], v[4:5], v[38:39], v[24:25]
	ds_load_b128 v[2:5], v1 offset:1744
	s_waitcnt vmcnt(4) lgkmcnt(1)
	v_mul_f64 v[22:23], v[6:7], v[173:174]
	v_mul_f64 v[26:27], v[8:9], v[173:174]
	v_add_f64 v[18:19], v[18:19], v[30:31]
	v_add_f64 v[20:21], v[20:21], v[40:41]
	s_delay_alu instid0(VALU_DEP_4) | instskip(NEXT) | instid1(VALU_DEP_4)
	v_fma_f64 v[22:23], v[8:9], v[171:172], v[22:23]
	v_fma_f64 v[26:27], v[6:7], v[171:172], -v[26:27]
	ds_load_b128 v[6:9], v1 offset:1760
	s_waitcnt vmcnt(3) lgkmcnt(1)
	v_mul_f64 v[30:31], v[2:3], v[36:37]
	v_mul_f64 v[32:33], v[4:5], v[36:37]
	v_add_f64 v[18:19], v[18:19], v[28:29]
	v_add_f64 v[20:21], v[20:21], v[24:25]
	s_delay_alu instid0(VALU_DEP_4) | instskip(NEXT) | instid1(VALU_DEP_4)
	v_fma_f64 v[30:31], v[4:5], v[34:35], v[30:31]
	v_fma_f64 v[32:33], v[2:3], v[34:35], -v[32:33]
	ds_load_b128 v[2:5], v1 offset:1776
	s_waitcnt vmcnt(2) lgkmcnt(1)
	v_mul_f64 v[24:25], v[6:7], v[169:170]
	v_mul_f64 v[28:29], v[8:9], v[169:170]
	v_add_f64 v[18:19], v[18:19], v[26:27]
	v_add_f64 v[20:21], v[20:21], v[22:23]
	s_waitcnt vmcnt(1) lgkmcnt(0)
	v_mul_f64 v[22:23], v[2:3], v[12:13]
	v_mul_f64 v[12:13], v[4:5], v[12:13]
	v_fma_f64 v[8:9], v[8:9], v[167:168], v[24:25]
	v_fma_f64 v[6:7], v[6:7], v[167:168], -v[28:29]
	v_add_f64 v[18:19], v[18:19], v[32:33]
	v_add_f64 v[20:21], v[20:21], v[30:31]
	v_fma_f64 v[4:5], v[4:5], v[10:11], v[22:23]
	v_fma_f64 v[2:3], v[2:3], v[10:11], -v[12:13]
	s_delay_alu instid0(VALU_DEP_4) | instskip(NEXT) | instid1(VALU_DEP_4)
	v_add_f64 v[6:7], v[18:19], v[6:7]
	v_add_f64 v[8:9], v[20:21], v[8:9]
	s_delay_alu instid0(VALU_DEP_2) | instskip(NEXT) | instid1(VALU_DEP_2)
	v_add_f64 v[2:3], v[6:7], v[2:3]
	v_add_f64 v[4:5], v[8:9], v[4:5]
	s_waitcnt vmcnt(0)
	s_delay_alu instid0(VALU_DEP_2) | instskip(NEXT) | instid1(VALU_DEP_2)
	v_add_f64 v[2:3], v[14:15], -v[2:3]
	v_add_f64 v[4:5], v[16:17], -v[4:5]
	scratch_store_b128 off, v[2:5], off offset:672
	v_cmpx_lt_u32_e32 41, v154
	s_cbranch_execz .LBB119_267
; %bb.266:
	scratch_load_b128 v[5:8], v234, off
	v_mov_b32_e32 v2, v1
	v_mov_b32_e32 v3, v1
	;; [unrolled: 1-line block ×3, first 2 shown]
	scratch_store_b128 off, v[1:4], off offset:656
	s_waitcnt vmcnt(0)
	ds_store_b128 v210, v[5:8]
.LBB119_267:
	s_or_b32 exec_lo, exec_lo, s2
	s_waitcnt lgkmcnt(0)
	s_waitcnt_vscnt null, 0x0
	s_barrier
	buffer_gl0_inv
	s_clause 0x7
	scratch_load_b128 v[2:5], off, off offset:672
	scratch_load_b128 v[6:9], off, off offset:688
	;; [unrolled: 1-line block ×8, first 2 shown]
	ds_load_b128 v[34:37], v1 offset:1568
	ds_load_b128 v[167:170], v1 offset:1584
	s_clause 0x1
	scratch_load_b128 v[38:41], off, off offset:800
	scratch_load_b128 v[171:174], off, off offset:816
	s_mov_b32 s2, exec_lo
	s_waitcnt vmcnt(9) lgkmcnt(1)
	v_mul_f64 v[44:45], v[36:37], v[4:5]
	v_mul_f64 v[4:5], v[34:35], v[4:5]
	s_waitcnt vmcnt(8) lgkmcnt(0)
	v_mul_f64 v[46:47], v[167:168], v[8:9]
	v_mul_f64 v[8:9], v[169:170], v[8:9]
	s_delay_alu instid0(VALU_DEP_4) | instskip(NEXT) | instid1(VALU_DEP_4)
	v_fma_f64 v[44:45], v[34:35], v[2:3], -v[44:45]
	v_fma_f64 v[48:49], v[36:37], v[2:3], v[4:5]
	scratch_load_b128 v[34:37], off, off offset:832
	ds_load_b128 v[2:5], v1 offset:1600
	v_fma_f64 v[46:47], v[169:170], v[6:7], v[46:47]
	v_fma_f64 v[175:176], v[167:168], v[6:7], -v[8:9]
	ds_load_b128 v[6:9], v1 offset:1616
	scratch_load_b128 v[167:170], off, off offset:848
	s_waitcnt vmcnt(9) lgkmcnt(1)
	v_mul_f64 v[156:157], v[2:3], v[12:13]
	v_mul_f64 v[12:13], v[4:5], v[12:13]
	s_waitcnt vmcnt(8) lgkmcnt(0)
	v_mul_f64 v[177:178], v[6:7], v[16:17]
	v_mul_f64 v[16:17], v[8:9], v[16:17]
	v_add_f64 v[44:45], v[44:45], 0
	v_add_f64 v[48:49], v[48:49], 0
	v_fma_f64 v[156:157], v[4:5], v[10:11], v[156:157]
	v_fma_f64 v[179:180], v[2:3], v[10:11], -v[12:13]
	scratch_load_b128 v[10:13], off, off offset:864
	ds_load_b128 v[2:5], v1 offset:1632
	v_add_f64 v[44:45], v[44:45], v[175:176]
	v_add_f64 v[46:47], v[48:49], v[46:47]
	v_fma_f64 v[175:176], v[8:9], v[14:15], v[177:178]
	v_fma_f64 v[177:178], v[6:7], v[14:15], -v[16:17]
	ds_load_b128 v[6:9], v1 offset:1648
	scratch_load_b128 v[14:17], off, off offset:880
	s_waitcnt vmcnt(9) lgkmcnt(1)
	v_mul_f64 v[48:49], v[2:3], v[20:21]
	v_mul_f64 v[20:21], v[4:5], v[20:21]
	v_add_f64 v[44:45], v[44:45], v[179:180]
	v_add_f64 v[46:47], v[46:47], v[156:157]
	s_waitcnt vmcnt(8) lgkmcnt(0)
	v_mul_f64 v[156:157], v[6:7], v[24:25]
	v_mul_f64 v[24:25], v[8:9], v[24:25]
	v_fma_f64 v[48:49], v[4:5], v[18:19], v[48:49]
	v_fma_f64 v[18:19], v[2:3], v[18:19], -v[20:21]
	ds_load_b128 v[2:5], v1 offset:1664
	v_add_f64 v[20:21], v[44:45], v[177:178]
	v_add_f64 v[44:45], v[46:47], v[175:176]
	v_fma_f64 v[156:157], v[8:9], v[22:23], v[156:157]
	v_fma_f64 v[22:23], v[6:7], v[22:23], -v[24:25]
	ds_load_b128 v[6:9], v1 offset:1680
	s_waitcnt vmcnt(7) lgkmcnt(1)
	v_mul_f64 v[46:47], v[2:3], v[28:29]
	v_mul_f64 v[28:29], v[4:5], v[28:29]
	s_waitcnt vmcnt(6) lgkmcnt(0)
	v_mul_f64 v[24:25], v[6:7], v[32:33]
	v_mul_f64 v[32:33], v[8:9], v[32:33]
	v_add_f64 v[18:19], v[20:21], v[18:19]
	v_add_f64 v[20:21], v[44:45], v[48:49]
	v_fma_f64 v[44:45], v[4:5], v[26:27], v[46:47]
	v_fma_f64 v[26:27], v[2:3], v[26:27], -v[28:29]
	ds_load_b128 v[2:5], v1 offset:1696
	v_fma_f64 v[24:25], v[8:9], v[30:31], v[24:25]
	v_fma_f64 v[30:31], v[6:7], v[30:31], -v[32:33]
	ds_load_b128 v[6:9], v1 offset:1712
	v_add_f64 v[22:23], v[18:19], v[22:23]
	v_add_f64 v[28:29], v[20:21], v[156:157]
	scratch_load_b128 v[18:21], off, off offset:656
	s_waitcnt vmcnt(6) lgkmcnt(1)
	v_mul_f64 v[46:47], v[2:3], v[40:41]
	v_mul_f64 v[40:41], v[4:5], v[40:41]
	s_waitcnt vmcnt(5) lgkmcnt(0)
	v_mul_f64 v[32:33], v[8:9], v[173:174]
	v_add_f64 v[22:23], v[22:23], v[26:27]
	v_add_f64 v[26:27], v[28:29], v[44:45]
	v_mul_f64 v[28:29], v[6:7], v[173:174]
	v_fma_f64 v[44:45], v[4:5], v[38:39], v[46:47]
	v_fma_f64 v[38:39], v[2:3], v[38:39], -v[40:41]
	ds_load_b128 v[2:5], v1 offset:1728
	v_fma_f64 v[32:33], v[6:7], v[171:172], -v[32:33]
	v_add_f64 v[22:23], v[22:23], v[30:31]
	v_add_f64 v[24:25], v[26:27], v[24:25]
	v_fma_f64 v[28:29], v[8:9], v[171:172], v[28:29]
	ds_load_b128 v[6:9], v1 offset:1744
	s_waitcnt vmcnt(4) lgkmcnt(1)
	v_mul_f64 v[26:27], v[2:3], v[36:37]
	v_mul_f64 v[30:31], v[4:5], v[36:37]
	s_waitcnt vmcnt(3) lgkmcnt(0)
	v_mul_f64 v[36:37], v[6:7], v[169:170]
	v_add_f64 v[22:23], v[22:23], v[38:39]
	v_add_f64 v[24:25], v[24:25], v[44:45]
	v_mul_f64 v[38:39], v[8:9], v[169:170]
	v_fma_f64 v[26:27], v[4:5], v[34:35], v[26:27]
	v_fma_f64 v[30:31], v[2:3], v[34:35], -v[30:31]
	ds_load_b128 v[2:5], v1 offset:1760
	v_add_f64 v[22:23], v[22:23], v[32:33]
	v_add_f64 v[24:25], v[24:25], v[28:29]
	v_fma_f64 v[32:33], v[8:9], v[167:168], v[36:37]
	v_fma_f64 v[34:35], v[6:7], v[167:168], -v[38:39]
	ds_load_b128 v[6:9], v1 offset:1776
	s_waitcnt vmcnt(2) lgkmcnt(1)
	v_mul_f64 v[28:29], v[2:3], v[12:13]
	v_mul_f64 v[12:13], v[4:5], v[12:13]
	v_add_f64 v[22:23], v[22:23], v[30:31]
	v_add_f64 v[24:25], v[24:25], v[26:27]
	s_waitcnt vmcnt(1) lgkmcnt(0)
	v_mul_f64 v[26:27], v[6:7], v[16:17]
	v_mul_f64 v[16:17], v[8:9], v[16:17]
	v_fma_f64 v[4:5], v[4:5], v[10:11], v[28:29]
	v_fma_f64 v[1:2], v[2:3], v[10:11], -v[12:13]
	v_add_f64 v[10:11], v[22:23], v[34:35]
	v_add_f64 v[12:13], v[24:25], v[32:33]
	v_fma_f64 v[8:9], v[8:9], v[14:15], v[26:27]
	v_fma_f64 v[6:7], v[6:7], v[14:15], -v[16:17]
	s_delay_alu instid0(VALU_DEP_4) | instskip(NEXT) | instid1(VALU_DEP_4)
	v_add_f64 v[1:2], v[10:11], v[1:2]
	v_add_f64 v[3:4], v[12:13], v[4:5]
	s_delay_alu instid0(VALU_DEP_2) | instskip(NEXT) | instid1(VALU_DEP_2)
	v_add_f64 v[1:2], v[1:2], v[6:7]
	v_add_f64 v[3:4], v[3:4], v[8:9]
	s_waitcnt vmcnt(0)
	s_delay_alu instid0(VALU_DEP_2) | instskip(NEXT) | instid1(VALU_DEP_2)
	v_add_f64 v[1:2], v[18:19], -v[1:2]
	v_add_f64 v[3:4], v[20:21], -v[3:4]
	scratch_store_b128 off, v[1:4], off offset:656
	v_cmpx_lt_u32_e32 40, v154
	s_cbranch_execz .LBB119_269
; %bb.268:
	scratch_load_b128 v[1:4], v235, off
	v_mov_b32_e32 v5, 0
	s_delay_alu instid0(VALU_DEP_1)
	v_mov_b32_e32 v6, v5
	v_mov_b32_e32 v7, v5
	;; [unrolled: 1-line block ×3, first 2 shown]
	scratch_store_b128 off, v[5:8], off offset:640
	s_waitcnt vmcnt(0)
	ds_store_b128 v210, v[1:4]
.LBB119_269:
	s_or_b32 exec_lo, exec_lo, s2
	s_waitcnt lgkmcnt(0)
	s_waitcnt_vscnt null, 0x0
	s_barrier
	buffer_gl0_inv
	s_clause 0x7
	scratch_load_b128 v[2:5], off, off offset:656
	scratch_load_b128 v[6:9], off, off offset:672
	;; [unrolled: 1-line block ×8, first 2 shown]
	v_mov_b32_e32 v1, 0
	s_clause 0x1
	scratch_load_b128 v[38:41], off, off offset:784
	scratch_load_b128 v[171:174], off, off offset:800
	s_mov_b32 s2, exec_lo
	ds_load_b128 v[34:37], v1 offset:1552
	ds_load_b128 v[167:170], v1 offset:1568
	s_waitcnt vmcnt(9) lgkmcnt(1)
	v_mul_f64 v[44:45], v[36:37], v[4:5]
	v_mul_f64 v[4:5], v[34:35], v[4:5]
	s_waitcnt vmcnt(8) lgkmcnt(0)
	v_mul_f64 v[46:47], v[167:168], v[8:9]
	v_mul_f64 v[8:9], v[169:170], v[8:9]
	s_delay_alu instid0(VALU_DEP_4) | instskip(NEXT) | instid1(VALU_DEP_4)
	v_fma_f64 v[44:45], v[34:35], v[2:3], -v[44:45]
	v_fma_f64 v[48:49], v[36:37], v[2:3], v[4:5]
	ds_load_b128 v[2:5], v1 offset:1584
	scratch_load_b128 v[34:37], off, off offset:816
	v_fma_f64 v[46:47], v[169:170], v[6:7], v[46:47]
	v_fma_f64 v[175:176], v[167:168], v[6:7], -v[8:9]
	ds_load_b128 v[6:9], v1 offset:1600
	scratch_load_b128 v[167:170], off, off offset:832
	s_waitcnt vmcnt(9) lgkmcnt(1)
	v_mul_f64 v[156:157], v[2:3], v[12:13]
	v_mul_f64 v[12:13], v[4:5], v[12:13]
	s_waitcnt vmcnt(8) lgkmcnt(0)
	v_mul_f64 v[177:178], v[6:7], v[16:17]
	v_mul_f64 v[16:17], v[8:9], v[16:17]
	v_add_f64 v[44:45], v[44:45], 0
	v_add_f64 v[48:49], v[48:49], 0
	v_fma_f64 v[156:157], v[4:5], v[10:11], v[156:157]
	v_fma_f64 v[179:180], v[2:3], v[10:11], -v[12:13]
	scratch_load_b128 v[10:13], off, off offset:848
	ds_load_b128 v[2:5], v1 offset:1616
	v_add_f64 v[44:45], v[44:45], v[175:176]
	v_add_f64 v[46:47], v[48:49], v[46:47]
	v_fma_f64 v[175:176], v[8:9], v[14:15], v[177:178]
	v_fma_f64 v[177:178], v[6:7], v[14:15], -v[16:17]
	ds_load_b128 v[6:9], v1 offset:1632
	scratch_load_b128 v[14:17], off, off offset:864
	s_waitcnt vmcnt(9) lgkmcnt(1)
	v_mul_f64 v[48:49], v[2:3], v[20:21]
	v_mul_f64 v[20:21], v[4:5], v[20:21]
	v_add_f64 v[44:45], v[44:45], v[179:180]
	v_add_f64 v[46:47], v[46:47], v[156:157]
	s_waitcnt vmcnt(8) lgkmcnt(0)
	v_mul_f64 v[156:157], v[6:7], v[24:25]
	v_mul_f64 v[24:25], v[8:9], v[24:25]
	v_fma_f64 v[48:49], v[4:5], v[18:19], v[48:49]
	v_fma_f64 v[179:180], v[2:3], v[18:19], -v[20:21]
	scratch_load_b128 v[18:21], off, off offset:880
	ds_load_b128 v[2:5], v1 offset:1648
	v_add_f64 v[44:45], v[44:45], v[177:178]
	v_add_f64 v[46:47], v[46:47], v[175:176]
	v_fma_f64 v[156:157], v[8:9], v[22:23], v[156:157]
	v_fma_f64 v[22:23], v[6:7], v[22:23], -v[24:25]
	ds_load_b128 v[6:9], v1 offset:1664
	s_waitcnt vmcnt(8) lgkmcnt(1)
	v_mul_f64 v[175:176], v[2:3], v[28:29]
	v_mul_f64 v[28:29], v[4:5], v[28:29]
	v_add_f64 v[24:25], v[44:45], v[179:180]
	v_add_f64 v[44:45], v[46:47], v[48:49]
	s_waitcnt vmcnt(7) lgkmcnt(0)
	v_mul_f64 v[46:47], v[6:7], v[32:33]
	v_mul_f64 v[32:33], v[8:9], v[32:33]
	v_fma_f64 v[48:49], v[4:5], v[26:27], v[175:176]
	v_fma_f64 v[26:27], v[2:3], v[26:27], -v[28:29]
	ds_load_b128 v[2:5], v1 offset:1680
	v_add_f64 v[22:23], v[24:25], v[22:23]
	v_add_f64 v[24:25], v[44:45], v[156:157]
	v_fma_f64 v[44:45], v[8:9], v[30:31], v[46:47]
	v_fma_f64 v[30:31], v[6:7], v[30:31], -v[32:33]
	ds_load_b128 v[6:9], v1 offset:1696
	s_waitcnt vmcnt(5) lgkmcnt(0)
	v_mul_f64 v[46:47], v[6:7], v[173:174]
	v_add_f64 v[26:27], v[22:23], v[26:27]
	v_add_f64 v[32:33], v[24:25], v[48:49]
	scratch_load_b128 v[22:25], off, off offset:640
	v_mul_f64 v[28:29], v[2:3], v[40:41]
	v_mul_f64 v[40:41], v[4:5], v[40:41]
	;; [unrolled: 1-line block ×3, first 2 shown]
	v_add_f64 v[26:27], v[26:27], v[30:31]
	v_add_f64 v[30:31], v[32:33], v[44:45]
	v_fma_f64 v[28:29], v[4:5], v[38:39], v[28:29]
	v_fma_f64 v[38:39], v[2:3], v[38:39], -v[40:41]
	ds_load_b128 v[2:5], v1 offset:1712
	v_fma_f64 v[40:41], v[8:9], v[171:172], v[46:47]
	v_fma_f64 v[44:45], v[6:7], v[171:172], -v[48:49]
	ds_load_b128 v[6:9], v1 offset:1728
	s_waitcnt vmcnt(5) lgkmcnt(1)
	v_mul_f64 v[32:33], v[2:3], v[36:37]
	v_mul_f64 v[36:37], v[4:5], v[36:37]
	v_add_f64 v[28:29], v[30:31], v[28:29]
	v_add_f64 v[26:27], v[26:27], v[38:39]
	s_waitcnt vmcnt(4) lgkmcnt(0)
	v_mul_f64 v[30:31], v[6:7], v[169:170]
	v_mul_f64 v[38:39], v[8:9], v[169:170]
	v_fma_f64 v[32:33], v[4:5], v[34:35], v[32:33]
	v_fma_f64 v[34:35], v[2:3], v[34:35], -v[36:37]
	ds_load_b128 v[2:5], v1 offset:1744
	v_add_f64 v[28:29], v[28:29], v[40:41]
	v_add_f64 v[26:27], v[26:27], v[44:45]
	v_fma_f64 v[30:31], v[8:9], v[167:168], v[30:31]
	v_fma_f64 v[38:39], v[6:7], v[167:168], -v[38:39]
	ds_load_b128 v[6:9], v1 offset:1760
	s_waitcnt vmcnt(3) lgkmcnt(1)
	v_mul_f64 v[36:37], v[2:3], v[12:13]
	v_mul_f64 v[12:13], v[4:5], v[12:13]
	v_add_f64 v[28:29], v[28:29], v[32:33]
	v_add_f64 v[26:27], v[26:27], v[34:35]
	s_waitcnt vmcnt(2) lgkmcnt(0)
	v_mul_f64 v[32:33], v[6:7], v[16:17]
	v_mul_f64 v[16:17], v[8:9], v[16:17]
	v_fma_f64 v[34:35], v[4:5], v[10:11], v[36:37]
	v_fma_f64 v[10:11], v[2:3], v[10:11], -v[12:13]
	ds_load_b128 v[2:5], v1 offset:1776
	v_add_f64 v[12:13], v[26:27], v[38:39]
	v_add_f64 v[26:27], v[28:29], v[30:31]
	s_waitcnt vmcnt(1) lgkmcnt(0)
	v_mul_f64 v[28:29], v[2:3], v[20:21]
	v_mul_f64 v[20:21], v[4:5], v[20:21]
	v_fma_f64 v[8:9], v[8:9], v[14:15], v[32:33]
	v_fma_f64 v[6:7], v[6:7], v[14:15], -v[16:17]
	v_add_f64 v[10:11], v[12:13], v[10:11]
	v_add_f64 v[12:13], v[26:27], v[34:35]
	v_fma_f64 v[4:5], v[4:5], v[18:19], v[28:29]
	v_fma_f64 v[2:3], v[2:3], v[18:19], -v[20:21]
	s_delay_alu instid0(VALU_DEP_4) | instskip(NEXT) | instid1(VALU_DEP_4)
	v_add_f64 v[6:7], v[10:11], v[6:7]
	v_add_f64 v[8:9], v[12:13], v[8:9]
	s_delay_alu instid0(VALU_DEP_2) | instskip(NEXT) | instid1(VALU_DEP_2)
	v_add_f64 v[2:3], v[6:7], v[2:3]
	v_add_f64 v[4:5], v[8:9], v[4:5]
	s_waitcnt vmcnt(0)
	s_delay_alu instid0(VALU_DEP_2) | instskip(NEXT) | instid1(VALU_DEP_2)
	v_add_f64 v[2:3], v[22:23], -v[2:3]
	v_add_f64 v[4:5], v[24:25], -v[4:5]
	scratch_store_b128 off, v[2:5], off offset:640
	v_cmpx_lt_u32_e32 39, v154
	s_cbranch_execz .LBB119_271
; %bb.270:
	scratch_load_b128 v[5:8], v237, off
	v_mov_b32_e32 v2, v1
	v_mov_b32_e32 v3, v1
	;; [unrolled: 1-line block ×3, first 2 shown]
	scratch_store_b128 off, v[1:4], off offset:624
	s_waitcnt vmcnt(0)
	ds_store_b128 v210, v[5:8]
.LBB119_271:
	s_or_b32 exec_lo, exec_lo, s2
	s_waitcnt lgkmcnt(0)
	s_waitcnt_vscnt null, 0x0
	s_barrier
	buffer_gl0_inv
	s_clause 0x7
	scratch_load_b128 v[2:5], off, off offset:640
	scratch_load_b128 v[6:9], off, off offset:656
	;; [unrolled: 1-line block ×8, first 2 shown]
	ds_load_b128 v[34:37], v1 offset:1536
	ds_load_b128 v[167:170], v1 offset:1552
	s_clause 0x1
	scratch_load_b128 v[38:41], off, off offset:768
	scratch_load_b128 v[171:174], off, off offset:784
	s_mov_b32 s2, exec_lo
	s_waitcnt vmcnt(9) lgkmcnt(1)
	v_mul_f64 v[44:45], v[36:37], v[4:5]
	v_mul_f64 v[4:5], v[34:35], v[4:5]
	s_waitcnt vmcnt(8) lgkmcnt(0)
	v_mul_f64 v[46:47], v[167:168], v[8:9]
	v_mul_f64 v[8:9], v[169:170], v[8:9]
	s_delay_alu instid0(VALU_DEP_4) | instskip(NEXT) | instid1(VALU_DEP_4)
	v_fma_f64 v[44:45], v[34:35], v[2:3], -v[44:45]
	v_fma_f64 v[48:49], v[36:37], v[2:3], v[4:5]
	ds_load_b128 v[2:5], v1 offset:1568
	scratch_load_b128 v[34:37], off, off offset:800
	v_fma_f64 v[46:47], v[169:170], v[6:7], v[46:47]
	v_fma_f64 v[175:176], v[167:168], v[6:7], -v[8:9]
	ds_load_b128 v[6:9], v1 offset:1584
	scratch_load_b128 v[167:170], off, off offset:816
	s_waitcnt vmcnt(9) lgkmcnt(1)
	v_mul_f64 v[156:157], v[2:3], v[12:13]
	v_mul_f64 v[12:13], v[4:5], v[12:13]
	s_waitcnt vmcnt(8) lgkmcnt(0)
	v_mul_f64 v[177:178], v[6:7], v[16:17]
	v_mul_f64 v[16:17], v[8:9], v[16:17]
	v_add_f64 v[44:45], v[44:45], 0
	v_add_f64 v[48:49], v[48:49], 0
	v_fma_f64 v[156:157], v[4:5], v[10:11], v[156:157]
	v_fma_f64 v[179:180], v[2:3], v[10:11], -v[12:13]
	scratch_load_b128 v[10:13], off, off offset:832
	ds_load_b128 v[2:5], v1 offset:1600
	v_add_f64 v[44:45], v[44:45], v[175:176]
	v_add_f64 v[46:47], v[48:49], v[46:47]
	v_fma_f64 v[175:176], v[8:9], v[14:15], v[177:178]
	v_fma_f64 v[177:178], v[6:7], v[14:15], -v[16:17]
	ds_load_b128 v[6:9], v1 offset:1616
	scratch_load_b128 v[14:17], off, off offset:848
	s_waitcnt vmcnt(9) lgkmcnt(1)
	v_mul_f64 v[48:49], v[2:3], v[20:21]
	v_mul_f64 v[20:21], v[4:5], v[20:21]
	v_add_f64 v[44:45], v[44:45], v[179:180]
	v_add_f64 v[46:47], v[46:47], v[156:157]
	s_waitcnt vmcnt(8) lgkmcnt(0)
	v_mul_f64 v[156:157], v[6:7], v[24:25]
	v_mul_f64 v[24:25], v[8:9], v[24:25]
	v_fma_f64 v[48:49], v[4:5], v[18:19], v[48:49]
	v_fma_f64 v[179:180], v[2:3], v[18:19], -v[20:21]
	scratch_load_b128 v[18:21], off, off offset:864
	ds_load_b128 v[2:5], v1 offset:1632
	v_add_f64 v[44:45], v[44:45], v[177:178]
	v_add_f64 v[46:47], v[46:47], v[175:176]
	v_fma_f64 v[156:157], v[8:9], v[22:23], v[156:157]
	v_fma_f64 v[177:178], v[6:7], v[22:23], -v[24:25]
	ds_load_b128 v[6:9], v1 offset:1648
	s_waitcnt vmcnt(8) lgkmcnt(1)
	v_mul_f64 v[175:176], v[2:3], v[28:29]
	v_mul_f64 v[28:29], v[4:5], v[28:29]
	scratch_load_b128 v[22:25], off, off offset:880
	v_add_f64 v[44:45], v[44:45], v[179:180]
	v_add_f64 v[46:47], v[46:47], v[48:49]
	s_waitcnt vmcnt(8) lgkmcnt(0)
	v_mul_f64 v[48:49], v[6:7], v[32:33]
	v_mul_f64 v[32:33], v[8:9], v[32:33]
	v_fma_f64 v[175:176], v[4:5], v[26:27], v[175:176]
	v_fma_f64 v[26:27], v[2:3], v[26:27], -v[28:29]
	ds_load_b128 v[2:5], v1 offset:1664
	v_add_f64 v[28:29], v[44:45], v[177:178]
	v_add_f64 v[44:45], v[46:47], v[156:157]
	v_fma_f64 v[48:49], v[8:9], v[30:31], v[48:49]
	v_fma_f64 v[30:31], v[6:7], v[30:31], -v[32:33]
	ds_load_b128 v[6:9], v1 offset:1680
	s_waitcnt vmcnt(7) lgkmcnt(1)
	v_mul_f64 v[46:47], v[2:3], v[40:41]
	v_mul_f64 v[40:41], v[4:5], v[40:41]
	v_add_f64 v[26:27], v[28:29], v[26:27]
	v_add_f64 v[28:29], v[44:45], v[175:176]
	s_delay_alu instid0(VALU_DEP_4) | instskip(NEXT) | instid1(VALU_DEP_4)
	v_fma_f64 v[46:47], v[4:5], v[38:39], v[46:47]
	v_fma_f64 v[38:39], v[2:3], v[38:39], -v[40:41]
	ds_load_b128 v[2:5], v1 offset:1696
	v_add_f64 v[30:31], v[26:27], v[30:31]
	v_add_f64 v[40:41], v[28:29], v[48:49]
	scratch_load_b128 v[26:29], off, off offset:624
	s_waitcnt vmcnt(7) lgkmcnt(1)
	v_mul_f64 v[32:33], v[6:7], v[173:174]
	v_mul_f64 v[44:45], v[8:9], v[173:174]
	v_add_f64 v[30:31], v[30:31], v[38:39]
	v_add_f64 v[38:39], v[40:41], v[46:47]
	s_delay_alu instid0(VALU_DEP_4) | instskip(NEXT) | instid1(VALU_DEP_4)
	v_fma_f64 v[32:33], v[8:9], v[171:172], v[32:33]
	v_fma_f64 v[44:45], v[6:7], v[171:172], -v[44:45]
	ds_load_b128 v[6:9], v1 offset:1712
	s_waitcnt vmcnt(6) lgkmcnt(1)
	v_mul_f64 v[48:49], v[2:3], v[36:37]
	v_mul_f64 v[36:37], v[4:5], v[36:37]
	s_waitcnt vmcnt(5) lgkmcnt(0)
	v_mul_f64 v[40:41], v[6:7], v[169:170]
	v_mul_f64 v[46:47], v[8:9], v[169:170]
	v_add_f64 v[32:33], v[38:39], v[32:33]
	v_add_f64 v[30:31], v[30:31], v[44:45]
	v_fma_f64 v[48:49], v[4:5], v[34:35], v[48:49]
	v_fma_f64 v[34:35], v[2:3], v[34:35], -v[36:37]
	ds_load_b128 v[2:5], v1 offset:1728
	v_fma_f64 v[38:39], v[8:9], v[167:168], v[40:41]
	v_fma_f64 v[40:41], v[6:7], v[167:168], -v[46:47]
	ds_load_b128 v[6:9], v1 offset:1744
	s_waitcnt vmcnt(4) lgkmcnt(1)
	v_mul_f64 v[36:37], v[2:3], v[12:13]
	v_mul_f64 v[12:13], v[4:5], v[12:13]
	v_add_f64 v[32:33], v[32:33], v[48:49]
	v_add_f64 v[30:31], v[30:31], v[34:35]
	s_waitcnt vmcnt(3) lgkmcnt(0)
	v_mul_f64 v[34:35], v[6:7], v[16:17]
	v_mul_f64 v[16:17], v[8:9], v[16:17]
	v_fma_f64 v[36:37], v[4:5], v[10:11], v[36:37]
	v_fma_f64 v[10:11], v[2:3], v[10:11], -v[12:13]
	ds_load_b128 v[2:5], v1 offset:1760
	v_add_f64 v[12:13], v[30:31], v[40:41]
	v_add_f64 v[30:31], v[32:33], v[38:39]
	v_fma_f64 v[34:35], v[8:9], v[14:15], v[34:35]
	v_fma_f64 v[14:15], v[6:7], v[14:15], -v[16:17]
	ds_load_b128 v[6:9], v1 offset:1776
	s_waitcnt vmcnt(2) lgkmcnt(1)
	v_mul_f64 v[32:33], v[2:3], v[20:21]
	v_mul_f64 v[20:21], v[4:5], v[20:21]
	s_waitcnt vmcnt(1) lgkmcnt(0)
	v_mul_f64 v[16:17], v[6:7], v[24:25]
	v_mul_f64 v[24:25], v[8:9], v[24:25]
	v_add_f64 v[10:11], v[12:13], v[10:11]
	v_add_f64 v[12:13], v[30:31], v[36:37]
	v_fma_f64 v[4:5], v[4:5], v[18:19], v[32:33]
	v_fma_f64 v[1:2], v[2:3], v[18:19], -v[20:21]
	v_fma_f64 v[8:9], v[8:9], v[22:23], v[16:17]
	v_fma_f64 v[6:7], v[6:7], v[22:23], -v[24:25]
	v_add_f64 v[10:11], v[10:11], v[14:15]
	v_add_f64 v[12:13], v[12:13], v[34:35]
	s_delay_alu instid0(VALU_DEP_2) | instskip(NEXT) | instid1(VALU_DEP_2)
	v_add_f64 v[1:2], v[10:11], v[1:2]
	v_add_f64 v[3:4], v[12:13], v[4:5]
	s_delay_alu instid0(VALU_DEP_2) | instskip(NEXT) | instid1(VALU_DEP_2)
	v_add_f64 v[1:2], v[1:2], v[6:7]
	v_add_f64 v[3:4], v[3:4], v[8:9]
	s_waitcnt vmcnt(0)
	s_delay_alu instid0(VALU_DEP_2) | instskip(NEXT) | instid1(VALU_DEP_2)
	v_add_f64 v[1:2], v[26:27], -v[1:2]
	v_add_f64 v[3:4], v[28:29], -v[3:4]
	scratch_store_b128 off, v[1:4], off offset:624
	v_cmpx_lt_u32_e32 38, v154
	s_cbranch_execz .LBB119_273
; %bb.272:
	scratch_load_b128 v[1:4], v236, off
	v_mov_b32_e32 v5, 0
	s_delay_alu instid0(VALU_DEP_1)
	v_mov_b32_e32 v6, v5
	v_mov_b32_e32 v7, v5
	;; [unrolled: 1-line block ×3, first 2 shown]
	scratch_store_b128 off, v[5:8], off offset:608
	s_waitcnt vmcnt(0)
	ds_store_b128 v210, v[1:4]
.LBB119_273:
	s_or_b32 exec_lo, exec_lo, s2
	s_waitcnt lgkmcnt(0)
	s_waitcnt_vscnt null, 0x0
	s_barrier
	buffer_gl0_inv
	s_clause 0x7
	scratch_load_b128 v[2:5], off, off offset:624
	scratch_load_b128 v[6:9], off, off offset:640
	;; [unrolled: 1-line block ×8, first 2 shown]
	v_mov_b32_e32 v1, 0
	s_clause 0x1
	scratch_load_b128 v[38:41], off, off offset:752
	scratch_load_b128 v[171:174], off, off offset:768
	s_mov_b32 s2, exec_lo
	ds_load_b128 v[34:37], v1 offset:1520
	ds_load_b128 v[167:170], v1 offset:1536
	s_waitcnt vmcnt(9) lgkmcnt(1)
	v_mul_f64 v[44:45], v[36:37], v[4:5]
	v_mul_f64 v[4:5], v[34:35], v[4:5]
	s_waitcnt vmcnt(8) lgkmcnt(0)
	v_mul_f64 v[46:47], v[167:168], v[8:9]
	v_mul_f64 v[8:9], v[169:170], v[8:9]
	s_delay_alu instid0(VALU_DEP_4) | instskip(NEXT) | instid1(VALU_DEP_4)
	v_fma_f64 v[44:45], v[34:35], v[2:3], -v[44:45]
	v_fma_f64 v[48:49], v[36:37], v[2:3], v[4:5]
	ds_load_b128 v[2:5], v1 offset:1552
	v_fma_f64 v[46:47], v[169:170], v[6:7], v[46:47]
	v_fma_f64 v[175:176], v[167:168], v[6:7], -v[8:9]
	ds_load_b128 v[6:9], v1 offset:1568
	s_clause 0x1
	scratch_load_b128 v[34:37], off, off offset:784
	scratch_load_b128 v[167:170], off, off offset:800
	s_waitcnt vmcnt(9) lgkmcnt(1)
	v_mul_f64 v[156:157], v[2:3], v[12:13]
	v_mul_f64 v[12:13], v[4:5], v[12:13]
	s_waitcnt vmcnt(8) lgkmcnt(0)
	v_mul_f64 v[177:178], v[6:7], v[16:17]
	v_mul_f64 v[16:17], v[8:9], v[16:17]
	v_add_f64 v[44:45], v[44:45], 0
	v_add_f64 v[48:49], v[48:49], 0
	v_fma_f64 v[156:157], v[4:5], v[10:11], v[156:157]
	v_fma_f64 v[179:180], v[2:3], v[10:11], -v[12:13]
	scratch_load_b128 v[10:13], off, off offset:816
	ds_load_b128 v[2:5], v1 offset:1584
	v_add_f64 v[44:45], v[44:45], v[175:176]
	v_add_f64 v[46:47], v[48:49], v[46:47]
	v_fma_f64 v[175:176], v[8:9], v[14:15], v[177:178]
	v_fma_f64 v[177:178], v[6:7], v[14:15], -v[16:17]
	ds_load_b128 v[6:9], v1 offset:1600
	scratch_load_b128 v[14:17], off, off offset:832
	s_waitcnt vmcnt(9) lgkmcnt(1)
	v_mul_f64 v[48:49], v[2:3], v[20:21]
	v_mul_f64 v[20:21], v[4:5], v[20:21]
	v_add_f64 v[44:45], v[44:45], v[179:180]
	v_add_f64 v[46:47], v[46:47], v[156:157]
	s_waitcnt vmcnt(8) lgkmcnt(0)
	v_mul_f64 v[156:157], v[6:7], v[24:25]
	v_mul_f64 v[24:25], v[8:9], v[24:25]
	v_fma_f64 v[48:49], v[4:5], v[18:19], v[48:49]
	v_fma_f64 v[179:180], v[2:3], v[18:19], -v[20:21]
	scratch_load_b128 v[18:21], off, off offset:848
	ds_load_b128 v[2:5], v1 offset:1616
	v_add_f64 v[44:45], v[44:45], v[177:178]
	v_add_f64 v[46:47], v[46:47], v[175:176]
	v_fma_f64 v[156:157], v[8:9], v[22:23], v[156:157]
	v_fma_f64 v[177:178], v[6:7], v[22:23], -v[24:25]
	ds_load_b128 v[6:9], v1 offset:1632
	s_waitcnt vmcnt(8) lgkmcnt(1)
	v_mul_f64 v[175:176], v[2:3], v[28:29]
	v_mul_f64 v[28:29], v[4:5], v[28:29]
	scratch_load_b128 v[22:25], off, off offset:864
	v_add_f64 v[44:45], v[44:45], v[179:180]
	v_add_f64 v[46:47], v[46:47], v[48:49]
	s_waitcnt vmcnt(8) lgkmcnt(0)
	v_mul_f64 v[48:49], v[6:7], v[32:33]
	v_mul_f64 v[32:33], v[8:9], v[32:33]
	v_fma_f64 v[175:176], v[4:5], v[26:27], v[175:176]
	v_fma_f64 v[179:180], v[2:3], v[26:27], -v[28:29]
	scratch_load_b128 v[26:29], off, off offset:880
	ds_load_b128 v[2:5], v1 offset:1648
	v_add_f64 v[44:45], v[44:45], v[177:178]
	v_add_f64 v[46:47], v[46:47], v[156:157]
	v_fma_f64 v[48:49], v[8:9], v[30:31], v[48:49]
	v_fma_f64 v[30:31], v[6:7], v[30:31], -v[32:33]
	ds_load_b128 v[6:9], v1 offset:1664
	s_waitcnt vmcnt(8) lgkmcnt(1)
	v_mul_f64 v[156:157], v[2:3], v[40:41]
	v_mul_f64 v[40:41], v[4:5], v[40:41]
	v_add_f64 v[32:33], v[44:45], v[179:180]
	v_add_f64 v[44:45], v[46:47], v[175:176]
	s_delay_alu instid0(VALU_DEP_4) | instskip(NEXT) | instid1(VALU_DEP_4)
	v_fma_f64 v[156:157], v[4:5], v[38:39], v[156:157]
	v_fma_f64 v[38:39], v[2:3], v[38:39], -v[40:41]
	ds_load_b128 v[2:5], v1 offset:1680
	v_add_f64 v[30:31], v[32:33], v[30:31]
	v_add_f64 v[32:33], v[44:45], v[48:49]
	s_delay_alu instid0(VALU_DEP_2) | instskip(NEXT) | instid1(VALU_DEP_2)
	v_add_f64 v[38:39], v[30:31], v[38:39]
	v_add_f64 v[48:49], v[32:33], v[156:157]
	scratch_load_b128 v[30:33], off, off offset:608
	s_waitcnt vmcnt(8) lgkmcnt(1)
	v_mul_f64 v[46:47], v[6:7], v[173:174]
	v_mul_f64 v[173:174], v[8:9], v[173:174]
	s_delay_alu instid0(VALU_DEP_2) | instskip(NEXT) | instid1(VALU_DEP_2)
	v_fma_f64 v[44:45], v[8:9], v[171:172], v[46:47]
	v_fma_f64 v[46:47], v[6:7], v[171:172], -v[173:174]
	ds_load_b128 v[6:9], v1 offset:1696
	s_waitcnt vmcnt(7) lgkmcnt(1)
	v_mul_f64 v[40:41], v[2:3], v[36:37]
	v_mul_f64 v[36:37], v[4:5], v[36:37]
	s_waitcnt vmcnt(6) lgkmcnt(0)
	v_mul_f64 v[156:157], v[6:7], v[169:170]
	v_mul_f64 v[169:170], v[8:9], v[169:170]
	s_delay_alu instid0(VALU_DEP_4) | instskip(NEXT) | instid1(VALU_DEP_4)
	v_fma_f64 v[40:41], v[4:5], v[34:35], v[40:41]
	v_fma_f64 v[34:35], v[2:3], v[34:35], -v[36:37]
	v_add_f64 v[36:37], v[38:39], v[46:47]
	v_add_f64 v[38:39], v[48:49], v[44:45]
	ds_load_b128 v[2:5], v1 offset:1712
	v_fma_f64 v[46:47], v[8:9], v[167:168], v[156:157]
	v_fma_f64 v[48:49], v[6:7], v[167:168], -v[169:170]
	ds_load_b128 v[6:9], v1 offset:1728
	s_waitcnt vmcnt(5) lgkmcnt(1)
	v_mul_f64 v[44:45], v[2:3], v[12:13]
	v_mul_f64 v[12:13], v[4:5], v[12:13]
	v_add_f64 v[34:35], v[36:37], v[34:35]
	v_add_f64 v[36:37], v[38:39], v[40:41]
	s_waitcnt vmcnt(4) lgkmcnt(0)
	v_mul_f64 v[38:39], v[6:7], v[16:17]
	v_mul_f64 v[16:17], v[8:9], v[16:17]
	v_fma_f64 v[40:41], v[4:5], v[10:11], v[44:45]
	v_fma_f64 v[10:11], v[2:3], v[10:11], -v[12:13]
	ds_load_b128 v[2:5], v1 offset:1744
	v_add_f64 v[12:13], v[34:35], v[48:49]
	v_add_f64 v[34:35], v[36:37], v[46:47]
	v_fma_f64 v[38:39], v[8:9], v[14:15], v[38:39]
	v_fma_f64 v[14:15], v[6:7], v[14:15], -v[16:17]
	ds_load_b128 v[6:9], v1 offset:1760
	s_waitcnt vmcnt(3) lgkmcnt(1)
	v_mul_f64 v[36:37], v[2:3], v[20:21]
	v_mul_f64 v[20:21], v[4:5], v[20:21]
	s_waitcnt vmcnt(2) lgkmcnt(0)
	v_mul_f64 v[16:17], v[6:7], v[24:25]
	v_mul_f64 v[24:25], v[8:9], v[24:25]
	v_add_f64 v[10:11], v[12:13], v[10:11]
	v_add_f64 v[12:13], v[34:35], v[40:41]
	v_fma_f64 v[34:35], v[4:5], v[18:19], v[36:37]
	v_fma_f64 v[18:19], v[2:3], v[18:19], -v[20:21]
	ds_load_b128 v[2:5], v1 offset:1776
	v_fma_f64 v[8:9], v[8:9], v[22:23], v[16:17]
	v_fma_f64 v[6:7], v[6:7], v[22:23], -v[24:25]
	s_waitcnt vmcnt(1) lgkmcnt(0)
	v_mul_f64 v[20:21], v[4:5], v[28:29]
	v_add_f64 v[10:11], v[10:11], v[14:15]
	v_add_f64 v[12:13], v[12:13], v[38:39]
	v_mul_f64 v[14:15], v[2:3], v[28:29]
	s_delay_alu instid0(VALU_DEP_4) | instskip(NEXT) | instid1(VALU_DEP_4)
	v_fma_f64 v[2:3], v[2:3], v[26:27], -v[20:21]
	v_add_f64 v[10:11], v[10:11], v[18:19]
	s_delay_alu instid0(VALU_DEP_4) | instskip(NEXT) | instid1(VALU_DEP_4)
	v_add_f64 v[12:13], v[12:13], v[34:35]
	v_fma_f64 v[4:5], v[4:5], v[26:27], v[14:15]
	s_delay_alu instid0(VALU_DEP_3) | instskip(NEXT) | instid1(VALU_DEP_3)
	v_add_f64 v[6:7], v[10:11], v[6:7]
	v_add_f64 v[8:9], v[12:13], v[8:9]
	s_delay_alu instid0(VALU_DEP_2) | instskip(NEXT) | instid1(VALU_DEP_2)
	v_add_f64 v[2:3], v[6:7], v[2:3]
	v_add_f64 v[4:5], v[8:9], v[4:5]
	s_waitcnt vmcnt(0)
	s_delay_alu instid0(VALU_DEP_2) | instskip(NEXT) | instid1(VALU_DEP_2)
	v_add_f64 v[2:3], v[30:31], -v[2:3]
	v_add_f64 v[4:5], v[32:33], -v[4:5]
	scratch_store_b128 off, v[2:5], off offset:608
	v_cmpx_lt_u32_e32 37, v154
	s_cbranch_execz .LBB119_275
; %bb.274:
	scratch_load_b128 v[5:8], v230, off
	v_mov_b32_e32 v2, v1
	v_mov_b32_e32 v3, v1
	;; [unrolled: 1-line block ×3, first 2 shown]
	scratch_store_b128 off, v[1:4], off offset:592
	s_waitcnt vmcnt(0)
	ds_store_b128 v210, v[5:8]
.LBB119_275:
	s_or_b32 exec_lo, exec_lo, s2
	s_waitcnt lgkmcnt(0)
	s_waitcnt_vscnt null, 0x0
	s_barrier
	buffer_gl0_inv
	s_clause 0x7
	scratch_load_b128 v[2:5], off, off offset:608
	scratch_load_b128 v[6:9], off, off offset:624
	;; [unrolled: 1-line block ×8, first 2 shown]
	ds_load_b128 v[34:37], v1 offset:1504
	ds_load_b128 v[167:170], v1 offset:1520
	s_clause 0x1
	scratch_load_b128 v[38:41], off, off offset:736
	scratch_load_b128 v[171:174], off, off offset:752
	s_mov_b32 s2, exec_lo
	s_waitcnt vmcnt(9) lgkmcnt(1)
	v_mul_f64 v[44:45], v[36:37], v[4:5]
	v_mul_f64 v[4:5], v[34:35], v[4:5]
	s_waitcnt vmcnt(8) lgkmcnt(0)
	v_mul_f64 v[46:47], v[167:168], v[8:9]
	v_mul_f64 v[8:9], v[169:170], v[8:9]
	s_delay_alu instid0(VALU_DEP_4) | instskip(NEXT) | instid1(VALU_DEP_4)
	v_fma_f64 v[44:45], v[34:35], v[2:3], -v[44:45]
	v_fma_f64 v[48:49], v[36:37], v[2:3], v[4:5]
	ds_load_b128 v[2:5], v1 offset:1536
	scratch_load_b128 v[34:37], off, off offset:768
	v_fma_f64 v[46:47], v[169:170], v[6:7], v[46:47]
	v_fma_f64 v[175:176], v[167:168], v[6:7], -v[8:9]
	scratch_load_b128 v[167:170], off, off offset:784
	ds_load_b128 v[6:9], v1 offset:1552
	s_waitcnt vmcnt(9) lgkmcnt(1)
	v_mul_f64 v[156:157], v[2:3], v[12:13]
	v_mul_f64 v[12:13], v[4:5], v[12:13]
	s_waitcnt vmcnt(8) lgkmcnt(0)
	v_mul_f64 v[177:178], v[6:7], v[16:17]
	v_mul_f64 v[16:17], v[8:9], v[16:17]
	v_add_f64 v[44:45], v[44:45], 0
	v_add_f64 v[48:49], v[48:49], 0
	v_fma_f64 v[156:157], v[4:5], v[10:11], v[156:157]
	v_fma_f64 v[179:180], v[2:3], v[10:11], -v[12:13]
	ds_load_b128 v[2:5], v1 offset:1568
	scratch_load_b128 v[10:13], off, off offset:800
	v_add_f64 v[44:45], v[44:45], v[175:176]
	v_add_f64 v[46:47], v[48:49], v[46:47]
	v_fma_f64 v[175:176], v[8:9], v[14:15], v[177:178]
	v_fma_f64 v[177:178], v[6:7], v[14:15], -v[16:17]
	ds_load_b128 v[6:9], v1 offset:1584
	scratch_load_b128 v[14:17], off, off offset:816
	s_waitcnt vmcnt(9) lgkmcnt(1)
	v_mul_f64 v[48:49], v[2:3], v[20:21]
	v_mul_f64 v[20:21], v[4:5], v[20:21]
	v_add_f64 v[44:45], v[44:45], v[179:180]
	v_add_f64 v[46:47], v[46:47], v[156:157]
	s_waitcnt vmcnt(8) lgkmcnt(0)
	v_mul_f64 v[156:157], v[6:7], v[24:25]
	v_mul_f64 v[24:25], v[8:9], v[24:25]
	v_fma_f64 v[48:49], v[4:5], v[18:19], v[48:49]
	v_fma_f64 v[179:180], v[2:3], v[18:19], -v[20:21]
	scratch_load_b128 v[18:21], off, off offset:832
	ds_load_b128 v[2:5], v1 offset:1600
	v_add_f64 v[44:45], v[44:45], v[177:178]
	v_add_f64 v[46:47], v[46:47], v[175:176]
	v_fma_f64 v[156:157], v[8:9], v[22:23], v[156:157]
	v_fma_f64 v[177:178], v[6:7], v[22:23], -v[24:25]
	ds_load_b128 v[6:9], v1 offset:1616
	s_waitcnt vmcnt(8) lgkmcnt(1)
	v_mul_f64 v[175:176], v[2:3], v[28:29]
	v_mul_f64 v[28:29], v[4:5], v[28:29]
	scratch_load_b128 v[22:25], off, off offset:848
	v_add_f64 v[44:45], v[44:45], v[179:180]
	v_add_f64 v[46:47], v[46:47], v[48:49]
	s_waitcnt vmcnt(8) lgkmcnt(0)
	v_mul_f64 v[48:49], v[6:7], v[32:33]
	v_mul_f64 v[32:33], v[8:9], v[32:33]
	v_fma_f64 v[175:176], v[4:5], v[26:27], v[175:176]
	v_fma_f64 v[179:180], v[2:3], v[26:27], -v[28:29]
	scratch_load_b128 v[26:29], off, off offset:864
	ds_load_b128 v[2:5], v1 offset:1632
	v_add_f64 v[44:45], v[44:45], v[177:178]
	v_add_f64 v[46:47], v[46:47], v[156:157]
	v_fma_f64 v[48:49], v[8:9], v[30:31], v[48:49]
	v_fma_f64 v[177:178], v[6:7], v[30:31], -v[32:33]
	ds_load_b128 v[6:9], v1 offset:1648
	s_waitcnt vmcnt(8) lgkmcnt(1)
	v_mul_f64 v[156:157], v[2:3], v[40:41]
	v_mul_f64 v[40:41], v[4:5], v[40:41]
	scratch_load_b128 v[30:33], off, off offset:880
	v_add_f64 v[44:45], v[44:45], v[179:180]
	v_add_f64 v[46:47], v[46:47], v[175:176]
	s_waitcnt vmcnt(8) lgkmcnt(0)
	v_mul_f64 v[175:176], v[6:7], v[173:174]
	v_mul_f64 v[173:174], v[8:9], v[173:174]
	v_fma_f64 v[156:157], v[4:5], v[38:39], v[156:157]
	v_fma_f64 v[38:39], v[2:3], v[38:39], -v[40:41]
	ds_load_b128 v[2:5], v1 offset:1664
	v_add_f64 v[40:41], v[44:45], v[177:178]
	v_add_f64 v[44:45], v[46:47], v[48:49]
	v_fma_f64 v[48:49], v[8:9], v[171:172], v[175:176]
	v_fma_f64 v[171:172], v[6:7], v[171:172], -v[173:174]
	ds_load_b128 v[6:9], v1 offset:1680
	s_waitcnt vmcnt(7) lgkmcnt(1)
	v_mul_f64 v[46:47], v[2:3], v[36:37]
	v_mul_f64 v[36:37], v[4:5], v[36:37]
	v_add_f64 v[38:39], v[40:41], v[38:39]
	v_add_f64 v[40:41], v[44:45], v[156:157]
	s_waitcnt vmcnt(6) lgkmcnt(0)
	v_mul_f64 v[44:45], v[6:7], v[169:170]
	v_mul_f64 v[156:157], v[8:9], v[169:170]
	v_fma_f64 v[46:47], v[4:5], v[34:35], v[46:47]
	v_fma_f64 v[169:170], v[2:3], v[34:35], -v[36:37]
	ds_load_b128 v[2:5], v1 offset:1696
	scratch_load_b128 v[34:37], off, off offset:592
	v_add_f64 v[38:39], v[38:39], v[171:172]
	v_add_f64 v[40:41], v[40:41], v[48:49]
	v_fma_f64 v[44:45], v[8:9], v[167:168], v[44:45]
	v_fma_f64 v[156:157], v[6:7], v[167:168], -v[156:157]
	ds_load_b128 v[6:9], v1 offset:1712
	s_waitcnt vmcnt(6) lgkmcnt(1)
	v_mul_f64 v[48:49], v[2:3], v[12:13]
	v_mul_f64 v[12:13], v[4:5], v[12:13]
	v_add_f64 v[38:39], v[38:39], v[169:170]
	v_add_f64 v[40:41], v[40:41], v[46:47]
	s_waitcnt vmcnt(5) lgkmcnt(0)
	v_mul_f64 v[46:47], v[6:7], v[16:17]
	v_mul_f64 v[16:17], v[8:9], v[16:17]
	v_fma_f64 v[48:49], v[4:5], v[10:11], v[48:49]
	v_fma_f64 v[10:11], v[2:3], v[10:11], -v[12:13]
	ds_load_b128 v[2:5], v1 offset:1728
	v_add_f64 v[12:13], v[38:39], v[156:157]
	v_add_f64 v[38:39], v[40:41], v[44:45]
	v_fma_f64 v[44:45], v[8:9], v[14:15], v[46:47]
	v_fma_f64 v[14:15], v[6:7], v[14:15], -v[16:17]
	ds_load_b128 v[6:9], v1 offset:1744
	s_waitcnt vmcnt(4) lgkmcnt(1)
	v_mul_f64 v[40:41], v[2:3], v[20:21]
	v_mul_f64 v[20:21], v[4:5], v[20:21]
	s_waitcnt vmcnt(3) lgkmcnt(0)
	v_mul_f64 v[16:17], v[6:7], v[24:25]
	v_mul_f64 v[24:25], v[8:9], v[24:25]
	v_add_f64 v[10:11], v[12:13], v[10:11]
	v_add_f64 v[12:13], v[38:39], v[48:49]
	v_fma_f64 v[38:39], v[4:5], v[18:19], v[40:41]
	v_fma_f64 v[18:19], v[2:3], v[18:19], -v[20:21]
	ds_load_b128 v[2:5], v1 offset:1760
	v_fma_f64 v[16:17], v[8:9], v[22:23], v[16:17]
	v_fma_f64 v[22:23], v[6:7], v[22:23], -v[24:25]
	ds_load_b128 v[6:9], v1 offset:1776
	s_waitcnt vmcnt(2) lgkmcnt(1)
	v_mul_f64 v[20:21], v[4:5], v[28:29]
	v_add_f64 v[10:11], v[10:11], v[14:15]
	v_add_f64 v[12:13], v[12:13], v[44:45]
	v_mul_f64 v[14:15], v[2:3], v[28:29]
	s_waitcnt vmcnt(1) lgkmcnt(0)
	v_mul_f64 v[24:25], v[8:9], v[32:33]
	v_fma_f64 v[1:2], v[2:3], v[26:27], -v[20:21]
	v_add_f64 v[10:11], v[10:11], v[18:19]
	v_add_f64 v[12:13], v[12:13], v[38:39]
	v_mul_f64 v[18:19], v[6:7], v[32:33]
	v_fma_f64 v[4:5], v[4:5], v[26:27], v[14:15]
	v_fma_f64 v[6:7], v[6:7], v[30:31], -v[24:25]
	v_add_f64 v[10:11], v[10:11], v[22:23]
	v_add_f64 v[12:13], v[12:13], v[16:17]
	v_fma_f64 v[8:9], v[8:9], v[30:31], v[18:19]
	s_delay_alu instid0(VALU_DEP_3) | instskip(NEXT) | instid1(VALU_DEP_3)
	v_add_f64 v[1:2], v[10:11], v[1:2]
	v_add_f64 v[3:4], v[12:13], v[4:5]
	s_delay_alu instid0(VALU_DEP_2) | instskip(NEXT) | instid1(VALU_DEP_2)
	v_add_f64 v[1:2], v[1:2], v[6:7]
	v_add_f64 v[3:4], v[3:4], v[8:9]
	s_waitcnt vmcnt(0)
	s_delay_alu instid0(VALU_DEP_2) | instskip(NEXT) | instid1(VALU_DEP_2)
	v_add_f64 v[1:2], v[34:35], -v[1:2]
	v_add_f64 v[3:4], v[36:37], -v[3:4]
	scratch_store_b128 off, v[1:4], off offset:592
	v_cmpx_lt_u32_e32 36, v154
	s_cbranch_execz .LBB119_277
; %bb.276:
	scratch_load_b128 v[1:4], v231, off
	v_mov_b32_e32 v5, 0
	s_delay_alu instid0(VALU_DEP_1)
	v_mov_b32_e32 v6, v5
	v_mov_b32_e32 v7, v5
	;; [unrolled: 1-line block ×3, first 2 shown]
	scratch_store_b128 off, v[5:8], off offset:576
	s_waitcnt vmcnt(0)
	ds_store_b128 v210, v[1:4]
.LBB119_277:
	s_or_b32 exec_lo, exec_lo, s2
	s_waitcnt lgkmcnt(0)
	s_waitcnt_vscnt null, 0x0
	s_barrier
	buffer_gl0_inv
	s_clause 0x7
	scratch_load_b128 v[2:5], off, off offset:592
	scratch_load_b128 v[6:9], off, off offset:608
	;; [unrolled: 1-line block ×8, first 2 shown]
	v_mov_b32_e32 v1, 0
	s_clause 0x1
	scratch_load_b128 v[38:41], off, off offset:720
	scratch_load_b128 v[171:174], off, off offset:736
	s_mov_b32 s2, exec_lo
	ds_load_b128 v[34:37], v1 offset:1488
	ds_load_b128 v[167:170], v1 offset:1504
	s_waitcnt vmcnt(9) lgkmcnt(1)
	v_mul_f64 v[44:45], v[36:37], v[4:5]
	v_mul_f64 v[4:5], v[34:35], v[4:5]
	s_waitcnt vmcnt(8) lgkmcnt(0)
	v_mul_f64 v[46:47], v[167:168], v[8:9]
	v_mul_f64 v[8:9], v[169:170], v[8:9]
	s_delay_alu instid0(VALU_DEP_4) | instskip(NEXT) | instid1(VALU_DEP_4)
	v_fma_f64 v[44:45], v[34:35], v[2:3], -v[44:45]
	v_fma_f64 v[48:49], v[36:37], v[2:3], v[4:5]
	ds_load_b128 v[2:5], v1 offset:1520
	scratch_load_b128 v[34:37], off, off offset:752
	v_fma_f64 v[46:47], v[169:170], v[6:7], v[46:47]
	v_fma_f64 v[175:176], v[167:168], v[6:7], -v[8:9]
	scratch_load_b128 v[167:170], off, off offset:768
	ds_load_b128 v[6:9], v1 offset:1536
	s_waitcnt vmcnt(9) lgkmcnt(1)
	v_mul_f64 v[156:157], v[2:3], v[12:13]
	v_mul_f64 v[12:13], v[4:5], v[12:13]
	s_waitcnt vmcnt(8) lgkmcnt(0)
	v_mul_f64 v[177:178], v[6:7], v[16:17]
	v_mul_f64 v[16:17], v[8:9], v[16:17]
	v_add_f64 v[44:45], v[44:45], 0
	v_add_f64 v[48:49], v[48:49], 0
	v_fma_f64 v[156:157], v[4:5], v[10:11], v[156:157]
	v_fma_f64 v[179:180], v[2:3], v[10:11], -v[12:13]
	ds_load_b128 v[2:5], v1 offset:1552
	scratch_load_b128 v[10:13], off, off offset:784
	v_add_f64 v[44:45], v[44:45], v[175:176]
	v_add_f64 v[46:47], v[48:49], v[46:47]
	v_fma_f64 v[175:176], v[8:9], v[14:15], v[177:178]
	v_fma_f64 v[177:178], v[6:7], v[14:15], -v[16:17]
	ds_load_b128 v[6:9], v1 offset:1568
	scratch_load_b128 v[14:17], off, off offset:800
	s_waitcnt vmcnt(9) lgkmcnt(1)
	v_mul_f64 v[48:49], v[2:3], v[20:21]
	v_mul_f64 v[20:21], v[4:5], v[20:21]
	v_add_f64 v[44:45], v[44:45], v[179:180]
	v_add_f64 v[46:47], v[46:47], v[156:157]
	s_waitcnt vmcnt(8) lgkmcnt(0)
	v_mul_f64 v[156:157], v[6:7], v[24:25]
	v_mul_f64 v[24:25], v[8:9], v[24:25]
	v_fma_f64 v[48:49], v[4:5], v[18:19], v[48:49]
	v_fma_f64 v[179:180], v[2:3], v[18:19], -v[20:21]
	scratch_load_b128 v[18:21], off, off offset:816
	ds_load_b128 v[2:5], v1 offset:1584
	v_add_f64 v[44:45], v[44:45], v[177:178]
	v_add_f64 v[46:47], v[46:47], v[175:176]
	v_fma_f64 v[156:157], v[8:9], v[22:23], v[156:157]
	v_fma_f64 v[177:178], v[6:7], v[22:23], -v[24:25]
	ds_load_b128 v[6:9], v1 offset:1600
	s_waitcnt vmcnt(8) lgkmcnt(1)
	v_mul_f64 v[175:176], v[2:3], v[28:29]
	v_mul_f64 v[28:29], v[4:5], v[28:29]
	scratch_load_b128 v[22:25], off, off offset:832
	v_add_f64 v[44:45], v[44:45], v[179:180]
	v_add_f64 v[46:47], v[46:47], v[48:49]
	s_waitcnt vmcnt(8) lgkmcnt(0)
	v_mul_f64 v[48:49], v[6:7], v[32:33]
	v_mul_f64 v[32:33], v[8:9], v[32:33]
	v_fma_f64 v[175:176], v[4:5], v[26:27], v[175:176]
	v_fma_f64 v[179:180], v[2:3], v[26:27], -v[28:29]
	scratch_load_b128 v[26:29], off, off offset:848
	ds_load_b128 v[2:5], v1 offset:1616
	v_add_f64 v[44:45], v[44:45], v[177:178]
	v_add_f64 v[46:47], v[46:47], v[156:157]
	v_fma_f64 v[48:49], v[8:9], v[30:31], v[48:49]
	v_fma_f64 v[177:178], v[6:7], v[30:31], -v[32:33]
	ds_load_b128 v[6:9], v1 offset:1632
	s_waitcnt vmcnt(8) lgkmcnt(1)
	v_mul_f64 v[156:157], v[2:3], v[40:41]
	v_mul_f64 v[40:41], v[4:5], v[40:41]
	scratch_load_b128 v[30:33], off, off offset:864
	v_add_f64 v[44:45], v[44:45], v[179:180]
	v_add_f64 v[46:47], v[46:47], v[175:176]
	s_waitcnt vmcnt(8) lgkmcnt(0)
	v_mul_f64 v[175:176], v[6:7], v[173:174]
	v_mul_f64 v[173:174], v[8:9], v[173:174]
	v_fma_f64 v[156:157], v[4:5], v[38:39], v[156:157]
	v_fma_f64 v[179:180], v[2:3], v[38:39], -v[40:41]
	scratch_load_b128 v[38:41], off, off offset:880
	ds_load_b128 v[2:5], v1 offset:1648
	v_add_f64 v[44:45], v[44:45], v[177:178]
	v_add_f64 v[46:47], v[46:47], v[48:49]
	v_fma_f64 v[175:176], v[8:9], v[171:172], v[175:176]
	v_fma_f64 v[171:172], v[6:7], v[171:172], -v[173:174]
	ds_load_b128 v[6:9], v1 offset:1664
	s_waitcnt vmcnt(8) lgkmcnt(1)
	v_mul_f64 v[48:49], v[2:3], v[36:37]
	v_mul_f64 v[36:37], v[4:5], v[36:37]
	v_add_f64 v[44:45], v[44:45], v[179:180]
	v_add_f64 v[46:47], v[46:47], v[156:157]
	s_waitcnt vmcnt(7) lgkmcnt(0)
	v_mul_f64 v[156:157], v[6:7], v[169:170]
	v_mul_f64 v[169:170], v[8:9], v[169:170]
	v_fma_f64 v[48:49], v[4:5], v[34:35], v[48:49]
	v_fma_f64 v[34:35], v[2:3], v[34:35], -v[36:37]
	ds_load_b128 v[2:5], v1 offset:1680
	v_add_f64 v[36:37], v[44:45], v[171:172]
	v_add_f64 v[44:45], v[46:47], v[175:176]
	v_fma_f64 v[156:157], v[8:9], v[167:168], v[156:157]
	v_fma_f64 v[167:168], v[6:7], v[167:168], -v[169:170]
	ds_load_b128 v[6:9], v1 offset:1696
	v_add_f64 v[169:170], v[36:37], v[34:35]
	v_add_f64 v[44:45], v[44:45], v[48:49]
	scratch_load_b128 v[34:37], off, off offset:576
	s_waitcnt vmcnt(7) lgkmcnt(1)
	v_mul_f64 v[46:47], v[2:3], v[12:13]
	v_mul_f64 v[12:13], v[4:5], v[12:13]
	s_waitcnt vmcnt(6) lgkmcnt(0)
	v_mul_f64 v[48:49], v[6:7], v[16:17]
	v_mul_f64 v[16:17], v[8:9], v[16:17]
	v_add_f64 v[44:45], v[44:45], v[156:157]
	v_fma_f64 v[46:47], v[4:5], v[10:11], v[46:47]
	v_fma_f64 v[10:11], v[2:3], v[10:11], -v[12:13]
	v_add_f64 v[12:13], v[169:170], v[167:168]
	ds_load_b128 v[2:5], v1 offset:1712
	v_fma_f64 v[48:49], v[8:9], v[14:15], v[48:49]
	v_fma_f64 v[14:15], v[6:7], v[14:15], -v[16:17]
	ds_load_b128 v[6:9], v1 offset:1728
	s_waitcnt vmcnt(5) lgkmcnt(1)
	v_mul_f64 v[156:157], v[2:3], v[20:21]
	v_mul_f64 v[20:21], v[4:5], v[20:21]
	s_waitcnt vmcnt(4) lgkmcnt(0)
	v_mul_f64 v[16:17], v[6:7], v[24:25]
	v_mul_f64 v[24:25], v[8:9], v[24:25]
	v_add_f64 v[10:11], v[12:13], v[10:11]
	v_add_f64 v[12:13], v[44:45], v[46:47]
	v_fma_f64 v[44:45], v[4:5], v[18:19], v[156:157]
	v_fma_f64 v[18:19], v[2:3], v[18:19], -v[20:21]
	ds_load_b128 v[2:5], v1 offset:1744
	v_fma_f64 v[16:17], v[8:9], v[22:23], v[16:17]
	v_fma_f64 v[22:23], v[6:7], v[22:23], -v[24:25]
	ds_load_b128 v[6:9], v1 offset:1760
	v_add_f64 v[10:11], v[10:11], v[14:15]
	v_add_f64 v[12:13], v[12:13], v[48:49]
	s_waitcnt vmcnt(3) lgkmcnt(1)
	v_mul_f64 v[14:15], v[2:3], v[28:29]
	v_mul_f64 v[20:21], v[4:5], v[28:29]
	s_waitcnt vmcnt(2) lgkmcnt(0)
	v_mul_f64 v[24:25], v[8:9], v[32:33]
	v_add_f64 v[10:11], v[10:11], v[18:19]
	v_add_f64 v[12:13], v[12:13], v[44:45]
	v_mul_f64 v[18:19], v[6:7], v[32:33]
	v_fma_f64 v[14:15], v[4:5], v[26:27], v[14:15]
	v_fma_f64 v[20:21], v[2:3], v[26:27], -v[20:21]
	ds_load_b128 v[2:5], v1 offset:1776
	v_fma_f64 v[6:7], v[6:7], v[30:31], -v[24:25]
	v_add_f64 v[10:11], v[10:11], v[22:23]
	v_add_f64 v[12:13], v[12:13], v[16:17]
	s_waitcnt vmcnt(1) lgkmcnt(0)
	v_mul_f64 v[16:17], v[2:3], v[40:41]
	v_mul_f64 v[22:23], v[4:5], v[40:41]
	v_fma_f64 v[8:9], v[8:9], v[30:31], v[18:19]
	v_add_f64 v[10:11], v[10:11], v[20:21]
	v_add_f64 v[12:13], v[12:13], v[14:15]
	v_fma_f64 v[4:5], v[4:5], v[38:39], v[16:17]
	v_fma_f64 v[2:3], v[2:3], v[38:39], -v[22:23]
	s_delay_alu instid0(VALU_DEP_4) | instskip(NEXT) | instid1(VALU_DEP_4)
	v_add_f64 v[6:7], v[10:11], v[6:7]
	v_add_f64 v[8:9], v[12:13], v[8:9]
	s_delay_alu instid0(VALU_DEP_2) | instskip(NEXT) | instid1(VALU_DEP_2)
	v_add_f64 v[2:3], v[6:7], v[2:3]
	v_add_f64 v[4:5], v[8:9], v[4:5]
	s_waitcnt vmcnt(0)
	s_delay_alu instid0(VALU_DEP_2) | instskip(NEXT) | instid1(VALU_DEP_2)
	v_add_f64 v[2:3], v[34:35], -v[2:3]
	v_add_f64 v[4:5], v[36:37], -v[4:5]
	scratch_store_b128 off, v[2:5], off offset:576
	v_cmpx_lt_u32_e32 35, v154
	s_cbranch_execz .LBB119_279
; %bb.278:
	scratch_load_b32 v2, off, off offset:896 ; 4-byte Folded Reload
	v_mov_b32_e32 v3, v1
	v_mov_b32_e32 v4, v1
	s_waitcnt vmcnt(0)
	scratch_load_b128 v[5:8], v2, off
	v_mov_b32_e32 v2, v1
	scratch_store_b128 off, v[1:4], off offset:560
	s_waitcnt vmcnt(0)
	ds_store_b128 v210, v[5:8]
.LBB119_279:
	s_or_b32 exec_lo, exec_lo, s2
	s_waitcnt lgkmcnt(0)
	s_waitcnt_vscnt null, 0x0
	s_barrier
	buffer_gl0_inv
	s_clause 0x7
	scratch_load_b128 v[2:5], off, off offset:576
	scratch_load_b128 v[6:9], off, off offset:592
	;; [unrolled: 1-line block ×8, first 2 shown]
	ds_load_b128 v[34:37], v1 offset:1472
	ds_load_b128 v[167:170], v1 offset:1488
	s_clause 0x1
	scratch_load_b128 v[38:41], off, off offset:704
	scratch_load_b128 v[171:174], off, off offset:720
	s_mov_b32 s2, exec_lo
	s_waitcnt vmcnt(9) lgkmcnt(1)
	v_mul_f64 v[44:45], v[36:37], v[4:5]
	v_mul_f64 v[4:5], v[34:35], v[4:5]
	s_waitcnt vmcnt(8) lgkmcnt(0)
	v_mul_f64 v[46:47], v[167:168], v[8:9]
	v_mul_f64 v[8:9], v[169:170], v[8:9]
	s_delay_alu instid0(VALU_DEP_4) | instskip(NEXT) | instid1(VALU_DEP_4)
	v_fma_f64 v[44:45], v[34:35], v[2:3], -v[44:45]
	v_fma_f64 v[48:49], v[36:37], v[2:3], v[4:5]
	ds_load_b128 v[2:5], v1 offset:1504
	scratch_load_b128 v[34:37], off, off offset:736
	v_fma_f64 v[46:47], v[169:170], v[6:7], v[46:47]
	v_fma_f64 v[175:176], v[167:168], v[6:7], -v[8:9]
	ds_load_b128 v[6:9], v1 offset:1520
	scratch_load_b128 v[167:170], off, off offset:752
	s_waitcnt vmcnt(9) lgkmcnt(1)
	v_mul_f64 v[156:157], v[2:3], v[12:13]
	v_mul_f64 v[12:13], v[4:5], v[12:13]
	s_waitcnt vmcnt(8) lgkmcnt(0)
	v_mul_f64 v[177:178], v[6:7], v[16:17]
	v_mul_f64 v[16:17], v[8:9], v[16:17]
	v_add_f64 v[44:45], v[44:45], 0
	v_add_f64 v[48:49], v[48:49], 0
	v_fma_f64 v[156:157], v[4:5], v[10:11], v[156:157]
	v_fma_f64 v[179:180], v[2:3], v[10:11], -v[12:13]
	scratch_load_b128 v[10:13], off, off offset:768
	ds_load_b128 v[2:5], v1 offset:1536
	v_add_f64 v[44:45], v[44:45], v[175:176]
	v_add_f64 v[46:47], v[48:49], v[46:47]
	v_fma_f64 v[175:176], v[8:9], v[14:15], v[177:178]
	v_fma_f64 v[177:178], v[6:7], v[14:15], -v[16:17]
	ds_load_b128 v[6:9], v1 offset:1552
	scratch_load_b128 v[14:17], off, off offset:784
	s_waitcnt vmcnt(9) lgkmcnt(1)
	v_mul_f64 v[48:49], v[2:3], v[20:21]
	v_mul_f64 v[20:21], v[4:5], v[20:21]
	v_add_f64 v[44:45], v[44:45], v[179:180]
	v_add_f64 v[46:47], v[46:47], v[156:157]
	s_waitcnt vmcnt(8) lgkmcnt(0)
	v_mul_f64 v[156:157], v[6:7], v[24:25]
	v_mul_f64 v[24:25], v[8:9], v[24:25]
	v_fma_f64 v[48:49], v[4:5], v[18:19], v[48:49]
	v_fma_f64 v[179:180], v[2:3], v[18:19], -v[20:21]
	scratch_load_b128 v[18:21], off, off offset:800
	ds_load_b128 v[2:5], v1 offset:1568
	v_add_f64 v[44:45], v[44:45], v[177:178]
	v_add_f64 v[46:47], v[46:47], v[175:176]
	v_fma_f64 v[156:157], v[8:9], v[22:23], v[156:157]
	v_fma_f64 v[177:178], v[6:7], v[22:23], -v[24:25]
	ds_load_b128 v[6:9], v1 offset:1584
	s_waitcnt vmcnt(8) lgkmcnt(1)
	v_mul_f64 v[175:176], v[2:3], v[28:29]
	v_mul_f64 v[28:29], v[4:5], v[28:29]
	scratch_load_b128 v[22:25], off, off offset:816
	v_add_f64 v[44:45], v[44:45], v[179:180]
	v_add_f64 v[46:47], v[46:47], v[48:49]
	s_waitcnt vmcnt(8) lgkmcnt(0)
	v_mul_f64 v[48:49], v[6:7], v[32:33]
	v_mul_f64 v[32:33], v[8:9], v[32:33]
	v_fma_f64 v[175:176], v[4:5], v[26:27], v[175:176]
	v_fma_f64 v[179:180], v[2:3], v[26:27], -v[28:29]
	scratch_load_b128 v[26:29], off, off offset:832
	ds_load_b128 v[2:5], v1 offset:1600
	v_add_f64 v[44:45], v[44:45], v[177:178]
	v_add_f64 v[46:47], v[46:47], v[156:157]
	v_fma_f64 v[48:49], v[8:9], v[30:31], v[48:49]
	v_fma_f64 v[177:178], v[6:7], v[30:31], -v[32:33]
	ds_load_b128 v[6:9], v1 offset:1616
	s_waitcnt vmcnt(8) lgkmcnt(1)
	v_mul_f64 v[156:157], v[2:3], v[40:41]
	v_mul_f64 v[40:41], v[4:5], v[40:41]
	scratch_load_b128 v[30:33], off, off offset:848
	v_add_f64 v[44:45], v[44:45], v[179:180]
	v_add_f64 v[46:47], v[46:47], v[175:176]
	s_waitcnt vmcnt(8) lgkmcnt(0)
	v_mul_f64 v[175:176], v[6:7], v[173:174]
	v_mul_f64 v[173:174], v[8:9], v[173:174]
	v_fma_f64 v[156:157], v[4:5], v[38:39], v[156:157]
	v_fma_f64 v[179:180], v[2:3], v[38:39], -v[40:41]
	scratch_load_b128 v[38:41], off, off offset:864
	ds_load_b128 v[2:5], v1 offset:1632
	v_add_f64 v[44:45], v[44:45], v[177:178]
	v_add_f64 v[46:47], v[46:47], v[48:49]
	v_fma_f64 v[175:176], v[8:9], v[171:172], v[175:176]
	v_fma_f64 v[177:178], v[6:7], v[171:172], -v[173:174]
	ds_load_b128 v[6:9], v1 offset:1648
	scratch_load_b128 v[171:174], off, off offset:880
	s_waitcnt vmcnt(9) lgkmcnt(1)
	v_mul_f64 v[48:49], v[2:3], v[36:37]
	v_mul_f64 v[36:37], v[4:5], v[36:37]
	v_add_f64 v[44:45], v[44:45], v[179:180]
	v_add_f64 v[46:47], v[46:47], v[156:157]
	s_delay_alu instid0(VALU_DEP_4) | instskip(NEXT) | instid1(VALU_DEP_4)
	v_fma_f64 v[48:49], v[4:5], v[34:35], v[48:49]
	v_fma_f64 v[34:35], v[2:3], v[34:35], -v[36:37]
	ds_load_b128 v[2:5], v1 offset:1664
	v_add_f64 v[36:37], v[44:45], v[177:178]
	v_add_f64 v[44:45], v[46:47], v[175:176]
	s_waitcnt vmcnt(7) lgkmcnt(0)
	v_mul_f64 v[46:47], v[2:3], v[12:13]
	v_mul_f64 v[12:13], v[4:5], v[12:13]
	s_delay_alu instid0(VALU_DEP_4) | instskip(NEXT) | instid1(VALU_DEP_4)
	v_add_f64 v[34:35], v[36:37], v[34:35]
	v_add_f64 v[36:37], v[44:45], v[48:49]
	s_delay_alu instid0(VALU_DEP_4) | instskip(NEXT) | instid1(VALU_DEP_4)
	v_fma_f64 v[46:47], v[4:5], v[10:11], v[46:47]
	v_fma_f64 v[48:49], v[2:3], v[10:11], -v[12:13]
	scratch_load_b128 v[10:13], off, off offset:560
	v_mul_f64 v[156:157], v[6:7], v[169:170]
	v_mul_f64 v[169:170], v[8:9], v[169:170]
	ds_load_b128 v[2:5], v1 offset:1696
	v_fma_f64 v[156:157], v[8:9], v[167:168], v[156:157]
	v_fma_f64 v[167:168], v[6:7], v[167:168], -v[169:170]
	ds_load_b128 v[6:9], v1 offset:1680
	s_waitcnt vmcnt(7) lgkmcnt(0)
	v_mul_f64 v[44:45], v[6:7], v[16:17]
	v_mul_f64 v[16:17], v[8:9], v[16:17]
	v_add_f64 v[36:37], v[36:37], v[156:157]
	v_add_f64 v[34:35], v[34:35], v[167:168]
	s_waitcnt vmcnt(6)
	v_mul_f64 v[156:157], v[2:3], v[20:21]
	v_mul_f64 v[20:21], v[4:5], v[20:21]
	v_fma_f64 v[44:45], v[8:9], v[14:15], v[44:45]
	v_fma_f64 v[14:15], v[6:7], v[14:15], -v[16:17]
	ds_load_b128 v[6:9], v1 offset:1712
	v_add_f64 v[16:17], v[34:35], v[48:49]
	v_add_f64 v[34:35], v[36:37], v[46:47]
	v_fma_f64 v[46:47], v[4:5], v[18:19], v[156:157]
	v_fma_f64 v[18:19], v[2:3], v[18:19], -v[20:21]
	ds_load_b128 v[2:5], v1 offset:1728
	s_waitcnt vmcnt(5) lgkmcnt(1)
	v_mul_f64 v[36:37], v[6:7], v[24:25]
	v_mul_f64 v[24:25], v[8:9], v[24:25]
	s_waitcnt vmcnt(4) lgkmcnt(0)
	v_mul_f64 v[20:21], v[2:3], v[28:29]
	v_mul_f64 v[28:29], v[4:5], v[28:29]
	v_add_f64 v[14:15], v[16:17], v[14:15]
	v_add_f64 v[16:17], v[34:35], v[44:45]
	v_fma_f64 v[34:35], v[8:9], v[22:23], v[36:37]
	v_fma_f64 v[22:23], v[6:7], v[22:23], -v[24:25]
	ds_load_b128 v[6:9], v1 offset:1744
	v_fma_f64 v[20:21], v[4:5], v[26:27], v[20:21]
	v_fma_f64 v[26:27], v[2:3], v[26:27], -v[28:29]
	ds_load_b128 v[2:5], v1 offset:1760
	s_waitcnt vmcnt(3) lgkmcnt(1)
	v_mul_f64 v[24:25], v[8:9], v[32:33]
	v_add_f64 v[14:15], v[14:15], v[18:19]
	v_add_f64 v[16:17], v[16:17], v[46:47]
	v_mul_f64 v[18:19], v[6:7], v[32:33]
	s_waitcnt vmcnt(2) lgkmcnt(0)
	v_mul_f64 v[28:29], v[4:5], v[40:41]
	v_fma_f64 v[24:25], v[6:7], v[30:31], -v[24:25]
	v_add_f64 v[14:15], v[14:15], v[22:23]
	v_add_f64 v[16:17], v[16:17], v[34:35]
	v_mul_f64 v[22:23], v[2:3], v[40:41]
	v_fma_f64 v[18:19], v[8:9], v[30:31], v[18:19]
	ds_load_b128 v[6:9], v1 offset:1776
	v_fma_f64 v[1:2], v[2:3], v[38:39], -v[28:29]
	v_add_f64 v[14:15], v[14:15], v[26:27]
	v_add_f64 v[16:17], v[16:17], v[20:21]
	s_waitcnt vmcnt(1) lgkmcnt(0)
	v_mul_f64 v[20:21], v[6:7], v[173:174]
	v_mul_f64 v[26:27], v[8:9], v[173:174]
	v_fma_f64 v[4:5], v[4:5], v[38:39], v[22:23]
	v_add_f64 v[14:15], v[14:15], v[24:25]
	v_add_f64 v[16:17], v[16:17], v[18:19]
	v_fma_f64 v[8:9], v[8:9], v[171:172], v[20:21]
	v_fma_f64 v[6:7], v[6:7], v[171:172], -v[26:27]
	s_delay_alu instid0(VALU_DEP_4) | instskip(NEXT) | instid1(VALU_DEP_4)
	v_add_f64 v[1:2], v[14:15], v[1:2]
	v_add_f64 v[3:4], v[16:17], v[4:5]
	s_delay_alu instid0(VALU_DEP_2) | instskip(NEXT) | instid1(VALU_DEP_2)
	v_add_f64 v[1:2], v[1:2], v[6:7]
	v_add_f64 v[3:4], v[3:4], v[8:9]
	s_waitcnt vmcnt(0)
	s_delay_alu instid0(VALU_DEP_2) | instskip(NEXT) | instid1(VALU_DEP_2)
	v_add_f64 v[1:2], v[10:11], -v[1:2]
	v_add_f64 v[3:4], v[12:13], -v[3:4]
	scratch_store_b128 off, v[1:4], off offset:560
	v_cmpx_lt_u32_e32 34, v154
	s_cbranch_execz .LBB119_281
; %bb.280:
	scratch_load_b128 v[1:4], v232, off
	v_mov_b32_e32 v5, 0
	s_delay_alu instid0(VALU_DEP_1)
	v_mov_b32_e32 v6, v5
	v_mov_b32_e32 v7, v5
	;; [unrolled: 1-line block ×3, first 2 shown]
	scratch_store_b128 off, v[5:8], off offset:544
	s_waitcnt vmcnt(0)
	ds_store_b128 v210, v[1:4]
.LBB119_281:
	s_or_b32 exec_lo, exec_lo, s2
	s_waitcnt lgkmcnt(0)
	s_waitcnt_vscnt null, 0x0
	s_barrier
	buffer_gl0_inv
	s_clause 0x7
	scratch_load_b128 v[2:5], off, off offset:560
	scratch_load_b128 v[6:9], off, off offset:576
	;; [unrolled: 1-line block ×8, first 2 shown]
	v_mov_b32_e32 v1, 0
	s_clause 0x1
	scratch_load_b128 v[38:41], off, off offset:688
	scratch_load_b128 v[171:174], off, off offset:704
	s_mov_b32 s2, exec_lo
	ds_load_b128 v[34:37], v1 offset:1456
	ds_load_b128 v[167:170], v1 offset:1472
	s_waitcnt vmcnt(9) lgkmcnt(1)
	v_mul_f64 v[44:45], v[36:37], v[4:5]
	v_mul_f64 v[4:5], v[34:35], v[4:5]
	s_waitcnt vmcnt(8) lgkmcnt(0)
	v_mul_f64 v[46:47], v[167:168], v[8:9]
	v_mul_f64 v[8:9], v[169:170], v[8:9]
	s_delay_alu instid0(VALU_DEP_4) | instskip(NEXT) | instid1(VALU_DEP_4)
	v_fma_f64 v[44:45], v[34:35], v[2:3], -v[44:45]
	v_fma_f64 v[48:49], v[36:37], v[2:3], v[4:5]
	ds_load_b128 v[2:5], v1 offset:1488
	scratch_load_b128 v[34:37], off, off offset:720
	v_fma_f64 v[46:47], v[169:170], v[6:7], v[46:47]
	v_fma_f64 v[175:176], v[167:168], v[6:7], -v[8:9]
	scratch_load_b128 v[167:170], off, off offset:736
	ds_load_b128 v[6:9], v1 offset:1504
	s_waitcnt vmcnt(9) lgkmcnt(1)
	v_mul_f64 v[156:157], v[2:3], v[12:13]
	v_mul_f64 v[12:13], v[4:5], v[12:13]
	s_waitcnt vmcnt(8) lgkmcnt(0)
	v_mul_f64 v[177:178], v[6:7], v[16:17]
	v_mul_f64 v[16:17], v[8:9], v[16:17]
	v_add_f64 v[44:45], v[44:45], 0
	v_add_f64 v[48:49], v[48:49], 0
	v_fma_f64 v[156:157], v[4:5], v[10:11], v[156:157]
	v_fma_f64 v[179:180], v[2:3], v[10:11], -v[12:13]
	ds_load_b128 v[2:5], v1 offset:1520
	scratch_load_b128 v[10:13], off, off offset:752
	v_add_f64 v[44:45], v[44:45], v[175:176]
	v_add_f64 v[46:47], v[48:49], v[46:47]
	v_fma_f64 v[175:176], v[8:9], v[14:15], v[177:178]
	v_fma_f64 v[177:178], v[6:7], v[14:15], -v[16:17]
	scratch_load_b128 v[14:17], off, off offset:768
	ds_load_b128 v[6:9], v1 offset:1536
	s_waitcnt vmcnt(9) lgkmcnt(1)
	v_mul_f64 v[48:49], v[2:3], v[20:21]
	v_mul_f64 v[20:21], v[4:5], v[20:21]
	v_add_f64 v[44:45], v[44:45], v[179:180]
	v_add_f64 v[46:47], v[46:47], v[156:157]
	s_waitcnt vmcnt(8) lgkmcnt(0)
	v_mul_f64 v[156:157], v[6:7], v[24:25]
	v_mul_f64 v[24:25], v[8:9], v[24:25]
	v_fma_f64 v[48:49], v[4:5], v[18:19], v[48:49]
	v_fma_f64 v[179:180], v[2:3], v[18:19], -v[20:21]
	ds_load_b128 v[2:5], v1 offset:1552
	scratch_load_b128 v[18:21], off, off offset:784
	v_add_f64 v[44:45], v[44:45], v[177:178]
	v_add_f64 v[46:47], v[46:47], v[175:176]
	v_fma_f64 v[156:157], v[8:9], v[22:23], v[156:157]
	v_fma_f64 v[177:178], v[6:7], v[22:23], -v[24:25]
	ds_load_b128 v[6:9], v1 offset:1568
	s_waitcnt vmcnt(8) lgkmcnt(1)
	v_mul_f64 v[175:176], v[2:3], v[28:29]
	v_mul_f64 v[28:29], v[4:5], v[28:29]
	scratch_load_b128 v[22:25], off, off offset:800
	v_add_f64 v[44:45], v[44:45], v[179:180]
	v_add_f64 v[46:47], v[46:47], v[48:49]
	s_waitcnt vmcnt(8) lgkmcnt(0)
	v_mul_f64 v[48:49], v[6:7], v[32:33]
	v_mul_f64 v[32:33], v[8:9], v[32:33]
	v_fma_f64 v[175:176], v[4:5], v[26:27], v[175:176]
	v_fma_f64 v[179:180], v[2:3], v[26:27], -v[28:29]
	scratch_load_b128 v[26:29], off, off offset:816
	ds_load_b128 v[2:5], v1 offset:1584
	v_add_f64 v[44:45], v[44:45], v[177:178]
	v_add_f64 v[46:47], v[46:47], v[156:157]
	v_fma_f64 v[48:49], v[8:9], v[30:31], v[48:49]
	v_fma_f64 v[177:178], v[6:7], v[30:31], -v[32:33]
	ds_load_b128 v[6:9], v1 offset:1600
	s_waitcnt vmcnt(8) lgkmcnt(1)
	v_mul_f64 v[156:157], v[2:3], v[40:41]
	v_mul_f64 v[40:41], v[4:5], v[40:41]
	scratch_load_b128 v[30:33], off, off offset:832
	v_add_f64 v[44:45], v[44:45], v[179:180]
	v_add_f64 v[46:47], v[46:47], v[175:176]
	s_waitcnt vmcnt(8) lgkmcnt(0)
	v_mul_f64 v[175:176], v[6:7], v[173:174]
	v_mul_f64 v[173:174], v[8:9], v[173:174]
	v_fma_f64 v[156:157], v[4:5], v[38:39], v[156:157]
	v_fma_f64 v[179:180], v[2:3], v[38:39], -v[40:41]
	scratch_load_b128 v[38:41], off, off offset:848
	ds_load_b128 v[2:5], v1 offset:1616
	v_add_f64 v[44:45], v[44:45], v[177:178]
	v_add_f64 v[46:47], v[46:47], v[48:49]
	v_fma_f64 v[175:176], v[8:9], v[171:172], v[175:176]
	v_fma_f64 v[177:178], v[6:7], v[171:172], -v[173:174]
	ds_load_b128 v[6:9], v1 offset:1632
	scratch_load_b128 v[171:174], off, off offset:864
	s_waitcnt vmcnt(9) lgkmcnt(1)
	v_mul_f64 v[48:49], v[2:3], v[36:37]
	v_mul_f64 v[36:37], v[4:5], v[36:37]
	v_add_f64 v[44:45], v[44:45], v[179:180]
	v_add_f64 v[46:47], v[46:47], v[156:157]
	s_waitcnt vmcnt(8) lgkmcnt(0)
	v_mul_f64 v[156:157], v[6:7], v[169:170]
	v_mul_f64 v[169:170], v[8:9], v[169:170]
	v_fma_f64 v[48:49], v[4:5], v[34:35], v[48:49]
	v_fma_f64 v[179:180], v[2:3], v[34:35], -v[36:37]
	scratch_load_b128 v[34:37], off, off offset:880
	ds_load_b128 v[2:5], v1 offset:1648
	v_add_f64 v[44:45], v[44:45], v[177:178]
	v_add_f64 v[46:47], v[46:47], v[175:176]
	v_fma_f64 v[156:157], v[8:9], v[167:168], v[156:157]
	v_fma_f64 v[167:168], v[6:7], v[167:168], -v[169:170]
	ds_load_b128 v[6:9], v1 offset:1664
	s_waitcnt vmcnt(8) lgkmcnt(1)
	v_mul_f64 v[175:176], v[2:3], v[12:13]
	v_mul_f64 v[12:13], v[4:5], v[12:13]
	v_add_f64 v[44:45], v[44:45], v[179:180]
	v_add_f64 v[46:47], v[46:47], v[48:49]
	s_waitcnt vmcnt(7) lgkmcnt(0)
	v_mul_f64 v[48:49], v[6:7], v[16:17]
	v_mul_f64 v[16:17], v[8:9], v[16:17]
	v_fma_f64 v[169:170], v[4:5], v[10:11], v[175:176]
	v_fma_f64 v[10:11], v[2:3], v[10:11], -v[12:13]
	ds_load_b128 v[2:5], v1 offset:1680
	v_add_f64 v[12:13], v[44:45], v[167:168]
	v_add_f64 v[44:45], v[46:47], v[156:157]
	v_fma_f64 v[48:49], v[8:9], v[14:15], v[48:49]
	v_fma_f64 v[14:15], v[6:7], v[14:15], -v[16:17]
	ds_load_b128 v[6:9], v1 offset:1696
	s_waitcnt vmcnt(5) lgkmcnt(0)
	v_mul_f64 v[156:157], v[6:7], v[24:25]
	v_mul_f64 v[24:25], v[8:9], v[24:25]
	v_add_f64 v[16:17], v[12:13], v[10:11]
	v_add_f64 v[44:45], v[44:45], v[169:170]
	scratch_load_b128 v[10:13], off, off offset:544
	v_mul_f64 v[46:47], v[2:3], v[20:21]
	v_mul_f64 v[20:21], v[4:5], v[20:21]
	v_add_f64 v[14:15], v[16:17], v[14:15]
	v_add_f64 v[16:17], v[44:45], v[48:49]
	v_fma_f64 v[44:45], v[8:9], v[22:23], v[156:157]
	v_fma_f64 v[46:47], v[4:5], v[18:19], v[46:47]
	v_fma_f64 v[18:19], v[2:3], v[18:19], -v[20:21]
	ds_load_b128 v[2:5], v1 offset:1712
	v_fma_f64 v[22:23], v[6:7], v[22:23], -v[24:25]
	ds_load_b128 v[6:9], v1 offset:1728
	s_waitcnt vmcnt(5) lgkmcnt(1)
	v_mul_f64 v[20:21], v[2:3], v[28:29]
	v_mul_f64 v[28:29], v[4:5], v[28:29]
	s_waitcnt vmcnt(4) lgkmcnt(0)
	v_mul_f64 v[24:25], v[8:9], v[32:33]
	v_add_f64 v[16:17], v[16:17], v[46:47]
	v_add_f64 v[14:15], v[14:15], v[18:19]
	v_mul_f64 v[18:19], v[6:7], v[32:33]
	v_fma_f64 v[20:21], v[4:5], v[26:27], v[20:21]
	v_fma_f64 v[26:27], v[2:3], v[26:27], -v[28:29]
	ds_load_b128 v[2:5], v1 offset:1744
	v_fma_f64 v[24:25], v[6:7], v[30:31], -v[24:25]
	v_add_f64 v[16:17], v[16:17], v[44:45]
	v_add_f64 v[14:15], v[14:15], v[22:23]
	v_fma_f64 v[18:19], v[8:9], v[30:31], v[18:19]
	ds_load_b128 v[6:9], v1 offset:1760
	s_waitcnt vmcnt(3) lgkmcnt(1)
	v_mul_f64 v[22:23], v[2:3], v[40:41]
	v_mul_f64 v[28:29], v[4:5], v[40:41]
	v_add_f64 v[16:17], v[16:17], v[20:21]
	v_add_f64 v[14:15], v[14:15], v[26:27]
	s_waitcnt vmcnt(2) lgkmcnt(0)
	v_mul_f64 v[20:21], v[6:7], v[173:174]
	v_mul_f64 v[26:27], v[8:9], v[173:174]
	v_fma_f64 v[22:23], v[4:5], v[38:39], v[22:23]
	v_fma_f64 v[28:29], v[2:3], v[38:39], -v[28:29]
	ds_load_b128 v[2:5], v1 offset:1776
	v_add_f64 v[16:17], v[16:17], v[18:19]
	v_add_f64 v[14:15], v[14:15], v[24:25]
	s_waitcnt vmcnt(1) lgkmcnt(0)
	v_mul_f64 v[18:19], v[2:3], v[36:37]
	v_mul_f64 v[24:25], v[4:5], v[36:37]
	v_fma_f64 v[8:9], v[8:9], v[171:172], v[20:21]
	v_fma_f64 v[6:7], v[6:7], v[171:172], -v[26:27]
	v_add_f64 v[16:17], v[16:17], v[22:23]
	v_add_f64 v[14:15], v[14:15], v[28:29]
	v_fma_f64 v[4:5], v[4:5], v[34:35], v[18:19]
	v_fma_f64 v[2:3], v[2:3], v[34:35], -v[24:25]
	s_delay_alu instid0(VALU_DEP_4) | instskip(NEXT) | instid1(VALU_DEP_4)
	v_add_f64 v[8:9], v[16:17], v[8:9]
	v_add_f64 v[6:7], v[14:15], v[6:7]
	s_delay_alu instid0(VALU_DEP_2) | instskip(NEXT) | instid1(VALU_DEP_2)
	v_add_f64 v[4:5], v[8:9], v[4:5]
	v_add_f64 v[2:3], v[6:7], v[2:3]
	s_waitcnt vmcnt(0)
	s_delay_alu instid0(VALU_DEP_2) | instskip(NEXT) | instid1(VALU_DEP_2)
	v_add_f64 v[4:5], v[12:13], -v[4:5]
	v_add_f64 v[2:3], v[10:11], -v[2:3]
	scratch_store_b128 off, v[2:5], off offset:544
	v_cmpx_lt_u32_e32 33, v154
	s_cbranch_execz .LBB119_283
; %bb.282:
	scratch_load_b32 v2, off, off offset:900 ; 4-byte Folded Reload
	v_mov_b32_e32 v3, v1
	v_mov_b32_e32 v4, v1
	s_waitcnt vmcnt(0)
	scratch_load_b128 v[5:8], v2, off
	v_mov_b32_e32 v2, v1
	scratch_store_b128 off, v[1:4], off offset:528
	s_waitcnt vmcnt(0)
	ds_store_b128 v210, v[5:8]
.LBB119_283:
	s_or_b32 exec_lo, exec_lo, s2
	s_waitcnt lgkmcnt(0)
	s_waitcnt_vscnt null, 0x0
	s_barrier
	buffer_gl0_inv
	s_clause 0x7
	scratch_load_b128 v[2:5], off, off offset:544
	scratch_load_b128 v[6:9], off, off offset:560
	;; [unrolled: 1-line block ×8, first 2 shown]
	ds_load_b128 v[34:37], v1 offset:1440
	ds_load_b128 v[167:170], v1 offset:1456
	s_clause 0x1
	scratch_load_b128 v[38:41], off, off offset:672
	scratch_load_b128 v[171:174], off, off offset:688
	s_mov_b32 s2, exec_lo
	s_waitcnt vmcnt(9) lgkmcnt(1)
	v_mul_f64 v[44:45], v[36:37], v[4:5]
	v_mul_f64 v[4:5], v[34:35], v[4:5]
	s_waitcnt vmcnt(8) lgkmcnt(0)
	v_mul_f64 v[46:47], v[167:168], v[8:9]
	v_mul_f64 v[8:9], v[169:170], v[8:9]
	s_delay_alu instid0(VALU_DEP_4) | instskip(NEXT) | instid1(VALU_DEP_4)
	v_fma_f64 v[44:45], v[34:35], v[2:3], -v[44:45]
	v_fma_f64 v[48:49], v[36:37], v[2:3], v[4:5]
	ds_load_b128 v[2:5], v1 offset:1472
	scratch_load_b128 v[34:37], off, off offset:704
	v_fma_f64 v[46:47], v[169:170], v[6:7], v[46:47]
	v_fma_f64 v[175:176], v[167:168], v[6:7], -v[8:9]
	scratch_load_b128 v[167:170], off, off offset:720
	ds_load_b128 v[6:9], v1 offset:1488
	s_waitcnt vmcnt(9) lgkmcnt(1)
	v_mul_f64 v[156:157], v[2:3], v[12:13]
	v_mul_f64 v[12:13], v[4:5], v[12:13]
	s_waitcnt vmcnt(8) lgkmcnt(0)
	v_mul_f64 v[177:178], v[6:7], v[16:17]
	v_mul_f64 v[16:17], v[8:9], v[16:17]
	v_add_f64 v[44:45], v[44:45], 0
	v_add_f64 v[48:49], v[48:49], 0
	v_fma_f64 v[156:157], v[4:5], v[10:11], v[156:157]
	v_fma_f64 v[179:180], v[2:3], v[10:11], -v[12:13]
	ds_load_b128 v[2:5], v1 offset:1504
	scratch_load_b128 v[10:13], off, off offset:736
	v_add_f64 v[44:45], v[44:45], v[175:176]
	v_add_f64 v[46:47], v[48:49], v[46:47]
	v_fma_f64 v[175:176], v[8:9], v[14:15], v[177:178]
	v_fma_f64 v[177:178], v[6:7], v[14:15], -v[16:17]
	scratch_load_b128 v[14:17], off, off offset:752
	ds_load_b128 v[6:9], v1 offset:1520
	s_waitcnt vmcnt(9) lgkmcnt(1)
	v_mul_f64 v[48:49], v[2:3], v[20:21]
	v_mul_f64 v[20:21], v[4:5], v[20:21]
	v_add_f64 v[44:45], v[44:45], v[179:180]
	v_add_f64 v[46:47], v[46:47], v[156:157]
	s_waitcnt vmcnt(8) lgkmcnt(0)
	v_mul_f64 v[156:157], v[6:7], v[24:25]
	v_mul_f64 v[24:25], v[8:9], v[24:25]
	v_fma_f64 v[48:49], v[4:5], v[18:19], v[48:49]
	v_fma_f64 v[179:180], v[2:3], v[18:19], -v[20:21]
	ds_load_b128 v[2:5], v1 offset:1536
	scratch_load_b128 v[18:21], off, off offset:768
	v_add_f64 v[44:45], v[44:45], v[177:178]
	v_add_f64 v[46:47], v[46:47], v[175:176]
	v_fma_f64 v[156:157], v[8:9], v[22:23], v[156:157]
	v_fma_f64 v[177:178], v[6:7], v[22:23], -v[24:25]
	ds_load_b128 v[6:9], v1 offset:1552
	s_waitcnt vmcnt(8) lgkmcnt(1)
	v_mul_f64 v[175:176], v[2:3], v[28:29]
	v_mul_f64 v[28:29], v[4:5], v[28:29]
	scratch_load_b128 v[22:25], off, off offset:784
	v_add_f64 v[44:45], v[44:45], v[179:180]
	v_add_f64 v[46:47], v[46:47], v[48:49]
	s_waitcnt vmcnt(8) lgkmcnt(0)
	v_mul_f64 v[48:49], v[6:7], v[32:33]
	v_mul_f64 v[32:33], v[8:9], v[32:33]
	v_fma_f64 v[175:176], v[4:5], v[26:27], v[175:176]
	v_fma_f64 v[179:180], v[2:3], v[26:27], -v[28:29]
	ds_load_b128 v[2:5], v1 offset:1568
	scratch_load_b128 v[26:29], off, off offset:800
	v_add_f64 v[44:45], v[44:45], v[177:178]
	v_add_f64 v[46:47], v[46:47], v[156:157]
	v_fma_f64 v[48:49], v[8:9], v[30:31], v[48:49]
	v_fma_f64 v[177:178], v[6:7], v[30:31], -v[32:33]
	ds_load_b128 v[6:9], v1 offset:1584
	s_waitcnt vmcnt(8) lgkmcnt(1)
	v_mul_f64 v[156:157], v[2:3], v[40:41]
	v_mul_f64 v[40:41], v[4:5], v[40:41]
	scratch_load_b128 v[30:33], off, off offset:816
	v_add_f64 v[44:45], v[44:45], v[179:180]
	v_add_f64 v[46:47], v[46:47], v[175:176]
	s_waitcnt vmcnt(8) lgkmcnt(0)
	v_mul_f64 v[175:176], v[6:7], v[173:174]
	v_mul_f64 v[173:174], v[8:9], v[173:174]
	v_fma_f64 v[156:157], v[4:5], v[38:39], v[156:157]
	v_fma_f64 v[179:180], v[2:3], v[38:39], -v[40:41]
	scratch_load_b128 v[38:41], off, off offset:832
	ds_load_b128 v[2:5], v1 offset:1600
	v_add_f64 v[44:45], v[44:45], v[177:178]
	v_add_f64 v[46:47], v[46:47], v[48:49]
	v_fma_f64 v[175:176], v[8:9], v[171:172], v[175:176]
	v_fma_f64 v[177:178], v[6:7], v[171:172], -v[173:174]
	ds_load_b128 v[6:9], v1 offset:1616
	scratch_load_b128 v[171:174], off, off offset:848
	s_waitcnt vmcnt(9) lgkmcnt(1)
	v_mul_f64 v[48:49], v[2:3], v[36:37]
	v_mul_f64 v[36:37], v[4:5], v[36:37]
	v_add_f64 v[44:45], v[44:45], v[179:180]
	v_add_f64 v[46:47], v[46:47], v[156:157]
	s_waitcnt vmcnt(8) lgkmcnt(0)
	v_mul_f64 v[156:157], v[6:7], v[169:170]
	v_mul_f64 v[169:170], v[8:9], v[169:170]
	v_fma_f64 v[48:49], v[4:5], v[34:35], v[48:49]
	v_fma_f64 v[179:180], v[2:3], v[34:35], -v[36:37]
	scratch_load_b128 v[34:37], off, off offset:864
	ds_load_b128 v[2:5], v1 offset:1632
	v_add_f64 v[44:45], v[44:45], v[177:178]
	v_add_f64 v[46:47], v[46:47], v[175:176]
	v_fma_f64 v[156:157], v[8:9], v[167:168], v[156:157]
	v_fma_f64 v[177:178], v[6:7], v[167:168], -v[169:170]
	ds_load_b128 v[6:9], v1 offset:1648
	s_waitcnt vmcnt(8) lgkmcnt(1)
	v_mul_f64 v[175:176], v[2:3], v[12:13]
	v_mul_f64 v[12:13], v[4:5], v[12:13]
	scratch_load_b128 v[167:170], off, off offset:880
	v_add_f64 v[44:45], v[44:45], v[179:180]
	v_add_f64 v[46:47], v[46:47], v[48:49]
	s_waitcnt vmcnt(8) lgkmcnt(0)
	v_mul_f64 v[48:49], v[6:7], v[16:17]
	v_mul_f64 v[16:17], v[8:9], v[16:17]
	v_fma_f64 v[175:176], v[4:5], v[10:11], v[175:176]
	v_fma_f64 v[10:11], v[2:3], v[10:11], -v[12:13]
	ds_load_b128 v[2:5], v1 offset:1664
	v_add_f64 v[12:13], v[44:45], v[177:178]
	v_add_f64 v[44:45], v[46:47], v[156:157]
	v_fma_f64 v[48:49], v[8:9], v[14:15], v[48:49]
	v_fma_f64 v[14:15], v[6:7], v[14:15], -v[16:17]
	ds_load_b128 v[6:9], v1 offset:1680
	s_waitcnt vmcnt(7) lgkmcnt(1)
	v_mul_f64 v[46:47], v[2:3], v[20:21]
	v_mul_f64 v[20:21], v[4:5], v[20:21]
	v_add_f64 v[10:11], v[12:13], v[10:11]
	v_add_f64 v[12:13], v[44:45], v[175:176]
	s_delay_alu instid0(VALU_DEP_4) | instskip(NEXT) | instid1(VALU_DEP_4)
	v_fma_f64 v[44:45], v[4:5], v[18:19], v[46:47]
	v_fma_f64 v[18:19], v[2:3], v[18:19], -v[20:21]
	ds_load_b128 v[2:5], v1 offset:1696
	v_add_f64 v[14:15], v[10:11], v[14:15]
	v_add_f64 v[20:21], v[12:13], v[48:49]
	scratch_load_b128 v[10:13], off, off offset:528
	s_waitcnt vmcnt(7) lgkmcnt(1)
	v_mul_f64 v[16:17], v[6:7], v[24:25]
	v_mul_f64 v[24:25], v[8:9], v[24:25]
	v_add_f64 v[14:15], v[14:15], v[18:19]
	v_add_f64 v[18:19], v[20:21], v[44:45]
	s_delay_alu instid0(VALU_DEP_4) | instskip(NEXT) | instid1(VALU_DEP_4)
	v_fma_f64 v[16:17], v[8:9], v[22:23], v[16:17]
	v_fma_f64 v[22:23], v[6:7], v[22:23], -v[24:25]
	ds_load_b128 v[6:9], v1 offset:1712
	s_waitcnt vmcnt(6) lgkmcnt(1)
	v_mul_f64 v[46:47], v[2:3], v[28:29]
	v_mul_f64 v[28:29], v[4:5], v[28:29]
	s_waitcnt vmcnt(5) lgkmcnt(0)
	v_mul_f64 v[20:21], v[6:7], v[32:33]
	v_mul_f64 v[24:25], v[8:9], v[32:33]
	v_add_f64 v[16:17], v[18:19], v[16:17]
	v_add_f64 v[14:15], v[14:15], v[22:23]
	v_fma_f64 v[32:33], v[4:5], v[26:27], v[46:47]
	v_fma_f64 v[26:27], v[2:3], v[26:27], -v[28:29]
	ds_load_b128 v[2:5], v1 offset:1728
	v_fma_f64 v[20:21], v[8:9], v[30:31], v[20:21]
	v_fma_f64 v[24:25], v[6:7], v[30:31], -v[24:25]
	ds_load_b128 v[6:9], v1 offset:1744
	s_waitcnt vmcnt(4) lgkmcnt(1)
	v_mul_f64 v[18:19], v[2:3], v[40:41]
	v_mul_f64 v[22:23], v[4:5], v[40:41]
	v_add_f64 v[16:17], v[16:17], v[32:33]
	v_add_f64 v[14:15], v[14:15], v[26:27]
	s_waitcnt vmcnt(3) lgkmcnt(0)
	v_mul_f64 v[26:27], v[6:7], v[173:174]
	v_mul_f64 v[28:29], v[8:9], v[173:174]
	v_fma_f64 v[18:19], v[4:5], v[38:39], v[18:19]
	v_fma_f64 v[22:23], v[2:3], v[38:39], -v[22:23]
	ds_load_b128 v[2:5], v1 offset:1760
	v_add_f64 v[16:17], v[16:17], v[20:21]
	v_add_f64 v[14:15], v[14:15], v[24:25]
	v_fma_f64 v[26:27], v[8:9], v[171:172], v[26:27]
	v_fma_f64 v[28:29], v[6:7], v[171:172], -v[28:29]
	ds_load_b128 v[6:9], v1 offset:1776
	s_waitcnt vmcnt(2) lgkmcnt(1)
	v_mul_f64 v[20:21], v[2:3], v[36:37]
	v_mul_f64 v[24:25], v[4:5], v[36:37]
	v_add_f64 v[16:17], v[16:17], v[18:19]
	v_add_f64 v[14:15], v[14:15], v[22:23]
	s_waitcnt vmcnt(1) lgkmcnt(0)
	v_mul_f64 v[18:19], v[6:7], v[169:170]
	v_mul_f64 v[22:23], v[8:9], v[169:170]
	v_fma_f64 v[4:5], v[4:5], v[34:35], v[20:21]
	v_fma_f64 v[1:2], v[2:3], v[34:35], -v[24:25]
	v_add_f64 v[16:17], v[16:17], v[26:27]
	v_add_f64 v[14:15], v[14:15], v[28:29]
	v_fma_f64 v[8:9], v[8:9], v[167:168], v[18:19]
	v_fma_f64 v[6:7], v[6:7], v[167:168], -v[22:23]
	s_delay_alu instid0(VALU_DEP_4) | instskip(NEXT) | instid1(VALU_DEP_4)
	v_add_f64 v[3:4], v[16:17], v[4:5]
	v_add_f64 v[1:2], v[14:15], v[1:2]
	s_delay_alu instid0(VALU_DEP_2) | instskip(NEXT) | instid1(VALU_DEP_2)
	v_add_f64 v[3:4], v[3:4], v[8:9]
	v_add_f64 v[1:2], v[1:2], v[6:7]
	s_waitcnt vmcnt(0)
	s_delay_alu instid0(VALU_DEP_2) | instskip(NEXT) | instid1(VALU_DEP_2)
	v_add_f64 v[3:4], v[12:13], -v[3:4]
	v_add_f64 v[1:2], v[10:11], -v[1:2]
	scratch_store_b128 off, v[1:4], off offset:528
	v_cmpx_lt_u32_e32 32, v154
	s_cbranch_execz .LBB119_285
; %bb.284:
	scratch_load_b128 v[1:4], v212, off
	v_mov_b32_e32 v5, 0
	s_delay_alu instid0(VALU_DEP_1)
	v_mov_b32_e32 v6, v5
	v_mov_b32_e32 v7, v5
	;; [unrolled: 1-line block ×3, first 2 shown]
	scratch_store_b128 off, v[5:8], off offset:512
	s_waitcnt vmcnt(0)
	ds_store_b128 v210, v[1:4]
.LBB119_285:
	s_or_b32 exec_lo, exec_lo, s2
	s_waitcnt lgkmcnt(0)
	s_waitcnt_vscnt null, 0x0
	s_barrier
	buffer_gl0_inv
	s_clause 0x7
	scratch_load_b128 v[2:5], off, off offset:528
	scratch_load_b128 v[6:9], off, off offset:544
	;; [unrolled: 1-line block ×8, first 2 shown]
	v_mov_b32_e32 v1, 0
	s_clause 0x1
	scratch_load_b128 v[38:41], off, off offset:656
	scratch_load_b128 v[171:174], off, off offset:672
	s_mov_b32 s2, exec_lo
	ds_load_b128 v[34:37], v1 offset:1424
	ds_load_b128 v[167:170], v1 offset:1440
	s_waitcnt vmcnt(9) lgkmcnt(1)
	v_mul_f64 v[44:45], v[36:37], v[4:5]
	v_mul_f64 v[4:5], v[34:35], v[4:5]
	s_waitcnt vmcnt(8) lgkmcnt(0)
	v_mul_f64 v[46:47], v[167:168], v[8:9]
	v_mul_f64 v[8:9], v[169:170], v[8:9]
	s_delay_alu instid0(VALU_DEP_4) | instskip(NEXT) | instid1(VALU_DEP_4)
	v_fma_f64 v[44:45], v[34:35], v[2:3], -v[44:45]
	v_fma_f64 v[48:49], v[36:37], v[2:3], v[4:5]
	ds_load_b128 v[2:5], v1 offset:1456
	scratch_load_b128 v[34:37], off, off offset:688
	v_fma_f64 v[46:47], v[169:170], v[6:7], v[46:47]
	v_fma_f64 v[175:176], v[167:168], v[6:7], -v[8:9]
	scratch_load_b128 v[167:170], off, off offset:704
	ds_load_b128 v[6:9], v1 offset:1472
	s_waitcnt vmcnt(9) lgkmcnt(1)
	v_mul_f64 v[156:157], v[2:3], v[12:13]
	v_mul_f64 v[12:13], v[4:5], v[12:13]
	s_waitcnt vmcnt(8) lgkmcnt(0)
	v_mul_f64 v[177:178], v[6:7], v[16:17]
	v_mul_f64 v[16:17], v[8:9], v[16:17]
	v_add_f64 v[44:45], v[44:45], 0
	v_add_f64 v[48:49], v[48:49], 0
	v_fma_f64 v[156:157], v[4:5], v[10:11], v[156:157]
	v_fma_f64 v[179:180], v[2:3], v[10:11], -v[12:13]
	ds_load_b128 v[2:5], v1 offset:1488
	scratch_load_b128 v[10:13], off, off offset:720
	v_add_f64 v[44:45], v[44:45], v[175:176]
	v_add_f64 v[46:47], v[48:49], v[46:47]
	v_fma_f64 v[175:176], v[8:9], v[14:15], v[177:178]
	v_fma_f64 v[177:178], v[6:7], v[14:15], -v[16:17]
	scratch_load_b128 v[14:17], off, off offset:736
	ds_load_b128 v[6:9], v1 offset:1504
	s_waitcnt vmcnt(9) lgkmcnt(1)
	v_mul_f64 v[48:49], v[2:3], v[20:21]
	v_mul_f64 v[20:21], v[4:5], v[20:21]
	v_add_f64 v[44:45], v[44:45], v[179:180]
	v_add_f64 v[46:47], v[46:47], v[156:157]
	s_waitcnt vmcnt(8) lgkmcnt(0)
	v_mul_f64 v[156:157], v[6:7], v[24:25]
	v_mul_f64 v[24:25], v[8:9], v[24:25]
	v_fma_f64 v[48:49], v[4:5], v[18:19], v[48:49]
	v_fma_f64 v[179:180], v[2:3], v[18:19], -v[20:21]
	ds_load_b128 v[2:5], v1 offset:1520
	scratch_load_b128 v[18:21], off, off offset:752
	v_add_f64 v[44:45], v[44:45], v[177:178]
	v_add_f64 v[46:47], v[46:47], v[175:176]
	v_fma_f64 v[156:157], v[8:9], v[22:23], v[156:157]
	v_fma_f64 v[177:178], v[6:7], v[22:23], -v[24:25]
	scratch_load_b128 v[22:25], off, off offset:768
	ds_load_b128 v[6:9], v1 offset:1536
	s_waitcnt vmcnt(9) lgkmcnt(1)
	v_mul_f64 v[175:176], v[2:3], v[28:29]
	v_mul_f64 v[28:29], v[4:5], v[28:29]
	v_add_f64 v[44:45], v[44:45], v[179:180]
	v_add_f64 v[46:47], v[46:47], v[48:49]
	s_waitcnt vmcnt(8) lgkmcnt(0)
	v_mul_f64 v[48:49], v[6:7], v[32:33]
	v_mul_f64 v[32:33], v[8:9], v[32:33]
	v_fma_f64 v[175:176], v[4:5], v[26:27], v[175:176]
	v_fma_f64 v[179:180], v[2:3], v[26:27], -v[28:29]
	ds_load_b128 v[2:5], v1 offset:1552
	scratch_load_b128 v[26:29], off, off offset:784
	v_add_f64 v[44:45], v[44:45], v[177:178]
	v_add_f64 v[46:47], v[46:47], v[156:157]
	v_fma_f64 v[48:49], v[8:9], v[30:31], v[48:49]
	v_fma_f64 v[177:178], v[6:7], v[30:31], -v[32:33]
	ds_load_b128 v[6:9], v1 offset:1568
	s_waitcnt vmcnt(8) lgkmcnt(1)
	v_mul_f64 v[156:157], v[2:3], v[40:41]
	v_mul_f64 v[40:41], v[4:5], v[40:41]
	scratch_load_b128 v[30:33], off, off offset:800
	v_add_f64 v[44:45], v[44:45], v[179:180]
	v_add_f64 v[46:47], v[46:47], v[175:176]
	s_waitcnt vmcnt(8) lgkmcnt(0)
	v_mul_f64 v[175:176], v[6:7], v[173:174]
	v_mul_f64 v[173:174], v[8:9], v[173:174]
	v_fma_f64 v[156:157], v[4:5], v[38:39], v[156:157]
	v_fma_f64 v[179:180], v[2:3], v[38:39], -v[40:41]
	scratch_load_b128 v[38:41], off, off offset:816
	ds_load_b128 v[2:5], v1 offset:1584
	v_add_f64 v[44:45], v[44:45], v[177:178]
	v_add_f64 v[46:47], v[46:47], v[48:49]
	v_fma_f64 v[175:176], v[8:9], v[171:172], v[175:176]
	v_fma_f64 v[177:178], v[6:7], v[171:172], -v[173:174]
	ds_load_b128 v[6:9], v1 offset:1600
	scratch_load_b128 v[171:174], off, off offset:832
	s_waitcnt vmcnt(9) lgkmcnt(1)
	v_mul_f64 v[48:49], v[2:3], v[36:37]
	v_mul_f64 v[36:37], v[4:5], v[36:37]
	v_add_f64 v[44:45], v[44:45], v[179:180]
	v_add_f64 v[46:47], v[46:47], v[156:157]
	s_waitcnt vmcnt(8) lgkmcnt(0)
	v_mul_f64 v[156:157], v[6:7], v[169:170]
	v_mul_f64 v[169:170], v[8:9], v[169:170]
	v_fma_f64 v[48:49], v[4:5], v[34:35], v[48:49]
	v_fma_f64 v[179:180], v[2:3], v[34:35], -v[36:37]
	scratch_load_b128 v[34:37], off, off offset:848
	ds_load_b128 v[2:5], v1 offset:1616
	v_add_f64 v[44:45], v[44:45], v[177:178]
	v_add_f64 v[46:47], v[46:47], v[175:176]
	v_fma_f64 v[156:157], v[8:9], v[167:168], v[156:157]
	v_fma_f64 v[177:178], v[6:7], v[167:168], -v[169:170]
	ds_load_b128 v[6:9], v1 offset:1632
	s_waitcnt vmcnt(8) lgkmcnt(1)
	v_mul_f64 v[175:176], v[2:3], v[12:13]
	v_mul_f64 v[12:13], v[4:5], v[12:13]
	scratch_load_b128 v[167:170], off, off offset:864
	v_add_f64 v[44:45], v[44:45], v[179:180]
	v_add_f64 v[46:47], v[46:47], v[48:49]
	s_waitcnt vmcnt(8) lgkmcnt(0)
	v_mul_f64 v[48:49], v[6:7], v[16:17]
	v_mul_f64 v[16:17], v[8:9], v[16:17]
	v_fma_f64 v[175:176], v[4:5], v[10:11], v[175:176]
	v_fma_f64 v[179:180], v[2:3], v[10:11], -v[12:13]
	scratch_load_b128 v[10:13], off, off offset:880
	ds_load_b128 v[2:5], v1 offset:1648
	v_add_f64 v[44:45], v[44:45], v[177:178]
	v_add_f64 v[46:47], v[46:47], v[156:157]
	v_fma_f64 v[48:49], v[8:9], v[14:15], v[48:49]
	v_fma_f64 v[14:15], v[6:7], v[14:15], -v[16:17]
	ds_load_b128 v[6:9], v1 offset:1664
	s_waitcnt vmcnt(8) lgkmcnt(1)
	v_mul_f64 v[156:157], v[2:3], v[20:21]
	v_mul_f64 v[20:21], v[4:5], v[20:21]
	v_add_f64 v[16:17], v[44:45], v[179:180]
	v_add_f64 v[44:45], v[46:47], v[175:176]
	s_waitcnt vmcnt(7) lgkmcnt(0)
	v_mul_f64 v[46:47], v[6:7], v[24:25]
	v_mul_f64 v[24:25], v[8:9], v[24:25]
	v_fma_f64 v[156:157], v[4:5], v[18:19], v[156:157]
	v_fma_f64 v[18:19], v[2:3], v[18:19], -v[20:21]
	ds_load_b128 v[2:5], v1 offset:1680
	v_add_f64 v[14:15], v[16:17], v[14:15]
	v_add_f64 v[16:17], v[44:45], v[48:49]
	v_fma_f64 v[44:45], v[8:9], v[22:23], v[46:47]
	v_fma_f64 v[22:23], v[6:7], v[22:23], -v[24:25]
	ds_load_b128 v[6:9], v1 offset:1696
	s_waitcnt vmcnt(5) lgkmcnt(0)
	v_mul_f64 v[46:47], v[6:7], v[32:33]
	v_mul_f64 v[32:33], v[8:9], v[32:33]
	v_add_f64 v[18:19], v[14:15], v[18:19]
	v_add_f64 v[24:25], v[16:17], v[156:157]
	scratch_load_b128 v[14:17], off, off offset:512
	v_mul_f64 v[20:21], v[2:3], v[28:29]
	v_mul_f64 v[28:29], v[4:5], v[28:29]
	v_add_f64 v[18:19], v[18:19], v[22:23]
	v_add_f64 v[22:23], v[24:25], v[44:45]
	s_delay_alu instid0(VALU_DEP_4) | instskip(NEXT) | instid1(VALU_DEP_4)
	v_fma_f64 v[20:21], v[4:5], v[26:27], v[20:21]
	v_fma_f64 v[26:27], v[2:3], v[26:27], -v[28:29]
	ds_load_b128 v[2:5], v1 offset:1712
	s_waitcnt vmcnt(5) lgkmcnt(0)
	v_mul_f64 v[24:25], v[2:3], v[40:41]
	v_mul_f64 v[28:29], v[4:5], v[40:41]
	v_fma_f64 v[40:41], v[8:9], v[30:31], v[46:47]
	v_fma_f64 v[30:31], v[6:7], v[30:31], -v[32:33]
	ds_load_b128 v[6:9], v1 offset:1728
	v_add_f64 v[20:21], v[22:23], v[20:21]
	v_add_f64 v[18:19], v[18:19], v[26:27]
	v_fma_f64 v[24:25], v[4:5], v[38:39], v[24:25]
	v_fma_f64 v[28:29], v[2:3], v[38:39], -v[28:29]
	ds_load_b128 v[2:5], v1 offset:1744
	s_waitcnt vmcnt(4) lgkmcnt(1)
	v_mul_f64 v[22:23], v[6:7], v[173:174]
	v_mul_f64 v[26:27], v[8:9], v[173:174]
	v_add_f64 v[20:21], v[20:21], v[40:41]
	v_add_f64 v[18:19], v[18:19], v[30:31]
	s_waitcnt vmcnt(3) lgkmcnt(0)
	v_mul_f64 v[30:31], v[2:3], v[36:37]
	v_mul_f64 v[32:33], v[4:5], v[36:37]
	v_fma_f64 v[22:23], v[8:9], v[171:172], v[22:23]
	v_fma_f64 v[26:27], v[6:7], v[171:172], -v[26:27]
	ds_load_b128 v[6:9], v1 offset:1760
	v_add_f64 v[20:21], v[20:21], v[24:25]
	v_add_f64 v[18:19], v[18:19], v[28:29]
	v_fma_f64 v[30:31], v[4:5], v[34:35], v[30:31]
	v_fma_f64 v[32:33], v[2:3], v[34:35], -v[32:33]
	ds_load_b128 v[2:5], v1 offset:1776
	s_waitcnt vmcnt(2) lgkmcnt(1)
	v_mul_f64 v[24:25], v[6:7], v[169:170]
	v_mul_f64 v[28:29], v[8:9], v[169:170]
	v_add_f64 v[20:21], v[20:21], v[22:23]
	v_add_f64 v[18:19], v[18:19], v[26:27]
	s_waitcnt vmcnt(1) lgkmcnt(0)
	v_mul_f64 v[22:23], v[2:3], v[12:13]
	v_mul_f64 v[12:13], v[4:5], v[12:13]
	v_fma_f64 v[8:9], v[8:9], v[167:168], v[24:25]
	v_fma_f64 v[6:7], v[6:7], v[167:168], -v[28:29]
	v_add_f64 v[20:21], v[20:21], v[30:31]
	v_add_f64 v[18:19], v[18:19], v[32:33]
	v_fma_f64 v[4:5], v[4:5], v[10:11], v[22:23]
	v_fma_f64 v[2:3], v[2:3], v[10:11], -v[12:13]
	s_delay_alu instid0(VALU_DEP_4) | instskip(NEXT) | instid1(VALU_DEP_4)
	v_add_f64 v[8:9], v[20:21], v[8:9]
	v_add_f64 v[6:7], v[18:19], v[6:7]
	s_delay_alu instid0(VALU_DEP_2) | instskip(NEXT) | instid1(VALU_DEP_2)
	v_add_f64 v[4:5], v[8:9], v[4:5]
	v_add_f64 v[2:3], v[6:7], v[2:3]
	s_waitcnt vmcnt(0)
	s_delay_alu instid0(VALU_DEP_2) | instskip(NEXT) | instid1(VALU_DEP_2)
	v_add_f64 v[4:5], v[16:17], -v[4:5]
	v_add_f64 v[2:3], v[14:15], -v[2:3]
	scratch_store_b128 off, v[2:5], off offset:512
	v_cmpx_lt_u32_e32 31, v154
	s_cbranch_execz .LBB119_287
; %bb.286:
	scratch_load_b128 v[5:8], v159, off
	v_mov_b32_e32 v2, v1
	v_mov_b32_e32 v3, v1
	;; [unrolled: 1-line block ×3, first 2 shown]
	scratch_store_b128 off, v[1:4], off offset:496
	s_waitcnt vmcnt(0)
	ds_store_b128 v210, v[5:8]
.LBB119_287:
	s_or_b32 exec_lo, exec_lo, s2
	s_waitcnt lgkmcnt(0)
	s_waitcnt_vscnt null, 0x0
	s_barrier
	buffer_gl0_inv
	s_clause 0x7
	scratch_load_b128 v[2:5], off, off offset:512
	scratch_load_b128 v[6:9], off, off offset:528
	;; [unrolled: 1-line block ×8, first 2 shown]
	ds_load_b128 v[34:37], v1 offset:1408
	ds_load_b128 v[167:170], v1 offset:1424
	s_clause 0x1
	scratch_load_b128 v[38:41], off, off offset:640
	scratch_load_b128 v[171:174], off, off offset:656
	s_mov_b32 s2, exec_lo
	s_waitcnt vmcnt(9) lgkmcnt(1)
	v_mul_f64 v[44:45], v[36:37], v[4:5]
	v_mul_f64 v[4:5], v[34:35], v[4:5]
	s_waitcnt vmcnt(8) lgkmcnt(0)
	v_mul_f64 v[46:47], v[167:168], v[8:9]
	v_mul_f64 v[8:9], v[169:170], v[8:9]
	s_delay_alu instid0(VALU_DEP_4) | instskip(NEXT) | instid1(VALU_DEP_4)
	v_fma_f64 v[44:45], v[34:35], v[2:3], -v[44:45]
	v_fma_f64 v[48:49], v[36:37], v[2:3], v[4:5]
	ds_load_b128 v[2:5], v1 offset:1440
	scratch_load_b128 v[34:37], off, off offset:672
	v_fma_f64 v[46:47], v[169:170], v[6:7], v[46:47]
	v_fma_f64 v[175:176], v[167:168], v[6:7], -v[8:9]
	scratch_load_b128 v[167:170], off, off offset:688
	ds_load_b128 v[6:9], v1 offset:1456
	s_waitcnt vmcnt(9) lgkmcnt(1)
	v_mul_f64 v[156:157], v[2:3], v[12:13]
	v_mul_f64 v[12:13], v[4:5], v[12:13]
	s_waitcnt vmcnt(8) lgkmcnt(0)
	v_mul_f64 v[177:178], v[6:7], v[16:17]
	v_mul_f64 v[16:17], v[8:9], v[16:17]
	v_add_f64 v[44:45], v[44:45], 0
	v_add_f64 v[48:49], v[48:49], 0
	v_fma_f64 v[156:157], v[4:5], v[10:11], v[156:157]
	v_fma_f64 v[179:180], v[2:3], v[10:11], -v[12:13]
	ds_load_b128 v[2:5], v1 offset:1472
	scratch_load_b128 v[10:13], off, off offset:704
	v_add_f64 v[44:45], v[44:45], v[175:176]
	v_add_f64 v[46:47], v[48:49], v[46:47]
	v_fma_f64 v[175:176], v[8:9], v[14:15], v[177:178]
	v_fma_f64 v[177:178], v[6:7], v[14:15], -v[16:17]
	scratch_load_b128 v[14:17], off, off offset:720
	ds_load_b128 v[6:9], v1 offset:1488
	s_waitcnt vmcnt(9) lgkmcnt(1)
	v_mul_f64 v[48:49], v[2:3], v[20:21]
	v_mul_f64 v[20:21], v[4:5], v[20:21]
	v_add_f64 v[44:45], v[44:45], v[179:180]
	v_add_f64 v[46:47], v[46:47], v[156:157]
	s_waitcnt vmcnt(8) lgkmcnt(0)
	v_mul_f64 v[156:157], v[6:7], v[24:25]
	v_mul_f64 v[24:25], v[8:9], v[24:25]
	v_fma_f64 v[48:49], v[4:5], v[18:19], v[48:49]
	v_fma_f64 v[179:180], v[2:3], v[18:19], -v[20:21]
	ds_load_b128 v[2:5], v1 offset:1504
	scratch_load_b128 v[18:21], off, off offset:736
	v_add_f64 v[44:45], v[44:45], v[177:178]
	v_add_f64 v[46:47], v[46:47], v[175:176]
	v_fma_f64 v[156:157], v[8:9], v[22:23], v[156:157]
	v_fma_f64 v[177:178], v[6:7], v[22:23], -v[24:25]
	scratch_load_b128 v[22:25], off, off offset:752
	ds_load_b128 v[6:9], v1 offset:1520
	s_waitcnt vmcnt(9) lgkmcnt(1)
	v_mul_f64 v[175:176], v[2:3], v[28:29]
	v_mul_f64 v[28:29], v[4:5], v[28:29]
	v_add_f64 v[44:45], v[44:45], v[179:180]
	v_add_f64 v[46:47], v[46:47], v[48:49]
	s_waitcnt vmcnt(8) lgkmcnt(0)
	v_mul_f64 v[48:49], v[6:7], v[32:33]
	v_mul_f64 v[32:33], v[8:9], v[32:33]
	v_fma_f64 v[175:176], v[4:5], v[26:27], v[175:176]
	v_fma_f64 v[179:180], v[2:3], v[26:27], -v[28:29]
	ds_load_b128 v[2:5], v1 offset:1536
	scratch_load_b128 v[26:29], off, off offset:768
	v_add_f64 v[44:45], v[44:45], v[177:178]
	v_add_f64 v[46:47], v[46:47], v[156:157]
	v_fma_f64 v[48:49], v[8:9], v[30:31], v[48:49]
	v_fma_f64 v[177:178], v[6:7], v[30:31], -v[32:33]
	ds_load_b128 v[6:9], v1 offset:1552
	s_waitcnt vmcnt(8) lgkmcnt(1)
	v_mul_f64 v[156:157], v[2:3], v[40:41]
	v_mul_f64 v[40:41], v[4:5], v[40:41]
	scratch_load_b128 v[30:33], off, off offset:784
	v_add_f64 v[44:45], v[44:45], v[179:180]
	v_add_f64 v[46:47], v[46:47], v[175:176]
	s_waitcnt vmcnt(8) lgkmcnt(0)
	v_mul_f64 v[175:176], v[6:7], v[173:174]
	v_mul_f64 v[173:174], v[8:9], v[173:174]
	v_fma_f64 v[156:157], v[4:5], v[38:39], v[156:157]
	v_fma_f64 v[179:180], v[2:3], v[38:39], -v[40:41]
	ds_load_b128 v[2:5], v1 offset:1568
	scratch_load_b128 v[38:41], off, off offset:800
	v_add_f64 v[44:45], v[44:45], v[177:178]
	v_add_f64 v[46:47], v[46:47], v[48:49]
	v_fma_f64 v[175:176], v[8:9], v[171:172], v[175:176]
	v_fma_f64 v[177:178], v[6:7], v[171:172], -v[173:174]
	ds_load_b128 v[6:9], v1 offset:1584
	scratch_load_b128 v[171:174], off, off offset:816
	s_waitcnt vmcnt(9) lgkmcnt(1)
	v_mul_f64 v[48:49], v[2:3], v[36:37]
	v_mul_f64 v[36:37], v[4:5], v[36:37]
	v_add_f64 v[44:45], v[44:45], v[179:180]
	v_add_f64 v[46:47], v[46:47], v[156:157]
	s_waitcnt vmcnt(8) lgkmcnt(0)
	v_mul_f64 v[156:157], v[6:7], v[169:170]
	v_mul_f64 v[169:170], v[8:9], v[169:170]
	v_fma_f64 v[48:49], v[4:5], v[34:35], v[48:49]
	v_fma_f64 v[179:180], v[2:3], v[34:35], -v[36:37]
	scratch_load_b128 v[34:37], off, off offset:832
	ds_load_b128 v[2:5], v1 offset:1600
	v_add_f64 v[44:45], v[44:45], v[177:178]
	v_add_f64 v[46:47], v[46:47], v[175:176]
	v_fma_f64 v[156:157], v[8:9], v[167:168], v[156:157]
	v_fma_f64 v[177:178], v[6:7], v[167:168], -v[169:170]
	ds_load_b128 v[6:9], v1 offset:1616
	s_waitcnt vmcnt(8) lgkmcnt(1)
	v_mul_f64 v[175:176], v[2:3], v[12:13]
	v_mul_f64 v[12:13], v[4:5], v[12:13]
	scratch_load_b128 v[167:170], off, off offset:848
	v_add_f64 v[44:45], v[44:45], v[179:180]
	v_add_f64 v[46:47], v[46:47], v[48:49]
	s_waitcnt vmcnt(8) lgkmcnt(0)
	v_mul_f64 v[48:49], v[6:7], v[16:17]
	v_mul_f64 v[16:17], v[8:9], v[16:17]
	v_fma_f64 v[175:176], v[4:5], v[10:11], v[175:176]
	v_fma_f64 v[179:180], v[2:3], v[10:11], -v[12:13]
	scratch_load_b128 v[10:13], off, off offset:864
	ds_load_b128 v[2:5], v1 offset:1632
	v_add_f64 v[44:45], v[44:45], v[177:178]
	v_add_f64 v[46:47], v[46:47], v[156:157]
	v_fma_f64 v[48:49], v[8:9], v[14:15], v[48:49]
	v_fma_f64 v[177:178], v[6:7], v[14:15], -v[16:17]
	ds_load_b128 v[6:9], v1 offset:1648
	s_waitcnt vmcnt(8) lgkmcnt(1)
	v_mul_f64 v[156:157], v[2:3], v[20:21]
	v_mul_f64 v[20:21], v[4:5], v[20:21]
	scratch_load_b128 v[14:17], off, off offset:880
	v_add_f64 v[44:45], v[44:45], v[179:180]
	v_add_f64 v[46:47], v[46:47], v[175:176]
	s_waitcnt vmcnt(8) lgkmcnt(0)
	v_mul_f64 v[175:176], v[6:7], v[24:25]
	v_mul_f64 v[24:25], v[8:9], v[24:25]
	v_fma_f64 v[156:157], v[4:5], v[18:19], v[156:157]
	v_fma_f64 v[18:19], v[2:3], v[18:19], -v[20:21]
	ds_load_b128 v[2:5], v1 offset:1664
	v_add_f64 v[20:21], v[44:45], v[177:178]
	v_add_f64 v[44:45], v[46:47], v[48:49]
	v_fma_f64 v[48:49], v[8:9], v[22:23], v[175:176]
	v_fma_f64 v[22:23], v[6:7], v[22:23], -v[24:25]
	ds_load_b128 v[6:9], v1 offset:1680
	s_waitcnt vmcnt(7) lgkmcnt(1)
	v_mul_f64 v[46:47], v[2:3], v[28:29]
	v_mul_f64 v[28:29], v[4:5], v[28:29]
	v_add_f64 v[18:19], v[20:21], v[18:19]
	v_add_f64 v[20:21], v[44:45], v[156:157]
	s_delay_alu instid0(VALU_DEP_4) | instskip(NEXT) | instid1(VALU_DEP_4)
	v_fma_f64 v[44:45], v[4:5], v[26:27], v[46:47]
	v_fma_f64 v[26:27], v[2:3], v[26:27], -v[28:29]
	ds_load_b128 v[2:5], v1 offset:1696
	v_add_f64 v[22:23], v[18:19], v[22:23]
	v_add_f64 v[28:29], v[20:21], v[48:49]
	scratch_load_b128 v[18:21], off, off offset:496
	s_waitcnt vmcnt(7) lgkmcnt(1)
	v_mul_f64 v[24:25], v[6:7], v[32:33]
	v_mul_f64 v[32:33], v[8:9], v[32:33]
	v_add_f64 v[22:23], v[22:23], v[26:27]
	v_add_f64 v[26:27], v[28:29], v[44:45]
	s_delay_alu instid0(VALU_DEP_4) | instskip(NEXT) | instid1(VALU_DEP_4)
	v_fma_f64 v[24:25], v[8:9], v[30:31], v[24:25]
	v_fma_f64 v[30:31], v[6:7], v[30:31], -v[32:33]
	ds_load_b128 v[6:9], v1 offset:1712
	s_waitcnt vmcnt(6) lgkmcnt(1)
	v_mul_f64 v[46:47], v[2:3], v[40:41]
	v_mul_f64 v[40:41], v[4:5], v[40:41]
	s_waitcnt vmcnt(5) lgkmcnt(0)
	v_mul_f64 v[28:29], v[6:7], v[173:174]
	v_mul_f64 v[32:33], v[8:9], v[173:174]
	v_add_f64 v[24:25], v[26:27], v[24:25]
	v_add_f64 v[22:23], v[22:23], v[30:31]
	v_fma_f64 v[44:45], v[4:5], v[38:39], v[46:47]
	v_fma_f64 v[38:39], v[2:3], v[38:39], -v[40:41]
	ds_load_b128 v[2:5], v1 offset:1728
	v_fma_f64 v[28:29], v[8:9], v[171:172], v[28:29]
	v_fma_f64 v[32:33], v[6:7], v[171:172], -v[32:33]
	ds_load_b128 v[6:9], v1 offset:1744
	s_waitcnt vmcnt(4) lgkmcnt(1)
	v_mul_f64 v[26:27], v[2:3], v[36:37]
	v_mul_f64 v[30:31], v[4:5], v[36:37]
	v_add_f64 v[24:25], v[24:25], v[44:45]
	v_add_f64 v[22:23], v[22:23], v[38:39]
	s_waitcnt vmcnt(3) lgkmcnt(0)
	v_mul_f64 v[36:37], v[6:7], v[169:170]
	v_mul_f64 v[38:39], v[8:9], v[169:170]
	v_fma_f64 v[26:27], v[4:5], v[34:35], v[26:27]
	v_fma_f64 v[30:31], v[2:3], v[34:35], -v[30:31]
	ds_load_b128 v[2:5], v1 offset:1760
	v_add_f64 v[24:25], v[24:25], v[28:29]
	v_add_f64 v[22:23], v[22:23], v[32:33]
	v_fma_f64 v[32:33], v[8:9], v[167:168], v[36:37]
	v_fma_f64 v[34:35], v[6:7], v[167:168], -v[38:39]
	ds_load_b128 v[6:9], v1 offset:1776
	s_waitcnt vmcnt(2) lgkmcnt(1)
	v_mul_f64 v[28:29], v[2:3], v[12:13]
	v_mul_f64 v[12:13], v[4:5], v[12:13]
	v_add_f64 v[24:25], v[24:25], v[26:27]
	v_add_f64 v[22:23], v[22:23], v[30:31]
	s_waitcnt vmcnt(1) lgkmcnt(0)
	v_mul_f64 v[26:27], v[6:7], v[16:17]
	v_mul_f64 v[16:17], v[8:9], v[16:17]
	v_fma_f64 v[4:5], v[4:5], v[10:11], v[28:29]
	v_fma_f64 v[1:2], v[2:3], v[10:11], -v[12:13]
	v_add_f64 v[12:13], v[24:25], v[32:33]
	v_add_f64 v[10:11], v[22:23], v[34:35]
	v_fma_f64 v[8:9], v[8:9], v[14:15], v[26:27]
	v_fma_f64 v[6:7], v[6:7], v[14:15], -v[16:17]
	s_delay_alu instid0(VALU_DEP_4) | instskip(NEXT) | instid1(VALU_DEP_4)
	v_add_f64 v[3:4], v[12:13], v[4:5]
	v_add_f64 v[1:2], v[10:11], v[1:2]
	s_delay_alu instid0(VALU_DEP_2) | instskip(NEXT) | instid1(VALU_DEP_2)
	v_add_f64 v[3:4], v[3:4], v[8:9]
	v_add_f64 v[1:2], v[1:2], v[6:7]
	s_waitcnt vmcnt(0)
	s_delay_alu instid0(VALU_DEP_2) | instskip(NEXT) | instid1(VALU_DEP_2)
	v_add_f64 v[3:4], v[20:21], -v[3:4]
	v_add_f64 v[1:2], v[18:19], -v[1:2]
	scratch_store_b128 off, v[1:4], off offset:496
	v_cmpx_lt_u32_e32 30, v154
	s_cbranch_execz .LBB119_289
; %bb.288:
	scratch_load_b128 v[1:4], v213, off
	v_mov_b32_e32 v5, 0
	s_delay_alu instid0(VALU_DEP_1)
	v_mov_b32_e32 v6, v5
	v_mov_b32_e32 v7, v5
	;; [unrolled: 1-line block ×3, first 2 shown]
	scratch_store_b128 off, v[5:8], off offset:480
	s_waitcnt vmcnt(0)
	ds_store_b128 v210, v[1:4]
.LBB119_289:
	s_or_b32 exec_lo, exec_lo, s2
	s_waitcnt lgkmcnt(0)
	s_waitcnt_vscnt null, 0x0
	s_barrier
	buffer_gl0_inv
	s_clause 0x7
	scratch_load_b128 v[2:5], off, off offset:496
	scratch_load_b128 v[6:9], off, off offset:512
	;; [unrolled: 1-line block ×8, first 2 shown]
	v_mov_b32_e32 v1, 0
	s_clause 0x1
	scratch_load_b128 v[38:41], off, off offset:624
	scratch_load_b128 v[171:174], off, off offset:640
	s_mov_b32 s2, exec_lo
	ds_load_b128 v[34:37], v1 offset:1392
	ds_load_b128 v[167:170], v1 offset:1408
	s_waitcnt vmcnt(9) lgkmcnt(1)
	v_mul_f64 v[44:45], v[36:37], v[4:5]
	v_mul_f64 v[4:5], v[34:35], v[4:5]
	s_waitcnt vmcnt(8) lgkmcnt(0)
	v_mul_f64 v[46:47], v[167:168], v[8:9]
	v_mul_f64 v[8:9], v[169:170], v[8:9]
	s_delay_alu instid0(VALU_DEP_4) | instskip(NEXT) | instid1(VALU_DEP_4)
	v_fma_f64 v[44:45], v[34:35], v[2:3], -v[44:45]
	v_fma_f64 v[48:49], v[36:37], v[2:3], v[4:5]
	ds_load_b128 v[2:5], v1 offset:1424
	scratch_load_b128 v[34:37], off, off offset:656
	v_fma_f64 v[46:47], v[169:170], v[6:7], v[46:47]
	v_fma_f64 v[175:176], v[167:168], v[6:7], -v[8:9]
	scratch_load_b128 v[167:170], off, off offset:672
	ds_load_b128 v[6:9], v1 offset:1440
	s_waitcnt vmcnt(9) lgkmcnt(1)
	v_mul_f64 v[156:157], v[2:3], v[12:13]
	v_mul_f64 v[12:13], v[4:5], v[12:13]
	s_waitcnt vmcnt(8) lgkmcnt(0)
	v_mul_f64 v[177:178], v[6:7], v[16:17]
	v_mul_f64 v[16:17], v[8:9], v[16:17]
	v_add_f64 v[44:45], v[44:45], 0
	v_add_f64 v[48:49], v[48:49], 0
	v_fma_f64 v[156:157], v[4:5], v[10:11], v[156:157]
	v_fma_f64 v[179:180], v[2:3], v[10:11], -v[12:13]
	ds_load_b128 v[2:5], v1 offset:1456
	scratch_load_b128 v[10:13], off, off offset:688
	v_add_f64 v[44:45], v[44:45], v[175:176]
	v_add_f64 v[46:47], v[48:49], v[46:47]
	v_fma_f64 v[175:176], v[8:9], v[14:15], v[177:178]
	v_fma_f64 v[177:178], v[6:7], v[14:15], -v[16:17]
	scratch_load_b128 v[14:17], off, off offset:704
	ds_load_b128 v[6:9], v1 offset:1472
	s_waitcnt vmcnt(9) lgkmcnt(1)
	v_mul_f64 v[48:49], v[2:3], v[20:21]
	v_mul_f64 v[20:21], v[4:5], v[20:21]
	v_add_f64 v[44:45], v[44:45], v[179:180]
	v_add_f64 v[46:47], v[46:47], v[156:157]
	s_waitcnt vmcnt(8) lgkmcnt(0)
	v_mul_f64 v[156:157], v[6:7], v[24:25]
	v_mul_f64 v[24:25], v[8:9], v[24:25]
	v_fma_f64 v[48:49], v[4:5], v[18:19], v[48:49]
	v_fma_f64 v[179:180], v[2:3], v[18:19], -v[20:21]
	ds_load_b128 v[2:5], v1 offset:1488
	scratch_load_b128 v[18:21], off, off offset:720
	v_add_f64 v[44:45], v[44:45], v[177:178]
	v_add_f64 v[46:47], v[46:47], v[175:176]
	v_fma_f64 v[156:157], v[8:9], v[22:23], v[156:157]
	v_fma_f64 v[177:178], v[6:7], v[22:23], -v[24:25]
	scratch_load_b128 v[22:25], off, off offset:736
	ds_load_b128 v[6:9], v1 offset:1504
	s_waitcnt vmcnt(9) lgkmcnt(1)
	v_mul_f64 v[175:176], v[2:3], v[28:29]
	v_mul_f64 v[28:29], v[4:5], v[28:29]
	v_add_f64 v[44:45], v[44:45], v[179:180]
	v_add_f64 v[46:47], v[46:47], v[48:49]
	s_waitcnt vmcnt(8) lgkmcnt(0)
	v_mul_f64 v[48:49], v[6:7], v[32:33]
	v_mul_f64 v[32:33], v[8:9], v[32:33]
	v_fma_f64 v[175:176], v[4:5], v[26:27], v[175:176]
	v_fma_f64 v[179:180], v[2:3], v[26:27], -v[28:29]
	ds_load_b128 v[2:5], v1 offset:1520
	scratch_load_b128 v[26:29], off, off offset:752
	v_add_f64 v[44:45], v[44:45], v[177:178]
	v_add_f64 v[46:47], v[46:47], v[156:157]
	v_fma_f64 v[48:49], v[8:9], v[30:31], v[48:49]
	v_fma_f64 v[177:178], v[6:7], v[30:31], -v[32:33]
	scratch_load_b128 v[30:33], off, off offset:768
	ds_load_b128 v[6:9], v1 offset:1536
	s_waitcnt vmcnt(9) lgkmcnt(1)
	v_mul_f64 v[156:157], v[2:3], v[40:41]
	v_mul_f64 v[40:41], v[4:5], v[40:41]
	v_add_f64 v[44:45], v[44:45], v[179:180]
	v_add_f64 v[46:47], v[46:47], v[175:176]
	s_waitcnt vmcnt(8) lgkmcnt(0)
	v_mul_f64 v[175:176], v[6:7], v[173:174]
	v_mul_f64 v[173:174], v[8:9], v[173:174]
	v_fma_f64 v[156:157], v[4:5], v[38:39], v[156:157]
	v_fma_f64 v[179:180], v[2:3], v[38:39], -v[40:41]
	ds_load_b128 v[2:5], v1 offset:1552
	scratch_load_b128 v[38:41], off, off offset:784
	v_add_f64 v[44:45], v[44:45], v[177:178]
	v_add_f64 v[46:47], v[46:47], v[48:49]
	v_fma_f64 v[175:176], v[8:9], v[171:172], v[175:176]
	v_fma_f64 v[177:178], v[6:7], v[171:172], -v[173:174]
	ds_load_b128 v[6:9], v1 offset:1568
	scratch_load_b128 v[171:174], off, off offset:800
	s_waitcnt vmcnt(9) lgkmcnt(1)
	v_mul_f64 v[48:49], v[2:3], v[36:37]
	v_mul_f64 v[36:37], v[4:5], v[36:37]
	v_add_f64 v[44:45], v[44:45], v[179:180]
	v_add_f64 v[46:47], v[46:47], v[156:157]
	s_waitcnt vmcnt(8) lgkmcnt(0)
	v_mul_f64 v[156:157], v[6:7], v[169:170]
	v_mul_f64 v[169:170], v[8:9], v[169:170]
	v_fma_f64 v[48:49], v[4:5], v[34:35], v[48:49]
	v_fma_f64 v[179:180], v[2:3], v[34:35], -v[36:37]
	scratch_load_b128 v[34:37], off, off offset:816
	ds_load_b128 v[2:5], v1 offset:1584
	v_add_f64 v[44:45], v[44:45], v[177:178]
	v_add_f64 v[46:47], v[46:47], v[175:176]
	v_fma_f64 v[156:157], v[8:9], v[167:168], v[156:157]
	v_fma_f64 v[177:178], v[6:7], v[167:168], -v[169:170]
	ds_load_b128 v[6:9], v1 offset:1600
	s_waitcnt vmcnt(8) lgkmcnt(1)
	v_mul_f64 v[175:176], v[2:3], v[12:13]
	v_mul_f64 v[12:13], v[4:5], v[12:13]
	scratch_load_b128 v[167:170], off, off offset:832
	v_add_f64 v[44:45], v[44:45], v[179:180]
	v_add_f64 v[46:47], v[46:47], v[48:49]
	s_waitcnt vmcnt(8) lgkmcnt(0)
	v_mul_f64 v[48:49], v[6:7], v[16:17]
	v_mul_f64 v[16:17], v[8:9], v[16:17]
	v_fma_f64 v[175:176], v[4:5], v[10:11], v[175:176]
	v_fma_f64 v[179:180], v[2:3], v[10:11], -v[12:13]
	scratch_load_b128 v[10:13], off, off offset:848
	ds_load_b128 v[2:5], v1 offset:1616
	v_add_f64 v[44:45], v[44:45], v[177:178]
	v_add_f64 v[46:47], v[46:47], v[156:157]
	v_fma_f64 v[48:49], v[8:9], v[14:15], v[48:49]
	v_fma_f64 v[177:178], v[6:7], v[14:15], -v[16:17]
	ds_load_b128 v[6:9], v1 offset:1632
	s_waitcnt vmcnt(8) lgkmcnt(1)
	v_mul_f64 v[156:157], v[2:3], v[20:21]
	v_mul_f64 v[20:21], v[4:5], v[20:21]
	scratch_load_b128 v[14:17], off, off offset:864
	v_add_f64 v[44:45], v[44:45], v[179:180]
	v_add_f64 v[46:47], v[46:47], v[175:176]
	s_waitcnt vmcnt(8) lgkmcnt(0)
	v_mul_f64 v[175:176], v[6:7], v[24:25]
	v_mul_f64 v[24:25], v[8:9], v[24:25]
	v_fma_f64 v[156:157], v[4:5], v[18:19], v[156:157]
	v_fma_f64 v[179:180], v[2:3], v[18:19], -v[20:21]
	scratch_load_b128 v[18:21], off, off offset:880
	ds_load_b128 v[2:5], v1 offset:1648
	v_add_f64 v[44:45], v[44:45], v[177:178]
	v_add_f64 v[46:47], v[46:47], v[48:49]
	v_fma_f64 v[175:176], v[8:9], v[22:23], v[175:176]
	v_fma_f64 v[22:23], v[6:7], v[22:23], -v[24:25]
	ds_load_b128 v[6:9], v1 offset:1664
	s_waitcnt vmcnt(8) lgkmcnt(1)
	v_mul_f64 v[48:49], v[2:3], v[28:29]
	v_mul_f64 v[28:29], v[4:5], v[28:29]
	v_add_f64 v[24:25], v[44:45], v[179:180]
	v_add_f64 v[44:45], v[46:47], v[156:157]
	s_waitcnt vmcnt(7) lgkmcnt(0)
	v_mul_f64 v[46:47], v[6:7], v[32:33]
	v_mul_f64 v[32:33], v[8:9], v[32:33]
	v_fma_f64 v[48:49], v[4:5], v[26:27], v[48:49]
	v_fma_f64 v[26:27], v[2:3], v[26:27], -v[28:29]
	ds_load_b128 v[2:5], v1 offset:1680
	v_add_f64 v[22:23], v[24:25], v[22:23]
	v_add_f64 v[24:25], v[44:45], v[175:176]
	v_fma_f64 v[44:45], v[8:9], v[30:31], v[46:47]
	v_fma_f64 v[30:31], v[6:7], v[30:31], -v[32:33]
	ds_load_b128 v[6:9], v1 offset:1696
	s_waitcnt vmcnt(5) lgkmcnt(0)
	v_mul_f64 v[46:47], v[6:7], v[173:174]
	v_add_f64 v[26:27], v[22:23], v[26:27]
	v_add_f64 v[32:33], v[24:25], v[48:49]
	scratch_load_b128 v[22:25], off, off offset:480
	v_mul_f64 v[28:29], v[2:3], v[40:41]
	v_mul_f64 v[40:41], v[4:5], v[40:41]
	;; [unrolled: 1-line block ×3, first 2 shown]
	v_add_f64 v[26:27], v[26:27], v[30:31]
	v_add_f64 v[30:31], v[32:33], v[44:45]
	v_fma_f64 v[28:29], v[4:5], v[38:39], v[28:29]
	v_fma_f64 v[38:39], v[2:3], v[38:39], -v[40:41]
	ds_load_b128 v[2:5], v1 offset:1712
	v_fma_f64 v[40:41], v[8:9], v[171:172], v[46:47]
	v_fma_f64 v[44:45], v[6:7], v[171:172], -v[48:49]
	ds_load_b128 v[6:9], v1 offset:1728
	s_waitcnt vmcnt(5) lgkmcnt(1)
	v_mul_f64 v[32:33], v[2:3], v[36:37]
	v_mul_f64 v[36:37], v[4:5], v[36:37]
	v_add_f64 v[28:29], v[30:31], v[28:29]
	v_add_f64 v[26:27], v[26:27], v[38:39]
	s_waitcnt vmcnt(4) lgkmcnt(0)
	v_mul_f64 v[30:31], v[6:7], v[169:170]
	v_mul_f64 v[38:39], v[8:9], v[169:170]
	v_fma_f64 v[32:33], v[4:5], v[34:35], v[32:33]
	v_fma_f64 v[34:35], v[2:3], v[34:35], -v[36:37]
	ds_load_b128 v[2:5], v1 offset:1744
	v_add_f64 v[28:29], v[28:29], v[40:41]
	v_add_f64 v[26:27], v[26:27], v[44:45]
	v_fma_f64 v[30:31], v[8:9], v[167:168], v[30:31]
	v_fma_f64 v[38:39], v[6:7], v[167:168], -v[38:39]
	ds_load_b128 v[6:9], v1 offset:1760
	s_waitcnt vmcnt(3) lgkmcnt(1)
	v_mul_f64 v[36:37], v[2:3], v[12:13]
	v_mul_f64 v[12:13], v[4:5], v[12:13]
	v_add_f64 v[28:29], v[28:29], v[32:33]
	v_add_f64 v[26:27], v[26:27], v[34:35]
	s_waitcnt vmcnt(2) lgkmcnt(0)
	v_mul_f64 v[32:33], v[6:7], v[16:17]
	v_mul_f64 v[16:17], v[8:9], v[16:17]
	v_fma_f64 v[34:35], v[4:5], v[10:11], v[36:37]
	v_fma_f64 v[10:11], v[2:3], v[10:11], -v[12:13]
	ds_load_b128 v[2:5], v1 offset:1776
	v_add_f64 v[12:13], v[26:27], v[38:39]
	v_add_f64 v[26:27], v[28:29], v[30:31]
	s_waitcnt vmcnt(1) lgkmcnt(0)
	v_mul_f64 v[28:29], v[2:3], v[20:21]
	v_mul_f64 v[20:21], v[4:5], v[20:21]
	v_fma_f64 v[8:9], v[8:9], v[14:15], v[32:33]
	v_fma_f64 v[6:7], v[6:7], v[14:15], -v[16:17]
	v_add_f64 v[10:11], v[12:13], v[10:11]
	v_add_f64 v[12:13], v[26:27], v[34:35]
	v_fma_f64 v[4:5], v[4:5], v[18:19], v[28:29]
	v_fma_f64 v[2:3], v[2:3], v[18:19], -v[20:21]
	s_delay_alu instid0(VALU_DEP_4) | instskip(NEXT) | instid1(VALU_DEP_4)
	v_add_f64 v[6:7], v[10:11], v[6:7]
	v_add_f64 v[8:9], v[12:13], v[8:9]
	s_delay_alu instid0(VALU_DEP_2) | instskip(NEXT) | instid1(VALU_DEP_2)
	v_add_f64 v[2:3], v[6:7], v[2:3]
	v_add_f64 v[4:5], v[8:9], v[4:5]
	s_waitcnt vmcnt(0)
	s_delay_alu instid0(VALU_DEP_2) | instskip(NEXT) | instid1(VALU_DEP_2)
	v_add_f64 v[2:3], v[22:23], -v[2:3]
	v_add_f64 v[4:5], v[24:25], -v[4:5]
	scratch_store_b128 off, v[2:5], off offset:480
	v_cmpx_lt_u32_e32 29, v154
	s_cbranch_execz .LBB119_291
; %bb.290:
	scratch_load_b128 v[5:8], v160, off
	v_mov_b32_e32 v2, v1
	v_mov_b32_e32 v3, v1
	;; [unrolled: 1-line block ×3, first 2 shown]
	scratch_store_b128 off, v[1:4], off offset:464
	s_waitcnt vmcnt(0)
	ds_store_b128 v210, v[5:8]
.LBB119_291:
	s_or_b32 exec_lo, exec_lo, s2
	s_waitcnt lgkmcnt(0)
	s_waitcnt_vscnt null, 0x0
	s_barrier
	buffer_gl0_inv
	s_clause 0x7
	scratch_load_b128 v[2:5], off, off offset:480
	scratch_load_b128 v[6:9], off, off offset:496
	;; [unrolled: 1-line block ×8, first 2 shown]
	ds_load_b128 v[38:41], v1 offset:1376
	ds_load_b128 v[167:170], v1 offset:1392
	s_clause 0x1
	scratch_load_b128 v[34:37], off, off offset:608
	scratch_load_b128 v[171:174], off, off offset:624
	s_mov_b32 s2, exec_lo
	s_waitcnt vmcnt(9) lgkmcnt(1)
	v_mul_f64 v[44:45], v[40:41], v[4:5]
	v_mul_f64 v[4:5], v[38:39], v[4:5]
	s_waitcnt vmcnt(8) lgkmcnt(0)
	v_mul_f64 v[46:47], v[167:168], v[8:9]
	v_mul_f64 v[8:9], v[169:170], v[8:9]
	s_delay_alu instid0(VALU_DEP_4) | instskip(NEXT) | instid1(VALU_DEP_4)
	v_fma_f64 v[44:45], v[38:39], v[2:3], -v[44:45]
	v_fma_f64 v[48:49], v[40:41], v[2:3], v[4:5]
	ds_load_b128 v[2:5], v1 offset:1408
	scratch_load_b128 v[38:41], off, off offset:640
	v_fma_f64 v[46:47], v[169:170], v[6:7], v[46:47]
	v_fma_f64 v[175:176], v[167:168], v[6:7], -v[8:9]
	scratch_load_b128 v[167:170], off, off offset:656
	ds_load_b128 v[6:9], v1 offset:1424
	s_waitcnt vmcnt(9) lgkmcnt(1)
	v_mul_f64 v[156:157], v[2:3], v[12:13]
	v_mul_f64 v[12:13], v[4:5], v[12:13]
	s_waitcnt vmcnt(8) lgkmcnt(0)
	v_mul_f64 v[177:178], v[6:7], v[16:17]
	v_mul_f64 v[16:17], v[8:9], v[16:17]
	v_add_f64 v[44:45], v[44:45], 0
	v_add_f64 v[48:49], v[48:49], 0
	v_fma_f64 v[156:157], v[4:5], v[10:11], v[156:157]
	v_fma_f64 v[179:180], v[2:3], v[10:11], -v[12:13]
	ds_load_b128 v[2:5], v1 offset:1440
	scratch_load_b128 v[10:13], off, off offset:672
	v_add_f64 v[44:45], v[44:45], v[175:176]
	v_add_f64 v[46:47], v[48:49], v[46:47]
	v_fma_f64 v[175:176], v[8:9], v[14:15], v[177:178]
	v_fma_f64 v[177:178], v[6:7], v[14:15], -v[16:17]
	scratch_load_b128 v[14:17], off, off offset:688
	ds_load_b128 v[6:9], v1 offset:1456
	s_waitcnt vmcnt(9) lgkmcnt(1)
	v_mul_f64 v[48:49], v[2:3], v[20:21]
	v_mul_f64 v[20:21], v[4:5], v[20:21]
	v_add_f64 v[44:45], v[44:45], v[179:180]
	v_add_f64 v[46:47], v[46:47], v[156:157]
	s_waitcnt vmcnt(8) lgkmcnt(0)
	v_mul_f64 v[156:157], v[6:7], v[24:25]
	v_mul_f64 v[24:25], v[8:9], v[24:25]
	v_fma_f64 v[48:49], v[4:5], v[18:19], v[48:49]
	v_fma_f64 v[179:180], v[2:3], v[18:19], -v[20:21]
	ds_load_b128 v[2:5], v1 offset:1472
	scratch_load_b128 v[18:21], off, off offset:704
	v_add_f64 v[44:45], v[44:45], v[177:178]
	v_add_f64 v[46:47], v[46:47], v[175:176]
	v_fma_f64 v[156:157], v[8:9], v[22:23], v[156:157]
	v_fma_f64 v[177:178], v[6:7], v[22:23], -v[24:25]
	scratch_load_b128 v[22:25], off, off offset:720
	ds_load_b128 v[6:9], v1 offset:1488
	s_waitcnt vmcnt(9) lgkmcnt(1)
	v_mul_f64 v[175:176], v[2:3], v[28:29]
	v_mul_f64 v[28:29], v[4:5], v[28:29]
	v_add_f64 v[44:45], v[44:45], v[179:180]
	v_add_f64 v[46:47], v[46:47], v[48:49]
	s_waitcnt vmcnt(8) lgkmcnt(0)
	v_mul_f64 v[48:49], v[6:7], v[32:33]
	v_mul_f64 v[32:33], v[8:9], v[32:33]
	;; [unrolled: 18-line block ×3, first 2 shown]
	v_fma_f64 v[156:157], v[4:5], v[34:35], v[156:157]
	v_fma_f64 v[179:180], v[2:3], v[34:35], -v[36:37]
	ds_load_b128 v[2:5], v1 offset:1536
	scratch_load_b128 v[34:37], off, off offset:768
	v_add_f64 v[44:45], v[44:45], v[177:178]
	v_add_f64 v[46:47], v[46:47], v[48:49]
	v_fma_f64 v[175:176], v[8:9], v[171:172], v[175:176]
	v_fma_f64 v[177:178], v[6:7], v[171:172], -v[173:174]
	ds_load_b128 v[6:9], v1 offset:1552
	scratch_load_b128 v[171:174], off, off offset:784
	s_waitcnt vmcnt(9) lgkmcnt(1)
	v_mul_f64 v[48:49], v[2:3], v[40:41]
	v_mul_f64 v[40:41], v[4:5], v[40:41]
	v_add_f64 v[44:45], v[44:45], v[179:180]
	v_add_f64 v[46:47], v[46:47], v[156:157]
	s_waitcnt vmcnt(8) lgkmcnt(0)
	v_mul_f64 v[156:157], v[6:7], v[169:170]
	v_mul_f64 v[169:170], v[8:9], v[169:170]
	v_fma_f64 v[48:49], v[4:5], v[38:39], v[48:49]
	v_fma_f64 v[179:180], v[2:3], v[38:39], -v[40:41]
	ds_load_b128 v[2:5], v1 offset:1568
	scratch_load_b128 v[38:41], off, off offset:800
	v_add_f64 v[44:45], v[44:45], v[177:178]
	v_add_f64 v[46:47], v[46:47], v[175:176]
	v_fma_f64 v[156:157], v[8:9], v[167:168], v[156:157]
	v_fma_f64 v[177:178], v[6:7], v[167:168], -v[169:170]
	ds_load_b128 v[6:9], v1 offset:1584
	s_waitcnt vmcnt(8) lgkmcnt(1)
	v_mul_f64 v[175:176], v[2:3], v[12:13]
	v_mul_f64 v[12:13], v[4:5], v[12:13]
	scratch_load_b128 v[167:170], off, off offset:816
	v_add_f64 v[44:45], v[44:45], v[179:180]
	v_add_f64 v[46:47], v[46:47], v[48:49]
	s_waitcnt vmcnt(8) lgkmcnt(0)
	v_mul_f64 v[48:49], v[6:7], v[16:17]
	v_mul_f64 v[16:17], v[8:9], v[16:17]
	v_fma_f64 v[175:176], v[4:5], v[10:11], v[175:176]
	v_fma_f64 v[179:180], v[2:3], v[10:11], -v[12:13]
	scratch_load_b128 v[10:13], off, off offset:832
	ds_load_b128 v[2:5], v1 offset:1600
	v_add_f64 v[44:45], v[44:45], v[177:178]
	v_add_f64 v[46:47], v[46:47], v[156:157]
	v_fma_f64 v[48:49], v[8:9], v[14:15], v[48:49]
	v_fma_f64 v[177:178], v[6:7], v[14:15], -v[16:17]
	ds_load_b128 v[6:9], v1 offset:1616
	s_waitcnt vmcnt(8) lgkmcnt(1)
	v_mul_f64 v[156:157], v[2:3], v[20:21]
	v_mul_f64 v[20:21], v[4:5], v[20:21]
	scratch_load_b128 v[14:17], off, off offset:848
	v_add_f64 v[44:45], v[44:45], v[179:180]
	v_add_f64 v[46:47], v[46:47], v[175:176]
	s_waitcnt vmcnt(8) lgkmcnt(0)
	v_mul_f64 v[175:176], v[6:7], v[24:25]
	v_mul_f64 v[24:25], v[8:9], v[24:25]
	v_fma_f64 v[156:157], v[4:5], v[18:19], v[156:157]
	v_fma_f64 v[179:180], v[2:3], v[18:19], -v[20:21]
	scratch_load_b128 v[18:21], off, off offset:864
	ds_load_b128 v[2:5], v1 offset:1632
	v_add_f64 v[44:45], v[44:45], v[177:178]
	v_add_f64 v[46:47], v[46:47], v[48:49]
	v_fma_f64 v[175:176], v[8:9], v[22:23], v[175:176]
	v_fma_f64 v[177:178], v[6:7], v[22:23], -v[24:25]
	ds_load_b128 v[6:9], v1 offset:1648
	s_waitcnt vmcnt(8) lgkmcnt(1)
	v_mul_f64 v[48:49], v[2:3], v[28:29]
	v_mul_f64 v[28:29], v[4:5], v[28:29]
	scratch_load_b128 v[22:25], off, off offset:880
	v_add_f64 v[44:45], v[44:45], v[179:180]
	v_add_f64 v[46:47], v[46:47], v[156:157]
	s_waitcnt vmcnt(8) lgkmcnt(0)
	v_mul_f64 v[156:157], v[6:7], v[32:33]
	v_mul_f64 v[32:33], v[8:9], v[32:33]
	v_fma_f64 v[48:49], v[4:5], v[26:27], v[48:49]
	v_fma_f64 v[26:27], v[2:3], v[26:27], -v[28:29]
	ds_load_b128 v[2:5], v1 offset:1664
	v_add_f64 v[28:29], v[44:45], v[177:178]
	v_add_f64 v[44:45], v[46:47], v[175:176]
	v_fma_f64 v[156:157], v[8:9], v[30:31], v[156:157]
	v_fma_f64 v[30:31], v[6:7], v[30:31], -v[32:33]
	ds_load_b128 v[6:9], v1 offset:1680
	s_waitcnt vmcnt(7) lgkmcnt(1)
	v_mul_f64 v[46:47], v[2:3], v[36:37]
	v_mul_f64 v[36:37], v[4:5], v[36:37]
	v_add_f64 v[26:27], v[28:29], v[26:27]
	v_add_f64 v[28:29], v[44:45], v[48:49]
	s_delay_alu instid0(VALU_DEP_4) | instskip(NEXT) | instid1(VALU_DEP_4)
	v_fma_f64 v[46:47], v[4:5], v[34:35], v[46:47]
	v_fma_f64 v[34:35], v[2:3], v[34:35], -v[36:37]
	ds_load_b128 v[2:5], v1 offset:1696
	v_add_f64 v[30:31], v[26:27], v[30:31]
	v_add_f64 v[36:37], v[28:29], v[156:157]
	scratch_load_b128 v[26:29], off, off offset:464
	s_waitcnt vmcnt(7) lgkmcnt(1)
	v_mul_f64 v[32:33], v[6:7], v[173:174]
	v_mul_f64 v[44:45], v[8:9], v[173:174]
	v_add_f64 v[30:31], v[30:31], v[34:35]
	v_add_f64 v[34:35], v[36:37], v[46:47]
	s_delay_alu instid0(VALU_DEP_4) | instskip(NEXT) | instid1(VALU_DEP_4)
	v_fma_f64 v[32:33], v[8:9], v[171:172], v[32:33]
	v_fma_f64 v[44:45], v[6:7], v[171:172], -v[44:45]
	ds_load_b128 v[6:9], v1 offset:1712
	s_waitcnt vmcnt(6) lgkmcnt(1)
	v_mul_f64 v[48:49], v[2:3], v[40:41]
	v_mul_f64 v[40:41], v[4:5], v[40:41]
	s_waitcnt vmcnt(5) lgkmcnt(0)
	v_mul_f64 v[36:37], v[6:7], v[169:170]
	v_mul_f64 v[46:47], v[8:9], v[169:170]
	v_add_f64 v[32:33], v[34:35], v[32:33]
	v_add_f64 v[30:31], v[30:31], v[44:45]
	v_fma_f64 v[48:49], v[4:5], v[38:39], v[48:49]
	v_fma_f64 v[38:39], v[2:3], v[38:39], -v[40:41]
	ds_load_b128 v[2:5], v1 offset:1728
	v_fma_f64 v[36:37], v[8:9], v[167:168], v[36:37]
	v_fma_f64 v[40:41], v[6:7], v[167:168], -v[46:47]
	ds_load_b128 v[6:9], v1 offset:1744
	s_waitcnt vmcnt(4) lgkmcnt(1)
	v_mul_f64 v[34:35], v[2:3], v[12:13]
	v_mul_f64 v[12:13], v[4:5], v[12:13]
	v_add_f64 v[32:33], v[32:33], v[48:49]
	v_add_f64 v[30:31], v[30:31], v[38:39]
	s_waitcnt vmcnt(3) lgkmcnt(0)
	v_mul_f64 v[38:39], v[6:7], v[16:17]
	v_mul_f64 v[16:17], v[8:9], v[16:17]
	v_fma_f64 v[34:35], v[4:5], v[10:11], v[34:35]
	v_fma_f64 v[10:11], v[2:3], v[10:11], -v[12:13]
	ds_load_b128 v[2:5], v1 offset:1760
	v_add_f64 v[12:13], v[30:31], v[40:41]
	v_add_f64 v[30:31], v[32:33], v[36:37]
	v_fma_f64 v[36:37], v[8:9], v[14:15], v[38:39]
	v_fma_f64 v[14:15], v[6:7], v[14:15], -v[16:17]
	ds_load_b128 v[6:9], v1 offset:1776
	s_waitcnt vmcnt(2) lgkmcnt(1)
	v_mul_f64 v[32:33], v[2:3], v[20:21]
	v_mul_f64 v[20:21], v[4:5], v[20:21]
	s_waitcnt vmcnt(1) lgkmcnt(0)
	v_mul_f64 v[16:17], v[6:7], v[24:25]
	v_mul_f64 v[24:25], v[8:9], v[24:25]
	v_add_f64 v[10:11], v[12:13], v[10:11]
	v_add_f64 v[12:13], v[30:31], v[34:35]
	v_fma_f64 v[4:5], v[4:5], v[18:19], v[32:33]
	v_fma_f64 v[1:2], v[2:3], v[18:19], -v[20:21]
	v_fma_f64 v[8:9], v[8:9], v[22:23], v[16:17]
	v_fma_f64 v[6:7], v[6:7], v[22:23], -v[24:25]
	v_add_f64 v[10:11], v[10:11], v[14:15]
	v_add_f64 v[12:13], v[12:13], v[36:37]
	s_delay_alu instid0(VALU_DEP_2) | instskip(NEXT) | instid1(VALU_DEP_2)
	v_add_f64 v[1:2], v[10:11], v[1:2]
	v_add_f64 v[3:4], v[12:13], v[4:5]
	s_delay_alu instid0(VALU_DEP_2) | instskip(NEXT) | instid1(VALU_DEP_2)
	v_add_f64 v[1:2], v[1:2], v[6:7]
	v_add_f64 v[3:4], v[3:4], v[8:9]
	s_waitcnt vmcnt(0)
	s_delay_alu instid0(VALU_DEP_2) | instskip(NEXT) | instid1(VALU_DEP_2)
	v_add_f64 v[1:2], v[26:27], -v[1:2]
	v_add_f64 v[3:4], v[28:29], -v[3:4]
	scratch_store_b128 off, v[1:4], off offset:464
	v_cmpx_lt_u32_e32 28, v154
	s_cbranch_execz .LBB119_293
; %bb.292:
	scratch_load_b128 v[1:4], v161, off
	v_mov_b32_e32 v5, 0
	s_delay_alu instid0(VALU_DEP_1)
	v_mov_b32_e32 v6, v5
	v_mov_b32_e32 v7, v5
	;; [unrolled: 1-line block ×3, first 2 shown]
	scratch_store_b128 off, v[5:8], off offset:448
	s_waitcnt vmcnt(0)
	ds_store_b128 v210, v[1:4]
.LBB119_293:
	s_or_b32 exec_lo, exec_lo, s2
	s_waitcnt lgkmcnt(0)
	s_waitcnt_vscnt null, 0x0
	s_barrier
	buffer_gl0_inv
	s_clause 0x7
	scratch_load_b128 v[2:5], off, off offset:464
	scratch_load_b128 v[6:9], off, off offset:480
	;; [unrolled: 1-line block ×8, first 2 shown]
	v_mov_b32_e32 v1, 0
	s_clause 0x1
	scratch_load_b128 v[34:37], off, off offset:592
	scratch_load_b128 v[171:174], off, off offset:608
	s_mov_b32 s2, exec_lo
	ds_load_b128 v[38:41], v1 offset:1360
	ds_load_b128 v[167:170], v1 offset:1376
	s_waitcnt vmcnt(9) lgkmcnt(1)
	v_mul_f64 v[44:45], v[40:41], v[4:5]
	v_mul_f64 v[4:5], v[38:39], v[4:5]
	s_waitcnt vmcnt(8) lgkmcnt(0)
	v_mul_f64 v[46:47], v[167:168], v[8:9]
	v_mul_f64 v[8:9], v[169:170], v[8:9]
	s_delay_alu instid0(VALU_DEP_4) | instskip(NEXT) | instid1(VALU_DEP_4)
	v_fma_f64 v[44:45], v[38:39], v[2:3], -v[44:45]
	v_fma_f64 v[48:49], v[40:41], v[2:3], v[4:5]
	ds_load_b128 v[2:5], v1 offset:1392
	scratch_load_b128 v[38:41], off, off offset:624
	v_fma_f64 v[46:47], v[169:170], v[6:7], v[46:47]
	v_fma_f64 v[175:176], v[167:168], v[6:7], -v[8:9]
	scratch_load_b128 v[167:170], off, off offset:640
	ds_load_b128 v[6:9], v1 offset:1408
	s_waitcnt vmcnt(9) lgkmcnt(1)
	v_mul_f64 v[156:157], v[2:3], v[12:13]
	v_mul_f64 v[12:13], v[4:5], v[12:13]
	s_waitcnt vmcnt(8) lgkmcnt(0)
	v_mul_f64 v[177:178], v[6:7], v[16:17]
	v_mul_f64 v[16:17], v[8:9], v[16:17]
	v_add_f64 v[44:45], v[44:45], 0
	v_add_f64 v[48:49], v[48:49], 0
	v_fma_f64 v[156:157], v[4:5], v[10:11], v[156:157]
	v_fma_f64 v[179:180], v[2:3], v[10:11], -v[12:13]
	ds_load_b128 v[2:5], v1 offset:1424
	scratch_load_b128 v[10:13], off, off offset:656
	v_add_f64 v[44:45], v[44:45], v[175:176]
	v_add_f64 v[46:47], v[48:49], v[46:47]
	v_fma_f64 v[175:176], v[8:9], v[14:15], v[177:178]
	v_fma_f64 v[177:178], v[6:7], v[14:15], -v[16:17]
	scratch_load_b128 v[14:17], off, off offset:672
	ds_load_b128 v[6:9], v1 offset:1440
	s_waitcnt vmcnt(9) lgkmcnt(1)
	v_mul_f64 v[48:49], v[2:3], v[20:21]
	v_mul_f64 v[20:21], v[4:5], v[20:21]
	v_add_f64 v[44:45], v[44:45], v[179:180]
	v_add_f64 v[46:47], v[46:47], v[156:157]
	s_waitcnt vmcnt(8) lgkmcnt(0)
	v_mul_f64 v[156:157], v[6:7], v[24:25]
	v_mul_f64 v[24:25], v[8:9], v[24:25]
	v_fma_f64 v[48:49], v[4:5], v[18:19], v[48:49]
	v_fma_f64 v[179:180], v[2:3], v[18:19], -v[20:21]
	ds_load_b128 v[2:5], v1 offset:1456
	scratch_load_b128 v[18:21], off, off offset:688
	v_add_f64 v[44:45], v[44:45], v[177:178]
	v_add_f64 v[46:47], v[46:47], v[175:176]
	v_fma_f64 v[156:157], v[8:9], v[22:23], v[156:157]
	v_fma_f64 v[177:178], v[6:7], v[22:23], -v[24:25]
	scratch_load_b128 v[22:25], off, off offset:704
	ds_load_b128 v[6:9], v1 offset:1472
	s_waitcnt vmcnt(9) lgkmcnt(1)
	v_mul_f64 v[175:176], v[2:3], v[28:29]
	v_mul_f64 v[28:29], v[4:5], v[28:29]
	v_add_f64 v[44:45], v[44:45], v[179:180]
	v_add_f64 v[46:47], v[46:47], v[48:49]
	s_waitcnt vmcnt(8) lgkmcnt(0)
	v_mul_f64 v[48:49], v[6:7], v[32:33]
	v_mul_f64 v[32:33], v[8:9], v[32:33]
	;; [unrolled: 18-line block ×4, first 2 shown]
	v_fma_f64 v[48:49], v[4:5], v[38:39], v[48:49]
	v_fma_f64 v[179:180], v[2:3], v[38:39], -v[40:41]
	ds_load_b128 v[2:5], v1 offset:1552
	scratch_load_b128 v[38:41], off, off offset:784
	v_add_f64 v[44:45], v[44:45], v[177:178]
	v_add_f64 v[46:47], v[46:47], v[175:176]
	v_fma_f64 v[156:157], v[8:9], v[167:168], v[156:157]
	v_fma_f64 v[177:178], v[6:7], v[167:168], -v[169:170]
	ds_load_b128 v[6:9], v1 offset:1568
	s_waitcnt vmcnt(8) lgkmcnt(1)
	v_mul_f64 v[175:176], v[2:3], v[12:13]
	v_mul_f64 v[12:13], v[4:5], v[12:13]
	scratch_load_b128 v[167:170], off, off offset:800
	v_add_f64 v[44:45], v[44:45], v[179:180]
	v_add_f64 v[46:47], v[46:47], v[48:49]
	s_waitcnt vmcnt(8) lgkmcnt(0)
	v_mul_f64 v[48:49], v[6:7], v[16:17]
	v_mul_f64 v[16:17], v[8:9], v[16:17]
	v_fma_f64 v[175:176], v[4:5], v[10:11], v[175:176]
	v_fma_f64 v[179:180], v[2:3], v[10:11], -v[12:13]
	scratch_load_b128 v[10:13], off, off offset:816
	ds_load_b128 v[2:5], v1 offset:1584
	v_add_f64 v[44:45], v[44:45], v[177:178]
	v_add_f64 v[46:47], v[46:47], v[156:157]
	v_fma_f64 v[48:49], v[8:9], v[14:15], v[48:49]
	v_fma_f64 v[177:178], v[6:7], v[14:15], -v[16:17]
	ds_load_b128 v[6:9], v1 offset:1600
	s_waitcnt vmcnt(8) lgkmcnt(1)
	v_mul_f64 v[156:157], v[2:3], v[20:21]
	v_mul_f64 v[20:21], v[4:5], v[20:21]
	scratch_load_b128 v[14:17], off, off offset:832
	v_add_f64 v[44:45], v[44:45], v[179:180]
	v_add_f64 v[46:47], v[46:47], v[175:176]
	s_waitcnt vmcnt(8) lgkmcnt(0)
	v_mul_f64 v[175:176], v[6:7], v[24:25]
	v_mul_f64 v[24:25], v[8:9], v[24:25]
	v_fma_f64 v[156:157], v[4:5], v[18:19], v[156:157]
	v_fma_f64 v[179:180], v[2:3], v[18:19], -v[20:21]
	scratch_load_b128 v[18:21], off, off offset:848
	ds_load_b128 v[2:5], v1 offset:1616
	;; [unrolled: 18-line block ×3, first 2 shown]
	v_add_f64 v[44:45], v[44:45], v[177:178]
	v_add_f64 v[46:47], v[46:47], v[175:176]
	v_fma_f64 v[156:157], v[8:9], v[30:31], v[156:157]
	v_fma_f64 v[30:31], v[6:7], v[30:31], -v[32:33]
	ds_load_b128 v[6:9], v1 offset:1664
	s_waitcnt vmcnt(8) lgkmcnt(1)
	v_mul_f64 v[175:176], v[2:3], v[36:37]
	v_mul_f64 v[36:37], v[4:5], v[36:37]
	v_add_f64 v[32:33], v[44:45], v[179:180]
	v_add_f64 v[44:45], v[46:47], v[48:49]
	s_waitcnt vmcnt(7) lgkmcnt(0)
	v_mul_f64 v[46:47], v[6:7], v[173:174]
	v_mul_f64 v[48:49], v[8:9], v[173:174]
	v_fma_f64 v[173:174], v[4:5], v[34:35], v[175:176]
	v_fma_f64 v[34:35], v[2:3], v[34:35], -v[36:37]
	ds_load_b128 v[2:5], v1 offset:1680
	v_add_f64 v[30:31], v[32:33], v[30:31]
	v_add_f64 v[32:33], v[44:45], v[156:157]
	v_fma_f64 v[44:45], v[8:9], v[171:172], v[46:47]
	v_fma_f64 v[46:47], v[6:7], v[171:172], -v[48:49]
	ds_load_b128 v[6:9], v1 offset:1696
	s_waitcnt vmcnt(5) lgkmcnt(0)
	v_mul_f64 v[156:157], v[6:7], v[169:170]
	v_mul_f64 v[169:170], v[8:9], v[169:170]
	v_add_f64 v[34:35], v[30:31], v[34:35]
	v_add_f64 v[48:49], v[32:33], v[173:174]
	scratch_load_b128 v[30:33], off, off offset:448
	v_mul_f64 v[36:37], v[2:3], v[40:41]
	v_mul_f64 v[40:41], v[4:5], v[40:41]
	v_add_f64 v[34:35], v[34:35], v[46:47]
	v_fma_f64 v[46:47], v[8:9], v[167:168], v[156:157]
	s_delay_alu instid0(VALU_DEP_4) | instskip(NEXT) | instid1(VALU_DEP_4)
	v_fma_f64 v[36:37], v[4:5], v[38:39], v[36:37]
	v_fma_f64 v[38:39], v[2:3], v[38:39], -v[40:41]
	v_add_f64 v[40:41], v[48:49], v[44:45]
	ds_load_b128 v[2:5], v1 offset:1712
	v_fma_f64 v[48:49], v[6:7], v[167:168], -v[169:170]
	ds_load_b128 v[6:9], v1 offset:1728
	s_waitcnt vmcnt(5) lgkmcnt(1)
	v_mul_f64 v[44:45], v[2:3], v[12:13]
	v_mul_f64 v[12:13], v[4:5], v[12:13]
	v_add_f64 v[34:35], v[34:35], v[38:39]
	v_add_f64 v[36:37], v[40:41], v[36:37]
	s_waitcnt vmcnt(4) lgkmcnt(0)
	v_mul_f64 v[38:39], v[6:7], v[16:17]
	v_mul_f64 v[16:17], v[8:9], v[16:17]
	v_fma_f64 v[40:41], v[4:5], v[10:11], v[44:45]
	v_fma_f64 v[10:11], v[2:3], v[10:11], -v[12:13]
	ds_load_b128 v[2:5], v1 offset:1744
	v_add_f64 v[12:13], v[34:35], v[48:49]
	v_add_f64 v[34:35], v[36:37], v[46:47]
	v_fma_f64 v[38:39], v[8:9], v[14:15], v[38:39]
	v_fma_f64 v[14:15], v[6:7], v[14:15], -v[16:17]
	ds_load_b128 v[6:9], v1 offset:1760
	s_waitcnt vmcnt(3) lgkmcnt(1)
	v_mul_f64 v[36:37], v[2:3], v[20:21]
	v_mul_f64 v[20:21], v[4:5], v[20:21]
	s_waitcnt vmcnt(2) lgkmcnt(0)
	v_mul_f64 v[16:17], v[6:7], v[24:25]
	v_mul_f64 v[24:25], v[8:9], v[24:25]
	v_add_f64 v[10:11], v[12:13], v[10:11]
	v_add_f64 v[12:13], v[34:35], v[40:41]
	v_fma_f64 v[34:35], v[4:5], v[18:19], v[36:37]
	v_fma_f64 v[18:19], v[2:3], v[18:19], -v[20:21]
	ds_load_b128 v[2:5], v1 offset:1776
	v_fma_f64 v[8:9], v[8:9], v[22:23], v[16:17]
	v_fma_f64 v[6:7], v[6:7], v[22:23], -v[24:25]
	s_waitcnt vmcnt(1) lgkmcnt(0)
	v_mul_f64 v[20:21], v[4:5], v[28:29]
	v_add_f64 v[10:11], v[10:11], v[14:15]
	v_add_f64 v[12:13], v[12:13], v[38:39]
	v_mul_f64 v[14:15], v[2:3], v[28:29]
	s_delay_alu instid0(VALU_DEP_4) | instskip(NEXT) | instid1(VALU_DEP_4)
	v_fma_f64 v[2:3], v[2:3], v[26:27], -v[20:21]
	v_add_f64 v[10:11], v[10:11], v[18:19]
	s_delay_alu instid0(VALU_DEP_4) | instskip(NEXT) | instid1(VALU_DEP_4)
	v_add_f64 v[12:13], v[12:13], v[34:35]
	v_fma_f64 v[4:5], v[4:5], v[26:27], v[14:15]
	s_delay_alu instid0(VALU_DEP_3) | instskip(NEXT) | instid1(VALU_DEP_3)
	v_add_f64 v[6:7], v[10:11], v[6:7]
	v_add_f64 v[8:9], v[12:13], v[8:9]
	s_delay_alu instid0(VALU_DEP_2) | instskip(NEXT) | instid1(VALU_DEP_2)
	v_add_f64 v[2:3], v[6:7], v[2:3]
	v_add_f64 v[4:5], v[8:9], v[4:5]
	s_waitcnt vmcnt(0)
	s_delay_alu instid0(VALU_DEP_2) | instskip(NEXT) | instid1(VALU_DEP_2)
	v_add_f64 v[2:3], v[30:31], -v[2:3]
	v_add_f64 v[4:5], v[32:33], -v[4:5]
	scratch_store_b128 off, v[2:5], off offset:448
	v_cmpx_lt_u32_e32 27, v154
	s_cbranch_execz .LBB119_295
; %bb.294:
	scratch_load_b128 v[5:8], v255, off
	v_mov_b32_e32 v2, v1
	v_mov_b32_e32 v3, v1
	;; [unrolled: 1-line block ×3, first 2 shown]
	scratch_store_b128 off, v[1:4], off offset:432
	s_waitcnt vmcnt(0)
	ds_store_b128 v210, v[5:8]
.LBB119_295:
	s_or_b32 exec_lo, exec_lo, s2
	s_waitcnt lgkmcnt(0)
	s_waitcnt_vscnt null, 0x0
	s_barrier
	buffer_gl0_inv
	s_clause 0x7
	scratch_load_b128 v[2:5], off, off offset:448
	scratch_load_b128 v[6:9], off, off offset:464
	;; [unrolled: 1-line block ×8, first 2 shown]
	ds_load_b128 v[38:41], v1 offset:1344
	ds_load_b128 v[167:170], v1 offset:1360
	s_clause 0x1
	scratch_load_b128 v[34:37], off, off offset:576
	scratch_load_b128 v[171:174], off, off offset:592
	s_mov_b32 s2, exec_lo
	s_waitcnt vmcnt(9) lgkmcnt(1)
	v_mul_f64 v[44:45], v[40:41], v[4:5]
	v_mul_f64 v[4:5], v[38:39], v[4:5]
	s_waitcnt vmcnt(8) lgkmcnt(0)
	v_mul_f64 v[46:47], v[167:168], v[8:9]
	v_mul_f64 v[8:9], v[169:170], v[8:9]
	s_delay_alu instid0(VALU_DEP_4) | instskip(NEXT) | instid1(VALU_DEP_4)
	v_fma_f64 v[44:45], v[38:39], v[2:3], -v[44:45]
	v_fma_f64 v[48:49], v[40:41], v[2:3], v[4:5]
	ds_load_b128 v[2:5], v1 offset:1376
	scratch_load_b128 v[38:41], off, off offset:608
	v_fma_f64 v[46:47], v[169:170], v[6:7], v[46:47]
	v_fma_f64 v[175:176], v[167:168], v[6:7], -v[8:9]
	scratch_load_b128 v[167:170], off, off offset:624
	ds_load_b128 v[6:9], v1 offset:1392
	s_waitcnt vmcnt(9) lgkmcnt(1)
	v_mul_f64 v[156:157], v[2:3], v[12:13]
	v_mul_f64 v[12:13], v[4:5], v[12:13]
	s_waitcnt vmcnt(8) lgkmcnt(0)
	v_mul_f64 v[177:178], v[6:7], v[16:17]
	v_mul_f64 v[16:17], v[8:9], v[16:17]
	v_add_f64 v[44:45], v[44:45], 0
	v_add_f64 v[48:49], v[48:49], 0
	v_fma_f64 v[156:157], v[4:5], v[10:11], v[156:157]
	v_fma_f64 v[179:180], v[2:3], v[10:11], -v[12:13]
	ds_load_b128 v[2:5], v1 offset:1408
	scratch_load_b128 v[10:13], off, off offset:640
	v_add_f64 v[44:45], v[44:45], v[175:176]
	v_add_f64 v[46:47], v[48:49], v[46:47]
	v_fma_f64 v[175:176], v[8:9], v[14:15], v[177:178]
	v_fma_f64 v[177:178], v[6:7], v[14:15], -v[16:17]
	scratch_load_b128 v[14:17], off, off offset:656
	ds_load_b128 v[6:9], v1 offset:1424
	s_waitcnt vmcnt(9) lgkmcnt(1)
	v_mul_f64 v[48:49], v[2:3], v[20:21]
	v_mul_f64 v[20:21], v[4:5], v[20:21]
	v_add_f64 v[44:45], v[44:45], v[179:180]
	v_add_f64 v[46:47], v[46:47], v[156:157]
	s_waitcnt vmcnt(8) lgkmcnt(0)
	v_mul_f64 v[156:157], v[6:7], v[24:25]
	v_mul_f64 v[24:25], v[8:9], v[24:25]
	v_fma_f64 v[48:49], v[4:5], v[18:19], v[48:49]
	v_fma_f64 v[179:180], v[2:3], v[18:19], -v[20:21]
	ds_load_b128 v[2:5], v1 offset:1440
	scratch_load_b128 v[18:21], off, off offset:672
	v_add_f64 v[44:45], v[44:45], v[177:178]
	v_add_f64 v[46:47], v[46:47], v[175:176]
	v_fma_f64 v[156:157], v[8:9], v[22:23], v[156:157]
	v_fma_f64 v[177:178], v[6:7], v[22:23], -v[24:25]
	scratch_load_b128 v[22:25], off, off offset:688
	ds_load_b128 v[6:9], v1 offset:1456
	s_waitcnt vmcnt(9) lgkmcnt(1)
	v_mul_f64 v[175:176], v[2:3], v[28:29]
	v_mul_f64 v[28:29], v[4:5], v[28:29]
	v_add_f64 v[44:45], v[44:45], v[179:180]
	v_add_f64 v[46:47], v[46:47], v[48:49]
	s_waitcnt vmcnt(8) lgkmcnt(0)
	v_mul_f64 v[48:49], v[6:7], v[32:33]
	v_mul_f64 v[32:33], v[8:9], v[32:33]
	;; [unrolled: 18-line block ×4, first 2 shown]
	v_fma_f64 v[48:49], v[4:5], v[38:39], v[48:49]
	v_fma_f64 v[179:180], v[2:3], v[38:39], -v[40:41]
	ds_load_b128 v[2:5], v1 offset:1536
	scratch_load_b128 v[38:41], off, off offset:768
	v_add_f64 v[44:45], v[44:45], v[177:178]
	v_add_f64 v[46:47], v[46:47], v[175:176]
	v_fma_f64 v[156:157], v[8:9], v[167:168], v[156:157]
	v_fma_f64 v[177:178], v[6:7], v[167:168], -v[169:170]
	ds_load_b128 v[6:9], v1 offset:1552
	s_waitcnt vmcnt(8) lgkmcnt(1)
	v_mul_f64 v[175:176], v[2:3], v[12:13]
	v_mul_f64 v[12:13], v[4:5], v[12:13]
	scratch_load_b128 v[167:170], off, off offset:784
	v_add_f64 v[44:45], v[44:45], v[179:180]
	v_add_f64 v[46:47], v[46:47], v[48:49]
	s_waitcnt vmcnt(8) lgkmcnt(0)
	v_mul_f64 v[48:49], v[6:7], v[16:17]
	v_mul_f64 v[16:17], v[8:9], v[16:17]
	v_fma_f64 v[175:176], v[4:5], v[10:11], v[175:176]
	v_fma_f64 v[179:180], v[2:3], v[10:11], -v[12:13]
	ds_load_b128 v[2:5], v1 offset:1568
	scratch_load_b128 v[10:13], off, off offset:800
	v_add_f64 v[44:45], v[44:45], v[177:178]
	v_add_f64 v[46:47], v[46:47], v[156:157]
	v_fma_f64 v[48:49], v[8:9], v[14:15], v[48:49]
	v_fma_f64 v[177:178], v[6:7], v[14:15], -v[16:17]
	ds_load_b128 v[6:9], v1 offset:1584
	s_waitcnt vmcnt(8) lgkmcnt(1)
	v_mul_f64 v[156:157], v[2:3], v[20:21]
	v_mul_f64 v[20:21], v[4:5], v[20:21]
	scratch_load_b128 v[14:17], off, off offset:816
	v_add_f64 v[44:45], v[44:45], v[179:180]
	v_add_f64 v[46:47], v[46:47], v[175:176]
	s_waitcnt vmcnt(8) lgkmcnt(0)
	v_mul_f64 v[175:176], v[6:7], v[24:25]
	v_mul_f64 v[24:25], v[8:9], v[24:25]
	v_fma_f64 v[156:157], v[4:5], v[18:19], v[156:157]
	v_fma_f64 v[179:180], v[2:3], v[18:19], -v[20:21]
	scratch_load_b128 v[18:21], off, off offset:832
	ds_load_b128 v[2:5], v1 offset:1600
	v_add_f64 v[44:45], v[44:45], v[177:178]
	v_add_f64 v[46:47], v[46:47], v[48:49]
	v_fma_f64 v[175:176], v[8:9], v[22:23], v[175:176]
	v_fma_f64 v[177:178], v[6:7], v[22:23], -v[24:25]
	ds_load_b128 v[6:9], v1 offset:1616
	s_waitcnt vmcnt(8) lgkmcnt(1)
	v_mul_f64 v[48:49], v[2:3], v[28:29]
	v_mul_f64 v[28:29], v[4:5], v[28:29]
	scratch_load_b128 v[22:25], off, off offset:848
	v_add_f64 v[44:45], v[44:45], v[179:180]
	v_add_f64 v[46:47], v[46:47], v[156:157]
	s_waitcnt vmcnt(8) lgkmcnt(0)
	v_mul_f64 v[156:157], v[6:7], v[32:33]
	v_mul_f64 v[32:33], v[8:9], v[32:33]
	v_fma_f64 v[48:49], v[4:5], v[26:27], v[48:49]
	v_fma_f64 v[179:180], v[2:3], v[26:27], -v[28:29]
	scratch_load_b128 v[26:29], off, off offset:864
	ds_load_b128 v[2:5], v1 offset:1632
	v_add_f64 v[44:45], v[44:45], v[177:178]
	v_add_f64 v[46:47], v[46:47], v[175:176]
	v_fma_f64 v[156:157], v[8:9], v[30:31], v[156:157]
	v_fma_f64 v[177:178], v[6:7], v[30:31], -v[32:33]
	ds_load_b128 v[6:9], v1 offset:1648
	s_waitcnt vmcnt(8) lgkmcnt(1)
	v_mul_f64 v[175:176], v[2:3], v[36:37]
	v_mul_f64 v[36:37], v[4:5], v[36:37]
	scratch_load_b128 v[30:33], off, off offset:880
	v_add_f64 v[44:45], v[44:45], v[179:180]
	v_add_f64 v[46:47], v[46:47], v[48:49]
	s_waitcnt vmcnt(8) lgkmcnt(0)
	v_mul_f64 v[48:49], v[6:7], v[173:174]
	v_mul_f64 v[173:174], v[8:9], v[173:174]
	v_fma_f64 v[175:176], v[4:5], v[34:35], v[175:176]
	v_fma_f64 v[34:35], v[2:3], v[34:35], -v[36:37]
	ds_load_b128 v[2:5], v1 offset:1664
	v_add_f64 v[36:37], v[44:45], v[177:178]
	v_add_f64 v[44:45], v[46:47], v[156:157]
	v_fma_f64 v[48:49], v[8:9], v[171:172], v[48:49]
	v_fma_f64 v[156:157], v[6:7], v[171:172], -v[173:174]
	ds_load_b128 v[6:9], v1 offset:1680
	s_waitcnt vmcnt(7) lgkmcnt(1)
	v_mul_f64 v[46:47], v[2:3], v[40:41]
	v_mul_f64 v[40:41], v[4:5], v[40:41]
	v_add_f64 v[34:35], v[36:37], v[34:35]
	v_add_f64 v[36:37], v[44:45], v[175:176]
	s_delay_alu instid0(VALU_DEP_4) | instskip(NEXT) | instid1(VALU_DEP_4)
	v_fma_f64 v[46:47], v[4:5], v[38:39], v[46:47]
	v_fma_f64 v[38:39], v[2:3], v[38:39], -v[40:41]
	ds_load_b128 v[2:5], v1 offset:1696
	v_add_f64 v[40:41], v[34:35], v[156:157]
	v_add_f64 v[48:49], v[36:37], v[48:49]
	scratch_load_b128 v[34:37], off, off offset:432
	s_waitcnt vmcnt(7) lgkmcnt(1)
	v_mul_f64 v[44:45], v[6:7], v[169:170]
	v_mul_f64 v[169:170], v[8:9], v[169:170]
	v_add_f64 v[38:39], v[40:41], v[38:39]
	v_add_f64 v[40:41], v[48:49], v[46:47]
	s_delay_alu instid0(VALU_DEP_4) | instskip(NEXT) | instid1(VALU_DEP_4)
	v_fma_f64 v[44:45], v[8:9], v[167:168], v[44:45]
	v_fma_f64 v[167:168], v[6:7], v[167:168], -v[169:170]
	ds_load_b128 v[6:9], v1 offset:1712
	s_waitcnt vmcnt(6) lgkmcnt(1)
	v_mul_f64 v[156:157], v[2:3], v[12:13]
	v_mul_f64 v[12:13], v[4:5], v[12:13]
	s_waitcnt vmcnt(5) lgkmcnt(0)
	v_mul_f64 v[46:47], v[6:7], v[16:17]
	v_mul_f64 v[16:17], v[8:9], v[16:17]
	s_delay_alu instid0(VALU_DEP_4) | instskip(NEXT) | instid1(VALU_DEP_4)
	v_fma_f64 v[48:49], v[4:5], v[10:11], v[156:157]
	v_fma_f64 v[10:11], v[2:3], v[10:11], -v[12:13]
	v_add_f64 v[12:13], v[38:39], v[167:168]
	v_add_f64 v[38:39], v[40:41], v[44:45]
	ds_load_b128 v[2:5], v1 offset:1728
	v_fma_f64 v[44:45], v[8:9], v[14:15], v[46:47]
	v_fma_f64 v[14:15], v[6:7], v[14:15], -v[16:17]
	ds_load_b128 v[6:9], v1 offset:1744
	s_waitcnt vmcnt(4) lgkmcnt(1)
	v_mul_f64 v[40:41], v[2:3], v[20:21]
	v_mul_f64 v[20:21], v[4:5], v[20:21]
	v_add_f64 v[10:11], v[12:13], v[10:11]
	v_add_f64 v[12:13], v[38:39], v[48:49]
	s_waitcnt vmcnt(3) lgkmcnt(0)
	v_mul_f64 v[16:17], v[6:7], v[24:25]
	v_mul_f64 v[24:25], v[8:9], v[24:25]
	v_fma_f64 v[38:39], v[4:5], v[18:19], v[40:41]
	v_fma_f64 v[18:19], v[2:3], v[18:19], -v[20:21]
	ds_load_b128 v[2:5], v1 offset:1760
	v_add_f64 v[10:11], v[10:11], v[14:15]
	v_add_f64 v[12:13], v[12:13], v[44:45]
	v_fma_f64 v[16:17], v[8:9], v[22:23], v[16:17]
	v_fma_f64 v[22:23], v[6:7], v[22:23], -v[24:25]
	ds_load_b128 v[6:9], v1 offset:1776
	s_waitcnt vmcnt(2) lgkmcnt(1)
	v_mul_f64 v[14:15], v[2:3], v[28:29]
	v_mul_f64 v[20:21], v[4:5], v[28:29]
	s_waitcnt vmcnt(1) lgkmcnt(0)
	v_mul_f64 v[24:25], v[8:9], v[32:33]
	v_add_f64 v[10:11], v[10:11], v[18:19]
	v_add_f64 v[12:13], v[12:13], v[38:39]
	v_mul_f64 v[18:19], v[6:7], v[32:33]
	v_fma_f64 v[4:5], v[4:5], v[26:27], v[14:15]
	v_fma_f64 v[1:2], v[2:3], v[26:27], -v[20:21]
	v_fma_f64 v[6:7], v[6:7], v[30:31], -v[24:25]
	v_add_f64 v[10:11], v[10:11], v[22:23]
	v_add_f64 v[12:13], v[12:13], v[16:17]
	v_fma_f64 v[8:9], v[8:9], v[30:31], v[18:19]
	s_delay_alu instid0(VALU_DEP_3) | instskip(NEXT) | instid1(VALU_DEP_3)
	v_add_f64 v[1:2], v[10:11], v[1:2]
	v_add_f64 v[3:4], v[12:13], v[4:5]
	s_delay_alu instid0(VALU_DEP_2) | instskip(NEXT) | instid1(VALU_DEP_2)
	v_add_f64 v[1:2], v[1:2], v[6:7]
	v_add_f64 v[3:4], v[3:4], v[8:9]
	s_waitcnt vmcnt(0)
	s_delay_alu instid0(VALU_DEP_2) | instskip(NEXT) | instid1(VALU_DEP_2)
	v_add_f64 v[1:2], v[34:35], -v[1:2]
	v_add_f64 v[3:4], v[36:37], -v[3:4]
	scratch_store_b128 off, v[1:4], off offset:432
	v_cmpx_lt_u32_e32 26, v154
	s_cbranch_execz .LBB119_297
; %bb.296:
	scratch_load_b128 v[1:4], v254, off
	v_mov_b32_e32 v5, 0
	s_delay_alu instid0(VALU_DEP_1)
	v_mov_b32_e32 v6, v5
	v_mov_b32_e32 v7, v5
	;; [unrolled: 1-line block ×3, first 2 shown]
	scratch_store_b128 off, v[5:8], off offset:416
	s_waitcnt vmcnt(0)
	ds_store_b128 v210, v[1:4]
.LBB119_297:
	s_or_b32 exec_lo, exec_lo, s2
	s_waitcnt lgkmcnt(0)
	s_waitcnt_vscnt null, 0x0
	s_barrier
	buffer_gl0_inv
	s_clause 0x7
	scratch_load_b128 v[2:5], off, off offset:432
	scratch_load_b128 v[6:9], off, off offset:448
	;; [unrolled: 1-line block ×8, first 2 shown]
	v_mov_b32_e32 v1, 0
	s_clause 0x1
	scratch_load_b128 v[34:37], off, off offset:560
	scratch_load_b128 v[171:174], off, off offset:576
	s_mov_b32 s2, exec_lo
	ds_load_b128 v[38:41], v1 offset:1328
	ds_load_b128 v[167:170], v1 offset:1344
	s_waitcnt vmcnt(9) lgkmcnt(1)
	v_mul_f64 v[44:45], v[40:41], v[4:5]
	v_mul_f64 v[4:5], v[38:39], v[4:5]
	s_waitcnt vmcnt(8) lgkmcnt(0)
	v_mul_f64 v[46:47], v[167:168], v[8:9]
	v_mul_f64 v[8:9], v[169:170], v[8:9]
	s_delay_alu instid0(VALU_DEP_4) | instskip(NEXT) | instid1(VALU_DEP_4)
	v_fma_f64 v[44:45], v[38:39], v[2:3], -v[44:45]
	v_fma_f64 v[48:49], v[40:41], v[2:3], v[4:5]
	ds_load_b128 v[2:5], v1 offset:1360
	scratch_load_b128 v[38:41], off, off offset:592
	v_fma_f64 v[46:47], v[169:170], v[6:7], v[46:47]
	v_fma_f64 v[175:176], v[167:168], v[6:7], -v[8:9]
	scratch_load_b128 v[167:170], off, off offset:608
	ds_load_b128 v[6:9], v1 offset:1376
	s_waitcnt vmcnt(9) lgkmcnt(1)
	v_mul_f64 v[156:157], v[2:3], v[12:13]
	v_mul_f64 v[12:13], v[4:5], v[12:13]
	s_waitcnt vmcnt(8) lgkmcnt(0)
	v_mul_f64 v[177:178], v[6:7], v[16:17]
	v_mul_f64 v[16:17], v[8:9], v[16:17]
	v_add_f64 v[44:45], v[44:45], 0
	v_add_f64 v[48:49], v[48:49], 0
	v_fma_f64 v[156:157], v[4:5], v[10:11], v[156:157]
	v_fma_f64 v[179:180], v[2:3], v[10:11], -v[12:13]
	ds_load_b128 v[2:5], v1 offset:1392
	scratch_load_b128 v[10:13], off, off offset:624
	v_add_f64 v[44:45], v[44:45], v[175:176]
	v_add_f64 v[46:47], v[48:49], v[46:47]
	v_fma_f64 v[175:176], v[8:9], v[14:15], v[177:178]
	v_fma_f64 v[177:178], v[6:7], v[14:15], -v[16:17]
	scratch_load_b128 v[14:17], off, off offset:640
	ds_load_b128 v[6:9], v1 offset:1408
	s_waitcnt vmcnt(9) lgkmcnt(1)
	v_mul_f64 v[48:49], v[2:3], v[20:21]
	v_mul_f64 v[20:21], v[4:5], v[20:21]
	v_add_f64 v[44:45], v[44:45], v[179:180]
	v_add_f64 v[46:47], v[46:47], v[156:157]
	s_waitcnt vmcnt(8) lgkmcnt(0)
	v_mul_f64 v[156:157], v[6:7], v[24:25]
	v_mul_f64 v[24:25], v[8:9], v[24:25]
	v_fma_f64 v[48:49], v[4:5], v[18:19], v[48:49]
	v_fma_f64 v[179:180], v[2:3], v[18:19], -v[20:21]
	ds_load_b128 v[2:5], v1 offset:1424
	scratch_load_b128 v[18:21], off, off offset:656
	v_add_f64 v[44:45], v[44:45], v[177:178]
	v_add_f64 v[46:47], v[46:47], v[175:176]
	v_fma_f64 v[156:157], v[8:9], v[22:23], v[156:157]
	v_fma_f64 v[177:178], v[6:7], v[22:23], -v[24:25]
	scratch_load_b128 v[22:25], off, off offset:672
	ds_load_b128 v[6:9], v1 offset:1440
	s_waitcnt vmcnt(9) lgkmcnt(1)
	v_mul_f64 v[175:176], v[2:3], v[28:29]
	v_mul_f64 v[28:29], v[4:5], v[28:29]
	v_add_f64 v[44:45], v[44:45], v[179:180]
	v_add_f64 v[46:47], v[46:47], v[48:49]
	s_waitcnt vmcnt(8) lgkmcnt(0)
	v_mul_f64 v[48:49], v[6:7], v[32:33]
	v_mul_f64 v[32:33], v[8:9], v[32:33]
	;; [unrolled: 18-line block ×5, first 2 shown]
	v_fma_f64 v[175:176], v[4:5], v[10:11], v[175:176]
	v_fma_f64 v[179:180], v[2:3], v[10:11], -v[12:13]
	ds_load_b128 v[2:5], v1 offset:1552
	scratch_load_b128 v[10:13], off, off offset:784
	v_add_f64 v[44:45], v[44:45], v[177:178]
	v_add_f64 v[46:47], v[46:47], v[156:157]
	v_fma_f64 v[48:49], v[8:9], v[14:15], v[48:49]
	v_fma_f64 v[177:178], v[6:7], v[14:15], -v[16:17]
	ds_load_b128 v[6:9], v1 offset:1568
	s_waitcnt vmcnt(8) lgkmcnt(1)
	v_mul_f64 v[156:157], v[2:3], v[20:21]
	v_mul_f64 v[20:21], v[4:5], v[20:21]
	scratch_load_b128 v[14:17], off, off offset:800
	v_add_f64 v[44:45], v[44:45], v[179:180]
	v_add_f64 v[46:47], v[46:47], v[175:176]
	s_waitcnt vmcnt(8) lgkmcnt(0)
	v_mul_f64 v[175:176], v[6:7], v[24:25]
	v_mul_f64 v[24:25], v[8:9], v[24:25]
	v_fma_f64 v[156:157], v[4:5], v[18:19], v[156:157]
	v_fma_f64 v[179:180], v[2:3], v[18:19], -v[20:21]
	scratch_load_b128 v[18:21], off, off offset:816
	ds_load_b128 v[2:5], v1 offset:1584
	v_add_f64 v[44:45], v[44:45], v[177:178]
	v_add_f64 v[46:47], v[46:47], v[48:49]
	v_fma_f64 v[175:176], v[8:9], v[22:23], v[175:176]
	v_fma_f64 v[177:178], v[6:7], v[22:23], -v[24:25]
	ds_load_b128 v[6:9], v1 offset:1600
	s_waitcnt vmcnt(8) lgkmcnt(1)
	v_mul_f64 v[48:49], v[2:3], v[28:29]
	v_mul_f64 v[28:29], v[4:5], v[28:29]
	scratch_load_b128 v[22:25], off, off offset:832
	v_add_f64 v[44:45], v[44:45], v[179:180]
	v_add_f64 v[46:47], v[46:47], v[156:157]
	s_waitcnt vmcnt(8) lgkmcnt(0)
	v_mul_f64 v[156:157], v[6:7], v[32:33]
	v_mul_f64 v[32:33], v[8:9], v[32:33]
	v_fma_f64 v[48:49], v[4:5], v[26:27], v[48:49]
	v_fma_f64 v[179:180], v[2:3], v[26:27], -v[28:29]
	scratch_load_b128 v[26:29], off, off offset:848
	ds_load_b128 v[2:5], v1 offset:1616
	v_add_f64 v[44:45], v[44:45], v[177:178]
	v_add_f64 v[46:47], v[46:47], v[175:176]
	v_fma_f64 v[156:157], v[8:9], v[30:31], v[156:157]
	v_fma_f64 v[177:178], v[6:7], v[30:31], -v[32:33]
	ds_load_b128 v[6:9], v1 offset:1632
	s_waitcnt vmcnt(8) lgkmcnt(1)
	v_mul_f64 v[175:176], v[2:3], v[36:37]
	v_mul_f64 v[36:37], v[4:5], v[36:37]
	scratch_load_b128 v[30:33], off, off offset:864
	v_add_f64 v[44:45], v[44:45], v[179:180]
	v_add_f64 v[46:47], v[46:47], v[48:49]
	s_waitcnt vmcnt(8) lgkmcnt(0)
	v_mul_f64 v[48:49], v[6:7], v[173:174]
	v_mul_f64 v[173:174], v[8:9], v[173:174]
	v_fma_f64 v[175:176], v[4:5], v[34:35], v[175:176]
	v_fma_f64 v[179:180], v[2:3], v[34:35], -v[36:37]
	scratch_load_b128 v[34:37], off, off offset:880
	ds_load_b128 v[2:5], v1 offset:1648
	v_add_f64 v[44:45], v[44:45], v[177:178]
	v_add_f64 v[46:47], v[46:47], v[156:157]
	v_fma_f64 v[48:49], v[8:9], v[171:172], v[48:49]
	v_fma_f64 v[171:172], v[6:7], v[171:172], -v[173:174]
	ds_load_b128 v[6:9], v1 offset:1664
	s_waitcnt vmcnt(8) lgkmcnt(1)
	v_mul_f64 v[156:157], v[2:3], v[40:41]
	v_mul_f64 v[40:41], v[4:5], v[40:41]
	s_waitcnt vmcnt(7) lgkmcnt(0)
	v_mul_f64 v[173:174], v[6:7], v[169:170]
	v_mul_f64 v[169:170], v[8:9], v[169:170]
	v_add_f64 v[44:45], v[44:45], v[179:180]
	v_add_f64 v[46:47], v[46:47], v[175:176]
	v_fma_f64 v[156:157], v[4:5], v[38:39], v[156:157]
	v_fma_f64 v[38:39], v[2:3], v[38:39], -v[40:41]
	ds_load_b128 v[2:5], v1 offset:1680
	v_add_f64 v[40:41], v[44:45], v[171:172]
	v_add_f64 v[44:45], v[46:47], v[48:49]
	v_fma_f64 v[48:49], v[8:9], v[167:168], v[173:174]
	v_fma_f64 v[167:168], v[6:7], v[167:168], -v[169:170]
	ds_load_b128 v[6:9], v1 offset:1696
	v_add_f64 v[169:170], v[40:41], v[38:39]
	v_add_f64 v[44:45], v[44:45], v[156:157]
	scratch_load_b128 v[38:41], off, off offset:416
	s_waitcnt vmcnt(7) lgkmcnt(1)
	v_mul_f64 v[46:47], v[2:3], v[12:13]
	v_mul_f64 v[12:13], v[4:5], v[12:13]
	s_waitcnt vmcnt(6) lgkmcnt(0)
	v_mul_f64 v[156:157], v[6:7], v[16:17]
	v_mul_f64 v[16:17], v[8:9], v[16:17]
	v_add_f64 v[44:45], v[44:45], v[48:49]
	v_fma_f64 v[46:47], v[4:5], v[10:11], v[46:47]
	v_fma_f64 v[10:11], v[2:3], v[10:11], -v[12:13]
	v_add_f64 v[12:13], v[169:170], v[167:168]
	ds_load_b128 v[2:5], v1 offset:1712
	v_fma_f64 v[156:157], v[8:9], v[14:15], v[156:157]
	v_fma_f64 v[14:15], v[6:7], v[14:15], -v[16:17]
	ds_load_b128 v[6:9], v1 offset:1728
	s_waitcnt vmcnt(5) lgkmcnt(1)
	v_mul_f64 v[48:49], v[2:3], v[20:21]
	v_mul_f64 v[20:21], v[4:5], v[20:21]
	s_waitcnt vmcnt(4) lgkmcnt(0)
	v_mul_f64 v[16:17], v[6:7], v[24:25]
	v_mul_f64 v[24:25], v[8:9], v[24:25]
	v_add_f64 v[10:11], v[12:13], v[10:11]
	v_add_f64 v[12:13], v[44:45], v[46:47]
	v_fma_f64 v[44:45], v[4:5], v[18:19], v[48:49]
	v_fma_f64 v[18:19], v[2:3], v[18:19], -v[20:21]
	ds_load_b128 v[2:5], v1 offset:1744
	v_fma_f64 v[16:17], v[8:9], v[22:23], v[16:17]
	v_fma_f64 v[22:23], v[6:7], v[22:23], -v[24:25]
	ds_load_b128 v[6:9], v1 offset:1760
	v_add_f64 v[10:11], v[10:11], v[14:15]
	v_add_f64 v[12:13], v[12:13], v[156:157]
	s_waitcnt vmcnt(3) lgkmcnt(1)
	v_mul_f64 v[14:15], v[2:3], v[28:29]
	v_mul_f64 v[20:21], v[4:5], v[28:29]
	s_waitcnt vmcnt(2) lgkmcnt(0)
	v_mul_f64 v[24:25], v[8:9], v[32:33]
	v_add_f64 v[10:11], v[10:11], v[18:19]
	v_add_f64 v[12:13], v[12:13], v[44:45]
	v_mul_f64 v[18:19], v[6:7], v[32:33]
	v_fma_f64 v[14:15], v[4:5], v[26:27], v[14:15]
	v_fma_f64 v[20:21], v[2:3], v[26:27], -v[20:21]
	ds_load_b128 v[2:5], v1 offset:1776
	v_fma_f64 v[6:7], v[6:7], v[30:31], -v[24:25]
	v_add_f64 v[10:11], v[10:11], v[22:23]
	v_add_f64 v[12:13], v[12:13], v[16:17]
	s_waitcnt vmcnt(1) lgkmcnt(0)
	v_mul_f64 v[16:17], v[2:3], v[36:37]
	v_mul_f64 v[22:23], v[4:5], v[36:37]
	v_fma_f64 v[8:9], v[8:9], v[30:31], v[18:19]
	v_add_f64 v[10:11], v[10:11], v[20:21]
	v_add_f64 v[12:13], v[12:13], v[14:15]
	v_fma_f64 v[4:5], v[4:5], v[34:35], v[16:17]
	v_fma_f64 v[2:3], v[2:3], v[34:35], -v[22:23]
	s_delay_alu instid0(VALU_DEP_4) | instskip(NEXT) | instid1(VALU_DEP_4)
	v_add_f64 v[6:7], v[10:11], v[6:7]
	v_add_f64 v[8:9], v[12:13], v[8:9]
	s_delay_alu instid0(VALU_DEP_2) | instskip(NEXT) | instid1(VALU_DEP_2)
	v_add_f64 v[2:3], v[6:7], v[2:3]
	v_add_f64 v[4:5], v[8:9], v[4:5]
	s_waitcnt vmcnt(0)
	s_delay_alu instid0(VALU_DEP_2) | instskip(NEXT) | instid1(VALU_DEP_2)
	v_add_f64 v[2:3], v[38:39], -v[2:3]
	v_add_f64 v[4:5], v[40:41], -v[4:5]
	scratch_store_b128 off, v[2:5], off offset:416
	v_cmpx_lt_u32_e32 25, v154
	s_cbranch_execz .LBB119_299
; %bb.298:
	scratch_load_b128 v[5:8], v211, off
	v_mov_b32_e32 v2, v1
	v_mov_b32_e32 v3, v1
	;; [unrolled: 1-line block ×3, first 2 shown]
	scratch_store_b128 off, v[1:4], off offset:400
	s_waitcnt vmcnt(0)
	ds_store_b128 v210, v[5:8]
.LBB119_299:
	s_or_b32 exec_lo, exec_lo, s2
	s_waitcnt lgkmcnt(0)
	s_waitcnt_vscnt null, 0x0
	s_barrier
	buffer_gl0_inv
	s_clause 0x7
	scratch_load_b128 v[2:5], off, off offset:416
	scratch_load_b128 v[6:9], off, off offset:432
	;; [unrolled: 1-line block ×8, first 2 shown]
	ds_load_b128 v[38:41], v1 offset:1312
	ds_load_b128 v[167:170], v1 offset:1328
	s_clause 0x1
	scratch_load_b128 v[34:37], off, off offset:544
	scratch_load_b128 v[171:174], off, off offset:560
	s_mov_b32 s2, exec_lo
	s_waitcnt vmcnt(9) lgkmcnt(1)
	v_mul_f64 v[44:45], v[40:41], v[4:5]
	v_mul_f64 v[4:5], v[38:39], v[4:5]
	s_waitcnt vmcnt(8) lgkmcnt(0)
	v_mul_f64 v[46:47], v[167:168], v[8:9]
	v_mul_f64 v[8:9], v[169:170], v[8:9]
	s_delay_alu instid0(VALU_DEP_4) | instskip(NEXT) | instid1(VALU_DEP_4)
	v_fma_f64 v[44:45], v[38:39], v[2:3], -v[44:45]
	v_fma_f64 v[48:49], v[40:41], v[2:3], v[4:5]
	ds_load_b128 v[2:5], v1 offset:1344
	scratch_load_b128 v[38:41], off, off offset:576
	v_fma_f64 v[46:47], v[169:170], v[6:7], v[46:47]
	v_fma_f64 v[175:176], v[167:168], v[6:7], -v[8:9]
	scratch_load_b128 v[167:170], off, off offset:592
	ds_load_b128 v[6:9], v1 offset:1360
	s_waitcnt vmcnt(9) lgkmcnt(1)
	v_mul_f64 v[156:157], v[2:3], v[12:13]
	v_mul_f64 v[12:13], v[4:5], v[12:13]
	s_waitcnt vmcnt(8) lgkmcnt(0)
	v_mul_f64 v[177:178], v[6:7], v[16:17]
	v_mul_f64 v[16:17], v[8:9], v[16:17]
	v_add_f64 v[44:45], v[44:45], 0
	v_add_f64 v[48:49], v[48:49], 0
	v_fma_f64 v[156:157], v[4:5], v[10:11], v[156:157]
	v_fma_f64 v[179:180], v[2:3], v[10:11], -v[12:13]
	scratch_load_b128 v[10:13], off, off offset:608
	ds_load_b128 v[2:5], v1 offset:1376
	v_add_f64 v[44:45], v[44:45], v[175:176]
	v_add_f64 v[46:47], v[48:49], v[46:47]
	v_fma_f64 v[175:176], v[8:9], v[14:15], v[177:178]
	v_fma_f64 v[177:178], v[6:7], v[14:15], -v[16:17]
	ds_load_b128 v[6:9], v1 offset:1392
	scratch_load_b128 v[14:17], off, off offset:624
	s_waitcnt vmcnt(9) lgkmcnt(1)
	v_mul_f64 v[48:49], v[2:3], v[20:21]
	v_mul_f64 v[20:21], v[4:5], v[20:21]
	v_add_f64 v[44:45], v[44:45], v[179:180]
	v_add_f64 v[46:47], v[46:47], v[156:157]
	s_waitcnt vmcnt(8) lgkmcnt(0)
	v_mul_f64 v[156:157], v[6:7], v[24:25]
	v_mul_f64 v[24:25], v[8:9], v[24:25]
	v_fma_f64 v[48:49], v[4:5], v[18:19], v[48:49]
	v_fma_f64 v[179:180], v[2:3], v[18:19], -v[20:21]
	ds_load_b128 v[2:5], v1 offset:1408
	scratch_load_b128 v[18:21], off, off offset:640
	v_add_f64 v[44:45], v[44:45], v[177:178]
	v_add_f64 v[46:47], v[46:47], v[175:176]
	v_fma_f64 v[156:157], v[8:9], v[22:23], v[156:157]
	v_fma_f64 v[177:178], v[6:7], v[22:23], -v[24:25]
	scratch_load_b128 v[22:25], off, off offset:656
	ds_load_b128 v[6:9], v1 offset:1424
	s_waitcnt vmcnt(9) lgkmcnt(1)
	v_mul_f64 v[175:176], v[2:3], v[28:29]
	v_mul_f64 v[28:29], v[4:5], v[28:29]
	v_add_f64 v[44:45], v[44:45], v[179:180]
	v_add_f64 v[46:47], v[46:47], v[48:49]
	s_waitcnt vmcnt(8) lgkmcnt(0)
	v_mul_f64 v[48:49], v[6:7], v[32:33]
	v_mul_f64 v[32:33], v[8:9], v[32:33]
	v_fma_f64 v[175:176], v[4:5], v[26:27], v[175:176]
	v_fma_f64 v[179:180], v[2:3], v[26:27], -v[28:29]
	ds_load_b128 v[2:5], v1 offset:1440
	scratch_load_b128 v[26:29], off, off offset:672
	v_add_f64 v[44:45], v[44:45], v[177:178]
	v_add_f64 v[46:47], v[46:47], v[156:157]
	v_fma_f64 v[48:49], v[8:9], v[30:31], v[48:49]
	v_fma_f64 v[177:178], v[6:7], v[30:31], -v[32:33]
	scratch_load_b128 v[30:33], off, off offset:688
	ds_load_b128 v[6:9], v1 offset:1456
	;; [unrolled: 18-line block ×3, first 2 shown]
	s_waitcnt vmcnt(9) lgkmcnt(1)
	v_mul_f64 v[48:49], v[2:3], v[40:41]
	v_mul_f64 v[40:41], v[4:5], v[40:41]
	v_add_f64 v[44:45], v[44:45], v[179:180]
	v_add_f64 v[46:47], v[46:47], v[156:157]
	s_waitcnt vmcnt(8) lgkmcnt(0)
	v_mul_f64 v[156:157], v[6:7], v[169:170]
	v_mul_f64 v[169:170], v[8:9], v[169:170]
	v_fma_f64 v[48:49], v[4:5], v[38:39], v[48:49]
	v_fma_f64 v[179:180], v[2:3], v[38:39], -v[40:41]
	ds_load_b128 v[2:5], v1 offset:1504
	scratch_load_b128 v[38:41], off, off offset:736
	v_add_f64 v[44:45], v[44:45], v[177:178]
	v_add_f64 v[46:47], v[46:47], v[175:176]
	v_fma_f64 v[156:157], v[8:9], v[167:168], v[156:157]
	v_fma_f64 v[177:178], v[6:7], v[167:168], -v[169:170]
	ds_load_b128 v[6:9], v1 offset:1520
	s_waitcnt vmcnt(8) lgkmcnt(1)
	v_mul_f64 v[175:176], v[2:3], v[12:13]
	v_mul_f64 v[12:13], v[4:5], v[12:13]
	scratch_load_b128 v[167:170], off, off offset:752
	v_add_f64 v[44:45], v[44:45], v[179:180]
	v_add_f64 v[46:47], v[46:47], v[48:49]
	s_waitcnt vmcnt(8) lgkmcnt(0)
	v_mul_f64 v[48:49], v[6:7], v[16:17]
	v_mul_f64 v[16:17], v[8:9], v[16:17]
	v_fma_f64 v[175:176], v[4:5], v[10:11], v[175:176]
	v_fma_f64 v[179:180], v[2:3], v[10:11], -v[12:13]
	scratch_load_b128 v[10:13], off, off offset:768
	ds_load_b128 v[2:5], v1 offset:1536
	v_add_f64 v[44:45], v[44:45], v[177:178]
	v_add_f64 v[46:47], v[46:47], v[156:157]
	v_fma_f64 v[48:49], v[8:9], v[14:15], v[48:49]
	v_fma_f64 v[177:178], v[6:7], v[14:15], -v[16:17]
	ds_load_b128 v[6:9], v1 offset:1552
	s_waitcnt vmcnt(8) lgkmcnt(1)
	v_mul_f64 v[156:157], v[2:3], v[20:21]
	v_mul_f64 v[20:21], v[4:5], v[20:21]
	scratch_load_b128 v[14:17], off, off offset:784
	v_add_f64 v[44:45], v[44:45], v[179:180]
	v_add_f64 v[46:47], v[46:47], v[175:176]
	s_waitcnt vmcnt(8) lgkmcnt(0)
	v_mul_f64 v[175:176], v[6:7], v[24:25]
	v_mul_f64 v[24:25], v[8:9], v[24:25]
	v_fma_f64 v[156:157], v[4:5], v[18:19], v[156:157]
	v_fma_f64 v[179:180], v[2:3], v[18:19], -v[20:21]
	scratch_load_b128 v[18:21], off, off offset:800
	ds_load_b128 v[2:5], v1 offset:1568
	;; [unrolled: 18-line block ×4, first 2 shown]
	v_add_f64 v[44:45], v[44:45], v[177:178]
	v_add_f64 v[46:47], v[46:47], v[156:157]
	v_fma_f64 v[48:49], v[8:9], v[171:172], v[48:49]
	v_fma_f64 v[177:178], v[6:7], v[171:172], -v[173:174]
	ds_load_b128 v[6:9], v1 offset:1648
	s_waitcnt vmcnt(8) lgkmcnt(1)
	v_mul_f64 v[156:157], v[2:3], v[40:41]
	v_mul_f64 v[40:41], v[4:5], v[40:41]
	scratch_load_b128 v[171:174], off, off offset:880
	v_add_f64 v[44:45], v[44:45], v[179:180]
	v_add_f64 v[46:47], v[46:47], v[175:176]
	v_fma_f64 v[156:157], v[4:5], v[38:39], v[156:157]
	v_fma_f64 v[38:39], v[2:3], v[38:39], -v[40:41]
	ds_load_b128 v[2:5], v1 offset:1664
	v_add_f64 v[40:41], v[44:45], v[177:178]
	v_add_f64 v[44:45], v[46:47], v[48:49]
	s_waitcnt vmcnt(7) lgkmcnt(0)
	v_mul_f64 v[46:47], v[2:3], v[12:13]
	v_mul_f64 v[12:13], v[4:5], v[12:13]
	s_delay_alu instid0(VALU_DEP_4) | instskip(NEXT) | instid1(VALU_DEP_4)
	v_add_f64 v[38:39], v[40:41], v[38:39]
	v_add_f64 v[40:41], v[44:45], v[156:157]
	s_delay_alu instid0(VALU_DEP_4) | instskip(NEXT) | instid1(VALU_DEP_4)
	v_fma_f64 v[46:47], v[4:5], v[10:11], v[46:47]
	v_fma_f64 v[156:157], v[2:3], v[10:11], -v[12:13]
	scratch_load_b128 v[10:13], off, off offset:400
	v_mul_f64 v[175:176], v[6:7], v[169:170]
	v_mul_f64 v[169:170], v[8:9], v[169:170]
	ds_load_b128 v[2:5], v1 offset:1696
	v_fma_f64 v[48:49], v[8:9], v[167:168], v[175:176]
	v_fma_f64 v[167:168], v[6:7], v[167:168], -v[169:170]
	ds_load_b128 v[6:9], v1 offset:1680
	s_waitcnt vmcnt(7) lgkmcnt(0)
	v_mul_f64 v[44:45], v[6:7], v[16:17]
	v_mul_f64 v[16:17], v[8:9], v[16:17]
	v_add_f64 v[40:41], v[40:41], v[48:49]
	v_add_f64 v[38:39], v[38:39], v[167:168]
	s_waitcnt vmcnt(6)
	v_mul_f64 v[48:49], v[2:3], v[20:21]
	v_mul_f64 v[20:21], v[4:5], v[20:21]
	v_fma_f64 v[44:45], v[8:9], v[14:15], v[44:45]
	v_fma_f64 v[14:15], v[6:7], v[14:15], -v[16:17]
	ds_load_b128 v[6:9], v1 offset:1712
	v_add_f64 v[16:17], v[38:39], v[156:157]
	v_add_f64 v[38:39], v[40:41], v[46:47]
	v_fma_f64 v[46:47], v[4:5], v[18:19], v[48:49]
	v_fma_f64 v[18:19], v[2:3], v[18:19], -v[20:21]
	ds_load_b128 v[2:5], v1 offset:1728
	s_waitcnt vmcnt(5) lgkmcnt(1)
	v_mul_f64 v[40:41], v[6:7], v[24:25]
	v_mul_f64 v[24:25], v[8:9], v[24:25]
	s_waitcnt vmcnt(4) lgkmcnt(0)
	v_mul_f64 v[20:21], v[2:3], v[28:29]
	v_mul_f64 v[28:29], v[4:5], v[28:29]
	v_add_f64 v[14:15], v[16:17], v[14:15]
	v_add_f64 v[16:17], v[38:39], v[44:45]
	v_fma_f64 v[38:39], v[8:9], v[22:23], v[40:41]
	v_fma_f64 v[22:23], v[6:7], v[22:23], -v[24:25]
	ds_load_b128 v[6:9], v1 offset:1744
	v_fma_f64 v[20:21], v[4:5], v[26:27], v[20:21]
	v_fma_f64 v[26:27], v[2:3], v[26:27], -v[28:29]
	ds_load_b128 v[2:5], v1 offset:1760
	s_waitcnt vmcnt(3) lgkmcnt(1)
	v_mul_f64 v[24:25], v[8:9], v[32:33]
	v_add_f64 v[14:15], v[14:15], v[18:19]
	v_add_f64 v[16:17], v[16:17], v[46:47]
	v_mul_f64 v[18:19], v[6:7], v[32:33]
	s_waitcnt vmcnt(2) lgkmcnt(0)
	v_mul_f64 v[28:29], v[4:5], v[36:37]
	v_fma_f64 v[24:25], v[6:7], v[30:31], -v[24:25]
	v_add_f64 v[14:15], v[14:15], v[22:23]
	v_add_f64 v[16:17], v[16:17], v[38:39]
	v_mul_f64 v[22:23], v[2:3], v[36:37]
	v_fma_f64 v[18:19], v[8:9], v[30:31], v[18:19]
	ds_load_b128 v[6:9], v1 offset:1776
	v_fma_f64 v[1:2], v[2:3], v[34:35], -v[28:29]
	v_add_f64 v[14:15], v[14:15], v[26:27]
	v_add_f64 v[16:17], v[16:17], v[20:21]
	s_waitcnt vmcnt(1) lgkmcnt(0)
	v_mul_f64 v[20:21], v[6:7], v[173:174]
	v_mul_f64 v[26:27], v[8:9], v[173:174]
	v_fma_f64 v[4:5], v[4:5], v[34:35], v[22:23]
	v_add_f64 v[14:15], v[14:15], v[24:25]
	v_add_f64 v[16:17], v[16:17], v[18:19]
	v_fma_f64 v[8:9], v[8:9], v[171:172], v[20:21]
	v_fma_f64 v[6:7], v[6:7], v[171:172], -v[26:27]
	s_delay_alu instid0(VALU_DEP_4) | instskip(NEXT) | instid1(VALU_DEP_4)
	v_add_f64 v[1:2], v[14:15], v[1:2]
	v_add_f64 v[3:4], v[16:17], v[4:5]
	s_delay_alu instid0(VALU_DEP_2) | instskip(NEXT) | instid1(VALU_DEP_2)
	v_add_f64 v[1:2], v[1:2], v[6:7]
	v_add_f64 v[3:4], v[3:4], v[8:9]
	s_waitcnt vmcnt(0)
	s_delay_alu instid0(VALU_DEP_2) | instskip(NEXT) | instid1(VALU_DEP_2)
	v_add_f64 v[1:2], v[10:11], -v[1:2]
	v_add_f64 v[3:4], v[12:13], -v[3:4]
	scratch_store_b128 off, v[1:4], off offset:400
	v_cmpx_lt_u32_e32 24, v154
	s_cbranch_execz .LBB119_301
; %bb.300:
	scratch_load_b128 v[1:4], v186, off
	v_mov_b32_e32 v5, 0
	s_delay_alu instid0(VALU_DEP_1)
	v_mov_b32_e32 v6, v5
	v_mov_b32_e32 v7, v5
	;; [unrolled: 1-line block ×3, first 2 shown]
	scratch_store_b128 off, v[5:8], off offset:384
	s_waitcnt vmcnt(0)
	ds_store_b128 v210, v[1:4]
.LBB119_301:
	s_or_b32 exec_lo, exec_lo, s2
	s_waitcnt lgkmcnt(0)
	s_waitcnt_vscnt null, 0x0
	s_barrier
	buffer_gl0_inv
	s_clause 0x7
	scratch_load_b128 v[2:5], off, off offset:400
	scratch_load_b128 v[6:9], off, off offset:416
	;; [unrolled: 1-line block ×8, first 2 shown]
	v_mov_b32_e32 v1, 0
	s_clause 0x1
	scratch_load_b128 v[34:37], off, off offset:528
	scratch_load_b128 v[171:174], off, off offset:544
	s_mov_b32 s2, exec_lo
	ds_load_b128 v[38:41], v1 offset:1296
	ds_load_b128 v[167:170], v1 offset:1312
	s_waitcnt vmcnt(9) lgkmcnt(1)
	v_mul_f64 v[44:45], v[40:41], v[4:5]
	v_mul_f64 v[4:5], v[38:39], v[4:5]
	s_waitcnt vmcnt(8) lgkmcnt(0)
	v_mul_f64 v[46:47], v[167:168], v[8:9]
	v_mul_f64 v[8:9], v[169:170], v[8:9]
	s_delay_alu instid0(VALU_DEP_4) | instskip(NEXT) | instid1(VALU_DEP_4)
	v_fma_f64 v[44:45], v[38:39], v[2:3], -v[44:45]
	v_fma_f64 v[48:49], v[40:41], v[2:3], v[4:5]
	ds_load_b128 v[2:5], v1 offset:1328
	scratch_load_b128 v[38:41], off, off offset:560
	v_fma_f64 v[46:47], v[169:170], v[6:7], v[46:47]
	v_fma_f64 v[175:176], v[167:168], v[6:7], -v[8:9]
	scratch_load_b128 v[167:170], off, off offset:576
	ds_load_b128 v[6:9], v1 offset:1344
	s_waitcnt vmcnt(9) lgkmcnt(1)
	v_mul_f64 v[156:157], v[2:3], v[12:13]
	v_mul_f64 v[12:13], v[4:5], v[12:13]
	s_waitcnt vmcnt(8) lgkmcnt(0)
	v_mul_f64 v[177:178], v[6:7], v[16:17]
	v_mul_f64 v[16:17], v[8:9], v[16:17]
	v_add_f64 v[44:45], v[44:45], 0
	v_add_f64 v[48:49], v[48:49], 0
	v_fma_f64 v[156:157], v[4:5], v[10:11], v[156:157]
	v_fma_f64 v[179:180], v[2:3], v[10:11], -v[12:13]
	ds_load_b128 v[2:5], v1 offset:1360
	scratch_load_b128 v[10:13], off, off offset:592
	v_add_f64 v[44:45], v[44:45], v[175:176]
	v_add_f64 v[46:47], v[48:49], v[46:47]
	v_fma_f64 v[175:176], v[8:9], v[14:15], v[177:178]
	v_fma_f64 v[177:178], v[6:7], v[14:15], -v[16:17]
	scratch_load_b128 v[14:17], off, off offset:608
	ds_load_b128 v[6:9], v1 offset:1376
	s_waitcnt vmcnt(9) lgkmcnt(1)
	v_mul_f64 v[48:49], v[2:3], v[20:21]
	v_mul_f64 v[20:21], v[4:5], v[20:21]
	v_add_f64 v[44:45], v[44:45], v[179:180]
	v_add_f64 v[46:47], v[46:47], v[156:157]
	s_waitcnt vmcnt(8) lgkmcnt(0)
	v_mul_f64 v[156:157], v[6:7], v[24:25]
	v_mul_f64 v[24:25], v[8:9], v[24:25]
	v_fma_f64 v[48:49], v[4:5], v[18:19], v[48:49]
	v_fma_f64 v[179:180], v[2:3], v[18:19], -v[20:21]
	ds_load_b128 v[2:5], v1 offset:1392
	scratch_load_b128 v[18:21], off, off offset:624
	v_add_f64 v[44:45], v[44:45], v[177:178]
	v_add_f64 v[46:47], v[46:47], v[175:176]
	v_fma_f64 v[156:157], v[8:9], v[22:23], v[156:157]
	v_fma_f64 v[177:178], v[6:7], v[22:23], -v[24:25]
	scratch_load_b128 v[22:25], off, off offset:640
	ds_load_b128 v[6:9], v1 offset:1408
	s_waitcnt vmcnt(9) lgkmcnt(1)
	v_mul_f64 v[175:176], v[2:3], v[28:29]
	v_mul_f64 v[28:29], v[4:5], v[28:29]
	v_add_f64 v[44:45], v[44:45], v[179:180]
	v_add_f64 v[46:47], v[46:47], v[48:49]
	s_waitcnt vmcnt(8) lgkmcnt(0)
	v_mul_f64 v[48:49], v[6:7], v[32:33]
	v_mul_f64 v[32:33], v[8:9], v[32:33]
	;; [unrolled: 18-line block ×6, first 2 shown]
	v_fma_f64 v[156:157], v[4:5], v[18:19], v[156:157]
	v_fma_f64 v[179:180], v[2:3], v[18:19], -v[20:21]
	ds_load_b128 v[2:5], v1 offset:1552
	scratch_load_b128 v[18:21], off, off offset:784
	v_add_f64 v[44:45], v[44:45], v[177:178]
	v_add_f64 v[46:47], v[46:47], v[48:49]
	v_fma_f64 v[175:176], v[8:9], v[22:23], v[175:176]
	v_fma_f64 v[177:178], v[6:7], v[22:23], -v[24:25]
	ds_load_b128 v[6:9], v1 offset:1568
	s_waitcnt vmcnt(8) lgkmcnt(1)
	v_mul_f64 v[48:49], v[2:3], v[28:29]
	v_mul_f64 v[28:29], v[4:5], v[28:29]
	scratch_load_b128 v[22:25], off, off offset:800
	v_add_f64 v[44:45], v[44:45], v[179:180]
	v_add_f64 v[46:47], v[46:47], v[156:157]
	s_waitcnt vmcnt(8) lgkmcnt(0)
	v_mul_f64 v[156:157], v[6:7], v[32:33]
	v_mul_f64 v[32:33], v[8:9], v[32:33]
	v_fma_f64 v[48:49], v[4:5], v[26:27], v[48:49]
	v_fma_f64 v[179:180], v[2:3], v[26:27], -v[28:29]
	scratch_load_b128 v[26:29], off, off offset:816
	ds_load_b128 v[2:5], v1 offset:1584
	v_add_f64 v[44:45], v[44:45], v[177:178]
	v_add_f64 v[46:47], v[46:47], v[175:176]
	v_fma_f64 v[156:157], v[8:9], v[30:31], v[156:157]
	v_fma_f64 v[177:178], v[6:7], v[30:31], -v[32:33]
	ds_load_b128 v[6:9], v1 offset:1600
	s_waitcnt vmcnt(8) lgkmcnt(1)
	v_mul_f64 v[175:176], v[2:3], v[36:37]
	v_mul_f64 v[36:37], v[4:5], v[36:37]
	scratch_load_b128 v[30:33], off, off offset:832
	v_add_f64 v[44:45], v[44:45], v[179:180]
	v_add_f64 v[46:47], v[46:47], v[48:49]
	s_waitcnt vmcnt(8) lgkmcnt(0)
	v_mul_f64 v[48:49], v[6:7], v[173:174]
	v_mul_f64 v[173:174], v[8:9], v[173:174]
	v_fma_f64 v[175:176], v[4:5], v[34:35], v[175:176]
	v_fma_f64 v[179:180], v[2:3], v[34:35], -v[36:37]
	scratch_load_b128 v[34:37], off, off offset:848
	ds_load_b128 v[2:5], v1 offset:1616
	;; [unrolled: 18-line block ×3, first 2 shown]
	v_add_f64 v[44:45], v[44:45], v[177:178]
	v_add_f64 v[46:47], v[46:47], v[48:49]
	v_fma_f64 v[175:176], v[8:9], v[167:168], v[175:176]
	v_fma_f64 v[167:168], v[6:7], v[167:168], -v[169:170]
	ds_load_b128 v[6:9], v1 offset:1664
	s_waitcnt vmcnt(8) lgkmcnt(1)
	v_mul_f64 v[48:49], v[2:3], v[12:13]
	v_mul_f64 v[12:13], v[4:5], v[12:13]
	v_add_f64 v[44:45], v[44:45], v[179:180]
	v_add_f64 v[46:47], v[46:47], v[156:157]
	s_waitcnt vmcnt(7) lgkmcnt(0)
	v_mul_f64 v[156:157], v[6:7], v[16:17]
	v_mul_f64 v[16:17], v[8:9], v[16:17]
	v_fma_f64 v[48:49], v[4:5], v[10:11], v[48:49]
	v_fma_f64 v[10:11], v[2:3], v[10:11], -v[12:13]
	ds_load_b128 v[2:5], v1 offset:1680
	v_add_f64 v[12:13], v[44:45], v[167:168]
	v_add_f64 v[44:45], v[46:47], v[175:176]
	v_fma_f64 v[156:157], v[8:9], v[14:15], v[156:157]
	v_fma_f64 v[14:15], v[6:7], v[14:15], -v[16:17]
	ds_load_b128 v[6:9], v1 offset:1696
	v_add_f64 v[16:17], v[12:13], v[10:11]
	v_add_f64 v[44:45], v[44:45], v[48:49]
	scratch_load_b128 v[10:13], off, off offset:384
	s_waitcnt vmcnt(7) lgkmcnt(1)
	v_mul_f64 v[46:47], v[2:3], v[20:21]
	v_mul_f64 v[20:21], v[4:5], v[20:21]
	s_waitcnt vmcnt(6) lgkmcnt(0)
	v_mul_f64 v[48:49], v[6:7], v[24:25]
	v_mul_f64 v[24:25], v[8:9], v[24:25]
	v_add_f64 v[14:15], v[16:17], v[14:15]
	v_add_f64 v[16:17], v[44:45], v[156:157]
	v_fma_f64 v[46:47], v[4:5], v[18:19], v[46:47]
	v_fma_f64 v[18:19], v[2:3], v[18:19], -v[20:21]
	ds_load_b128 v[2:5], v1 offset:1712
	v_fma_f64 v[44:45], v[8:9], v[22:23], v[48:49]
	v_fma_f64 v[22:23], v[6:7], v[22:23], -v[24:25]
	ds_load_b128 v[6:9], v1 offset:1728
	s_waitcnt vmcnt(5) lgkmcnt(1)
	v_mul_f64 v[20:21], v[2:3], v[28:29]
	v_mul_f64 v[28:29], v[4:5], v[28:29]
	s_waitcnt vmcnt(4) lgkmcnt(0)
	v_mul_f64 v[24:25], v[8:9], v[32:33]
	v_add_f64 v[16:17], v[16:17], v[46:47]
	v_add_f64 v[14:15], v[14:15], v[18:19]
	v_mul_f64 v[18:19], v[6:7], v[32:33]
	v_fma_f64 v[20:21], v[4:5], v[26:27], v[20:21]
	v_fma_f64 v[26:27], v[2:3], v[26:27], -v[28:29]
	ds_load_b128 v[2:5], v1 offset:1744
	v_fma_f64 v[24:25], v[6:7], v[30:31], -v[24:25]
	v_add_f64 v[16:17], v[16:17], v[44:45]
	v_add_f64 v[14:15], v[14:15], v[22:23]
	v_fma_f64 v[18:19], v[8:9], v[30:31], v[18:19]
	ds_load_b128 v[6:9], v1 offset:1760
	s_waitcnt vmcnt(3) lgkmcnt(1)
	v_mul_f64 v[22:23], v[2:3], v[36:37]
	v_mul_f64 v[28:29], v[4:5], v[36:37]
	v_add_f64 v[16:17], v[16:17], v[20:21]
	v_add_f64 v[14:15], v[14:15], v[26:27]
	s_waitcnt vmcnt(2) lgkmcnt(0)
	v_mul_f64 v[20:21], v[6:7], v[173:174]
	v_mul_f64 v[26:27], v[8:9], v[173:174]
	v_fma_f64 v[22:23], v[4:5], v[34:35], v[22:23]
	v_fma_f64 v[28:29], v[2:3], v[34:35], -v[28:29]
	ds_load_b128 v[2:5], v1 offset:1776
	v_add_f64 v[16:17], v[16:17], v[18:19]
	v_add_f64 v[14:15], v[14:15], v[24:25]
	s_waitcnt vmcnt(1) lgkmcnt(0)
	v_mul_f64 v[18:19], v[2:3], v[40:41]
	v_mul_f64 v[24:25], v[4:5], v[40:41]
	v_fma_f64 v[8:9], v[8:9], v[171:172], v[20:21]
	v_fma_f64 v[6:7], v[6:7], v[171:172], -v[26:27]
	v_add_f64 v[16:17], v[16:17], v[22:23]
	v_add_f64 v[14:15], v[14:15], v[28:29]
	v_fma_f64 v[4:5], v[4:5], v[38:39], v[18:19]
	v_fma_f64 v[2:3], v[2:3], v[38:39], -v[24:25]
	s_delay_alu instid0(VALU_DEP_4) | instskip(NEXT) | instid1(VALU_DEP_4)
	v_add_f64 v[8:9], v[16:17], v[8:9]
	v_add_f64 v[6:7], v[14:15], v[6:7]
	s_delay_alu instid0(VALU_DEP_2) | instskip(NEXT) | instid1(VALU_DEP_2)
	v_add_f64 v[4:5], v[8:9], v[4:5]
	v_add_f64 v[2:3], v[6:7], v[2:3]
	s_waitcnt vmcnt(0)
	s_delay_alu instid0(VALU_DEP_2) | instskip(NEXT) | instid1(VALU_DEP_2)
	v_add_f64 v[4:5], v[12:13], -v[4:5]
	v_add_f64 v[2:3], v[10:11], -v[2:3]
	scratch_store_b128 off, v[2:5], off offset:384
	v_cmpx_lt_u32_e32 23, v154
	s_cbranch_execz .LBB119_303
; %bb.302:
	scratch_load_b128 v[5:8], v188, off
	v_mov_b32_e32 v2, v1
	v_mov_b32_e32 v3, v1
	;; [unrolled: 1-line block ×3, first 2 shown]
	scratch_store_b128 off, v[1:4], off offset:368
	s_waitcnt vmcnt(0)
	ds_store_b128 v210, v[5:8]
.LBB119_303:
	s_or_b32 exec_lo, exec_lo, s2
	s_waitcnt lgkmcnt(0)
	s_waitcnt_vscnt null, 0x0
	s_barrier
	buffer_gl0_inv
	s_clause 0x7
	scratch_load_b128 v[2:5], off, off offset:384
	scratch_load_b128 v[6:9], off, off offset:400
	;; [unrolled: 1-line block ×8, first 2 shown]
	ds_load_b128 v[38:41], v1 offset:1280
	ds_load_b128 v[167:170], v1 offset:1296
	s_clause 0x1
	scratch_load_b128 v[34:37], off, off offset:512
	scratch_load_b128 v[171:174], off, off offset:528
	s_mov_b32 s2, exec_lo
	s_waitcnt vmcnt(9) lgkmcnt(1)
	v_mul_f64 v[44:45], v[40:41], v[4:5]
	v_mul_f64 v[4:5], v[38:39], v[4:5]
	s_waitcnt vmcnt(8) lgkmcnt(0)
	v_mul_f64 v[46:47], v[167:168], v[8:9]
	v_mul_f64 v[8:9], v[169:170], v[8:9]
	s_delay_alu instid0(VALU_DEP_4) | instskip(NEXT) | instid1(VALU_DEP_4)
	v_fma_f64 v[44:45], v[38:39], v[2:3], -v[44:45]
	v_fma_f64 v[48:49], v[40:41], v[2:3], v[4:5]
	ds_load_b128 v[2:5], v1 offset:1312
	scratch_load_b128 v[38:41], off, off offset:544
	v_fma_f64 v[46:47], v[169:170], v[6:7], v[46:47]
	v_fma_f64 v[175:176], v[167:168], v[6:7], -v[8:9]
	scratch_load_b128 v[167:170], off, off offset:560
	ds_load_b128 v[6:9], v1 offset:1328
	s_waitcnt vmcnt(9) lgkmcnt(1)
	v_mul_f64 v[156:157], v[2:3], v[12:13]
	v_mul_f64 v[12:13], v[4:5], v[12:13]
	s_waitcnt vmcnt(8) lgkmcnt(0)
	v_mul_f64 v[177:178], v[6:7], v[16:17]
	v_mul_f64 v[16:17], v[8:9], v[16:17]
	v_add_f64 v[44:45], v[44:45], 0
	v_add_f64 v[48:49], v[48:49], 0
	v_fma_f64 v[156:157], v[4:5], v[10:11], v[156:157]
	v_fma_f64 v[179:180], v[2:3], v[10:11], -v[12:13]
	ds_load_b128 v[2:5], v1 offset:1344
	scratch_load_b128 v[10:13], off, off offset:576
	v_add_f64 v[44:45], v[44:45], v[175:176]
	v_add_f64 v[46:47], v[48:49], v[46:47]
	v_fma_f64 v[175:176], v[8:9], v[14:15], v[177:178]
	v_fma_f64 v[177:178], v[6:7], v[14:15], -v[16:17]
	scratch_load_b128 v[14:17], off, off offset:592
	ds_load_b128 v[6:9], v1 offset:1360
	s_waitcnt vmcnt(9) lgkmcnt(1)
	v_mul_f64 v[48:49], v[2:3], v[20:21]
	v_mul_f64 v[20:21], v[4:5], v[20:21]
	v_add_f64 v[44:45], v[44:45], v[179:180]
	v_add_f64 v[46:47], v[46:47], v[156:157]
	s_waitcnt vmcnt(8) lgkmcnt(0)
	v_mul_f64 v[156:157], v[6:7], v[24:25]
	v_mul_f64 v[24:25], v[8:9], v[24:25]
	v_fma_f64 v[48:49], v[4:5], v[18:19], v[48:49]
	v_fma_f64 v[179:180], v[2:3], v[18:19], -v[20:21]
	ds_load_b128 v[2:5], v1 offset:1376
	scratch_load_b128 v[18:21], off, off offset:608
	v_add_f64 v[44:45], v[44:45], v[177:178]
	v_add_f64 v[46:47], v[46:47], v[175:176]
	v_fma_f64 v[156:157], v[8:9], v[22:23], v[156:157]
	v_fma_f64 v[177:178], v[6:7], v[22:23], -v[24:25]
	scratch_load_b128 v[22:25], off, off offset:624
	ds_load_b128 v[6:9], v1 offset:1392
	s_waitcnt vmcnt(9) lgkmcnt(1)
	v_mul_f64 v[175:176], v[2:3], v[28:29]
	v_mul_f64 v[28:29], v[4:5], v[28:29]
	v_add_f64 v[44:45], v[44:45], v[179:180]
	v_add_f64 v[46:47], v[46:47], v[48:49]
	s_waitcnt vmcnt(8) lgkmcnt(0)
	v_mul_f64 v[48:49], v[6:7], v[32:33]
	v_mul_f64 v[32:33], v[8:9], v[32:33]
	;; [unrolled: 18-line block ×6, first 2 shown]
	v_fma_f64 v[156:157], v[4:5], v[18:19], v[156:157]
	v_fma_f64 v[179:180], v[2:3], v[18:19], -v[20:21]
	ds_load_b128 v[2:5], v1 offset:1536
	scratch_load_b128 v[18:21], off, off offset:768
	v_add_f64 v[44:45], v[44:45], v[177:178]
	v_add_f64 v[46:47], v[46:47], v[48:49]
	v_fma_f64 v[175:176], v[8:9], v[22:23], v[175:176]
	v_fma_f64 v[177:178], v[6:7], v[22:23], -v[24:25]
	ds_load_b128 v[6:9], v1 offset:1552
	s_waitcnt vmcnt(8) lgkmcnt(1)
	v_mul_f64 v[48:49], v[2:3], v[28:29]
	v_mul_f64 v[28:29], v[4:5], v[28:29]
	scratch_load_b128 v[22:25], off, off offset:784
	v_add_f64 v[44:45], v[44:45], v[179:180]
	v_add_f64 v[46:47], v[46:47], v[156:157]
	s_waitcnt vmcnt(8) lgkmcnt(0)
	v_mul_f64 v[156:157], v[6:7], v[32:33]
	v_mul_f64 v[32:33], v[8:9], v[32:33]
	v_fma_f64 v[48:49], v[4:5], v[26:27], v[48:49]
	v_fma_f64 v[179:180], v[2:3], v[26:27], -v[28:29]
	ds_load_b128 v[2:5], v1 offset:1568
	scratch_load_b128 v[26:29], off, off offset:800
	v_add_f64 v[44:45], v[44:45], v[177:178]
	v_add_f64 v[46:47], v[46:47], v[175:176]
	v_fma_f64 v[156:157], v[8:9], v[30:31], v[156:157]
	v_fma_f64 v[177:178], v[6:7], v[30:31], -v[32:33]
	ds_load_b128 v[6:9], v1 offset:1584
	s_waitcnt vmcnt(8) lgkmcnt(1)
	v_mul_f64 v[175:176], v[2:3], v[36:37]
	v_mul_f64 v[36:37], v[4:5], v[36:37]
	scratch_load_b128 v[30:33], off, off offset:816
	v_add_f64 v[44:45], v[44:45], v[179:180]
	v_add_f64 v[46:47], v[46:47], v[48:49]
	s_waitcnt vmcnt(8) lgkmcnt(0)
	v_mul_f64 v[48:49], v[6:7], v[173:174]
	v_mul_f64 v[173:174], v[8:9], v[173:174]
	v_fma_f64 v[175:176], v[4:5], v[34:35], v[175:176]
	v_fma_f64 v[179:180], v[2:3], v[34:35], -v[36:37]
	scratch_load_b128 v[34:37], off, off offset:832
	ds_load_b128 v[2:5], v1 offset:1600
	v_add_f64 v[44:45], v[44:45], v[177:178]
	v_add_f64 v[46:47], v[46:47], v[156:157]
	v_fma_f64 v[48:49], v[8:9], v[171:172], v[48:49]
	v_fma_f64 v[177:178], v[6:7], v[171:172], -v[173:174]
	ds_load_b128 v[6:9], v1 offset:1616
	s_waitcnt vmcnt(8) lgkmcnt(1)
	v_mul_f64 v[156:157], v[2:3], v[40:41]
	v_mul_f64 v[40:41], v[4:5], v[40:41]
	scratch_load_b128 v[171:174], off, off offset:848
	v_add_f64 v[44:45], v[44:45], v[179:180]
	v_add_f64 v[46:47], v[46:47], v[175:176]
	s_waitcnt vmcnt(8) lgkmcnt(0)
	v_mul_f64 v[175:176], v[6:7], v[169:170]
	v_mul_f64 v[169:170], v[8:9], v[169:170]
	v_fma_f64 v[156:157], v[4:5], v[38:39], v[156:157]
	v_fma_f64 v[179:180], v[2:3], v[38:39], -v[40:41]
	scratch_load_b128 v[38:41], off, off offset:864
	ds_load_b128 v[2:5], v1 offset:1632
	v_add_f64 v[44:45], v[44:45], v[177:178]
	v_add_f64 v[46:47], v[46:47], v[48:49]
	v_fma_f64 v[175:176], v[8:9], v[167:168], v[175:176]
	v_fma_f64 v[177:178], v[6:7], v[167:168], -v[169:170]
	ds_load_b128 v[6:9], v1 offset:1648
	s_waitcnt vmcnt(8) lgkmcnt(1)
	v_mul_f64 v[48:49], v[2:3], v[12:13]
	v_mul_f64 v[12:13], v[4:5], v[12:13]
	scratch_load_b128 v[167:170], off, off offset:880
	v_add_f64 v[44:45], v[44:45], v[179:180]
	v_add_f64 v[46:47], v[46:47], v[156:157]
	s_waitcnt vmcnt(8) lgkmcnt(0)
	v_mul_f64 v[156:157], v[6:7], v[16:17]
	v_mul_f64 v[16:17], v[8:9], v[16:17]
	v_fma_f64 v[48:49], v[4:5], v[10:11], v[48:49]
	v_fma_f64 v[10:11], v[2:3], v[10:11], -v[12:13]
	ds_load_b128 v[2:5], v1 offset:1664
	v_add_f64 v[12:13], v[44:45], v[177:178]
	v_add_f64 v[44:45], v[46:47], v[175:176]
	v_fma_f64 v[156:157], v[8:9], v[14:15], v[156:157]
	v_fma_f64 v[14:15], v[6:7], v[14:15], -v[16:17]
	ds_load_b128 v[6:9], v1 offset:1680
	s_waitcnt vmcnt(7) lgkmcnt(1)
	v_mul_f64 v[46:47], v[2:3], v[20:21]
	v_mul_f64 v[20:21], v[4:5], v[20:21]
	v_add_f64 v[10:11], v[12:13], v[10:11]
	v_add_f64 v[12:13], v[44:45], v[48:49]
	s_delay_alu instid0(VALU_DEP_4) | instskip(NEXT) | instid1(VALU_DEP_4)
	v_fma_f64 v[44:45], v[4:5], v[18:19], v[46:47]
	v_fma_f64 v[18:19], v[2:3], v[18:19], -v[20:21]
	ds_load_b128 v[2:5], v1 offset:1696
	v_add_f64 v[14:15], v[10:11], v[14:15]
	v_add_f64 v[20:21], v[12:13], v[156:157]
	scratch_load_b128 v[10:13], off, off offset:368
	s_waitcnt vmcnt(7) lgkmcnt(1)
	v_mul_f64 v[16:17], v[6:7], v[24:25]
	v_mul_f64 v[24:25], v[8:9], v[24:25]
	v_add_f64 v[14:15], v[14:15], v[18:19]
	v_add_f64 v[18:19], v[20:21], v[44:45]
	s_delay_alu instid0(VALU_DEP_4) | instskip(NEXT) | instid1(VALU_DEP_4)
	v_fma_f64 v[16:17], v[8:9], v[22:23], v[16:17]
	v_fma_f64 v[22:23], v[6:7], v[22:23], -v[24:25]
	ds_load_b128 v[6:9], v1 offset:1712
	s_waitcnt vmcnt(6) lgkmcnt(1)
	v_mul_f64 v[46:47], v[2:3], v[28:29]
	v_mul_f64 v[28:29], v[4:5], v[28:29]
	s_waitcnt vmcnt(5) lgkmcnt(0)
	v_mul_f64 v[20:21], v[6:7], v[32:33]
	v_mul_f64 v[24:25], v[8:9], v[32:33]
	v_add_f64 v[16:17], v[18:19], v[16:17]
	v_add_f64 v[14:15], v[14:15], v[22:23]
	v_fma_f64 v[32:33], v[4:5], v[26:27], v[46:47]
	v_fma_f64 v[26:27], v[2:3], v[26:27], -v[28:29]
	ds_load_b128 v[2:5], v1 offset:1728
	v_fma_f64 v[20:21], v[8:9], v[30:31], v[20:21]
	v_fma_f64 v[24:25], v[6:7], v[30:31], -v[24:25]
	ds_load_b128 v[6:9], v1 offset:1744
	s_waitcnt vmcnt(4) lgkmcnt(1)
	v_mul_f64 v[18:19], v[2:3], v[36:37]
	v_mul_f64 v[22:23], v[4:5], v[36:37]
	v_add_f64 v[16:17], v[16:17], v[32:33]
	v_add_f64 v[14:15], v[14:15], v[26:27]
	s_waitcnt vmcnt(3) lgkmcnt(0)
	v_mul_f64 v[26:27], v[6:7], v[173:174]
	v_mul_f64 v[28:29], v[8:9], v[173:174]
	v_fma_f64 v[18:19], v[4:5], v[34:35], v[18:19]
	v_fma_f64 v[22:23], v[2:3], v[34:35], -v[22:23]
	ds_load_b128 v[2:5], v1 offset:1760
	v_add_f64 v[16:17], v[16:17], v[20:21]
	v_add_f64 v[14:15], v[14:15], v[24:25]
	v_fma_f64 v[26:27], v[8:9], v[171:172], v[26:27]
	v_fma_f64 v[28:29], v[6:7], v[171:172], -v[28:29]
	ds_load_b128 v[6:9], v1 offset:1776
	s_waitcnt vmcnt(2) lgkmcnt(1)
	v_mul_f64 v[20:21], v[2:3], v[40:41]
	v_mul_f64 v[24:25], v[4:5], v[40:41]
	v_add_f64 v[16:17], v[16:17], v[18:19]
	v_add_f64 v[14:15], v[14:15], v[22:23]
	s_waitcnt vmcnt(1) lgkmcnt(0)
	v_mul_f64 v[18:19], v[6:7], v[169:170]
	v_mul_f64 v[22:23], v[8:9], v[169:170]
	v_fma_f64 v[4:5], v[4:5], v[38:39], v[20:21]
	v_fma_f64 v[1:2], v[2:3], v[38:39], -v[24:25]
	v_add_f64 v[16:17], v[16:17], v[26:27]
	v_add_f64 v[14:15], v[14:15], v[28:29]
	v_fma_f64 v[8:9], v[8:9], v[167:168], v[18:19]
	v_fma_f64 v[6:7], v[6:7], v[167:168], -v[22:23]
	s_delay_alu instid0(VALU_DEP_4) | instskip(NEXT) | instid1(VALU_DEP_4)
	v_add_f64 v[3:4], v[16:17], v[4:5]
	v_add_f64 v[1:2], v[14:15], v[1:2]
	s_delay_alu instid0(VALU_DEP_2) | instskip(NEXT) | instid1(VALU_DEP_2)
	v_add_f64 v[3:4], v[3:4], v[8:9]
	v_add_f64 v[1:2], v[1:2], v[6:7]
	s_waitcnt vmcnt(0)
	s_delay_alu instid0(VALU_DEP_2) | instskip(NEXT) | instid1(VALU_DEP_2)
	v_add_f64 v[3:4], v[12:13], -v[3:4]
	v_add_f64 v[1:2], v[10:11], -v[1:2]
	scratch_store_b128 off, v[1:4], off offset:368
	v_cmpx_lt_u32_e32 22, v154
	s_cbranch_execz .LBB119_305
; %bb.304:
	scratch_load_b128 v[1:4], v187, off
	v_mov_b32_e32 v5, 0
	s_delay_alu instid0(VALU_DEP_1)
	v_mov_b32_e32 v6, v5
	v_mov_b32_e32 v7, v5
	;; [unrolled: 1-line block ×3, first 2 shown]
	scratch_store_b128 off, v[5:8], off offset:352
	s_waitcnt vmcnt(0)
	ds_store_b128 v210, v[1:4]
.LBB119_305:
	s_or_b32 exec_lo, exec_lo, s2
	s_waitcnt lgkmcnt(0)
	s_waitcnt_vscnt null, 0x0
	s_barrier
	buffer_gl0_inv
	s_clause 0x7
	scratch_load_b128 v[2:5], off, off offset:368
	scratch_load_b128 v[6:9], off, off offset:384
	;; [unrolled: 1-line block ×8, first 2 shown]
	v_mov_b32_e32 v1, 0
	s_clause 0x1
	scratch_load_b128 v[34:37], off, off offset:496
	scratch_load_b128 v[171:174], off, off offset:512
	s_mov_b32 s2, exec_lo
	ds_load_b128 v[38:41], v1 offset:1264
	ds_load_b128 v[167:170], v1 offset:1280
	s_waitcnt vmcnt(9) lgkmcnt(1)
	v_mul_f64 v[44:45], v[40:41], v[4:5]
	v_mul_f64 v[4:5], v[38:39], v[4:5]
	s_waitcnt vmcnt(8) lgkmcnt(0)
	v_mul_f64 v[46:47], v[167:168], v[8:9]
	v_mul_f64 v[8:9], v[169:170], v[8:9]
	s_delay_alu instid0(VALU_DEP_4) | instskip(NEXT) | instid1(VALU_DEP_4)
	v_fma_f64 v[44:45], v[38:39], v[2:3], -v[44:45]
	v_fma_f64 v[48:49], v[40:41], v[2:3], v[4:5]
	ds_load_b128 v[2:5], v1 offset:1296
	scratch_load_b128 v[38:41], off, off offset:528
	v_fma_f64 v[46:47], v[169:170], v[6:7], v[46:47]
	v_fma_f64 v[175:176], v[167:168], v[6:7], -v[8:9]
	scratch_load_b128 v[167:170], off, off offset:544
	ds_load_b128 v[6:9], v1 offset:1312
	s_waitcnt vmcnt(9) lgkmcnt(1)
	v_mul_f64 v[156:157], v[2:3], v[12:13]
	v_mul_f64 v[12:13], v[4:5], v[12:13]
	s_waitcnt vmcnt(8) lgkmcnt(0)
	v_mul_f64 v[177:178], v[6:7], v[16:17]
	v_mul_f64 v[16:17], v[8:9], v[16:17]
	v_add_f64 v[44:45], v[44:45], 0
	v_add_f64 v[48:49], v[48:49], 0
	v_fma_f64 v[156:157], v[4:5], v[10:11], v[156:157]
	v_fma_f64 v[179:180], v[2:3], v[10:11], -v[12:13]
	ds_load_b128 v[2:5], v1 offset:1328
	scratch_load_b128 v[10:13], off, off offset:560
	v_add_f64 v[44:45], v[44:45], v[175:176]
	v_add_f64 v[46:47], v[48:49], v[46:47]
	v_fma_f64 v[175:176], v[8:9], v[14:15], v[177:178]
	v_fma_f64 v[177:178], v[6:7], v[14:15], -v[16:17]
	scratch_load_b128 v[14:17], off, off offset:576
	ds_load_b128 v[6:9], v1 offset:1344
	s_waitcnt vmcnt(9) lgkmcnt(1)
	v_mul_f64 v[48:49], v[2:3], v[20:21]
	v_mul_f64 v[20:21], v[4:5], v[20:21]
	v_add_f64 v[44:45], v[44:45], v[179:180]
	v_add_f64 v[46:47], v[46:47], v[156:157]
	s_waitcnt vmcnt(8) lgkmcnt(0)
	v_mul_f64 v[156:157], v[6:7], v[24:25]
	v_mul_f64 v[24:25], v[8:9], v[24:25]
	v_fma_f64 v[48:49], v[4:5], v[18:19], v[48:49]
	v_fma_f64 v[179:180], v[2:3], v[18:19], -v[20:21]
	ds_load_b128 v[2:5], v1 offset:1360
	scratch_load_b128 v[18:21], off, off offset:592
	v_add_f64 v[44:45], v[44:45], v[177:178]
	v_add_f64 v[46:47], v[46:47], v[175:176]
	v_fma_f64 v[156:157], v[8:9], v[22:23], v[156:157]
	v_fma_f64 v[177:178], v[6:7], v[22:23], -v[24:25]
	scratch_load_b128 v[22:25], off, off offset:608
	ds_load_b128 v[6:9], v1 offset:1376
	s_waitcnt vmcnt(9) lgkmcnt(1)
	v_mul_f64 v[175:176], v[2:3], v[28:29]
	v_mul_f64 v[28:29], v[4:5], v[28:29]
	v_add_f64 v[44:45], v[44:45], v[179:180]
	v_add_f64 v[46:47], v[46:47], v[48:49]
	s_waitcnt vmcnt(8) lgkmcnt(0)
	v_mul_f64 v[48:49], v[6:7], v[32:33]
	v_mul_f64 v[32:33], v[8:9], v[32:33]
	;; [unrolled: 18-line block ×7, first 2 shown]
	v_fma_f64 v[48:49], v[4:5], v[26:27], v[48:49]
	v_fma_f64 v[179:180], v[2:3], v[26:27], -v[28:29]
	ds_load_b128 v[2:5], v1 offset:1552
	scratch_load_b128 v[26:29], off, off offset:784
	v_add_f64 v[44:45], v[44:45], v[177:178]
	v_add_f64 v[46:47], v[46:47], v[175:176]
	v_fma_f64 v[156:157], v[8:9], v[30:31], v[156:157]
	v_fma_f64 v[177:178], v[6:7], v[30:31], -v[32:33]
	ds_load_b128 v[6:9], v1 offset:1568
	s_waitcnt vmcnt(8) lgkmcnt(1)
	v_mul_f64 v[175:176], v[2:3], v[36:37]
	v_mul_f64 v[36:37], v[4:5], v[36:37]
	scratch_load_b128 v[30:33], off, off offset:800
	v_add_f64 v[44:45], v[44:45], v[179:180]
	v_add_f64 v[46:47], v[46:47], v[48:49]
	s_waitcnt vmcnt(8) lgkmcnt(0)
	v_mul_f64 v[48:49], v[6:7], v[173:174]
	v_mul_f64 v[173:174], v[8:9], v[173:174]
	v_fma_f64 v[175:176], v[4:5], v[34:35], v[175:176]
	v_fma_f64 v[179:180], v[2:3], v[34:35], -v[36:37]
	scratch_load_b128 v[34:37], off, off offset:816
	ds_load_b128 v[2:5], v1 offset:1584
	v_add_f64 v[44:45], v[44:45], v[177:178]
	v_add_f64 v[46:47], v[46:47], v[156:157]
	v_fma_f64 v[48:49], v[8:9], v[171:172], v[48:49]
	v_fma_f64 v[177:178], v[6:7], v[171:172], -v[173:174]
	ds_load_b128 v[6:9], v1 offset:1600
	s_waitcnt vmcnt(8) lgkmcnt(1)
	v_mul_f64 v[156:157], v[2:3], v[40:41]
	v_mul_f64 v[40:41], v[4:5], v[40:41]
	scratch_load_b128 v[171:174], off, off offset:832
	v_add_f64 v[44:45], v[44:45], v[179:180]
	v_add_f64 v[46:47], v[46:47], v[175:176]
	s_waitcnt vmcnt(8) lgkmcnt(0)
	v_mul_f64 v[175:176], v[6:7], v[169:170]
	v_mul_f64 v[169:170], v[8:9], v[169:170]
	v_fma_f64 v[156:157], v[4:5], v[38:39], v[156:157]
	v_fma_f64 v[179:180], v[2:3], v[38:39], -v[40:41]
	scratch_load_b128 v[38:41], off, off offset:848
	ds_load_b128 v[2:5], v1 offset:1616
	;; [unrolled: 18-line block ×3, first 2 shown]
	v_add_f64 v[44:45], v[44:45], v[177:178]
	v_add_f64 v[46:47], v[46:47], v[175:176]
	v_fma_f64 v[156:157], v[8:9], v[14:15], v[156:157]
	v_fma_f64 v[14:15], v[6:7], v[14:15], -v[16:17]
	ds_load_b128 v[6:9], v1 offset:1664
	s_waitcnt vmcnt(8) lgkmcnt(1)
	v_mul_f64 v[175:176], v[2:3], v[20:21]
	v_mul_f64 v[20:21], v[4:5], v[20:21]
	v_add_f64 v[16:17], v[44:45], v[179:180]
	v_add_f64 v[44:45], v[46:47], v[48:49]
	s_waitcnt vmcnt(7) lgkmcnt(0)
	v_mul_f64 v[46:47], v[6:7], v[24:25]
	v_mul_f64 v[24:25], v[8:9], v[24:25]
	v_fma_f64 v[48:49], v[4:5], v[18:19], v[175:176]
	v_fma_f64 v[18:19], v[2:3], v[18:19], -v[20:21]
	ds_load_b128 v[2:5], v1 offset:1680
	v_add_f64 v[14:15], v[16:17], v[14:15]
	v_add_f64 v[16:17], v[44:45], v[156:157]
	v_fma_f64 v[44:45], v[8:9], v[22:23], v[46:47]
	v_fma_f64 v[22:23], v[6:7], v[22:23], -v[24:25]
	ds_load_b128 v[6:9], v1 offset:1696
	s_waitcnt vmcnt(5) lgkmcnt(0)
	v_mul_f64 v[46:47], v[6:7], v[32:33]
	v_mul_f64 v[32:33], v[8:9], v[32:33]
	v_add_f64 v[18:19], v[14:15], v[18:19]
	v_add_f64 v[24:25], v[16:17], v[48:49]
	scratch_load_b128 v[14:17], off, off offset:352
	v_mul_f64 v[20:21], v[2:3], v[28:29]
	v_mul_f64 v[28:29], v[4:5], v[28:29]
	v_add_f64 v[18:19], v[18:19], v[22:23]
	v_add_f64 v[22:23], v[24:25], v[44:45]
	s_delay_alu instid0(VALU_DEP_4) | instskip(NEXT) | instid1(VALU_DEP_4)
	v_fma_f64 v[20:21], v[4:5], v[26:27], v[20:21]
	v_fma_f64 v[26:27], v[2:3], v[26:27], -v[28:29]
	ds_load_b128 v[2:5], v1 offset:1712
	s_waitcnt vmcnt(5) lgkmcnt(0)
	v_mul_f64 v[24:25], v[2:3], v[36:37]
	v_mul_f64 v[28:29], v[4:5], v[36:37]
	v_fma_f64 v[36:37], v[8:9], v[30:31], v[46:47]
	v_fma_f64 v[30:31], v[6:7], v[30:31], -v[32:33]
	ds_load_b128 v[6:9], v1 offset:1728
	v_add_f64 v[20:21], v[22:23], v[20:21]
	v_add_f64 v[18:19], v[18:19], v[26:27]
	v_fma_f64 v[24:25], v[4:5], v[34:35], v[24:25]
	v_fma_f64 v[28:29], v[2:3], v[34:35], -v[28:29]
	ds_load_b128 v[2:5], v1 offset:1744
	s_waitcnt vmcnt(4) lgkmcnt(1)
	v_mul_f64 v[22:23], v[6:7], v[173:174]
	v_mul_f64 v[26:27], v[8:9], v[173:174]
	v_add_f64 v[20:21], v[20:21], v[36:37]
	v_add_f64 v[18:19], v[18:19], v[30:31]
	s_waitcnt vmcnt(3) lgkmcnt(0)
	v_mul_f64 v[30:31], v[2:3], v[40:41]
	v_mul_f64 v[32:33], v[4:5], v[40:41]
	v_fma_f64 v[22:23], v[8:9], v[171:172], v[22:23]
	v_fma_f64 v[26:27], v[6:7], v[171:172], -v[26:27]
	ds_load_b128 v[6:9], v1 offset:1760
	v_add_f64 v[20:21], v[20:21], v[24:25]
	v_add_f64 v[18:19], v[18:19], v[28:29]
	v_fma_f64 v[30:31], v[4:5], v[38:39], v[30:31]
	v_fma_f64 v[32:33], v[2:3], v[38:39], -v[32:33]
	ds_load_b128 v[2:5], v1 offset:1776
	s_waitcnt vmcnt(2) lgkmcnt(1)
	v_mul_f64 v[24:25], v[6:7], v[169:170]
	v_mul_f64 v[28:29], v[8:9], v[169:170]
	v_add_f64 v[20:21], v[20:21], v[22:23]
	v_add_f64 v[18:19], v[18:19], v[26:27]
	s_waitcnt vmcnt(1) lgkmcnt(0)
	v_mul_f64 v[22:23], v[2:3], v[12:13]
	v_mul_f64 v[12:13], v[4:5], v[12:13]
	v_fma_f64 v[8:9], v[8:9], v[167:168], v[24:25]
	v_fma_f64 v[6:7], v[6:7], v[167:168], -v[28:29]
	v_add_f64 v[20:21], v[20:21], v[30:31]
	v_add_f64 v[18:19], v[18:19], v[32:33]
	v_fma_f64 v[4:5], v[4:5], v[10:11], v[22:23]
	v_fma_f64 v[2:3], v[2:3], v[10:11], -v[12:13]
	s_delay_alu instid0(VALU_DEP_4) | instskip(NEXT) | instid1(VALU_DEP_4)
	v_add_f64 v[8:9], v[20:21], v[8:9]
	v_add_f64 v[6:7], v[18:19], v[6:7]
	s_delay_alu instid0(VALU_DEP_2) | instskip(NEXT) | instid1(VALU_DEP_2)
	v_add_f64 v[4:5], v[8:9], v[4:5]
	v_add_f64 v[2:3], v[6:7], v[2:3]
	s_waitcnt vmcnt(0)
	s_delay_alu instid0(VALU_DEP_2) | instskip(NEXT) | instid1(VALU_DEP_2)
	v_add_f64 v[4:5], v[16:17], -v[4:5]
	v_add_f64 v[2:3], v[14:15], -v[2:3]
	scratch_store_b128 off, v[2:5], off offset:352
	v_cmpx_lt_u32_e32 21, v154
	s_cbranch_execz .LBB119_307
; %bb.306:
	scratch_load_b128 v[5:8], v189, off
	v_mov_b32_e32 v2, v1
	v_mov_b32_e32 v3, v1
	v_mov_b32_e32 v4, v1
	scratch_store_b128 off, v[1:4], off offset:336
	s_waitcnt vmcnt(0)
	ds_store_b128 v210, v[5:8]
.LBB119_307:
	s_or_b32 exec_lo, exec_lo, s2
	s_waitcnt lgkmcnt(0)
	s_waitcnt_vscnt null, 0x0
	s_barrier
	buffer_gl0_inv
	s_clause 0x7
	scratch_load_b128 v[2:5], off, off offset:352
	scratch_load_b128 v[6:9], off, off offset:368
	scratch_load_b128 v[10:13], off, off offset:384
	scratch_load_b128 v[14:17], off, off offset:400
	scratch_load_b128 v[18:21], off, off offset:416
	scratch_load_b128 v[22:25], off, off offset:432
	scratch_load_b128 v[26:29], off, off offset:448
	scratch_load_b128 v[30:33], off, off offset:464
	ds_load_b128 v[38:41], v1 offset:1248
	ds_load_b128 v[167:170], v1 offset:1264
	s_clause 0x1
	scratch_load_b128 v[34:37], off, off offset:480
	scratch_load_b128 v[171:174], off, off offset:496
	s_mov_b32 s2, exec_lo
	s_waitcnt vmcnt(9) lgkmcnt(1)
	v_mul_f64 v[44:45], v[40:41], v[4:5]
	v_mul_f64 v[4:5], v[38:39], v[4:5]
	s_waitcnt vmcnt(8) lgkmcnt(0)
	v_mul_f64 v[46:47], v[167:168], v[8:9]
	v_mul_f64 v[8:9], v[169:170], v[8:9]
	s_delay_alu instid0(VALU_DEP_4) | instskip(NEXT) | instid1(VALU_DEP_4)
	v_fma_f64 v[44:45], v[38:39], v[2:3], -v[44:45]
	v_fma_f64 v[48:49], v[40:41], v[2:3], v[4:5]
	ds_load_b128 v[2:5], v1 offset:1280
	scratch_load_b128 v[38:41], off, off offset:512
	v_fma_f64 v[46:47], v[169:170], v[6:7], v[46:47]
	v_fma_f64 v[175:176], v[167:168], v[6:7], -v[8:9]
	scratch_load_b128 v[167:170], off, off offset:528
	ds_load_b128 v[6:9], v1 offset:1296
	s_waitcnt vmcnt(9) lgkmcnt(1)
	v_mul_f64 v[156:157], v[2:3], v[12:13]
	v_mul_f64 v[12:13], v[4:5], v[12:13]
	s_waitcnt vmcnt(8) lgkmcnt(0)
	v_mul_f64 v[177:178], v[6:7], v[16:17]
	v_mul_f64 v[16:17], v[8:9], v[16:17]
	v_add_f64 v[44:45], v[44:45], 0
	v_add_f64 v[48:49], v[48:49], 0
	v_fma_f64 v[156:157], v[4:5], v[10:11], v[156:157]
	v_fma_f64 v[179:180], v[2:3], v[10:11], -v[12:13]
	ds_load_b128 v[2:5], v1 offset:1312
	scratch_load_b128 v[10:13], off, off offset:544
	v_add_f64 v[44:45], v[44:45], v[175:176]
	v_add_f64 v[46:47], v[48:49], v[46:47]
	v_fma_f64 v[175:176], v[8:9], v[14:15], v[177:178]
	v_fma_f64 v[177:178], v[6:7], v[14:15], -v[16:17]
	scratch_load_b128 v[14:17], off, off offset:560
	ds_load_b128 v[6:9], v1 offset:1328
	s_waitcnt vmcnt(9) lgkmcnt(1)
	v_mul_f64 v[48:49], v[2:3], v[20:21]
	v_mul_f64 v[20:21], v[4:5], v[20:21]
	v_add_f64 v[44:45], v[44:45], v[179:180]
	v_add_f64 v[46:47], v[46:47], v[156:157]
	s_waitcnt vmcnt(8) lgkmcnt(0)
	v_mul_f64 v[156:157], v[6:7], v[24:25]
	v_mul_f64 v[24:25], v[8:9], v[24:25]
	v_fma_f64 v[48:49], v[4:5], v[18:19], v[48:49]
	v_fma_f64 v[179:180], v[2:3], v[18:19], -v[20:21]
	ds_load_b128 v[2:5], v1 offset:1344
	scratch_load_b128 v[18:21], off, off offset:576
	v_add_f64 v[44:45], v[44:45], v[177:178]
	v_add_f64 v[46:47], v[46:47], v[175:176]
	v_fma_f64 v[156:157], v[8:9], v[22:23], v[156:157]
	v_fma_f64 v[177:178], v[6:7], v[22:23], -v[24:25]
	scratch_load_b128 v[22:25], off, off offset:592
	ds_load_b128 v[6:9], v1 offset:1360
	s_waitcnt vmcnt(9) lgkmcnt(1)
	v_mul_f64 v[175:176], v[2:3], v[28:29]
	v_mul_f64 v[28:29], v[4:5], v[28:29]
	v_add_f64 v[44:45], v[44:45], v[179:180]
	v_add_f64 v[46:47], v[46:47], v[48:49]
	s_waitcnt vmcnt(8) lgkmcnt(0)
	v_mul_f64 v[48:49], v[6:7], v[32:33]
	v_mul_f64 v[32:33], v[8:9], v[32:33]
	;; [unrolled: 18-line block ×7, first 2 shown]
	v_fma_f64 v[48:49], v[4:5], v[26:27], v[48:49]
	v_fma_f64 v[179:180], v[2:3], v[26:27], -v[28:29]
	ds_load_b128 v[2:5], v1 offset:1536
	scratch_load_b128 v[26:29], off, off offset:768
	v_add_f64 v[44:45], v[44:45], v[177:178]
	v_add_f64 v[46:47], v[46:47], v[175:176]
	v_fma_f64 v[156:157], v[8:9], v[30:31], v[156:157]
	v_fma_f64 v[177:178], v[6:7], v[30:31], -v[32:33]
	ds_load_b128 v[6:9], v1 offset:1552
	s_waitcnt vmcnt(8) lgkmcnt(1)
	v_mul_f64 v[175:176], v[2:3], v[36:37]
	v_mul_f64 v[36:37], v[4:5], v[36:37]
	scratch_load_b128 v[30:33], off, off offset:784
	v_add_f64 v[44:45], v[44:45], v[179:180]
	v_add_f64 v[46:47], v[46:47], v[48:49]
	s_waitcnt vmcnt(8) lgkmcnt(0)
	v_mul_f64 v[48:49], v[6:7], v[173:174]
	v_mul_f64 v[173:174], v[8:9], v[173:174]
	v_fma_f64 v[175:176], v[4:5], v[34:35], v[175:176]
	v_fma_f64 v[179:180], v[2:3], v[34:35], -v[36:37]
	ds_load_b128 v[2:5], v1 offset:1568
	scratch_load_b128 v[34:37], off, off offset:800
	v_add_f64 v[44:45], v[44:45], v[177:178]
	v_add_f64 v[46:47], v[46:47], v[156:157]
	v_fma_f64 v[48:49], v[8:9], v[171:172], v[48:49]
	v_fma_f64 v[177:178], v[6:7], v[171:172], -v[173:174]
	ds_load_b128 v[6:9], v1 offset:1584
	s_waitcnt vmcnt(8) lgkmcnt(1)
	v_mul_f64 v[156:157], v[2:3], v[40:41]
	v_mul_f64 v[40:41], v[4:5], v[40:41]
	scratch_load_b128 v[171:174], off, off offset:816
	v_add_f64 v[44:45], v[44:45], v[179:180]
	v_add_f64 v[46:47], v[46:47], v[175:176]
	s_waitcnt vmcnt(8) lgkmcnt(0)
	v_mul_f64 v[175:176], v[6:7], v[169:170]
	v_mul_f64 v[169:170], v[8:9], v[169:170]
	v_fma_f64 v[156:157], v[4:5], v[38:39], v[156:157]
	v_fma_f64 v[179:180], v[2:3], v[38:39], -v[40:41]
	scratch_load_b128 v[38:41], off, off offset:832
	ds_load_b128 v[2:5], v1 offset:1600
	v_add_f64 v[44:45], v[44:45], v[177:178]
	v_add_f64 v[46:47], v[46:47], v[48:49]
	v_fma_f64 v[175:176], v[8:9], v[167:168], v[175:176]
	v_fma_f64 v[177:178], v[6:7], v[167:168], -v[169:170]
	ds_load_b128 v[6:9], v1 offset:1616
	s_waitcnt vmcnt(8) lgkmcnt(1)
	v_mul_f64 v[48:49], v[2:3], v[12:13]
	v_mul_f64 v[12:13], v[4:5], v[12:13]
	scratch_load_b128 v[167:170], off, off offset:848
	v_add_f64 v[44:45], v[44:45], v[179:180]
	v_add_f64 v[46:47], v[46:47], v[156:157]
	s_waitcnt vmcnt(8) lgkmcnt(0)
	v_mul_f64 v[156:157], v[6:7], v[16:17]
	v_mul_f64 v[16:17], v[8:9], v[16:17]
	v_fma_f64 v[48:49], v[4:5], v[10:11], v[48:49]
	v_fma_f64 v[179:180], v[2:3], v[10:11], -v[12:13]
	scratch_load_b128 v[10:13], off, off offset:864
	ds_load_b128 v[2:5], v1 offset:1632
	v_add_f64 v[44:45], v[44:45], v[177:178]
	v_add_f64 v[46:47], v[46:47], v[175:176]
	v_fma_f64 v[156:157], v[8:9], v[14:15], v[156:157]
	v_fma_f64 v[177:178], v[6:7], v[14:15], -v[16:17]
	ds_load_b128 v[6:9], v1 offset:1648
	s_waitcnt vmcnt(8) lgkmcnt(1)
	v_mul_f64 v[175:176], v[2:3], v[20:21]
	v_mul_f64 v[20:21], v[4:5], v[20:21]
	scratch_load_b128 v[14:17], off, off offset:880
	v_add_f64 v[44:45], v[44:45], v[179:180]
	v_add_f64 v[46:47], v[46:47], v[48:49]
	s_waitcnt vmcnt(8) lgkmcnt(0)
	v_mul_f64 v[48:49], v[6:7], v[24:25]
	v_mul_f64 v[24:25], v[8:9], v[24:25]
	v_fma_f64 v[175:176], v[4:5], v[18:19], v[175:176]
	v_fma_f64 v[18:19], v[2:3], v[18:19], -v[20:21]
	ds_load_b128 v[2:5], v1 offset:1664
	v_add_f64 v[20:21], v[44:45], v[177:178]
	v_add_f64 v[44:45], v[46:47], v[156:157]
	v_fma_f64 v[48:49], v[8:9], v[22:23], v[48:49]
	v_fma_f64 v[22:23], v[6:7], v[22:23], -v[24:25]
	ds_load_b128 v[6:9], v1 offset:1680
	s_waitcnt vmcnt(7) lgkmcnt(1)
	v_mul_f64 v[46:47], v[2:3], v[28:29]
	v_mul_f64 v[28:29], v[4:5], v[28:29]
	v_add_f64 v[18:19], v[20:21], v[18:19]
	v_add_f64 v[20:21], v[44:45], v[175:176]
	s_delay_alu instid0(VALU_DEP_4) | instskip(NEXT) | instid1(VALU_DEP_4)
	v_fma_f64 v[44:45], v[4:5], v[26:27], v[46:47]
	v_fma_f64 v[26:27], v[2:3], v[26:27], -v[28:29]
	ds_load_b128 v[2:5], v1 offset:1696
	v_add_f64 v[22:23], v[18:19], v[22:23]
	v_add_f64 v[28:29], v[20:21], v[48:49]
	scratch_load_b128 v[18:21], off, off offset:336
	s_waitcnt vmcnt(7) lgkmcnt(1)
	v_mul_f64 v[24:25], v[6:7], v[32:33]
	v_mul_f64 v[32:33], v[8:9], v[32:33]
	v_add_f64 v[22:23], v[22:23], v[26:27]
	v_add_f64 v[26:27], v[28:29], v[44:45]
	s_delay_alu instid0(VALU_DEP_4) | instskip(NEXT) | instid1(VALU_DEP_4)
	v_fma_f64 v[24:25], v[8:9], v[30:31], v[24:25]
	v_fma_f64 v[30:31], v[6:7], v[30:31], -v[32:33]
	ds_load_b128 v[6:9], v1 offset:1712
	s_waitcnt vmcnt(6) lgkmcnt(1)
	v_mul_f64 v[46:47], v[2:3], v[36:37]
	v_mul_f64 v[36:37], v[4:5], v[36:37]
	s_waitcnt vmcnt(5) lgkmcnt(0)
	v_mul_f64 v[28:29], v[6:7], v[173:174]
	v_mul_f64 v[32:33], v[8:9], v[173:174]
	v_add_f64 v[24:25], v[26:27], v[24:25]
	v_add_f64 v[22:23], v[22:23], v[30:31]
	v_fma_f64 v[44:45], v[4:5], v[34:35], v[46:47]
	v_fma_f64 v[34:35], v[2:3], v[34:35], -v[36:37]
	ds_load_b128 v[2:5], v1 offset:1728
	v_fma_f64 v[28:29], v[8:9], v[171:172], v[28:29]
	v_fma_f64 v[32:33], v[6:7], v[171:172], -v[32:33]
	ds_load_b128 v[6:9], v1 offset:1744
	s_waitcnt vmcnt(4) lgkmcnt(1)
	v_mul_f64 v[26:27], v[2:3], v[40:41]
	v_mul_f64 v[30:31], v[4:5], v[40:41]
	v_add_f64 v[24:25], v[24:25], v[44:45]
	v_add_f64 v[22:23], v[22:23], v[34:35]
	s_waitcnt vmcnt(3) lgkmcnt(0)
	v_mul_f64 v[34:35], v[6:7], v[169:170]
	v_mul_f64 v[36:37], v[8:9], v[169:170]
	v_fma_f64 v[26:27], v[4:5], v[38:39], v[26:27]
	v_fma_f64 v[30:31], v[2:3], v[38:39], -v[30:31]
	ds_load_b128 v[2:5], v1 offset:1760
	v_add_f64 v[24:25], v[24:25], v[28:29]
	v_add_f64 v[22:23], v[22:23], v[32:33]
	v_fma_f64 v[32:33], v[8:9], v[167:168], v[34:35]
	v_fma_f64 v[34:35], v[6:7], v[167:168], -v[36:37]
	ds_load_b128 v[6:9], v1 offset:1776
	s_waitcnt vmcnt(2) lgkmcnt(1)
	v_mul_f64 v[28:29], v[2:3], v[12:13]
	v_mul_f64 v[12:13], v[4:5], v[12:13]
	v_add_f64 v[24:25], v[24:25], v[26:27]
	v_add_f64 v[22:23], v[22:23], v[30:31]
	s_waitcnt vmcnt(1) lgkmcnt(0)
	v_mul_f64 v[26:27], v[6:7], v[16:17]
	v_mul_f64 v[16:17], v[8:9], v[16:17]
	v_fma_f64 v[4:5], v[4:5], v[10:11], v[28:29]
	v_fma_f64 v[1:2], v[2:3], v[10:11], -v[12:13]
	v_add_f64 v[12:13], v[24:25], v[32:33]
	v_add_f64 v[10:11], v[22:23], v[34:35]
	v_fma_f64 v[8:9], v[8:9], v[14:15], v[26:27]
	v_fma_f64 v[6:7], v[6:7], v[14:15], -v[16:17]
	s_delay_alu instid0(VALU_DEP_4) | instskip(NEXT) | instid1(VALU_DEP_4)
	v_add_f64 v[3:4], v[12:13], v[4:5]
	v_add_f64 v[1:2], v[10:11], v[1:2]
	s_delay_alu instid0(VALU_DEP_2) | instskip(NEXT) | instid1(VALU_DEP_2)
	v_add_f64 v[3:4], v[3:4], v[8:9]
	v_add_f64 v[1:2], v[1:2], v[6:7]
	s_waitcnt vmcnt(0)
	s_delay_alu instid0(VALU_DEP_2) | instskip(NEXT) | instid1(VALU_DEP_2)
	v_add_f64 v[3:4], v[20:21], -v[3:4]
	v_add_f64 v[1:2], v[18:19], -v[1:2]
	scratch_store_b128 off, v[1:4], off offset:336
	v_cmpx_lt_u32_e32 20, v154
	s_cbranch_execz .LBB119_309
; %bb.308:
	scratch_load_b128 v[1:4], v190, off
	v_mov_b32_e32 v5, 0
	s_delay_alu instid0(VALU_DEP_1)
	v_mov_b32_e32 v6, v5
	v_mov_b32_e32 v7, v5
	;; [unrolled: 1-line block ×3, first 2 shown]
	scratch_store_b128 off, v[5:8], off offset:320
	s_waitcnt vmcnt(0)
	ds_store_b128 v210, v[1:4]
.LBB119_309:
	s_or_b32 exec_lo, exec_lo, s2
	s_waitcnt lgkmcnt(0)
	s_waitcnt_vscnt null, 0x0
	s_barrier
	buffer_gl0_inv
	s_clause 0x7
	scratch_load_b128 v[2:5], off, off offset:336
	scratch_load_b128 v[6:9], off, off offset:352
	;; [unrolled: 1-line block ×8, first 2 shown]
	v_mov_b32_e32 v1, 0
	s_clause 0x1
	scratch_load_b128 v[34:37], off, off offset:464
	scratch_load_b128 v[171:174], off, off offset:480
	s_mov_b32 s2, exec_lo
	ds_load_b128 v[38:41], v1 offset:1232
	ds_load_b128 v[167:170], v1 offset:1248
	s_waitcnt vmcnt(9) lgkmcnt(1)
	v_mul_f64 v[44:45], v[40:41], v[4:5]
	v_mul_f64 v[4:5], v[38:39], v[4:5]
	s_waitcnt vmcnt(8) lgkmcnt(0)
	v_mul_f64 v[46:47], v[167:168], v[8:9]
	v_mul_f64 v[8:9], v[169:170], v[8:9]
	s_delay_alu instid0(VALU_DEP_4) | instskip(NEXT) | instid1(VALU_DEP_4)
	v_fma_f64 v[44:45], v[38:39], v[2:3], -v[44:45]
	v_fma_f64 v[48:49], v[40:41], v[2:3], v[4:5]
	ds_load_b128 v[2:5], v1 offset:1264
	scratch_load_b128 v[38:41], off, off offset:496
	v_fma_f64 v[46:47], v[169:170], v[6:7], v[46:47]
	v_fma_f64 v[175:176], v[167:168], v[6:7], -v[8:9]
	scratch_load_b128 v[167:170], off, off offset:512
	ds_load_b128 v[6:9], v1 offset:1280
	s_waitcnt vmcnt(9) lgkmcnt(1)
	v_mul_f64 v[156:157], v[2:3], v[12:13]
	v_mul_f64 v[12:13], v[4:5], v[12:13]
	s_waitcnt vmcnt(8) lgkmcnt(0)
	v_mul_f64 v[177:178], v[6:7], v[16:17]
	v_mul_f64 v[16:17], v[8:9], v[16:17]
	v_add_f64 v[44:45], v[44:45], 0
	v_add_f64 v[48:49], v[48:49], 0
	v_fma_f64 v[156:157], v[4:5], v[10:11], v[156:157]
	v_fma_f64 v[179:180], v[2:3], v[10:11], -v[12:13]
	ds_load_b128 v[2:5], v1 offset:1296
	scratch_load_b128 v[10:13], off, off offset:528
	v_add_f64 v[44:45], v[44:45], v[175:176]
	v_add_f64 v[46:47], v[48:49], v[46:47]
	v_fma_f64 v[175:176], v[8:9], v[14:15], v[177:178]
	v_fma_f64 v[177:178], v[6:7], v[14:15], -v[16:17]
	scratch_load_b128 v[14:17], off, off offset:544
	ds_load_b128 v[6:9], v1 offset:1312
	s_waitcnt vmcnt(9) lgkmcnt(1)
	v_mul_f64 v[48:49], v[2:3], v[20:21]
	v_mul_f64 v[20:21], v[4:5], v[20:21]
	v_add_f64 v[44:45], v[44:45], v[179:180]
	v_add_f64 v[46:47], v[46:47], v[156:157]
	s_waitcnt vmcnt(8) lgkmcnt(0)
	v_mul_f64 v[156:157], v[6:7], v[24:25]
	v_mul_f64 v[24:25], v[8:9], v[24:25]
	v_fma_f64 v[48:49], v[4:5], v[18:19], v[48:49]
	v_fma_f64 v[179:180], v[2:3], v[18:19], -v[20:21]
	ds_load_b128 v[2:5], v1 offset:1328
	scratch_load_b128 v[18:21], off, off offset:560
	v_add_f64 v[44:45], v[44:45], v[177:178]
	v_add_f64 v[46:47], v[46:47], v[175:176]
	v_fma_f64 v[156:157], v[8:9], v[22:23], v[156:157]
	v_fma_f64 v[177:178], v[6:7], v[22:23], -v[24:25]
	scratch_load_b128 v[22:25], off, off offset:576
	ds_load_b128 v[6:9], v1 offset:1344
	s_waitcnt vmcnt(9) lgkmcnt(1)
	v_mul_f64 v[175:176], v[2:3], v[28:29]
	v_mul_f64 v[28:29], v[4:5], v[28:29]
	v_add_f64 v[44:45], v[44:45], v[179:180]
	v_add_f64 v[46:47], v[46:47], v[48:49]
	s_waitcnt vmcnt(8) lgkmcnt(0)
	v_mul_f64 v[48:49], v[6:7], v[32:33]
	v_mul_f64 v[32:33], v[8:9], v[32:33]
	;; [unrolled: 18-line block ×8, first 2 shown]
	v_fma_f64 v[175:176], v[4:5], v[34:35], v[175:176]
	v_fma_f64 v[179:180], v[2:3], v[34:35], -v[36:37]
	ds_load_b128 v[2:5], v1 offset:1552
	scratch_load_b128 v[34:37], off, off offset:784
	v_add_f64 v[44:45], v[44:45], v[177:178]
	v_add_f64 v[46:47], v[46:47], v[156:157]
	v_fma_f64 v[48:49], v[8:9], v[171:172], v[48:49]
	v_fma_f64 v[177:178], v[6:7], v[171:172], -v[173:174]
	ds_load_b128 v[6:9], v1 offset:1568
	s_waitcnt vmcnt(8) lgkmcnt(1)
	v_mul_f64 v[156:157], v[2:3], v[40:41]
	v_mul_f64 v[40:41], v[4:5], v[40:41]
	scratch_load_b128 v[171:174], off, off offset:800
	v_add_f64 v[44:45], v[44:45], v[179:180]
	v_add_f64 v[46:47], v[46:47], v[175:176]
	s_waitcnt vmcnt(8) lgkmcnt(0)
	v_mul_f64 v[175:176], v[6:7], v[169:170]
	v_mul_f64 v[169:170], v[8:9], v[169:170]
	v_fma_f64 v[156:157], v[4:5], v[38:39], v[156:157]
	v_fma_f64 v[179:180], v[2:3], v[38:39], -v[40:41]
	scratch_load_b128 v[38:41], off, off offset:816
	ds_load_b128 v[2:5], v1 offset:1584
	v_add_f64 v[44:45], v[44:45], v[177:178]
	v_add_f64 v[46:47], v[46:47], v[48:49]
	v_fma_f64 v[175:176], v[8:9], v[167:168], v[175:176]
	v_fma_f64 v[177:178], v[6:7], v[167:168], -v[169:170]
	ds_load_b128 v[6:9], v1 offset:1600
	s_waitcnt vmcnt(8) lgkmcnt(1)
	v_mul_f64 v[48:49], v[2:3], v[12:13]
	v_mul_f64 v[12:13], v[4:5], v[12:13]
	scratch_load_b128 v[167:170], off, off offset:832
	v_add_f64 v[44:45], v[44:45], v[179:180]
	v_add_f64 v[46:47], v[46:47], v[156:157]
	s_waitcnt vmcnt(8) lgkmcnt(0)
	v_mul_f64 v[156:157], v[6:7], v[16:17]
	v_mul_f64 v[16:17], v[8:9], v[16:17]
	v_fma_f64 v[48:49], v[4:5], v[10:11], v[48:49]
	v_fma_f64 v[179:180], v[2:3], v[10:11], -v[12:13]
	scratch_load_b128 v[10:13], off, off offset:848
	ds_load_b128 v[2:5], v1 offset:1616
	;; [unrolled: 18-line block ×3, first 2 shown]
	v_add_f64 v[44:45], v[44:45], v[177:178]
	v_add_f64 v[46:47], v[46:47], v[156:157]
	v_fma_f64 v[48:49], v[8:9], v[22:23], v[48:49]
	v_fma_f64 v[22:23], v[6:7], v[22:23], -v[24:25]
	ds_load_b128 v[6:9], v1 offset:1664
	s_waitcnt vmcnt(8) lgkmcnt(1)
	v_mul_f64 v[156:157], v[2:3], v[28:29]
	v_mul_f64 v[28:29], v[4:5], v[28:29]
	v_add_f64 v[24:25], v[44:45], v[179:180]
	v_add_f64 v[44:45], v[46:47], v[175:176]
	s_waitcnt vmcnt(7) lgkmcnt(0)
	v_mul_f64 v[46:47], v[6:7], v[32:33]
	v_mul_f64 v[32:33], v[8:9], v[32:33]
	v_fma_f64 v[156:157], v[4:5], v[26:27], v[156:157]
	v_fma_f64 v[26:27], v[2:3], v[26:27], -v[28:29]
	ds_load_b128 v[2:5], v1 offset:1680
	v_add_f64 v[22:23], v[24:25], v[22:23]
	v_add_f64 v[24:25], v[44:45], v[48:49]
	v_fma_f64 v[44:45], v[8:9], v[30:31], v[46:47]
	v_fma_f64 v[30:31], v[6:7], v[30:31], -v[32:33]
	ds_load_b128 v[6:9], v1 offset:1696
	s_waitcnt vmcnt(5) lgkmcnt(0)
	v_mul_f64 v[46:47], v[6:7], v[173:174]
	v_mul_f64 v[48:49], v[8:9], v[173:174]
	v_add_f64 v[26:27], v[22:23], v[26:27]
	v_add_f64 v[32:33], v[24:25], v[156:157]
	scratch_load_b128 v[22:25], off, off offset:320
	v_mul_f64 v[28:29], v[2:3], v[36:37]
	v_mul_f64 v[36:37], v[4:5], v[36:37]
	v_add_f64 v[26:27], v[26:27], v[30:31]
	v_add_f64 v[30:31], v[32:33], v[44:45]
	v_fma_f64 v[44:45], v[6:7], v[171:172], -v[48:49]
	v_fma_f64 v[28:29], v[4:5], v[34:35], v[28:29]
	v_fma_f64 v[34:35], v[2:3], v[34:35], -v[36:37]
	ds_load_b128 v[2:5], v1 offset:1712
	s_waitcnt vmcnt(5) lgkmcnt(0)
	v_mul_f64 v[32:33], v[2:3], v[40:41]
	v_mul_f64 v[36:37], v[4:5], v[40:41]
	v_fma_f64 v[40:41], v[8:9], v[171:172], v[46:47]
	ds_load_b128 v[6:9], v1 offset:1728
	v_add_f64 v[28:29], v[30:31], v[28:29]
	v_add_f64 v[26:27], v[26:27], v[34:35]
	v_fma_f64 v[32:33], v[4:5], v[38:39], v[32:33]
	v_fma_f64 v[36:37], v[2:3], v[38:39], -v[36:37]
	ds_load_b128 v[2:5], v1 offset:1744
	s_waitcnt vmcnt(4) lgkmcnt(1)
	v_mul_f64 v[30:31], v[6:7], v[169:170]
	v_mul_f64 v[34:35], v[8:9], v[169:170]
	v_add_f64 v[28:29], v[28:29], v[40:41]
	v_add_f64 v[26:27], v[26:27], v[44:45]
	s_waitcnt vmcnt(3) lgkmcnt(0)
	v_mul_f64 v[38:39], v[2:3], v[12:13]
	v_mul_f64 v[12:13], v[4:5], v[12:13]
	v_fma_f64 v[30:31], v[8:9], v[167:168], v[30:31]
	v_fma_f64 v[34:35], v[6:7], v[167:168], -v[34:35]
	ds_load_b128 v[6:9], v1 offset:1760
	v_add_f64 v[28:29], v[28:29], v[32:33]
	v_add_f64 v[26:27], v[26:27], v[36:37]
	v_fma_f64 v[36:37], v[4:5], v[10:11], v[38:39]
	v_fma_f64 v[10:11], v[2:3], v[10:11], -v[12:13]
	ds_load_b128 v[2:5], v1 offset:1776
	s_waitcnt vmcnt(2) lgkmcnt(1)
	v_mul_f64 v[32:33], v[6:7], v[16:17]
	v_mul_f64 v[16:17], v[8:9], v[16:17]
	v_add_f64 v[12:13], v[26:27], v[34:35]
	v_add_f64 v[26:27], v[28:29], v[30:31]
	s_waitcnt vmcnt(1) lgkmcnt(0)
	v_mul_f64 v[28:29], v[2:3], v[20:21]
	v_mul_f64 v[20:21], v[4:5], v[20:21]
	v_fma_f64 v[8:9], v[8:9], v[14:15], v[32:33]
	v_fma_f64 v[6:7], v[6:7], v[14:15], -v[16:17]
	v_add_f64 v[10:11], v[12:13], v[10:11]
	v_add_f64 v[12:13], v[26:27], v[36:37]
	v_fma_f64 v[4:5], v[4:5], v[18:19], v[28:29]
	v_fma_f64 v[2:3], v[2:3], v[18:19], -v[20:21]
	s_delay_alu instid0(VALU_DEP_4) | instskip(NEXT) | instid1(VALU_DEP_4)
	v_add_f64 v[6:7], v[10:11], v[6:7]
	v_add_f64 v[8:9], v[12:13], v[8:9]
	s_delay_alu instid0(VALU_DEP_2) | instskip(NEXT) | instid1(VALU_DEP_2)
	v_add_f64 v[2:3], v[6:7], v[2:3]
	v_add_f64 v[4:5], v[8:9], v[4:5]
	s_waitcnt vmcnt(0)
	s_delay_alu instid0(VALU_DEP_2) | instskip(NEXT) | instid1(VALU_DEP_2)
	v_add_f64 v[2:3], v[22:23], -v[2:3]
	v_add_f64 v[4:5], v[24:25], -v[4:5]
	scratch_store_b128 off, v[2:5], off offset:320
	v_cmpx_lt_u32_e32 19, v154
	s_cbranch_execz .LBB119_311
; %bb.310:
	scratch_load_b128 v[5:8], v191, off
	v_mov_b32_e32 v2, v1
	v_mov_b32_e32 v3, v1
	;; [unrolled: 1-line block ×3, first 2 shown]
	scratch_store_b128 off, v[1:4], off offset:304
	s_waitcnt vmcnt(0)
	ds_store_b128 v210, v[5:8]
.LBB119_311:
	s_or_b32 exec_lo, exec_lo, s2
	s_waitcnt lgkmcnt(0)
	s_waitcnt_vscnt null, 0x0
	s_barrier
	buffer_gl0_inv
	s_clause 0x7
	scratch_load_b128 v[2:5], off, off offset:320
	scratch_load_b128 v[6:9], off, off offset:336
	;; [unrolled: 1-line block ×8, first 2 shown]
	ds_load_b128 v[38:41], v1 offset:1216
	ds_load_b128 v[167:170], v1 offset:1232
	s_clause 0x1
	scratch_load_b128 v[34:37], off, off offset:448
	scratch_load_b128 v[171:174], off, off offset:464
	s_mov_b32 s2, exec_lo
	s_waitcnt vmcnt(9) lgkmcnt(1)
	v_mul_f64 v[44:45], v[40:41], v[4:5]
	v_mul_f64 v[4:5], v[38:39], v[4:5]
	s_waitcnt vmcnt(8) lgkmcnt(0)
	v_mul_f64 v[46:47], v[167:168], v[8:9]
	v_mul_f64 v[8:9], v[169:170], v[8:9]
	s_delay_alu instid0(VALU_DEP_4) | instskip(NEXT) | instid1(VALU_DEP_4)
	v_fma_f64 v[44:45], v[38:39], v[2:3], -v[44:45]
	v_fma_f64 v[48:49], v[40:41], v[2:3], v[4:5]
	ds_load_b128 v[2:5], v1 offset:1248
	scratch_load_b128 v[38:41], off, off offset:480
	v_fma_f64 v[46:47], v[169:170], v[6:7], v[46:47]
	v_fma_f64 v[175:176], v[167:168], v[6:7], -v[8:9]
	scratch_load_b128 v[167:170], off, off offset:496
	ds_load_b128 v[6:9], v1 offset:1264
	s_waitcnt vmcnt(9) lgkmcnt(1)
	v_mul_f64 v[156:157], v[2:3], v[12:13]
	v_mul_f64 v[12:13], v[4:5], v[12:13]
	s_waitcnt vmcnt(8) lgkmcnt(0)
	v_mul_f64 v[177:178], v[6:7], v[16:17]
	v_mul_f64 v[16:17], v[8:9], v[16:17]
	v_add_f64 v[44:45], v[44:45], 0
	v_add_f64 v[48:49], v[48:49], 0
	v_fma_f64 v[156:157], v[4:5], v[10:11], v[156:157]
	v_fma_f64 v[179:180], v[2:3], v[10:11], -v[12:13]
	ds_load_b128 v[2:5], v1 offset:1280
	scratch_load_b128 v[10:13], off, off offset:512
	v_add_f64 v[44:45], v[44:45], v[175:176]
	v_add_f64 v[46:47], v[48:49], v[46:47]
	v_fma_f64 v[175:176], v[8:9], v[14:15], v[177:178]
	v_fma_f64 v[177:178], v[6:7], v[14:15], -v[16:17]
	scratch_load_b128 v[14:17], off, off offset:528
	ds_load_b128 v[6:9], v1 offset:1296
	s_waitcnt vmcnt(9) lgkmcnt(1)
	v_mul_f64 v[48:49], v[2:3], v[20:21]
	v_mul_f64 v[20:21], v[4:5], v[20:21]
	v_add_f64 v[44:45], v[44:45], v[179:180]
	v_add_f64 v[46:47], v[46:47], v[156:157]
	s_waitcnt vmcnt(8) lgkmcnt(0)
	v_mul_f64 v[156:157], v[6:7], v[24:25]
	v_mul_f64 v[24:25], v[8:9], v[24:25]
	v_fma_f64 v[48:49], v[4:5], v[18:19], v[48:49]
	v_fma_f64 v[179:180], v[2:3], v[18:19], -v[20:21]
	ds_load_b128 v[2:5], v1 offset:1312
	scratch_load_b128 v[18:21], off, off offset:544
	v_add_f64 v[44:45], v[44:45], v[177:178]
	v_add_f64 v[46:47], v[46:47], v[175:176]
	v_fma_f64 v[156:157], v[8:9], v[22:23], v[156:157]
	v_fma_f64 v[177:178], v[6:7], v[22:23], -v[24:25]
	scratch_load_b128 v[22:25], off, off offset:560
	ds_load_b128 v[6:9], v1 offset:1328
	s_waitcnt vmcnt(9) lgkmcnt(1)
	v_mul_f64 v[175:176], v[2:3], v[28:29]
	v_mul_f64 v[28:29], v[4:5], v[28:29]
	v_add_f64 v[44:45], v[44:45], v[179:180]
	v_add_f64 v[46:47], v[46:47], v[48:49]
	s_waitcnt vmcnt(8) lgkmcnt(0)
	v_mul_f64 v[48:49], v[6:7], v[32:33]
	v_mul_f64 v[32:33], v[8:9], v[32:33]
	;; [unrolled: 18-line block ×8, first 2 shown]
	v_fma_f64 v[175:176], v[4:5], v[34:35], v[175:176]
	v_fma_f64 v[179:180], v[2:3], v[34:35], -v[36:37]
	ds_load_b128 v[2:5], v1 offset:1536
	scratch_load_b128 v[34:37], off, off offset:768
	v_add_f64 v[44:45], v[44:45], v[177:178]
	v_add_f64 v[46:47], v[46:47], v[156:157]
	v_fma_f64 v[48:49], v[8:9], v[171:172], v[48:49]
	v_fma_f64 v[177:178], v[6:7], v[171:172], -v[173:174]
	ds_load_b128 v[6:9], v1 offset:1552
	s_waitcnt vmcnt(8) lgkmcnt(1)
	v_mul_f64 v[156:157], v[2:3], v[40:41]
	v_mul_f64 v[40:41], v[4:5], v[40:41]
	scratch_load_b128 v[171:174], off, off offset:784
	v_add_f64 v[44:45], v[44:45], v[179:180]
	v_add_f64 v[46:47], v[46:47], v[175:176]
	s_waitcnt vmcnt(8) lgkmcnt(0)
	v_mul_f64 v[175:176], v[6:7], v[169:170]
	v_mul_f64 v[169:170], v[8:9], v[169:170]
	v_fma_f64 v[156:157], v[4:5], v[38:39], v[156:157]
	v_fma_f64 v[179:180], v[2:3], v[38:39], -v[40:41]
	ds_load_b128 v[2:5], v1 offset:1568
	scratch_load_b128 v[38:41], off, off offset:800
	v_add_f64 v[44:45], v[44:45], v[177:178]
	v_add_f64 v[46:47], v[46:47], v[48:49]
	v_fma_f64 v[175:176], v[8:9], v[167:168], v[175:176]
	v_fma_f64 v[177:178], v[6:7], v[167:168], -v[169:170]
	ds_load_b128 v[6:9], v1 offset:1584
	s_waitcnt vmcnt(8) lgkmcnt(1)
	v_mul_f64 v[48:49], v[2:3], v[12:13]
	v_mul_f64 v[12:13], v[4:5], v[12:13]
	scratch_load_b128 v[167:170], off, off offset:816
	v_add_f64 v[44:45], v[44:45], v[179:180]
	v_add_f64 v[46:47], v[46:47], v[156:157]
	s_waitcnt vmcnt(8) lgkmcnt(0)
	v_mul_f64 v[156:157], v[6:7], v[16:17]
	v_mul_f64 v[16:17], v[8:9], v[16:17]
	v_fma_f64 v[48:49], v[4:5], v[10:11], v[48:49]
	v_fma_f64 v[179:180], v[2:3], v[10:11], -v[12:13]
	scratch_load_b128 v[10:13], off, off offset:832
	ds_load_b128 v[2:5], v1 offset:1600
	v_add_f64 v[44:45], v[44:45], v[177:178]
	v_add_f64 v[46:47], v[46:47], v[175:176]
	v_fma_f64 v[156:157], v[8:9], v[14:15], v[156:157]
	v_fma_f64 v[177:178], v[6:7], v[14:15], -v[16:17]
	ds_load_b128 v[6:9], v1 offset:1616
	s_waitcnt vmcnt(8) lgkmcnt(1)
	v_mul_f64 v[175:176], v[2:3], v[20:21]
	v_mul_f64 v[20:21], v[4:5], v[20:21]
	scratch_load_b128 v[14:17], off, off offset:848
	v_add_f64 v[44:45], v[44:45], v[179:180]
	v_add_f64 v[46:47], v[46:47], v[48:49]
	s_waitcnt vmcnt(8) lgkmcnt(0)
	v_mul_f64 v[48:49], v[6:7], v[24:25]
	v_mul_f64 v[24:25], v[8:9], v[24:25]
	v_fma_f64 v[175:176], v[4:5], v[18:19], v[175:176]
	v_fma_f64 v[179:180], v[2:3], v[18:19], -v[20:21]
	scratch_load_b128 v[18:21], off, off offset:864
	ds_load_b128 v[2:5], v1 offset:1632
	v_add_f64 v[44:45], v[44:45], v[177:178]
	v_add_f64 v[46:47], v[46:47], v[156:157]
	v_fma_f64 v[48:49], v[8:9], v[22:23], v[48:49]
	v_fma_f64 v[177:178], v[6:7], v[22:23], -v[24:25]
	ds_load_b128 v[6:9], v1 offset:1648
	s_waitcnt vmcnt(8) lgkmcnt(1)
	v_mul_f64 v[156:157], v[2:3], v[28:29]
	v_mul_f64 v[28:29], v[4:5], v[28:29]
	scratch_load_b128 v[22:25], off, off offset:880
	v_add_f64 v[44:45], v[44:45], v[179:180]
	v_add_f64 v[46:47], v[46:47], v[175:176]
	s_waitcnt vmcnt(8) lgkmcnt(0)
	v_mul_f64 v[175:176], v[6:7], v[32:33]
	v_mul_f64 v[32:33], v[8:9], v[32:33]
	v_fma_f64 v[156:157], v[4:5], v[26:27], v[156:157]
	v_fma_f64 v[26:27], v[2:3], v[26:27], -v[28:29]
	ds_load_b128 v[2:5], v1 offset:1664
	v_add_f64 v[28:29], v[44:45], v[177:178]
	v_add_f64 v[44:45], v[46:47], v[48:49]
	v_fma_f64 v[48:49], v[8:9], v[30:31], v[175:176]
	v_fma_f64 v[30:31], v[6:7], v[30:31], -v[32:33]
	ds_load_b128 v[6:9], v1 offset:1680
	s_waitcnt vmcnt(7) lgkmcnt(1)
	v_mul_f64 v[46:47], v[2:3], v[36:37]
	v_mul_f64 v[36:37], v[4:5], v[36:37]
	v_add_f64 v[26:27], v[28:29], v[26:27]
	v_add_f64 v[28:29], v[44:45], v[156:157]
	s_delay_alu instid0(VALU_DEP_4) | instskip(NEXT) | instid1(VALU_DEP_4)
	v_fma_f64 v[46:47], v[4:5], v[34:35], v[46:47]
	v_fma_f64 v[34:35], v[2:3], v[34:35], -v[36:37]
	ds_load_b128 v[2:5], v1 offset:1696
	v_add_f64 v[30:31], v[26:27], v[30:31]
	v_add_f64 v[36:37], v[28:29], v[48:49]
	scratch_load_b128 v[26:29], off, off offset:304
	s_waitcnt vmcnt(7) lgkmcnt(1)
	v_mul_f64 v[32:33], v[6:7], v[173:174]
	v_mul_f64 v[44:45], v[8:9], v[173:174]
	v_add_f64 v[30:31], v[30:31], v[34:35]
	v_add_f64 v[34:35], v[36:37], v[46:47]
	s_delay_alu instid0(VALU_DEP_4) | instskip(NEXT) | instid1(VALU_DEP_4)
	v_fma_f64 v[32:33], v[8:9], v[171:172], v[32:33]
	v_fma_f64 v[44:45], v[6:7], v[171:172], -v[44:45]
	ds_load_b128 v[6:9], v1 offset:1712
	s_waitcnt vmcnt(6) lgkmcnt(1)
	v_mul_f64 v[48:49], v[2:3], v[40:41]
	v_mul_f64 v[40:41], v[4:5], v[40:41]
	s_waitcnt vmcnt(5) lgkmcnt(0)
	v_mul_f64 v[36:37], v[6:7], v[169:170]
	v_mul_f64 v[46:47], v[8:9], v[169:170]
	v_add_f64 v[32:33], v[34:35], v[32:33]
	v_add_f64 v[30:31], v[30:31], v[44:45]
	v_fma_f64 v[48:49], v[4:5], v[38:39], v[48:49]
	v_fma_f64 v[38:39], v[2:3], v[38:39], -v[40:41]
	ds_load_b128 v[2:5], v1 offset:1728
	v_fma_f64 v[36:37], v[8:9], v[167:168], v[36:37]
	v_fma_f64 v[40:41], v[6:7], v[167:168], -v[46:47]
	ds_load_b128 v[6:9], v1 offset:1744
	s_waitcnt vmcnt(4) lgkmcnt(1)
	v_mul_f64 v[34:35], v[2:3], v[12:13]
	v_mul_f64 v[12:13], v[4:5], v[12:13]
	v_add_f64 v[32:33], v[32:33], v[48:49]
	v_add_f64 v[30:31], v[30:31], v[38:39]
	s_waitcnt vmcnt(3) lgkmcnt(0)
	v_mul_f64 v[38:39], v[6:7], v[16:17]
	v_mul_f64 v[16:17], v[8:9], v[16:17]
	v_fma_f64 v[34:35], v[4:5], v[10:11], v[34:35]
	v_fma_f64 v[10:11], v[2:3], v[10:11], -v[12:13]
	ds_load_b128 v[2:5], v1 offset:1760
	v_add_f64 v[12:13], v[30:31], v[40:41]
	v_add_f64 v[30:31], v[32:33], v[36:37]
	v_fma_f64 v[36:37], v[8:9], v[14:15], v[38:39]
	v_fma_f64 v[14:15], v[6:7], v[14:15], -v[16:17]
	ds_load_b128 v[6:9], v1 offset:1776
	s_waitcnt vmcnt(2) lgkmcnt(1)
	v_mul_f64 v[32:33], v[2:3], v[20:21]
	v_mul_f64 v[20:21], v[4:5], v[20:21]
	s_waitcnt vmcnt(1) lgkmcnt(0)
	v_mul_f64 v[16:17], v[6:7], v[24:25]
	v_mul_f64 v[24:25], v[8:9], v[24:25]
	v_add_f64 v[10:11], v[12:13], v[10:11]
	v_add_f64 v[12:13], v[30:31], v[34:35]
	v_fma_f64 v[4:5], v[4:5], v[18:19], v[32:33]
	v_fma_f64 v[1:2], v[2:3], v[18:19], -v[20:21]
	v_fma_f64 v[8:9], v[8:9], v[22:23], v[16:17]
	v_fma_f64 v[6:7], v[6:7], v[22:23], -v[24:25]
	v_add_f64 v[10:11], v[10:11], v[14:15]
	v_add_f64 v[12:13], v[12:13], v[36:37]
	s_delay_alu instid0(VALU_DEP_2) | instskip(NEXT) | instid1(VALU_DEP_2)
	v_add_f64 v[1:2], v[10:11], v[1:2]
	v_add_f64 v[3:4], v[12:13], v[4:5]
	s_delay_alu instid0(VALU_DEP_2) | instskip(NEXT) | instid1(VALU_DEP_2)
	v_add_f64 v[1:2], v[1:2], v[6:7]
	v_add_f64 v[3:4], v[3:4], v[8:9]
	s_waitcnt vmcnt(0)
	s_delay_alu instid0(VALU_DEP_2) | instskip(NEXT) | instid1(VALU_DEP_2)
	v_add_f64 v[1:2], v[26:27], -v[1:2]
	v_add_f64 v[3:4], v[28:29], -v[3:4]
	scratch_store_b128 off, v[1:4], off offset:304
	v_cmpx_lt_u32_e32 18, v154
	s_cbranch_execz .LBB119_313
; %bb.312:
	scratch_load_b128 v[1:4], v192, off
	v_mov_b32_e32 v5, 0
	s_delay_alu instid0(VALU_DEP_1)
	v_mov_b32_e32 v6, v5
	v_mov_b32_e32 v7, v5
	v_mov_b32_e32 v8, v5
	scratch_store_b128 off, v[5:8], off offset:288
	s_waitcnt vmcnt(0)
	ds_store_b128 v210, v[1:4]
.LBB119_313:
	s_or_b32 exec_lo, exec_lo, s2
	s_waitcnt lgkmcnt(0)
	s_waitcnt_vscnt null, 0x0
	s_barrier
	buffer_gl0_inv
	s_clause 0x7
	scratch_load_b128 v[2:5], off, off offset:304
	scratch_load_b128 v[6:9], off, off offset:320
	;; [unrolled: 1-line block ×8, first 2 shown]
	v_mov_b32_e32 v1, 0
	s_clause 0x1
	scratch_load_b128 v[34:37], off, off offset:432
	scratch_load_b128 v[171:174], off, off offset:448
	s_mov_b32 s2, exec_lo
	ds_load_b128 v[38:41], v1 offset:1200
	ds_load_b128 v[167:170], v1 offset:1216
	s_waitcnt vmcnt(9) lgkmcnt(1)
	v_mul_f64 v[44:45], v[40:41], v[4:5]
	v_mul_f64 v[4:5], v[38:39], v[4:5]
	s_waitcnt vmcnt(8) lgkmcnt(0)
	v_mul_f64 v[46:47], v[167:168], v[8:9]
	v_mul_f64 v[8:9], v[169:170], v[8:9]
	s_delay_alu instid0(VALU_DEP_4) | instskip(NEXT) | instid1(VALU_DEP_4)
	v_fma_f64 v[44:45], v[38:39], v[2:3], -v[44:45]
	v_fma_f64 v[48:49], v[40:41], v[2:3], v[4:5]
	ds_load_b128 v[2:5], v1 offset:1232
	scratch_load_b128 v[38:41], off, off offset:464
	v_fma_f64 v[46:47], v[169:170], v[6:7], v[46:47]
	v_fma_f64 v[175:176], v[167:168], v[6:7], -v[8:9]
	scratch_load_b128 v[167:170], off, off offset:480
	ds_load_b128 v[6:9], v1 offset:1248
	s_waitcnt vmcnt(9) lgkmcnt(1)
	v_mul_f64 v[156:157], v[2:3], v[12:13]
	v_mul_f64 v[12:13], v[4:5], v[12:13]
	s_waitcnt vmcnt(8) lgkmcnt(0)
	v_mul_f64 v[177:178], v[6:7], v[16:17]
	v_mul_f64 v[16:17], v[8:9], v[16:17]
	v_add_f64 v[44:45], v[44:45], 0
	v_add_f64 v[48:49], v[48:49], 0
	v_fma_f64 v[156:157], v[4:5], v[10:11], v[156:157]
	v_fma_f64 v[179:180], v[2:3], v[10:11], -v[12:13]
	ds_load_b128 v[2:5], v1 offset:1264
	scratch_load_b128 v[10:13], off, off offset:496
	v_add_f64 v[44:45], v[44:45], v[175:176]
	v_add_f64 v[46:47], v[48:49], v[46:47]
	v_fma_f64 v[175:176], v[8:9], v[14:15], v[177:178]
	v_fma_f64 v[177:178], v[6:7], v[14:15], -v[16:17]
	scratch_load_b128 v[14:17], off, off offset:512
	ds_load_b128 v[6:9], v1 offset:1280
	s_waitcnt vmcnt(9) lgkmcnt(1)
	v_mul_f64 v[48:49], v[2:3], v[20:21]
	v_mul_f64 v[20:21], v[4:5], v[20:21]
	v_add_f64 v[44:45], v[44:45], v[179:180]
	v_add_f64 v[46:47], v[46:47], v[156:157]
	s_waitcnt vmcnt(8) lgkmcnt(0)
	v_mul_f64 v[156:157], v[6:7], v[24:25]
	v_mul_f64 v[24:25], v[8:9], v[24:25]
	v_fma_f64 v[48:49], v[4:5], v[18:19], v[48:49]
	v_fma_f64 v[179:180], v[2:3], v[18:19], -v[20:21]
	ds_load_b128 v[2:5], v1 offset:1296
	scratch_load_b128 v[18:21], off, off offset:528
	v_add_f64 v[44:45], v[44:45], v[177:178]
	v_add_f64 v[46:47], v[46:47], v[175:176]
	v_fma_f64 v[156:157], v[8:9], v[22:23], v[156:157]
	v_fma_f64 v[177:178], v[6:7], v[22:23], -v[24:25]
	scratch_load_b128 v[22:25], off, off offset:544
	ds_load_b128 v[6:9], v1 offset:1312
	s_waitcnt vmcnt(9) lgkmcnt(1)
	v_mul_f64 v[175:176], v[2:3], v[28:29]
	v_mul_f64 v[28:29], v[4:5], v[28:29]
	v_add_f64 v[44:45], v[44:45], v[179:180]
	v_add_f64 v[46:47], v[46:47], v[48:49]
	s_waitcnt vmcnt(8) lgkmcnt(0)
	v_mul_f64 v[48:49], v[6:7], v[32:33]
	v_mul_f64 v[32:33], v[8:9], v[32:33]
	;; [unrolled: 18-line block ×8, first 2 shown]
	v_fma_f64 v[175:176], v[4:5], v[34:35], v[175:176]
	v_fma_f64 v[179:180], v[2:3], v[34:35], -v[36:37]
	ds_load_b128 v[2:5], v1 offset:1520
	scratch_load_b128 v[34:37], off, off offset:752
	v_add_f64 v[44:45], v[44:45], v[177:178]
	v_add_f64 v[46:47], v[46:47], v[156:157]
	v_fma_f64 v[48:49], v[8:9], v[171:172], v[48:49]
	v_fma_f64 v[177:178], v[6:7], v[171:172], -v[173:174]
	ds_load_b128 v[6:9], v1 offset:1536
	s_waitcnt vmcnt(8) lgkmcnt(1)
	v_mul_f64 v[156:157], v[2:3], v[40:41]
	v_mul_f64 v[40:41], v[4:5], v[40:41]
	scratch_load_b128 v[171:174], off, off offset:768
	v_add_f64 v[44:45], v[44:45], v[179:180]
	v_add_f64 v[46:47], v[46:47], v[175:176]
	s_waitcnt vmcnt(8) lgkmcnt(0)
	v_mul_f64 v[175:176], v[6:7], v[169:170]
	v_mul_f64 v[169:170], v[8:9], v[169:170]
	v_fma_f64 v[156:157], v[4:5], v[38:39], v[156:157]
	v_fma_f64 v[179:180], v[2:3], v[38:39], -v[40:41]
	ds_load_b128 v[2:5], v1 offset:1552
	scratch_load_b128 v[38:41], off, off offset:784
	v_add_f64 v[44:45], v[44:45], v[177:178]
	v_add_f64 v[46:47], v[46:47], v[48:49]
	v_fma_f64 v[175:176], v[8:9], v[167:168], v[175:176]
	v_fma_f64 v[177:178], v[6:7], v[167:168], -v[169:170]
	ds_load_b128 v[6:9], v1 offset:1568
	s_waitcnt vmcnt(8) lgkmcnt(1)
	v_mul_f64 v[48:49], v[2:3], v[12:13]
	v_mul_f64 v[12:13], v[4:5], v[12:13]
	scratch_load_b128 v[167:170], off, off offset:800
	v_add_f64 v[44:45], v[44:45], v[179:180]
	v_add_f64 v[46:47], v[46:47], v[156:157]
	s_waitcnt vmcnt(8) lgkmcnt(0)
	v_mul_f64 v[156:157], v[6:7], v[16:17]
	v_mul_f64 v[16:17], v[8:9], v[16:17]
	v_fma_f64 v[48:49], v[4:5], v[10:11], v[48:49]
	v_fma_f64 v[179:180], v[2:3], v[10:11], -v[12:13]
	scratch_load_b128 v[10:13], off, off offset:816
	ds_load_b128 v[2:5], v1 offset:1584
	v_add_f64 v[44:45], v[44:45], v[177:178]
	v_add_f64 v[46:47], v[46:47], v[175:176]
	v_fma_f64 v[156:157], v[8:9], v[14:15], v[156:157]
	v_fma_f64 v[177:178], v[6:7], v[14:15], -v[16:17]
	ds_load_b128 v[6:9], v1 offset:1600
	s_waitcnt vmcnt(8) lgkmcnt(1)
	v_mul_f64 v[175:176], v[2:3], v[20:21]
	v_mul_f64 v[20:21], v[4:5], v[20:21]
	scratch_load_b128 v[14:17], off, off offset:832
	v_add_f64 v[44:45], v[44:45], v[179:180]
	v_add_f64 v[46:47], v[46:47], v[48:49]
	s_waitcnt vmcnt(8) lgkmcnt(0)
	v_mul_f64 v[48:49], v[6:7], v[24:25]
	v_mul_f64 v[24:25], v[8:9], v[24:25]
	v_fma_f64 v[175:176], v[4:5], v[18:19], v[175:176]
	v_fma_f64 v[179:180], v[2:3], v[18:19], -v[20:21]
	scratch_load_b128 v[18:21], off, off offset:848
	ds_load_b128 v[2:5], v1 offset:1616
	v_add_f64 v[44:45], v[44:45], v[177:178]
	v_add_f64 v[46:47], v[46:47], v[156:157]
	v_fma_f64 v[48:49], v[8:9], v[22:23], v[48:49]
	v_fma_f64 v[177:178], v[6:7], v[22:23], -v[24:25]
	ds_load_b128 v[6:9], v1 offset:1632
	s_waitcnt vmcnt(8) lgkmcnt(1)
	v_mul_f64 v[156:157], v[2:3], v[28:29]
	v_mul_f64 v[28:29], v[4:5], v[28:29]
	scratch_load_b128 v[22:25], off, off offset:864
	v_add_f64 v[44:45], v[44:45], v[179:180]
	v_add_f64 v[46:47], v[46:47], v[175:176]
	s_waitcnt vmcnt(8) lgkmcnt(0)
	v_mul_f64 v[175:176], v[6:7], v[32:33]
	v_mul_f64 v[32:33], v[8:9], v[32:33]
	v_fma_f64 v[156:157], v[4:5], v[26:27], v[156:157]
	v_fma_f64 v[179:180], v[2:3], v[26:27], -v[28:29]
	scratch_load_b128 v[26:29], off, off offset:880
	ds_load_b128 v[2:5], v1 offset:1648
	v_add_f64 v[44:45], v[44:45], v[177:178]
	v_add_f64 v[46:47], v[46:47], v[48:49]
	v_fma_f64 v[175:176], v[8:9], v[30:31], v[175:176]
	v_fma_f64 v[30:31], v[6:7], v[30:31], -v[32:33]
	ds_load_b128 v[6:9], v1 offset:1664
	s_waitcnt vmcnt(8) lgkmcnt(1)
	v_mul_f64 v[48:49], v[2:3], v[36:37]
	v_mul_f64 v[36:37], v[4:5], v[36:37]
	v_add_f64 v[32:33], v[44:45], v[179:180]
	v_add_f64 v[44:45], v[46:47], v[156:157]
	s_delay_alu instid0(VALU_DEP_4) | instskip(NEXT) | instid1(VALU_DEP_4)
	v_fma_f64 v[48:49], v[4:5], v[34:35], v[48:49]
	v_fma_f64 v[34:35], v[2:3], v[34:35], -v[36:37]
	ds_load_b128 v[2:5], v1 offset:1680
	v_add_f64 v[30:31], v[32:33], v[30:31]
	v_add_f64 v[32:33], v[44:45], v[175:176]
	s_delay_alu instid0(VALU_DEP_2) | instskip(NEXT) | instid1(VALU_DEP_2)
	v_add_f64 v[34:35], v[30:31], v[34:35]
	v_add_f64 v[48:49], v[32:33], v[48:49]
	scratch_load_b128 v[30:33], off, off offset:288
	s_waitcnt vmcnt(8) lgkmcnt(1)
	v_mul_f64 v[46:47], v[6:7], v[173:174]
	v_mul_f64 v[156:157], v[8:9], v[173:174]
	s_delay_alu instid0(VALU_DEP_2) | instskip(NEXT) | instid1(VALU_DEP_2)
	v_fma_f64 v[44:45], v[8:9], v[171:172], v[46:47]
	v_fma_f64 v[46:47], v[6:7], v[171:172], -v[156:157]
	ds_load_b128 v[6:9], v1 offset:1696
	s_waitcnt vmcnt(7) lgkmcnt(1)
	v_mul_f64 v[36:37], v[2:3], v[40:41]
	v_mul_f64 v[40:41], v[4:5], v[40:41]
	s_waitcnt vmcnt(6) lgkmcnt(0)
	v_mul_f64 v[156:157], v[6:7], v[169:170]
	v_mul_f64 v[169:170], v[8:9], v[169:170]
	v_add_f64 v[34:35], v[34:35], v[46:47]
	v_fma_f64 v[36:37], v[4:5], v[38:39], v[36:37]
	v_fma_f64 v[38:39], v[2:3], v[38:39], -v[40:41]
	v_add_f64 v[40:41], v[48:49], v[44:45]
	ds_load_b128 v[2:5], v1 offset:1712
	v_fma_f64 v[46:47], v[8:9], v[167:168], v[156:157]
	v_fma_f64 v[48:49], v[6:7], v[167:168], -v[169:170]
	ds_load_b128 v[6:9], v1 offset:1728
	s_waitcnt vmcnt(5) lgkmcnt(1)
	v_mul_f64 v[44:45], v[2:3], v[12:13]
	v_mul_f64 v[12:13], v[4:5], v[12:13]
	v_add_f64 v[34:35], v[34:35], v[38:39]
	v_add_f64 v[36:37], v[40:41], v[36:37]
	s_waitcnt vmcnt(4) lgkmcnt(0)
	v_mul_f64 v[38:39], v[6:7], v[16:17]
	v_mul_f64 v[16:17], v[8:9], v[16:17]
	v_fma_f64 v[40:41], v[4:5], v[10:11], v[44:45]
	v_fma_f64 v[10:11], v[2:3], v[10:11], -v[12:13]
	ds_load_b128 v[2:5], v1 offset:1744
	v_add_f64 v[12:13], v[34:35], v[48:49]
	v_add_f64 v[34:35], v[36:37], v[46:47]
	v_fma_f64 v[38:39], v[8:9], v[14:15], v[38:39]
	v_fma_f64 v[14:15], v[6:7], v[14:15], -v[16:17]
	ds_load_b128 v[6:9], v1 offset:1760
	s_waitcnt vmcnt(3) lgkmcnt(1)
	v_mul_f64 v[36:37], v[2:3], v[20:21]
	v_mul_f64 v[20:21], v[4:5], v[20:21]
	s_waitcnt vmcnt(2) lgkmcnt(0)
	v_mul_f64 v[16:17], v[6:7], v[24:25]
	v_mul_f64 v[24:25], v[8:9], v[24:25]
	v_add_f64 v[10:11], v[12:13], v[10:11]
	v_add_f64 v[12:13], v[34:35], v[40:41]
	v_fma_f64 v[34:35], v[4:5], v[18:19], v[36:37]
	v_fma_f64 v[18:19], v[2:3], v[18:19], -v[20:21]
	ds_load_b128 v[2:5], v1 offset:1776
	v_fma_f64 v[8:9], v[8:9], v[22:23], v[16:17]
	v_fma_f64 v[6:7], v[6:7], v[22:23], -v[24:25]
	s_waitcnt vmcnt(1) lgkmcnt(0)
	v_mul_f64 v[20:21], v[4:5], v[28:29]
	v_add_f64 v[10:11], v[10:11], v[14:15]
	v_add_f64 v[12:13], v[12:13], v[38:39]
	v_mul_f64 v[14:15], v[2:3], v[28:29]
	s_delay_alu instid0(VALU_DEP_4) | instskip(NEXT) | instid1(VALU_DEP_4)
	v_fma_f64 v[2:3], v[2:3], v[26:27], -v[20:21]
	v_add_f64 v[10:11], v[10:11], v[18:19]
	s_delay_alu instid0(VALU_DEP_4) | instskip(NEXT) | instid1(VALU_DEP_4)
	v_add_f64 v[12:13], v[12:13], v[34:35]
	v_fma_f64 v[4:5], v[4:5], v[26:27], v[14:15]
	s_delay_alu instid0(VALU_DEP_3) | instskip(NEXT) | instid1(VALU_DEP_3)
	v_add_f64 v[6:7], v[10:11], v[6:7]
	v_add_f64 v[8:9], v[12:13], v[8:9]
	s_delay_alu instid0(VALU_DEP_2) | instskip(NEXT) | instid1(VALU_DEP_2)
	v_add_f64 v[2:3], v[6:7], v[2:3]
	v_add_f64 v[4:5], v[8:9], v[4:5]
	s_waitcnt vmcnt(0)
	s_delay_alu instid0(VALU_DEP_2) | instskip(NEXT) | instid1(VALU_DEP_2)
	v_add_f64 v[2:3], v[30:31], -v[2:3]
	v_add_f64 v[4:5], v[32:33], -v[4:5]
	scratch_store_b128 off, v[2:5], off offset:288
	v_cmpx_lt_u32_e32 17, v154
	s_cbranch_execz .LBB119_315
; %bb.314:
	scratch_load_b128 v[5:8], v193, off
	v_mov_b32_e32 v2, v1
	v_mov_b32_e32 v3, v1
	;; [unrolled: 1-line block ×3, first 2 shown]
	scratch_store_b128 off, v[1:4], off offset:272
	s_waitcnt vmcnt(0)
	ds_store_b128 v210, v[5:8]
.LBB119_315:
	s_or_b32 exec_lo, exec_lo, s2
	s_waitcnt lgkmcnt(0)
	s_waitcnt_vscnt null, 0x0
	s_barrier
	buffer_gl0_inv
	s_clause 0x7
	scratch_load_b128 v[2:5], off, off offset:288
	scratch_load_b128 v[6:9], off, off offset:304
	;; [unrolled: 1-line block ×8, first 2 shown]
	ds_load_b128 v[38:41], v1 offset:1184
	ds_load_b128 v[167:170], v1 offset:1200
	s_clause 0x1
	scratch_load_b128 v[34:37], off, off offset:416
	scratch_load_b128 v[171:174], off, off offset:432
	s_mov_b32 s2, exec_lo
	s_waitcnt vmcnt(9) lgkmcnt(1)
	v_mul_f64 v[44:45], v[40:41], v[4:5]
	v_mul_f64 v[4:5], v[38:39], v[4:5]
	s_waitcnt vmcnt(8) lgkmcnt(0)
	v_mul_f64 v[46:47], v[167:168], v[8:9]
	v_mul_f64 v[8:9], v[169:170], v[8:9]
	s_delay_alu instid0(VALU_DEP_4) | instskip(NEXT) | instid1(VALU_DEP_4)
	v_fma_f64 v[44:45], v[38:39], v[2:3], -v[44:45]
	v_fma_f64 v[48:49], v[40:41], v[2:3], v[4:5]
	ds_load_b128 v[2:5], v1 offset:1216
	scratch_load_b128 v[38:41], off, off offset:448
	v_fma_f64 v[46:47], v[169:170], v[6:7], v[46:47]
	v_fma_f64 v[175:176], v[167:168], v[6:7], -v[8:9]
	scratch_load_b128 v[167:170], off, off offset:464
	ds_load_b128 v[6:9], v1 offset:1232
	s_waitcnt vmcnt(9) lgkmcnt(1)
	v_mul_f64 v[156:157], v[2:3], v[12:13]
	v_mul_f64 v[12:13], v[4:5], v[12:13]
	s_waitcnt vmcnt(8) lgkmcnt(0)
	v_mul_f64 v[177:178], v[6:7], v[16:17]
	v_mul_f64 v[16:17], v[8:9], v[16:17]
	v_add_f64 v[44:45], v[44:45], 0
	v_add_f64 v[48:49], v[48:49], 0
	v_fma_f64 v[156:157], v[4:5], v[10:11], v[156:157]
	v_fma_f64 v[179:180], v[2:3], v[10:11], -v[12:13]
	ds_load_b128 v[2:5], v1 offset:1248
	scratch_load_b128 v[10:13], off, off offset:480
	v_add_f64 v[44:45], v[44:45], v[175:176]
	v_add_f64 v[46:47], v[48:49], v[46:47]
	v_fma_f64 v[175:176], v[8:9], v[14:15], v[177:178]
	v_fma_f64 v[177:178], v[6:7], v[14:15], -v[16:17]
	scratch_load_b128 v[14:17], off, off offset:496
	ds_load_b128 v[6:9], v1 offset:1264
	s_waitcnt vmcnt(9) lgkmcnt(1)
	v_mul_f64 v[48:49], v[2:3], v[20:21]
	v_mul_f64 v[20:21], v[4:5], v[20:21]
	v_add_f64 v[44:45], v[44:45], v[179:180]
	v_add_f64 v[46:47], v[46:47], v[156:157]
	s_waitcnt vmcnt(8) lgkmcnt(0)
	v_mul_f64 v[156:157], v[6:7], v[24:25]
	v_mul_f64 v[24:25], v[8:9], v[24:25]
	v_fma_f64 v[48:49], v[4:5], v[18:19], v[48:49]
	v_fma_f64 v[179:180], v[2:3], v[18:19], -v[20:21]
	ds_load_b128 v[2:5], v1 offset:1280
	scratch_load_b128 v[18:21], off, off offset:512
	v_add_f64 v[44:45], v[44:45], v[177:178]
	v_add_f64 v[46:47], v[46:47], v[175:176]
	v_fma_f64 v[156:157], v[8:9], v[22:23], v[156:157]
	v_fma_f64 v[177:178], v[6:7], v[22:23], -v[24:25]
	scratch_load_b128 v[22:25], off, off offset:528
	ds_load_b128 v[6:9], v1 offset:1296
	s_waitcnt vmcnt(9) lgkmcnt(1)
	v_mul_f64 v[175:176], v[2:3], v[28:29]
	v_mul_f64 v[28:29], v[4:5], v[28:29]
	v_add_f64 v[44:45], v[44:45], v[179:180]
	v_add_f64 v[46:47], v[46:47], v[48:49]
	s_waitcnt vmcnt(8) lgkmcnt(0)
	v_mul_f64 v[48:49], v[6:7], v[32:33]
	v_mul_f64 v[32:33], v[8:9], v[32:33]
	v_fma_f64 v[175:176], v[4:5], v[26:27], v[175:176]
	v_fma_f64 v[179:180], v[2:3], v[26:27], -v[28:29]
	ds_load_b128 v[2:5], v1 offset:1312
	scratch_load_b128 v[26:29], off, off offset:544
	v_add_f64 v[44:45], v[44:45], v[177:178]
	v_add_f64 v[46:47], v[46:47], v[156:157]
	v_fma_f64 v[48:49], v[8:9], v[30:31], v[48:49]
	v_fma_f64 v[177:178], v[6:7], v[30:31], -v[32:33]
	scratch_load_b128 v[30:33], off, off offset:560
	ds_load_b128 v[6:9], v1 offset:1328
	s_waitcnt vmcnt(9) lgkmcnt(1)
	v_mul_f64 v[156:157], v[2:3], v[36:37]
	v_mul_f64 v[36:37], v[4:5], v[36:37]
	v_add_f64 v[44:45], v[44:45], v[179:180]
	v_add_f64 v[46:47], v[46:47], v[175:176]
	s_waitcnt vmcnt(8) lgkmcnt(0)
	v_mul_f64 v[175:176], v[6:7], v[173:174]
	v_mul_f64 v[173:174], v[8:9], v[173:174]
	v_fma_f64 v[156:157], v[4:5], v[34:35], v[156:157]
	v_fma_f64 v[179:180], v[2:3], v[34:35], -v[36:37]
	ds_load_b128 v[2:5], v1 offset:1344
	scratch_load_b128 v[34:37], off, off offset:576
	v_add_f64 v[44:45], v[44:45], v[177:178]
	v_add_f64 v[46:47], v[46:47], v[48:49]
	v_fma_f64 v[175:176], v[8:9], v[171:172], v[175:176]
	v_fma_f64 v[177:178], v[6:7], v[171:172], -v[173:174]
	scratch_load_b128 v[171:174], off, off offset:592
	ds_load_b128 v[6:9], v1 offset:1360
	s_waitcnt vmcnt(9) lgkmcnt(1)
	v_mul_f64 v[48:49], v[2:3], v[40:41]
	v_mul_f64 v[40:41], v[4:5], v[40:41]
	v_add_f64 v[44:45], v[44:45], v[179:180]
	v_add_f64 v[46:47], v[46:47], v[156:157]
	s_waitcnt vmcnt(8) lgkmcnt(0)
	v_mul_f64 v[156:157], v[6:7], v[169:170]
	v_mul_f64 v[169:170], v[8:9], v[169:170]
	v_fma_f64 v[48:49], v[4:5], v[38:39], v[48:49]
	v_fma_f64 v[179:180], v[2:3], v[38:39], -v[40:41]
	ds_load_b128 v[2:5], v1 offset:1376
	scratch_load_b128 v[38:41], off, off offset:608
	v_add_f64 v[44:45], v[44:45], v[177:178]
	v_add_f64 v[46:47], v[46:47], v[175:176]
	v_fma_f64 v[156:157], v[8:9], v[167:168], v[156:157]
	v_fma_f64 v[177:178], v[6:7], v[167:168], -v[169:170]
	scratch_load_b128 v[167:170], off, off offset:624
	ds_load_b128 v[6:9], v1 offset:1392
	s_waitcnt vmcnt(9) lgkmcnt(1)
	v_mul_f64 v[175:176], v[2:3], v[12:13]
	v_mul_f64 v[12:13], v[4:5], v[12:13]
	v_add_f64 v[44:45], v[44:45], v[179:180]
	v_add_f64 v[46:47], v[46:47], v[48:49]
	s_waitcnt vmcnt(8) lgkmcnt(0)
	v_mul_f64 v[48:49], v[6:7], v[16:17]
	v_mul_f64 v[16:17], v[8:9], v[16:17]
	v_fma_f64 v[175:176], v[4:5], v[10:11], v[175:176]
	v_fma_f64 v[179:180], v[2:3], v[10:11], -v[12:13]
	ds_load_b128 v[2:5], v1 offset:1408
	scratch_load_b128 v[10:13], off, off offset:640
	v_add_f64 v[44:45], v[44:45], v[177:178]
	v_add_f64 v[46:47], v[46:47], v[156:157]
	v_fma_f64 v[48:49], v[8:9], v[14:15], v[48:49]
	v_fma_f64 v[177:178], v[6:7], v[14:15], -v[16:17]
	scratch_load_b128 v[14:17], off, off offset:656
	ds_load_b128 v[6:9], v1 offset:1424
	s_waitcnt vmcnt(9) lgkmcnt(1)
	v_mul_f64 v[156:157], v[2:3], v[20:21]
	v_mul_f64 v[20:21], v[4:5], v[20:21]
	v_add_f64 v[44:45], v[44:45], v[179:180]
	v_add_f64 v[46:47], v[46:47], v[175:176]
	s_waitcnt vmcnt(8) lgkmcnt(0)
	v_mul_f64 v[175:176], v[6:7], v[24:25]
	v_mul_f64 v[24:25], v[8:9], v[24:25]
	v_fma_f64 v[156:157], v[4:5], v[18:19], v[156:157]
	v_fma_f64 v[179:180], v[2:3], v[18:19], -v[20:21]
	ds_load_b128 v[2:5], v1 offset:1440
	scratch_load_b128 v[18:21], off, off offset:672
	v_add_f64 v[44:45], v[44:45], v[177:178]
	v_add_f64 v[46:47], v[46:47], v[48:49]
	v_fma_f64 v[175:176], v[8:9], v[22:23], v[175:176]
	v_fma_f64 v[177:178], v[6:7], v[22:23], -v[24:25]
	scratch_load_b128 v[22:25], off, off offset:688
	ds_load_b128 v[6:9], v1 offset:1456
	s_waitcnt vmcnt(9) lgkmcnt(1)
	v_mul_f64 v[48:49], v[2:3], v[28:29]
	v_mul_f64 v[28:29], v[4:5], v[28:29]
	v_add_f64 v[44:45], v[44:45], v[179:180]
	v_add_f64 v[46:47], v[46:47], v[156:157]
	s_waitcnt vmcnt(8) lgkmcnt(0)
	v_mul_f64 v[156:157], v[6:7], v[32:33]
	v_mul_f64 v[32:33], v[8:9], v[32:33]
	v_fma_f64 v[48:49], v[4:5], v[26:27], v[48:49]
	v_fma_f64 v[179:180], v[2:3], v[26:27], -v[28:29]
	ds_load_b128 v[2:5], v1 offset:1472
	scratch_load_b128 v[26:29], off, off offset:704
	v_add_f64 v[44:45], v[44:45], v[177:178]
	v_add_f64 v[46:47], v[46:47], v[175:176]
	v_fma_f64 v[156:157], v[8:9], v[30:31], v[156:157]
	v_fma_f64 v[177:178], v[6:7], v[30:31], -v[32:33]
	scratch_load_b128 v[30:33], off, off offset:720
	ds_load_b128 v[6:9], v1 offset:1488
	s_waitcnt vmcnt(9) lgkmcnt(1)
	v_mul_f64 v[175:176], v[2:3], v[36:37]
	v_mul_f64 v[36:37], v[4:5], v[36:37]
	v_add_f64 v[44:45], v[44:45], v[179:180]
	v_add_f64 v[46:47], v[46:47], v[48:49]
	s_waitcnt vmcnt(8) lgkmcnt(0)
	v_mul_f64 v[48:49], v[6:7], v[173:174]
	v_mul_f64 v[173:174], v[8:9], v[173:174]
	v_fma_f64 v[175:176], v[4:5], v[34:35], v[175:176]
	v_fma_f64 v[179:180], v[2:3], v[34:35], -v[36:37]
	ds_load_b128 v[2:5], v1 offset:1504
	scratch_load_b128 v[34:37], off, off offset:736
	v_add_f64 v[44:45], v[44:45], v[177:178]
	v_add_f64 v[46:47], v[46:47], v[156:157]
	v_fma_f64 v[48:49], v[8:9], v[171:172], v[48:49]
	v_fma_f64 v[177:178], v[6:7], v[171:172], -v[173:174]
	scratch_load_b128 v[171:174], off, off offset:752
	ds_load_b128 v[6:9], v1 offset:1520
	s_waitcnt vmcnt(9) lgkmcnt(1)
	v_mul_f64 v[156:157], v[2:3], v[40:41]
	v_mul_f64 v[40:41], v[4:5], v[40:41]
	v_add_f64 v[44:45], v[44:45], v[179:180]
	v_add_f64 v[46:47], v[46:47], v[175:176]
	s_waitcnt vmcnt(8) lgkmcnt(0)
	v_mul_f64 v[175:176], v[6:7], v[169:170]
	v_mul_f64 v[169:170], v[8:9], v[169:170]
	v_fma_f64 v[156:157], v[4:5], v[38:39], v[156:157]
	v_fma_f64 v[179:180], v[2:3], v[38:39], -v[40:41]
	ds_load_b128 v[2:5], v1 offset:1536
	scratch_load_b128 v[38:41], off, off offset:768
	v_add_f64 v[44:45], v[44:45], v[177:178]
	v_add_f64 v[46:47], v[46:47], v[48:49]
	v_fma_f64 v[175:176], v[8:9], v[167:168], v[175:176]
	v_fma_f64 v[177:178], v[6:7], v[167:168], -v[169:170]
	ds_load_b128 v[6:9], v1 offset:1552
	s_waitcnt vmcnt(8) lgkmcnt(1)
	v_mul_f64 v[48:49], v[2:3], v[12:13]
	v_mul_f64 v[12:13], v[4:5], v[12:13]
	scratch_load_b128 v[167:170], off, off offset:784
	v_add_f64 v[44:45], v[44:45], v[179:180]
	v_add_f64 v[46:47], v[46:47], v[156:157]
	s_waitcnt vmcnt(8) lgkmcnt(0)
	v_mul_f64 v[156:157], v[6:7], v[16:17]
	v_mul_f64 v[16:17], v[8:9], v[16:17]
	v_fma_f64 v[48:49], v[4:5], v[10:11], v[48:49]
	v_fma_f64 v[179:180], v[2:3], v[10:11], -v[12:13]
	ds_load_b128 v[2:5], v1 offset:1568
	scratch_load_b128 v[10:13], off, off offset:800
	v_add_f64 v[44:45], v[44:45], v[177:178]
	v_add_f64 v[46:47], v[46:47], v[175:176]
	v_fma_f64 v[156:157], v[8:9], v[14:15], v[156:157]
	v_fma_f64 v[177:178], v[6:7], v[14:15], -v[16:17]
	ds_load_b128 v[6:9], v1 offset:1584
	s_waitcnt vmcnt(8) lgkmcnt(1)
	v_mul_f64 v[175:176], v[2:3], v[20:21]
	v_mul_f64 v[20:21], v[4:5], v[20:21]
	scratch_load_b128 v[14:17], off, off offset:816
	v_add_f64 v[44:45], v[44:45], v[179:180]
	v_add_f64 v[46:47], v[46:47], v[48:49]
	s_waitcnt vmcnt(8) lgkmcnt(0)
	v_mul_f64 v[48:49], v[6:7], v[24:25]
	v_mul_f64 v[24:25], v[8:9], v[24:25]
	v_fma_f64 v[175:176], v[4:5], v[18:19], v[175:176]
	v_fma_f64 v[179:180], v[2:3], v[18:19], -v[20:21]
	scratch_load_b128 v[18:21], off, off offset:832
	ds_load_b128 v[2:5], v1 offset:1600
	v_add_f64 v[44:45], v[44:45], v[177:178]
	v_add_f64 v[46:47], v[46:47], v[156:157]
	v_fma_f64 v[48:49], v[8:9], v[22:23], v[48:49]
	v_fma_f64 v[177:178], v[6:7], v[22:23], -v[24:25]
	ds_load_b128 v[6:9], v1 offset:1616
	s_waitcnt vmcnt(8) lgkmcnt(1)
	v_mul_f64 v[156:157], v[2:3], v[28:29]
	v_mul_f64 v[28:29], v[4:5], v[28:29]
	scratch_load_b128 v[22:25], off, off offset:848
	v_add_f64 v[44:45], v[44:45], v[179:180]
	v_add_f64 v[46:47], v[46:47], v[175:176]
	s_waitcnt vmcnt(8) lgkmcnt(0)
	v_mul_f64 v[175:176], v[6:7], v[32:33]
	v_mul_f64 v[32:33], v[8:9], v[32:33]
	v_fma_f64 v[156:157], v[4:5], v[26:27], v[156:157]
	v_fma_f64 v[179:180], v[2:3], v[26:27], -v[28:29]
	scratch_load_b128 v[26:29], off, off offset:864
	ds_load_b128 v[2:5], v1 offset:1632
	v_add_f64 v[44:45], v[44:45], v[177:178]
	v_add_f64 v[46:47], v[46:47], v[48:49]
	v_fma_f64 v[175:176], v[8:9], v[30:31], v[175:176]
	v_fma_f64 v[177:178], v[6:7], v[30:31], -v[32:33]
	ds_load_b128 v[6:9], v1 offset:1648
	s_waitcnt vmcnt(8) lgkmcnt(1)
	v_mul_f64 v[48:49], v[2:3], v[36:37]
	v_mul_f64 v[36:37], v[4:5], v[36:37]
	scratch_load_b128 v[30:33], off, off offset:880
	v_add_f64 v[44:45], v[44:45], v[179:180]
	v_add_f64 v[46:47], v[46:47], v[156:157]
	s_waitcnt vmcnt(8) lgkmcnt(0)
	v_mul_f64 v[156:157], v[6:7], v[173:174]
	v_mul_f64 v[173:174], v[8:9], v[173:174]
	v_fma_f64 v[48:49], v[4:5], v[34:35], v[48:49]
	v_fma_f64 v[34:35], v[2:3], v[34:35], -v[36:37]
	ds_load_b128 v[2:5], v1 offset:1664
	v_add_f64 v[36:37], v[44:45], v[177:178]
	v_add_f64 v[44:45], v[46:47], v[175:176]
	v_fma_f64 v[156:157], v[8:9], v[171:172], v[156:157]
	v_fma_f64 v[171:172], v[6:7], v[171:172], -v[173:174]
	ds_load_b128 v[6:9], v1 offset:1680
	s_waitcnt vmcnt(7) lgkmcnt(1)
	v_mul_f64 v[46:47], v[2:3], v[40:41]
	v_mul_f64 v[40:41], v[4:5], v[40:41]
	v_add_f64 v[34:35], v[36:37], v[34:35]
	v_add_f64 v[36:37], v[44:45], v[48:49]
	s_delay_alu instid0(VALU_DEP_4) | instskip(NEXT) | instid1(VALU_DEP_4)
	v_fma_f64 v[46:47], v[4:5], v[38:39], v[46:47]
	v_fma_f64 v[38:39], v[2:3], v[38:39], -v[40:41]
	ds_load_b128 v[2:5], v1 offset:1696
	v_add_f64 v[40:41], v[34:35], v[171:172]
	v_add_f64 v[156:157], v[36:37], v[156:157]
	scratch_load_b128 v[34:37], off, off offset:272
	s_waitcnt vmcnt(7) lgkmcnt(1)
	v_mul_f64 v[44:45], v[6:7], v[169:170]
	v_mul_f64 v[48:49], v[8:9], v[169:170]
	v_add_f64 v[38:39], v[40:41], v[38:39]
	v_add_f64 v[40:41], v[156:157], v[46:47]
	s_delay_alu instid0(VALU_DEP_4) | instskip(NEXT) | instid1(VALU_DEP_4)
	v_fma_f64 v[44:45], v[8:9], v[167:168], v[44:45]
	v_fma_f64 v[48:49], v[6:7], v[167:168], -v[48:49]
	ds_load_b128 v[6:9], v1 offset:1712
	s_waitcnt vmcnt(6) lgkmcnt(1)
	v_mul_f64 v[169:170], v[2:3], v[12:13]
	v_mul_f64 v[12:13], v[4:5], v[12:13]
	s_waitcnt vmcnt(5) lgkmcnt(0)
	v_mul_f64 v[46:47], v[6:7], v[16:17]
	v_mul_f64 v[16:17], v[8:9], v[16:17]
	s_delay_alu instid0(VALU_DEP_4) | instskip(NEXT) | instid1(VALU_DEP_4)
	v_fma_f64 v[156:157], v[4:5], v[10:11], v[169:170]
	v_fma_f64 v[10:11], v[2:3], v[10:11], -v[12:13]
	v_add_f64 v[12:13], v[38:39], v[48:49]
	v_add_f64 v[38:39], v[40:41], v[44:45]
	ds_load_b128 v[2:5], v1 offset:1728
	v_fma_f64 v[44:45], v[8:9], v[14:15], v[46:47]
	v_fma_f64 v[14:15], v[6:7], v[14:15], -v[16:17]
	ds_load_b128 v[6:9], v1 offset:1744
	s_waitcnt vmcnt(4) lgkmcnt(1)
	v_mul_f64 v[40:41], v[2:3], v[20:21]
	v_mul_f64 v[20:21], v[4:5], v[20:21]
	v_add_f64 v[10:11], v[12:13], v[10:11]
	v_add_f64 v[12:13], v[38:39], v[156:157]
	s_waitcnt vmcnt(3) lgkmcnt(0)
	v_mul_f64 v[16:17], v[6:7], v[24:25]
	v_mul_f64 v[24:25], v[8:9], v[24:25]
	v_fma_f64 v[38:39], v[4:5], v[18:19], v[40:41]
	v_fma_f64 v[18:19], v[2:3], v[18:19], -v[20:21]
	ds_load_b128 v[2:5], v1 offset:1760
	v_add_f64 v[10:11], v[10:11], v[14:15]
	v_add_f64 v[12:13], v[12:13], v[44:45]
	v_fma_f64 v[16:17], v[8:9], v[22:23], v[16:17]
	v_fma_f64 v[22:23], v[6:7], v[22:23], -v[24:25]
	ds_load_b128 v[6:9], v1 offset:1776
	s_waitcnt vmcnt(2) lgkmcnt(1)
	v_mul_f64 v[14:15], v[2:3], v[28:29]
	v_mul_f64 v[20:21], v[4:5], v[28:29]
	s_waitcnt vmcnt(1) lgkmcnt(0)
	v_mul_f64 v[24:25], v[8:9], v[32:33]
	v_add_f64 v[10:11], v[10:11], v[18:19]
	v_add_f64 v[12:13], v[12:13], v[38:39]
	v_mul_f64 v[18:19], v[6:7], v[32:33]
	v_fma_f64 v[4:5], v[4:5], v[26:27], v[14:15]
	v_fma_f64 v[1:2], v[2:3], v[26:27], -v[20:21]
	v_fma_f64 v[6:7], v[6:7], v[30:31], -v[24:25]
	v_add_f64 v[10:11], v[10:11], v[22:23]
	v_add_f64 v[12:13], v[12:13], v[16:17]
	v_fma_f64 v[8:9], v[8:9], v[30:31], v[18:19]
	s_delay_alu instid0(VALU_DEP_3) | instskip(NEXT) | instid1(VALU_DEP_3)
	v_add_f64 v[1:2], v[10:11], v[1:2]
	v_add_f64 v[3:4], v[12:13], v[4:5]
	s_delay_alu instid0(VALU_DEP_2) | instskip(NEXT) | instid1(VALU_DEP_2)
	v_add_f64 v[1:2], v[1:2], v[6:7]
	v_add_f64 v[3:4], v[3:4], v[8:9]
	s_waitcnt vmcnt(0)
	s_delay_alu instid0(VALU_DEP_2) | instskip(NEXT) | instid1(VALU_DEP_2)
	v_add_f64 v[1:2], v[34:35], -v[1:2]
	v_add_f64 v[3:4], v[36:37], -v[3:4]
	scratch_store_b128 off, v[1:4], off offset:272
	v_cmpx_lt_u32_e32 16, v154
	s_cbranch_execz .LBB119_317
; %bb.316:
	scratch_load_b128 v[1:4], v194, off
	v_mov_b32_e32 v5, 0
	s_delay_alu instid0(VALU_DEP_1)
	v_mov_b32_e32 v6, v5
	v_mov_b32_e32 v7, v5
	;; [unrolled: 1-line block ×3, first 2 shown]
	scratch_store_b128 off, v[5:8], off offset:256
	s_waitcnt vmcnt(0)
	ds_store_b128 v210, v[1:4]
.LBB119_317:
	s_or_b32 exec_lo, exec_lo, s2
	s_waitcnt lgkmcnt(0)
	s_waitcnt_vscnt null, 0x0
	s_barrier
	buffer_gl0_inv
	s_clause 0x7
	scratch_load_b128 v[2:5], off, off offset:272
	scratch_load_b128 v[6:9], off, off offset:288
	;; [unrolled: 1-line block ×8, first 2 shown]
	v_mov_b32_e32 v1, 0
	s_clause 0x1
	scratch_load_b128 v[34:37], off, off offset:400
	scratch_load_b128 v[171:174], off, off offset:416
	s_mov_b32 s2, exec_lo
	ds_load_b128 v[38:41], v1 offset:1168
	ds_load_b128 v[167:170], v1 offset:1184
	s_waitcnt vmcnt(9) lgkmcnt(1)
	v_mul_f64 v[44:45], v[40:41], v[4:5]
	v_mul_f64 v[4:5], v[38:39], v[4:5]
	s_waitcnt vmcnt(8) lgkmcnt(0)
	v_mul_f64 v[46:47], v[167:168], v[8:9]
	v_mul_f64 v[8:9], v[169:170], v[8:9]
	s_delay_alu instid0(VALU_DEP_4) | instskip(NEXT) | instid1(VALU_DEP_4)
	v_fma_f64 v[44:45], v[38:39], v[2:3], -v[44:45]
	v_fma_f64 v[48:49], v[40:41], v[2:3], v[4:5]
	ds_load_b128 v[2:5], v1 offset:1200
	scratch_load_b128 v[38:41], off, off offset:432
	v_fma_f64 v[46:47], v[169:170], v[6:7], v[46:47]
	v_fma_f64 v[175:176], v[167:168], v[6:7], -v[8:9]
	scratch_load_b128 v[167:170], off, off offset:448
	ds_load_b128 v[6:9], v1 offset:1216
	s_waitcnt vmcnt(9) lgkmcnt(1)
	v_mul_f64 v[156:157], v[2:3], v[12:13]
	v_mul_f64 v[12:13], v[4:5], v[12:13]
	s_waitcnt vmcnt(8) lgkmcnt(0)
	v_mul_f64 v[177:178], v[6:7], v[16:17]
	v_mul_f64 v[16:17], v[8:9], v[16:17]
	v_add_f64 v[44:45], v[44:45], 0
	v_add_f64 v[48:49], v[48:49], 0
	v_fma_f64 v[156:157], v[4:5], v[10:11], v[156:157]
	v_fma_f64 v[179:180], v[2:3], v[10:11], -v[12:13]
	ds_load_b128 v[2:5], v1 offset:1232
	scratch_load_b128 v[10:13], off, off offset:464
	v_add_f64 v[44:45], v[44:45], v[175:176]
	v_add_f64 v[46:47], v[48:49], v[46:47]
	v_fma_f64 v[175:176], v[8:9], v[14:15], v[177:178]
	v_fma_f64 v[177:178], v[6:7], v[14:15], -v[16:17]
	scratch_load_b128 v[14:17], off, off offset:480
	ds_load_b128 v[6:9], v1 offset:1248
	s_waitcnt vmcnt(9) lgkmcnt(1)
	v_mul_f64 v[48:49], v[2:3], v[20:21]
	v_mul_f64 v[20:21], v[4:5], v[20:21]
	v_add_f64 v[44:45], v[44:45], v[179:180]
	v_add_f64 v[46:47], v[46:47], v[156:157]
	s_waitcnt vmcnt(8) lgkmcnt(0)
	v_mul_f64 v[156:157], v[6:7], v[24:25]
	v_mul_f64 v[24:25], v[8:9], v[24:25]
	v_fma_f64 v[48:49], v[4:5], v[18:19], v[48:49]
	v_fma_f64 v[179:180], v[2:3], v[18:19], -v[20:21]
	ds_load_b128 v[2:5], v1 offset:1264
	scratch_load_b128 v[18:21], off, off offset:496
	v_add_f64 v[44:45], v[44:45], v[177:178]
	v_add_f64 v[46:47], v[46:47], v[175:176]
	v_fma_f64 v[156:157], v[8:9], v[22:23], v[156:157]
	v_fma_f64 v[177:178], v[6:7], v[22:23], -v[24:25]
	scratch_load_b128 v[22:25], off, off offset:512
	ds_load_b128 v[6:9], v1 offset:1280
	s_waitcnt vmcnt(9) lgkmcnt(1)
	v_mul_f64 v[175:176], v[2:3], v[28:29]
	v_mul_f64 v[28:29], v[4:5], v[28:29]
	v_add_f64 v[44:45], v[44:45], v[179:180]
	v_add_f64 v[46:47], v[46:47], v[48:49]
	s_waitcnt vmcnt(8) lgkmcnt(0)
	v_mul_f64 v[48:49], v[6:7], v[32:33]
	v_mul_f64 v[32:33], v[8:9], v[32:33]
	;; [unrolled: 18-line block ×10, first 2 shown]
	v_fma_f64 v[48:49], v[4:5], v[10:11], v[48:49]
	v_fma_f64 v[179:180], v[2:3], v[10:11], -v[12:13]
	ds_load_b128 v[2:5], v1 offset:1552
	scratch_load_b128 v[10:13], off, off offset:784
	v_add_f64 v[44:45], v[44:45], v[177:178]
	v_add_f64 v[46:47], v[46:47], v[175:176]
	v_fma_f64 v[156:157], v[8:9], v[14:15], v[156:157]
	v_fma_f64 v[177:178], v[6:7], v[14:15], -v[16:17]
	ds_load_b128 v[6:9], v1 offset:1568
	s_waitcnt vmcnt(8) lgkmcnt(1)
	v_mul_f64 v[175:176], v[2:3], v[20:21]
	v_mul_f64 v[20:21], v[4:5], v[20:21]
	scratch_load_b128 v[14:17], off, off offset:800
	v_add_f64 v[44:45], v[44:45], v[179:180]
	v_add_f64 v[46:47], v[46:47], v[48:49]
	s_waitcnt vmcnt(8) lgkmcnt(0)
	v_mul_f64 v[48:49], v[6:7], v[24:25]
	v_mul_f64 v[24:25], v[8:9], v[24:25]
	v_fma_f64 v[175:176], v[4:5], v[18:19], v[175:176]
	v_fma_f64 v[179:180], v[2:3], v[18:19], -v[20:21]
	scratch_load_b128 v[18:21], off, off offset:816
	ds_load_b128 v[2:5], v1 offset:1584
	v_add_f64 v[44:45], v[44:45], v[177:178]
	v_add_f64 v[46:47], v[46:47], v[156:157]
	v_fma_f64 v[48:49], v[8:9], v[22:23], v[48:49]
	v_fma_f64 v[177:178], v[6:7], v[22:23], -v[24:25]
	ds_load_b128 v[6:9], v1 offset:1600
	s_waitcnt vmcnt(8) lgkmcnt(1)
	v_mul_f64 v[156:157], v[2:3], v[28:29]
	v_mul_f64 v[28:29], v[4:5], v[28:29]
	scratch_load_b128 v[22:25], off, off offset:832
	v_add_f64 v[44:45], v[44:45], v[179:180]
	v_add_f64 v[46:47], v[46:47], v[175:176]
	s_waitcnt vmcnt(8) lgkmcnt(0)
	v_mul_f64 v[175:176], v[6:7], v[32:33]
	v_mul_f64 v[32:33], v[8:9], v[32:33]
	v_fma_f64 v[156:157], v[4:5], v[26:27], v[156:157]
	v_fma_f64 v[179:180], v[2:3], v[26:27], -v[28:29]
	scratch_load_b128 v[26:29], off, off offset:848
	ds_load_b128 v[2:5], v1 offset:1616
	v_add_f64 v[44:45], v[44:45], v[177:178]
	v_add_f64 v[46:47], v[46:47], v[48:49]
	v_fma_f64 v[175:176], v[8:9], v[30:31], v[175:176]
	v_fma_f64 v[177:178], v[6:7], v[30:31], -v[32:33]
	ds_load_b128 v[6:9], v1 offset:1632
	s_waitcnt vmcnt(8) lgkmcnt(1)
	v_mul_f64 v[48:49], v[2:3], v[36:37]
	v_mul_f64 v[36:37], v[4:5], v[36:37]
	scratch_load_b128 v[30:33], off, off offset:864
	v_add_f64 v[44:45], v[44:45], v[179:180]
	v_add_f64 v[46:47], v[46:47], v[156:157]
	s_waitcnt vmcnt(8) lgkmcnt(0)
	v_mul_f64 v[156:157], v[6:7], v[173:174]
	v_mul_f64 v[173:174], v[8:9], v[173:174]
	v_fma_f64 v[48:49], v[4:5], v[34:35], v[48:49]
	v_fma_f64 v[179:180], v[2:3], v[34:35], -v[36:37]
	scratch_load_b128 v[34:37], off, off offset:880
	ds_load_b128 v[2:5], v1 offset:1648
	v_add_f64 v[44:45], v[44:45], v[177:178]
	v_add_f64 v[46:47], v[46:47], v[175:176]
	v_fma_f64 v[156:157], v[8:9], v[171:172], v[156:157]
	v_fma_f64 v[171:172], v[6:7], v[171:172], -v[173:174]
	ds_load_b128 v[6:9], v1 offset:1664
	s_waitcnt vmcnt(8) lgkmcnt(1)
	v_mul_f64 v[175:176], v[2:3], v[40:41]
	v_mul_f64 v[40:41], v[4:5], v[40:41]
	v_add_f64 v[44:45], v[44:45], v[179:180]
	v_add_f64 v[46:47], v[46:47], v[48:49]
	s_waitcnt vmcnt(7) lgkmcnt(0)
	v_mul_f64 v[48:49], v[6:7], v[169:170]
	v_mul_f64 v[169:170], v[8:9], v[169:170]
	v_fma_f64 v[173:174], v[4:5], v[38:39], v[175:176]
	v_fma_f64 v[38:39], v[2:3], v[38:39], -v[40:41]
	ds_load_b128 v[2:5], v1 offset:1680
	v_add_f64 v[40:41], v[44:45], v[171:172]
	v_add_f64 v[44:45], v[46:47], v[156:157]
	v_fma_f64 v[48:49], v[8:9], v[167:168], v[48:49]
	v_fma_f64 v[156:157], v[6:7], v[167:168], -v[169:170]
	ds_load_b128 v[6:9], v1 offset:1696
	s_waitcnt vmcnt(5) lgkmcnt(0)
	v_mul_f64 v[169:170], v[6:7], v[16:17]
	v_mul_f64 v[16:17], v[8:9], v[16:17]
	v_add_f64 v[167:168], v[40:41], v[38:39]
	v_add_f64 v[44:45], v[44:45], v[173:174]
	scratch_load_b128 v[38:41], off, off offset:256
	v_mul_f64 v[46:47], v[2:3], v[12:13]
	v_mul_f64 v[12:13], v[4:5], v[12:13]
	v_add_f64 v[44:45], v[44:45], v[48:49]
	s_delay_alu instid0(VALU_DEP_3) | instskip(NEXT) | instid1(VALU_DEP_3)
	v_fma_f64 v[46:47], v[4:5], v[10:11], v[46:47]
	v_fma_f64 v[10:11], v[2:3], v[10:11], -v[12:13]
	v_add_f64 v[12:13], v[167:168], v[156:157]
	ds_load_b128 v[2:5], v1 offset:1712
	v_fma_f64 v[156:157], v[8:9], v[14:15], v[169:170]
	v_fma_f64 v[14:15], v[6:7], v[14:15], -v[16:17]
	ds_load_b128 v[6:9], v1 offset:1728
	s_waitcnt vmcnt(5) lgkmcnt(1)
	v_mul_f64 v[48:49], v[2:3], v[20:21]
	v_mul_f64 v[20:21], v[4:5], v[20:21]
	s_waitcnt vmcnt(4) lgkmcnt(0)
	v_mul_f64 v[16:17], v[6:7], v[24:25]
	v_mul_f64 v[24:25], v[8:9], v[24:25]
	v_add_f64 v[10:11], v[12:13], v[10:11]
	v_add_f64 v[12:13], v[44:45], v[46:47]
	v_fma_f64 v[44:45], v[4:5], v[18:19], v[48:49]
	v_fma_f64 v[18:19], v[2:3], v[18:19], -v[20:21]
	ds_load_b128 v[2:5], v1 offset:1744
	v_fma_f64 v[16:17], v[8:9], v[22:23], v[16:17]
	v_fma_f64 v[22:23], v[6:7], v[22:23], -v[24:25]
	ds_load_b128 v[6:9], v1 offset:1760
	v_add_f64 v[10:11], v[10:11], v[14:15]
	v_add_f64 v[12:13], v[12:13], v[156:157]
	s_waitcnt vmcnt(3) lgkmcnt(1)
	v_mul_f64 v[14:15], v[2:3], v[28:29]
	v_mul_f64 v[20:21], v[4:5], v[28:29]
	s_waitcnt vmcnt(2) lgkmcnt(0)
	v_mul_f64 v[24:25], v[8:9], v[32:33]
	v_add_f64 v[10:11], v[10:11], v[18:19]
	v_add_f64 v[12:13], v[12:13], v[44:45]
	v_mul_f64 v[18:19], v[6:7], v[32:33]
	v_fma_f64 v[14:15], v[4:5], v[26:27], v[14:15]
	v_fma_f64 v[20:21], v[2:3], v[26:27], -v[20:21]
	ds_load_b128 v[2:5], v1 offset:1776
	v_fma_f64 v[6:7], v[6:7], v[30:31], -v[24:25]
	v_add_f64 v[10:11], v[10:11], v[22:23]
	v_add_f64 v[12:13], v[12:13], v[16:17]
	s_waitcnt vmcnt(1) lgkmcnt(0)
	v_mul_f64 v[16:17], v[2:3], v[36:37]
	v_mul_f64 v[22:23], v[4:5], v[36:37]
	v_fma_f64 v[8:9], v[8:9], v[30:31], v[18:19]
	v_add_f64 v[10:11], v[10:11], v[20:21]
	v_add_f64 v[12:13], v[12:13], v[14:15]
	v_fma_f64 v[4:5], v[4:5], v[34:35], v[16:17]
	v_fma_f64 v[2:3], v[2:3], v[34:35], -v[22:23]
	s_delay_alu instid0(VALU_DEP_4) | instskip(NEXT) | instid1(VALU_DEP_4)
	v_add_f64 v[6:7], v[10:11], v[6:7]
	v_add_f64 v[8:9], v[12:13], v[8:9]
	s_delay_alu instid0(VALU_DEP_2) | instskip(NEXT) | instid1(VALU_DEP_2)
	v_add_f64 v[2:3], v[6:7], v[2:3]
	v_add_f64 v[4:5], v[8:9], v[4:5]
	s_waitcnt vmcnt(0)
	s_delay_alu instid0(VALU_DEP_2) | instskip(NEXT) | instid1(VALU_DEP_2)
	v_add_f64 v[2:3], v[38:39], -v[2:3]
	v_add_f64 v[4:5], v[40:41], -v[4:5]
	scratch_store_b128 off, v[2:5], off offset:256
	v_cmpx_lt_u32_e32 15, v154
	s_cbranch_execz .LBB119_319
; %bb.318:
	scratch_load_b128 v[5:8], v195, off
	v_mov_b32_e32 v2, v1
	v_mov_b32_e32 v3, v1
	;; [unrolled: 1-line block ×3, first 2 shown]
	scratch_store_b128 off, v[1:4], off offset:240
	s_waitcnt vmcnt(0)
	ds_store_b128 v210, v[5:8]
.LBB119_319:
	s_or_b32 exec_lo, exec_lo, s2
	s_waitcnt lgkmcnt(0)
	s_waitcnt_vscnt null, 0x0
	s_barrier
	buffer_gl0_inv
	s_clause 0x7
	scratch_load_b128 v[2:5], off, off offset:256
	scratch_load_b128 v[6:9], off, off offset:272
	;; [unrolled: 1-line block ×8, first 2 shown]
	ds_load_b128 v[38:41], v1 offset:1152
	ds_load_b128 v[167:170], v1 offset:1168
	s_clause 0x1
	scratch_load_b128 v[34:37], off, off offset:384
	scratch_load_b128 v[171:174], off, off offset:400
	s_mov_b32 s2, exec_lo
	s_waitcnt vmcnt(9) lgkmcnt(1)
	v_mul_f64 v[44:45], v[40:41], v[4:5]
	v_mul_f64 v[4:5], v[38:39], v[4:5]
	s_waitcnt vmcnt(8) lgkmcnt(0)
	v_mul_f64 v[46:47], v[167:168], v[8:9]
	v_mul_f64 v[8:9], v[169:170], v[8:9]
	s_delay_alu instid0(VALU_DEP_4) | instskip(NEXT) | instid1(VALU_DEP_4)
	v_fma_f64 v[44:45], v[38:39], v[2:3], -v[44:45]
	v_fma_f64 v[48:49], v[40:41], v[2:3], v[4:5]
	ds_load_b128 v[2:5], v1 offset:1184
	scratch_load_b128 v[38:41], off, off offset:416
	v_fma_f64 v[46:47], v[169:170], v[6:7], v[46:47]
	v_fma_f64 v[175:176], v[167:168], v[6:7], -v[8:9]
	scratch_load_b128 v[167:170], off, off offset:432
	ds_load_b128 v[6:9], v1 offset:1200
	s_waitcnt vmcnt(9) lgkmcnt(1)
	v_mul_f64 v[156:157], v[2:3], v[12:13]
	v_mul_f64 v[12:13], v[4:5], v[12:13]
	s_waitcnt vmcnt(8) lgkmcnt(0)
	v_mul_f64 v[177:178], v[6:7], v[16:17]
	v_mul_f64 v[16:17], v[8:9], v[16:17]
	v_add_f64 v[44:45], v[44:45], 0
	v_add_f64 v[48:49], v[48:49], 0
	v_fma_f64 v[156:157], v[4:5], v[10:11], v[156:157]
	v_fma_f64 v[179:180], v[2:3], v[10:11], -v[12:13]
	ds_load_b128 v[2:5], v1 offset:1216
	scratch_load_b128 v[10:13], off, off offset:448
	v_add_f64 v[44:45], v[44:45], v[175:176]
	v_add_f64 v[46:47], v[48:49], v[46:47]
	v_fma_f64 v[175:176], v[8:9], v[14:15], v[177:178]
	v_fma_f64 v[177:178], v[6:7], v[14:15], -v[16:17]
	scratch_load_b128 v[14:17], off, off offset:464
	ds_load_b128 v[6:9], v1 offset:1232
	s_waitcnt vmcnt(9) lgkmcnt(1)
	v_mul_f64 v[48:49], v[2:3], v[20:21]
	v_mul_f64 v[20:21], v[4:5], v[20:21]
	v_add_f64 v[44:45], v[44:45], v[179:180]
	v_add_f64 v[46:47], v[46:47], v[156:157]
	s_waitcnt vmcnt(8) lgkmcnt(0)
	v_mul_f64 v[156:157], v[6:7], v[24:25]
	v_mul_f64 v[24:25], v[8:9], v[24:25]
	v_fma_f64 v[48:49], v[4:5], v[18:19], v[48:49]
	v_fma_f64 v[179:180], v[2:3], v[18:19], -v[20:21]
	ds_load_b128 v[2:5], v1 offset:1248
	scratch_load_b128 v[18:21], off, off offset:480
	v_add_f64 v[44:45], v[44:45], v[177:178]
	v_add_f64 v[46:47], v[46:47], v[175:176]
	v_fma_f64 v[156:157], v[8:9], v[22:23], v[156:157]
	v_fma_f64 v[177:178], v[6:7], v[22:23], -v[24:25]
	scratch_load_b128 v[22:25], off, off offset:496
	ds_load_b128 v[6:9], v1 offset:1264
	s_waitcnt vmcnt(9) lgkmcnt(1)
	v_mul_f64 v[175:176], v[2:3], v[28:29]
	v_mul_f64 v[28:29], v[4:5], v[28:29]
	v_add_f64 v[44:45], v[44:45], v[179:180]
	v_add_f64 v[46:47], v[46:47], v[48:49]
	s_waitcnt vmcnt(8) lgkmcnt(0)
	v_mul_f64 v[48:49], v[6:7], v[32:33]
	v_mul_f64 v[32:33], v[8:9], v[32:33]
	;; [unrolled: 18-line block ×10, first 2 shown]
	v_fma_f64 v[48:49], v[4:5], v[10:11], v[48:49]
	v_fma_f64 v[179:180], v[2:3], v[10:11], -v[12:13]
	ds_load_b128 v[2:5], v1 offset:1536
	scratch_load_b128 v[10:13], off, off offset:768
	v_add_f64 v[44:45], v[44:45], v[177:178]
	v_add_f64 v[46:47], v[46:47], v[175:176]
	v_fma_f64 v[156:157], v[8:9], v[14:15], v[156:157]
	v_fma_f64 v[177:178], v[6:7], v[14:15], -v[16:17]
	ds_load_b128 v[6:9], v1 offset:1552
	s_waitcnt vmcnt(8) lgkmcnt(1)
	v_mul_f64 v[175:176], v[2:3], v[20:21]
	v_mul_f64 v[20:21], v[4:5], v[20:21]
	scratch_load_b128 v[14:17], off, off offset:784
	v_add_f64 v[44:45], v[44:45], v[179:180]
	v_add_f64 v[46:47], v[46:47], v[48:49]
	s_waitcnt vmcnt(8) lgkmcnt(0)
	v_mul_f64 v[48:49], v[6:7], v[24:25]
	v_mul_f64 v[24:25], v[8:9], v[24:25]
	v_fma_f64 v[175:176], v[4:5], v[18:19], v[175:176]
	v_fma_f64 v[179:180], v[2:3], v[18:19], -v[20:21]
	ds_load_b128 v[2:5], v1 offset:1568
	scratch_load_b128 v[18:21], off, off offset:800
	v_add_f64 v[44:45], v[44:45], v[177:178]
	v_add_f64 v[46:47], v[46:47], v[156:157]
	v_fma_f64 v[48:49], v[8:9], v[22:23], v[48:49]
	v_fma_f64 v[177:178], v[6:7], v[22:23], -v[24:25]
	ds_load_b128 v[6:9], v1 offset:1584
	s_waitcnt vmcnt(8) lgkmcnt(1)
	v_mul_f64 v[156:157], v[2:3], v[28:29]
	v_mul_f64 v[28:29], v[4:5], v[28:29]
	scratch_load_b128 v[22:25], off, off offset:816
	v_add_f64 v[44:45], v[44:45], v[179:180]
	v_add_f64 v[46:47], v[46:47], v[175:176]
	s_waitcnt vmcnt(8) lgkmcnt(0)
	v_mul_f64 v[175:176], v[6:7], v[32:33]
	v_mul_f64 v[32:33], v[8:9], v[32:33]
	v_fma_f64 v[156:157], v[4:5], v[26:27], v[156:157]
	v_fma_f64 v[179:180], v[2:3], v[26:27], -v[28:29]
	scratch_load_b128 v[26:29], off, off offset:832
	ds_load_b128 v[2:5], v1 offset:1600
	v_add_f64 v[44:45], v[44:45], v[177:178]
	v_add_f64 v[46:47], v[46:47], v[48:49]
	v_fma_f64 v[175:176], v[8:9], v[30:31], v[175:176]
	v_fma_f64 v[177:178], v[6:7], v[30:31], -v[32:33]
	ds_load_b128 v[6:9], v1 offset:1616
	s_waitcnt vmcnt(8) lgkmcnt(1)
	v_mul_f64 v[48:49], v[2:3], v[36:37]
	v_mul_f64 v[36:37], v[4:5], v[36:37]
	scratch_load_b128 v[30:33], off, off offset:848
	v_add_f64 v[44:45], v[44:45], v[179:180]
	v_add_f64 v[46:47], v[46:47], v[156:157]
	s_waitcnt vmcnt(8) lgkmcnt(0)
	v_mul_f64 v[156:157], v[6:7], v[173:174]
	v_mul_f64 v[173:174], v[8:9], v[173:174]
	v_fma_f64 v[48:49], v[4:5], v[34:35], v[48:49]
	v_fma_f64 v[179:180], v[2:3], v[34:35], -v[36:37]
	scratch_load_b128 v[34:37], off, off offset:864
	ds_load_b128 v[2:5], v1 offset:1632
	v_add_f64 v[44:45], v[44:45], v[177:178]
	v_add_f64 v[46:47], v[46:47], v[175:176]
	v_fma_f64 v[156:157], v[8:9], v[171:172], v[156:157]
	v_fma_f64 v[177:178], v[6:7], v[171:172], -v[173:174]
	ds_load_b128 v[6:9], v1 offset:1648
	s_waitcnt vmcnt(8) lgkmcnt(1)
	v_mul_f64 v[175:176], v[2:3], v[40:41]
	v_mul_f64 v[40:41], v[4:5], v[40:41]
	scratch_load_b128 v[171:174], off, off offset:880
	v_add_f64 v[44:45], v[44:45], v[179:180]
	v_add_f64 v[46:47], v[46:47], v[48:49]
	s_waitcnt vmcnt(8) lgkmcnt(0)
	v_mul_f64 v[48:49], v[6:7], v[169:170]
	v_mul_f64 v[169:170], v[8:9], v[169:170]
	v_fma_f64 v[175:176], v[4:5], v[38:39], v[175:176]
	v_fma_f64 v[38:39], v[2:3], v[38:39], -v[40:41]
	ds_load_b128 v[2:5], v1 offset:1664
	v_add_f64 v[40:41], v[44:45], v[177:178]
	v_add_f64 v[44:45], v[46:47], v[156:157]
	v_fma_f64 v[48:49], v[8:9], v[167:168], v[48:49]
	v_fma_f64 v[156:157], v[6:7], v[167:168], -v[169:170]
	ds_load_b128 v[6:9], v1 offset:1680
	s_waitcnt vmcnt(7) lgkmcnt(1)
	v_mul_f64 v[46:47], v[2:3], v[12:13]
	v_mul_f64 v[12:13], v[4:5], v[12:13]
	v_add_f64 v[38:39], v[40:41], v[38:39]
	v_add_f64 v[40:41], v[44:45], v[175:176]
	s_delay_alu instid0(VALU_DEP_4) | instskip(NEXT) | instid1(VALU_DEP_4)
	v_fma_f64 v[46:47], v[4:5], v[10:11], v[46:47]
	v_fma_f64 v[167:168], v[2:3], v[10:11], -v[12:13]
	scratch_load_b128 v[10:13], off, off offset:240
	s_waitcnt vmcnt(7) lgkmcnt(0)
	v_mul_f64 v[44:45], v[6:7], v[16:17]
	v_mul_f64 v[16:17], v[8:9], v[16:17]
	ds_load_b128 v[2:5], v1 offset:1696
	v_add_f64 v[38:39], v[38:39], v[156:157]
	v_add_f64 v[40:41], v[40:41], v[48:49]
	v_fma_f64 v[44:45], v[8:9], v[14:15], v[44:45]
	v_fma_f64 v[14:15], v[6:7], v[14:15], -v[16:17]
	ds_load_b128 v[6:9], v1 offset:1712
	s_waitcnt vmcnt(6) lgkmcnt(1)
	v_mul_f64 v[48:49], v[2:3], v[20:21]
	v_mul_f64 v[20:21], v[4:5], v[20:21]
	v_add_f64 v[16:17], v[38:39], v[167:168]
	v_add_f64 v[38:39], v[40:41], v[46:47]
	s_waitcnt vmcnt(5) lgkmcnt(0)
	v_mul_f64 v[40:41], v[6:7], v[24:25]
	v_mul_f64 v[24:25], v[8:9], v[24:25]
	v_fma_f64 v[46:47], v[4:5], v[18:19], v[48:49]
	v_fma_f64 v[18:19], v[2:3], v[18:19], -v[20:21]
	ds_load_b128 v[2:5], v1 offset:1728
	v_add_f64 v[14:15], v[16:17], v[14:15]
	v_add_f64 v[16:17], v[38:39], v[44:45]
	v_fma_f64 v[38:39], v[8:9], v[22:23], v[40:41]
	v_fma_f64 v[22:23], v[6:7], v[22:23], -v[24:25]
	ds_load_b128 v[6:9], v1 offset:1744
	s_waitcnt vmcnt(4) lgkmcnt(1)
	v_mul_f64 v[20:21], v[2:3], v[28:29]
	v_mul_f64 v[28:29], v[4:5], v[28:29]
	s_waitcnt vmcnt(3) lgkmcnt(0)
	v_mul_f64 v[24:25], v[8:9], v[32:33]
	v_add_f64 v[14:15], v[14:15], v[18:19]
	v_add_f64 v[16:17], v[16:17], v[46:47]
	v_mul_f64 v[18:19], v[6:7], v[32:33]
	v_fma_f64 v[20:21], v[4:5], v[26:27], v[20:21]
	v_fma_f64 v[26:27], v[2:3], v[26:27], -v[28:29]
	ds_load_b128 v[2:5], v1 offset:1760
	v_fma_f64 v[24:25], v[6:7], v[30:31], -v[24:25]
	v_add_f64 v[14:15], v[14:15], v[22:23]
	v_add_f64 v[16:17], v[16:17], v[38:39]
	v_fma_f64 v[18:19], v[8:9], v[30:31], v[18:19]
	ds_load_b128 v[6:9], v1 offset:1776
	s_waitcnt vmcnt(2) lgkmcnt(1)
	v_mul_f64 v[22:23], v[2:3], v[36:37]
	v_mul_f64 v[28:29], v[4:5], v[36:37]
	v_add_f64 v[14:15], v[14:15], v[26:27]
	v_add_f64 v[16:17], v[16:17], v[20:21]
	s_waitcnt vmcnt(1) lgkmcnt(0)
	v_mul_f64 v[20:21], v[6:7], v[173:174]
	v_mul_f64 v[26:27], v[8:9], v[173:174]
	v_fma_f64 v[4:5], v[4:5], v[34:35], v[22:23]
	v_fma_f64 v[1:2], v[2:3], v[34:35], -v[28:29]
	v_add_f64 v[14:15], v[14:15], v[24:25]
	v_add_f64 v[16:17], v[16:17], v[18:19]
	v_fma_f64 v[8:9], v[8:9], v[171:172], v[20:21]
	v_fma_f64 v[6:7], v[6:7], v[171:172], -v[26:27]
	s_delay_alu instid0(VALU_DEP_4) | instskip(NEXT) | instid1(VALU_DEP_4)
	v_add_f64 v[1:2], v[14:15], v[1:2]
	v_add_f64 v[3:4], v[16:17], v[4:5]
	s_delay_alu instid0(VALU_DEP_2) | instskip(NEXT) | instid1(VALU_DEP_2)
	v_add_f64 v[1:2], v[1:2], v[6:7]
	v_add_f64 v[3:4], v[3:4], v[8:9]
	s_waitcnt vmcnt(0)
	s_delay_alu instid0(VALU_DEP_2) | instskip(NEXT) | instid1(VALU_DEP_2)
	v_add_f64 v[1:2], v[10:11], -v[1:2]
	v_add_f64 v[3:4], v[12:13], -v[3:4]
	scratch_store_b128 off, v[1:4], off offset:240
	v_cmpx_lt_u32_e32 14, v154
	s_cbranch_execz .LBB119_321
; %bb.320:
	scratch_load_b128 v[1:4], v196, off
	v_mov_b32_e32 v5, 0
	s_delay_alu instid0(VALU_DEP_1)
	v_mov_b32_e32 v6, v5
	v_mov_b32_e32 v7, v5
	;; [unrolled: 1-line block ×3, first 2 shown]
	scratch_store_b128 off, v[5:8], off offset:224
	s_waitcnt vmcnt(0)
	ds_store_b128 v210, v[1:4]
.LBB119_321:
	s_or_b32 exec_lo, exec_lo, s2
	s_waitcnt lgkmcnt(0)
	s_waitcnt_vscnt null, 0x0
	s_barrier
	buffer_gl0_inv
	s_clause 0x7
	scratch_load_b128 v[2:5], off, off offset:240
	scratch_load_b128 v[6:9], off, off offset:256
	;; [unrolled: 1-line block ×8, first 2 shown]
	v_mov_b32_e32 v1, 0
	s_clause 0x1
	scratch_load_b128 v[34:37], off, off offset:368
	scratch_load_b128 v[171:174], off, off offset:384
	s_mov_b32 s2, exec_lo
	ds_load_b128 v[38:41], v1 offset:1136
	ds_load_b128 v[167:170], v1 offset:1152
	s_waitcnt vmcnt(9) lgkmcnt(1)
	v_mul_f64 v[44:45], v[40:41], v[4:5]
	v_mul_f64 v[4:5], v[38:39], v[4:5]
	s_waitcnt vmcnt(8) lgkmcnt(0)
	v_mul_f64 v[46:47], v[167:168], v[8:9]
	v_mul_f64 v[8:9], v[169:170], v[8:9]
	s_delay_alu instid0(VALU_DEP_4) | instskip(NEXT) | instid1(VALU_DEP_4)
	v_fma_f64 v[44:45], v[38:39], v[2:3], -v[44:45]
	v_fma_f64 v[48:49], v[40:41], v[2:3], v[4:5]
	ds_load_b128 v[2:5], v1 offset:1168
	scratch_load_b128 v[38:41], off, off offset:400
	v_fma_f64 v[46:47], v[169:170], v[6:7], v[46:47]
	v_fma_f64 v[175:176], v[167:168], v[6:7], -v[8:9]
	scratch_load_b128 v[167:170], off, off offset:416
	ds_load_b128 v[6:9], v1 offset:1184
	s_waitcnt vmcnt(9) lgkmcnt(1)
	v_mul_f64 v[156:157], v[2:3], v[12:13]
	v_mul_f64 v[12:13], v[4:5], v[12:13]
	s_waitcnt vmcnt(8) lgkmcnt(0)
	v_mul_f64 v[177:178], v[6:7], v[16:17]
	v_mul_f64 v[16:17], v[8:9], v[16:17]
	v_add_f64 v[44:45], v[44:45], 0
	v_add_f64 v[48:49], v[48:49], 0
	v_fma_f64 v[156:157], v[4:5], v[10:11], v[156:157]
	v_fma_f64 v[179:180], v[2:3], v[10:11], -v[12:13]
	ds_load_b128 v[2:5], v1 offset:1200
	scratch_load_b128 v[10:13], off, off offset:432
	v_add_f64 v[44:45], v[44:45], v[175:176]
	v_add_f64 v[46:47], v[48:49], v[46:47]
	v_fma_f64 v[175:176], v[8:9], v[14:15], v[177:178]
	v_fma_f64 v[177:178], v[6:7], v[14:15], -v[16:17]
	scratch_load_b128 v[14:17], off, off offset:448
	ds_load_b128 v[6:9], v1 offset:1216
	s_waitcnt vmcnt(9) lgkmcnt(1)
	v_mul_f64 v[48:49], v[2:3], v[20:21]
	v_mul_f64 v[20:21], v[4:5], v[20:21]
	v_add_f64 v[44:45], v[44:45], v[179:180]
	v_add_f64 v[46:47], v[46:47], v[156:157]
	s_waitcnt vmcnt(8) lgkmcnt(0)
	v_mul_f64 v[156:157], v[6:7], v[24:25]
	v_mul_f64 v[24:25], v[8:9], v[24:25]
	v_fma_f64 v[48:49], v[4:5], v[18:19], v[48:49]
	v_fma_f64 v[179:180], v[2:3], v[18:19], -v[20:21]
	ds_load_b128 v[2:5], v1 offset:1232
	scratch_load_b128 v[18:21], off, off offset:464
	v_add_f64 v[44:45], v[44:45], v[177:178]
	v_add_f64 v[46:47], v[46:47], v[175:176]
	v_fma_f64 v[156:157], v[8:9], v[22:23], v[156:157]
	v_fma_f64 v[177:178], v[6:7], v[22:23], -v[24:25]
	scratch_load_b128 v[22:25], off, off offset:480
	ds_load_b128 v[6:9], v1 offset:1248
	s_waitcnt vmcnt(9) lgkmcnt(1)
	v_mul_f64 v[175:176], v[2:3], v[28:29]
	v_mul_f64 v[28:29], v[4:5], v[28:29]
	v_add_f64 v[44:45], v[44:45], v[179:180]
	v_add_f64 v[46:47], v[46:47], v[48:49]
	s_waitcnt vmcnt(8) lgkmcnt(0)
	v_mul_f64 v[48:49], v[6:7], v[32:33]
	v_mul_f64 v[32:33], v[8:9], v[32:33]
	;; [unrolled: 18-line block ×11, first 2 shown]
	v_fma_f64 v[175:176], v[4:5], v[18:19], v[175:176]
	v_fma_f64 v[179:180], v[2:3], v[18:19], -v[20:21]
	ds_load_b128 v[2:5], v1 offset:1552
	scratch_load_b128 v[18:21], off, off offset:784
	v_add_f64 v[44:45], v[44:45], v[177:178]
	v_add_f64 v[46:47], v[46:47], v[156:157]
	v_fma_f64 v[48:49], v[8:9], v[22:23], v[48:49]
	v_fma_f64 v[177:178], v[6:7], v[22:23], -v[24:25]
	ds_load_b128 v[6:9], v1 offset:1568
	s_waitcnt vmcnt(8) lgkmcnt(1)
	v_mul_f64 v[156:157], v[2:3], v[28:29]
	v_mul_f64 v[28:29], v[4:5], v[28:29]
	scratch_load_b128 v[22:25], off, off offset:800
	v_add_f64 v[44:45], v[44:45], v[179:180]
	v_add_f64 v[46:47], v[46:47], v[175:176]
	s_waitcnt vmcnt(8) lgkmcnt(0)
	v_mul_f64 v[175:176], v[6:7], v[32:33]
	v_mul_f64 v[32:33], v[8:9], v[32:33]
	v_fma_f64 v[156:157], v[4:5], v[26:27], v[156:157]
	v_fma_f64 v[179:180], v[2:3], v[26:27], -v[28:29]
	scratch_load_b128 v[26:29], off, off offset:816
	ds_load_b128 v[2:5], v1 offset:1584
	v_add_f64 v[44:45], v[44:45], v[177:178]
	v_add_f64 v[46:47], v[46:47], v[48:49]
	v_fma_f64 v[175:176], v[8:9], v[30:31], v[175:176]
	v_fma_f64 v[177:178], v[6:7], v[30:31], -v[32:33]
	ds_load_b128 v[6:9], v1 offset:1600
	s_waitcnt vmcnt(8) lgkmcnt(1)
	v_mul_f64 v[48:49], v[2:3], v[36:37]
	v_mul_f64 v[36:37], v[4:5], v[36:37]
	scratch_load_b128 v[30:33], off, off offset:832
	v_add_f64 v[44:45], v[44:45], v[179:180]
	v_add_f64 v[46:47], v[46:47], v[156:157]
	s_waitcnt vmcnt(8) lgkmcnt(0)
	v_mul_f64 v[156:157], v[6:7], v[173:174]
	v_mul_f64 v[173:174], v[8:9], v[173:174]
	v_fma_f64 v[48:49], v[4:5], v[34:35], v[48:49]
	v_fma_f64 v[179:180], v[2:3], v[34:35], -v[36:37]
	scratch_load_b128 v[34:37], off, off offset:848
	ds_load_b128 v[2:5], v1 offset:1616
	;; [unrolled: 18-line block ×3, first 2 shown]
	v_add_f64 v[44:45], v[44:45], v[177:178]
	v_add_f64 v[46:47], v[46:47], v[156:157]
	v_fma_f64 v[48:49], v[8:9], v[167:168], v[48:49]
	v_fma_f64 v[167:168], v[6:7], v[167:168], -v[169:170]
	ds_load_b128 v[6:9], v1 offset:1664
	s_waitcnt vmcnt(8) lgkmcnt(1)
	v_mul_f64 v[156:157], v[2:3], v[12:13]
	v_mul_f64 v[12:13], v[4:5], v[12:13]
	s_waitcnt vmcnt(7) lgkmcnt(0)
	v_mul_f64 v[169:170], v[6:7], v[16:17]
	v_mul_f64 v[16:17], v[8:9], v[16:17]
	v_add_f64 v[44:45], v[44:45], v[179:180]
	v_add_f64 v[46:47], v[46:47], v[175:176]
	v_fma_f64 v[156:157], v[4:5], v[10:11], v[156:157]
	v_fma_f64 v[10:11], v[2:3], v[10:11], -v[12:13]
	ds_load_b128 v[2:5], v1 offset:1680
	v_add_f64 v[12:13], v[44:45], v[167:168]
	v_add_f64 v[44:45], v[46:47], v[48:49]
	v_fma_f64 v[48:49], v[8:9], v[14:15], v[169:170]
	v_fma_f64 v[14:15], v[6:7], v[14:15], -v[16:17]
	ds_load_b128 v[6:9], v1 offset:1696
	v_add_f64 v[16:17], v[12:13], v[10:11]
	v_add_f64 v[44:45], v[44:45], v[156:157]
	scratch_load_b128 v[10:13], off, off offset:224
	s_waitcnt vmcnt(7) lgkmcnt(1)
	v_mul_f64 v[46:47], v[2:3], v[20:21]
	v_mul_f64 v[20:21], v[4:5], v[20:21]
	s_waitcnt vmcnt(6) lgkmcnt(0)
	v_mul_f64 v[156:157], v[6:7], v[24:25]
	v_mul_f64 v[24:25], v[8:9], v[24:25]
	v_add_f64 v[14:15], v[16:17], v[14:15]
	v_add_f64 v[16:17], v[44:45], v[48:49]
	v_fma_f64 v[46:47], v[4:5], v[18:19], v[46:47]
	v_fma_f64 v[18:19], v[2:3], v[18:19], -v[20:21]
	ds_load_b128 v[2:5], v1 offset:1712
	v_fma_f64 v[44:45], v[8:9], v[22:23], v[156:157]
	v_fma_f64 v[22:23], v[6:7], v[22:23], -v[24:25]
	ds_load_b128 v[6:9], v1 offset:1728
	s_waitcnt vmcnt(5) lgkmcnt(1)
	v_mul_f64 v[20:21], v[2:3], v[28:29]
	v_mul_f64 v[28:29], v[4:5], v[28:29]
	s_waitcnt vmcnt(4) lgkmcnt(0)
	v_mul_f64 v[24:25], v[8:9], v[32:33]
	v_add_f64 v[16:17], v[16:17], v[46:47]
	v_add_f64 v[14:15], v[14:15], v[18:19]
	v_mul_f64 v[18:19], v[6:7], v[32:33]
	v_fma_f64 v[20:21], v[4:5], v[26:27], v[20:21]
	v_fma_f64 v[26:27], v[2:3], v[26:27], -v[28:29]
	ds_load_b128 v[2:5], v1 offset:1744
	v_fma_f64 v[24:25], v[6:7], v[30:31], -v[24:25]
	v_add_f64 v[16:17], v[16:17], v[44:45]
	v_add_f64 v[14:15], v[14:15], v[22:23]
	v_fma_f64 v[18:19], v[8:9], v[30:31], v[18:19]
	ds_load_b128 v[6:9], v1 offset:1760
	s_waitcnt vmcnt(3) lgkmcnt(1)
	v_mul_f64 v[22:23], v[2:3], v[36:37]
	v_mul_f64 v[28:29], v[4:5], v[36:37]
	v_add_f64 v[16:17], v[16:17], v[20:21]
	v_add_f64 v[14:15], v[14:15], v[26:27]
	s_waitcnt vmcnt(2) lgkmcnt(0)
	v_mul_f64 v[20:21], v[6:7], v[173:174]
	v_mul_f64 v[26:27], v[8:9], v[173:174]
	v_fma_f64 v[22:23], v[4:5], v[34:35], v[22:23]
	v_fma_f64 v[28:29], v[2:3], v[34:35], -v[28:29]
	ds_load_b128 v[2:5], v1 offset:1776
	v_add_f64 v[16:17], v[16:17], v[18:19]
	v_add_f64 v[14:15], v[14:15], v[24:25]
	s_waitcnt vmcnt(1) lgkmcnt(0)
	v_mul_f64 v[18:19], v[2:3], v[40:41]
	v_mul_f64 v[24:25], v[4:5], v[40:41]
	v_fma_f64 v[8:9], v[8:9], v[171:172], v[20:21]
	v_fma_f64 v[6:7], v[6:7], v[171:172], -v[26:27]
	v_add_f64 v[16:17], v[16:17], v[22:23]
	v_add_f64 v[14:15], v[14:15], v[28:29]
	v_fma_f64 v[4:5], v[4:5], v[38:39], v[18:19]
	v_fma_f64 v[2:3], v[2:3], v[38:39], -v[24:25]
	s_delay_alu instid0(VALU_DEP_4) | instskip(NEXT) | instid1(VALU_DEP_4)
	v_add_f64 v[8:9], v[16:17], v[8:9]
	v_add_f64 v[6:7], v[14:15], v[6:7]
	s_delay_alu instid0(VALU_DEP_2) | instskip(NEXT) | instid1(VALU_DEP_2)
	v_add_f64 v[4:5], v[8:9], v[4:5]
	v_add_f64 v[2:3], v[6:7], v[2:3]
	s_waitcnt vmcnt(0)
	s_delay_alu instid0(VALU_DEP_2) | instskip(NEXT) | instid1(VALU_DEP_2)
	v_add_f64 v[4:5], v[12:13], -v[4:5]
	v_add_f64 v[2:3], v[10:11], -v[2:3]
	scratch_store_b128 off, v[2:5], off offset:224
	v_cmpx_lt_u32_e32 13, v154
	s_cbranch_execz .LBB119_323
; %bb.322:
	scratch_load_b128 v[5:8], v197, off
	v_mov_b32_e32 v2, v1
	v_mov_b32_e32 v3, v1
	;; [unrolled: 1-line block ×3, first 2 shown]
	scratch_store_b128 off, v[1:4], off offset:208
	s_waitcnt vmcnt(0)
	ds_store_b128 v210, v[5:8]
.LBB119_323:
	s_or_b32 exec_lo, exec_lo, s2
	s_waitcnt lgkmcnt(0)
	s_waitcnt_vscnt null, 0x0
	s_barrier
	buffer_gl0_inv
	s_clause 0x7
	scratch_load_b128 v[2:5], off, off offset:224
	scratch_load_b128 v[6:9], off, off offset:240
	;; [unrolled: 1-line block ×8, first 2 shown]
	ds_load_b128 v[38:41], v1 offset:1120
	ds_load_b128 v[167:170], v1 offset:1136
	s_clause 0x1
	scratch_load_b128 v[34:37], off, off offset:352
	scratch_load_b128 v[171:174], off, off offset:368
	s_mov_b32 s2, exec_lo
	s_waitcnt vmcnt(9) lgkmcnt(1)
	v_mul_f64 v[44:45], v[40:41], v[4:5]
	v_mul_f64 v[4:5], v[38:39], v[4:5]
	s_waitcnt vmcnt(8) lgkmcnt(0)
	v_mul_f64 v[46:47], v[167:168], v[8:9]
	v_mul_f64 v[8:9], v[169:170], v[8:9]
	s_delay_alu instid0(VALU_DEP_4) | instskip(NEXT) | instid1(VALU_DEP_4)
	v_fma_f64 v[44:45], v[38:39], v[2:3], -v[44:45]
	v_fma_f64 v[48:49], v[40:41], v[2:3], v[4:5]
	ds_load_b128 v[2:5], v1 offset:1152
	scratch_load_b128 v[38:41], off, off offset:384
	v_fma_f64 v[46:47], v[169:170], v[6:7], v[46:47]
	v_fma_f64 v[175:176], v[167:168], v[6:7], -v[8:9]
	scratch_load_b128 v[167:170], off, off offset:400
	ds_load_b128 v[6:9], v1 offset:1168
	s_waitcnt vmcnt(9) lgkmcnt(1)
	v_mul_f64 v[156:157], v[2:3], v[12:13]
	v_mul_f64 v[12:13], v[4:5], v[12:13]
	s_waitcnt vmcnt(8) lgkmcnt(0)
	v_mul_f64 v[177:178], v[6:7], v[16:17]
	v_mul_f64 v[16:17], v[8:9], v[16:17]
	v_add_f64 v[44:45], v[44:45], 0
	v_add_f64 v[48:49], v[48:49], 0
	v_fma_f64 v[156:157], v[4:5], v[10:11], v[156:157]
	v_fma_f64 v[179:180], v[2:3], v[10:11], -v[12:13]
	ds_load_b128 v[2:5], v1 offset:1184
	scratch_load_b128 v[10:13], off, off offset:416
	v_add_f64 v[44:45], v[44:45], v[175:176]
	v_add_f64 v[46:47], v[48:49], v[46:47]
	v_fma_f64 v[175:176], v[8:9], v[14:15], v[177:178]
	v_fma_f64 v[177:178], v[6:7], v[14:15], -v[16:17]
	scratch_load_b128 v[14:17], off, off offset:432
	ds_load_b128 v[6:9], v1 offset:1200
	s_waitcnt vmcnt(9) lgkmcnt(1)
	v_mul_f64 v[48:49], v[2:3], v[20:21]
	v_mul_f64 v[20:21], v[4:5], v[20:21]
	v_add_f64 v[44:45], v[44:45], v[179:180]
	v_add_f64 v[46:47], v[46:47], v[156:157]
	s_waitcnt vmcnt(8) lgkmcnt(0)
	v_mul_f64 v[156:157], v[6:7], v[24:25]
	v_mul_f64 v[24:25], v[8:9], v[24:25]
	v_fma_f64 v[48:49], v[4:5], v[18:19], v[48:49]
	v_fma_f64 v[179:180], v[2:3], v[18:19], -v[20:21]
	ds_load_b128 v[2:5], v1 offset:1216
	scratch_load_b128 v[18:21], off, off offset:448
	v_add_f64 v[44:45], v[44:45], v[177:178]
	v_add_f64 v[46:47], v[46:47], v[175:176]
	v_fma_f64 v[156:157], v[8:9], v[22:23], v[156:157]
	v_fma_f64 v[177:178], v[6:7], v[22:23], -v[24:25]
	scratch_load_b128 v[22:25], off, off offset:464
	ds_load_b128 v[6:9], v1 offset:1232
	s_waitcnt vmcnt(9) lgkmcnt(1)
	v_mul_f64 v[175:176], v[2:3], v[28:29]
	v_mul_f64 v[28:29], v[4:5], v[28:29]
	v_add_f64 v[44:45], v[44:45], v[179:180]
	v_add_f64 v[46:47], v[46:47], v[48:49]
	s_waitcnt vmcnt(8) lgkmcnt(0)
	v_mul_f64 v[48:49], v[6:7], v[32:33]
	v_mul_f64 v[32:33], v[8:9], v[32:33]
	;; [unrolled: 18-line block ×11, first 2 shown]
	v_fma_f64 v[175:176], v[4:5], v[18:19], v[175:176]
	v_fma_f64 v[179:180], v[2:3], v[18:19], -v[20:21]
	ds_load_b128 v[2:5], v1 offset:1536
	scratch_load_b128 v[18:21], off, off offset:768
	v_add_f64 v[44:45], v[44:45], v[177:178]
	v_add_f64 v[46:47], v[46:47], v[156:157]
	v_fma_f64 v[48:49], v[8:9], v[22:23], v[48:49]
	v_fma_f64 v[177:178], v[6:7], v[22:23], -v[24:25]
	ds_load_b128 v[6:9], v1 offset:1552
	s_waitcnt vmcnt(8) lgkmcnt(1)
	v_mul_f64 v[156:157], v[2:3], v[28:29]
	v_mul_f64 v[28:29], v[4:5], v[28:29]
	scratch_load_b128 v[22:25], off, off offset:784
	v_add_f64 v[44:45], v[44:45], v[179:180]
	v_add_f64 v[46:47], v[46:47], v[175:176]
	s_waitcnt vmcnt(8) lgkmcnt(0)
	v_mul_f64 v[175:176], v[6:7], v[32:33]
	v_mul_f64 v[32:33], v[8:9], v[32:33]
	v_fma_f64 v[156:157], v[4:5], v[26:27], v[156:157]
	v_fma_f64 v[179:180], v[2:3], v[26:27], -v[28:29]
	ds_load_b128 v[2:5], v1 offset:1568
	scratch_load_b128 v[26:29], off, off offset:800
	v_add_f64 v[44:45], v[44:45], v[177:178]
	v_add_f64 v[46:47], v[46:47], v[48:49]
	v_fma_f64 v[175:176], v[8:9], v[30:31], v[175:176]
	v_fma_f64 v[177:178], v[6:7], v[30:31], -v[32:33]
	ds_load_b128 v[6:9], v1 offset:1584
	s_waitcnt vmcnt(8) lgkmcnt(1)
	v_mul_f64 v[48:49], v[2:3], v[36:37]
	v_mul_f64 v[36:37], v[4:5], v[36:37]
	scratch_load_b128 v[30:33], off, off offset:816
	v_add_f64 v[44:45], v[44:45], v[179:180]
	v_add_f64 v[46:47], v[46:47], v[156:157]
	s_waitcnt vmcnt(8) lgkmcnt(0)
	v_mul_f64 v[156:157], v[6:7], v[173:174]
	v_mul_f64 v[173:174], v[8:9], v[173:174]
	v_fma_f64 v[48:49], v[4:5], v[34:35], v[48:49]
	v_fma_f64 v[179:180], v[2:3], v[34:35], -v[36:37]
	scratch_load_b128 v[34:37], off, off offset:832
	ds_load_b128 v[2:5], v1 offset:1600
	v_add_f64 v[44:45], v[44:45], v[177:178]
	v_add_f64 v[46:47], v[46:47], v[175:176]
	v_fma_f64 v[156:157], v[8:9], v[171:172], v[156:157]
	v_fma_f64 v[177:178], v[6:7], v[171:172], -v[173:174]
	ds_load_b128 v[6:9], v1 offset:1616
	s_waitcnt vmcnt(8) lgkmcnt(1)
	v_mul_f64 v[175:176], v[2:3], v[40:41]
	v_mul_f64 v[40:41], v[4:5], v[40:41]
	scratch_load_b128 v[171:174], off, off offset:848
	v_add_f64 v[44:45], v[44:45], v[179:180]
	v_add_f64 v[46:47], v[46:47], v[48:49]
	s_waitcnt vmcnt(8) lgkmcnt(0)
	v_mul_f64 v[48:49], v[6:7], v[169:170]
	v_mul_f64 v[169:170], v[8:9], v[169:170]
	v_fma_f64 v[175:176], v[4:5], v[38:39], v[175:176]
	v_fma_f64 v[179:180], v[2:3], v[38:39], -v[40:41]
	scratch_load_b128 v[38:41], off, off offset:864
	ds_load_b128 v[2:5], v1 offset:1632
	v_add_f64 v[44:45], v[44:45], v[177:178]
	v_add_f64 v[46:47], v[46:47], v[156:157]
	v_fma_f64 v[48:49], v[8:9], v[167:168], v[48:49]
	v_fma_f64 v[177:178], v[6:7], v[167:168], -v[169:170]
	ds_load_b128 v[6:9], v1 offset:1648
	s_waitcnt vmcnt(8) lgkmcnt(1)
	v_mul_f64 v[156:157], v[2:3], v[12:13]
	v_mul_f64 v[12:13], v[4:5], v[12:13]
	scratch_load_b128 v[167:170], off, off offset:880
	v_add_f64 v[44:45], v[44:45], v[179:180]
	v_add_f64 v[46:47], v[46:47], v[175:176]
	s_waitcnt vmcnt(8) lgkmcnt(0)
	v_mul_f64 v[175:176], v[6:7], v[16:17]
	v_mul_f64 v[16:17], v[8:9], v[16:17]
	v_fma_f64 v[156:157], v[4:5], v[10:11], v[156:157]
	v_fma_f64 v[10:11], v[2:3], v[10:11], -v[12:13]
	ds_load_b128 v[2:5], v1 offset:1664
	v_add_f64 v[12:13], v[44:45], v[177:178]
	v_add_f64 v[44:45], v[46:47], v[48:49]
	v_fma_f64 v[48:49], v[8:9], v[14:15], v[175:176]
	v_fma_f64 v[14:15], v[6:7], v[14:15], -v[16:17]
	ds_load_b128 v[6:9], v1 offset:1680
	s_waitcnt vmcnt(7) lgkmcnt(1)
	v_mul_f64 v[46:47], v[2:3], v[20:21]
	v_mul_f64 v[20:21], v[4:5], v[20:21]
	v_add_f64 v[10:11], v[12:13], v[10:11]
	v_add_f64 v[12:13], v[44:45], v[156:157]
	s_delay_alu instid0(VALU_DEP_4) | instskip(NEXT) | instid1(VALU_DEP_4)
	v_fma_f64 v[44:45], v[4:5], v[18:19], v[46:47]
	v_fma_f64 v[18:19], v[2:3], v[18:19], -v[20:21]
	ds_load_b128 v[2:5], v1 offset:1696
	v_add_f64 v[14:15], v[10:11], v[14:15]
	v_add_f64 v[20:21], v[12:13], v[48:49]
	scratch_load_b128 v[10:13], off, off offset:208
	s_waitcnt vmcnt(7) lgkmcnt(1)
	v_mul_f64 v[16:17], v[6:7], v[24:25]
	v_mul_f64 v[24:25], v[8:9], v[24:25]
	v_add_f64 v[14:15], v[14:15], v[18:19]
	v_add_f64 v[18:19], v[20:21], v[44:45]
	s_delay_alu instid0(VALU_DEP_4) | instskip(NEXT) | instid1(VALU_DEP_4)
	v_fma_f64 v[16:17], v[8:9], v[22:23], v[16:17]
	v_fma_f64 v[22:23], v[6:7], v[22:23], -v[24:25]
	ds_load_b128 v[6:9], v1 offset:1712
	s_waitcnt vmcnt(6) lgkmcnt(1)
	v_mul_f64 v[46:47], v[2:3], v[28:29]
	v_mul_f64 v[28:29], v[4:5], v[28:29]
	s_waitcnt vmcnt(5) lgkmcnt(0)
	v_mul_f64 v[20:21], v[6:7], v[32:33]
	v_mul_f64 v[24:25], v[8:9], v[32:33]
	v_add_f64 v[16:17], v[18:19], v[16:17]
	v_add_f64 v[14:15], v[14:15], v[22:23]
	v_fma_f64 v[32:33], v[4:5], v[26:27], v[46:47]
	v_fma_f64 v[26:27], v[2:3], v[26:27], -v[28:29]
	ds_load_b128 v[2:5], v1 offset:1728
	v_fma_f64 v[20:21], v[8:9], v[30:31], v[20:21]
	v_fma_f64 v[24:25], v[6:7], v[30:31], -v[24:25]
	ds_load_b128 v[6:9], v1 offset:1744
	s_waitcnt vmcnt(4) lgkmcnt(1)
	v_mul_f64 v[18:19], v[2:3], v[36:37]
	v_mul_f64 v[22:23], v[4:5], v[36:37]
	v_add_f64 v[16:17], v[16:17], v[32:33]
	v_add_f64 v[14:15], v[14:15], v[26:27]
	s_waitcnt vmcnt(3) lgkmcnt(0)
	v_mul_f64 v[26:27], v[6:7], v[173:174]
	v_mul_f64 v[28:29], v[8:9], v[173:174]
	v_fma_f64 v[18:19], v[4:5], v[34:35], v[18:19]
	v_fma_f64 v[22:23], v[2:3], v[34:35], -v[22:23]
	ds_load_b128 v[2:5], v1 offset:1760
	v_add_f64 v[16:17], v[16:17], v[20:21]
	v_add_f64 v[14:15], v[14:15], v[24:25]
	v_fma_f64 v[26:27], v[8:9], v[171:172], v[26:27]
	v_fma_f64 v[28:29], v[6:7], v[171:172], -v[28:29]
	ds_load_b128 v[6:9], v1 offset:1776
	s_waitcnt vmcnt(2) lgkmcnt(1)
	v_mul_f64 v[20:21], v[2:3], v[40:41]
	v_mul_f64 v[24:25], v[4:5], v[40:41]
	v_add_f64 v[16:17], v[16:17], v[18:19]
	v_add_f64 v[14:15], v[14:15], v[22:23]
	s_waitcnt vmcnt(1) lgkmcnt(0)
	v_mul_f64 v[18:19], v[6:7], v[169:170]
	v_mul_f64 v[22:23], v[8:9], v[169:170]
	v_fma_f64 v[4:5], v[4:5], v[38:39], v[20:21]
	v_fma_f64 v[1:2], v[2:3], v[38:39], -v[24:25]
	v_add_f64 v[16:17], v[16:17], v[26:27]
	v_add_f64 v[14:15], v[14:15], v[28:29]
	v_fma_f64 v[8:9], v[8:9], v[167:168], v[18:19]
	v_fma_f64 v[6:7], v[6:7], v[167:168], -v[22:23]
	s_delay_alu instid0(VALU_DEP_4) | instskip(NEXT) | instid1(VALU_DEP_4)
	v_add_f64 v[3:4], v[16:17], v[4:5]
	v_add_f64 v[1:2], v[14:15], v[1:2]
	s_delay_alu instid0(VALU_DEP_2) | instskip(NEXT) | instid1(VALU_DEP_2)
	v_add_f64 v[3:4], v[3:4], v[8:9]
	v_add_f64 v[1:2], v[1:2], v[6:7]
	s_waitcnt vmcnt(0)
	s_delay_alu instid0(VALU_DEP_2) | instskip(NEXT) | instid1(VALU_DEP_2)
	v_add_f64 v[3:4], v[12:13], -v[3:4]
	v_add_f64 v[1:2], v[10:11], -v[1:2]
	scratch_store_b128 off, v[1:4], off offset:208
	v_cmpx_lt_u32_e32 12, v154
	s_cbranch_execz .LBB119_325
; %bb.324:
	scratch_load_b128 v[1:4], v198, off
	v_mov_b32_e32 v5, 0
	s_delay_alu instid0(VALU_DEP_1)
	v_mov_b32_e32 v6, v5
	v_mov_b32_e32 v7, v5
	;; [unrolled: 1-line block ×3, first 2 shown]
	scratch_store_b128 off, v[5:8], off offset:192
	s_waitcnt vmcnt(0)
	ds_store_b128 v210, v[1:4]
.LBB119_325:
	s_or_b32 exec_lo, exec_lo, s2
	s_waitcnt lgkmcnt(0)
	s_waitcnt_vscnt null, 0x0
	s_barrier
	buffer_gl0_inv
	s_clause 0x7
	scratch_load_b128 v[2:5], off, off offset:208
	scratch_load_b128 v[6:9], off, off offset:224
	;; [unrolled: 1-line block ×8, first 2 shown]
	v_mov_b32_e32 v1, 0
	s_clause 0x1
	scratch_load_b128 v[34:37], off, off offset:336
	scratch_load_b128 v[171:174], off, off offset:352
	s_mov_b32 s2, exec_lo
	ds_load_b128 v[38:41], v1 offset:1104
	ds_load_b128 v[167:170], v1 offset:1120
	s_waitcnt vmcnt(9) lgkmcnt(1)
	v_mul_f64 v[44:45], v[40:41], v[4:5]
	v_mul_f64 v[4:5], v[38:39], v[4:5]
	s_waitcnt vmcnt(8) lgkmcnt(0)
	v_mul_f64 v[46:47], v[167:168], v[8:9]
	v_mul_f64 v[8:9], v[169:170], v[8:9]
	s_delay_alu instid0(VALU_DEP_4) | instskip(NEXT) | instid1(VALU_DEP_4)
	v_fma_f64 v[44:45], v[38:39], v[2:3], -v[44:45]
	v_fma_f64 v[48:49], v[40:41], v[2:3], v[4:5]
	ds_load_b128 v[2:5], v1 offset:1136
	scratch_load_b128 v[38:41], off, off offset:368
	v_fma_f64 v[46:47], v[169:170], v[6:7], v[46:47]
	v_fma_f64 v[175:176], v[167:168], v[6:7], -v[8:9]
	scratch_load_b128 v[167:170], off, off offset:384
	ds_load_b128 v[6:9], v1 offset:1152
	s_waitcnt vmcnt(9) lgkmcnt(1)
	v_mul_f64 v[156:157], v[2:3], v[12:13]
	v_mul_f64 v[12:13], v[4:5], v[12:13]
	s_waitcnt vmcnt(8) lgkmcnt(0)
	v_mul_f64 v[177:178], v[6:7], v[16:17]
	v_mul_f64 v[16:17], v[8:9], v[16:17]
	v_add_f64 v[44:45], v[44:45], 0
	v_add_f64 v[48:49], v[48:49], 0
	v_fma_f64 v[156:157], v[4:5], v[10:11], v[156:157]
	v_fma_f64 v[179:180], v[2:3], v[10:11], -v[12:13]
	ds_load_b128 v[2:5], v1 offset:1168
	scratch_load_b128 v[10:13], off, off offset:400
	v_add_f64 v[44:45], v[44:45], v[175:176]
	v_add_f64 v[46:47], v[48:49], v[46:47]
	v_fma_f64 v[175:176], v[8:9], v[14:15], v[177:178]
	v_fma_f64 v[177:178], v[6:7], v[14:15], -v[16:17]
	scratch_load_b128 v[14:17], off, off offset:416
	ds_load_b128 v[6:9], v1 offset:1184
	s_waitcnt vmcnt(9) lgkmcnt(1)
	v_mul_f64 v[48:49], v[2:3], v[20:21]
	v_mul_f64 v[20:21], v[4:5], v[20:21]
	v_add_f64 v[44:45], v[44:45], v[179:180]
	v_add_f64 v[46:47], v[46:47], v[156:157]
	s_waitcnt vmcnt(8) lgkmcnt(0)
	v_mul_f64 v[156:157], v[6:7], v[24:25]
	v_mul_f64 v[24:25], v[8:9], v[24:25]
	v_fma_f64 v[48:49], v[4:5], v[18:19], v[48:49]
	v_fma_f64 v[179:180], v[2:3], v[18:19], -v[20:21]
	ds_load_b128 v[2:5], v1 offset:1200
	scratch_load_b128 v[18:21], off, off offset:432
	v_add_f64 v[44:45], v[44:45], v[177:178]
	v_add_f64 v[46:47], v[46:47], v[175:176]
	v_fma_f64 v[156:157], v[8:9], v[22:23], v[156:157]
	v_fma_f64 v[177:178], v[6:7], v[22:23], -v[24:25]
	scratch_load_b128 v[22:25], off, off offset:448
	ds_load_b128 v[6:9], v1 offset:1216
	s_waitcnt vmcnt(9) lgkmcnt(1)
	v_mul_f64 v[175:176], v[2:3], v[28:29]
	v_mul_f64 v[28:29], v[4:5], v[28:29]
	v_add_f64 v[44:45], v[44:45], v[179:180]
	v_add_f64 v[46:47], v[46:47], v[48:49]
	s_waitcnt vmcnt(8) lgkmcnt(0)
	v_mul_f64 v[48:49], v[6:7], v[32:33]
	v_mul_f64 v[32:33], v[8:9], v[32:33]
	;; [unrolled: 18-line block ×12, first 2 shown]
	v_fma_f64 v[156:157], v[4:5], v[26:27], v[156:157]
	v_fma_f64 v[179:180], v[2:3], v[26:27], -v[28:29]
	ds_load_b128 v[2:5], v1 offset:1552
	scratch_load_b128 v[26:29], off, off offset:784
	v_add_f64 v[44:45], v[44:45], v[177:178]
	v_add_f64 v[46:47], v[46:47], v[48:49]
	v_fma_f64 v[175:176], v[8:9], v[30:31], v[175:176]
	v_fma_f64 v[177:178], v[6:7], v[30:31], -v[32:33]
	ds_load_b128 v[6:9], v1 offset:1568
	s_waitcnt vmcnt(8) lgkmcnt(1)
	v_mul_f64 v[48:49], v[2:3], v[36:37]
	v_mul_f64 v[36:37], v[4:5], v[36:37]
	scratch_load_b128 v[30:33], off, off offset:800
	v_add_f64 v[44:45], v[44:45], v[179:180]
	v_add_f64 v[46:47], v[46:47], v[156:157]
	s_waitcnt vmcnt(8) lgkmcnt(0)
	v_mul_f64 v[156:157], v[6:7], v[173:174]
	v_mul_f64 v[173:174], v[8:9], v[173:174]
	v_fma_f64 v[48:49], v[4:5], v[34:35], v[48:49]
	v_fma_f64 v[179:180], v[2:3], v[34:35], -v[36:37]
	scratch_load_b128 v[34:37], off, off offset:816
	ds_load_b128 v[2:5], v1 offset:1584
	v_add_f64 v[44:45], v[44:45], v[177:178]
	v_add_f64 v[46:47], v[46:47], v[175:176]
	v_fma_f64 v[156:157], v[8:9], v[171:172], v[156:157]
	v_fma_f64 v[177:178], v[6:7], v[171:172], -v[173:174]
	ds_load_b128 v[6:9], v1 offset:1600
	s_waitcnt vmcnt(8) lgkmcnt(1)
	v_mul_f64 v[175:176], v[2:3], v[40:41]
	v_mul_f64 v[40:41], v[4:5], v[40:41]
	scratch_load_b128 v[171:174], off, off offset:832
	v_add_f64 v[44:45], v[44:45], v[179:180]
	v_add_f64 v[46:47], v[46:47], v[48:49]
	s_waitcnt vmcnt(8) lgkmcnt(0)
	v_mul_f64 v[48:49], v[6:7], v[169:170]
	v_mul_f64 v[169:170], v[8:9], v[169:170]
	v_fma_f64 v[175:176], v[4:5], v[38:39], v[175:176]
	v_fma_f64 v[179:180], v[2:3], v[38:39], -v[40:41]
	scratch_load_b128 v[38:41], off, off offset:848
	ds_load_b128 v[2:5], v1 offset:1616
	;; [unrolled: 18-line block ×3, first 2 shown]
	v_add_f64 v[44:45], v[44:45], v[177:178]
	v_add_f64 v[46:47], v[46:47], v[48:49]
	v_fma_f64 v[175:176], v[8:9], v[14:15], v[175:176]
	v_fma_f64 v[14:15], v[6:7], v[14:15], -v[16:17]
	ds_load_b128 v[6:9], v1 offset:1664
	s_waitcnt vmcnt(8) lgkmcnt(1)
	v_mul_f64 v[48:49], v[2:3], v[20:21]
	v_mul_f64 v[20:21], v[4:5], v[20:21]
	v_add_f64 v[16:17], v[44:45], v[179:180]
	v_add_f64 v[44:45], v[46:47], v[156:157]
	s_waitcnt vmcnt(7) lgkmcnt(0)
	v_mul_f64 v[46:47], v[6:7], v[24:25]
	v_mul_f64 v[24:25], v[8:9], v[24:25]
	v_fma_f64 v[48:49], v[4:5], v[18:19], v[48:49]
	v_fma_f64 v[18:19], v[2:3], v[18:19], -v[20:21]
	ds_load_b128 v[2:5], v1 offset:1680
	v_add_f64 v[14:15], v[16:17], v[14:15]
	v_add_f64 v[16:17], v[44:45], v[175:176]
	v_fma_f64 v[44:45], v[8:9], v[22:23], v[46:47]
	v_fma_f64 v[22:23], v[6:7], v[22:23], -v[24:25]
	ds_load_b128 v[6:9], v1 offset:1696
	s_waitcnt vmcnt(5) lgkmcnt(0)
	v_mul_f64 v[46:47], v[6:7], v[32:33]
	v_mul_f64 v[32:33], v[8:9], v[32:33]
	v_add_f64 v[18:19], v[14:15], v[18:19]
	v_add_f64 v[24:25], v[16:17], v[48:49]
	scratch_load_b128 v[14:17], off, off offset:192
	v_mul_f64 v[20:21], v[2:3], v[28:29]
	v_mul_f64 v[28:29], v[4:5], v[28:29]
	v_add_f64 v[18:19], v[18:19], v[22:23]
	v_add_f64 v[22:23], v[24:25], v[44:45]
	s_delay_alu instid0(VALU_DEP_4) | instskip(NEXT) | instid1(VALU_DEP_4)
	v_fma_f64 v[20:21], v[4:5], v[26:27], v[20:21]
	v_fma_f64 v[26:27], v[2:3], v[26:27], -v[28:29]
	ds_load_b128 v[2:5], v1 offset:1712
	s_waitcnt vmcnt(5) lgkmcnt(0)
	v_mul_f64 v[24:25], v[2:3], v[36:37]
	v_mul_f64 v[28:29], v[4:5], v[36:37]
	v_fma_f64 v[36:37], v[8:9], v[30:31], v[46:47]
	v_fma_f64 v[30:31], v[6:7], v[30:31], -v[32:33]
	ds_load_b128 v[6:9], v1 offset:1728
	v_add_f64 v[20:21], v[22:23], v[20:21]
	v_add_f64 v[18:19], v[18:19], v[26:27]
	v_fma_f64 v[24:25], v[4:5], v[34:35], v[24:25]
	v_fma_f64 v[28:29], v[2:3], v[34:35], -v[28:29]
	ds_load_b128 v[2:5], v1 offset:1744
	s_waitcnt vmcnt(4) lgkmcnt(1)
	v_mul_f64 v[22:23], v[6:7], v[173:174]
	v_mul_f64 v[26:27], v[8:9], v[173:174]
	v_add_f64 v[20:21], v[20:21], v[36:37]
	v_add_f64 v[18:19], v[18:19], v[30:31]
	s_waitcnt vmcnt(3) lgkmcnt(0)
	v_mul_f64 v[30:31], v[2:3], v[40:41]
	v_mul_f64 v[32:33], v[4:5], v[40:41]
	v_fma_f64 v[22:23], v[8:9], v[171:172], v[22:23]
	v_fma_f64 v[26:27], v[6:7], v[171:172], -v[26:27]
	ds_load_b128 v[6:9], v1 offset:1760
	v_add_f64 v[20:21], v[20:21], v[24:25]
	v_add_f64 v[18:19], v[18:19], v[28:29]
	v_fma_f64 v[30:31], v[4:5], v[38:39], v[30:31]
	v_fma_f64 v[32:33], v[2:3], v[38:39], -v[32:33]
	ds_load_b128 v[2:5], v1 offset:1776
	s_waitcnt vmcnt(2) lgkmcnt(1)
	v_mul_f64 v[24:25], v[6:7], v[169:170]
	v_mul_f64 v[28:29], v[8:9], v[169:170]
	v_add_f64 v[20:21], v[20:21], v[22:23]
	v_add_f64 v[18:19], v[18:19], v[26:27]
	s_waitcnt vmcnt(1) lgkmcnt(0)
	v_mul_f64 v[22:23], v[2:3], v[12:13]
	v_mul_f64 v[12:13], v[4:5], v[12:13]
	v_fma_f64 v[8:9], v[8:9], v[167:168], v[24:25]
	v_fma_f64 v[6:7], v[6:7], v[167:168], -v[28:29]
	v_add_f64 v[20:21], v[20:21], v[30:31]
	v_add_f64 v[18:19], v[18:19], v[32:33]
	v_fma_f64 v[4:5], v[4:5], v[10:11], v[22:23]
	v_fma_f64 v[2:3], v[2:3], v[10:11], -v[12:13]
	s_delay_alu instid0(VALU_DEP_4) | instskip(NEXT) | instid1(VALU_DEP_4)
	v_add_f64 v[8:9], v[20:21], v[8:9]
	v_add_f64 v[6:7], v[18:19], v[6:7]
	s_delay_alu instid0(VALU_DEP_2) | instskip(NEXT) | instid1(VALU_DEP_2)
	v_add_f64 v[4:5], v[8:9], v[4:5]
	v_add_f64 v[2:3], v[6:7], v[2:3]
	s_waitcnt vmcnt(0)
	s_delay_alu instid0(VALU_DEP_2) | instskip(NEXT) | instid1(VALU_DEP_2)
	v_add_f64 v[4:5], v[16:17], -v[4:5]
	v_add_f64 v[2:3], v[14:15], -v[2:3]
	scratch_store_b128 off, v[2:5], off offset:192
	v_cmpx_lt_u32_e32 11, v154
	s_cbranch_execz .LBB119_327
; %bb.326:
	scratch_load_b128 v[5:8], v199, off
	v_mov_b32_e32 v2, v1
	v_mov_b32_e32 v3, v1
	;; [unrolled: 1-line block ×3, first 2 shown]
	scratch_store_b128 off, v[1:4], off offset:176
	s_waitcnt vmcnt(0)
	ds_store_b128 v210, v[5:8]
.LBB119_327:
	s_or_b32 exec_lo, exec_lo, s2
	s_waitcnt lgkmcnt(0)
	s_waitcnt_vscnt null, 0x0
	s_barrier
	buffer_gl0_inv
	s_clause 0x7
	scratch_load_b128 v[2:5], off, off offset:192
	scratch_load_b128 v[6:9], off, off offset:208
	;; [unrolled: 1-line block ×8, first 2 shown]
	ds_load_b128 v[38:41], v1 offset:1088
	ds_load_b128 v[167:170], v1 offset:1104
	s_clause 0x1
	scratch_load_b128 v[34:37], off, off offset:320
	scratch_load_b128 v[171:174], off, off offset:336
	s_mov_b32 s2, exec_lo
	s_waitcnt vmcnt(9) lgkmcnt(1)
	v_mul_f64 v[44:45], v[40:41], v[4:5]
	v_mul_f64 v[4:5], v[38:39], v[4:5]
	s_waitcnt vmcnt(8) lgkmcnt(0)
	v_mul_f64 v[46:47], v[167:168], v[8:9]
	v_mul_f64 v[8:9], v[169:170], v[8:9]
	s_delay_alu instid0(VALU_DEP_4) | instskip(NEXT) | instid1(VALU_DEP_4)
	v_fma_f64 v[44:45], v[38:39], v[2:3], -v[44:45]
	v_fma_f64 v[48:49], v[40:41], v[2:3], v[4:5]
	ds_load_b128 v[2:5], v1 offset:1120
	scratch_load_b128 v[38:41], off, off offset:352
	v_fma_f64 v[46:47], v[169:170], v[6:7], v[46:47]
	v_fma_f64 v[175:176], v[167:168], v[6:7], -v[8:9]
	scratch_load_b128 v[167:170], off, off offset:368
	ds_load_b128 v[6:9], v1 offset:1136
	s_waitcnt vmcnt(9) lgkmcnt(1)
	v_mul_f64 v[156:157], v[2:3], v[12:13]
	v_mul_f64 v[12:13], v[4:5], v[12:13]
	s_waitcnt vmcnt(8) lgkmcnt(0)
	v_mul_f64 v[177:178], v[6:7], v[16:17]
	v_mul_f64 v[16:17], v[8:9], v[16:17]
	v_add_f64 v[44:45], v[44:45], 0
	v_add_f64 v[48:49], v[48:49], 0
	v_fma_f64 v[156:157], v[4:5], v[10:11], v[156:157]
	v_fma_f64 v[179:180], v[2:3], v[10:11], -v[12:13]
	ds_load_b128 v[2:5], v1 offset:1152
	scratch_load_b128 v[10:13], off, off offset:384
	v_add_f64 v[44:45], v[44:45], v[175:176]
	v_add_f64 v[46:47], v[48:49], v[46:47]
	v_fma_f64 v[175:176], v[8:9], v[14:15], v[177:178]
	v_fma_f64 v[177:178], v[6:7], v[14:15], -v[16:17]
	scratch_load_b128 v[14:17], off, off offset:400
	ds_load_b128 v[6:9], v1 offset:1168
	s_waitcnt vmcnt(9) lgkmcnt(1)
	v_mul_f64 v[48:49], v[2:3], v[20:21]
	v_mul_f64 v[20:21], v[4:5], v[20:21]
	v_add_f64 v[44:45], v[44:45], v[179:180]
	v_add_f64 v[46:47], v[46:47], v[156:157]
	s_waitcnt vmcnt(8) lgkmcnt(0)
	v_mul_f64 v[156:157], v[6:7], v[24:25]
	v_mul_f64 v[24:25], v[8:9], v[24:25]
	v_fma_f64 v[48:49], v[4:5], v[18:19], v[48:49]
	v_fma_f64 v[179:180], v[2:3], v[18:19], -v[20:21]
	ds_load_b128 v[2:5], v1 offset:1184
	scratch_load_b128 v[18:21], off, off offset:416
	v_add_f64 v[44:45], v[44:45], v[177:178]
	v_add_f64 v[46:47], v[46:47], v[175:176]
	v_fma_f64 v[156:157], v[8:9], v[22:23], v[156:157]
	v_fma_f64 v[177:178], v[6:7], v[22:23], -v[24:25]
	scratch_load_b128 v[22:25], off, off offset:432
	ds_load_b128 v[6:9], v1 offset:1200
	s_waitcnt vmcnt(9) lgkmcnt(1)
	v_mul_f64 v[175:176], v[2:3], v[28:29]
	v_mul_f64 v[28:29], v[4:5], v[28:29]
	v_add_f64 v[44:45], v[44:45], v[179:180]
	v_add_f64 v[46:47], v[46:47], v[48:49]
	s_waitcnt vmcnt(8) lgkmcnt(0)
	v_mul_f64 v[48:49], v[6:7], v[32:33]
	v_mul_f64 v[32:33], v[8:9], v[32:33]
	;; [unrolled: 18-line block ×12, first 2 shown]
	v_fma_f64 v[156:157], v[4:5], v[26:27], v[156:157]
	v_fma_f64 v[179:180], v[2:3], v[26:27], -v[28:29]
	ds_load_b128 v[2:5], v1 offset:1536
	scratch_load_b128 v[26:29], off, off offset:768
	v_add_f64 v[44:45], v[44:45], v[177:178]
	v_add_f64 v[46:47], v[46:47], v[48:49]
	v_fma_f64 v[175:176], v[8:9], v[30:31], v[175:176]
	v_fma_f64 v[177:178], v[6:7], v[30:31], -v[32:33]
	ds_load_b128 v[6:9], v1 offset:1552
	s_waitcnt vmcnt(8) lgkmcnt(1)
	v_mul_f64 v[48:49], v[2:3], v[36:37]
	v_mul_f64 v[36:37], v[4:5], v[36:37]
	scratch_load_b128 v[30:33], off, off offset:784
	v_add_f64 v[44:45], v[44:45], v[179:180]
	v_add_f64 v[46:47], v[46:47], v[156:157]
	s_waitcnt vmcnt(8) lgkmcnt(0)
	v_mul_f64 v[156:157], v[6:7], v[173:174]
	v_mul_f64 v[173:174], v[8:9], v[173:174]
	v_fma_f64 v[48:49], v[4:5], v[34:35], v[48:49]
	v_fma_f64 v[179:180], v[2:3], v[34:35], -v[36:37]
	ds_load_b128 v[2:5], v1 offset:1568
	scratch_load_b128 v[34:37], off, off offset:800
	v_add_f64 v[44:45], v[44:45], v[177:178]
	v_add_f64 v[46:47], v[46:47], v[175:176]
	v_fma_f64 v[156:157], v[8:9], v[171:172], v[156:157]
	v_fma_f64 v[177:178], v[6:7], v[171:172], -v[173:174]
	ds_load_b128 v[6:9], v1 offset:1584
	s_waitcnt vmcnt(8) lgkmcnt(1)
	v_mul_f64 v[175:176], v[2:3], v[40:41]
	v_mul_f64 v[40:41], v[4:5], v[40:41]
	scratch_load_b128 v[171:174], off, off offset:816
	v_add_f64 v[44:45], v[44:45], v[179:180]
	v_add_f64 v[46:47], v[46:47], v[48:49]
	s_waitcnt vmcnt(8) lgkmcnt(0)
	v_mul_f64 v[48:49], v[6:7], v[169:170]
	v_mul_f64 v[169:170], v[8:9], v[169:170]
	v_fma_f64 v[175:176], v[4:5], v[38:39], v[175:176]
	v_fma_f64 v[179:180], v[2:3], v[38:39], -v[40:41]
	scratch_load_b128 v[38:41], off, off offset:832
	ds_load_b128 v[2:5], v1 offset:1600
	v_add_f64 v[44:45], v[44:45], v[177:178]
	v_add_f64 v[46:47], v[46:47], v[156:157]
	v_fma_f64 v[48:49], v[8:9], v[167:168], v[48:49]
	v_fma_f64 v[177:178], v[6:7], v[167:168], -v[169:170]
	ds_load_b128 v[6:9], v1 offset:1616
	s_waitcnt vmcnt(8) lgkmcnt(1)
	v_mul_f64 v[156:157], v[2:3], v[12:13]
	v_mul_f64 v[12:13], v[4:5], v[12:13]
	scratch_load_b128 v[167:170], off, off offset:848
	v_add_f64 v[44:45], v[44:45], v[179:180]
	v_add_f64 v[46:47], v[46:47], v[175:176]
	s_waitcnt vmcnt(8) lgkmcnt(0)
	v_mul_f64 v[175:176], v[6:7], v[16:17]
	v_mul_f64 v[16:17], v[8:9], v[16:17]
	v_fma_f64 v[156:157], v[4:5], v[10:11], v[156:157]
	v_fma_f64 v[179:180], v[2:3], v[10:11], -v[12:13]
	scratch_load_b128 v[10:13], off, off offset:864
	ds_load_b128 v[2:5], v1 offset:1632
	v_add_f64 v[44:45], v[44:45], v[177:178]
	v_add_f64 v[46:47], v[46:47], v[48:49]
	v_fma_f64 v[175:176], v[8:9], v[14:15], v[175:176]
	v_fma_f64 v[177:178], v[6:7], v[14:15], -v[16:17]
	ds_load_b128 v[6:9], v1 offset:1648
	s_waitcnt vmcnt(8) lgkmcnt(1)
	v_mul_f64 v[48:49], v[2:3], v[20:21]
	v_mul_f64 v[20:21], v[4:5], v[20:21]
	scratch_load_b128 v[14:17], off, off offset:880
	v_add_f64 v[44:45], v[44:45], v[179:180]
	v_add_f64 v[46:47], v[46:47], v[156:157]
	s_waitcnt vmcnt(8) lgkmcnt(0)
	v_mul_f64 v[156:157], v[6:7], v[24:25]
	v_mul_f64 v[24:25], v[8:9], v[24:25]
	v_fma_f64 v[48:49], v[4:5], v[18:19], v[48:49]
	v_fma_f64 v[18:19], v[2:3], v[18:19], -v[20:21]
	ds_load_b128 v[2:5], v1 offset:1664
	v_add_f64 v[20:21], v[44:45], v[177:178]
	v_add_f64 v[44:45], v[46:47], v[175:176]
	v_fma_f64 v[156:157], v[8:9], v[22:23], v[156:157]
	v_fma_f64 v[22:23], v[6:7], v[22:23], -v[24:25]
	ds_load_b128 v[6:9], v1 offset:1680
	s_waitcnt vmcnt(7) lgkmcnt(1)
	v_mul_f64 v[46:47], v[2:3], v[28:29]
	v_mul_f64 v[28:29], v[4:5], v[28:29]
	v_add_f64 v[18:19], v[20:21], v[18:19]
	v_add_f64 v[20:21], v[44:45], v[48:49]
	s_delay_alu instid0(VALU_DEP_4) | instskip(NEXT) | instid1(VALU_DEP_4)
	v_fma_f64 v[44:45], v[4:5], v[26:27], v[46:47]
	v_fma_f64 v[26:27], v[2:3], v[26:27], -v[28:29]
	ds_load_b128 v[2:5], v1 offset:1696
	v_add_f64 v[22:23], v[18:19], v[22:23]
	v_add_f64 v[28:29], v[20:21], v[156:157]
	scratch_load_b128 v[18:21], off, off offset:176
	s_waitcnt vmcnt(7) lgkmcnt(1)
	v_mul_f64 v[24:25], v[6:7], v[32:33]
	v_mul_f64 v[32:33], v[8:9], v[32:33]
	v_add_f64 v[22:23], v[22:23], v[26:27]
	v_add_f64 v[26:27], v[28:29], v[44:45]
	s_delay_alu instid0(VALU_DEP_4) | instskip(NEXT) | instid1(VALU_DEP_4)
	v_fma_f64 v[24:25], v[8:9], v[30:31], v[24:25]
	v_fma_f64 v[30:31], v[6:7], v[30:31], -v[32:33]
	ds_load_b128 v[6:9], v1 offset:1712
	s_waitcnt vmcnt(6) lgkmcnt(1)
	v_mul_f64 v[46:47], v[2:3], v[36:37]
	v_mul_f64 v[36:37], v[4:5], v[36:37]
	s_waitcnt vmcnt(5) lgkmcnt(0)
	v_mul_f64 v[28:29], v[6:7], v[173:174]
	v_mul_f64 v[32:33], v[8:9], v[173:174]
	v_add_f64 v[24:25], v[26:27], v[24:25]
	v_add_f64 v[22:23], v[22:23], v[30:31]
	v_fma_f64 v[44:45], v[4:5], v[34:35], v[46:47]
	v_fma_f64 v[34:35], v[2:3], v[34:35], -v[36:37]
	ds_load_b128 v[2:5], v1 offset:1728
	v_fma_f64 v[28:29], v[8:9], v[171:172], v[28:29]
	v_fma_f64 v[32:33], v[6:7], v[171:172], -v[32:33]
	ds_load_b128 v[6:9], v1 offset:1744
	s_waitcnt vmcnt(4) lgkmcnt(1)
	v_mul_f64 v[26:27], v[2:3], v[40:41]
	v_mul_f64 v[30:31], v[4:5], v[40:41]
	v_add_f64 v[24:25], v[24:25], v[44:45]
	v_add_f64 v[22:23], v[22:23], v[34:35]
	s_waitcnt vmcnt(3) lgkmcnt(0)
	v_mul_f64 v[34:35], v[6:7], v[169:170]
	v_mul_f64 v[36:37], v[8:9], v[169:170]
	v_fma_f64 v[26:27], v[4:5], v[38:39], v[26:27]
	v_fma_f64 v[30:31], v[2:3], v[38:39], -v[30:31]
	ds_load_b128 v[2:5], v1 offset:1760
	v_add_f64 v[24:25], v[24:25], v[28:29]
	v_add_f64 v[22:23], v[22:23], v[32:33]
	v_fma_f64 v[32:33], v[8:9], v[167:168], v[34:35]
	v_fma_f64 v[34:35], v[6:7], v[167:168], -v[36:37]
	ds_load_b128 v[6:9], v1 offset:1776
	s_waitcnt vmcnt(2) lgkmcnt(1)
	v_mul_f64 v[28:29], v[2:3], v[12:13]
	v_mul_f64 v[12:13], v[4:5], v[12:13]
	v_add_f64 v[24:25], v[24:25], v[26:27]
	v_add_f64 v[22:23], v[22:23], v[30:31]
	s_waitcnt vmcnt(1) lgkmcnt(0)
	v_mul_f64 v[26:27], v[6:7], v[16:17]
	v_mul_f64 v[16:17], v[8:9], v[16:17]
	v_fma_f64 v[4:5], v[4:5], v[10:11], v[28:29]
	v_fma_f64 v[1:2], v[2:3], v[10:11], -v[12:13]
	v_add_f64 v[12:13], v[24:25], v[32:33]
	v_add_f64 v[10:11], v[22:23], v[34:35]
	v_fma_f64 v[8:9], v[8:9], v[14:15], v[26:27]
	v_fma_f64 v[6:7], v[6:7], v[14:15], -v[16:17]
	s_delay_alu instid0(VALU_DEP_4) | instskip(NEXT) | instid1(VALU_DEP_4)
	v_add_f64 v[3:4], v[12:13], v[4:5]
	v_add_f64 v[1:2], v[10:11], v[1:2]
	s_delay_alu instid0(VALU_DEP_2) | instskip(NEXT) | instid1(VALU_DEP_2)
	v_add_f64 v[3:4], v[3:4], v[8:9]
	v_add_f64 v[1:2], v[1:2], v[6:7]
	s_waitcnt vmcnt(0)
	s_delay_alu instid0(VALU_DEP_2) | instskip(NEXT) | instid1(VALU_DEP_2)
	v_add_f64 v[3:4], v[20:21], -v[3:4]
	v_add_f64 v[1:2], v[18:19], -v[1:2]
	scratch_store_b128 off, v[1:4], off offset:176
	v_cmpx_lt_u32_e32 10, v154
	s_cbranch_execz .LBB119_329
; %bb.328:
	scratch_load_b128 v[1:4], v200, off
	v_mov_b32_e32 v5, 0
	s_delay_alu instid0(VALU_DEP_1)
	v_mov_b32_e32 v6, v5
	v_mov_b32_e32 v7, v5
	;; [unrolled: 1-line block ×3, first 2 shown]
	scratch_store_b128 off, v[5:8], off offset:160
	s_waitcnt vmcnt(0)
	ds_store_b128 v210, v[1:4]
.LBB119_329:
	s_or_b32 exec_lo, exec_lo, s2
	s_waitcnt lgkmcnt(0)
	s_waitcnt_vscnt null, 0x0
	s_barrier
	buffer_gl0_inv
	s_clause 0x7
	scratch_load_b128 v[2:5], off, off offset:176
	scratch_load_b128 v[6:9], off, off offset:192
	;; [unrolled: 1-line block ×8, first 2 shown]
	v_mov_b32_e32 v1, 0
	s_clause 0x1
	scratch_load_b128 v[34:37], off, off offset:304
	scratch_load_b128 v[171:174], off, off offset:320
	s_mov_b32 s2, exec_lo
	ds_load_b128 v[38:41], v1 offset:1072
	ds_load_b128 v[167:170], v1 offset:1088
	s_waitcnt vmcnt(9) lgkmcnt(1)
	v_mul_f64 v[44:45], v[40:41], v[4:5]
	v_mul_f64 v[4:5], v[38:39], v[4:5]
	s_waitcnt vmcnt(8) lgkmcnt(0)
	v_mul_f64 v[46:47], v[167:168], v[8:9]
	v_mul_f64 v[8:9], v[169:170], v[8:9]
	s_delay_alu instid0(VALU_DEP_4) | instskip(NEXT) | instid1(VALU_DEP_4)
	v_fma_f64 v[44:45], v[38:39], v[2:3], -v[44:45]
	v_fma_f64 v[48:49], v[40:41], v[2:3], v[4:5]
	ds_load_b128 v[2:5], v1 offset:1104
	scratch_load_b128 v[38:41], off, off offset:336
	v_fma_f64 v[46:47], v[169:170], v[6:7], v[46:47]
	v_fma_f64 v[175:176], v[167:168], v[6:7], -v[8:9]
	scratch_load_b128 v[167:170], off, off offset:352
	ds_load_b128 v[6:9], v1 offset:1120
	s_waitcnt vmcnt(9) lgkmcnt(1)
	v_mul_f64 v[156:157], v[2:3], v[12:13]
	v_mul_f64 v[12:13], v[4:5], v[12:13]
	s_waitcnt vmcnt(8) lgkmcnt(0)
	v_mul_f64 v[177:178], v[6:7], v[16:17]
	v_mul_f64 v[16:17], v[8:9], v[16:17]
	v_add_f64 v[44:45], v[44:45], 0
	v_add_f64 v[48:49], v[48:49], 0
	v_fma_f64 v[156:157], v[4:5], v[10:11], v[156:157]
	v_fma_f64 v[179:180], v[2:3], v[10:11], -v[12:13]
	ds_load_b128 v[2:5], v1 offset:1136
	scratch_load_b128 v[10:13], off, off offset:368
	v_add_f64 v[44:45], v[44:45], v[175:176]
	v_add_f64 v[46:47], v[48:49], v[46:47]
	v_fma_f64 v[175:176], v[8:9], v[14:15], v[177:178]
	v_fma_f64 v[177:178], v[6:7], v[14:15], -v[16:17]
	scratch_load_b128 v[14:17], off, off offset:384
	ds_load_b128 v[6:9], v1 offset:1152
	s_waitcnt vmcnt(9) lgkmcnt(1)
	v_mul_f64 v[48:49], v[2:3], v[20:21]
	v_mul_f64 v[20:21], v[4:5], v[20:21]
	v_add_f64 v[44:45], v[44:45], v[179:180]
	v_add_f64 v[46:47], v[46:47], v[156:157]
	s_waitcnt vmcnt(8) lgkmcnt(0)
	v_mul_f64 v[156:157], v[6:7], v[24:25]
	v_mul_f64 v[24:25], v[8:9], v[24:25]
	v_fma_f64 v[48:49], v[4:5], v[18:19], v[48:49]
	v_fma_f64 v[179:180], v[2:3], v[18:19], -v[20:21]
	ds_load_b128 v[2:5], v1 offset:1168
	scratch_load_b128 v[18:21], off, off offset:400
	v_add_f64 v[44:45], v[44:45], v[177:178]
	v_add_f64 v[46:47], v[46:47], v[175:176]
	v_fma_f64 v[156:157], v[8:9], v[22:23], v[156:157]
	v_fma_f64 v[177:178], v[6:7], v[22:23], -v[24:25]
	scratch_load_b128 v[22:25], off, off offset:416
	ds_load_b128 v[6:9], v1 offset:1184
	s_waitcnt vmcnt(9) lgkmcnt(1)
	v_mul_f64 v[175:176], v[2:3], v[28:29]
	v_mul_f64 v[28:29], v[4:5], v[28:29]
	v_add_f64 v[44:45], v[44:45], v[179:180]
	v_add_f64 v[46:47], v[46:47], v[48:49]
	s_waitcnt vmcnt(8) lgkmcnt(0)
	v_mul_f64 v[48:49], v[6:7], v[32:33]
	v_mul_f64 v[32:33], v[8:9], v[32:33]
	v_fma_f64 v[175:176], v[4:5], v[26:27], v[175:176]
	v_fma_f64 v[179:180], v[2:3], v[26:27], -v[28:29]
	ds_load_b128 v[2:5], v1 offset:1200
	scratch_load_b128 v[26:29], off, off offset:432
	v_add_f64 v[44:45], v[44:45], v[177:178]
	v_add_f64 v[46:47], v[46:47], v[156:157]
	v_fma_f64 v[48:49], v[8:9], v[30:31], v[48:49]
	v_fma_f64 v[177:178], v[6:7], v[30:31], -v[32:33]
	scratch_load_b128 v[30:33], off, off offset:448
	ds_load_b128 v[6:9], v1 offset:1216
	s_waitcnt vmcnt(9) lgkmcnt(1)
	v_mul_f64 v[156:157], v[2:3], v[36:37]
	v_mul_f64 v[36:37], v[4:5], v[36:37]
	v_add_f64 v[44:45], v[44:45], v[179:180]
	v_add_f64 v[46:47], v[46:47], v[175:176]
	s_waitcnt vmcnt(8) lgkmcnt(0)
	v_mul_f64 v[175:176], v[6:7], v[173:174]
	v_mul_f64 v[173:174], v[8:9], v[173:174]
	v_fma_f64 v[156:157], v[4:5], v[34:35], v[156:157]
	v_fma_f64 v[179:180], v[2:3], v[34:35], -v[36:37]
	ds_load_b128 v[2:5], v1 offset:1232
	scratch_load_b128 v[34:37], off, off offset:464
	v_add_f64 v[44:45], v[44:45], v[177:178]
	v_add_f64 v[46:47], v[46:47], v[48:49]
	v_fma_f64 v[175:176], v[8:9], v[171:172], v[175:176]
	v_fma_f64 v[177:178], v[6:7], v[171:172], -v[173:174]
	scratch_load_b128 v[171:174], off, off offset:480
	ds_load_b128 v[6:9], v1 offset:1248
	s_waitcnt vmcnt(9) lgkmcnt(1)
	v_mul_f64 v[48:49], v[2:3], v[40:41]
	v_mul_f64 v[40:41], v[4:5], v[40:41]
	v_add_f64 v[44:45], v[44:45], v[179:180]
	v_add_f64 v[46:47], v[46:47], v[156:157]
	s_waitcnt vmcnt(8) lgkmcnt(0)
	v_mul_f64 v[156:157], v[6:7], v[169:170]
	v_mul_f64 v[169:170], v[8:9], v[169:170]
	v_fma_f64 v[48:49], v[4:5], v[38:39], v[48:49]
	v_fma_f64 v[179:180], v[2:3], v[38:39], -v[40:41]
	ds_load_b128 v[2:5], v1 offset:1264
	scratch_load_b128 v[38:41], off, off offset:496
	v_add_f64 v[44:45], v[44:45], v[177:178]
	v_add_f64 v[46:47], v[46:47], v[175:176]
	v_fma_f64 v[156:157], v[8:9], v[167:168], v[156:157]
	v_fma_f64 v[177:178], v[6:7], v[167:168], -v[169:170]
	scratch_load_b128 v[167:170], off, off offset:512
	ds_load_b128 v[6:9], v1 offset:1280
	s_waitcnt vmcnt(9) lgkmcnt(1)
	v_mul_f64 v[175:176], v[2:3], v[12:13]
	v_mul_f64 v[12:13], v[4:5], v[12:13]
	v_add_f64 v[44:45], v[44:45], v[179:180]
	v_add_f64 v[46:47], v[46:47], v[48:49]
	s_waitcnt vmcnt(8) lgkmcnt(0)
	v_mul_f64 v[48:49], v[6:7], v[16:17]
	v_mul_f64 v[16:17], v[8:9], v[16:17]
	v_fma_f64 v[175:176], v[4:5], v[10:11], v[175:176]
	v_fma_f64 v[179:180], v[2:3], v[10:11], -v[12:13]
	ds_load_b128 v[2:5], v1 offset:1296
	scratch_load_b128 v[10:13], off, off offset:528
	v_add_f64 v[44:45], v[44:45], v[177:178]
	v_add_f64 v[46:47], v[46:47], v[156:157]
	v_fma_f64 v[48:49], v[8:9], v[14:15], v[48:49]
	v_fma_f64 v[177:178], v[6:7], v[14:15], -v[16:17]
	scratch_load_b128 v[14:17], off, off offset:544
	ds_load_b128 v[6:9], v1 offset:1312
	s_waitcnt vmcnt(9) lgkmcnt(1)
	v_mul_f64 v[156:157], v[2:3], v[20:21]
	v_mul_f64 v[20:21], v[4:5], v[20:21]
	v_add_f64 v[44:45], v[44:45], v[179:180]
	v_add_f64 v[46:47], v[46:47], v[175:176]
	s_waitcnt vmcnt(8) lgkmcnt(0)
	v_mul_f64 v[175:176], v[6:7], v[24:25]
	v_mul_f64 v[24:25], v[8:9], v[24:25]
	v_fma_f64 v[156:157], v[4:5], v[18:19], v[156:157]
	v_fma_f64 v[179:180], v[2:3], v[18:19], -v[20:21]
	ds_load_b128 v[2:5], v1 offset:1328
	scratch_load_b128 v[18:21], off, off offset:560
	v_add_f64 v[44:45], v[44:45], v[177:178]
	v_add_f64 v[46:47], v[46:47], v[48:49]
	v_fma_f64 v[175:176], v[8:9], v[22:23], v[175:176]
	v_fma_f64 v[177:178], v[6:7], v[22:23], -v[24:25]
	scratch_load_b128 v[22:25], off, off offset:576
	ds_load_b128 v[6:9], v1 offset:1344
	s_waitcnt vmcnt(9) lgkmcnt(1)
	v_mul_f64 v[48:49], v[2:3], v[28:29]
	v_mul_f64 v[28:29], v[4:5], v[28:29]
	v_add_f64 v[44:45], v[44:45], v[179:180]
	v_add_f64 v[46:47], v[46:47], v[156:157]
	s_waitcnt vmcnt(8) lgkmcnt(0)
	v_mul_f64 v[156:157], v[6:7], v[32:33]
	v_mul_f64 v[32:33], v[8:9], v[32:33]
	v_fma_f64 v[48:49], v[4:5], v[26:27], v[48:49]
	v_fma_f64 v[179:180], v[2:3], v[26:27], -v[28:29]
	ds_load_b128 v[2:5], v1 offset:1360
	scratch_load_b128 v[26:29], off, off offset:592
	v_add_f64 v[44:45], v[44:45], v[177:178]
	v_add_f64 v[46:47], v[46:47], v[175:176]
	v_fma_f64 v[156:157], v[8:9], v[30:31], v[156:157]
	v_fma_f64 v[177:178], v[6:7], v[30:31], -v[32:33]
	scratch_load_b128 v[30:33], off, off offset:608
	ds_load_b128 v[6:9], v1 offset:1376
	s_waitcnt vmcnt(9) lgkmcnt(1)
	v_mul_f64 v[175:176], v[2:3], v[36:37]
	v_mul_f64 v[36:37], v[4:5], v[36:37]
	v_add_f64 v[44:45], v[44:45], v[179:180]
	v_add_f64 v[46:47], v[46:47], v[48:49]
	s_waitcnt vmcnt(8) lgkmcnt(0)
	v_mul_f64 v[48:49], v[6:7], v[173:174]
	v_mul_f64 v[173:174], v[8:9], v[173:174]
	v_fma_f64 v[175:176], v[4:5], v[34:35], v[175:176]
	v_fma_f64 v[179:180], v[2:3], v[34:35], -v[36:37]
	ds_load_b128 v[2:5], v1 offset:1392
	scratch_load_b128 v[34:37], off, off offset:624
	v_add_f64 v[44:45], v[44:45], v[177:178]
	v_add_f64 v[46:47], v[46:47], v[156:157]
	v_fma_f64 v[48:49], v[8:9], v[171:172], v[48:49]
	v_fma_f64 v[177:178], v[6:7], v[171:172], -v[173:174]
	scratch_load_b128 v[171:174], off, off offset:640
	ds_load_b128 v[6:9], v1 offset:1408
	s_waitcnt vmcnt(9) lgkmcnt(1)
	v_mul_f64 v[156:157], v[2:3], v[40:41]
	v_mul_f64 v[40:41], v[4:5], v[40:41]
	v_add_f64 v[44:45], v[44:45], v[179:180]
	v_add_f64 v[46:47], v[46:47], v[175:176]
	s_waitcnt vmcnt(8) lgkmcnt(0)
	v_mul_f64 v[175:176], v[6:7], v[169:170]
	v_mul_f64 v[169:170], v[8:9], v[169:170]
	v_fma_f64 v[156:157], v[4:5], v[38:39], v[156:157]
	v_fma_f64 v[179:180], v[2:3], v[38:39], -v[40:41]
	ds_load_b128 v[2:5], v1 offset:1424
	scratch_load_b128 v[38:41], off, off offset:656
	v_add_f64 v[44:45], v[44:45], v[177:178]
	v_add_f64 v[46:47], v[46:47], v[48:49]
	v_fma_f64 v[175:176], v[8:9], v[167:168], v[175:176]
	v_fma_f64 v[177:178], v[6:7], v[167:168], -v[169:170]
	scratch_load_b128 v[167:170], off, off offset:672
	ds_load_b128 v[6:9], v1 offset:1440
	s_waitcnt vmcnt(9) lgkmcnt(1)
	v_mul_f64 v[48:49], v[2:3], v[12:13]
	v_mul_f64 v[12:13], v[4:5], v[12:13]
	v_add_f64 v[44:45], v[44:45], v[179:180]
	v_add_f64 v[46:47], v[46:47], v[156:157]
	s_waitcnt vmcnt(8) lgkmcnt(0)
	v_mul_f64 v[156:157], v[6:7], v[16:17]
	v_mul_f64 v[16:17], v[8:9], v[16:17]
	v_fma_f64 v[48:49], v[4:5], v[10:11], v[48:49]
	v_fma_f64 v[179:180], v[2:3], v[10:11], -v[12:13]
	ds_load_b128 v[2:5], v1 offset:1456
	scratch_load_b128 v[10:13], off, off offset:688
	v_add_f64 v[44:45], v[44:45], v[177:178]
	v_add_f64 v[46:47], v[46:47], v[175:176]
	v_fma_f64 v[156:157], v[8:9], v[14:15], v[156:157]
	v_fma_f64 v[177:178], v[6:7], v[14:15], -v[16:17]
	scratch_load_b128 v[14:17], off, off offset:704
	ds_load_b128 v[6:9], v1 offset:1472
	s_waitcnt vmcnt(9) lgkmcnt(1)
	v_mul_f64 v[175:176], v[2:3], v[20:21]
	v_mul_f64 v[20:21], v[4:5], v[20:21]
	v_add_f64 v[44:45], v[44:45], v[179:180]
	v_add_f64 v[46:47], v[46:47], v[48:49]
	s_waitcnt vmcnt(8) lgkmcnt(0)
	v_mul_f64 v[48:49], v[6:7], v[24:25]
	v_mul_f64 v[24:25], v[8:9], v[24:25]
	v_fma_f64 v[175:176], v[4:5], v[18:19], v[175:176]
	v_fma_f64 v[179:180], v[2:3], v[18:19], -v[20:21]
	ds_load_b128 v[2:5], v1 offset:1488
	scratch_load_b128 v[18:21], off, off offset:720
	v_add_f64 v[44:45], v[44:45], v[177:178]
	v_add_f64 v[46:47], v[46:47], v[156:157]
	v_fma_f64 v[48:49], v[8:9], v[22:23], v[48:49]
	v_fma_f64 v[177:178], v[6:7], v[22:23], -v[24:25]
	scratch_load_b128 v[22:25], off, off offset:736
	ds_load_b128 v[6:9], v1 offset:1504
	s_waitcnt vmcnt(9) lgkmcnt(1)
	v_mul_f64 v[156:157], v[2:3], v[28:29]
	v_mul_f64 v[28:29], v[4:5], v[28:29]
	v_add_f64 v[44:45], v[44:45], v[179:180]
	v_add_f64 v[46:47], v[46:47], v[175:176]
	s_waitcnt vmcnt(8) lgkmcnt(0)
	v_mul_f64 v[175:176], v[6:7], v[32:33]
	v_mul_f64 v[32:33], v[8:9], v[32:33]
	v_fma_f64 v[156:157], v[4:5], v[26:27], v[156:157]
	v_fma_f64 v[179:180], v[2:3], v[26:27], -v[28:29]
	ds_load_b128 v[2:5], v1 offset:1520
	scratch_load_b128 v[26:29], off, off offset:752
	v_add_f64 v[44:45], v[44:45], v[177:178]
	v_add_f64 v[46:47], v[46:47], v[48:49]
	v_fma_f64 v[175:176], v[8:9], v[30:31], v[175:176]
	v_fma_f64 v[177:178], v[6:7], v[30:31], -v[32:33]
	scratch_load_b128 v[30:33], off, off offset:768
	ds_load_b128 v[6:9], v1 offset:1536
	s_waitcnt vmcnt(9) lgkmcnt(1)
	v_mul_f64 v[48:49], v[2:3], v[36:37]
	v_mul_f64 v[36:37], v[4:5], v[36:37]
	v_add_f64 v[44:45], v[44:45], v[179:180]
	v_add_f64 v[46:47], v[46:47], v[156:157]
	s_waitcnt vmcnt(8) lgkmcnt(0)
	v_mul_f64 v[156:157], v[6:7], v[173:174]
	v_mul_f64 v[173:174], v[8:9], v[173:174]
	v_fma_f64 v[48:49], v[4:5], v[34:35], v[48:49]
	v_fma_f64 v[179:180], v[2:3], v[34:35], -v[36:37]
	ds_load_b128 v[2:5], v1 offset:1552
	scratch_load_b128 v[34:37], off, off offset:784
	v_add_f64 v[44:45], v[44:45], v[177:178]
	v_add_f64 v[46:47], v[46:47], v[175:176]
	v_fma_f64 v[156:157], v[8:9], v[171:172], v[156:157]
	v_fma_f64 v[177:178], v[6:7], v[171:172], -v[173:174]
	ds_load_b128 v[6:9], v1 offset:1568
	s_waitcnt vmcnt(8) lgkmcnt(1)
	v_mul_f64 v[175:176], v[2:3], v[40:41]
	v_mul_f64 v[40:41], v[4:5], v[40:41]
	scratch_load_b128 v[171:174], off, off offset:800
	v_add_f64 v[44:45], v[44:45], v[179:180]
	v_add_f64 v[46:47], v[46:47], v[48:49]
	s_waitcnt vmcnt(8) lgkmcnt(0)
	v_mul_f64 v[48:49], v[6:7], v[169:170]
	v_mul_f64 v[169:170], v[8:9], v[169:170]
	v_fma_f64 v[175:176], v[4:5], v[38:39], v[175:176]
	v_fma_f64 v[179:180], v[2:3], v[38:39], -v[40:41]
	scratch_load_b128 v[38:41], off, off offset:816
	ds_load_b128 v[2:5], v1 offset:1584
	v_add_f64 v[44:45], v[44:45], v[177:178]
	v_add_f64 v[46:47], v[46:47], v[156:157]
	v_fma_f64 v[48:49], v[8:9], v[167:168], v[48:49]
	v_fma_f64 v[177:178], v[6:7], v[167:168], -v[169:170]
	ds_load_b128 v[6:9], v1 offset:1600
	s_waitcnt vmcnt(8) lgkmcnt(1)
	v_mul_f64 v[156:157], v[2:3], v[12:13]
	v_mul_f64 v[12:13], v[4:5], v[12:13]
	scratch_load_b128 v[167:170], off, off offset:832
	v_add_f64 v[44:45], v[44:45], v[179:180]
	v_add_f64 v[46:47], v[46:47], v[175:176]
	s_waitcnt vmcnt(8) lgkmcnt(0)
	v_mul_f64 v[175:176], v[6:7], v[16:17]
	v_mul_f64 v[16:17], v[8:9], v[16:17]
	v_fma_f64 v[156:157], v[4:5], v[10:11], v[156:157]
	v_fma_f64 v[179:180], v[2:3], v[10:11], -v[12:13]
	scratch_load_b128 v[10:13], off, off offset:848
	ds_load_b128 v[2:5], v1 offset:1616
	;; [unrolled: 18-line block ×3, first 2 shown]
	v_add_f64 v[44:45], v[44:45], v[177:178]
	v_add_f64 v[46:47], v[46:47], v[175:176]
	v_fma_f64 v[156:157], v[8:9], v[22:23], v[156:157]
	v_fma_f64 v[22:23], v[6:7], v[22:23], -v[24:25]
	ds_load_b128 v[6:9], v1 offset:1664
	s_waitcnt vmcnt(8) lgkmcnt(1)
	v_mul_f64 v[175:176], v[2:3], v[28:29]
	v_mul_f64 v[28:29], v[4:5], v[28:29]
	v_add_f64 v[24:25], v[44:45], v[179:180]
	v_add_f64 v[44:45], v[46:47], v[48:49]
	s_waitcnt vmcnt(7) lgkmcnt(0)
	v_mul_f64 v[46:47], v[6:7], v[32:33]
	v_mul_f64 v[32:33], v[8:9], v[32:33]
	v_fma_f64 v[48:49], v[4:5], v[26:27], v[175:176]
	v_fma_f64 v[26:27], v[2:3], v[26:27], -v[28:29]
	ds_load_b128 v[2:5], v1 offset:1680
	v_add_f64 v[22:23], v[24:25], v[22:23]
	v_add_f64 v[24:25], v[44:45], v[156:157]
	v_fma_f64 v[44:45], v[8:9], v[30:31], v[46:47]
	v_fma_f64 v[30:31], v[6:7], v[30:31], -v[32:33]
	ds_load_b128 v[6:9], v1 offset:1696
	s_waitcnt vmcnt(5) lgkmcnt(0)
	v_mul_f64 v[46:47], v[6:7], v[173:174]
	v_add_f64 v[26:27], v[22:23], v[26:27]
	v_add_f64 v[32:33], v[24:25], v[48:49]
	scratch_load_b128 v[22:25], off, off offset:160
	v_mul_f64 v[28:29], v[2:3], v[36:37]
	v_mul_f64 v[36:37], v[4:5], v[36:37]
	;; [unrolled: 1-line block ×3, first 2 shown]
	v_add_f64 v[26:27], v[26:27], v[30:31]
	v_add_f64 v[30:31], v[32:33], v[44:45]
	v_fma_f64 v[28:29], v[4:5], v[34:35], v[28:29]
	v_fma_f64 v[34:35], v[2:3], v[34:35], -v[36:37]
	ds_load_b128 v[2:5], v1 offset:1712
	v_fma_f64 v[44:45], v[6:7], v[171:172], -v[48:49]
	s_waitcnt vmcnt(5) lgkmcnt(0)
	v_mul_f64 v[32:33], v[2:3], v[40:41]
	v_mul_f64 v[36:37], v[4:5], v[40:41]
	v_fma_f64 v[40:41], v[8:9], v[171:172], v[46:47]
	ds_load_b128 v[6:9], v1 offset:1728
	v_add_f64 v[28:29], v[30:31], v[28:29]
	v_add_f64 v[26:27], v[26:27], v[34:35]
	v_fma_f64 v[32:33], v[4:5], v[38:39], v[32:33]
	v_fma_f64 v[36:37], v[2:3], v[38:39], -v[36:37]
	ds_load_b128 v[2:5], v1 offset:1744
	s_waitcnt vmcnt(4) lgkmcnt(1)
	v_mul_f64 v[30:31], v[6:7], v[169:170]
	v_mul_f64 v[34:35], v[8:9], v[169:170]
	v_add_f64 v[28:29], v[28:29], v[40:41]
	v_add_f64 v[26:27], v[26:27], v[44:45]
	s_waitcnt vmcnt(3) lgkmcnt(0)
	v_mul_f64 v[38:39], v[2:3], v[12:13]
	v_mul_f64 v[12:13], v[4:5], v[12:13]
	v_fma_f64 v[30:31], v[8:9], v[167:168], v[30:31]
	v_fma_f64 v[34:35], v[6:7], v[167:168], -v[34:35]
	ds_load_b128 v[6:9], v1 offset:1760
	v_add_f64 v[28:29], v[28:29], v[32:33]
	v_add_f64 v[26:27], v[26:27], v[36:37]
	v_fma_f64 v[36:37], v[4:5], v[10:11], v[38:39]
	v_fma_f64 v[10:11], v[2:3], v[10:11], -v[12:13]
	ds_load_b128 v[2:5], v1 offset:1776
	s_waitcnt vmcnt(2) lgkmcnt(1)
	v_mul_f64 v[32:33], v[6:7], v[16:17]
	v_mul_f64 v[16:17], v[8:9], v[16:17]
	v_add_f64 v[12:13], v[26:27], v[34:35]
	v_add_f64 v[26:27], v[28:29], v[30:31]
	s_waitcnt vmcnt(1) lgkmcnt(0)
	v_mul_f64 v[28:29], v[2:3], v[20:21]
	v_mul_f64 v[20:21], v[4:5], v[20:21]
	v_fma_f64 v[8:9], v[8:9], v[14:15], v[32:33]
	v_fma_f64 v[6:7], v[6:7], v[14:15], -v[16:17]
	v_add_f64 v[10:11], v[12:13], v[10:11]
	v_add_f64 v[12:13], v[26:27], v[36:37]
	v_fma_f64 v[4:5], v[4:5], v[18:19], v[28:29]
	v_fma_f64 v[2:3], v[2:3], v[18:19], -v[20:21]
	s_delay_alu instid0(VALU_DEP_4) | instskip(NEXT) | instid1(VALU_DEP_4)
	v_add_f64 v[6:7], v[10:11], v[6:7]
	v_add_f64 v[8:9], v[12:13], v[8:9]
	s_delay_alu instid0(VALU_DEP_2) | instskip(NEXT) | instid1(VALU_DEP_2)
	v_add_f64 v[2:3], v[6:7], v[2:3]
	v_add_f64 v[4:5], v[8:9], v[4:5]
	s_waitcnt vmcnt(0)
	s_delay_alu instid0(VALU_DEP_2) | instskip(NEXT) | instid1(VALU_DEP_2)
	v_add_f64 v[2:3], v[22:23], -v[2:3]
	v_add_f64 v[4:5], v[24:25], -v[4:5]
	scratch_store_b128 off, v[2:5], off offset:160
	v_cmpx_lt_u32_e32 9, v154
	s_cbranch_execz .LBB119_331
; %bb.330:
	scratch_load_b128 v[5:8], v201, off
	v_mov_b32_e32 v2, v1
	v_mov_b32_e32 v3, v1
	;; [unrolled: 1-line block ×3, first 2 shown]
	scratch_store_b128 off, v[1:4], off offset:144
	s_waitcnt vmcnt(0)
	ds_store_b128 v210, v[5:8]
.LBB119_331:
	s_or_b32 exec_lo, exec_lo, s2
	s_waitcnt lgkmcnt(0)
	s_waitcnt_vscnt null, 0x0
	s_barrier
	buffer_gl0_inv
	s_clause 0x7
	scratch_load_b128 v[2:5], off, off offset:160
	scratch_load_b128 v[6:9], off, off offset:176
	scratch_load_b128 v[10:13], off, off offset:192
	scratch_load_b128 v[14:17], off, off offset:208
	scratch_load_b128 v[18:21], off, off offset:224
	scratch_load_b128 v[22:25], off, off offset:240
	scratch_load_b128 v[26:29], off, off offset:256
	scratch_load_b128 v[30:33], off, off offset:272
	ds_load_b128 v[38:41], v1 offset:1056
	ds_load_b128 v[167:170], v1 offset:1072
	s_clause 0x1
	scratch_load_b128 v[34:37], off, off offset:288
	scratch_load_b128 v[171:174], off, off offset:304
	s_mov_b32 s2, exec_lo
	s_waitcnt vmcnt(9) lgkmcnt(1)
	v_mul_f64 v[44:45], v[40:41], v[4:5]
	v_mul_f64 v[4:5], v[38:39], v[4:5]
	s_waitcnt vmcnt(8) lgkmcnt(0)
	v_mul_f64 v[46:47], v[167:168], v[8:9]
	v_mul_f64 v[8:9], v[169:170], v[8:9]
	s_delay_alu instid0(VALU_DEP_4) | instskip(NEXT) | instid1(VALU_DEP_4)
	v_fma_f64 v[44:45], v[38:39], v[2:3], -v[44:45]
	v_fma_f64 v[48:49], v[40:41], v[2:3], v[4:5]
	ds_load_b128 v[2:5], v1 offset:1088
	scratch_load_b128 v[38:41], off, off offset:320
	v_fma_f64 v[46:47], v[169:170], v[6:7], v[46:47]
	v_fma_f64 v[175:176], v[167:168], v[6:7], -v[8:9]
	scratch_load_b128 v[167:170], off, off offset:336
	ds_load_b128 v[6:9], v1 offset:1104
	s_waitcnt vmcnt(9) lgkmcnt(1)
	v_mul_f64 v[156:157], v[2:3], v[12:13]
	v_mul_f64 v[12:13], v[4:5], v[12:13]
	s_waitcnt vmcnt(8) lgkmcnt(0)
	v_mul_f64 v[177:178], v[6:7], v[16:17]
	v_mul_f64 v[16:17], v[8:9], v[16:17]
	v_add_f64 v[44:45], v[44:45], 0
	v_add_f64 v[48:49], v[48:49], 0
	v_fma_f64 v[156:157], v[4:5], v[10:11], v[156:157]
	v_fma_f64 v[179:180], v[2:3], v[10:11], -v[12:13]
	ds_load_b128 v[2:5], v1 offset:1120
	scratch_load_b128 v[10:13], off, off offset:352
	v_add_f64 v[44:45], v[44:45], v[175:176]
	v_add_f64 v[46:47], v[48:49], v[46:47]
	v_fma_f64 v[175:176], v[8:9], v[14:15], v[177:178]
	v_fma_f64 v[177:178], v[6:7], v[14:15], -v[16:17]
	scratch_load_b128 v[14:17], off, off offset:368
	ds_load_b128 v[6:9], v1 offset:1136
	s_waitcnt vmcnt(9) lgkmcnt(1)
	v_mul_f64 v[48:49], v[2:3], v[20:21]
	v_mul_f64 v[20:21], v[4:5], v[20:21]
	v_add_f64 v[44:45], v[44:45], v[179:180]
	v_add_f64 v[46:47], v[46:47], v[156:157]
	s_waitcnt vmcnt(8) lgkmcnt(0)
	v_mul_f64 v[156:157], v[6:7], v[24:25]
	v_mul_f64 v[24:25], v[8:9], v[24:25]
	v_fma_f64 v[48:49], v[4:5], v[18:19], v[48:49]
	v_fma_f64 v[179:180], v[2:3], v[18:19], -v[20:21]
	ds_load_b128 v[2:5], v1 offset:1152
	scratch_load_b128 v[18:21], off, off offset:384
	v_add_f64 v[44:45], v[44:45], v[177:178]
	v_add_f64 v[46:47], v[46:47], v[175:176]
	v_fma_f64 v[156:157], v[8:9], v[22:23], v[156:157]
	v_fma_f64 v[177:178], v[6:7], v[22:23], -v[24:25]
	scratch_load_b128 v[22:25], off, off offset:400
	ds_load_b128 v[6:9], v1 offset:1168
	s_waitcnt vmcnt(9) lgkmcnt(1)
	v_mul_f64 v[175:176], v[2:3], v[28:29]
	v_mul_f64 v[28:29], v[4:5], v[28:29]
	v_add_f64 v[44:45], v[44:45], v[179:180]
	v_add_f64 v[46:47], v[46:47], v[48:49]
	s_waitcnt vmcnt(8) lgkmcnt(0)
	v_mul_f64 v[48:49], v[6:7], v[32:33]
	v_mul_f64 v[32:33], v[8:9], v[32:33]
	;; [unrolled: 18-line block ×13, first 2 shown]
	v_fma_f64 v[48:49], v[4:5], v[34:35], v[48:49]
	v_fma_f64 v[179:180], v[2:3], v[34:35], -v[36:37]
	ds_load_b128 v[2:5], v1 offset:1536
	scratch_load_b128 v[34:37], off, off offset:768
	v_add_f64 v[44:45], v[44:45], v[177:178]
	v_add_f64 v[46:47], v[46:47], v[175:176]
	v_fma_f64 v[156:157], v[8:9], v[171:172], v[156:157]
	v_fma_f64 v[177:178], v[6:7], v[171:172], -v[173:174]
	ds_load_b128 v[6:9], v1 offset:1552
	s_waitcnt vmcnt(8) lgkmcnt(1)
	v_mul_f64 v[175:176], v[2:3], v[40:41]
	v_mul_f64 v[40:41], v[4:5], v[40:41]
	scratch_load_b128 v[171:174], off, off offset:784
	v_add_f64 v[44:45], v[44:45], v[179:180]
	v_add_f64 v[46:47], v[46:47], v[48:49]
	s_waitcnt vmcnt(8) lgkmcnt(0)
	v_mul_f64 v[48:49], v[6:7], v[169:170]
	v_mul_f64 v[169:170], v[8:9], v[169:170]
	v_fma_f64 v[175:176], v[4:5], v[38:39], v[175:176]
	v_fma_f64 v[179:180], v[2:3], v[38:39], -v[40:41]
	ds_load_b128 v[2:5], v1 offset:1568
	scratch_load_b128 v[38:41], off, off offset:800
	v_add_f64 v[44:45], v[44:45], v[177:178]
	v_add_f64 v[46:47], v[46:47], v[156:157]
	v_fma_f64 v[48:49], v[8:9], v[167:168], v[48:49]
	v_fma_f64 v[177:178], v[6:7], v[167:168], -v[169:170]
	ds_load_b128 v[6:9], v1 offset:1584
	s_waitcnt vmcnt(8) lgkmcnt(1)
	v_mul_f64 v[156:157], v[2:3], v[12:13]
	v_mul_f64 v[12:13], v[4:5], v[12:13]
	scratch_load_b128 v[167:170], off, off offset:816
	v_add_f64 v[44:45], v[44:45], v[179:180]
	v_add_f64 v[46:47], v[46:47], v[175:176]
	s_waitcnt vmcnt(8) lgkmcnt(0)
	v_mul_f64 v[175:176], v[6:7], v[16:17]
	v_mul_f64 v[16:17], v[8:9], v[16:17]
	v_fma_f64 v[156:157], v[4:5], v[10:11], v[156:157]
	v_fma_f64 v[179:180], v[2:3], v[10:11], -v[12:13]
	scratch_load_b128 v[10:13], off, off offset:832
	ds_load_b128 v[2:5], v1 offset:1600
	v_add_f64 v[44:45], v[44:45], v[177:178]
	v_add_f64 v[46:47], v[46:47], v[48:49]
	v_fma_f64 v[175:176], v[8:9], v[14:15], v[175:176]
	v_fma_f64 v[177:178], v[6:7], v[14:15], -v[16:17]
	ds_load_b128 v[6:9], v1 offset:1616
	s_waitcnt vmcnt(8) lgkmcnt(1)
	v_mul_f64 v[48:49], v[2:3], v[20:21]
	v_mul_f64 v[20:21], v[4:5], v[20:21]
	scratch_load_b128 v[14:17], off, off offset:848
	v_add_f64 v[44:45], v[44:45], v[179:180]
	v_add_f64 v[46:47], v[46:47], v[156:157]
	s_waitcnt vmcnt(8) lgkmcnt(0)
	v_mul_f64 v[156:157], v[6:7], v[24:25]
	v_mul_f64 v[24:25], v[8:9], v[24:25]
	v_fma_f64 v[48:49], v[4:5], v[18:19], v[48:49]
	v_fma_f64 v[179:180], v[2:3], v[18:19], -v[20:21]
	scratch_load_b128 v[18:21], off, off offset:864
	ds_load_b128 v[2:5], v1 offset:1632
	v_add_f64 v[44:45], v[44:45], v[177:178]
	v_add_f64 v[46:47], v[46:47], v[175:176]
	v_fma_f64 v[156:157], v[8:9], v[22:23], v[156:157]
	v_fma_f64 v[177:178], v[6:7], v[22:23], -v[24:25]
	ds_load_b128 v[6:9], v1 offset:1648
	s_waitcnt vmcnt(8) lgkmcnt(1)
	v_mul_f64 v[175:176], v[2:3], v[28:29]
	v_mul_f64 v[28:29], v[4:5], v[28:29]
	scratch_load_b128 v[22:25], off, off offset:880
	v_add_f64 v[44:45], v[44:45], v[179:180]
	v_add_f64 v[46:47], v[46:47], v[48:49]
	s_waitcnt vmcnt(8) lgkmcnt(0)
	v_mul_f64 v[48:49], v[6:7], v[32:33]
	v_mul_f64 v[32:33], v[8:9], v[32:33]
	v_fma_f64 v[175:176], v[4:5], v[26:27], v[175:176]
	v_fma_f64 v[26:27], v[2:3], v[26:27], -v[28:29]
	ds_load_b128 v[2:5], v1 offset:1664
	v_add_f64 v[28:29], v[44:45], v[177:178]
	v_add_f64 v[44:45], v[46:47], v[156:157]
	v_fma_f64 v[48:49], v[8:9], v[30:31], v[48:49]
	v_fma_f64 v[30:31], v[6:7], v[30:31], -v[32:33]
	ds_load_b128 v[6:9], v1 offset:1680
	s_waitcnt vmcnt(7) lgkmcnt(1)
	v_mul_f64 v[46:47], v[2:3], v[36:37]
	v_mul_f64 v[36:37], v[4:5], v[36:37]
	v_add_f64 v[26:27], v[28:29], v[26:27]
	v_add_f64 v[28:29], v[44:45], v[175:176]
	s_delay_alu instid0(VALU_DEP_4) | instskip(NEXT) | instid1(VALU_DEP_4)
	v_fma_f64 v[46:47], v[4:5], v[34:35], v[46:47]
	v_fma_f64 v[34:35], v[2:3], v[34:35], -v[36:37]
	ds_load_b128 v[2:5], v1 offset:1696
	v_add_f64 v[30:31], v[26:27], v[30:31]
	v_add_f64 v[36:37], v[28:29], v[48:49]
	scratch_load_b128 v[26:29], off, off offset:144
	s_waitcnt vmcnt(7) lgkmcnt(1)
	v_mul_f64 v[32:33], v[6:7], v[173:174]
	v_mul_f64 v[44:45], v[8:9], v[173:174]
	v_add_f64 v[30:31], v[30:31], v[34:35]
	v_add_f64 v[34:35], v[36:37], v[46:47]
	s_delay_alu instid0(VALU_DEP_4) | instskip(NEXT) | instid1(VALU_DEP_4)
	v_fma_f64 v[32:33], v[8:9], v[171:172], v[32:33]
	v_fma_f64 v[44:45], v[6:7], v[171:172], -v[44:45]
	ds_load_b128 v[6:9], v1 offset:1712
	s_waitcnt vmcnt(6) lgkmcnt(1)
	v_mul_f64 v[48:49], v[2:3], v[40:41]
	v_mul_f64 v[40:41], v[4:5], v[40:41]
	s_waitcnt vmcnt(5) lgkmcnt(0)
	v_mul_f64 v[36:37], v[6:7], v[169:170]
	v_mul_f64 v[46:47], v[8:9], v[169:170]
	v_add_f64 v[32:33], v[34:35], v[32:33]
	v_add_f64 v[30:31], v[30:31], v[44:45]
	v_fma_f64 v[48:49], v[4:5], v[38:39], v[48:49]
	v_fma_f64 v[38:39], v[2:3], v[38:39], -v[40:41]
	ds_load_b128 v[2:5], v1 offset:1728
	v_fma_f64 v[36:37], v[8:9], v[167:168], v[36:37]
	v_fma_f64 v[40:41], v[6:7], v[167:168], -v[46:47]
	ds_load_b128 v[6:9], v1 offset:1744
	s_waitcnt vmcnt(4) lgkmcnt(1)
	v_mul_f64 v[34:35], v[2:3], v[12:13]
	v_mul_f64 v[12:13], v[4:5], v[12:13]
	v_add_f64 v[32:33], v[32:33], v[48:49]
	v_add_f64 v[30:31], v[30:31], v[38:39]
	s_waitcnt vmcnt(3) lgkmcnt(0)
	v_mul_f64 v[38:39], v[6:7], v[16:17]
	v_mul_f64 v[16:17], v[8:9], v[16:17]
	v_fma_f64 v[34:35], v[4:5], v[10:11], v[34:35]
	v_fma_f64 v[10:11], v[2:3], v[10:11], -v[12:13]
	ds_load_b128 v[2:5], v1 offset:1760
	v_add_f64 v[12:13], v[30:31], v[40:41]
	v_add_f64 v[30:31], v[32:33], v[36:37]
	v_fma_f64 v[36:37], v[8:9], v[14:15], v[38:39]
	v_fma_f64 v[14:15], v[6:7], v[14:15], -v[16:17]
	ds_load_b128 v[6:9], v1 offset:1776
	s_waitcnt vmcnt(2) lgkmcnt(1)
	v_mul_f64 v[32:33], v[2:3], v[20:21]
	v_mul_f64 v[20:21], v[4:5], v[20:21]
	s_waitcnt vmcnt(1) lgkmcnt(0)
	v_mul_f64 v[16:17], v[6:7], v[24:25]
	v_mul_f64 v[24:25], v[8:9], v[24:25]
	v_add_f64 v[10:11], v[12:13], v[10:11]
	v_add_f64 v[12:13], v[30:31], v[34:35]
	v_fma_f64 v[4:5], v[4:5], v[18:19], v[32:33]
	v_fma_f64 v[1:2], v[2:3], v[18:19], -v[20:21]
	v_fma_f64 v[8:9], v[8:9], v[22:23], v[16:17]
	v_fma_f64 v[6:7], v[6:7], v[22:23], -v[24:25]
	v_add_f64 v[10:11], v[10:11], v[14:15]
	v_add_f64 v[12:13], v[12:13], v[36:37]
	s_delay_alu instid0(VALU_DEP_2) | instskip(NEXT) | instid1(VALU_DEP_2)
	v_add_f64 v[1:2], v[10:11], v[1:2]
	v_add_f64 v[3:4], v[12:13], v[4:5]
	s_delay_alu instid0(VALU_DEP_2) | instskip(NEXT) | instid1(VALU_DEP_2)
	v_add_f64 v[1:2], v[1:2], v[6:7]
	v_add_f64 v[3:4], v[3:4], v[8:9]
	s_waitcnt vmcnt(0)
	s_delay_alu instid0(VALU_DEP_2) | instskip(NEXT) | instid1(VALU_DEP_2)
	v_add_f64 v[1:2], v[26:27], -v[1:2]
	v_add_f64 v[3:4], v[28:29], -v[3:4]
	scratch_store_b128 off, v[1:4], off offset:144
	v_cmpx_lt_u32_e32 8, v154
	s_cbranch_execz .LBB119_333
; %bb.332:
	scratch_load_b128 v[1:4], v202, off
	v_mov_b32_e32 v5, 0
	s_delay_alu instid0(VALU_DEP_1)
	v_mov_b32_e32 v6, v5
	v_mov_b32_e32 v7, v5
	v_mov_b32_e32 v8, v5
	scratch_store_b128 off, v[5:8], off offset:128
	s_waitcnt vmcnt(0)
	ds_store_b128 v210, v[1:4]
.LBB119_333:
	s_or_b32 exec_lo, exec_lo, s2
	s_waitcnt lgkmcnt(0)
	s_waitcnt_vscnt null, 0x0
	s_barrier
	buffer_gl0_inv
	s_clause 0x7
	scratch_load_b128 v[2:5], off, off offset:144
	scratch_load_b128 v[6:9], off, off offset:160
	;; [unrolled: 1-line block ×8, first 2 shown]
	v_mov_b32_e32 v1, 0
	s_clause 0x1
	scratch_load_b128 v[34:37], off, off offset:272
	scratch_load_b128 v[171:174], off, off offset:288
	s_mov_b32 s2, exec_lo
	ds_load_b128 v[38:41], v1 offset:1040
	ds_load_b128 v[167:170], v1 offset:1056
	s_waitcnt vmcnt(9) lgkmcnt(1)
	v_mul_f64 v[44:45], v[40:41], v[4:5]
	v_mul_f64 v[4:5], v[38:39], v[4:5]
	s_waitcnt vmcnt(8) lgkmcnt(0)
	v_mul_f64 v[46:47], v[167:168], v[8:9]
	v_mul_f64 v[8:9], v[169:170], v[8:9]
	s_delay_alu instid0(VALU_DEP_4) | instskip(NEXT) | instid1(VALU_DEP_4)
	v_fma_f64 v[44:45], v[38:39], v[2:3], -v[44:45]
	v_fma_f64 v[48:49], v[40:41], v[2:3], v[4:5]
	ds_load_b128 v[2:5], v1 offset:1072
	scratch_load_b128 v[38:41], off, off offset:304
	v_fma_f64 v[46:47], v[169:170], v[6:7], v[46:47]
	v_fma_f64 v[175:176], v[167:168], v[6:7], -v[8:9]
	scratch_load_b128 v[167:170], off, off offset:320
	ds_load_b128 v[6:9], v1 offset:1088
	s_waitcnt vmcnt(9) lgkmcnt(1)
	v_mul_f64 v[156:157], v[2:3], v[12:13]
	v_mul_f64 v[12:13], v[4:5], v[12:13]
	s_waitcnt vmcnt(8) lgkmcnt(0)
	v_mul_f64 v[177:178], v[6:7], v[16:17]
	v_mul_f64 v[16:17], v[8:9], v[16:17]
	v_add_f64 v[44:45], v[44:45], 0
	v_add_f64 v[48:49], v[48:49], 0
	v_fma_f64 v[156:157], v[4:5], v[10:11], v[156:157]
	v_fma_f64 v[179:180], v[2:3], v[10:11], -v[12:13]
	ds_load_b128 v[2:5], v1 offset:1104
	scratch_load_b128 v[10:13], off, off offset:336
	v_add_f64 v[44:45], v[44:45], v[175:176]
	v_add_f64 v[46:47], v[48:49], v[46:47]
	v_fma_f64 v[175:176], v[8:9], v[14:15], v[177:178]
	v_fma_f64 v[177:178], v[6:7], v[14:15], -v[16:17]
	scratch_load_b128 v[14:17], off, off offset:352
	ds_load_b128 v[6:9], v1 offset:1120
	s_waitcnt vmcnt(9) lgkmcnt(1)
	v_mul_f64 v[48:49], v[2:3], v[20:21]
	v_mul_f64 v[20:21], v[4:5], v[20:21]
	v_add_f64 v[44:45], v[44:45], v[179:180]
	v_add_f64 v[46:47], v[46:47], v[156:157]
	s_waitcnt vmcnt(8) lgkmcnt(0)
	v_mul_f64 v[156:157], v[6:7], v[24:25]
	v_mul_f64 v[24:25], v[8:9], v[24:25]
	v_fma_f64 v[48:49], v[4:5], v[18:19], v[48:49]
	v_fma_f64 v[179:180], v[2:3], v[18:19], -v[20:21]
	ds_load_b128 v[2:5], v1 offset:1136
	scratch_load_b128 v[18:21], off, off offset:368
	v_add_f64 v[44:45], v[44:45], v[177:178]
	v_add_f64 v[46:47], v[46:47], v[175:176]
	v_fma_f64 v[156:157], v[8:9], v[22:23], v[156:157]
	v_fma_f64 v[177:178], v[6:7], v[22:23], -v[24:25]
	scratch_load_b128 v[22:25], off, off offset:384
	ds_load_b128 v[6:9], v1 offset:1152
	s_waitcnt vmcnt(9) lgkmcnt(1)
	v_mul_f64 v[175:176], v[2:3], v[28:29]
	v_mul_f64 v[28:29], v[4:5], v[28:29]
	v_add_f64 v[44:45], v[44:45], v[179:180]
	v_add_f64 v[46:47], v[46:47], v[48:49]
	s_waitcnt vmcnt(8) lgkmcnt(0)
	v_mul_f64 v[48:49], v[6:7], v[32:33]
	v_mul_f64 v[32:33], v[8:9], v[32:33]
	;; [unrolled: 18-line block ×13, first 2 shown]
	v_fma_f64 v[48:49], v[4:5], v[34:35], v[48:49]
	v_fma_f64 v[179:180], v[2:3], v[34:35], -v[36:37]
	ds_load_b128 v[2:5], v1 offset:1520
	scratch_load_b128 v[34:37], off, off offset:752
	v_add_f64 v[44:45], v[44:45], v[177:178]
	v_add_f64 v[46:47], v[46:47], v[175:176]
	v_fma_f64 v[156:157], v[8:9], v[171:172], v[156:157]
	v_fma_f64 v[177:178], v[6:7], v[171:172], -v[173:174]
	ds_load_b128 v[6:9], v1 offset:1536
	s_waitcnt vmcnt(8) lgkmcnt(1)
	v_mul_f64 v[175:176], v[2:3], v[40:41]
	v_mul_f64 v[40:41], v[4:5], v[40:41]
	scratch_load_b128 v[171:174], off, off offset:768
	v_add_f64 v[44:45], v[44:45], v[179:180]
	v_add_f64 v[46:47], v[46:47], v[48:49]
	s_waitcnt vmcnt(8) lgkmcnt(0)
	v_mul_f64 v[48:49], v[6:7], v[169:170]
	v_mul_f64 v[169:170], v[8:9], v[169:170]
	v_fma_f64 v[175:176], v[4:5], v[38:39], v[175:176]
	v_fma_f64 v[179:180], v[2:3], v[38:39], -v[40:41]
	ds_load_b128 v[2:5], v1 offset:1552
	scratch_load_b128 v[38:41], off, off offset:784
	v_add_f64 v[44:45], v[44:45], v[177:178]
	v_add_f64 v[46:47], v[46:47], v[156:157]
	v_fma_f64 v[48:49], v[8:9], v[167:168], v[48:49]
	v_fma_f64 v[177:178], v[6:7], v[167:168], -v[169:170]
	ds_load_b128 v[6:9], v1 offset:1568
	s_waitcnt vmcnt(8) lgkmcnt(1)
	v_mul_f64 v[156:157], v[2:3], v[12:13]
	v_mul_f64 v[12:13], v[4:5], v[12:13]
	scratch_load_b128 v[167:170], off, off offset:800
	v_add_f64 v[44:45], v[44:45], v[179:180]
	v_add_f64 v[46:47], v[46:47], v[175:176]
	s_waitcnt vmcnt(8) lgkmcnt(0)
	v_mul_f64 v[175:176], v[6:7], v[16:17]
	v_mul_f64 v[16:17], v[8:9], v[16:17]
	v_fma_f64 v[156:157], v[4:5], v[10:11], v[156:157]
	v_fma_f64 v[179:180], v[2:3], v[10:11], -v[12:13]
	scratch_load_b128 v[10:13], off, off offset:816
	ds_load_b128 v[2:5], v1 offset:1584
	v_add_f64 v[44:45], v[44:45], v[177:178]
	v_add_f64 v[46:47], v[46:47], v[48:49]
	v_fma_f64 v[175:176], v[8:9], v[14:15], v[175:176]
	v_fma_f64 v[177:178], v[6:7], v[14:15], -v[16:17]
	ds_load_b128 v[6:9], v1 offset:1600
	s_waitcnt vmcnt(8) lgkmcnt(1)
	v_mul_f64 v[48:49], v[2:3], v[20:21]
	v_mul_f64 v[20:21], v[4:5], v[20:21]
	scratch_load_b128 v[14:17], off, off offset:832
	v_add_f64 v[44:45], v[44:45], v[179:180]
	v_add_f64 v[46:47], v[46:47], v[156:157]
	s_waitcnt vmcnt(8) lgkmcnt(0)
	v_mul_f64 v[156:157], v[6:7], v[24:25]
	v_mul_f64 v[24:25], v[8:9], v[24:25]
	v_fma_f64 v[48:49], v[4:5], v[18:19], v[48:49]
	v_fma_f64 v[179:180], v[2:3], v[18:19], -v[20:21]
	scratch_load_b128 v[18:21], off, off offset:848
	ds_load_b128 v[2:5], v1 offset:1616
	;; [unrolled: 18-line block ×3, first 2 shown]
	v_add_f64 v[44:45], v[44:45], v[177:178]
	v_add_f64 v[46:47], v[46:47], v[156:157]
	v_fma_f64 v[48:49], v[8:9], v[30:31], v[48:49]
	v_fma_f64 v[30:31], v[6:7], v[30:31], -v[32:33]
	ds_load_b128 v[6:9], v1 offset:1664
	s_waitcnt vmcnt(8) lgkmcnt(1)
	v_mul_f64 v[156:157], v[2:3], v[36:37]
	v_mul_f64 v[36:37], v[4:5], v[36:37]
	v_add_f64 v[32:33], v[44:45], v[179:180]
	v_add_f64 v[44:45], v[46:47], v[175:176]
	s_delay_alu instid0(VALU_DEP_4) | instskip(NEXT) | instid1(VALU_DEP_4)
	v_fma_f64 v[156:157], v[4:5], v[34:35], v[156:157]
	v_fma_f64 v[34:35], v[2:3], v[34:35], -v[36:37]
	ds_load_b128 v[2:5], v1 offset:1680
	v_add_f64 v[30:31], v[32:33], v[30:31]
	v_add_f64 v[32:33], v[44:45], v[48:49]
	s_delay_alu instid0(VALU_DEP_2) | instskip(NEXT) | instid1(VALU_DEP_2)
	v_add_f64 v[34:35], v[30:31], v[34:35]
	v_add_f64 v[48:49], v[32:33], v[156:157]
	scratch_load_b128 v[30:33], off, off offset:128
	s_waitcnt vmcnt(8) lgkmcnt(1)
	v_mul_f64 v[46:47], v[6:7], v[173:174]
	v_mul_f64 v[173:174], v[8:9], v[173:174]
	s_delay_alu instid0(VALU_DEP_2) | instskip(NEXT) | instid1(VALU_DEP_2)
	v_fma_f64 v[44:45], v[8:9], v[171:172], v[46:47]
	v_fma_f64 v[46:47], v[6:7], v[171:172], -v[173:174]
	ds_load_b128 v[6:9], v1 offset:1696
	s_waitcnt vmcnt(7) lgkmcnt(1)
	v_mul_f64 v[36:37], v[2:3], v[40:41]
	v_mul_f64 v[40:41], v[4:5], v[40:41]
	s_waitcnt vmcnt(6) lgkmcnt(0)
	v_mul_f64 v[156:157], v[6:7], v[169:170]
	v_mul_f64 v[169:170], v[8:9], v[169:170]
	v_add_f64 v[34:35], v[34:35], v[46:47]
	v_fma_f64 v[36:37], v[4:5], v[38:39], v[36:37]
	v_fma_f64 v[38:39], v[2:3], v[38:39], -v[40:41]
	v_add_f64 v[40:41], v[48:49], v[44:45]
	ds_load_b128 v[2:5], v1 offset:1712
	v_fma_f64 v[46:47], v[8:9], v[167:168], v[156:157]
	v_fma_f64 v[48:49], v[6:7], v[167:168], -v[169:170]
	ds_load_b128 v[6:9], v1 offset:1728
	s_waitcnt vmcnt(5) lgkmcnt(1)
	v_mul_f64 v[44:45], v[2:3], v[12:13]
	v_mul_f64 v[12:13], v[4:5], v[12:13]
	v_add_f64 v[34:35], v[34:35], v[38:39]
	v_add_f64 v[36:37], v[40:41], v[36:37]
	s_waitcnt vmcnt(4) lgkmcnt(0)
	v_mul_f64 v[38:39], v[6:7], v[16:17]
	v_mul_f64 v[16:17], v[8:9], v[16:17]
	v_fma_f64 v[40:41], v[4:5], v[10:11], v[44:45]
	v_fma_f64 v[10:11], v[2:3], v[10:11], -v[12:13]
	ds_load_b128 v[2:5], v1 offset:1744
	v_add_f64 v[12:13], v[34:35], v[48:49]
	v_add_f64 v[34:35], v[36:37], v[46:47]
	v_fma_f64 v[38:39], v[8:9], v[14:15], v[38:39]
	v_fma_f64 v[14:15], v[6:7], v[14:15], -v[16:17]
	ds_load_b128 v[6:9], v1 offset:1760
	s_waitcnt vmcnt(3) lgkmcnt(1)
	v_mul_f64 v[36:37], v[2:3], v[20:21]
	v_mul_f64 v[20:21], v[4:5], v[20:21]
	s_waitcnt vmcnt(2) lgkmcnt(0)
	v_mul_f64 v[16:17], v[6:7], v[24:25]
	v_mul_f64 v[24:25], v[8:9], v[24:25]
	v_add_f64 v[10:11], v[12:13], v[10:11]
	v_add_f64 v[12:13], v[34:35], v[40:41]
	v_fma_f64 v[34:35], v[4:5], v[18:19], v[36:37]
	v_fma_f64 v[18:19], v[2:3], v[18:19], -v[20:21]
	ds_load_b128 v[2:5], v1 offset:1776
	v_fma_f64 v[8:9], v[8:9], v[22:23], v[16:17]
	v_fma_f64 v[6:7], v[6:7], v[22:23], -v[24:25]
	s_waitcnt vmcnt(1) lgkmcnt(0)
	v_mul_f64 v[20:21], v[4:5], v[28:29]
	v_add_f64 v[10:11], v[10:11], v[14:15]
	v_add_f64 v[12:13], v[12:13], v[38:39]
	v_mul_f64 v[14:15], v[2:3], v[28:29]
	s_delay_alu instid0(VALU_DEP_4) | instskip(NEXT) | instid1(VALU_DEP_4)
	v_fma_f64 v[2:3], v[2:3], v[26:27], -v[20:21]
	v_add_f64 v[10:11], v[10:11], v[18:19]
	s_delay_alu instid0(VALU_DEP_4) | instskip(NEXT) | instid1(VALU_DEP_4)
	v_add_f64 v[12:13], v[12:13], v[34:35]
	v_fma_f64 v[4:5], v[4:5], v[26:27], v[14:15]
	s_delay_alu instid0(VALU_DEP_3) | instskip(NEXT) | instid1(VALU_DEP_3)
	v_add_f64 v[6:7], v[10:11], v[6:7]
	v_add_f64 v[8:9], v[12:13], v[8:9]
	s_delay_alu instid0(VALU_DEP_2) | instskip(NEXT) | instid1(VALU_DEP_2)
	v_add_f64 v[2:3], v[6:7], v[2:3]
	v_add_f64 v[4:5], v[8:9], v[4:5]
	s_waitcnt vmcnt(0)
	s_delay_alu instid0(VALU_DEP_2) | instskip(NEXT) | instid1(VALU_DEP_2)
	v_add_f64 v[2:3], v[30:31], -v[2:3]
	v_add_f64 v[4:5], v[32:33], -v[4:5]
	scratch_store_b128 off, v[2:5], off offset:128
	v_cmpx_lt_u32_e32 7, v154
	s_cbranch_execz .LBB119_335
; %bb.334:
	scratch_load_b128 v[5:8], v203, off
	v_mov_b32_e32 v2, v1
	v_mov_b32_e32 v3, v1
	;; [unrolled: 1-line block ×3, first 2 shown]
	scratch_store_b128 off, v[1:4], off offset:112
	s_waitcnt vmcnt(0)
	ds_store_b128 v210, v[5:8]
.LBB119_335:
	s_or_b32 exec_lo, exec_lo, s2
	s_waitcnt lgkmcnt(0)
	s_waitcnt_vscnt null, 0x0
	s_barrier
	buffer_gl0_inv
	s_clause 0x7
	scratch_load_b128 v[2:5], off, off offset:128
	scratch_load_b128 v[6:9], off, off offset:144
	;; [unrolled: 1-line block ×8, first 2 shown]
	ds_load_b128 v[38:41], v1 offset:1024
	ds_load_b128 v[167:170], v1 offset:1040
	s_clause 0x1
	scratch_load_b128 v[34:37], off, off offset:256
	scratch_load_b128 v[171:174], off, off offset:272
	s_mov_b32 s2, exec_lo
	s_waitcnt vmcnt(9) lgkmcnt(1)
	v_mul_f64 v[44:45], v[40:41], v[4:5]
	v_mul_f64 v[4:5], v[38:39], v[4:5]
	s_waitcnt vmcnt(8) lgkmcnt(0)
	v_mul_f64 v[46:47], v[167:168], v[8:9]
	v_mul_f64 v[8:9], v[169:170], v[8:9]
	s_delay_alu instid0(VALU_DEP_4) | instskip(NEXT) | instid1(VALU_DEP_4)
	v_fma_f64 v[44:45], v[38:39], v[2:3], -v[44:45]
	v_fma_f64 v[48:49], v[40:41], v[2:3], v[4:5]
	ds_load_b128 v[2:5], v1 offset:1056
	scratch_load_b128 v[38:41], off, off offset:288
	v_fma_f64 v[46:47], v[169:170], v[6:7], v[46:47]
	v_fma_f64 v[175:176], v[167:168], v[6:7], -v[8:9]
	scratch_load_b128 v[167:170], off, off offset:304
	ds_load_b128 v[6:9], v1 offset:1072
	s_waitcnt vmcnt(9) lgkmcnt(1)
	v_mul_f64 v[156:157], v[2:3], v[12:13]
	v_mul_f64 v[12:13], v[4:5], v[12:13]
	s_waitcnt vmcnt(8) lgkmcnt(0)
	v_mul_f64 v[177:178], v[6:7], v[16:17]
	v_mul_f64 v[16:17], v[8:9], v[16:17]
	v_add_f64 v[44:45], v[44:45], 0
	v_add_f64 v[48:49], v[48:49], 0
	v_fma_f64 v[156:157], v[4:5], v[10:11], v[156:157]
	v_fma_f64 v[179:180], v[2:3], v[10:11], -v[12:13]
	ds_load_b128 v[2:5], v1 offset:1088
	scratch_load_b128 v[10:13], off, off offset:320
	v_add_f64 v[44:45], v[44:45], v[175:176]
	v_add_f64 v[46:47], v[48:49], v[46:47]
	v_fma_f64 v[175:176], v[8:9], v[14:15], v[177:178]
	v_fma_f64 v[177:178], v[6:7], v[14:15], -v[16:17]
	scratch_load_b128 v[14:17], off, off offset:336
	ds_load_b128 v[6:9], v1 offset:1104
	s_waitcnt vmcnt(9) lgkmcnt(1)
	v_mul_f64 v[48:49], v[2:3], v[20:21]
	v_mul_f64 v[20:21], v[4:5], v[20:21]
	v_add_f64 v[44:45], v[44:45], v[179:180]
	v_add_f64 v[46:47], v[46:47], v[156:157]
	s_waitcnt vmcnt(8) lgkmcnt(0)
	v_mul_f64 v[156:157], v[6:7], v[24:25]
	v_mul_f64 v[24:25], v[8:9], v[24:25]
	v_fma_f64 v[48:49], v[4:5], v[18:19], v[48:49]
	v_fma_f64 v[179:180], v[2:3], v[18:19], -v[20:21]
	ds_load_b128 v[2:5], v1 offset:1120
	scratch_load_b128 v[18:21], off, off offset:352
	v_add_f64 v[44:45], v[44:45], v[177:178]
	v_add_f64 v[46:47], v[46:47], v[175:176]
	v_fma_f64 v[156:157], v[8:9], v[22:23], v[156:157]
	v_fma_f64 v[177:178], v[6:7], v[22:23], -v[24:25]
	scratch_load_b128 v[22:25], off, off offset:368
	ds_load_b128 v[6:9], v1 offset:1136
	s_waitcnt vmcnt(9) lgkmcnt(1)
	v_mul_f64 v[175:176], v[2:3], v[28:29]
	v_mul_f64 v[28:29], v[4:5], v[28:29]
	v_add_f64 v[44:45], v[44:45], v[179:180]
	v_add_f64 v[46:47], v[46:47], v[48:49]
	s_waitcnt vmcnt(8) lgkmcnt(0)
	v_mul_f64 v[48:49], v[6:7], v[32:33]
	v_mul_f64 v[32:33], v[8:9], v[32:33]
	;; [unrolled: 18-line block ×14, first 2 shown]
	v_fma_f64 v[175:176], v[4:5], v[38:39], v[175:176]
	v_fma_f64 v[179:180], v[2:3], v[38:39], -v[40:41]
	ds_load_b128 v[2:5], v1 offset:1536
	scratch_load_b128 v[38:41], off, off offset:768
	v_add_f64 v[44:45], v[44:45], v[177:178]
	v_add_f64 v[46:47], v[46:47], v[156:157]
	v_fma_f64 v[48:49], v[8:9], v[167:168], v[48:49]
	v_fma_f64 v[177:178], v[6:7], v[167:168], -v[169:170]
	ds_load_b128 v[6:9], v1 offset:1552
	s_waitcnt vmcnt(8) lgkmcnt(1)
	v_mul_f64 v[156:157], v[2:3], v[12:13]
	v_mul_f64 v[12:13], v[4:5], v[12:13]
	scratch_load_b128 v[167:170], off, off offset:784
	v_add_f64 v[44:45], v[44:45], v[179:180]
	v_add_f64 v[46:47], v[46:47], v[175:176]
	s_waitcnt vmcnt(8) lgkmcnt(0)
	v_mul_f64 v[175:176], v[6:7], v[16:17]
	v_mul_f64 v[16:17], v[8:9], v[16:17]
	v_fma_f64 v[156:157], v[4:5], v[10:11], v[156:157]
	v_fma_f64 v[179:180], v[2:3], v[10:11], -v[12:13]
	ds_load_b128 v[2:5], v1 offset:1568
	scratch_load_b128 v[10:13], off, off offset:800
	v_add_f64 v[44:45], v[44:45], v[177:178]
	v_add_f64 v[46:47], v[46:47], v[48:49]
	v_fma_f64 v[175:176], v[8:9], v[14:15], v[175:176]
	v_fma_f64 v[177:178], v[6:7], v[14:15], -v[16:17]
	ds_load_b128 v[6:9], v1 offset:1584
	s_waitcnt vmcnt(8) lgkmcnt(1)
	v_mul_f64 v[48:49], v[2:3], v[20:21]
	v_mul_f64 v[20:21], v[4:5], v[20:21]
	scratch_load_b128 v[14:17], off, off offset:816
	v_add_f64 v[44:45], v[44:45], v[179:180]
	v_add_f64 v[46:47], v[46:47], v[156:157]
	s_waitcnt vmcnt(8) lgkmcnt(0)
	v_mul_f64 v[156:157], v[6:7], v[24:25]
	v_mul_f64 v[24:25], v[8:9], v[24:25]
	v_fma_f64 v[48:49], v[4:5], v[18:19], v[48:49]
	v_fma_f64 v[179:180], v[2:3], v[18:19], -v[20:21]
	scratch_load_b128 v[18:21], off, off offset:832
	ds_load_b128 v[2:5], v1 offset:1600
	v_add_f64 v[44:45], v[44:45], v[177:178]
	v_add_f64 v[46:47], v[46:47], v[175:176]
	v_fma_f64 v[156:157], v[8:9], v[22:23], v[156:157]
	v_fma_f64 v[177:178], v[6:7], v[22:23], -v[24:25]
	ds_load_b128 v[6:9], v1 offset:1616
	s_waitcnt vmcnt(8) lgkmcnt(1)
	v_mul_f64 v[175:176], v[2:3], v[28:29]
	v_mul_f64 v[28:29], v[4:5], v[28:29]
	scratch_load_b128 v[22:25], off, off offset:848
	v_add_f64 v[44:45], v[44:45], v[179:180]
	v_add_f64 v[46:47], v[46:47], v[48:49]
	s_waitcnt vmcnt(8) lgkmcnt(0)
	v_mul_f64 v[48:49], v[6:7], v[32:33]
	v_mul_f64 v[32:33], v[8:9], v[32:33]
	v_fma_f64 v[175:176], v[4:5], v[26:27], v[175:176]
	v_fma_f64 v[179:180], v[2:3], v[26:27], -v[28:29]
	scratch_load_b128 v[26:29], off, off offset:864
	ds_load_b128 v[2:5], v1 offset:1632
	v_add_f64 v[44:45], v[44:45], v[177:178]
	v_add_f64 v[46:47], v[46:47], v[156:157]
	v_fma_f64 v[48:49], v[8:9], v[30:31], v[48:49]
	v_fma_f64 v[177:178], v[6:7], v[30:31], -v[32:33]
	ds_load_b128 v[6:9], v1 offset:1648
	s_waitcnt vmcnt(8) lgkmcnt(1)
	v_mul_f64 v[156:157], v[2:3], v[36:37]
	v_mul_f64 v[36:37], v[4:5], v[36:37]
	scratch_load_b128 v[30:33], off, off offset:880
	v_add_f64 v[44:45], v[44:45], v[179:180]
	v_add_f64 v[46:47], v[46:47], v[175:176]
	s_waitcnt vmcnt(8) lgkmcnt(0)
	v_mul_f64 v[175:176], v[6:7], v[173:174]
	v_mul_f64 v[173:174], v[8:9], v[173:174]
	v_fma_f64 v[156:157], v[4:5], v[34:35], v[156:157]
	v_fma_f64 v[34:35], v[2:3], v[34:35], -v[36:37]
	ds_load_b128 v[2:5], v1 offset:1664
	v_add_f64 v[36:37], v[44:45], v[177:178]
	v_add_f64 v[44:45], v[46:47], v[48:49]
	v_fma_f64 v[48:49], v[8:9], v[171:172], v[175:176]
	v_fma_f64 v[171:172], v[6:7], v[171:172], -v[173:174]
	ds_load_b128 v[6:9], v1 offset:1680
	s_waitcnt vmcnt(7) lgkmcnt(1)
	v_mul_f64 v[46:47], v[2:3], v[40:41]
	v_mul_f64 v[40:41], v[4:5], v[40:41]
	v_add_f64 v[34:35], v[36:37], v[34:35]
	v_add_f64 v[36:37], v[44:45], v[156:157]
	s_delay_alu instid0(VALU_DEP_4) | instskip(NEXT) | instid1(VALU_DEP_4)
	v_fma_f64 v[46:47], v[4:5], v[38:39], v[46:47]
	v_fma_f64 v[38:39], v[2:3], v[38:39], -v[40:41]
	ds_load_b128 v[2:5], v1 offset:1696
	v_add_f64 v[40:41], v[34:35], v[171:172]
	v_add_f64 v[48:49], v[36:37], v[48:49]
	scratch_load_b128 v[34:37], off, off offset:112
	s_waitcnt vmcnt(7) lgkmcnt(1)
	v_mul_f64 v[44:45], v[6:7], v[169:170]
	v_mul_f64 v[156:157], v[8:9], v[169:170]
	v_add_f64 v[38:39], v[40:41], v[38:39]
	v_add_f64 v[40:41], v[48:49], v[46:47]
	s_delay_alu instid0(VALU_DEP_4) | instskip(NEXT) | instid1(VALU_DEP_4)
	v_fma_f64 v[44:45], v[8:9], v[167:168], v[44:45]
	v_fma_f64 v[156:157], v[6:7], v[167:168], -v[156:157]
	ds_load_b128 v[6:9], v1 offset:1712
	s_waitcnt vmcnt(6) lgkmcnt(1)
	v_mul_f64 v[169:170], v[2:3], v[12:13]
	v_mul_f64 v[12:13], v[4:5], v[12:13]
	s_waitcnt vmcnt(5) lgkmcnt(0)
	v_mul_f64 v[46:47], v[6:7], v[16:17]
	v_mul_f64 v[16:17], v[8:9], v[16:17]
	s_delay_alu instid0(VALU_DEP_4) | instskip(NEXT) | instid1(VALU_DEP_4)
	v_fma_f64 v[48:49], v[4:5], v[10:11], v[169:170]
	v_fma_f64 v[10:11], v[2:3], v[10:11], -v[12:13]
	v_add_f64 v[12:13], v[38:39], v[156:157]
	v_add_f64 v[38:39], v[40:41], v[44:45]
	ds_load_b128 v[2:5], v1 offset:1728
	v_fma_f64 v[44:45], v[8:9], v[14:15], v[46:47]
	v_fma_f64 v[14:15], v[6:7], v[14:15], -v[16:17]
	ds_load_b128 v[6:9], v1 offset:1744
	s_waitcnt vmcnt(4) lgkmcnt(1)
	v_mul_f64 v[40:41], v[2:3], v[20:21]
	v_mul_f64 v[20:21], v[4:5], v[20:21]
	v_add_f64 v[10:11], v[12:13], v[10:11]
	v_add_f64 v[12:13], v[38:39], v[48:49]
	s_waitcnt vmcnt(3) lgkmcnt(0)
	v_mul_f64 v[16:17], v[6:7], v[24:25]
	v_mul_f64 v[24:25], v[8:9], v[24:25]
	v_fma_f64 v[38:39], v[4:5], v[18:19], v[40:41]
	v_fma_f64 v[18:19], v[2:3], v[18:19], -v[20:21]
	ds_load_b128 v[2:5], v1 offset:1760
	v_add_f64 v[10:11], v[10:11], v[14:15]
	v_add_f64 v[12:13], v[12:13], v[44:45]
	v_fma_f64 v[16:17], v[8:9], v[22:23], v[16:17]
	v_fma_f64 v[22:23], v[6:7], v[22:23], -v[24:25]
	ds_load_b128 v[6:9], v1 offset:1776
	s_waitcnt vmcnt(2) lgkmcnt(1)
	v_mul_f64 v[14:15], v[2:3], v[28:29]
	v_mul_f64 v[20:21], v[4:5], v[28:29]
	s_waitcnt vmcnt(1) lgkmcnt(0)
	v_mul_f64 v[24:25], v[8:9], v[32:33]
	v_add_f64 v[10:11], v[10:11], v[18:19]
	v_add_f64 v[12:13], v[12:13], v[38:39]
	v_mul_f64 v[18:19], v[6:7], v[32:33]
	v_fma_f64 v[4:5], v[4:5], v[26:27], v[14:15]
	v_fma_f64 v[1:2], v[2:3], v[26:27], -v[20:21]
	v_fma_f64 v[6:7], v[6:7], v[30:31], -v[24:25]
	v_add_f64 v[10:11], v[10:11], v[22:23]
	v_add_f64 v[12:13], v[12:13], v[16:17]
	v_fma_f64 v[8:9], v[8:9], v[30:31], v[18:19]
	s_delay_alu instid0(VALU_DEP_3) | instskip(NEXT) | instid1(VALU_DEP_3)
	v_add_f64 v[1:2], v[10:11], v[1:2]
	v_add_f64 v[3:4], v[12:13], v[4:5]
	s_delay_alu instid0(VALU_DEP_2) | instskip(NEXT) | instid1(VALU_DEP_2)
	v_add_f64 v[1:2], v[1:2], v[6:7]
	v_add_f64 v[3:4], v[3:4], v[8:9]
	s_waitcnt vmcnt(0)
	s_delay_alu instid0(VALU_DEP_2) | instskip(NEXT) | instid1(VALU_DEP_2)
	v_add_f64 v[1:2], v[34:35], -v[1:2]
	v_add_f64 v[3:4], v[36:37], -v[3:4]
	scratch_store_b128 off, v[1:4], off offset:112
	v_cmpx_lt_u32_e32 6, v154
	s_cbranch_execz .LBB119_337
; %bb.336:
	scratch_load_b128 v[1:4], v204, off
	v_mov_b32_e32 v5, 0
	s_delay_alu instid0(VALU_DEP_1)
	v_mov_b32_e32 v6, v5
	v_mov_b32_e32 v7, v5
	;; [unrolled: 1-line block ×3, first 2 shown]
	scratch_store_b128 off, v[5:8], off offset:96
	s_waitcnt vmcnt(0)
	ds_store_b128 v210, v[1:4]
.LBB119_337:
	s_or_b32 exec_lo, exec_lo, s2
	s_waitcnt lgkmcnt(0)
	s_waitcnt_vscnt null, 0x0
	s_barrier
	buffer_gl0_inv
	s_clause 0x7
	scratch_load_b128 v[2:5], off, off offset:112
	scratch_load_b128 v[6:9], off, off offset:128
	;; [unrolled: 1-line block ×8, first 2 shown]
	v_mov_b32_e32 v1, 0
	s_clause 0x1
	scratch_load_b128 v[34:37], off, off offset:240
	scratch_load_b128 v[171:174], off, off offset:256
	s_mov_b32 s2, exec_lo
	ds_load_b128 v[38:41], v1 offset:1008
	ds_load_b128 v[167:170], v1 offset:1024
	s_waitcnt vmcnt(9) lgkmcnt(1)
	v_mul_f64 v[44:45], v[40:41], v[4:5]
	v_mul_f64 v[4:5], v[38:39], v[4:5]
	s_waitcnt vmcnt(8) lgkmcnt(0)
	v_mul_f64 v[46:47], v[167:168], v[8:9]
	v_mul_f64 v[8:9], v[169:170], v[8:9]
	s_delay_alu instid0(VALU_DEP_4) | instskip(NEXT) | instid1(VALU_DEP_4)
	v_fma_f64 v[44:45], v[38:39], v[2:3], -v[44:45]
	v_fma_f64 v[48:49], v[40:41], v[2:3], v[4:5]
	ds_load_b128 v[2:5], v1 offset:1040
	scratch_load_b128 v[38:41], off, off offset:272
	v_fma_f64 v[46:47], v[169:170], v[6:7], v[46:47]
	v_fma_f64 v[175:176], v[167:168], v[6:7], -v[8:9]
	scratch_load_b128 v[167:170], off, off offset:288
	ds_load_b128 v[6:9], v1 offset:1056
	s_waitcnt vmcnt(9) lgkmcnt(1)
	v_mul_f64 v[156:157], v[2:3], v[12:13]
	v_mul_f64 v[12:13], v[4:5], v[12:13]
	s_waitcnt vmcnt(8) lgkmcnt(0)
	v_mul_f64 v[177:178], v[6:7], v[16:17]
	v_mul_f64 v[16:17], v[8:9], v[16:17]
	v_add_f64 v[44:45], v[44:45], 0
	v_add_f64 v[48:49], v[48:49], 0
	v_fma_f64 v[156:157], v[4:5], v[10:11], v[156:157]
	v_fma_f64 v[179:180], v[2:3], v[10:11], -v[12:13]
	ds_load_b128 v[2:5], v1 offset:1072
	scratch_load_b128 v[10:13], off, off offset:304
	v_add_f64 v[44:45], v[44:45], v[175:176]
	v_add_f64 v[46:47], v[48:49], v[46:47]
	v_fma_f64 v[175:176], v[8:9], v[14:15], v[177:178]
	v_fma_f64 v[177:178], v[6:7], v[14:15], -v[16:17]
	scratch_load_b128 v[14:17], off, off offset:320
	ds_load_b128 v[6:9], v1 offset:1088
	s_waitcnt vmcnt(9) lgkmcnt(1)
	v_mul_f64 v[48:49], v[2:3], v[20:21]
	v_mul_f64 v[20:21], v[4:5], v[20:21]
	v_add_f64 v[44:45], v[44:45], v[179:180]
	v_add_f64 v[46:47], v[46:47], v[156:157]
	s_waitcnt vmcnt(8) lgkmcnt(0)
	v_mul_f64 v[156:157], v[6:7], v[24:25]
	v_mul_f64 v[24:25], v[8:9], v[24:25]
	v_fma_f64 v[48:49], v[4:5], v[18:19], v[48:49]
	v_fma_f64 v[179:180], v[2:3], v[18:19], -v[20:21]
	ds_load_b128 v[2:5], v1 offset:1104
	scratch_load_b128 v[18:21], off, off offset:336
	v_add_f64 v[44:45], v[44:45], v[177:178]
	v_add_f64 v[46:47], v[46:47], v[175:176]
	v_fma_f64 v[156:157], v[8:9], v[22:23], v[156:157]
	v_fma_f64 v[177:178], v[6:7], v[22:23], -v[24:25]
	scratch_load_b128 v[22:25], off, off offset:352
	ds_load_b128 v[6:9], v1 offset:1120
	s_waitcnt vmcnt(9) lgkmcnt(1)
	v_mul_f64 v[175:176], v[2:3], v[28:29]
	v_mul_f64 v[28:29], v[4:5], v[28:29]
	v_add_f64 v[44:45], v[44:45], v[179:180]
	v_add_f64 v[46:47], v[46:47], v[48:49]
	s_waitcnt vmcnt(8) lgkmcnt(0)
	v_mul_f64 v[48:49], v[6:7], v[32:33]
	v_mul_f64 v[32:33], v[8:9], v[32:33]
	;; [unrolled: 18-line block ×15, first 2 shown]
	v_fma_f64 v[156:157], v[4:5], v[10:11], v[156:157]
	v_fma_f64 v[179:180], v[2:3], v[10:11], -v[12:13]
	ds_load_b128 v[2:5], v1 offset:1552
	scratch_load_b128 v[10:13], off, off offset:784
	v_add_f64 v[44:45], v[44:45], v[177:178]
	v_add_f64 v[46:47], v[46:47], v[48:49]
	v_fma_f64 v[175:176], v[8:9], v[14:15], v[175:176]
	v_fma_f64 v[177:178], v[6:7], v[14:15], -v[16:17]
	ds_load_b128 v[6:9], v1 offset:1568
	s_waitcnt vmcnt(8) lgkmcnt(1)
	v_mul_f64 v[48:49], v[2:3], v[20:21]
	v_mul_f64 v[20:21], v[4:5], v[20:21]
	scratch_load_b128 v[14:17], off, off offset:800
	v_add_f64 v[44:45], v[44:45], v[179:180]
	v_add_f64 v[46:47], v[46:47], v[156:157]
	s_waitcnt vmcnt(8) lgkmcnt(0)
	v_mul_f64 v[156:157], v[6:7], v[24:25]
	v_mul_f64 v[24:25], v[8:9], v[24:25]
	v_fma_f64 v[48:49], v[4:5], v[18:19], v[48:49]
	v_fma_f64 v[179:180], v[2:3], v[18:19], -v[20:21]
	scratch_load_b128 v[18:21], off, off offset:816
	ds_load_b128 v[2:5], v1 offset:1584
	v_add_f64 v[44:45], v[44:45], v[177:178]
	v_add_f64 v[46:47], v[46:47], v[175:176]
	v_fma_f64 v[156:157], v[8:9], v[22:23], v[156:157]
	v_fma_f64 v[177:178], v[6:7], v[22:23], -v[24:25]
	ds_load_b128 v[6:9], v1 offset:1600
	s_waitcnt vmcnt(8) lgkmcnt(1)
	v_mul_f64 v[175:176], v[2:3], v[28:29]
	v_mul_f64 v[28:29], v[4:5], v[28:29]
	scratch_load_b128 v[22:25], off, off offset:832
	v_add_f64 v[44:45], v[44:45], v[179:180]
	v_add_f64 v[46:47], v[46:47], v[48:49]
	s_waitcnt vmcnt(8) lgkmcnt(0)
	v_mul_f64 v[48:49], v[6:7], v[32:33]
	v_mul_f64 v[32:33], v[8:9], v[32:33]
	v_fma_f64 v[175:176], v[4:5], v[26:27], v[175:176]
	v_fma_f64 v[179:180], v[2:3], v[26:27], -v[28:29]
	scratch_load_b128 v[26:29], off, off offset:848
	ds_load_b128 v[2:5], v1 offset:1616
	;; [unrolled: 18-line block ×3, first 2 shown]
	v_add_f64 v[44:45], v[44:45], v[177:178]
	v_add_f64 v[46:47], v[46:47], v[48:49]
	v_fma_f64 v[175:176], v[8:9], v[171:172], v[175:176]
	v_fma_f64 v[171:172], v[6:7], v[171:172], -v[173:174]
	ds_load_b128 v[6:9], v1 offset:1664
	s_waitcnt vmcnt(8) lgkmcnt(1)
	v_mul_f64 v[48:49], v[2:3], v[40:41]
	v_mul_f64 v[40:41], v[4:5], v[40:41]
	v_add_f64 v[44:45], v[44:45], v[179:180]
	v_add_f64 v[46:47], v[46:47], v[156:157]
	s_waitcnt vmcnt(7) lgkmcnt(0)
	v_mul_f64 v[156:157], v[6:7], v[169:170]
	v_mul_f64 v[169:170], v[8:9], v[169:170]
	v_fma_f64 v[48:49], v[4:5], v[38:39], v[48:49]
	v_fma_f64 v[38:39], v[2:3], v[38:39], -v[40:41]
	ds_load_b128 v[2:5], v1 offset:1680
	v_add_f64 v[40:41], v[44:45], v[171:172]
	v_add_f64 v[44:45], v[46:47], v[175:176]
	v_fma_f64 v[156:157], v[8:9], v[167:168], v[156:157]
	v_fma_f64 v[167:168], v[6:7], v[167:168], -v[169:170]
	ds_load_b128 v[6:9], v1 offset:1696
	v_add_f64 v[169:170], v[40:41], v[38:39]
	v_add_f64 v[44:45], v[44:45], v[48:49]
	scratch_load_b128 v[38:41], off, off offset:96
	s_waitcnt vmcnt(7) lgkmcnt(1)
	v_mul_f64 v[46:47], v[2:3], v[12:13]
	v_mul_f64 v[12:13], v[4:5], v[12:13]
	s_waitcnt vmcnt(6) lgkmcnt(0)
	v_mul_f64 v[48:49], v[6:7], v[16:17]
	v_mul_f64 v[16:17], v[8:9], v[16:17]
	v_add_f64 v[44:45], v[44:45], v[156:157]
	v_fma_f64 v[46:47], v[4:5], v[10:11], v[46:47]
	v_fma_f64 v[10:11], v[2:3], v[10:11], -v[12:13]
	v_add_f64 v[12:13], v[169:170], v[167:168]
	ds_load_b128 v[2:5], v1 offset:1712
	v_fma_f64 v[48:49], v[8:9], v[14:15], v[48:49]
	v_fma_f64 v[14:15], v[6:7], v[14:15], -v[16:17]
	ds_load_b128 v[6:9], v1 offset:1728
	s_waitcnt vmcnt(5) lgkmcnt(1)
	v_mul_f64 v[156:157], v[2:3], v[20:21]
	v_mul_f64 v[20:21], v[4:5], v[20:21]
	s_waitcnt vmcnt(4) lgkmcnt(0)
	v_mul_f64 v[16:17], v[6:7], v[24:25]
	v_mul_f64 v[24:25], v[8:9], v[24:25]
	v_add_f64 v[10:11], v[12:13], v[10:11]
	v_add_f64 v[12:13], v[44:45], v[46:47]
	v_fma_f64 v[44:45], v[4:5], v[18:19], v[156:157]
	v_fma_f64 v[18:19], v[2:3], v[18:19], -v[20:21]
	ds_load_b128 v[2:5], v1 offset:1744
	v_fma_f64 v[16:17], v[8:9], v[22:23], v[16:17]
	v_fma_f64 v[22:23], v[6:7], v[22:23], -v[24:25]
	ds_load_b128 v[6:9], v1 offset:1760
	v_add_f64 v[10:11], v[10:11], v[14:15]
	v_add_f64 v[12:13], v[12:13], v[48:49]
	s_waitcnt vmcnt(3) lgkmcnt(1)
	v_mul_f64 v[14:15], v[2:3], v[28:29]
	v_mul_f64 v[20:21], v[4:5], v[28:29]
	s_waitcnt vmcnt(2) lgkmcnt(0)
	v_mul_f64 v[24:25], v[8:9], v[32:33]
	v_add_f64 v[10:11], v[10:11], v[18:19]
	v_add_f64 v[12:13], v[12:13], v[44:45]
	v_mul_f64 v[18:19], v[6:7], v[32:33]
	v_fma_f64 v[14:15], v[4:5], v[26:27], v[14:15]
	v_fma_f64 v[20:21], v[2:3], v[26:27], -v[20:21]
	ds_load_b128 v[2:5], v1 offset:1776
	v_fma_f64 v[6:7], v[6:7], v[30:31], -v[24:25]
	v_add_f64 v[10:11], v[10:11], v[22:23]
	v_add_f64 v[12:13], v[12:13], v[16:17]
	s_waitcnt vmcnt(1) lgkmcnt(0)
	v_mul_f64 v[16:17], v[2:3], v[36:37]
	v_mul_f64 v[22:23], v[4:5], v[36:37]
	v_fma_f64 v[8:9], v[8:9], v[30:31], v[18:19]
	v_add_f64 v[10:11], v[10:11], v[20:21]
	v_add_f64 v[12:13], v[12:13], v[14:15]
	v_fma_f64 v[4:5], v[4:5], v[34:35], v[16:17]
	v_fma_f64 v[2:3], v[2:3], v[34:35], -v[22:23]
	s_delay_alu instid0(VALU_DEP_4) | instskip(NEXT) | instid1(VALU_DEP_4)
	v_add_f64 v[6:7], v[10:11], v[6:7]
	v_add_f64 v[8:9], v[12:13], v[8:9]
	s_delay_alu instid0(VALU_DEP_2) | instskip(NEXT) | instid1(VALU_DEP_2)
	v_add_f64 v[2:3], v[6:7], v[2:3]
	v_add_f64 v[4:5], v[8:9], v[4:5]
	s_waitcnt vmcnt(0)
	s_delay_alu instid0(VALU_DEP_2) | instskip(NEXT) | instid1(VALU_DEP_2)
	v_add_f64 v[2:3], v[38:39], -v[2:3]
	v_add_f64 v[4:5], v[40:41], -v[4:5]
	scratch_store_b128 off, v[2:5], off offset:96
	v_cmpx_lt_u32_e32 5, v154
	s_cbranch_execz .LBB119_339
; %bb.338:
	scratch_load_b128 v[5:8], v205, off
	v_mov_b32_e32 v2, v1
	v_mov_b32_e32 v3, v1
	;; [unrolled: 1-line block ×3, first 2 shown]
	scratch_store_b128 off, v[1:4], off offset:80
	s_waitcnt vmcnt(0)
	ds_store_b128 v210, v[5:8]
.LBB119_339:
	s_or_b32 exec_lo, exec_lo, s2
	s_waitcnt lgkmcnt(0)
	s_waitcnt_vscnt null, 0x0
	s_barrier
	buffer_gl0_inv
	s_clause 0x7
	scratch_load_b128 v[2:5], off, off offset:96
	scratch_load_b128 v[6:9], off, off offset:112
	;; [unrolled: 1-line block ×8, first 2 shown]
	ds_load_b128 v[38:41], v1 offset:992
	ds_load_b128 v[167:170], v1 offset:1008
	s_clause 0x1
	scratch_load_b128 v[34:37], off, off offset:224
	scratch_load_b128 v[171:174], off, off offset:240
	s_mov_b32 s2, exec_lo
	s_waitcnt vmcnt(9) lgkmcnt(1)
	v_mul_f64 v[44:45], v[40:41], v[4:5]
	v_mul_f64 v[4:5], v[38:39], v[4:5]
	s_waitcnt vmcnt(8) lgkmcnt(0)
	v_mul_f64 v[46:47], v[167:168], v[8:9]
	v_mul_f64 v[8:9], v[169:170], v[8:9]
	s_delay_alu instid0(VALU_DEP_4) | instskip(NEXT) | instid1(VALU_DEP_4)
	v_fma_f64 v[44:45], v[38:39], v[2:3], -v[44:45]
	v_fma_f64 v[48:49], v[40:41], v[2:3], v[4:5]
	ds_load_b128 v[2:5], v1 offset:1024
	scratch_load_b128 v[38:41], off, off offset:256
	v_fma_f64 v[46:47], v[169:170], v[6:7], v[46:47]
	v_fma_f64 v[175:176], v[167:168], v[6:7], -v[8:9]
	scratch_load_b128 v[167:170], off, off offset:272
	ds_load_b128 v[6:9], v1 offset:1040
	s_waitcnt vmcnt(9) lgkmcnt(1)
	v_mul_f64 v[156:157], v[2:3], v[12:13]
	v_mul_f64 v[12:13], v[4:5], v[12:13]
	s_waitcnt vmcnt(8) lgkmcnt(0)
	v_mul_f64 v[177:178], v[6:7], v[16:17]
	v_mul_f64 v[16:17], v[8:9], v[16:17]
	v_add_f64 v[44:45], v[44:45], 0
	v_add_f64 v[48:49], v[48:49], 0
	v_fma_f64 v[156:157], v[4:5], v[10:11], v[156:157]
	v_fma_f64 v[179:180], v[2:3], v[10:11], -v[12:13]
	ds_load_b128 v[2:5], v1 offset:1056
	scratch_load_b128 v[10:13], off, off offset:288
	v_add_f64 v[44:45], v[44:45], v[175:176]
	v_add_f64 v[46:47], v[48:49], v[46:47]
	v_fma_f64 v[175:176], v[8:9], v[14:15], v[177:178]
	v_fma_f64 v[177:178], v[6:7], v[14:15], -v[16:17]
	scratch_load_b128 v[14:17], off, off offset:304
	ds_load_b128 v[6:9], v1 offset:1072
	s_waitcnt vmcnt(9) lgkmcnt(1)
	v_mul_f64 v[48:49], v[2:3], v[20:21]
	v_mul_f64 v[20:21], v[4:5], v[20:21]
	v_add_f64 v[44:45], v[44:45], v[179:180]
	v_add_f64 v[46:47], v[46:47], v[156:157]
	s_waitcnt vmcnt(8) lgkmcnt(0)
	v_mul_f64 v[156:157], v[6:7], v[24:25]
	v_mul_f64 v[24:25], v[8:9], v[24:25]
	v_fma_f64 v[48:49], v[4:5], v[18:19], v[48:49]
	v_fma_f64 v[179:180], v[2:3], v[18:19], -v[20:21]
	ds_load_b128 v[2:5], v1 offset:1088
	scratch_load_b128 v[18:21], off, off offset:320
	v_add_f64 v[44:45], v[44:45], v[177:178]
	v_add_f64 v[46:47], v[46:47], v[175:176]
	v_fma_f64 v[156:157], v[8:9], v[22:23], v[156:157]
	v_fma_f64 v[177:178], v[6:7], v[22:23], -v[24:25]
	scratch_load_b128 v[22:25], off, off offset:336
	ds_load_b128 v[6:9], v1 offset:1104
	s_waitcnt vmcnt(9) lgkmcnt(1)
	v_mul_f64 v[175:176], v[2:3], v[28:29]
	v_mul_f64 v[28:29], v[4:5], v[28:29]
	v_add_f64 v[44:45], v[44:45], v[179:180]
	v_add_f64 v[46:47], v[46:47], v[48:49]
	s_waitcnt vmcnt(8) lgkmcnt(0)
	v_mul_f64 v[48:49], v[6:7], v[32:33]
	v_mul_f64 v[32:33], v[8:9], v[32:33]
	;; [unrolled: 18-line block ×10, first 2 shown]
	v_fma_f64 v[48:49], v[4:5], v[10:11], v[48:49]
	v_fma_f64 v[179:180], v[2:3], v[10:11], -v[12:13]
	scratch_load_b128 v[10:13], off, off offset:608
	ds_load_b128 v[2:5], v1 offset:1376
	v_add_f64 v[44:45], v[44:45], v[177:178]
	v_add_f64 v[46:47], v[46:47], v[175:176]
	v_fma_f64 v[156:157], v[8:9], v[14:15], v[156:157]
	v_fma_f64 v[177:178], v[6:7], v[14:15], -v[16:17]
	ds_load_b128 v[6:9], v1 offset:1392
	s_waitcnt vmcnt(8) lgkmcnt(1)
	v_mul_f64 v[175:176], v[2:3], v[20:21]
	v_mul_f64 v[20:21], v[4:5], v[20:21]
	scratch_load_b128 v[14:17], off, off offset:624
	v_add_f64 v[44:45], v[44:45], v[179:180]
	v_add_f64 v[46:47], v[46:47], v[48:49]
	s_waitcnt vmcnt(8) lgkmcnt(0)
	v_mul_f64 v[48:49], v[6:7], v[24:25]
	v_mul_f64 v[24:25], v[8:9], v[24:25]
	v_fma_f64 v[175:176], v[4:5], v[18:19], v[175:176]
	v_fma_f64 v[179:180], v[2:3], v[18:19], -v[20:21]
	ds_load_b128 v[2:5], v1 offset:1408
	scratch_load_b128 v[18:21], off, off offset:640
	v_add_f64 v[44:45], v[44:45], v[177:178]
	v_add_f64 v[46:47], v[46:47], v[156:157]
	v_fma_f64 v[48:49], v[8:9], v[22:23], v[48:49]
	v_fma_f64 v[177:178], v[6:7], v[22:23], -v[24:25]
	scratch_load_b128 v[22:25], off, off offset:656
	ds_load_b128 v[6:9], v1 offset:1424
	s_waitcnt vmcnt(9) lgkmcnt(1)
	v_mul_f64 v[156:157], v[2:3], v[28:29]
	v_mul_f64 v[28:29], v[4:5], v[28:29]
	v_add_f64 v[44:45], v[44:45], v[179:180]
	v_add_f64 v[46:47], v[46:47], v[175:176]
	s_waitcnt vmcnt(8) lgkmcnt(0)
	v_mul_f64 v[175:176], v[6:7], v[32:33]
	v_mul_f64 v[32:33], v[8:9], v[32:33]
	v_fma_f64 v[156:157], v[4:5], v[26:27], v[156:157]
	v_fma_f64 v[179:180], v[2:3], v[26:27], -v[28:29]
	ds_load_b128 v[2:5], v1 offset:1440
	scratch_load_b128 v[26:29], off, off offset:672
	v_add_f64 v[44:45], v[44:45], v[177:178]
	v_add_f64 v[46:47], v[46:47], v[48:49]
	v_fma_f64 v[175:176], v[8:9], v[30:31], v[175:176]
	v_fma_f64 v[177:178], v[6:7], v[30:31], -v[32:33]
	scratch_load_b128 v[30:33], off, off offset:688
	ds_load_b128 v[6:9], v1 offset:1456
	s_waitcnt vmcnt(9) lgkmcnt(1)
	v_mul_f64 v[48:49], v[2:3], v[36:37]
	v_mul_f64 v[36:37], v[4:5], v[36:37]
	;; [unrolled: 18-line block ×3, first 2 shown]
	v_add_f64 v[44:45], v[44:45], v[179:180]
	v_add_f64 v[46:47], v[46:47], v[48:49]
	s_waitcnt vmcnt(8) lgkmcnt(0)
	v_mul_f64 v[48:49], v[6:7], v[169:170]
	v_mul_f64 v[169:170], v[8:9], v[169:170]
	v_fma_f64 v[175:176], v[4:5], v[38:39], v[175:176]
	v_fma_f64 v[179:180], v[2:3], v[38:39], -v[40:41]
	ds_load_b128 v[2:5], v1 offset:1504
	scratch_load_b128 v[38:41], off, off offset:736
	v_add_f64 v[44:45], v[44:45], v[177:178]
	v_add_f64 v[46:47], v[46:47], v[156:157]
	v_fma_f64 v[48:49], v[8:9], v[167:168], v[48:49]
	v_fma_f64 v[177:178], v[6:7], v[167:168], -v[169:170]
	ds_load_b128 v[6:9], v1 offset:1520
	s_waitcnt vmcnt(8) lgkmcnt(1)
	v_mul_f64 v[156:157], v[2:3], v[12:13]
	v_mul_f64 v[12:13], v[4:5], v[12:13]
	scratch_load_b128 v[167:170], off, off offset:752
	v_add_f64 v[44:45], v[44:45], v[179:180]
	v_add_f64 v[46:47], v[46:47], v[175:176]
	s_waitcnt vmcnt(8) lgkmcnt(0)
	v_mul_f64 v[175:176], v[6:7], v[16:17]
	v_mul_f64 v[16:17], v[8:9], v[16:17]
	v_fma_f64 v[156:157], v[4:5], v[10:11], v[156:157]
	v_fma_f64 v[179:180], v[2:3], v[10:11], -v[12:13]
	scratch_load_b128 v[10:13], off, off offset:768
	ds_load_b128 v[2:5], v1 offset:1536
	v_add_f64 v[44:45], v[44:45], v[177:178]
	v_add_f64 v[46:47], v[46:47], v[48:49]
	v_fma_f64 v[175:176], v[8:9], v[14:15], v[175:176]
	v_fma_f64 v[177:178], v[6:7], v[14:15], -v[16:17]
	ds_load_b128 v[6:9], v1 offset:1552
	s_waitcnt vmcnt(8) lgkmcnt(1)
	v_mul_f64 v[48:49], v[2:3], v[20:21]
	v_mul_f64 v[20:21], v[4:5], v[20:21]
	scratch_load_b128 v[14:17], off, off offset:784
	v_add_f64 v[44:45], v[44:45], v[179:180]
	v_add_f64 v[46:47], v[46:47], v[156:157]
	s_waitcnt vmcnt(8) lgkmcnt(0)
	v_mul_f64 v[156:157], v[6:7], v[24:25]
	v_mul_f64 v[24:25], v[8:9], v[24:25]
	v_fma_f64 v[48:49], v[4:5], v[18:19], v[48:49]
	v_fma_f64 v[179:180], v[2:3], v[18:19], -v[20:21]
	scratch_load_b128 v[18:21], off, off offset:800
	ds_load_b128 v[2:5], v1 offset:1568
	v_add_f64 v[44:45], v[44:45], v[177:178]
	v_add_f64 v[46:47], v[46:47], v[175:176]
	v_fma_f64 v[156:157], v[8:9], v[22:23], v[156:157]
	v_fma_f64 v[177:178], v[6:7], v[22:23], -v[24:25]
	ds_load_b128 v[6:9], v1 offset:1584
	s_waitcnt vmcnt(8) lgkmcnt(1)
	v_mul_f64 v[175:176], v[2:3], v[28:29]
	v_mul_f64 v[28:29], v[4:5], v[28:29]
	scratch_load_b128 v[22:25], off, off offset:816
	v_add_f64 v[44:45], v[44:45], v[179:180]
	v_add_f64 v[46:47], v[46:47], v[48:49]
	s_waitcnt vmcnt(8) lgkmcnt(0)
	v_mul_f64 v[48:49], v[6:7], v[32:33]
	v_mul_f64 v[32:33], v[8:9], v[32:33]
	v_fma_f64 v[175:176], v[4:5], v[26:27], v[175:176]
	v_fma_f64 v[179:180], v[2:3], v[26:27], -v[28:29]
	scratch_load_b128 v[26:29], off, off offset:832
	ds_load_b128 v[2:5], v1 offset:1600
	v_add_f64 v[44:45], v[44:45], v[177:178]
	v_add_f64 v[46:47], v[46:47], v[156:157]
	v_fma_f64 v[48:49], v[8:9], v[30:31], v[48:49]
	v_fma_f64 v[177:178], v[6:7], v[30:31], -v[32:33]
	ds_load_b128 v[6:9], v1 offset:1616
	s_waitcnt vmcnt(8) lgkmcnt(1)
	v_mul_f64 v[156:157], v[2:3], v[36:37]
	v_mul_f64 v[36:37], v[4:5], v[36:37]
	scratch_load_b128 v[30:33], off, off offset:848
	v_add_f64 v[44:45], v[44:45], v[179:180]
	v_add_f64 v[46:47], v[46:47], v[175:176]
	s_waitcnt vmcnt(8) lgkmcnt(0)
	v_mul_f64 v[175:176], v[6:7], v[173:174]
	v_mul_f64 v[173:174], v[8:9], v[173:174]
	v_fma_f64 v[156:157], v[4:5], v[34:35], v[156:157]
	v_fma_f64 v[179:180], v[2:3], v[34:35], -v[36:37]
	scratch_load_b128 v[34:37], off, off offset:864
	ds_load_b128 v[2:5], v1 offset:1632
	v_add_f64 v[44:45], v[44:45], v[177:178]
	v_add_f64 v[46:47], v[46:47], v[48:49]
	v_fma_f64 v[175:176], v[8:9], v[171:172], v[175:176]
	v_fma_f64 v[177:178], v[6:7], v[171:172], -v[173:174]
	ds_load_b128 v[6:9], v1 offset:1648
	s_waitcnt vmcnt(8) lgkmcnt(1)
	v_mul_f64 v[48:49], v[2:3], v[40:41]
	v_mul_f64 v[40:41], v[4:5], v[40:41]
	scratch_load_b128 v[171:174], off, off offset:880
	v_add_f64 v[44:45], v[44:45], v[179:180]
	v_add_f64 v[46:47], v[46:47], v[156:157]
	v_fma_f64 v[48:49], v[4:5], v[38:39], v[48:49]
	v_fma_f64 v[38:39], v[2:3], v[38:39], -v[40:41]
	ds_load_b128 v[2:5], v1 offset:1664
	v_add_f64 v[40:41], v[44:45], v[177:178]
	v_add_f64 v[44:45], v[46:47], v[175:176]
	s_waitcnt vmcnt(7) lgkmcnt(0)
	v_mul_f64 v[46:47], v[2:3], v[12:13]
	v_mul_f64 v[12:13], v[4:5], v[12:13]
	s_delay_alu instid0(VALU_DEP_4) | instskip(NEXT) | instid1(VALU_DEP_4)
	v_add_f64 v[38:39], v[40:41], v[38:39]
	v_add_f64 v[40:41], v[44:45], v[48:49]
	s_delay_alu instid0(VALU_DEP_4) | instskip(NEXT) | instid1(VALU_DEP_4)
	v_fma_f64 v[46:47], v[4:5], v[10:11], v[46:47]
	v_fma_f64 v[48:49], v[2:3], v[10:11], -v[12:13]
	scratch_load_b128 v[10:13], off, off offset:80
	v_mul_f64 v[156:157], v[6:7], v[169:170]
	v_mul_f64 v[169:170], v[8:9], v[169:170]
	ds_load_b128 v[2:5], v1 offset:1696
	v_fma_f64 v[156:157], v[8:9], v[167:168], v[156:157]
	v_fma_f64 v[167:168], v[6:7], v[167:168], -v[169:170]
	ds_load_b128 v[6:9], v1 offset:1680
	s_waitcnt vmcnt(7) lgkmcnt(0)
	v_mul_f64 v[44:45], v[6:7], v[16:17]
	v_mul_f64 v[16:17], v[8:9], v[16:17]
	v_add_f64 v[40:41], v[40:41], v[156:157]
	v_add_f64 v[38:39], v[38:39], v[167:168]
	s_waitcnt vmcnt(6)
	v_mul_f64 v[156:157], v[2:3], v[20:21]
	v_mul_f64 v[20:21], v[4:5], v[20:21]
	v_fma_f64 v[44:45], v[8:9], v[14:15], v[44:45]
	v_fma_f64 v[14:15], v[6:7], v[14:15], -v[16:17]
	ds_load_b128 v[6:9], v1 offset:1712
	v_add_f64 v[16:17], v[38:39], v[48:49]
	v_add_f64 v[38:39], v[40:41], v[46:47]
	v_fma_f64 v[46:47], v[4:5], v[18:19], v[156:157]
	v_fma_f64 v[18:19], v[2:3], v[18:19], -v[20:21]
	ds_load_b128 v[2:5], v1 offset:1728
	s_waitcnt vmcnt(5) lgkmcnt(1)
	v_mul_f64 v[40:41], v[6:7], v[24:25]
	v_mul_f64 v[24:25], v[8:9], v[24:25]
	s_waitcnt vmcnt(4) lgkmcnt(0)
	v_mul_f64 v[20:21], v[2:3], v[28:29]
	v_mul_f64 v[28:29], v[4:5], v[28:29]
	v_add_f64 v[14:15], v[16:17], v[14:15]
	v_add_f64 v[16:17], v[38:39], v[44:45]
	v_fma_f64 v[38:39], v[8:9], v[22:23], v[40:41]
	v_fma_f64 v[22:23], v[6:7], v[22:23], -v[24:25]
	ds_load_b128 v[6:9], v1 offset:1744
	v_fma_f64 v[20:21], v[4:5], v[26:27], v[20:21]
	v_fma_f64 v[26:27], v[2:3], v[26:27], -v[28:29]
	ds_load_b128 v[2:5], v1 offset:1760
	s_waitcnt vmcnt(3) lgkmcnt(1)
	v_mul_f64 v[24:25], v[8:9], v[32:33]
	v_add_f64 v[14:15], v[14:15], v[18:19]
	v_add_f64 v[16:17], v[16:17], v[46:47]
	v_mul_f64 v[18:19], v[6:7], v[32:33]
	s_waitcnt vmcnt(2) lgkmcnt(0)
	v_mul_f64 v[28:29], v[4:5], v[36:37]
	v_fma_f64 v[24:25], v[6:7], v[30:31], -v[24:25]
	v_add_f64 v[14:15], v[14:15], v[22:23]
	v_add_f64 v[16:17], v[16:17], v[38:39]
	v_mul_f64 v[22:23], v[2:3], v[36:37]
	v_fma_f64 v[18:19], v[8:9], v[30:31], v[18:19]
	ds_load_b128 v[6:9], v1 offset:1776
	v_fma_f64 v[1:2], v[2:3], v[34:35], -v[28:29]
	v_add_f64 v[14:15], v[14:15], v[26:27]
	v_add_f64 v[16:17], v[16:17], v[20:21]
	s_waitcnt vmcnt(1) lgkmcnt(0)
	v_mul_f64 v[20:21], v[6:7], v[173:174]
	v_mul_f64 v[26:27], v[8:9], v[173:174]
	v_fma_f64 v[4:5], v[4:5], v[34:35], v[22:23]
	v_add_f64 v[14:15], v[14:15], v[24:25]
	v_add_f64 v[16:17], v[16:17], v[18:19]
	v_fma_f64 v[8:9], v[8:9], v[171:172], v[20:21]
	v_fma_f64 v[6:7], v[6:7], v[171:172], -v[26:27]
	s_delay_alu instid0(VALU_DEP_4) | instskip(NEXT) | instid1(VALU_DEP_4)
	v_add_f64 v[1:2], v[14:15], v[1:2]
	v_add_f64 v[3:4], v[16:17], v[4:5]
	s_delay_alu instid0(VALU_DEP_2) | instskip(NEXT) | instid1(VALU_DEP_2)
	v_add_f64 v[1:2], v[1:2], v[6:7]
	v_add_f64 v[3:4], v[3:4], v[8:9]
	s_waitcnt vmcnt(0)
	s_delay_alu instid0(VALU_DEP_2) | instskip(NEXT) | instid1(VALU_DEP_2)
	v_add_f64 v[1:2], v[10:11], -v[1:2]
	v_add_f64 v[3:4], v[12:13], -v[3:4]
	scratch_store_b128 off, v[1:4], off offset:80
	v_cmpx_lt_u32_e32 4, v154
	s_cbranch_execz .LBB119_341
; %bb.340:
	scratch_load_b128 v[1:4], v206, off
	v_mov_b32_e32 v5, 0
	s_delay_alu instid0(VALU_DEP_1)
	v_mov_b32_e32 v6, v5
	v_mov_b32_e32 v7, v5
	;; [unrolled: 1-line block ×3, first 2 shown]
	scratch_store_b128 off, v[5:8], off offset:64
	s_waitcnt vmcnt(0)
	ds_store_b128 v210, v[1:4]
.LBB119_341:
	s_or_b32 exec_lo, exec_lo, s2
	s_waitcnt lgkmcnt(0)
	s_waitcnt_vscnt null, 0x0
	s_barrier
	buffer_gl0_inv
	s_clause 0x7
	scratch_load_b128 v[2:5], off, off offset:80
	scratch_load_b128 v[6:9], off, off offset:96
	;; [unrolled: 1-line block ×8, first 2 shown]
	v_mov_b32_e32 v1, 0
	s_clause 0x1
	scratch_load_b128 v[34:37], off, off offset:208
	scratch_load_b128 v[171:174], off, off offset:224
	s_mov_b32 s2, exec_lo
	ds_load_b128 v[38:41], v1 offset:976
	ds_load_b128 v[167:170], v1 offset:992
	s_waitcnt vmcnt(9) lgkmcnt(1)
	v_mul_f64 v[44:45], v[40:41], v[4:5]
	v_mul_f64 v[4:5], v[38:39], v[4:5]
	s_waitcnt vmcnt(8) lgkmcnt(0)
	v_mul_f64 v[46:47], v[167:168], v[8:9]
	v_mul_f64 v[8:9], v[169:170], v[8:9]
	s_delay_alu instid0(VALU_DEP_4) | instskip(NEXT) | instid1(VALU_DEP_4)
	v_fma_f64 v[44:45], v[38:39], v[2:3], -v[44:45]
	v_fma_f64 v[48:49], v[40:41], v[2:3], v[4:5]
	ds_load_b128 v[2:5], v1 offset:1008
	scratch_load_b128 v[38:41], off, off offset:240
	v_fma_f64 v[46:47], v[169:170], v[6:7], v[46:47]
	v_fma_f64 v[175:176], v[167:168], v[6:7], -v[8:9]
	scratch_load_b128 v[167:170], off, off offset:256
	ds_load_b128 v[6:9], v1 offset:1024
	s_waitcnt vmcnt(9) lgkmcnt(1)
	v_mul_f64 v[156:157], v[2:3], v[12:13]
	v_mul_f64 v[12:13], v[4:5], v[12:13]
	s_waitcnt vmcnt(8) lgkmcnt(0)
	v_mul_f64 v[177:178], v[6:7], v[16:17]
	v_mul_f64 v[16:17], v[8:9], v[16:17]
	v_add_f64 v[44:45], v[44:45], 0
	v_add_f64 v[48:49], v[48:49], 0
	v_fma_f64 v[156:157], v[4:5], v[10:11], v[156:157]
	v_fma_f64 v[179:180], v[2:3], v[10:11], -v[12:13]
	ds_load_b128 v[2:5], v1 offset:1040
	scratch_load_b128 v[10:13], off, off offset:272
	v_add_f64 v[44:45], v[44:45], v[175:176]
	v_add_f64 v[46:47], v[48:49], v[46:47]
	v_fma_f64 v[175:176], v[8:9], v[14:15], v[177:178]
	v_fma_f64 v[177:178], v[6:7], v[14:15], -v[16:17]
	scratch_load_b128 v[14:17], off, off offset:288
	ds_load_b128 v[6:9], v1 offset:1056
	s_waitcnt vmcnt(9) lgkmcnt(1)
	v_mul_f64 v[48:49], v[2:3], v[20:21]
	v_mul_f64 v[20:21], v[4:5], v[20:21]
	v_add_f64 v[44:45], v[44:45], v[179:180]
	v_add_f64 v[46:47], v[46:47], v[156:157]
	s_waitcnt vmcnt(8) lgkmcnt(0)
	v_mul_f64 v[156:157], v[6:7], v[24:25]
	v_mul_f64 v[24:25], v[8:9], v[24:25]
	v_fma_f64 v[48:49], v[4:5], v[18:19], v[48:49]
	v_fma_f64 v[179:180], v[2:3], v[18:19], -v[20:21]
	ds_load_b128 v[2:5], v1 offset:1072
	scratch_load_b128 v[18:21], off, off offset:304
	v_add_f64 v[44:45], v[44:45], v[177:178]
	v_add_f64 v[46:47], v[46:47], v[175:176]
	v_fma_f64 v[156:157], v[8:9], v[22:23], v[156:157]
	v_fma_f64 v[177:178], v[6:7], v[22:23], -v[24:25]
	scratch_load_b128 v[22:25], off, off offset:320
	ds_load_b128 v[6:9], v1 offset:1088
	s_waitcnt vmcnt(9) lgkmcnt(1)
	v_mul_f64 v[175:176], v[2:3], v[28:29]
	v_mul_f64 v[28:29], v[4:5], v[28:29]
	v_add_f64 v[44:45], v[44:45], v[179:180]
	v_add_f64 v[46:47], v[46:47], v[48:49]
	s_waitcnt vmcnt(8) lgkmcnt(0)
	v_mul_f64 v[48:49], v[6:7], v[32:33]
	v_mul_f64 v[32:33], v[8:9], v[32:33]
	;; [unrolled: 18-line block ×16, first 2 shown]
	v_fma_f64 v[48:49], v[4:5], v[18:19], v[48:49]
	v_fma_f64 v[179:180], v[2:3], v[18:19], -v[20:21]
	ds_load_b128 v[2:5], v1 offset:1552
	scratch_load_b128 v[18:21], off, off offset:784
	v_add_f64 v[44:45], v[44:45], v[177:178]
	v_add_f64 v[46:47], v[46:47], v[175:176]
	v_fma_f64 v[156:157], v[8:9], v[22:23], v[156:157]
	v_fma_f64 v[177:178], v[6:7], v[22:23], -v[24:25]
	ds_load_b128 v[6:9], v1 offset:1568
	s_waitcnt vmcnt(8) lgkmcnt(1)
	v_mul_f64 v[175:176], v[2:3], v[28:29]
	v_mul_f64 v[28:29], v[4:5], v[28:29]
	scratch_load_b128 v[22:25], off, off offset:800
	v_add_f64 v[44:45], v[44:45], v[179:180]
	v_add_f64 v[46:47], v[46:47], v[48:49]
	s_waitcnt vmcnt(8) lgkmcnt(0)
	v_mul_f64 v[48:49], v[6:7], v[32:33]
	v_mul_f64 v[32:33], v[8:9], v[32:33]
	v_fma_f64 v[175:176], v[4:5], v[26:27], v[175:176]
	v_fma_f64 v[179:180], v[2:3], v[26:27], -v[28:29]
	scratch_load_b128 v[26:29], off, off offset:816
	ds_load_b128 v[2:5], v1 offset:1584
	v_add_f64 v[44:45], v[44:45], v[177:178]
	v_add_f64 v[46:47], v[46:47], v[156:157]
	v_fma_f64 v[48:49], v[8:9], v[30:31], v[48:49]
	v_fma_f64 v[177:178], v[6:7], v[30:31], -v[32:33]
	ds_load_b128 v[6:9], v1 offset:1600
	s_waitcnt vmcnt(8) lgkmcnt(1)
	v_mul_f64 v[156:157], v[2:3], v[36:37]
	v_mul_f64 v[36:37], v[4:5], v[36:37]
	scratch_load_b128 v[30:33], off, off offset:832
	v_add_f64 v[44:45], v[44:45], v[179:180]
	v_add_f64 v[46:47], v[46:47], v[175:176]
	s_waitcnt vmcnt(8) lgkmcnt(0)
	v_mul_f64 v[175:176], v[6:7], v[173:174]
	v_mul_f64 v[173:174], v[8:9], v[173:174]
	v_fma_f64 v[156:157], v[4:5], v[34:35], v[156:157]
	v_fma_f64 v[179:180], v[2:3], v[34:35], -v[36:37]
	scratch_load_b128 v[34:37], off, off offset:848
	ds_load_b128 v[2:5], v1 offset:1616
	v_add_f64 v[44:45], v[44:45], v[177:178]
	v_add_f64 v[46:47], v[46:47], v[48:49]
	v_fma_f64 v[175:176], v[8:9], v[171:172], v[175:176]
	v_fma_f64 v[177:178], v[6:7], v[171:172], -v[173:174]
	ds_load_b128 v[6:9], v1 offset:1632
	s_waitcnt vmcnt(8) lgkmcnt(1)
	v_mul_f64 v[48:49], v[2:3], v[40:41]
	v_mul_f64 v[40:41], v[4:5], v[40:41]
	scratch_load_b128 v[171:174], off, off offset:864
	v_add_f64 v[44:45], v[44:45], v[179:180]
	v_add_f64 v[46:47], v[46:47], v[156:157]
	s_waitcnt vmcnt(8) lgkmcnt(0)
	v_mul_f64 v[156:157], v[6:7], v[169:170]
	v_mul_f64 v[169:170], v[8:9], v[169:170]
	v_fma_f64 v[48:49], v[4:5], v[38:39], v[48:49]
	v_fma_f64 v[179:180], v[2:3], v[38:39], -v[40:41]
	scratch_load_b128 v[38:41], off, off offset:880
	ds_load_b128 v[2:5], v1 offset:1648
	v_add_f64 v[44:45], v[44:45], v[177:178]
	v_add_f64 v[46:47], v[46:47], v[175:176]
	v_fma_f64 v[156:157], v[8:9], v[167:168], v[156:157]
	v_fma_f64 v[167:168], v[6:7], v[167:168], -v[169:170]
	ds_load_b128 v[6:9], v1 offset:1664
	s_waitcnt vmcnt(8) lgkmcnt(1)
	v_mul_f64 v[175:176], v[2:3], v[12:13]
	v_mul_f64 v[12:13], v[4:5], v[12:13]
	v_add_f64 v[44:45], v[44:45], v[179:180]
	v_add_f64 v[46:47], v[46:47], v[48:49]
	s_waitcnt vmcnt(7) lgkmcnt(0)
	v_mul_f64 v[48:49], v[6:7], v[16:17]
	v_mul_f64 v[16:17], v[8:9], v[16:17]
	v_fma_f64 v[169:170], v[4:5], v[10:11], v[175:176]
	v_fma_f64 v[10:11], v[2:3], v[10:11], -v[12:13]
	ds_load_b128 v[2:5], v1 offset:1680
	v_add_f64 v[12:13], v[44:45], v[167:168]
	v_add_f64 v[44:45], v[46:47], v[156:157]
	v_fma_f64 v[48:49], v[8:9], v[14:15], v[48:49]
	v_fma_f64 v[14:15], v[6:7], v[14:15], -v[16:17]
	ds_load_b128 v[6:9], v1 offset:1696
	s_waitcnt vmcnt(5) lgkmcnt(0)
	v_mul_f64 v[156:157], v[6:7], v[24:25]
	v_mul_f64 v[24:25], v[8:9], v[24:25]
	v_add_f64 v[16:17], v[12:13], v[10:11]
	v_add_f64 v[44:45], v[44:45], v[169:170]
	scratch_load_b128 v[10:13], off, off offset:64
	v_mul_f64 v[46:47], v[2:3], v[20:21]
	v_mul_f64 v[20:21], v[4:5], v[20:21]
	v_add_f64 v[14:15], v[16:17], v[14:15]
	v_add_f64 v[16:17], v[44:45], v[48:49]
	v_fma_f64 v[44:45], v[8:9], v[22:23], v[156:157]
	v_fma_f64 v[46:47], v[4:5], v[18:19], v[46:47]
	v_fma_f64 v[18:19], v[2:3], v[18:19], -v[20:21]
	ds_load_b128 v[2:5], v1 offset:1712
	v_fma_f64 v[22:23], v[6:7], v[22:23], -v[24:25]
	ds_load_b128 v[6:9], v1 offset:1728
	s_waitcnt vmcnt(5) lgkmcnt(1)
	v_mul_f64 v[20:21], v[2:3], v[28:29]
	v_mul_f64 v[28:29], v[4:5], v[28:29]
	s_waitcnt vmcnt(4) lgkmcnt(0)
	v_mul_f64 v[24:25], v[8:9], v[32:33]
	v_add_f64 v[16:17], v[16:17], v[46:47]
	v_add_f64 v[14:15], v[14:15], v[18:19]
	v_mul_f64 v[18:19], v[6:7], v[32:33]
	v_fma_f64 v[20:21], v[4:5], v[26:27], v[20:21]
	v_fma_f64 v[26:27], v[2:3], v[26:27], -v[28:29]
	ds_load_b128 v[2:5], v1 offset:1744
	v_fma_f64 v[24:25], v[6:7], v[30:31], -v[24:25]
	v_add_f64 v[16:17], v[16:17], v[44:45]
	v_add_f64 v[14:15], v[14:15], v[22:23]
	v_fma_f64 v[18:19], v[8:9], v[30:31], v[18:19]
	ds_load_b128 v[6:9], v1 offset:1760
	s_waitcnt vmcnt(3) lgkmcnt(1)
	v_mul_f64 v[22:23], v[2:3], v[36:37]
	v_mul_f64 v[28:29], v[4:5], v[36:37]
	v_add_f64 v[16:17], v[16:17], v[20:21]
	v_add_f64 v[14:15], v[14:15], v[26:27]
	s_waitcnt vmcnt(2) lgkmcnt(0)
	v_mul_f64 v[20:21], v[6:7], v[173:174]
	v_mul_f64 v[26:27], v[8:9], v[173:174]
	v_fma_f64 v[22:23], v[4:5], v[34:35], v[22:23]
	v_fma_f64 v[28:29], v[2:3], v[34:35], -v[28:29]
	ds_load_b128 v[2:5], v1 offset:1776
	v_add_f64 v[16:17], v[16:17], v[18:19]
	v_add_f64 v[14:15], v[14:15], v[24:25]
	s_waitcnt vmcnt(1) lgkmcnt(0)
	v_mul_f64 v[18:19], v[2:3], v[40:41]
	v_mul_f64 v[24:25], v[4:5], v[40:41]
	v_fma_f64 v[8:9], v[8:9], v[171:172], v[20:21]
	v_fma_f64 v[6:7], v[6:7], v[171:172], -v[26:27]
	v_add_f64 v[16:17], v[16:17], v[22:23]
	v_add_f64 v[14:15], v[14:15], v[28:29]
	v_fma_f64 v[4:5], v[4:5], v[38:39], v[18:19]
	v_fma_f64 v[2:3], v[2:3], v[38:39], -v[24:25]
	s_delay_alu instid0(VALU_DEP_4) | instskip(NEXT) | instid1(VALU_DEP_4)
	v_add_f64 v[8:9], v[16:17], v[8:9]
	v_add_f64 v[6:7], v[14:15], v[6:7]
	s_delay_alu instid0(VALU_DEP_2) | instskip(NEXT) | instid1(VALU_DEP_2)
	v_add_f64 v[4:5], v[8:9], v[4:5]
	v_add_f64 v[2:3], v[6:7], v[2:3]
	s_waitcnt vmcnt(0)
	s_delay_alu instid0(VALU_DEP_2) | instskip(NEXT) | instid1(VALU_DEP_2)
	v_add_f64 v[4:5], v[12:13], -v[4:5]
	v_add_f64 v[2:3], v[10:11], -v[2:3]
	scratch_store_b128 off, v[2:5], off offset:64
	v_cmpx_lt_u32_e32 3, v154
	s_cbranch_execz .LBB119_343
; %bb.342:
	scratch_load_b128 v[5:8], v207, off
	v_mov_b32_e32 v2, v1
	v_mov_b32_e32 v3, v1
	;; [unrolled: 1-line block ×3, first 2 shown]
	scratch_store_b128 off, v[1:4], off offset:48
	s_waitcnt vmcnt(0)
	ds_store_b128 v210, v[5:8]
.LBB119_343:
	s_or_b32 exec_lo, exec_lo, s2
	s_waitcnt lgkmcnt(0)
	s_waitcnt_vscnt null, 0x0
	s_barrier
	buffer_gl0_inv
	s_clause 0x7
	scratch_load_b128 v[2:5], off, off offset:64
	scratch_load_b128 v[6:9], off, off offset:80
	;; [unrolled: 1-line block ×8, first 2 shown]
	ds_load_b128 v[38:41], v1 offset:960
	ds_load_b128 v[167:170], v1 offset:976
	s_clause 0x1
	scratch_load_b128 v[34:37], off, off offset:192
	scratch_load_b128 v[171:174], off, off offset:208
	s_mov_b32 s2, exec_lo
	s_waitcnt vmcnt(9) lgkmcnt(1)
	v_mul_f64 v[44:45], v[40:41], v[4:5]
	v_mul_f64 v[4:5], v[38:39], v[4:5]
	s_waitcnt vmcnt(8) lgkmcnt(0)
	v_mul_f64 v[46:47], v[167:168], v[8:9]
	v_mul_f64 v[8:9], v[169:170], v[8:9]
	s_delay_alu instid0(VALU_DEP_4) | instskip(NEXT) | instid1(VALU_DEP_4)
	v_fma_f64 v[44:45], v[38:39], v[2:3], -v[44:45]
	v_fma_f64 v[48:49], v[40:41], v[2:3], v[4:5]
	ds_load_b128 v[2:5], v1 offset:992
	scratch_load_b128 v[38:41], off, off offset:224
	v_fma_f64 v[46:47], v[169:170], v[6:7], v[46:47]
	v_fma_f64 v[175:176], v[167:168], v[6:7], -v[8:9]
	scratch_load_b128 v[167:170], off, off offset:240
	ds_load_b128 v[6:9], v1 offset:1008
	s_waitcnt vmcnt(9) lgkmcnt(1)
	v_mul_f64 v[156:157], v[2:3], v[12:13]
	v_mul_f64 v[12:13], v[4:5], v[12:13]
	s_waitcnt vmcnt(8) lgkmcnt(0)
	v_mul_f64 v[177:178], v[6:7], v[16:17]
	v_mul_f64 v[16:17], v[8:9], v[16:17]
	v_add_f64 v[44:45], v[44:45], 0
	v_add_f64 v[48:49], v[48:49], 0
	v_fma_f64 v[156:157], v[4:5], v[10:11], v[156:157]
	v_fma_f64 v[179:180], v[2:3], v[10:11], -v[12:13]
	ds_load_b128 v[2:5], v1 offset:1024
	scratch_load_b128 v[10:13], off, off offset:256
	v_add_f64 v[44:45], v[44:45], v[175:176]
	v_add_f64 v[46:47], v[48:49], v[46:47]
	v_fma_f64 v[175:176], v[8:9], v[14:15], v[177:178]
	v_fma_f64 v[177:178], v[6:7], v[14:15], -v[16:17]
	scratch_load_b128 v[14:17], off, off offset:272
	ds_load_b128 v[6:9], v1 offset:1040
	s_waitcnt vmcnt(9) lgkmcnt(1)
	v_mul_f64 v[48:49], v[2:3], v[20:21]
	v_mul_f64 v[20:21], v[4:5], v[20:21]
	v_add_f64 v[44:45], v[44:45], v[179:180]
	v_add_f64 v[46:47], v[46:47], v[156:157]
	s_waitcnt vmcnt(8) lgkmcnt(0)
	v_mul_f64 v[156:157], v[6:7], v[24:25]
	v_mul_f64 v[24:25], v[8:9], v[24:25]
	v_fma_f64 v[48:49], v[4:5], v[18:19], v[48:49]
	v_fma_f64 v[179:180], v[2:3], v[18:19], -v[20:21]
	ds_load_b128 v[2:5], v1 offset:1056
	scratch_load_b128 v[18:21], off, off offset:288
	v_add_f64 v[44:45], v[44:45], v[177:178]
	v_add_f64 v[46:47], v[46:47], v[175:176]
	v_fma_f64 v[156:157], v[8:9], v[22:23], v[156:157]
	v_fma_f64 v[177:178], v[6:7], v[22:23], -v[24:25]
	scratch_load_b128 v[22:25], off, off offset:304
	ds_load_b128 v[6:9], v1 offset:1072
	s_waitcnt vmcnt(9) lgkmcnt(1)
	v_mul_f64 v[175:176], v[2:3], v[28:29]
	v_mul_f64 v[28:29], v[4:5], v[28:29]
	v_add_f64 v[44:45], v[44:45], v[179:180]
	v_add_f64 v[46:47], v[46:47], v[48:49]
	s_waitcnt vmcnt(8) lgkmcnt(0)
	v_mul_f64 v[48:49], v[6:7], v[32:33]
	v_mul_f64 v[32:33], v[8:9], v[32:33]
	;; [unrolled: 18-line block ×16, first 2 shown]
	v_fma_f64 v[48:49], v[4:5], v[18:19], v[48:49]
	v_fma_f64 v[179:180], v[2:3], v[18:19], -v[20:21]
	ds_load_b128 v[2:5], v1 offset:1536
	scratch_load_b128 v[18:21], off, off offset:768
	v_add_f64 v[44:45], v[44:45], v[177:178]
	v_add_f64 v[46:47], v[46:47], v[175:176]
	v_fma_f64 v[156:157], v[8:9], v[22:23], v[156:157]
	v_fma_f64 v[177:178], v[6:7], v[22:23], -v[24:25]
	ds_load_b128 v[6:9], v1 offset:1552
	s_waitcnt vmcnt(8) lgkmcnt(1)
	v_mul_f64 v[175:176], v[2:3], v[28:29]
	v_mul_f64 v[28:29], v[4:5], v[28:29]
	scratch_load_b128 v[22:25], off, off offset:784
	v_add_f64 v[44:45], v[44:45], v[179:180]
	v_add_f64 v[46:47], v[46:47], v[48:49]
	s_waitcnt vmcnt(8) lgkmcnt(0)
	v_mul_f64 v[48:49], v[6:7], v[32:33]
	v_mul_f64 v[32:33], v[8:9], v[32:33]
	v_fma_f64 v[175:176], v[4:5], v[26:27], v[175:176]
	v_fma_f64 v[179:180], v[2:3], v[26:27], -v[28:29]
	ds_load_b128 v[2:5], v1 offset:1568
	scratch_load_b128 v[26:29], off, off offset:800
	v_add_f64 v[44:45], v[44:45], v[177:178]
	v_add_f64 v[46:47], v[46:47], v[156:157]
	v_fma_f64 v[48:49], v[8:9], v[30:31], v[48:49]
	v_fma_f64 v[177:178], v[6:7], v[30:31], -v[32:33]
	ds_load_b128 v[6:9], v1 offset:1584
	s_waitcnt vmcnt(8) lgkmcnt(1)
	v_mul_f64 v[156:157], v[2:3], v[36:37]
	v_mul_f64 v[36:37], v[4:5], v[36:37]
	scratch_load_b128 v[30:33], off, off offset:816
	v_add_f64 v[44:45], v[44:45], v[179:180]
	v_add_f64 v[46:47], v[46:47], v[175:176]
	s_waitcnt vmcnt(8) lgkmcnt(0)
	v_mul_f64 v[175:176], v[6:7], v[173:174]
	v_mul_f64 v[173:174], v[8:9], v[173:174]
	v_fma_f64 v[156:157], v[4:5], v[34:35], v[156:157]
	v_fma_f64 v[179:180], v[2:3], v[34:35], -v[36:37]
	scratch_load_b128 v[34:37], off, off offset:832
	ds_load_b128 v[2:5], v1 offset:1600
	v_add_f64 v[44:45], v[44:45], v[177:178]
	v_add_f64 v[46:47], v[46:47], v[48:49]
	v_fma_f64 v[175:176], v[8:9], v[171:172], v[175:176]
	v_fma_f64 v[177:178], v[6:7], v[171:172], -v[173:174]
	ds_load_b128 v[6:9], v1 offset:1616
	s_waitcnt vmcnt(8) lgkmcnt(1)
	v_mul_f64 v[48:49], v[2:3], v[40:41]
	v_mul_f64 v[40:41], v[4:5], v[40:41]
	scratch_load_b128 v[171:174], off, off offset:848
	v_add_f64 v[44:45], v[44:45], v[179:180]
	v_add_f64 v[46:47], v[46:47], v[156:157]
	s_waitcnt vmcnt(8) lgkmcnt(0)
	v_mul_f64 v[156:157], v[6:7], v[169:170]
	v_mul_f64 v[169:170], v[8:9], v[169:170]
	v_fma_f64 v[48:49], v[4:5], v[38:39], v[48:49]
	v_fma_f64 v[179:180], v[2:3], v[38:39], -v[40:41]
	scratch_load_b128 v[38:41], off, off offset:864
	ds_load_b128 v[2:5], v1 offset:1632
	v_add_f64 v[44:45], v[44:45], v[177:178]
	v_add_f64 v[46:47], v[46:47], v[175:176]
	v_fma_f64 v[156:157], v[8:9], v[167:168], v[156:157]
	v_fma_f64 v[177:178], v[6:7], v[167:168], -v[169:170]
	ds_load_b128 v[6:9], v1 offset:1648
	s_waitcnt vmcnt(8) lgkmcnt(1)
	v_mul_f64 v[175:176], v[2:3], v[12:13]
	v_mul_f64 v[12:13], v[4:5], v[12:13]
	scratch_load_b128 v[167:170], off, off offset:880
	v_add_f64 v[44:45], v[44:45], v[179:180]
	v_add_f64 v[46:47], v[46:47], v[48:49]
	s_waitcnt vmcnt(8) lgkmcnt(0)
	v_mul_f64 v[48:49], v[6:7], v[16:17]
	v_mul_f64 v[16:17], v[8:9], v[16:17]
	v_fma_f64 v[175:176], v[4:5], v[10:11], v[175:176]
	v_fma_f64 v[10:11], v[2:3], v[10:11], -v[12:13]
	ds_load_b128 v[2:5], v1 offset:1664
	v_add_f64 v[12:13], v[44:45], v[177:178]
	v_add_f64 v[44:45], v[46:47], v[156:157]
	v_fma_f64 v[48:49], v[8:9], v[14:15], v[48:49]
	v_fma_f64 v[14:15], v[6:7], v[14:15], -v[16:17]
	ds_load_b128 v[6:9], v1 offset:1680
	s_waitcnt vmcnt(7) lgkmcnt(1)
	v_mul_f64 v[46:47], v[2:3], v[20:21]
	v_mul_f64 v[20:21], v[4:5], v[20:21]
	v_add_f64 v[10:11], v[12:13], v[10:11]
	v_add_f64 v[12:13], v[44:45], v[175:176]
	s_delay_alu instid0(VALU_DEP_4) | instskip(NEXT) | instid1(VALU_DEP_4)
	v_fma_f64 v[44:45], v[4:5], v[18:19], v[46:47]
	v_fma_f64 v[18:19], v[2:3], v[18:19], -v[20:21]
	ds_load_b128 v[2:5], v1 offset:1696
	v_add_f64 v[14:15], v[10:11], v[14:15]
	v_add_f64 v[20:21], v[12:13], v[48:49]
	scratch_load_b128 v[10:13], off, off offset:48
	s_waitcnt vmcnt(7) lgkmcnt(1)
	v_mul_f64 v[16:17], v[6:7], v[24:25]
	v_mul_f64 v[24:25], v[8:9], v[24:25]
	v_add_f64 v[14:15], v[14:15], v[18:19]
	v_add_f64 v[18:19], v[20:21], v[44:45]
	s_delay_alu instid0(VALU_DEP_4) | instskip(NEXT) | instid1(VALU_DEP_4)
	v_fma_f64 v[16:17], v[8:9], v[22:23], v[16:17]
	v_fma_f64 v[22:23], v[6:7], v[22:23], -v[24:25]
	ds_load_b128 v[6:9], v1 offset:1712
	s_waitcnt vmcnt(6) lgkmcnt(1)
	v_mul_f64 v[46:47], v[2:3], v[28:29]
	v_mul_f64 v[28:29], v[4:5], v[28:29]
	s_waitcnt vmcnt(5) lgkmcnt(0)
	v_mul_f64 v[20:21], v[6:7], v[32:33]
	v_mul_f64 v[24:25], v[8:9], v[32:33]
	v_add_f64 v[16:17], v[18:19], v[16:17]
	v_add_f64 v[14:15], v[14:15], v[22:23]
	v_fma_f64 v[32:33], v[4:5], v[26:27], v[46:47]
	v_fma_f64 v[26:27], v[2:3], v[26:27], -v[28:29]
	ds_load_b128 v[2:5], v1 offset:1728
	v_fma_f64 v[20:21], v[8:9], v[30:31], v[20:21]
	v_fma_f64 v[24:25], v[6:7], v[30:31], -v[24:25]
	ds_load_b128 v[6:9], v1 offset:1744
	s_waitcnt vmcnt(4) lgkmcnt(1)
	v_mul_f64 v[18:19], v[2:3], v[36:37]
	v_mul_f64 v[22:23], v[4:5], v[36:37]
	v_add_f64 v[16:17], v[16:17], v[32:33]
	v_add_f64 v[14:15], v[14:15], v[26:27]
	s_waitcnt vmcnt(3) lgkmcnt(0)
	v_mul_f64 v[26:27], v[6:7], v[173:174]
	v_mul_f64 v[28:29], v[8:9], v[173:174]
	v_fma_f64 v[18:19], v[4:5], v[34:35], v[18:19]
	v_fma_f64 v[22:23], v[2:3], v[34:35], -v[22:23]
	ds_load_b128 v[2:5], v1 offset:1760
	v_add_f64 v[16:17], v[16:17], v[20:21]
	v_add_f64 v[14:15], v[14:15], v[24:25]
	v_fma_f64 v[26:27], v[8:9], v[171:172], v[26:27]
	v_fma_f64 v[28:29], v[6:7], v[171:172], -v[28:29]
	ds_load_b128 v[6:9], v1 offset:1776
	s_waitcnt vmcnt(2) lgkmcnt(1)
	v_mul_f64 v[20:21], v[2:3], v[40:41]
	v_mul_f64 v[24:25], v[4:5], v[40:41]
	v_add_f64 v[16:17], v[16:17], v[18:19]
	v_add_f64 v[14:15], v[14:15], v[22:23]
	s_waitcnt vmcnt(1) lgkmcnt(0)
	v_mul_f64 v[18:19], v[6:7], v[169:170]
	v_mul_f64 v[22:23], v[8:9], v[169:170]
	v_fma_f64 v[4:5], v[4:5], v[38:39], v[20:21]
	v_fma_f64 v[1:2], v[2:3], v[38:39], -v[24:25]
	v_add_f64 v[16:17], v[16:17], v[26:27]
	v_add_f64 v[14:15], v[14:15], v[28:29]
	v_fma_f64 v[8:9], v[8:9], v[167:168], v[18:19]
	v_fma_f64 v[6:7], v[6:7], v[167:168], -v[22:23]
	s_delay_alu instid0(VALU_DEP_4) | instskip(NEXT) | instid1(VALU_DEP_4)
	v_add_f64 v[3:4], v[16:17], v[4:5]
	v_add_f64 v[1:2], v[14:15], v[1:2]
	s_delay_alu instid0(VALU_DEP_2) | instskip(NEXT) | instid1(VALU_DEP_2)
	v_add_f64 v[3:4], v[3:4], v[8:9]
	v_add_f64 v[1:2], v[1:2], v[6:7]
	s_waitcnt vmcnt(0)
	s_delay_alu instid0(VALU_DEP_2) | instskip(NEXT) | instid1(VALU_DEP_2)
	v_add_f64 v[3:4], v[12:13], -v[3:4]
	v_add_f64 v[1:2], v[10:11], -v[1:2]
	scratch_store_b128 off, v[1:4], off offset:48
	v_cmpx_lt_u32_e32 2, v154
	s_cbranch_execz .LBB119_345
; %bb.344:
	scratch_load_b128 v[1:4], v208, off
	v_mov_b32_e32 v5, 0
	s_delay_alu instid0(VALU_DEP_1)
	v_mov_b32_e32 v6, v5
	v_mov_b32_e32 v7, v5
	;; [unrolled: 1-line block ×3, first 2 shown]
	scratch_store_b128 off, v[5:8], off offset:32
	s_waitcnt vmcnt(0)
	ds_store_b128 v210, v[1:4]
.LBB119_345:
	s_or_b32 exec_lo, exec_lo, s2
	s_waitcnt lgkmcnt(0)
	s_waitcnt_vscnt null, 0x0
	s_barrier
	buffer_gl0_inv
	s_clause 0x7
	scratch_load_b128 v[2:5], off, off offset:48
	scratch_load_b128 v[6:9], off, off offset:64
	;; [unrolled: 1-line block ×8, first 2 shown]
	v_mov_b32_e32 v1, 0
	s_clause 0x1
	scratch_load_b128 v[34:37], off, off offset:176
	scratch_load_b128 v[171:174], off, off offset:192
	s_mov_b32 s2, exec_lo
	ds_load_b128 v[38:41], v1 offset:944
	ds_load_b128 v[167:170], v1 offset:960
	s_waitcnt vmcnt(9) lgkmcnt(1)
	v_mul_f64 v[44:45], v[40:41], v[4:5]
	v_mul_f64 v[4:5], v[38:39], v[4:5]
	s_waitcnt vmcnt(8) lgkmcnt(0)
	v_mul_f64 v[46:47], v[167:168], v[8:9]
	v_mul_f64 v[8:9], v[169:170], v[8:9]
	s_delay_alu instid0(VALU_DEP_4) | instskip(NEXT) | instid1(VALU_DEP_4)
	v_fma_f64 v[44:45], v[38:39], v[2:3], -v[44:45]
	v_fma_f64 v[48:49], v[40:41], v[2:3], v[4:5]
	ds_load_b128 v[2:5], v1 offset:976
	scratch_load_b128 v[38:41], off, off offset:208
	v_fma_f64 v[46:47], v[169:170], v[6:7], v[46:47]
	v_fma_f64 v[175:176], v[167:168], v[6:7], -v[8:9]
	scratch_load_b128 v[167:170], off, off offset:224
	ds_load_b128 v[6:9], v1 offset:992
	s_waitcnt vmcnt(9) lgkmcnt(1)
	v_mul_f64 v[156:157], v[2:3], v[12:13]
	v_mul_f64 v[12:13], v[4:5], v[12:13]
	s_waitcnt vmcnt(8) lgkmcnt(0)
	v_mul_f64 v[177:178], v[6:7], v[16:17]
	v_mul_f64 v[16:17], v[8:9], v[16:17]
	v_add_f64 v[44:45], v[44:45], 0
	v_add_f64 v[48:49], v[48:49], 0
	v_fma_f64 v[156:157], v[4:5], v[10:11], v[156:157]
	v_fma_f64 v[179:180], v[2:3], v[10:11], -v[12:13]
	ds_load_b128 v[2:5], v1 offset:1008
	scratch_load_b128 v[10:13], off, off offset:240
	v_add_f64 v[44:45], v[44:45], v[175:176]
	v_add_f64 v[46:47], v[48:49], v[46:47]
	v_fma_f64 v[175:176], v[8:9], v[14:15], v[177:178]
	v_fma_f64 v[177:178], v[6:7], v[14:15], -v[16:17]
	scratch_load_b128 v[14:17], off, off offset:256
	ds_load_b128 v[6:9], v1 offset:1024
	s_waitcnt vmcnt(9) lgkmcnt(1)
	v_mul_f64 v[48:49], v[2:3], v[20:21]
	v_mul_f64 v[20:21], v[4:5], v[20:21]
	v_add_f64 v[44:45], v[44:45], v[179:180]
	v_add_f64 v[46:47], v[46:47], v[156:157]
	s_waitcnt vmcnt(8) lgkmcnt(0)
	v_mul_f64 v[156:157], v[6:7], v[24:25]
	v_mul_f64 v[24:25], v[8:9], v[24:25]
	v_fma_f64 v[48:49], v[4:5], v[18:19], v[48:49]
	v_fma_f64 v[179:180], v[2:3], v[18:19], -v[20:21]
	ds_load_b128 v[2:5], v1 offset:1040
	scratch_load_b128 v[18:21], off, off offset:272
	v_add_f64 v[44:45], v[44:45], v[177:178]
	v_add_f64 v[46:47], v[46:47], v[175:176]
	v_fma_f64 v[156:157], v[8:9], v[22:23], v[156:157]
	v_fma_f64 v[177:178], v[6:7], v[22:23], -v[24:25]
	scratch_load_b128 v[22:25], off, off offset:288
	ds_load_b128 v[6:9], v1 offset:1056
	s_waitcnt vmcnt(9) lgkmcnt(1)
	v_mul_f64 v[175:176], v[2:3], v[28:29]
	v_mul_f64 v[28:29], v[4:5], v[28:29]
	v_add_f64 v[44:45], v[44:45], v[179:180]
	v_add_f64 v[46:47], v[46:47], v[48:49]
	s_waitcnt vmcnt(8) lgkmcnt(0)
	v_mul_f64 v[48:49], v[6:7], v[32:33]
	v_mul_f64 v[32:33], v[8:9], v[32:33]
	;; [unrolled: 18-line block ×17, first 2 shown]
	v_fma_f64 v[175:176], v[4:5], v[26:27], v[175:176]
	v_fma_f64 v[179:180], v[2:3], v[26:27], -v[28:29]
	ds_load_b128 v[2:5], v1 offset:1552
	scratch_load_b128 v[26:29], off, off offset:784
	v_add_f64 v[44:45], v[44:45], v[177:178]
	v_add_f64 v[46:47], v[46:47], v[156:157]
	v_fma_f64 v[48:49], v[8:9], v[30:31], v[48:49]
	v_fma_f64 v[177:178], v[6:7], v[30:31], -v[32:33]
	ds_load_b128 v[6:9], v1 offset:1568
	s_waitcnt vmcnt(8) lgkmcnt(1)
	v_mul_f64 v[156:157], v[2:3], v[36:37]
	v_mul_f64 v[36:37], v[4:5], v[36:37]
	scratch_load_b128 v[30:33], off, off offset:800
	v_add_f64 v[44:45], v[44:45], v[179:180]
	v_add_f64 v[46:47], v[46:47], v[175:176]
	s_waitcnt vmcnt(8) lgkmcnt(0)
	v_mul_f64 v[175:176], v[6:7], v[173:174]
	v_mul_f64 v[173:174], v[8:9], v[173:174]
	v_fma_f64 v[156:157], v[4:5], v[34:35], v[156:157]
	v_fma_f64 v[179:180], v[2:3], v[34:35], -v[36:37]
	scratch_load_b128 v[34:37], off, off offset:816
	ds_load_b128 v[2:5], v1 offset:1584
	v_add_f64 v[44:45], v[44:45], v[177:178]
	v_add_f64 v[46:47], v[46:47], v[48:49]
	v_fma_f64 v[175:176], v[8:9], v[171:172], v[175:176]
	v_fma_f64 v[177:178], v[6:7], v[171:172], -v[173:174]
	ds_load_b128 v[6:9], v1 offset:1600
	s_waitcnt vmcnt(8) lgkmcnt(1)
	v_mul_f64 v[48:49], v[2:3], v[40:41]
	v_mul_f64 v[40:41], v[4:5], v[40:41]
	scratch_load_b128 v[171:174], off, off offset:832
	v_add_f64 v[44:45], v[44:45], v[179:180]
	v_add_f64 v[46:47], v[46:47], v[156:157]
	s_waitcnt vmcnt(8) lgkmcnt(0)
	v_mul_f64 v[156:157], v[6:7], v[169:170]
	v_mul_f64 v[169:170], v[8:9], v[169:170]
	v_fma_f64 v[48:49], v[4:5], v[38:39], v[48:49]
	v_fma_f64 v[179:180], v[2:3], v[38:39], -v[40:41]
	scratch_load_b128 v[38:41], off, off offset:848
	ds_load_b128 v[2:5], v1 offset:1616
	v_add_f64 v[44:45], v[44:45], v[177:178]
	v_add_f64 v[46:47], v[46:47], v[175:176]
	v_fma_f64 v[156:157], v[8:9], v[167:168], v[156:157]
	v_fma_f64 v[177:178], v[6:7], v[167:168], -v[169:170]
	ds_load_b128 v[6:9], v1 offset:1632
	s_waitcnt vmcnt(8) lgkmcnt(1)
	v_mul_f64 v[175:176], v[2:3], v[12:13]
	v_mul_f64 v[12:13], v[4:5], v[12:13]
	scratch_load_b128 v[167:170], off, off offset:864
	v_add_f64 v[44:45], v[44:45], v[179:180]
	v_add_f64 v[46:47], v[46:47], v[48:49]
	s_waitcnt vmcnt(8) lgkmcnt(0)
	v_mul_f64 v[48:49], v[6:7], v[16:17]
	v_mul_f64 v[16:17], v[8:9], v[16:17]
	v_fma_f64 v[175:176], v[4:5], v[10:11], v[175:176]
	v_fma_f64 v[179:180], v[2:3], v[10:11], -v[12:13]
	scratch_load_b128 v[10:13], off, off offset:880
	ds_load_b128 v[2:5], v1 offset:1648
	v_add_f64 v[44:45], v[44:45], v[177:178]
	v_add_f64 v[46:47], v[46:47], v[156:157]
	v_fma_f64 v[48:49], v[8:9], v[14:15], v[48:49]
	v_fma_f64 v[14:15], v[6:7], v[14:15], -v[16:17]
	ds_load_b128 v[6:9], v1 offset:1664
	s_waitcnt vmcnt(8) lgkmcnt(1)
	v_mul_f64 v[156:157], v[2:3], v[20:21]
	v_mul_f64 v[20:21], v[4:5], v[20:21]
	v_add_f64 v[16:17], v[44:45], v[179:180]
	v_add_f64 v[44:45], v[46:47], v[175:176]
	s_waitcnt vmcnt(7) lgkmcnt(0)
	v_mul_f64 v[46:47], v[6:7], v[24:25]
	v_mul_f64 v[24:25], v[8:9], v[24:25]
	v_fma_f64 v[156:157], v[4:5], v[18:19], v[156:157]
	v_fma_f64 v[18:19], v[2:3], v[18:19], -v[20:21]
	ds_load_b128 v[2:5], v1 offset:1680
	v_add_f64 v[14:15], v[16:17], v[14:15]
	v_add_f64 v[16:17], v[44:45], v[48:49]
	v_fma_f64 v[44:45], v[8:9], v[22:23], v[46:47]
	v_fma_f64 v[22:23], v[6:7], v[22:23], -v[24:25]
	ds_load_b128 v[6:9], v1 offset:1696
	s_waitcnt vmcnt(5) lgkmcnt(0)
	v_mul_f64 v[46:47], v[6:7], v[32:33]
	v_mul_f64 v[32:33], v[8:9], v[32:33]
	v_add_f64 v[18:19], v[14:15], v[18:19]
	v_add_f64 v[24:25], v[16:17], v[156:157]
	scratch_load_b128 v[14:17], off, off offset:32
	v_mul_f64 v[20:21], v[2:3], v[28:29]
	v_mul_f64 v[28:29], v[4:5], v[28:29]
	v_add_f64 v[18:19], v[18:19], v[22:23]
	v_add_f64 v[22:23], v[24:25], v[44:45]
	s_delay_alu instid0(VALU_DEP_4) | instskip(NEXT) | instid1(VALU_DEP_4)
	v_fma_f64 v[20:21], v[4:5], v[26:27], v[20:21]
	v_fma_f64 v[26:27], v[2:3], v[26:27], -v[28:29]
	ds_load_b128 v[2:5], v1 offset:1712
	s_waitcnt vmcnt(5) lgkmcnt(0)
	v_mul_f64 v[24:25], v[2:3], v[36:37]
	v_mul_f64 v[28:29], v[4:5], v[36:37]
	v_fma_f64 v[36:37], v[8:9], v[30:31], v[46:47]
	v_fma_f64 v[30:31], v[6:7], v[30:31], -v[32:33]
	ds_load_b128 v[6:9], v1 offset:1728
	v_add_f64 v[20:21], v[22:23], v[20:21]
	v_add_f64 v[18:19], v[18:19], v[26:27]
	v_fma_f64 v[24:25], v[4:5], v[34:35], v[24:25]
	v_fma_f64 v[28:29], v[2:3], v[34:35], -v[28:29]
	ds_load_b128 v[2:5], v1 offset:1744
	s_waitcnt vmcnt(4) lgkmcnt(1)
	v_mul_f64 v[22:23], v[6:7], v[173:174]
	v_mul_f64 v[26:27], v[8:9], v[173:174]
	v_add_f64 v[20:21], v[20:21], v[36:37]
	v_add_f64 v[18:19], v[18:19], v[30:31]
	s_waitcnt vmcnt(3) lgkmcnt(0)
	v_mul_f64 v[30:31], v[2:3], v[40:41]
	v_mul_f64 v[32:33], v[4:5], v[40:41]
	v_fma_f64 v[22:23], v[8:9], v[171:172], v[22:23]
	v_fma_f64 v[26:27], v[6:7], v[171:172], -v[26:27]
	ds_load_b128 v[6:9], v1 offset:1760
	v_add_f64 v[20:21], v[20:21], v[24:25]
	v_add_f64 v[18:19], v[18:19], v[28:29]
	v_fma_f64 v[30:31], v[4:5], v[38:39], v[30:31]
	v_fma_f64 v[32:33], v[2:3], v[38:39], -v[32:33]
	ds_load_b128 v[2:5], v1 offset:1776
	s_waitcnt vmcnt(2) lgkmcnt(1)
	v_mul_f64 v[24:25], v[6:7], v[169:170]
	v_mul_f64 v[28:29], v[8:9], v[169:170]
	v_add_f64 v[20:21], v[20:21], v[22:23]
	v_add_f64 v[18:19], v[18:19], v[26:27]
	s_waitcnt vmcnt(1) lgkmcnt(0)
	v_mul_f64 v[22:23], v[2:3], v[12:13]
	v_mul_f64 v[12:13], v[4:5], v[12:13]
	v_fma_f64 v[8:9], v[8:9], v[167:168], v[24:25]
	v_fma_f64 v[6:7], v[6:7], v[167:168], -v[28:29]
	v_add_f64 v[20:21], v[20:21], v[30:31]
	v_add_f64 v[18:19], v[18:19], v[32:33]
	v_fma_f64 v[4:5], v[4:5], v[10:11], v[22:23]
	v_fma_f64 v[2:3], v[2:3], v[10:11], -v[12:13]
	s_delay_alu instid0(VALU_DEP_4) | instskip(NEXT) | instid1(VALU_DEP_4)
	v_add_f64 v[8:9], v[20:21], v[8:9]
	v_add_f64 v[6:7], v[18:19], v[6:7]
	s_delay_alu instid0(VALU_DEP_2) | instskip(NEXT) | instid1(VALU_DEP_2)
	v_add_f64 v[4:5], v[8:9], v[4:5]
	v_add_f64 v[2:3], v[6:7], v[2:3]
	s_waitcnt vmcnt(0)
	s_delay_alu instid0(VALU_DEP_2) | instskip(NEXT) | instid1(VALU_DEP_2)
	v_add_f64 v[4:5], v[16:17], -v[4:5]
	v_add_f64 v[2:3], v[14:15], -v[2:3]
	scratch_store_b128 off, v[2:5], off offset:32
	v_cmpx_lt_u32_e32 1, v154
	s_cbranch_execz .LBB119_347
; %bb.346:
	scratch_load_b128 v[5:8], v209, off
	v_mov_b32_e32 v2, v1
	v_mov_b32_e32 v3, v1
	;; [unrolled: 1-line block ×3, first 2 shown]
	scratch_store_b128 off, v[1:4], off offset:16
	s_waitcnt vmcnt(0)
	ds_store_b128 v210, v[5:8]
.LBB119_347:
	s_or_b32 exec_lo, exec_lo, s2
	s_waitcnt lgkmcnt(0)
	s_waitcnt_vscnt null, 0x0
	s_barrier
	buffer_gl0_inv
	s_clause 0x7
	scratch_load_b128 v[2:5], off, off offset:32
	scratch_load_b128 v[6:9], off, off offset:48
	;; [unrolled: 1-line block ×8, first 2 shown]
	ds_load_b128 v[38:41], v1 offset:928
	ds_load_b128 v[167:170], v1 offset:944
	s_clause 0x1
	scratch_load_b128 v[34:37], off, off offset:160
	scratch_load_b128 v[171:174], off, off offset:176
	s_mov_b32 s2, exec_lo
	s_waitcnt vmcnt(9) lgkmcnt(1)
	v_mul_f64 v[44:45], v[40:41], v[4:5]
	v_mul_f64 v[4:5], v[38:39], v[4:5]
	s_waitcnt vmcnt(8) lgkmcnt(0)
	v_mul_f64 v[46:47], v[167:168], v[8:9]
	v_mul_f64 v[8:9], v[169:170], v[8:9]
	s_delay_alu instid0(VALU_DEP_4) | instskip(NEXT) | instid1(VALU_DEP_4)
	v_fma_f64 v[44:45], v[38:39], v[2:3], -v[44:45]
	v_fma_f64 v[48:49], v[40:41], v[2:3], v[4:5]
	ds_load_b128 v[2:5], v1 offset:960
	scratch_load_b128 v[38:41], off, off offset:192
	v_fma_f64 v[46:47], v[169:170], v[6:7], v[46:47]
	v_fma_f64 v[175:176], v[167:168], v[6:7], -v[8:9]
	scratch_load_b128 v[167:170], off, off offset:208
	ds_load_b128 v[6:9], v1 offset:976
	s_waitcnt vmcnt(9) lgkmcnt(1)
	v_mul_f64 v[156:157], v[2:3], v[12:13]
	v_mul_f64 v[12:13], v[4:5], v[12:13]
	s_waitcnt vmcnt(8) lgkmcnt(0)
	v_mul_f64 v[177:178], v[6:7], v[16:17]
	v_mul_f64 v[16:17], v[8:9], v[16:17]
	v_add_f64 v[44:45], v[44:45], 0
	v_add_f64 v[48:49], v[48:49], 0
	v_fma_f64 v[156:157], v[4:5], v[10:11], v[156:157]
	v_fma_f64 v[179:180], v[2:3], v[10:11], -v[12:13]
	ds_load_b128 v[2:5], v1 offset:992
	scratch_load_b128 v[10:13], off, off offset:224
	v_add_f64 v[44:45], v[44:45], v[175:176]
	v_add_f64 v[46:47], v[48:49], v[46:47]
	v_fma_f64 v[175:176], v[8:9], v[14:15], v[177:178]
	v_fma_f64 v[177:178], v[6:7], v[14:15], -v[16:17]
	scratch_load_b128 v[14:17], off, off offset:240
	ds_load_b128 v[6:9], v1 offset:1008
	s_waitcnt vmcnt(9) lgkmcnt(1)
	v_mul_f64 v[48:49], v[2:3], v[20:21]
	v_mul_f64 v[20:21], v[4:5], v[20:21]
	v_add_f64 v[44:45], v[44:45], v[179:180]
	v_add_f64 v[46:47], v[46:47], v[156:157]
	s_waitcnt vmcnt(8) lgkmcnt(0)
	v_mul_f64 v[156:157], v[6:7], v[24:25]
	v_mul_f64 v[24:25], v[8:9], v[24:25]
	v_fma_f64 v[48:49], v[4:5], v[18:19], v[48:49]
	v_fma_f64 v[179:180], v[2:3], v[18:19], -v[20:21]
	ds_load_b128 v[2:5], v1 offset:1024
	scratch_load_b128 v[18:21], off, off offset:256
	v_add_f64 v[44:45], v[44:45], v[177:178]
	v_add_f64 v[46:47], v[46:47], v[175:176]
	v_fma_f64 v[156:157], v[8:9], v[22:23], v[156:157]
	v_fma_f64 v[177:178], v[6:7], v[22:23], -v[24:25]
	scratch_load_b128 v[22:25], off, off offset:272
	ds_load_b128 v[6:9], v1 offset:1040
	s_waitcnt vmcnt(9) lgkmcnt(1)
	v_mul_f64 v[175:176], v[2:3], v[28:29]
	v_mul_f64 v[28:29], v[4:5], v[28:29]
	v_add_f64 v[44:45], v[44:45], v[179:180]
	v_add_f64 v[46:47], v[46:47], v[48:49]
	s_waitcnt vmcnt(8) lgkmcnt(0)
	v_mul_f64 v[48:49], v[6:7], v[32:33]
	v_mul_f64 v[32:33], v[8:9], v[32:33]
	;; [unrolled: 18-line block ×17, first 2 shown]
	v_fma_f64 v[175:176], v[4:5], v[26:27], v[175:176]
	v_fma_f64 v[179:180], v[2:3], v[26:27], -v[28:29]
	ds_load_b128 v[2:5], v1 offset:1536
	scratch_load_b128 v[26:29], off, off offset:768
	v_add_f64 v[44:45], v[44:45], v[177:178]
	v_add_f64 v[46:47], v[46:47], v[156:157]
	v_fma_f64 v[48:49], v[8:9], v[30:31], v[48:49]
	v_fma_f64 v[177:178], v[6:7], v[30:31], -v[32:33]
	ds_load_b128 v[6:9], v1 offset:1552
	s_waitcnt vmcnt(8) lgkmcnt(1)
	v_mul_f64 v[156:157], v[2:3], v[36:37]
	v_mul_f64 v[36:37], v[4:5], v[36:37]
	scratch_load_b128 v[30:33], off, off offset:784
	v_add_f64 v[44:45], v[44:45], v[179:180]
	v_add_f64 v[46:47], v[46:47], v[175:176]
	s_waitcnt vmcnt(8) lgkmcnt(0)
	v_mul_f64 v[175:176], v[6:7], v[173:174]
	v_mul_f64 v[173:174], v[8:9], v[173:174]
	v_fma_f64 v[156:157], v[4:5], v[34:35], v[156:157]
	v_fma_f64 v[179:180], v[2:3], v[34:35], -v[36:37]
	ds_load_b128 v[2:5], v1 offset:1568
	scratch_load_b128 v[34:37], off, off offset:800
	v_add_f64 v[44:45], v[44:45], v[177:178]
	v_add_f64 v[46:47], v[46:47], v[48:49]
	v_fma_f64 v[175:176], v[8:9], v[171:172], v[175:176]
	v_fma_f64 v[177:178], v[6:7], v[171:172], -v[173:174]
	ds_load_b128 v[6:9], v1 offset:1584
	s_waitcnt vmcnt(8) lgkmcnt(1)
	v_mul_f64 v[48:49], v[2:3], v[40:41]
	v_mul_f64 v[40:41], v[4:5], v[40:41]
	scratch_load_b128 v[171:174], off, off offset:816
	v_add_f64 v[44:45], v[44:45], v[179:180]
	v_add_f64 v[46:47], v[46:47], v[156:157]
	s_waitcnt vmcnt(8) lgkmcnt(0)
	v_mul_f64 v[156:157], v[6:7], v[169:170]
	v_mul_f64 v[169:170], v[8:9], v[169:170]
	v_fma_f64 v[48:49], v[4:5], v[38:39], v[48:49]
	v_fma_f64 v[179:180], v[2:3], v[38:39], -v[40:41]
	scratch_load_b128 v[38:41], off, off offset:832
	ds_load_b128 v[2:5], v1 offset:1600
	v_add_f64 v[44:45], v[44:45], v[177:178]
	v_add_f64 v[46:47], v[46:47], v[175:176]
	v_fma_f64 v[156:157], v[8:9], v[167:168], v[156:157]
	v_fma_f64 v[177:178], v[6:7], v[167:168], -v[169:170]
	ds_load_b128 v[6:9], v1 offset:1616
	s_waitcnt vmcnt(8) lgkmcnt(1)
	v_mul_f64 v[175:176], v[2:3], v[12:13]
	v_mul_f64 v[12:13], v[4:5], v[12:13]
	scratch_load_b128 v[167:170], off, off offset:848
	v_add_f64 v[44:45], v[44:45], v[179:180]
	v_add_f64 v[46:47], v[46:47], v[48:49]
	s_waitcnt vmcnt(8) lgkmcnt(0)
	v_mul_f64 v[48:49], v[6:7], v[16:17]
	v_mul_f64 v[16:17], v[8:9], v[16:17]
	v_fma_f64 v[175:176], v[4:5], v[10:11], v[175:176]
	v_fma_f64 v[179:180], v[2:3], v[10:11], -v[12:13]
	scratch_load_b128 v[10:13], off, off offset:864
	ds_load_b128 v[2:5], v1 offset:1632
	v_add_f64 v[44:45], v[44:45], v[177:178]
	v_add_f64 v[46:47], v[46:47], v[156:157]
	v_fma_f64 v[48:49], v[8:9], v[14:15], v[48:49]
	v_fma_f64 v[177:178], v[6:7], v[14:15], -v[16:17]
	ds_load_b128 v[6:9], v1 offset:1648
	s_waitcnt vmcnt(8) lgkmcnt(1)
	v_mul_f64 v[156:157], v[2:3], v[20:21]
	v_mul_f64 v[20:21], v[4:5], v[20:21]
	scratch_load_b128 v[14:17], off, off offset:880
	v_add_f64 v[44:45], v[44:45], v[179:180]
	v_add_f64 v[46:47], v[46:47], v[175:176]
	s_waitcnt vmcnt(8) lgkmcnt(0)
	v_mul_f64 v[175:176], v[6:7], v[24:25]
	v_mul_f64 v[24:25], v[8:9], v[24:25]
	v_fma_f64 v[156:157], v[4:5], v[18:19], v[156:157]
	v_fma_f64 v[18:19], v[2:3], v[18:19], -v[20:21]
	ds_load_b128 v[2:5], v1 offset:1664
	v_add_f64 v[20:21], v[44:45], v[177:178]
	v_add_f64 v[44:45], v[46:47], v[48:49]
	v_fma_f64 v[48:49], v[8:9], v[22:23], v[175:176]
	v_fma_f64 v[22:23], v[6:7], v[22:23], -v[24:25]
	ds_load_b128 v[6:9], v1 offset:1680
	s_waitcnt vmcnt(7) lgkmcnt(1)
	v_mul_f64 v[46:47], v[2:3], v[28:29]
	v_mul_f64 v[28:29], v[4:5], v[28:29]
	v_add_f64 v[18:19], v[20:21], v[18:19]
	v_add_f64 v[20:21], v[44:45], v[156:157]
	s_delay_alu instid0(VALU_DEP_4) | instskip(NEXT) | instid1(VALU_DEP_4)
	v_fma_f64 v[44:45], v[4:5], v[26:27], v[46:47]
	v_fma_f64 v[26:27], v[2:3], v[26:27], -v[28:29]
	ds_load_b128 v[2:5], v1 offset:1696
	v_add_f64 v[22:23], v[18:19], v[22:23]
	v_add_f64 v[28:29], v[20:21], v[48:49]
	scratch_load_b128 v[18:21], off, off offset:16
	s_waitcnt vmcnt(7) lgkmcnt(1)
	v_mul_f64 v[24:25], v[6:7], v[32:33]
	v_mul_f64 v[32:33], v[8:9], v[32:33]
	v_add_f64 v[22:23], v[22:23], v[26:27]
	v_add_f64 v[26:27], v[28:29], v[44:45]
	s_delay_alu instid0(VALU_DEP_4) | instskip(NEXT) | instid1(VALU_DEP_4)
	v_fma_f64 v[24:25], v[8:9], v[30:31], v[24:25]
	v_fma_f64 v[30:31], v[6:7], v[30:31], -v[32:33]
	ds_load_b128 v[6:9], v1 offset:1712
	s_waitcnt vmcnt(6) lgkmcnt(1)
	v_mul_f64 v[46:47], v[2:3], v[36:37]
	v_mul_f64 v[36:37], v[4:5], v[36:37]
	s_waitcnt vmcnt(5) lgkmcnt(0)
	v_mul_f64 v[28:29], v[6:7], v[173:174]
	v_mul_f64 v[32:33], v[8:9], v[173:174]
	v_add_f64 v[24:25], v[26:27], v[24:25]
	v_add_f64 v[22:23], v[22:23], v[30:31]
	v_fma_f64 v[44:45], v[4:5], v[34:35], v[46:47]
	v_fma_f64 v[34:35], v[2:3], v[34:35], -v[36:37]
	ds_load_b128 v[2:5], v1 offset:1728
	v_fma_f64 v[28:29], v[8:9], v[171:172], v[28:29]
	v_fma_f64 v[32:33], v[6:7], v[171:172], -v[32:33]
	ds_load_b128 v[6:9], v1 offset:1744
	s_waitcnt vmcnt(4) lgkmcnt(1)
	v_mul_f64 v[26:27], v[2:3], v[40:41]
	v_mul_f64 v[30:31], v[4:5], v[40:41]
	v_add_f64 v[24:25], v[24:25], v[44:45]
	v_add_f64 v[22:23], v[22:23], v[34:35]
	s_waitcnt vmcnt(3) lgkmcnt(0)
	v_mul_f64 v[34:35], v[6:7], v[169:170]
	v_mul_f64 v[36:37], v[8:9], v[169:170]
	v_fma_f64 v[26:27], v[4:5], v[38:39], v[26:27]
	v_fma_f64 v[30:31], v[2:3], v[38:39], -v[30:31]
	ds_load_b128 v[2:5], v1 offset:1760
	v_add_f64 v[24:25], v[24:25], v[28:29]
	v_add_f64 v[22:23], v[22:23], v[32:33]
	v_fma_f64 v[32:33], v[8:9], v[167:168], v[34:35]
	v_fma_f64 v[34:35], v[6:7], v[167:168], -v[36:37]
	ds_load_b128 v[6:9], v1 offset:1776
	s_waitcnt vmcnt(2) lgkmcnt(1)
	v_mul_f64 v[28:29], v[2:3], v[12:13]
	v_mul_f64 v[12:13], v[4:5], v[12:13]
	v_add_f64 v[24:25], v[24:25], v[26:27]
	v_add_f64 v[22:23], v[22:23], v[30:31]
	s_waitcnt vmcnt(1) lgkmcnt(0)
	v_mul_f64 v[26:27], v[6:7], v[16:17]
	v_mul_f64 v[16:17], v[8:9], v[16:17]
	v_fma_f64 v[4:5], v[4:5], v[10:11], v[28:29]
	v_fma_f64 v[1:2], v[2:3], v[10:11], -v[12:13]
	v_add_f64 v[12:13], v[24:25], v[32:33]
	v_add_f64 v[10:11], v[22:23], v[34:35]
	v_fma_f64 v[8:9], v[8:9], v[14:15], v[26:27]
	v_fma_f64 v[6:7], v[6:7], v[14:15], -v[16:17]
	s_delay_alu instid0(VALU_DEP_4) | instskip(NEXT) | instid1(VALU_DEP_4)
	v_add_f64 v[3:4], v[12:13], v[4:5]
	v_add_f64 v[1:2], v[10:11], v[1:2]
	s_delay_alu instid0(VALU_DEP_2) | instskip(NEXT) | instid1(VALU_DEP_2)
	v_add_f64 v[3:4], v[3:4], v[8:9]
	v_add_f64 v[1:2], v[1:2], v[6:7]
	s_waitcnt vmcnt(0)
	s_delay_alu instid0(VALU_DEP_2) | instskip(NEXT) | instid1(VALU_DEP_2)
	v_add_f64 v[3:4], v[20:21], -v[3:4]
	v_add_f64 v[1:2], v[18:19], -v[1:2]
	scratch_store_b128 off, v[1:4], off offset:16
	v_cmpx_ne_u32_e32 0, v154
	s_cbranch_execz .LBB119_349
; %bb.348:
	scratch_load_b128 v[1:4], off, off
	v_mov_b32_e32 v5, 0
	s_delay_alu instid0(VALU_DEP_1)
	v_mov_b32_e32 v6, v5
	v_mov_b32_e32 v7, v5
	;; [unrolled: 1-line block ×3, first 2 shown]
	scratch_store_b128 off, v[5:8], off
	s_waitcnt vmcnt(0)
	ds_store_b128 v210, v[1:4]
.LBB119_349:
	s_or_b32 exec_lo, exec_lo, s2
	s_waitcnt lgkmcnt(0)
	s_waitcnt_vscnt null, 0x0
	s_barrier
	buffer_gl0_inv
	s_clause 0x7
	scratch_load_b128 v[1:4], off, off offset:16
	scratch_load_b128 v[5:8], off, off offset:32
	;; [unrolled: 1-line block ×8, first 2 shown]
	v_mov_b32_e32 v41, 0
	s_and_b32 vcc_lo, exec_lo, s14
	ds_load_b128 v[37:40], v41 offset:912
	s_clause 0x1
	scratch_load_b128 v[33:36], off, off offset:144
	scratch_load_b128 v[167:170], off, off
	ds_load_b128 v[171:174], v41 offset:928
	scratch_load_b128 v[175:178], off, off offset:160
	ds_load_b128 v[179:182], v41 offset:960
	s_waitcnt vmcnt(10) lgkmcnt(2)
	v_mul_f64 v[44:45], v[39:40], v[3:4]
	v_mul_f64 v[3:4], v[37:38], v[3:4]
	s_delay_alu instid0(VALU_DEP_2) | instskip(NEXT) | instid1(VALU_DEP_2)
	v_fma_f64 v[44:45], v[37:38], v[1:2], -v[44:45]
	v_fma_f64 v[48:49], v[39:40], v[1:2], v[3:4]
	ds_load_b128 v[1:4], v41 offset:944
	s_waitcnt vmcnt(9) lgkmcnt(2)
	v_mul_f64 v[46:47], v[171:172], v[7:8]
	v_mul_f64 v[7:8], v[173:174], v[7:8]
	scratch_load_b128 v[37:40], off, off offset:176
	s_waitcnt vmcnt(9) lgkmcnt(0)
	v_mul_f64 v[156:157], v[1:2], v[11:12]
	v_mul_f64 v[11:12], v[3:4], v[11:12]
	v_add_f64 v[44:45], v[44:45], 0
	v_add_f64 v[48:49], v[48:49], 0
	v_fma_f64 v[46:47], v[173:174], v[5:6], v[46:47]
	v_fma_f64 v[171:172], v[171:172], v[5:6], -v[7:8]
	scratch_load_b128 v[5:8], off, off offset:192
	v_fma_f64 v[156:157], v[3:4], v[9:10], v[156:157]
	v_fma_f64 v[214:215], v[1:2], v[9:10], -v[11:12]
	scratch_load_b128 v[9:12], off, off offset:208
	ds_load_b128 v[1:4], v41 offset:976
	s_waitcnt vmcnt(10)
	v_mul_f64 v[183:184], v[179:180], v[15:16]
	v_mul_f64 v[15:16], v[181:182], v[15:16]
	v_add_f64 v[46:47], v[48:49], v[46:47]
	v_add_f64 v[44:45], v[44:45], v[171:172]
	ds_load_b128 v[171:174], v41 offset:992
	s_waitcnt vmcnt(9) lgkmcnt(1)
	v_mul_f64 v[48:49], v[1:2], v[19:20]
	v_mul_f64 v[19:20], v[3:4], v[19:20]
	v_fma_f64 v[181:182], v[181:182], v[13:14], v[183:184]
	v_fma_f64 v[179:180], v[179:180], v[13:14], -v[15:16]
	scratch_load_b128 v[13:16], off, off offset:224
	v_add_f64 v[46:47], v[46:47], v[156:157]
	v_add_f64 v[44:45], v[44:45], v[214:215]
	v_fma_f64 v[48:49], v[3:4], v[17:18], v[48:49]
	v_fma_f64 v[183:184], v[1:2], v[17:18], -v[19:20]
	scratch_load_b128 v[17:20], off, off offset:240
	ds_load_b128 v[1:4], v41 offset:1008
	s_waitcnt vmcnt(10) lgkmcnt(1)
	v_mul_f64 v[156:157], v[171:172], v[23:24]
	v_mul_f64 v[23:24], v[173:174], v[23:24]
	s_waitcnt vmcnt(9) lgkmcnt(0)
	v_mul_f64 v[214:215], v[1:2], v[27:28]
	v_mul_f64 v[27:28], v[3:4], v[27:28]
	v_add_f64 v[46:47], v[46:47], v[181:182]
	v_add_f64 v[44:45], v[44:45], v[179:180]
	ds_load_b128 v[179:182], v41 offset:1024
	v_fma_f64 v[156:157], v[173:174], v[21:22], v[156:157]
	v_fma_f64 v[171:172], v[171:172], v[21:22], -v[23:24]
	scratch_load_b128 v[21:24], off, off offset:256
	v_add_f64 v[46:47], v[46:47], v[48:49]
	v_add_f64 v[44:45], v[44:45], v[183:184]
	v_fma_f64 v[183:184], v[3:4], v[25:26], v[214:215]
	v_fma_f64 v[214:215], v[1:2], v[25:26], -v[27:28]
	scratch_load_b128 v[25:28], off, off offset:272
	ds_load_b128 v[1:4], v41 offset:1040
	s_waitcnt vmcnt(10) lgkmcnt(1)
	v_mul_f64 v[48:49], v[179:180], v[31:32]
	v_mul_f64 v[31:32], v[181:182], v[31:32]
	v_add_f64 v[46:47], v[46:47], v[156:157]
	v_add_f64 v[44:45], v[44:45], v[171:172]
	s_waitcnt vmcnt(9) lgkmcnt(0)
	v_mul_f64 v[156:157], v[1:2], v[35:36]
	v_mul_f64 v[35:36], v[3:4], v[35:36]
	ds_load_b128 v[171:174], v41 offset:1056
	v_fma_f64 v[48:49], v[181:182], v[29:30], v[48:49]
	v_fma_f64 v[179:180], v[179:180], v[29:30], -v[31:32]
	scratch_load_b128 v[29:32], off, off offset:288
	v_add_f64 v[46:47], v[46:47], v[183:184]
	v_add_f64 v[44:45], v[44:45], v[214:215]
	v_fma_f64 v[156:157], v[3:4], v[33:34], v[156:157]
	v_fma_f64 v[214:215], v[1:2], v[33:34], -v[35:36]
	scratch_load_b128 v[33:36], off, off offset:304
	ds_load_b128 v[1:4], v41 offset:1072
	s_waitcnt vmcnt(9) lgkmcnt(1)
	v_mul_f64 v[181:182], v[171:172], v[177:178]
	v_mul_f64 v[183:184], v[173:174], v[177:178]
	v_add_f64 v[46:47], v[46:47], v[48:49]
	v_add_f64 v[44:45], v[44:45], v[179:180]
	ds_load_b128 v[177:180], v41 offset:1088
	v_fma_f64 v[181:182], v[173:174], v[175:176], v[181:182]
	v_fma_f64 v[175:176], v[171:172], v[175:176], -v[183:184]
	scratch_load_b128 v[171:174], off, off offset:320
	s_waitcnt vmcnt(9) lgkmcnt(1)
	v_mul_f64 v[48:49], v[1:2], v[39:40]
	v_mul_f64 v[39:40], v[3:4], v[39:40]
	v_add_f64 v[46:47], v[46:47], v[156:157]
	v_add_f64 v[44:45], v[44:45], v[214:215]
	s_delay_alu instid0(VALU_DEP_4) | instskip(NEXT) | instid1(VALU_DEP_4)
	v_fma_f64 v[48:49], v[3:4], v[37:38], v[48:49]
	v_fma_f64 v[214:215], v[1:2], v[37:38], -v[39:40]
	scratch_load_b128 v[37:40], off, off offset:336
	ds_load_b128 v[1:4], v41 offset:1104
	s_waitcnt vmcnt(9) lgkmcnt(1)
	v_mul_f64 v[156:157], v[177:178], v[7:8]
	v_mul_f64 v[7:8], v[179:180], v[7:8]
	v_add_f64 v[46:47], v[46:47], v[181:182]
	v_add_f64 v[44:45], v[44:45], v[175:176]
	ds_load_b128 v[181:184], v41 offset:1120
	s_waitcnt vmcnt(8) lgkmcnt(1)
	v_mul_f64 v[175:176], v[1:2], v[11:12]
	v_mul_f64 v[11:12], v[3:4], v[11:12]
	v_fma_f64 v[156:157], v[179:180], v[5:6], v[156:157]
	v_fma_f64 v[177:178], v[177:178], v[5:6], -v[7:8]
	scratch_load_b128 v[5:8], off, off offset:352
	v_add_f64 v[46:47], v[46:47], v[48:49]
	v_add_f64 v[44:45], v[44:45], v[214:215]
	v_fma_f64 v[179:180], v[3:4], v[9:10], v[175:176]
	v_fma_f64 v[214:215], v[1:2], v[9:10], -v[11:12]
	scratch_load_b128 v[9:12], off, off offset:368
	ds_load_b128 v[1:4], v41 offset:1136
	s_waitcnt vmcnt(9) lgkmcnt(1)
	v_mul_f64 v[48:49], v[181:182], v[15:16]
	v_mul_f64 v[15:16], v[183:184], v[15:16]
	v_add_f64 v[46:47], v[46:47], v[156:157]
	v_add_f64 v[44:45], v[44:45], v[177:178]
	s_waitcnt vmcnt(8) lgkmcnt(0)
	v_mul_f64 v[156:157], v[1:2], v[19:20]
	v_mul_f64 v[19:20], v[3:4], v[19:20]
	ds_load_b128 v[175:178], v41 offset:1152
	v_fma_f64 v[48:49], v[183:184], v[13:14], v[48:49]
	v_fma_f64 v[181:182], v[181:182], v[13:14], -v[15:16]
	scratch_load_b128 v[13:16], off, off offset:384
	v_add_f64 v[46:47], v[46:47], v[179:180]
	v_add_f64 v[44:45], v[44:45], v[214:215]
	v_fma_f64 v[156:157], v[3:4], v[17:18], v[156:157]
	v_fma_f64 v[214:215], v[1:2], v[17:18], -v[19:20]
	scratch_load_b128 v[17:20], off, off offset:400
	ds_load_b128 v[1:4], v41 offset:1168
	s_waitcnt vmcnt(9) lgkmcnt(1)
	v_mul_f64 v[183:184], v[175:176], v[23:24]
	v_mul_f64 v[23:24], v[177:178], v[23:24]
	v_add_f64 v[46:47], v[46:47], v[48:49]
	v_add_f64 v[44:45], v[44:45], v[181:182]
	s_waitcnt vmcnt(8) lgkmcnt(0)
	v_mul_f64 v[48:49], v[1:2], v[27:28]
	v_mul_f64 v[27:28], v[3:4], v[27:28]
	ds_load_b128 v[179:182], v41 offset:1184
	v_fma_f64 v[177:178], v[177:178], v[21:22], v[183:184]
	v_fma_f64 v[175:176], v[175:176], v[21:22], -v[23:24]
	scratch_load_b128 v[21:24], off, off offset:416
	v_add_f64 v[46:47], v[46:47], v[156:157]
	v_add_f64 v[44:45], v[44:45], v[214:215]
	v_fma_f64 v[48:49], v[3:4], v[25:26], v[48:49]
	v_fma_f64 v[183:184], v[1:2], v[25:26], -v[27:28]
	scratch_load_b128 v[25:28], off, off offset:432
	ds_load_b128 v[1:4], v41 offset:1200
	s_waitcnt vmcnt(9) lgkmcnt(1)
	v_mul_f64 v[156:157], v[179:180], v[31:32]
	v_mul_f64 v[31:32], v[181:182], v[31:32]
	s_waitcnt vmcnt(8) lgkmcnt(0)
	v_mul_f64 v[214:215], v[1:2], v[35:36]
	v_mul_f64 v[35:36], v[3:4], v[35:36]
	v_add_f64 v[46:47], v[46:47], v[177:178]
	v_add_f64 v[44:45], v[44:45], v[175:176]
	ds_load_b128 v[175:178], v41 offset:1216
	v_fma_f64 v[156:157], v[181:182], v[29:30], v[156:157]
	v_fma_f64 v[179:180], v[179:180], v[29:30], -v[31:32]
	scratch_load_b128 v[29:32], off, off offset:448
	v_add_f64 v[46:47], v[46:47], v[48:49]
	v_add_f64 v[44:45], v[44:45], v[183:184]
	v_fma_f64 v[183:184], v[3:4], v[33:34], v[214:215]
	v_fma_f64 v[214:215], v[1:2], v[33:34], -v[35:36]
	scratch_load_b128 v[33:36], off, off offset:464
	ds_load_b128 v[1:4], v41 offset:1232
	s_waitcnt vmcnt(9) lgkmcnt(1)
	v_mul_f64 v[48:49], v[175:176], v[173:174]
	v_mul_f64 v[173:174], v[177:178], v[173:174]
	v_add_f64 v[46:47], v[46:47], v[156:157]
	v_add_f64 v[44:45], v[44:45], v[179:180]
	s_waitcnt vmcnt(8) lgkmcnt(0)
	v_mul_f64 v[156:157], v[1:2], v[39:40]
	v_mul_f64 v[39:40], v[3:4], v[39:40]
	ds_load_b128 v[179:182], v41 offset:1248
	v_fma_f64 v[48:49], v[177:178], v[171:172], v[48:49]
	v_fma_f64 v[175:176], v[175:176], v[171:172], -v[173:174]
	scratch_load_b128 v[171:174], off, off offset:480
	v_add_f64 v[46:47], v[46:47], v[183:184]
	v_add_f64 v[44:45], v[44:45], v[214:215]
	v_fma_f64 v[156:157], v[3:4], v[37:38], v[156:157]
	v_fma_f64 v[214:215], v[1:2], v[37:38], -v[39:40]
	scratch_load_b128 v[37:40], off, off offset:496
	ds_load_b128 v[1:4], v41 offset:1264
	s_waitcnt vmcnt(9) lgkmcnt(1)
	v_mul_f64 v[183:184], v[179:180], v[7:8]
	v_mul_f64 v[7:8], v[181:182], v[7:8]
	v_add_f64 v[46:47], v[46:47], v[48:49]
	v_add_f64 v[44:45], v[44:45], v[175:176]
	s_waitcnt vmcnt(8) lgkmcnt(0)
	v_mul_f64 v[48:49], v[1:2], v[11:12]
	v_mul_f64 v[11:12], v[3:4], v[11:12]
	ds_load_b128 v[175:178], v41 offset:1280
	v_fma_f64 v[181:182], v[181:182], v[5:6], v[183:184]
	v_fma_f64 v[179:180], v[179:180], v[5:6], -v[7:8]
	scratch_load_b128 v[5:8], off, off offset:512
	v_add_f64 v[46:47], v[46:47], v[156:157]
	v_add_f64 v[44:45], v[44:45], v[214:215]
	v_fma_f64 v[48:49], v[3:4], v[9:10], v[48:49]
	v_fma_f64 v[183:184], v[1:2], v[9:10], -v[11:12]
	scratch_load_b128 v[9:12], off, off offset:528
	ds_load_b128 v[1:4], v41 offset:1296
	s_waitcnt vmcnt(9) lgkmcnt(1)
	v_mul_f64 v[156:157], v[175:176], v[15:16]
	v_mul_f64 v[15:16], v[177:178], v[15:16]
	s_waitcnt vmcnt(8) lgkmcnt(0)
	v_mul_f64 v[214:215], v[1:2], v[19:20]
	v_mul_f64 v[19:20], v[3:4], v[19:20]
	v_add_f64 v[46:47], v[46:47], v[181:182]
	v_add_f64 v[44:45], v[44:45], v[179:180]
	ds_load_b128 v[179:182], v41 offset:1312
	v_fma_f64 v[156:157], v[177:178], v[13:14], v[156:157]
	v_fma_f64 v[175:176], v[175:176], v[13:14], -v[15:16]
	scratch_load_b128 v[13:16], off, off offset:544
	v_add_f64 v[46:47], v[46:47], v[48:49]
	v_add_f64 v[44:45], v[44:45], v[183:184]
	v_fma_f64 v[183:184], v[3:4], v[17:18], v[214:215]
	v_fma_f64 v[214:215], v[1:2], v[17:18], -v[19:20]
	scratch_load_b128 v[17:20], off, off offset:560
	ds_load_b128 v[1:4], v41 offset:1328
	s_waitcnt vmcnt(9) lgkmcnt(1)
	v_mul_f64 v[48:49], v[179:180], v[23:24]
	v_mul_f64 v[23:24], v[181:182], v[23:24]
	v_add_f64 v[46:47], v[46:47], v[156:157]
	v_add_f64 v[44:45], v[44:45], v[175:176]
	s_waitcnt vmcnt(8) lgkmcnt(0)
	v_mul_f64 v[156:157], v[1:2], v[27:28]
	v_mul_f64 v[27:28], v[3:4], v[27:28]
	ds_load_b128 v[175:178], v41 offset:1344
	v_fma_f64 v[48:49], v[181:182], v[21:22], v[48:49]
	v_fma_f64 v[179:180], v[179:180], v[21:22], -v[23:24]
	scratch_load_b128 v[21:24], off, off offset:576
	v_add_f64 v[46:47], v[46:47], v[183:184]
	v_add_f64 v[44:45], v[44:45], v[214:215]
	v_fma_f64 v[156:157], v[3:4], v[25:26], v[156:157]
	v_fma_f64 v[214:215], v[1:2], v[25:26], -v[27:28]
	scratch_load_b128 v[25:28], off, off offset:592
	ds_load_b128 v[1:4], v41 offset:1360
	s_waitcnt vmcnt(9) lgkmcnt(1)
	v_mul_f64 v[183:184], v[175:176], v[31:32]
	v_mul_f64 v[31:32], v[177:178], v[31:32]
	v_add_f64 v[46:47], v[46:47], v[48:49]
	v_add_f64 v[44:45], v[44:45], v[179:180]
	s_waitcnt vmcnt(8) lgkmcnt(0)
	v_mul_f64 v[48:49], v[1:2], v[35:36]
	v_mul_f64 v[35:36], v[3:4], v[35:36]
	ds_load_b128 v[179:182], v41 offset:1376
	v_fma_f64 v[177:178], v[177:178], v[29:30], v[183:184]
	v_fma_f64 v[175:176], v[175:176], v[29:30], -v[31:32]
	scratch_load_b128 v[29:32], off, off offset:608
	v_add_f64 v[46:47], v[46:47], v[156:157]
	v_add_f64 v[44:45], v[44:45], v[214:215]
	v_fma_f64 v[48:49], v[3:4], v[33:34], v[48:49]
	v_fma_f64 v[214:215], v[1:2], v[33:34], -v[35:36]
	scratch_load_b128 v[33:36], off, off offset:624
	ds_load_b128 v[1:4], v41 offset:1392
	s_waitcnt vmcnt(9) lgkmcnt(1)
	v_mul_f64 v[156:157], v[179:180], v[173:174]
	v_mul_f64 v[183:184], v[181:182], v[173:174]
	s_waitcnt vmcnt(8) lgkmcnt(0)
	v_mul_f64 v[216:217], v[1:2], v[39:40]
	v_mul_f64 v[39:40], v[3:4], v[39:40]
	v_add_f64 v[46:47], v[46:47], v[177:178]
	v_add_f64 v[44:45], v[44:45], v[175:176]
	ds_load_b128 v[173:176], v41 offset:1408
	v_fma_f64 v[156:157], v[181:182], v[171:172], v[156:157]
	v_fma_f64 v[171:172], v[179:180], v[171:172], -v[183:184]
	scratch_load_b128 v[177:180], off, off offset:640
	ds_load_b128 v[181:184], v41 offset:1440
	v_add_f64 v[46:47], v[46:47], v[48:49]
	v_add_f64 v[44:45], v[44:45], v[214:215]
	v_fma_f64 v[214:215], v[3:4], v[37:38], v[216:217]
	v_fma_f64 v[216:217], v[1:2], v[37:38], -v[39:40]
	ds_load_b128 v[1:4], v41 offset:1424
	s_waitcnt vmcnt(8) lgkmcnt(2)
	v_mul_f64 v[48:49], v[173:174], v[7:8]
	v_mul_f64 v[7:8], v[175:176], v[7:8]
	scratch_load_b128 v[37:40], off, off offset:656
	v_add_f64 v[46:47], v[46:47], v[156:157]
	v_add_f64 v[44:45], v[44:45], v[171:172]
	s_waitcnt vmcnt(8) lgkmcnt(0)
	v_mul_f64 v[156:157], v[1:2], v[11:12]
	v_mul_f64 v[11:12], v[3:4], v[11:12]
	v_fma_f64 v[48:49], v[175:176], v[5:6], v[48:49]
	v_fma_f64 v[171:172], v[173:174], v[5:6], -v[7:8]
	scratch_load_b128 v[5:8], off, off offset:672
	v_add_f64 v[46:47], v[46:47], v[214:215]
	v_add_f64 v[44:45], v[44:45], v[216:217]
	v_fma_f64 v[156:157], v[3:4], v[9:10], v[156:157]
	v_fma_f64 v[214:215], v[1:2], v[9:10], -v[11:12]
	scratch_load_b128 v[9:12], off, off offset:688
	ds_load_b128 v[1:4], v41 offset:1456
	s_waitcnt vmcnt(9)
	v_mul_f64 v[175:176], v[181:182], v[15:16]
	v_mul_f64 v[15:16], v[183:184], v[15:16]
	v_add_f64 v[46:47], v[46:47], v[48:49]
	v_add_f64 v[44:45], v[44:45], v[171:172]
	s_waitcnt vmcnt(8) lgkmcnt(0)
	v_mul_f64 v[48:49], v[1:2], v[19:20]
	v_mul_f64 v[19:20], v[3:4], v[19:20]
	ds_load_b128 v[171:174], v41 offset:1472
	v_fma_f64 v[175:176], v[183:184], v[13:14], v[175:176]
	v_fma_f64 v[181:182], v[181:182], v[13:14], -v[15:16]
	scratch_load_b128 v[13:16], off, off offset:704
	v_add_f64 v[46:47], v[46:47], v[156:157]
	v_add_f64 v[44:45], v[44:45], v[214:215]
	v_fma_f64 v[48:49], v[3:4], v[17:18], v[48:49]
	v_fma_f64 v[214:215], v[1:2], v[17:18], -v[19:20]
	scratch_load_b128 v[17:20], off, off offset:720
	ds_load_b128 v[1:4], v41 offset:1488
	s_waitcnt vmcnt(9) lgkmcnt(1)
	v_mul_f64 v[156:157], v[171:172], v[23:24]
	v_mul_f64 v[23:24], v[173:174], v[23:24]
	v_add_f64 v[46:47], v[46:47], v[175:176]
	v_add_f64 v[44:45], v[44:45], v[181:182]
	s_waitcnt vmcnt(8) lgkmcnt(0)
	v_mul_f64 v[175:176], v[1:2], v[27:28]
	v_mul_f64 v[27:28], v[3:4], v[27:28]
	ds_load_b128 v[181:184], v41 offset:1504
	v_fma_f64 v[156:157], v[173:174], v[21:22], v[156:157]
	v_fma_f64 v[171:172], v[171:172], v[21:22], -v[23:24]
	scratch_load_b128 v[21:24], off, off offset:736
	v_add_f64 v[46:47], v[46:47], v[48:49]
	v_add_f64 v[44:45], v[44:45], v[214:215]
	v_fma_f64 v[175:176], v[3:4], v[25:26], v[175:176]
	v_fma_f64 v[214:215], v[1:2], v[25:26], -v[27:28]
	scratch_load_b128 v[25:28], off, off offset:752
	ds_load_b128 v[1:4], v41 offset:1520
	s_waitcnt vmcnt(9) lgkmcnt(1)
	;; [unrolled: 18-line block ×4, first 2 shown]
	v_mul_f64 v[156:157], v[179:180], v[7:8]
	v_mul_f64 v[7:8], v[181:182], v[7:8]
	s_waitcnt vmcnt(8) lgkmcnt(0)
	v_mul_f64 v[214:215], v[1:2], v[11:12]
	v_mul_f64 v[11:12], v[3:4], v[11:12]
	v_add_f64 v[46:47], v[46:47], v[175:176]
	v_add_f64 v[44:45], v[44:45], v[177:178]
	ds_load_b128 v[175:178], v41 offset:1600
	v_fma_f64 v[156:157], v[181:182], v[5:6], v[156:157]
	v_fma_f64 v[179:180], v[179:180], v[5:6], -v[7:8]
	scratch_load_b128 v[5:8], off, off offset:832
	v_add_f64 v[46:47], v[46:47], v[48:49]
	v_add_f64 v[44:45], v[44:45], v[183:184]
	v_fma_f64 v[183:184], v[3:4], v[9:10], v[214:215]
	v_fma_f64 v[214:215], v[1:2], v[9:10], -v[11:12]
	scratch_load_b128 v[9:12], off, off offset:848
	ds_load_b128 v[1:4], v41 offset:1616
	s_waitcnt vmcnt(9) lgkmcnt(1)
	v_mul_f64 v[48:49], v[175:176], v[15:16]
	v_mul_f64 v[15:16], v[177:178], v[15:16]
	v_add_f64 v[46:47], v[46:47], v[156:157]
	v_add_f64 v[44:45], v[44:45], v[179:180]
	s_waitcnt vmcnt(8) lgkmcnt(0)
	v_mul_f64 v[156:157], v[1:2], v[19:20]
	v_mul_f64 v[19:20], v[3:4], v[19:20]
	ds_load_b128 v[179:182], v41 offset:1632
	v_fma_f64 v[48:49], v[177:178], v[13:14], v[48:49]
	v_fma_f64 v[175:176], v[175:176], v[13:14], -v[15:16]
	scratch_load_b128 v[13:16], off, off offset:864
	v_add_f64 v[46:47], v[46:47], v[183:184]
	v_add_f64 v[44:45], v[44:45], v[214:215]
	v_fma_f64 v[156:157], v[3:4], v[17:18], v[156:157]
	v_fma_f64 v[214:215], v[1:2], v[17:18], -v[19:20]
	scratch_load_b128 v[17:20], off, off offset:880
	ds_load_b128 v[1:4], v41 offset:1648
	s_waitcnt vmcnt(9) lgkmcnt(1)
	v_mul_f64 v[183:184], v[179:180], v[23:24]
	v_mul_f64 v[23:24], v[181:182], v[23:24]
	v_add_f64 v[46:47], v[46:47], v[48:49]
	v_add_f64 v[44:45], v[44:45], v[175:176]
	s_waitcnt vmcnt(8) lgkmcnt(0)
	v_mul_f64 v[48:49], v[1:2], v[27:28]
	v_mul_f64 v[27:28], v[3:4], v[27:28]
	ds_load_b128 v[175:178], v41 offset:1664
	v_fma_f64 v[181:182], v[181:182], v[21:22], v[183:184]
	v_fma_f64 v[21:22], v[179:180], v[21:22], -v[23:24]
	v_add_f64 v[23:24], v[44:45], v[214:215]
	v_add_f64 v[44:45], v[46:47], v[156:157]
	s_waitcnt vmcnt(7) lgkmcnt(0)
	v_mul_f64 v[46:47], v[175:176], v[31:32]
	v_mul_f64 v[31:32], v[177:178], v[31:32]
	v_fma_f64 v[48:49], v[3:4], v[25:26], v[48:49]
	v_fma_f64 v[25:26], v[1:2], v[25:26], -v[27:28]
	v_add_f64 v[27:28], v[23:24], v[21:22]
	v_add_f64 v[44:45], v[44:45], v[181:182]
	ds_load_b128 v[1:4], v41 offset:1680
	ds_load_b128 v[21:24], v41 offset:1696
	v_fma_f64 v[46:47], v[177:178], v[29:30], v[46:47]
	v_fma_f64 v[29:30], v[175:176], v[29:30], -v[31:32]
	s_waitcnt vmcnt(6) lgkmcnt(1)
	v_mul_f64 v[156:157], v[1:2], v[35:36]
	v_mul_f64 v[35:36], v[3:4], v[35:36]
	s_waitcnt vmcnt(5) lgkmcnt(0)
	v_mul_f64 v[31:32], v[21:22], v[173:174]
	v_add_f64 v[25:26], v[27:28], v[25:26]
	v_add_f64 v[27:28], v[44:45], v[48:49]
	v_mul_f64 v[44:45], v[23:24], v[173:174]
	v_fma_f64 v[48:49], v[3:4], v[33:34], v[156:157]
	v_fma_f64 v[33:34], v[1:2], v[33:34], -v[35:36]
	v_fma_f64 v[23:24], v[23:24], v[171:172], v[31:32]
	v_add_f64 v[29:30], v[25:26], v[29:30]
	v_add_f64 v[35:36], v[27:28], v[46:47]
	ds_load_b128 v[1:4], v41 offset:1712
	ds_load_b128 v[25:28], v41 offset:1728
	v_fma_f64 v[21:22], v[21:22], v[171:172], -v[44:45]
	s_waitcnt vmcnt(4) lgkmcnt(1)
	v_mul_f64 v[46:47], v[1:2], v[39:40]
	v_mul_f64 v[39:40], v[3:4], v[39:40]
	v_add_f64 v[29:30], v[29:30], v[33:34]
	v_add_f64 v[31:32], v[35:36], v[48:49]
	s_waitcnt vmcnt(3) lgkmcnt(0)
	v_mul_f64 v[33:34], v[25:26], v[7:8]
	v_mul_f64 v[7:8], v[27:28], v[7:8]
	v_fma_f64 v[35:36], v[3:4], v[37:38], v[46:47]
	v_fma_f64 v[37:38], v[1:2], v[37:38], -v[39:40]
	v_add_f64 v[29:30], v[29:30], v[21:22]
	v_add_f64 v[31:32], v[31:32], v[23:24]
	ds_load_b128 v[1:4], v41 offset:1744
	ds_load_b128 v[21:24], v41 offset:1760
	v_fma_f64 v[27:28], v[27:28], v[5:6], v[33:34]
	v_fma_f64 v[5:6], v[25:26], v[5:6], -v[7:8]
	s_waitcnt vmcnt(2) lgkmcnt(1)
	v_mul_f64 v[39:40], v[1:2], v[11:12]
	v_mul_f64 v[11:12], v[3:4], v[11:12]
	v_add_f64 v[7:8], v[29:30], v[37:38]
	v_add_f64 v[25:26], v[31:32], v[35:36]
	s_waitcnt vmcnt(1) lgkmcnt(0)
	v_mul_f64 v[29:30], v[21:22], v[15:16]
	v_mul_f64 v[15:16], v[23:24], v[15:16]
	v_fma_f64 v[31:32], v[3:4], v[9:10], v[39:40]
	v_fma_f64 v[9:10], v[1:2], v[9:10], -v[11:12]
	ds_load_b128 v[1:4], v41 offset:1776
	v_add_f64 v[5:6], v[7:8], v[5:6]
	v_add_f64 v[7:8], v[25:26], v[27:28]
	v_fma_f64 v[23:24], v[23:24], v[13:14], v[29:30]
	v_fma_f64 v[13:14], v[21:22], v[13:14], -v[15:16]
	s_waitcnt vmcnt(0) lgkmcnt(0)
	v_mul_f64 v[11:12], v[1:2], v[19:20]
	v_mul_f64 v[19:20], v[3:4], v[19:20]
	v_add_f64 v[5:6], v[5:6], v[9:10]
	v_add_f64 v[7:8], v[7:8], v[31:32]
	s_delay_alu instid0(VALU_DEP_4) | instskip(NEXT) | instid1(VALU_DEP_4)
	v_fma_f64 v[3:4], v[3:4], v[17:18], v[11:12]
	v_fma_f64 v[1:2], v[1:2], v[17:18], -v[19:20]
	s_delay_alu instid0(VALU_DEP_4) | instskip(NEXT) | instid1(VALU_DEP_4)
	v_add_f64 v[5:6], v[5:6], v[13:14]
	v_add_f64 v[7:8], v[7:8], v[23:24]
	s_delay_alu instid0(VALU_DEP_2) | instskip(NEXT) | instid1(VALU_DEP_2)
	v_add_f64 v[1:2], v[5:6], v[1:2]
	v_add_f64 v[3:4], v[7:8], v[3:4]
	s_delay_alu instid0(VALU_DEP_2) | instskip(NEXT) | instid1(VALU_DEP_2)
	v_add_f64 v[1:2], v[167:168], -v[1:2]
	v_add_f64 v[3:4], v[169:170], -v[3:4]
	scratch_store_b128 off, v[1:4], off
	s_cbranch_vccz .LBB119_461
; %bb.350:
	v_dual_mov_b32 v1, s8 :: v_dual_mov_b32 v2, s9
	s_load_b64 s[0:1], s[0:1], 0x4
	flat_load_b32 v1, v[1:2] offset:216
	v_bfe_u32 v2, v0, 10, 10
	v_bfe_u32 v0, v0, 20, 10
	s_waitcnt lgkmcnt(0)
	s_lshr_b32 s0, s0, 16
	s_delay_alu instid0(VALU_DEP_2) | instskip(SKIP_1) | instid1(SALU_CYCLE_1)
	v_mul_u32_u24_e32 v2, s1, v2
	s_mul_i32 s0, s0, s1
	v_mul_u32_u24_e32 v3, s0, v154
	s_mov_b32 s0, exec_lo
	s_delay_alu instid0(VALU_DEP_1) | instskip(NEXT) | instid1(VALU_DEP_1)
	v_add3_u32 v0, v3, v2, v0
	v_lshl_add_u32 v0, v0, 4, 0x708
	s_waitcnt vmcnt(0)
	v_cmpx_ne_u32_e32 55, v1
	s_cbranch_execz .LBB119_352
; %bb.351:
	v_lshl_add_u32 v9, v1, 4, 0
	s_clause 0x1
	scratch_load_b128 v[1:4], v155, off
	scratch_load_b128 v[5:8], v9, off offset:-16
	s_waitcnt vmcnt(1)
	ds_store_2addr_b64 v0, v[1:2], v[3:4] offset1:1
	s_waitcnt vmcnt(0)
	s_clause 0x1
	scratch_store_b128 v155, v[5:8], off
	scratch_store_b128 v9, v[1:4], off offset:-16
.LBB119_352:
	s_or_b32 exec_lo, exec_lo, s0
	v_dual_mov_b32 v1, s8 :: v_dual_mov_b32 v2, s9
	flat_load_b32 v1, v[1:2] offset:212
	s_waitcnt vmcnt(0) lgkmcnt(0)
	v_cmp_ne_u32_e32 vcc_lo, 54, v1
	s_mov_b32 s0, exec_lo
	v_dual_mov_b32 v10, v242 :: v_dual_mov_b32 v11, v243
	v_dual_mov_b32 v12, v244 :: v_dual_mov_b32 v13, v238
	;; [unrolled: 1-line block ×7, first 2 shown]
	s_and_b32 s1, s0, vcc_lo
	s_delay_alu instid0(SALU_CYCLE_1)
	s_mov_b32 exec_lo, s1
	s_cbranch_execz .LBB119_354
; %bb.353:
	v_lshl_add_u32 v9, v1, 4, 0
	s_clause 0x1
	scratch_load_b128 v[1:4], v162, off
	scratch_load_b128 v[5:8], v9, off offset:-16
	s_waitcnt vmcnt(1)
	ds_store_2addr_b64 v0, v[1:2], v[3:4] offset1:1
	s_waitcnt vmcnt(0)
	s_clause 0x1
	scratch_store_b128 v162, v[5:8], off
	scratch_store_b128 v9, v[1:4], off offset:-16
.LBB119_354:
	s_or_b32 exec_lo, exec_lo, s0
	v_dual_mov_b32 v1, s8 :: v_dual_mov_b32 v2, s9
	s_mov_b32 s0, exec_lo
	flat_load_b32 v1, v[1:2] offset:208
	s_waitcnt vmcnt(0) lgkmcnt(0)
	v_cmpx_ne_u32_e32 53, v1
	s_cbranch_execz .LBB119_356
; %bb.355:
	v_lshl_add_u32 v9, v1, 4, 0
	s_clause 0x1
	scratch_load_b128 v[1:4], v163, off
	scratch_load_b128 v[5:8], v9, off offset:-16
	s_waitcnt vmcnt(1)
	ds_store_2addr_b64 v0, v[1:2], v[3:4] offset1:1
	s_waitcnt vmcnt(0)
	s_clause 0x1
	scratch_store_b128 v163, v[5:8], off
	scratch_store_b128 v9, v[1:4], off offset:-16
.LBB119_356:
	s_or_b32 exec_lo, exec_lo, s0
	v_dual_mov_b32 v1, s8 :: v_dual_mov_b32 v2, s9
	s_mov_b32 s0, exec_lo
	flat_load_b32 v1, v[1:2] offset:204
	s_waitcnt vmcnt(0) lgkmcnt(0)
	v_cmpx_ne_u32_e32 52, v1
	s_cbranch_execz .LBB119_358
; %bb.357:
	v_lshl_add_u32 v9, v1, 4, 0
	s_clause 0x1
	scratch_load_b128 v[1:4], v164, off
	scratch_load_b128 v[5:8], v9, off offset:-16
	s_waitcnt vmcnt(1)
	ds_store_2addr_b64 v0, v[1:2], v[3:4] offset1:1
	s_waitcnt vmcnt(0)
	s_clause 0x1
	scratch_store_b128 v164, v[5:8], off
	scratch_store_b128 v9, v[1:4], off offset:-16
.LBB119_358:
	s_or_b32 exec_lo, exec_lo, s0
	v_dual_mov_b32 v1, s8 :: v_dual_mov_b32 v2, s9
	s_mov_b32 s0, exec_lo
	flat_load_b32 v1, v[1:2] offset:200
	s_waitcnt vmcnt(0) lgkmcnt(0)
	v_cmpx_ne_u32_e32 51, v1
	s_cbranch_execz .LBB119_360
; %bb.359:
	v_lshl_add_u32 v9, v1, 4, 0
	s_clause 0x1
	scratch_load_b128 v[1:4], v165, off
	scratch_load_b128 v[5:8], v9, off offset:-16
	s_waitcnt vmcnt(1)
	ds_store_2addr_b64 v0, v[1:2], v[3:4] offset1:1
	s_waitcnt vmcnt(0)
	s_clause 0x1
	scratch_store_b128 v165, v[5:8], off
	scratch_store_b128 v9, v[1:4], off offset:-16
.LBB119_360:
	s_or_b32 exec_lo, exec_lo, s0
	v_dual_mov_b32 v1, s8 :: v_dual_mov_b32 v2, s9
	s_mov_b32 s0, exec_lo
	flat_load_b32 v1, v[1:2] offset:196
	s_waitcnt vmcnt(0) lgkmcnt(0)
	v_cmpx_ne_u32_e32 50, v1
	s_cbranch_execz .LBB119_362
; %bb.361:
	v_lshl_add_u32 v9, v1, 4, 0
	s_clause 0x1
	scratch_load_b128 v[1:4], v166, off
	scratch_load_b128 v[5:8], v9, off offset:-16
	s_waitcnt vmcnt(1)
	ds_store_2addr_b64 v0, v[1:2], v[3:4] offset1:1
	s_waitcnt vmcnt(0)
	s_clause 0x1
	scratch_store_b128 v166, v[5:8], off
	scratch_store_b128 v9, v[1:4], off offset:-16
.LBB119_362:
	s_or_b32 exec_lo, exec_lo, s0
	v_dual_mov_b32 v1, s8 :: v_dual_mov_b32 v2, s9
	s_mov_b32 s0, exec_lo
	flat_load_b32 v1, v[1:2] offset:192
	s_waitcnt vmcnt(0) lgkmcnt(0)
	v_cmpx_ne_u32_e32 49, v1
	s_cbranch_execz .LBB119_364
; %bb.363:
	v_lshl_add_u32 v9, v1, 4, 0
	s_clause 0x1
	scratch_load_b128 v[1:4], v10, off
	scratch_load_b128 v[5:8], v9, off offset:-16
	s_waitcnt vmcnt(1)
	ds_store_2addr_b64 v0, v[1:2], v[3:4] offset1:1
	s_waitcnt vmcnt(0)
	s_clause 0x1
	scratch_store_b128 v10, v[5:8], off
	scratch_store_b128 v9, v[1:4], off offset:-16
.LBB119_364:
	s_or_b32 exec_lo, exec_lo, s0
	v_dual_mov_b32 v1, s8 :: v_dual_mov_b32 v2, s9
	s_mov_b32 s0, exec_lo
	flat_load_b32 v1, v[1:2] offset:188
	s_waitcnt vmcnt(0) lgkmcnt(0)
	v_cmpx_ne_u32_e32 48, v1
	s_cbranch_execz .LBB119_366
; %bb.365:
	v_lshl_add_u32 v9, v1, 4, 0
	s_clause 0x1
	scratch_load_b128 v[1:4], v12, off
	scratch_load_b128 v[5:8], v9, off offset:-16
	s_waitcnt vmcnt(1)
	ds_store_2addr_b64 v0, v[1:2], v[3:4] offset1:1
	s_waitcnt vmcnt(0)
	s_clause 0x1
	scratch_store_b128 v12, v[5:8], off
	scratch_store_b128 v9, v[1:4], off offset:-16
.LBB119_366:
	s_or_b32 exec_lo, exec_lo, s0
	v_dual_mov_b32 v1, s8 :: v_dual_mov_b32 v2, s9
	s_mov_b32 s0, exec_lo
	flat_load_b32 v1, v[1:2] offset:184
	s_waitcnt vmcnt(0) lgkmcnt(0)
	v_cmpx_ne_u32_e32 47, v1
	s_cbranch_execz .LBB119_368
; %bb.367:
	v_lshl_add_u32 v9, v1, 4, 0
	s_clause 0x1
	scratch_load_b128 v[1:4], v11, off
	scratch_load_b128 v[5:8], v9, off offset:-16
	s_waitcnt vmcnt(1)
	ds_store_2addr_b64 v0, v[1:2], v[3:4] offset1:1
	s_waitcnt vmcnt(0)
	s_clause 0x1
	scratch_store_b128 v11, v[5:8], off
	scratch_store_b128 v9, v[1:4], off offset:-16
.LBB119_368:
	s_or_b32 exec_lo, exec_lo, s0
	v_dual_mov_b32 v1, s8 :: v_dual_mov_b32 v2, s9
	s_mov_b32 s0, exec_lo
	flat_load_b32 v1, v[1:2] offset:180
	s_waitcnt vmcnt(0) lgkmcnt(0)
	v_cmpx_ne_u32_e32 46, v1
	s_cbranch_execz .LBB119_370
; %bb.369:
	v_lshl_add_u32 v9, v1, 4, 0
	s_clause 0x1
	scratch_load_b128 v[1:4], v13, off
	scratch_load_b128 v[5:8], v9, off offset:-16
	s_waitcnt vmcnt(1)
	ds_store_2addr_b64 v0, v[1:2], v[3:4] offset1:1
	s_waitcnt vmcnt(0)
	s_clause 0x1
	scratch_store_b128 v13, v[5:8], off
	scratch_store_b128 v9, v[1:4], off offset:-16
.LBB119_370:
	s_or_b32 exec_lo, exec_lo, s0
	v_dual_mov_b32 v1, s8 :: v_dual_mov_b32 v2, s9
	s_mov_b32 s0, exec_lo
	flat_load_b32 v1, v[1:2] offset:176
	s_waitcnt vmcnt(0) lgkmcnt(0)
	v_cmpx_ne_u32_e32 45, v1
	s_cbranch_execz .LBB119_372
; %bb.371:
	v_lshl_add_u32 v9, v1, 4, 0
	s_clause 0x1
	scratch_load_b128 v[1:4], v14, off
	scratch_load_b128 v[5:8], v9, off offset:-16
	s_waitcnt vmcnt(1)
	ds_store_2addr_b64 v0, v[1:2], v[3:4] offset1:1
	s_waitcnt vmcnt(0)
	s_clause 0x1
	scratch_store_b128 v14, v[5:8], off
	scratch_store_b128 v9, v[1:4], off offset:-16
.LBB119_372:
	s_or_b32 exec_lo, exec_lo, s0
	v_dual_mov_b32 v1, s8 :: v_dual_mov_b32 v2, s9
	s_mov_b32 s0, exec_lo
	flat_load_b32 v1, v[1:2] offset:172
	s_waitcnt vmcnt(0) lgkmcnt(0)
	v_cmpx_ne_u32_e32 44, v1
	s_cbranch_execz .LBB119_374
; %bb.373:
	v_lshl_add_u32 v9, v1, 4, 0
	s_clause 0x1
	scratch_load_b128 v[1:4], v16, off
	scratch_load_b128 v[5:8], v9, off offset:-16
	s_waitcnt vmcnt(1)
	ds_store_2addr_b64 v0, v[1:2], v[3:4] offset1:1
	s_waitcnt vmcnt(0)
	s_clause 0x1
	scratch_store_b128 v16, v[5:8], off
	scratch_store_b128 v9, v[1:4], off offset:-16
.LBB119_374:
	s_or_b32 exec_lo, exec_lo, s0
	v_dual_mov_b32 v1, s8 :: v_dual_mov_b32 v2, s9
	s_mov_b32 s0, exec_lo
	flat_load_b32 v1, v[1:2] offset:168
	s_waitcnt vmcnt(0) lgkmcnt(0)
	v_cmpx_ne_u32_e32 43, v1
	s_cbranch_execz .LBB119_376
; %bb.375:
	v_lshl_add_u32 v9, v1, 4, 0
	s_clause 0x1
	scratch_load_b128 v[1:4], v15, off
	scratch_load_b128 v[5:8], v9, off offset:-16
	s_waitcnt vmcnt(1)
	ds_store_2addr_b64 v0, v[1:2], v[3:4] offset1:1
	s_waitcnt vmcnt(0)
	s_clause 0x1
	scratch_store_b128 v15, v[5:8], off
	scratch_store_b128 v9, v[1:4], off offset:-16
.LBB119_376:
	s_or_b32 exec_lo, exec_lo, s0
	v_dual_mov_b32 v1, s8 :: v_dual_mov_b32 v2, s9
	s_mov_b32 s0, exec_lo
	flat_load_b32 v1, v[1:2] offset:164
	s_waitcnt vmcnt(0) lgkmcnt(0)
	v_cmpx_ne_u32_e32 42, v1
	s_cbranch_execz .LBB119_378
; %bb.377:
	v_lshl_add_u32 v9, v1, 4, 0
	s_clause 0x1
	scratch_load_b128 v[1:4], v17, off
	scratch_load_b128 v[5:8], v9, off offset:-16
	s_waitcnt vmcnt(1)
	ds_store_2addr_b64 v0, v[1:2], v[3:4] offset1:1
	s_waitcnt vmcnt(0)
	s_clause 0x1
	scratch_store_b128 v17, v[5:8], off
	scratch_store_b128 v9, v[1:4], off offset:-16
.LBB119_378:
	s_or_b32 exec_lo, exec_lo, s0
	v_dual_mov_b32 v1, s8 :: v_dual_mov_b32 v2, s9
	s_mov_b32 s0, exec_lo
	flat_load_b32 v1, v[1:2] offset:160
	s_waitcnt vmcnt(0) lgkmcnt(0)
	v_cmpx_ne_u32_e32 41, v1
	s_cbranch_execz .LBB119_380
; %bb.379:
	v_lshl_add_u32 v9, v1, 4, 0
	s_clause 0x1
	scratch_load_b128 v[1:4], v18, off
	scratch_load_b128 v[5:8], v9, off offset:-16
	s_waitcnt vmcnt(1)
	ds_store_2addr_b64 v0, v[1:2], v[3:4] offset1:1
	s_waitcnt vmcnt(0)
	s_clause 0x1
	scratch_store_b128 v18, v[5:8], off
	scratch_store_b128 v9, v[1:4], off offset:-16
.LBB119_380:
	s_or_b32 exec_lo, exec_lo, s0
	v_dual_mov_b32 v1, s8 :: v_dual_mov_b32 v2, s9
	s_mov_b32 s0, exec_lo
	flat_load_b32 v1, v[1:2] offset:156
	s_waitcnt vmcnt(0) lgkmcnt(0)
	v_cmpx_ne_u32_e32 40, v1
	s_cbranch_execz .LBB119_382
; %bb.381:
	v_lshl_add_u32 v9, v1, 4, 0
	s_clause 0x1
	scratch_load_b128 v[1:4], v20, off
	scratch_load_b128 v[5:8], v9, off offset:-16
	s_waitcnt vmcnt(1)
	ds_store_2addr_b64 v0, v[1:2], v[3:4] offset1:1
	s_waitcnt vmcnt(0)
	s_clause 0x1
	scratch_store_b128 v20, v[5:8], off
	scratch_store_b128 v9, v[1:4], off offset:-16
.LBB119_382:
	s_or_b32 exec_lo, exec_lo, s0
	v_dual_mov_b32 v1, s8 :: v_dual_mov_b32 v2, s9
	s_mov_b32 s0, exec_lo
	flat_load_b32 v1, v[1:2] offset:152
	s_waitcnt vmcnt(0) lgkmcnt(0)
	v_cmpx_ne_u32_e32 39, v1
	s_cbranch_execz .LBB119_384
; %bb.383:
	v_lshl_add_u32 v9, v1, 4, 0
	s_clause 0x1
	scratch_load_b128 v[1:4], v19, off
	scratch_load_b128 v[5:8], v9, off offset:-16
	s_waitcnt vmcnt(1)
	ds_store_2addr_b64 v0, v[1:2], v[3:4] offset1:1
	s_waitcnt vmcnt(0)
	s_clause 0x1
	scratch_store_b128 v19, v[5:8], off
	scratch_store_b128 v9, v[1:4], off offset:-16
.LBB119_384:
	s_or_b32 exec_lo, exec_lo, s0
	v_dual_mov_b32 v1, s8 :: v_dual_mov_b32 v2, s9
	s_mov_b32 s0, exec_lo
	flat_load_b32 v1, v[1:2] offset:148
	s_waitcnt vmcnt(0) lgkmcnt(0)
	v_cmpx_ne_u32_e32 38, v1
	s_cbranch_execz .LBB119_386
; %bb.385:
	v_lshl_add_u32 v9, v1, 4, 0
	s_clause 0x1
	scratch_load_b128 v[1:4], v21, off
	scratch_load_b128 v[5:8], v9, off offset:-16
	s_waitcnt vmcnt(1)
	ds_store_2addr_b64 v0, v[1:2], v[3:4] offset1:1
	s_waitcnt vmcnt(0)
	s_clause 0x1
	scratch_store_b128 v21, v[5:8], off
	scratch_store_b128 v9, v[1:4], off offset:-16
.LBB119_386:
	s_or_b32 exec_lo, exec_lo, s0
	v_dual_mov_b32 v1, s8 :: v_dual_mov_b32 v2, s9
	s_mov_b32 s0, exec_lo
	flat_load_b32 v1, v[1:2] offset:144
	s_waitcnt vmcnt(0) lgkmcnt(0)
	v_cmpx_ne_u32_e32 37, v1
	s_cbranch_execz .LBB119_388
; %bb.387:
	v_lshl_add_u32 v9, v1, 4, 0
	s_clause 0x1
	scratch_load_b128 v[1:4], v22, off
	scratch_load_b128 v[5:8], v9, off offset:-16
	s_waitcnt vmcnt(1)
	ds_store_2addr_b64 v0, v[1:2], v[3:4] offset1:1
	s_waitcnt vmcnt(0)
	s_clause 0x1
	scratch_store_b128 v22, v[5:8], off
	scratch_store_b128 v9, v[1:4], off offset:-16
.LBB119_388:
	s_or_b32 exec_lo, exec_lo, s0
	v_dual_mov_b32 v1, s8 :: v_dual_mov_b32 v2, s9
	s_mov_b32 s0, exec_lo
	flat_load_b32 v1, v[1:2] offset:140
	s_waitcnt vmcnt(0) lgkmcnt(0)
	v_cmpx_ne_u32_e32 36, v1
	s_cbranch_execz .LBB119_390
; %bb.389:
	scratch_load_b32 v10, off, off offset:896 ; 4-byte Folded Reload
	v_lshl_add_u32 v9, v1, 4, 0
	s_waitcnt vmcnt(0)
	s_clause 0x1
	scratch_load_b128 v[1:4], v10, off
	scratch_load_b128 v[5:8], v9, off offset:-16
	s_waitcnt vmcnt(1)
	ds_store_2addr_b64 v0, v[1:2], v[3:4] offset1:1
	s_waitcnt vmcnt(0)
	s_clause 0x1
	scratch_store_b128 v10, v[5:8], off
	scratch_store_b128 v9, v[1:4], off offset:-16
.LBB119_390:
	s_or_b32 exec_lo, exec_lo, s0
	v_dual_mov_b32 v1, s8 :: v_dual_mov_b32 v2, s9
	s_mov_b32 s0, exec_lo
	flat_load_b32 v1, v[1:2] offset:136
	s_waitcnt vmcnt(0) lgkmcnt(0)
	v_cmpx_ne_u32_e32 35, v1
	s_cbranch_execz .LBB119_392
; %bb.391:
	v_lshl_add_u32 v9, v1, 4, 0
	s_clause 0x1
	scratch_load_b128 v[1:4], v23, off
	scratch_load_b128 v[5:8], v9, off offset:-16
	s_waitcnt vmcnt(1)
	ds_store_2addr_b64 v0, v[1:2], v[3:4] offset1:1
	s_waitcnt vmcnt(0)
	s_clause 0x1
	scratch_store_b128 v23, v[5:8], off
	scratch_store_b128 v9, v[1:4], off offset:-16
.LBB119_392:
	s_or_b32 exec_lo, exec_lo, s0
	v_dual_mov_b32 v1, s8 :: v_dual_mov_b32 v2, s9
	s_mov_b32 s0, exec_lo
	flat_load_b32 v1, v[1:2] offset:132
	s_waitcnt vmcnt(0) lgkmcnt(0)
	v_cmpx_ne_u32_e32 34, v1
	s_cbranch_execz .LBB119_394
; %bb.393:
	scratch_load_b32 v10, off, off offset:900 ; 4-byte Folded Reload
	v_lshl_add_u32 v9, v1, 4, 0
	s_waitcnt vmcnt(0)
	s_clause 0x1
	scratch_load_b128 v[1:4], v10, off
	scratch_load_b128 v[5:8], v9, off offset:-16
	s_waitcnt vmcnt(1)
	ds_store_2addr_b64 v0, v[1:2], v[3:4] offset1:1
	s_waitcnt vmcnt(0)
	s_clause 0x1
	scratch_store_b128 v10, v[5:8], off
	scratch_store_b128 v9, v[1:4], off offset:-16
.LBB119_394:
	s_or_b32 exec_lo, exec_lo, s0
	v_dual_mov_b32 v1, s8 :: v_dual_mov_b32 v2, s9
	s_mov_b32 s0, exec_lo
	flat_load_b32 v1, v[1:2] offset:128
	s_waitcnt vmcnt(0) lgkmcnt(0)
	v_cmpx_ne_u32_e32 33, v1
	s_cbranch_execz .LBB119_396
; %bb.395:
	v_lshl_add_u32 v9, v1, 4, 0
	s_clause 0x1
	scratch_load_b128 v[1:4], v212, off
	scratch_load_b128 v[5:8], v9, off offset:-16
	s_waitcnt vmcnt(1)
	ds_store_2addr_b64 v0, v[1:2], v[3:4] offset1:1
	s_waitcnt vmcnt(0)
	s_clause 0x1
	scratch_store_b128 v212, v[5:8], off
	scratch_store_b128 v9, v[1:4], off offset:-16
.LBB119_396:
	s_or_b32 exec_lo, exec_lo, s0
	v_dual_mov_b32 v1, s8 :: v_dual_mov_b32 v2, s9
	s_mov_b32 s0, exec_lo
	flat_load_b32 v1, v[1:2] offset:124
	s_waitcnt vmcnt(0) lgkmcnt(0)
	v_cmpx_ne_u32_e32 32, v1
	s_cbranch_execz .LBB119_398
; %bb.397:
	v_lshl_add_u32 v9, v1, 4, 0
	s_clause 0x1
	scratch_load_b128 v[1:4], v159, off
	scratch_load_b128 v[5:8], v9, off offset:-16
	s_waitcnt vmcnt(1)
	ds_store_2addr_b64 v0, v[1:2], v[3:4] offset1:1
	s_waitcnt vmcnt(0)
	s_clause 0x1
	scratch_store_b128 v159, v[5:8], off
	scratch_store_b128 v9, v[1:4], off offset:-16
.LBB119_398:
	;; [unrolled: 19-line block ×32, first 2 shown]
	s_or_b32 exec_lo, exec_lo, s0
	v_dual_mov_b32 v1, s8 :: v_dual_mov_b32 v2, s9
	s_mov_b32 s0, exec_lo
	flat_load_b32 v1, v[1:2]
	s_waitcnt vmcnt(0) lgkmcnt(0)
	v_cmpx_ne_u32_e32 1, v1
	s_cbranch_execz .LBB119_460
; %bb.459:
	v_lshl_add_u32 v9, v1, 4, 0
	scratch_load_b128 v[1:4], off, off
	scratch_load_b128 v[5:8], v9, off offset:-16
	s_waitcnt vmcnt(1)
	ds_store_2addr_b64 v0, v[1:2], v[3:4] offset1:1
	s_waitcnt vmcnt(0)
	scratch_store_b128 off, v[5:8], off
	scratch_store_b128 v9, v[1:4], off offset:-16
.LBB119_460:
	s_or_b32 exec_lo, exec_lo, s0
.LBB119_461:
	scratch_load_b128 v[0:3], off, off
	s_clause 0x14
	scratch_load_b128 v[4:7], v209, off
	scratch_load_b128 v[8:11], v208, off
	;; [unrolled: 1-line block ×21, first 2 shown]
	s_waitcnt vmcnt(21)
	global_store_b128 v[42:43], v[0:3], off
	s_clause 0x1
	scratch_load_b128 v[0:3], v187, off
	scratch_load_b128 v[40:43], v188, off
	scratch_load_b64 v[44:45], off, off offset:912 ; 8-byte Folded Reload
	s_waitcnt vmcnt(0)
	global_store_b128 v[44:45], v[4:7], off
	s_clause 0x1
	scratch_load_b128 v[4:7], v186, off
	scratch_load_b128 v[183:186], v211, off
	scratch_load_b64 v[44:45], off, off offset:904 ; 8-byte Folded Reload
	s_waitcnt vmcnt(0)
	global_store_b128 v[44:45], v[8:11], off
	s_clause 0x1
	scratch_load_b128 v[8:11], v254, off
	scratch_load_b128 v[44:47], v255, off
	global_store_b128 v[50:51], v[12:15], off
	s_clause 0x1
	scratch_load_b128 v[12:15], v161, off
	scratch_load_b128 v[187:190], v160, off
	scratch_load_b64 v[48:49], off, off offset:920 ; 8-byte Folded Reload
	s_waitcnt vmcnt(0)
	global_store_b128 v[48:49], v[16:19], off
	s_clause 0x1
	scratch_load_b128 v[16:19], v213, off
	scratch_load_b128 v[48:51], v159, off
	global_store_b128 v[54:55], v[20:23], off
	scratch_load_b128 v[20:23], v212, off
	scratch_load_b32 v54, off, off offset:900 ; 4-byte Folded Reload
	global_store_b128 v[52:53], v[24:27], off
	s_waitcnt vmcnt(0)
	s_clause 0x1
	scratch_load_b128 v[208:211], v54, off
	scratch_load_b128 v[24:27], v232, off
	scratch_load_b32 v52, off, off offset:896 ; 4-byte Folded Reload
	global_store_b128 v[58:59], v[28:31], off
	s_waitcnt vmcnt(0)
	s_clause 0x2
	scratch_load_b128 v[52:55], v52, off
	scratch_load_b128 v[28:31], v231, off
	;; [unrolled: 1-line block ×3, first 2 shown]
	global_store_b128 v[56:57], v[32:35], off
	s_clause 0x1
	scratch_load_b128 v[32:35], v236, off
	scratch_load_b128 v[56:59], v237, off
	global_store_b128 v[62:63], v[36:39], off
	s_clause 0x1
	scratch_load_b128 v[36:39], v235, off
	scratch_load_b128 v[234:237], v234, off
	global_store_b128 v[60:61], v[167:170], off
	s_clause 0x1
	scratch_load_b128 v[60:63], v240, off
	scratch_load_b128 v[167:170], v241, off
	global_store_b128 v[66:67], v[171:174], off
	s_clause 0x1
	scratch_load_b128 v[171:174], v239, off
	scratch_load_b128 v[238:241], v238, off
	global_store_b128 v[64:65], v[175:178], off
	s_clause 0x1
	scratch_load_b128 v[64:67], v243, off
	scratch_load_b128 v[175:178], v244, off
	global_store_b128 v[70:71], v[179:182], off
	s_clause 0x1
	scratch_load_b128 v[179:182], v242, off
	scratch_load_b128 v[242:245], v166, off
	global_store_b128 v[68:69], v[196:199], off
	s_clause 0x1
	scratch_load_b128 v[68:71], v165, off
	scratch_load_b128 v[196:199], v164, off
	global_store_b128 v[72:73], v[200:203], off
	s_clause 0x1
	scratch_load_b128 v[163:166], v163, off
	scratch_load_b128 v[159:162], v162, off
	global_store_b128 v[74:75], v[204:207], off
	s_clause 0x1
	scratch_load_b128 v[72:75], v155, off
	scratch_load_b128 v[154:157], v158, off
	s_clause 0x11
	global_store_b128 v[76:77], v[214:217], off
	global_store_b128 v[78:79], v[192:195], off
	;; [unrolled: 1-line block ×18, first 2 shown]
	s_waitcnt vmcnt(20)
	global_store_b128 v[114:115], v[52:55], off
	s_waitcnt vmcnt(19)
	global_store_b128 v[116:117], v[28:31], off
	s_waitcnt vmcnt(18)
	global_store_b128 v[118:119], v[230:233], off
	s_waitcnt vmcnt(17)
	global_store_b128 v[120:121], v[32:35], off
	s_waitcnt vmcnt(16)
	global_store_b128 v[122:123], v[56:59], off
	s_waitcnt vmcnt(15)
	global_store_b128 v[124:125], v[36:39], off
	s_waitcnt vmcnt(14)
	global_store_b128 v[126:127], v[234:237], off
	s_waitcnt vmcnt(13)
	global_store_b128 v[128:129], v[60:63], off
	s_waitcnt vmcnt(12)
	global_store_b128 v[130:131], v[167:170], off
	s_waitcnt vmcnt(11)
	global_store_b128 v[132:133], v[171:174], off
	s_waitcnt vmcnt(10)
	global_store_b128 v[134:135], v[238:241], off
	s_waitcnt vmcnt(9)
	global_store_b128 v[136:137], v[64:67], off
	s_waitcnt vmcnt(8)
	global_store_b128 v[138:139], v[175:178], off
	s_waitcnt vmcnt(7)
	global_store_b128 v[140:141], v[179:182], off
	s_waitcnt vmcnt(6)
	global_store_b128 v[142:143], v[242:245], off
	s_waitcnt vmcnt(5)
	global_store_b128 v[144:145], v[68:71], off
	s_waitcnt vmcnt(4)
	global_store_b128 v[146:147], v[196:199], off
	s_waitcnt vmcnt(3)
	global_store_b128 v[148:149], v[163:166], off
	s_waitcnt vmcnt(2)
	global_store_b128 v[150:151], v[159:162], off
	s_waitcnt vmcnt(1)
	global_store_b128 v[152:153], v[72:75], off
	s_waitcnt vmcnt(0)
	global_store_b128 v[96:97], v[154:157], off
	s_endpgm
	.section	.rodata,"a",@progbits
	.p2align	6, 0x0
	.amdhsa_kernel _ZN9rocsolver6v33100L18getri_kernel_smallILi56E19rocblas_complex_numIdEPKPS3_EEvT1_iilPiilS8_bb
		.amdhsa_group_segment_fixed_size 2824
		.amdhsa_private_segment_fixed_size 944
		.amdhsa_kernarg_size 60
		.amdhsa_user_sgpr_count 15
		.amdhsa_user_sgpr_dispatch_ptr 1
		.amdhsa_user_sgpr_queue_ptr 0
		.amdhsa_user_sgpr_kernarg_segment_ptr 1
		.amdhsa_user_sgpr_dispatch_id 0
		.amdhsa_user_sgpr_private_segment_size 0
		.amdhsa_wavefront_size32 1
		.amdhsa_uses_dynamic_stack 0
		.amdhsa_enable_private_segment 1
		.amdhsa_system_sgpr_workgroup_id_x 1
		.amdhsa_system_sgpr_workgroup_id_y 0
		.amdhsa_system_sgpr_workgroup_id_z 0
		.amdhsa_system_sgpr_workgroup_info 0
		.amdhsa_system_vgpr_workitem_id 2
		.amdhsa_next_free_vgpr 256
		.amdhsa_next_free_sgpr 62
		.amdhsa_reserve_vcc 1
		.amdhsa_float_round_mode_32 0
		.amdhsa_float_round_mode_16_64 0
		.amdhsa_float_denorm_mode_32 3
		.amdhsa_float_denorm_mode_16_64 3
		.amdhsa_dx10_clamp 1
		.amdhsa_ieee_mode 1
		.amdhsa_fp16_overflow 0
		.amdhsa_workgroup_processor_mode 1
		.amdhsa_memory_ordered 1
		.amdhsa_forward_progress 0
		.amdhsa_shared_vgpr_count 0
		.amdhsa_exception_fp_ieee_invalid_op 0
		.amdhsa_exception_fp_denorm_src 0
		.amdhsa_exception_fp_ieee_div_zero 0
		.amdhsa_exception_fp_ieee_overflow 0
		.amdhsa_exception_fp_ieee_underflow 0
		.amdhsa_exception_fp_ieee_inexact 0
		.amdhsa_exception_int_div_zero 0
	.end_amdhsa_kernel
	.section	.text._ZN9rocsolver6v33100L18getri_kernel_smallILi56E19rocblas_complex_numIdEPKPS3_EEvT1_iilPiilS8_bb,"axG",@progbits,_ZN9rocsolver6v33100L18getri_kernel_smallILi56E19rocblas_complex_numIdEPKPS3_EEvT1_iilPiilS8_bb,comdat
.Lfunc_end119:
	.size	_ZN9rocsolver6v33100L18getri_kernel_smallILi56E19rocblas_complex_numIdEPKPS3_EEvT1_iilPiilS8_bb, .Lfunc_end119-_ZN9rocsolver6v33100L18getri_kernel_smallILi56E19rocblas_complex_numIdEPKPS3_EEvT1_iilPiilS8_bb
                                        ; -- End function
	.section	.AMDGPU.csdata,"",@progbits
; Kernel info:
; codeLenInByte = 139696
; NumSgprs: 64
; NumVgprs: 256
; ScratchSize: 944
; MemoryBound: 0
; FloatMode: 240
; IeeeMode: 1
; LDSByteSize: 2824 bytes/workgroup (compile time only)
; SGPRBlocks: 7
; VGPRBlocks: 31
; NumSGPRsForWavesPerEU: 64
; NumVGPRsForWavesPerEU: 256
; Occupancy: 5
; WaveLimiterHint : 1
; COMPUTE_PGM_RSRC2:SCRATCH_EN: 1
; COMPUTE_PGM_RSRC2:USER_SGPR: 15
; COMPUTE_PGM_RSRC2:TRAP_HANDLER: 0
; COMPUTE_PGM_RSRC2:TGID_X_EN: 1
; COMPUTE_PGM_RSRC2:TGID_Y_EN: 0
; COMPUTE_PGM_RSRC2:TGID_Z_EN: 0
; COMPUTE_PGM_RSRC2:TIDIG_COMP_CNT: 2
	.section	.text._ZN9rocsolver6v33100L18getri_kernel_smallILi57E19rocblas_complex_numIdEPKPS3_EEvT1_iilPiilS8_bb,"axG",@progbits,_ZN9rocsolver6v33100L18getri_kernel_smallILi57E19rocblas_complex_numIdEPKPS3_EEvT1_iilPiilS8_bb,comdat
	.globl	_ZN9rocsolver6v33100L18getri_kernel_smallILi57E19rocblas_complex_numIdEPKPS3_EEvT1_iilPiilS8_bb ; -- Begin function _ZN9rocsolver6v33100L18getri_kernel_smallILi57E19rocblas_complex_numIdEPKPS3_EEvT1_iilPiilS8_bb
	.p2align	8
	.type	_ZN9rocsolver6v33100L18getri_kernel_smallILi57E19rocblas_complex_numIdEPKPS3_EEvT1_iilPiilS8_bb,@function
_ZN9rocsolver6v33100L18getri_kernel_smallILi57E19rocblas_complex_numIdEPKPS3_EEvT1_iilPiilS8_bb: ; @_ZN9rocsolver6v33100L18getri_kernel_smallILi57E19rocblas_complex_numIdEPKPS3_EEvT1_iilPiilS8_bb
; %bb.0:
	v_and_b32_e32 v156, 0x3ff, v0
	s_mov_b32 s4, exec_lo
	s_delay_alu instid0(VALU_DEP_1)
	v_cmpx_gt_u32_e32 57, v156
	s_cbranch_execz .LBB120_242
; %bb.1:
	s_mov_b32 s10, s15
	s_clause 0x2
	s_load_b32 s15, s[2:3], 0x38
	s_load_b64 s[8:9], s[2:3], 0x0
	s_load_b128 s[4:7], s[2:3], 0x28
	s_waitcnt lgkmcnt(0)
	s_bitcmp1_b32 s15, 8
	s_cselect_b32 s14, -1, 0
	s_ashr_i32 s11, s10, 31
	s_delay_alu instid0(SALU_CYCLE_1) | instskip(NEXT) | instid1(SALU_CYCLE_1)
	s_lshl_b64 s[12:13], s[10:11], 3
	s_add_u32 s8, s8, s12
	s_addc_u32 s9, s9, s13
	s_load_b64 s[12:13], s[8:9], 0x0
	s_bfe_u32 s8, s15, 0x10008
	s_delay_alu instid0(SALU_CYCLE_1)
	s_cmp_eq_u32 s8, 0
                                        ; implicit-def: $sgpr8_sgpr9
	s_cbranch_scc1 .LBB120_3
; %bb.2:
	s_clause 0x1
	s_load_b32 s8, s[2:3], 0x20
	s_load_b64 s[16:17], s[2:3], 0x18
	s_mul_i32 s5, s10, s5
	s_mul_hi_u32 s9, s10, s4
	s_mul_i32 s18, s11, s4
	s_add_i32 s5, s9, s5
	s_mul_i32 s4, s10, s4
	s_add_i32 s5, s5, s18
	s_delay_alu instid0(SALU_CYCLE_1)
	s_lshl_b64 s[4:5], s[4:5], 2
	s_waitcnt lgkmcnt(0)
	s_ashr_i32 s9, s8, 31
	s_add_u32 s16, s16, s4
	s_addc_u32 s17, s17, s5
	s_lshl_b64 s[4:5], s[8:9], 2
	s_delay_alu instid0(SALU_CYCLE_1)
	s_add_u32 s8, s16, s4
	s_addc_u32 s9, s17, s5
.LBB120_3:
	s_load_b64 s[2:3], s[2:3], 0x8
	v_lshlrev_b32_e32 v13, 4, v156
	s_movk_i32 s18, 0xd0
	s_movk_i32 s19, 0xe0
	;; [unrolled: 1-line block ×18, first 2 shown]
	s_waitcnt lgkmcnt(0)
	v_add3_u32 v5, s3, s3, v156
	s_ashr_i32 s5, s2, 31
	s_mov_b32 s4, s2
	s_mov_b32 s16, s3
	s_lshl_b64 s[4:5], s[4:5], 4
	v_add_nc_u32_e32 v7, s3, v5
	v_ashrrev_i32_e32 v6, 31, v5
	s_add_u32 s4, s12, s4
	s_addc_u32 s5, s13, s5
	v_add_co_u32 v42, s2, s4, v13
	v_add_nc_u32_e32 v9, s3, v7
	s_ashr_i32 s17, s3, 31
	v_add_co_ci_u32_e64 v43, null, s5, 0, s2
	v_ashrrev_i32_e32 v8, 31, v7
	v_lshlrev_b64 v[5:6], 4, v[5:6]
	s_lshl_b64 s[12:13], s[16:17], 4
	v_ashrrev_i32_e32 v10, 31, v9
	v_add_co_u32 v44, vcc_lo, v42, s12
	v_add_nc_u32_e32 v11, s3, v9
	v_add_co_ci_u32_e32 v45, vcc_lo, s13, v43, vcc_lo
	v_lshlrev_b64 v[7:8], 4, v[7:8]
	v_add_co_u32 v46, vcc_lo, s4, v5
	v_add_co_ci_u32_e32 v47, vcc_lo, s5, v6, vcc_lo
	v_lshlrev_b64 v[5:6], 4, v[9:10]
	v_ashrrev_i32_e32 v12, 31, v11
	v_add_nc_u32_e32 v9, s3, v11
	v_add_co_u32 v48, vcc_lo, s4, v7
	v_add_co_ci_u32_e32 v49, vcc_lo, s5, v8, vcc_lo
	s_delay_alu instid0(VALU_DEP_4) | instskip(NEXT) | instid1(VALU_DEP_4)
	v_lshlrev_b64 v[7:8], 4, v[11:12]
	v_ashrrev_i32_e32 v10, 31, v9
	v_add_nc_u32_e32 v11, s3, v9
	v_add_co_u32 v50, vcc_lo, s4, v5
	v_add_co_ci_u32_e32 v51, vcc_lo, s5, v6, vcc_lo
	s_delay_alu instid0(VALU_DEP_4) | instskip(NEXT) | instid1(VALU_DEP_4)
	;; [unrolled: 6-line block ×5, first 2 shown]
	v_lshlrev_b64 v[7:8], 4, v[11:12]
	v_add_nc_u32_e32 v11, s3, v9
	v_ashrrev_i32_e32 v10, 31, v9
	v_add_co_u32 v58, vcc_lo, s4, v5
	v_add_co_ci_u32_e32 v59, vcc_lo, s5, v6, vcc_lo
	s_delay_alu instid0(VALU_DEP_4) | instskip(SKIP_3) | instid1(VALU_DEP_4)
	v_add_nc_u32_e32 v20, s3, v11
	v_ashrrev_i32_e32 v12, 31, v11
	v_lshlrev_b64 v[18:19], 4, v[9:10]
	v_add_co_u32 v60, vcc_lo, s4, v7
	v_add_nc_u32_e32 v24, s3, v20
	v_ashrrev_i32_e32 v21, 31, v20
	global_load_b128 v[1:4], v13, s[4:5]
	v_add_co_ci_u32_e32 v61, vcc_lo, s5, v8, vcc_lo
	v_lshlrev_b64 v[22:23], 4, v[11:12]
	s_clause 0x1
	global_load_b128 v[5:8], v[44:45], off
	global_load_b128 v[9:12], v[46:47], off
	v_add_nc_u32_e32 v28, s3, v24
	v_add_co_u32 v74, vcc_lo, s4, v18
	v_lshlrev_b64 v[26:27], 4, v[20:21]
	v_add_co_ci_u32_e32 v75, vcc_lo, s5, v19, vcc_lo
	v_ashrrev_i32_e32 v25, 31, v24
	v_add_co_u32 v62, vcc_lo, s4, v22
	v_ashrrev_i32_e32 v29, 31, v28
	v_add_co_ci_u32_e32 v63, vcc_lo, s5, v23, vcc_lo
	v_add_co_u32 v68, vcc_lo, s4, v26
	global_load_b128 v[14:17], v[48:49], off
	v_lshlrev_b64 v[30:31], 4, v[24:25]
	s_clause 0x1
	global_load_b128 v[18:21], v[50:51], off
	global_load_b128 v[22:25], v[52:53], off
	v_add_nc_u32_e32 v32, s3, v28
	v_add_co_ci_u32_e32 v69, vcc_lo, s5, v27, vcc_lo
	v_lshlrev_b64 v[38:39], 4, v[28:29]
	global_load_b128 v[26:29], v[54:55], off
	v_ashrrev_i32_e32 v33, 31, v32
	v_add_co_u32 v64, vcc_lo, s4, v30
	v_add_nc_u32_e32 v40, s3, v32
	v_add_co_ci_u32_e32 v65, vcc_lo, s5, v31, vcc_lo
	s_delay_alu instid0(VALU_DEP_4)
	v_lshlrev_b64 v[66:67], 4, v[32:33]
	s_clause 0x1
	global_load_b128 v[30:33], v[56:57], off
	global_load_b128 v[34:37], v[58:59], off
	v_add_nc_u32_e32 v72, s3, v40
	v_ashrrev_i32_e32 v41, 31, v40
	v_add_co_u32 v70, vcc_lo, s4, v38
	v_add_co_ci_u32_e32 v71, vcc_lo, s5, v39, vcc_lo
	s_delay_alu instid0(VALU_DEP_4) | instskip(NEXT) | instid1(VALU_DEP_4)
	v_add_nc_u32_e32 v78, s3, v72
	v_lshlrev_b64 v[76:77], 4, v[40:41]
	s_clause 0x2
	global_load_b128 v[38:41], v[60:61], off
	global_load_b128 v[138:141], v[74:75], off
	;; [unrolled: 1-line block ×3, first 2 shown]
	v_ashrrev_i32_e32 v73, 31, v72
	v_add_nc_u32_e32 v82, s3, v78
	v_add_co_u32 v66, vcc_lo, s4, v66
	global_load_b128 v[146:149], v[68:69], off
	v_lshlrev_b64 v[80:81], 4, v[72:73]
	v_add_co_ci_u32_e32 v67, vcc_lo, s5, v67, vcc_lo
	v_add_co_u32 v72, vcc_lo, s4, v76
	v_ashrrev_i32_e32 v83, 31, v82
	v_add_nc_u32_e32 v84, s3, v82
	v_add_co_ci_u32_e32 v73, vcc_lo, s5, v77, vcc_lo
	s_clause 0x1
	global_load_b128 v[150:153], v[64:65], off
	global_load_b128 v[157:160], v[70:71], off
	v_ashrrev_i32_e32 v79, 31, v78
	v_add_co_u32 v76, vcc_lo, s4, v80
	v_add_co_ci_u32_e32 v77, vcc_lo, s5, v81, vcc_lo
	v_lshlrev_b64 v[80:81], 4, v[82:83]
	v_add_nc_u32_e32 v82, s3, v84
	v_lshlrev_b64 v[78:79], 4, v[78:79]
	v_ashrrev_i32_e32 v85, 31, v84
	s_clause 0x2
	global_load_b128 v[161:164], v[66:67], off
	global_load_b128 v[165:168], v[72:73], off
	;; [unrolled: 1-line block ×3, first 2 shown]
	v_add_nc_u32_e32 v86, s3, v82
	v_ashrrev_i32_e32 v83, 31, v82
	v_add_co_u32 v78, vcc_lo, s4, v78
	v_lshlrev_b64 v[84:85], 4, v[84:85]
	s_delay_alu instid0(VALU_DEP_4)
	v_add_nc_u32_e32 v90, s3, v86
	v_add_co_ci_u32_e32 v79, vcc_lo, s5, v79, vcc_lo
	v_add_co_u32 v80, vcc_lo, s4, v80
	v_lshlrev_b64 v[88:89], 4, v[82:83]
	v_add_co_ci_u32_e32 v81, vcc_lo, s5, v81, vcc_lo
	v_add_co_u32 v82, vcc_lo, s4, v84
	v_ashrrev_i32_e32 v91, 31, v90
	v_add_nc_u32_e32 v92, s3, v90
	v_ashrrev_i32_e32 v87, 31, v86
	v_add_co_ci_u32_e32 v83, vcc_lo, s5, v85, vcc_lo
	v_add_co_u32 v84, vcc_lo, s4, v88
	v_add_co_ci_u32_e32 v85, vcc_lo, s5, v89, vcc_lo
	v_lshlrev_b64 v[88:89], 4, v[90:91]
	v_add_nc_u32_e32 v90, s3, v92
	v_lshlrev_b64 v[86:87], 4, v[86:87]
	v_ashrrev_i32_e32 v93, 31, v92
	s_clause 0x2
	global_load_b128 v[173:176], v[78:79], off
	global_load_b128 v[177:180], v[80:81], off
	;; [unrolled: 1-line block ×3, first 2 shown]
	v_ashrrev_i32_e32 v91, 31, v90
	v_add_nc_u32_e32 v96, s3, v90
	v_add_co_u32 v86, vcc_lo, s4, v86
	v_lshlrev_b64 v[92:93], 4, v[92:93]
	v_add_co_ci_u32_e32 v87, vcc_lo, s5, v87, vcc_lo
	v_add_co_u32 v88, vcc_lo, s4, v88
	v_lshlrev_b64 v[94:95], 4, v[90:91]
	v_add_co_ci_u32_e32 v89, vcc_lo, s5, v89, vcc_lo
	v_add_co_u32 v90, vcc_lo, s4, v92
	v_add_co_ci_u32_e32 v91, vcc_lo, s5, v93, vcc_lo
	s_delay_alu instid0(VALU_DEP_4)
	v_add_co_u32 v92, vcc_lo, s4, v94
	s_clause 0x1
	global_load_b128 v[185:188], v[84:85], off
	global_load_b128 v[189:192], v[86:87], off
	v_add_co_ci_u32_e32 v93, vcc_lo, s5, v95, vcc_lo
	s_clause 0x2
	global_load_b128 v[193:196], v[88:89], off
	global_load_b128 v[197:200], v[90:91], off
	global_load_b128 v[201:204], v[92:93], off
	v_ashrrev_i32_e32 v97, 31, v96
	s_movk_i32 s2, 0x50
	s_movk_i32 s12, 0x90
	;; [unrolled: 1-line block ×4, first 2 shown]
	v_lshlrev_b64 v[94:95], 4, v[96:97]
	v_add_nc_u32_e32 v96, s3, v96
	s_movk_i32 s17, 0xc0
	s_movk_i32 s37, 0x1f0
	;; [unrolled: 1-line block ×4, first 2 shown]
	v_add_nc_u32_e32 v98, s3, v96
	v_ashrrev_i32_e32 v97, 31, v96
	v_add_co_u32 v94, vcc_lo, s4, v94
	v_add_co_ci_u32_e32 v95, vcc_lo, s5, v95, vcc_lo
	s_delay_alu instid0(VALU_DEP_4)
	v_add_nc_u32_e32 v100, s3, v98
	v_ashrrev_i32_e32 v99, 31, v98
	v_lshlrev_b64 v[96:97], 4, v[96:97]
	global_load_b128 v[205:208], v[94:95], off
	s_movk_i32 s40, 0x220
	v_add_nc_u32_e32 v102, s3, v100
	v_ashrrev_i32_e32 v101, 31, v100
	v_lshlrev_b64 v[98:99], 4, v[98:99]
	v_add_co_u32 v96, vcc_lo, s4, v96
	s_delay_alu instid0(VALU_DEP_4) | instskip(SKIP_3) | instid1(VALU_DEP_4)
	v_add_nc_u32_e32 v104, s3, v102
	v_ashrrev_i32_e32 v103, 31, v102
	v_lshlrev_b64 v[100:101], 4, v[100:101]
	v_add_co_ci_u32_e32 v97, vcc_lo, s5, v97, vcc_lo
	v_add_nc_u32_e32 v106, s3, v104
	v_ashrrev_i32_e32 v105, 31, v104
	v_add_co_u32 v98, vcc_lo, s4, v98
	v_lshlrev_b64 v[102:103], 4, v[102:103]
	s_delay_alu instid0(VALU_DEP_4) | instskip(SKIP_3) | instid1(VALU_DEP_4)
	v_add_nc_u32_e32 v108, s3, v106
	v_ashrrev_i32_e32 v107, 31, v106
	v_add_co_ci_u32_e32 v99, vcc_lo, s5, v99, vcc_lo
	v_add_co_u32 v100, vcc_lo, s4, v100
	v_add_nc_u32_e32 v110, s3, v108
	v_lshlrev_b64 v[104:105], 4, v[104:105]
	v_ashrrev_i32_e32 v109, 31, v108
	v_add_co_ci_u32_e32 v101, vcc_lo, s5, v101, vcc_lo
	s_delay_alu instid0(VALU_DEP_4) | instskip(SKIP_3) | instid1(VALU_DEP_4)
	v_add_nc_u32_e32 v112, s3, v110
	v_add_co_u32 v102, vcc_lo, s4, v102
	v_lshlrev_b64 v[106:107], 4, v[106:107]
	v_ashrrev_i32_e32 v111, 31, v110
	v_add_nc_u32_e32 v114, s3, v112
	v_add_co_ci_u32_e32 v103, vcc_lo, s5, v103, vcc_lo
	v_add_co_u32 v104, vcc_lo, s4, v104
	s_delay_alu instid0(VALU_DEP_3) | instskip(SKIP_3) | instid1(VALU_DEP_4)
	v_add_nc_u32_e32 v116, s3, v114
	v_lshlrev_b64 v[108:109], 4, v[108:109]
	v_ashrrev_i32_e32 v113, 31, v112
	v_add_co_ci_u32_e32 v105, vcc_lo, s5, v105, vcc_lo
	v_add_nc_u32_e32 v118, s3, v116
	v_add_co_u32 v106, vcc_lo, s4, v106
	v_lshlrev_b64 v[110:111], 4, v[110:111]
	v_ashrrev_i32_e32 v115, 31, v114
	s_delay_alu instid0(VALU_DEP_4) | instskip(SKIP_2) | instid1(VALU_DEP_3)
	v_add_nc_u32_e32 v120, s3, v118
	v_add_co_ci_u32_e32 v107, vcc_lo, s5, v107, vcc_lo
	v_add_co_u32 v108, vcc_lo, s4, v108
	v_add_nc_u32_e32 v122, s3, v120
	v_lshlrev_b64 v[112:113], 4, v[112:113]
	v_ashrrev_i32_e32 v117, 31, v116
	v_add_co_ci_u32_e32 v109, vcc_lo, s5, v109, vcc_lo
	s_delay_alu instid0(VALU_DEP_4)
	v_add_nc_u32_e32 v124, s3, v122
	v_add_co_u32 v110, vcc_lo, s4, v110
	v_lshlrev_b64 v[114:115], 4, v[114:115]
	v_ashrrev_i32_e32 v119, 31, v118
	v_add_co_ci_u32_e32 v111, vcc_lo, s5, v111, vcc_lo
	v_add_co_u32 v112, vcc_lo, s4, v112
	v_lshlrev_b64 v[116:117], 4, v[116:117]
	v_ashrrev_i32_e32 v121, 31, v120
	v_add_nc_u32_e32 v126, s3, v124
	v_add_co_ci_u32_e32 v113, vcc_lo, s5, v113, vcc_lo
	v_add_co_u32 v114, vcc_lo, s4, v114
	v_lshlrev_b64 v[118:119], 4, v[118:119]
	v_ashrrev_i32_e32 v123, 31, v122
	v_add_co_ci_u32_e32 v115, vcc_lo, s5, v115, vcc_lo
	v_add_co_u32 v116, vcc_lo, s4, v116
	v_lshlrev_b64 v[120:121], 4, v[120:121]
	v_add_nc_u32_e32 v128, s3, v126
	v_ashrrev_i32_e32 v125, 31, v124
	v_add_co_ci_u32_e32 v117, vcc_lo, s5, v117, vcc_lo
	v_add_co_u32 v118, vcc_lo, s4, v118
	v_lshlrev_b64 v[122:123], 4, v[122:123]
	v_ashrrev_i32_e32 v127, 31, v126
	v_add_co_ci_u32_e32 v119, vcc_lo, s5, v119, vcc_lo
	v_add_nc_u32_e32 v130, s3, v128
	v_add_co_u32 v120, vcc_lo, s4, v120
	v_lshlrev_b64 v[124:125], 4, v[124:125]
	v_ashrrev_i32_e32 v129, 31, v128
	v_add_co_ci_u32_e32 v121, vcc_lo, s5, v121, vcc_lo
	s_clause 0x9
	global_load_b128 v[209:212], v[96:97], off
	global_load_b128 v[213:216], v[98:99], off
	;; [unrolled: 1-line block ×10, first 2 shown]
	v_add_co_u32 v122, vcc_lo, s4, v122
	v_add_nc_u32_e32 v132, s3, v130
	v_add_co_ci_u32_e32 v123, vcc_lo, s5, v123, vcc_lo
	v_add_co_u32 v124, vcc_lo, s4, v124
	v_add_co_ci_u32_e32 v125, vcc_lo, s5, v125, vcc_lo
	s_delay_alu instid0(VALU_DEP_4)
	v_add_nc_u32_e32 v134, s3, v132
	v_ashrrev_i32_e32 v131, 31, v130
	v_ashrrev_i32_e32 v133, 31, v132
	s_movk_i32 s41, 0x230
	s_movk_i32 s42, 0x240
	v_ashrrev_i32_e32 v135, 31, v134
	s_movk_i32 s43, 0x250
	s_movk_i32 s44, 0x260
	;; [unrolled: 1-line block ×20, first 2 shown]
	v_add_nc_u32_e64 v255, s27, 0
	v_add_nc_u32_e64 v254, s28, 0
	;; [unrolled: 1-line block ×3, first 2 shown]
	s_bitcmp0_b32 s15, 0
	s_waitcnt vmcnt(36)
	scratch_store_b128 off, v[1:4], off
	s_waitcnt vmcnt(35)
	scratch_store_b128 off, v[5:8], off offset:16
	s_waitcnt vmcnt(34)
	scratch_store_b128 off, v[9:12], off offset:32
	v_lshlrev_b64 v[9:10], 4, v[126:127]
	v_lshlrev_b64 v[11:12], 4, v[128:129]
	s_clause 0x1
	global_load_b128 v[1:4], v[116:117], off
	global_load_b128 v[5:8], v[118:119], off
	v_add_co_u32 v126, vcc_lo, s4, v9
	v_add_co_ci_u32_e32 v127, vcc_lo, s5, v10, vcc_lo
	v_add_co_u32 v128, vcc_lo, s4, v11
	v_add_co_ci_u32_e32 v129, vcc_lo, s5, v12, vcc_lo
	s_waitcnt vmcnt(35)
	scratch_store_b128 off, v[14:17], off offset:48
	s_waitcnt vmcnt(34)
	scratch_store_b128 off, v[18:21], off offset:64
	;; [unrolled: 2-line block ×3, first 2 shown]
	s_clause 0x1
	global_load_b128 v[9:12], v[120:121], off
	global_load_b128 v[14:17], v[122:123], off
	v_lshlrev_b64 v[18:19], 4, v[130:131]
	v_lshlrev_b64 v[20:21], 4, v[132:133]
	s_waitcnt vmcnt(34)
	scratch_store_b128 off, v[26:29], off offset:96
	v_add_nc_u32_e32 v26, s3, v134
	s_waitcnt vmcnt(33)
	scratch_store_b128 off, v[30:33], off offset:112
	s_waitcnt vmcnt(32)
	scratch_store_b128 off, v[34:37], off offset:128
	v_add_nc_u32_e32 v154, s3, v26
	v_ashrrev_i32_e32 v27, 31, v26
	v_add_co_u32 v130, vcc_lo, s4, v18
	v_lshlrev_b64 v[28:29], 4, v[134:135]
	s_delay_alu instid0(VALU_DEP_4) | instskip(SKIP_3) | instid1(VALU_DEP_4)
	v_add_nc_u32_e32 v34, s3, v154
	v_ashrrev_i32_e32 v155, 31, v154
	v_add_co_ci_u32_e32 v131, vcc_lo, s5, v19, vcc_lo
	v_add_co_u32 v132, vcc_lo, s4, v20
	v_add_nc_u32_e32 v249, s3, v34
	v_lshlrev_b64 v[26:27], 4, v[26:27]
	v_ashrrev_i32_e32 v35, 31, v34
	v_add_co_ci_u32_e32 v133, vcc_lo, s5, v21, vcc_lo
	s_clause 0x1
	global_load_b128 v[18:21], v[124:125], off
	global_load_b128 v[22:25], v[126:127], off
	s_waitcnt vmcnt(33)
	scratch_store_b128 off, v[38:41], off offset:144
	s_waitcnt vmcnt(32)
	scratch_store_b128 off, v[138:141], off offset:160
	;; [unrolled: 2-line block ×3, first 2 shown]
	v_add_nc_u32_e32 v142, s3, v249
	v_add_co_u32 v134, vcc_lo, s4, v28
	v_lshlrev_b64 v[36:37], 4, v[154:155]
	v_ashrrev_i32_e32 v250, 31, v249
	v_add_co_ci_u32_e32 v135, vcc_lo, s5, v29, vcc_lo
	v_add_co_u32 v136, vcc_lo, s4, v26
	v_lshlrev_b64 v[34:35], 4, v[34:35]
	v_ashrrev_i32_e32 v143, 31, v142
	v_add_co_ci_u32_e32 v137, vcc_lo, s5, v27, vcc_lo
	s_clause 0x1
	global_load_b128 v[26:29], v[128:129], off
	global_load_b128 v[30:33], v[130:131], off
	s_waitcnt vmcnt(32)
	scratch_store_b128 off, v[146:149], off offset:192
	v_add_nc_u32_e32 v146, s3, v142
	v_add_co_u32 v138, vcc_lo, s4, v36
	v_lshlrev_b64 v[144:145], 4, v[249:250]
	v_add_co_ci_u32_e32 v139, vcc_lo, s5, v37, vcc_lo
	v_add_co_u32 v140, vcc_lo, s4, v34
	v_lshlrev_b64 v[148:149], 4, v[142:143]
	s_waitcnt vmcnt(31)
	scratch_store_b128 off, v[150:153], off offset:208
	s_waitcnt vmcnt(30)
	scratch_store_b128 off, v[157:160], off offset:224
	v_add_nc_u32_e32 v150, s3, v146
	v_add_co_ci_u32_e32 v141, vcc_lo, s5, v35, vcc_lo
	v_add_co_u32 v142, vcc_lo, s4, v144
	v_ashrrev_i32_e32 v147, 31, v146
	v_add_co_ci_u32_e32 v143, vcc_lo, s5, v145, vcc_lo
	v_add_co_u32 v144, vcc_lo, s4, v148
	v_add_nc_u32_e32 v148, s3, v150
	v_ashrrev_i32_e32 v151, 31, v150
	v_lshlrev_b64 v[146:147], 4, v[146:147]
	v_add_co_ci_u32_e32 v145, vcc_lo, s5, v149, vcc_lo
	s_delay_alu instid0(VALU_DEP_4) | instskip(NEXT) | instid1(VALU_DEP_4)
	v_ashrrev_i32_e32 v149, 31, v148
	v_lshlrev_b64 v[150:151], 4, v[150:151]
	v_add_nc_u32_e32 v152, s3, v148
	v_add_co_u32 v146, vcc_lo, s4, v146
	s_delay_alu instid0(VALU_DEP_4) | instskip(SKIP_3) | instid1(VALU_DEP_4)
	v_lshlrev_b64 v[153:154], 4, v[148:149]
	v_add_co_ci_u32_e32 v147, vcc_lo, s5, v147, vcc_lo
	v_add_co_u32 v148, vcc_lo, s4, v150
	v_add_co_ci_u32_e32 v149, vcc_lo, s5, v151, vcc_lo
	v_add_co_u32 v150, vcc_lo, s4, v153
	v_add_co_ci_u32_e32 v151, vcc_lo, s5, v154, vcc_lo
	v_add_nc_u32_e32 v154, s3, v152
	v_ashrrev_i32_e32 v153, 31, v152
	s_clause 0x1
	global_load_b128 v[34:37], v[132:133], off
	global_load_b128 v[38:41], v[134:135], off
	s_waitcnt vmcnt(31)
	scratch_store_b128 off, v[161:164], off offset:240
	s_waitcnt vmcnt(30)
	scratch_store_b128 off, v[165:168], off offset:256
	;; [unrolled: 2-line block ×3, first 2 shown]
	v_ashrrev_i32_e32 v155, 31, v154
	v_lshlrev_b64 v[152:153], 4, v[152:153]
	s_clause 0x1
	global_load_b128 v[157:160], v[136:137], off
	global_load_b128 v[162:165], v[138:139], off
	s_waitcnt vmcnt(30)
	scratch_store_b128 off, v[173:176], off offset:288
	s_waitcnt vmcnt(29)
	scratch_store_b128 off, v[177:180], off offset:304
	;; [unrolled: 2-line block ×3, first 2 shown]
	v_lshlrev_b64 v[154:155], 4, v[154:155]
	s_clause 0x1
	global_load_b128 v[249:252], v[140:141], off
	global_load_b128 v[166:169], v[142:143], off
	v_add_co_u32 v152, vcc_lo, s4, v152
	v_add_co_ci_u32_e32 v153, vcc_lo, s5, v153, vcc_lo
	v_add_co_u32 v154, vcc_lo, s4, v154
	s_waitcnt vmcnt(29)
	scratch_store_b128 off, v[185:188], off offset:336
	s_waitcnt vmcnt(28)
	scratch_store_b128 off, v[189:192], off offset:352
	s_clause 0x1
	global_load_b128 v[170:173], v[144:145], off
	global_load_b128 v[174:177], v[146:147], off
	v_add_co_ci_u32_e32 v155, vcc_lo, s5, v155, vcc_lo
	s_waitcnt vmcnt(29)
	scratch_store_b128 off, v[193:196], off offset:368
	global_load_b128 v[178:181], v[148:149], off
	s_waitcnt vmcnt(29)
	scratch_store_b128 off, v[197:200], off offset:384
	s_waitcnt vmcnt(28)
	scratch_store_b128 off, v[201:204], off offset:400
	s_clause 0x2
	global_load_b128 v[182:185], v[150:151], off
	global_load_b128 v[186:189], v[152:153], off
	;; [unrolled: 1-line block ×3, first 2 shown]
	s_movk_i32 s3, 0x60
	s_movk_i32 s4, 0x70
	;; [unrolled: 1-line block ×3, first 2 shown]
	v_add_nc_u32_e64 v204, s12, 0
	v_add_nc_u32_e64 v203, s13, 0
	;; [unrolled: 1-line block ×5, first 2 shown]
	s_waitcnt vmcnt(30)
	scratch_store_b128 off, v[205:208], off offset:416
	v_add_nc_u32_e64 v208, s2, 0
	v_add_nc_u32_e64 v207, s3, 0
	;; [unrolled: 1-line block ×11, first 2 shown]
	s_mov_b32 s3, -1
	s_waitcnt vmcnt(29)
	scratch_store_b128 off, v[209:212], off offset:432
	v_add_nc_u32_e64 v212, 0, 16
	v_add_nc_u32_e64 v211, 0, 32
	;; [unrolled: 1-line block ×4, first 2 shown]
	s_waitcnt vmcnt(28)
	scratch_store_b128 off, v[213:216], off offset:448
	s_waitcnt vmcnt(27)
	scratch_store_b128 off, v[217:220], off offset:464
	;; [unrolled: 2-line block ×4, first 2 shown]
	v_add_nc_u32_e64 v214, s25, 0
	s_waitcnt vmcnt(24)
	scratch_store_b128 off, v[229:232], off offset:512
	s_waitcnt vmcnt(23)
	scratch_store_b128 off, v[233:236], off offset:528
	v_add_nc_u32_e64 v233, s30, 0
	v_add_nc_u32_e64 v232, s31, 0
	;; [unrolled: 1-line block ×4, first 2 shown]
	s_waitcnt vmcnt(22)
	scratch_store_b128 off, v[237:240], off offset:544
	s_waitcnt vmcnt(21)
	scratch_store_b128 off, v[241:244], off offset:560
	v_add_nc_u32_e64 v229, s35, 0
	v_add_nc_u32_e64 v228, s36, 0
	;; [unrolled: 1-line block ×8, first 2 shown]
	s_waitcnt vmcnt(20)
	scratch_store_b128 off, v[245:248], off offset:576
	v_add_nc_u32_e64 v221, s43, 0
	v_add_nc_u32_e64 v220, s44, 0
	v_add_nc_u32_e64 v219, s45, 0
	v_add_nc_u32_e64 v218, s46, 0
	v_add_nc_u32_e64 v217, s47, 0
	v_add_nc_u32_e64 v216, s48, 0
	v_add_nc_u32_e64 v215, s49, 0
	v_add_nc_u32_e64 v235, s50, 0
	v_add_nc_u32_e64 v234, s51, 0
	s_waitcnt vmcnt(19)
	scratch_store_b128 off, v[1:4], off offset:592
	s_waitcnt vmcnt(18)
	scratch_store_b128 off, v[5:8], off offset:608
	;; [unrolled: 2-line block ×17, first 2 shown]
	v_add_nc_u32_e64 v172, s52, 0
	v_add_nc_u32_e64 v169, s53, 0
	;; [unrolled: 1-line block ×11, first 2 shown]
	s_waitcnt vmcnt(2)
	scratch_store_b128 off, v[182:185], off offset:864
	s_waitcnt vmcnt(1)
	scratch_store_b128 off, v[186:189], off offset:880
	;; [unrolled: 2-line block ×3, first 2 shown]
	s_cbranch_scc1 .LBB120_240
; %bb.4:
	v_cmp_eq_u32_e64 s2, 0, v156
	s_delay_alu instid0(VALU_DEP_1)
	s_and_saveexec_b32 s3, s2
	s_cbranch_execz .LBB120_6
; %bb.5:
	v_mov_b32_e32 v1, 0
	ds_store_b32 v1, v1 offset:1824
.LBB120_6:
	s_or_b32 exec_lo, exec_lo, s3
	s_waitcnt lgkmcnt(0)
	s_waitcnt_vscnt null, 0x0
	s_barrier
	buffer_gl0_inv
	scratch_load_b128 v[1:4], v13, off
	s_waitcnt vmcnt(0)
	v_cmp_eq_f64_e32 vcc_lo, 0, v[1:2]
	v_cmp_eq_f64_e64 s3, 0, v[3:4]
	s_delay_alu instid0(VALU_DEP_1) | instskip(NEXT) | instid1(SALU_CYCLE_1)
	s_and_b32 s3, vcc_lo, s3
	s_and_saveexec_b32 s4, s3
	s_cbranch_execz .LBB120_10
; %bb.7:
	v_mov_b32_e32 v1, 0
	s_mov_b32 s5, 0
	ds_load_b32 v2, v1 offset:1824
	s_waitcnt lgkmcnt(0)
	v_readfirstlane_b32 s3, v2
	v_add_nc_u32_e32 v2, 1, v156
	s_delay_alu instid0(VALU_DEP_2) | instskip(NEXT) | instid1(VALU_DEP_1)
	s_cmp_eq_u32 s3, 0
	v_cmp_gt_i32_e32 vcc_lo, s3, v2
	s_cselect_b32 s12, -1, 0
	s_delay_alu instid0(SALU_CYCLE_1) | instskip(NEXT) | instid1(SALU_CYCLE_1)
	s_or_b32 s12, s12, vcc_lo
	s_and_b32 exec_lo, exec_lo, s12
	s_cbranch_execz .LBB120_10
; %bb.8:
	v_mov_b32_e32 v3, s3
.LBB120_9:                              ; =>This Inner Loop Header: Depth=1
	ds_cmpstore_rtn_b32 v3, v1, v2, v3 offset:1824
	s_waitcnt lgkmcnt(0)
	v_cmp_ne_u32_e32 vcc_lo, 0, v3
	v_cmp_le_i32_e64 s3, v3, v2
	s_delay_alu instid0(VALU_DEP_1) | instskip(NEXT) | instid1(SALU_CYCLE_1)
	s_and_b32 s3, vcc_lo, s3
	s_and_b32 s3, exec_lo, s3
	s_delay_alu instid0(SALU_CYCLE_1) | instskip(NEXT) | instid1(SALU_CYCLE_1)
	s_or_b32 s5, s3, s5
	s_and_not1_b32 exec_lo, exec_lo, s5
	s_cbranch_execnz .LBB120_9
.LBB120_10:
	s_or_b32 exec_lo, exec_lo, s4
	v_mov_b32_e32 v1, 0
	s_barrier
	buffer_gl0_inv
	ds_load_b32 v2, v1 offset:1824
	s_and_saveexec_b32 s3, s2
	s_cbranch_execz .LBB120_12
; %bb.11:
	s_lshl_b64 s[4:5], s[10:11], 2
	s_delay_alu instid0(SALU_CYCLE_1)
	s_add_u32 s4, s6, s4
	s_addc_u32 s5, s7, s5
	s_waitcnt lgkmcnt(0)
	global_store_b32 v1, v2, s[4:5]
.LBB120_12:
	s_or_b32 exec_lo, exec_lo, s3
	s_waitcnt lgkmcnt(0)
	v_cmp_ne_u32_e32 vcc_lo, 0, v2
	s_mov_b32 s3, 0
	s_cbranch_vccnz .LBB120_240
; %bb.13:
	v_add_nc_u32_e32 v14, 0, v13
                                        ; implicit-def: $vgpr9_vgpr10
	scratch_load_b128 v[1:4], v14, off
	s_waitcnt vmcnt(0)
	v_mov_b32_e32 v5, v1
	v_cmp_gt_f64_e32 vcc_lo, 0, v[1:2]
	v_xor_b32_e32 v6, 0x80000000, v2
	v_xor_b32_e32 v7, 0x80000000, v4
	s_delay_alu instid0(VALU_DEP_2) | instskip(SKIP_1) | instid1(VALU_DEP_3)
	v_cndmask_b32_e32 v6, v2, v6, vcc_lo
	v_cmp_gt_f64_e32 vcc_lo, 0, v[3:4]
	v_dual_cndmask_b32 v8, v4, v7 :: v_dual_mov_b32 v7, v3
	s_delay_alu instid0(VALU_DEP_1) | instskip(SKIP_1) | instid1(SALU_CYCLE_1)
	v_cmp_ngt_f64_e32 vcc_lo, v[5:6], v[7:8]
                                        ; implicit-def: $vgpr5_vgpr6
	s_and_saveexec_b32 s3, vcc_lo
	s_xor_b32 s3, exec_lo, s3
	s_cbranch_execz .LBB120_15
; %bb.14:
	v_div_scale_f64 v[5:6], null, v[3:4], v[3:4], v[1:2]
	v_div_scale_f64 v[11:12], vcc_lo, v[1:2], v[3:4], v[1:2]
	s_delay_alu instid0(VALU_DEP_2) | instskip(SKIP_2) | instid1(VALU_DEP_1)
	v_rcp_f64_e32 v[7:8], v[5:6]
	s_waitcnt_depctr 0xfff
	v_fma_f64 v[9:10], -v[5:6], v[7:8], 1.0
	v_fma_f64 v[7:8], v[7:8], v[9:10], v[7:8]
	s_delay_alu instid0(VALU_DEP_1) | instskip(NEXT) | instid1(VALU_DEP_1)
	v_fma_f64 v[9:10], -v[5:6], v[7:8], 1.0
	v_fma_f64 v[7:8], v[7:8], v[9:10], v[7:8]
	s_delay_alu instid0(VALU_DEP_1) | instskip(NEXT) | instid1(VALU_DEP_1)
	v_mul_f64 v[9:10], v[11:12], v[7:8]
	v_fma_f64 v[5:6], -v[5:6], v[9:10], v[11:12]
	s_delay_alu instid0(VALU_DEP_1) | instskip(NEXT) | instid1(VALU_DEP_1)
	v_div_fmas_f64 v[5:6], v[5:6], v[7:8], v[9:10]
	v_div_fixup_f64 v[5:6], v[5:6], v[3:4], v[1:2]
	s_delay_alu instid0(VALU_DEP_1) | instskip(NEXT) | instid1(VALU_DEP_1)
	v_fma_f64 v[1:2], v[1:2], v[5:6], v[3:4]
	v_div_scale_f64 v[3:4], null, v[1:2], v[1:2], 1.0
	v_div_scale_f64 v[11:12], vcc_lo, 1.0, v[1:2], 1.0
	s_delay_alu instid0(VALU_DEP_2) | instskip(SKIP_2) | instid1(VALU_DEP_1)
	v_rcp_f64_e32 v[7:8], v[3:4]
	s_waitcnt_depctr 0xfff
	v_fma_f64 v[9:10], -v[3:4], v[7:8], 1.0
	v_fma_f64 v[7:8], v[7:8], v[9:10], v[7:8]
	s_delay_alu instid0(VALU_DEP_1) | instskip(NEXT) | instid1(VALU_DEP_1)
	v_fma_f64 v[9:10], -v[3:4], v[7:8], 1.0
	v_fma_f64 v[7:8], v[7:8], v[9:10], v[7:8]
	s_delay_alu instid0(VALU_DEP_1) | instskip(NEXT) | instid1(VALU_DEP_1)
	v_mul_f64 v[9:10], v[11:12], v[7:8]
	v_fma_f64 v[3:4], -v[3:4], v[9:10], v[11:12]
	s_delay_alu instid0(VALU_DEP_1) | instskip(NEXT) | instid1(VALU_DEP_1)
	v_div_fmas_f64 v[3:4], v[3:4], v[7:8], v[9:10]
	v_div_fixup_f64 v[7:8], v[3:4], v[1:2], 1.0
                                        ; implicit-def: $vgpr1_vgpr2
	s_delay_alu instid0(VALU_DEP_1) | instskip(SKIP_1) | instid1(VALU_DEP_2)
	v_mul_f64 v[5:6], v[5:6], v[7:8]
	v_xor_b32_e32 v8, 0x80000000, v8
	v_xor_b32_e32 v10, 0x80000000, v6
	s_delay_alu instid0(VALU_DEP_3)
	v_mov_b32_e32 v9, v5
.LBB120_15:
	s_and_not1_saveexec_b32 s3, s3
	s_cbranch_execz .LBB120_17
; %bb.16:
	v_div_scale_f64 v[5:6], null, v[1:2], v[1:2], v[3:4]
	v_div_scale_f64 v[11:12], vcc_lo, v[3:4], v[1:2], v[3:4]
	s_delay_alu instid0(VALU_DEP_2) | instskip(SKIP_2) | instid1(VALU_DEP_1)
	v_rcp_f64_e32 v[7:8], v[5:6]
	s_waitcnt_depctr 0xfff
	v_fma_f64 v[9:10], -v[5:6], v[7:8], 1.0
	v_fma_f64 v[7:8], v[7:8], v[9:10], v[7:8]
	s_delay_alu instid0(VALU_DEP_1) | instskip(NEXT) | instid1(VALU_DEP_1)
	v_fma_f64 v[9:10], -v[5:6], v[7:8], 1.0
	v_fma_f64 v[7:8], v[7:8], v[9:10], v[7:8]
	s_delay_alu instid0(VALU_DEP_1) | instskip(NEXT) | instid1(VALU_DEP_1)
	v_mul_f64 v[9:10], v[11:12], v[7:8]
	v_fma_f64 v[5:6], -v[5:6], v[9:10], v[11:12]
	s_delay_alu instid0(VALU_DEP_1) | instskip(NEXT) | instid1(VALU_DEP_1)
	v_div_fmas_f64 v[5:6], v[5:6], v[7:8], v[9:10]
	v_div_fixup_f64 v[7:8], v[5:6], v[1:2], v[3:4]
	s_delay_alu instid0(VALU_DEP_1) | instskip(NEXT) | instid1(VALU_DEP_1)
	v_fma_f64 v[1:2], v[3:4], v[7:8], v[1:2]
	v_div_scale_f64 v[3:4], null, v[1:2], v[1:2], 1.0
	s_delay_alu instid0(VALU_DEP_1) | instskip(SKIP_2) | instid1(VALU_DEP_1)
	v_rcp_f64_e32 v[5:6], v[3:4]
	s_waitcnt_depctr 0xfff
	v_fma_f64 v[9:10], -v[3:4], v[5:6], 1.0
	v_fma_f64 v[5:6], v[5:6], v[9:10], v[5:6]
	s_delay_alu instid0(VALU_DEP_1) | instskip(NEXT) | instid1(VALU_DEP_1)
	v_fma_f64 v[9:10], -v[3:4], v[5:6], 1.0
	v_fma_f64 v[5:6], v[5:6], v[9:10], v[5:6]
	v_div_scale_f64 v[9:10], vcc_lo, 1.0, v[1:2], 1.0
	s_delay_alu instid0(VALU_DEP_1) | instskip(NEXT) | instid1(VALU_DEP_1)
	v_mul_f64 v[11:12], v[9:10], v[5:6]
	v_fma_f64 v[3:4], -v[3:4], v[11:12], v[9:10]
	s_delay_alu instid0(VALU_DEP_1) | instskip(NEXT) | instid1(VALU_DEP_1)
	v_div_fmas_f64 v[3:4], v[3:4], v[5:6], v[11:12]
	v_div_fixup_f64 v[5:6], v[3:4], v[1:2], 1.0
	s_delay_alu instid0(VALU_DEP_1)
	v_mul_f64 v[7:8], v[7:8], -v[5:6]
	v_xor_b32_e32 v10, 0x80000000, v6
	v_mov_b32_e32 v9, v5
.LBB120_17:
	s_or_b32 exec_lo, exec_lo, s3
	scratch_store_b128 v14, v[5:8], off
	scratch_load_b128 v[1:4], v212, off
	v_xor_b32_e32 v12, 0x80000000, v8
	v_mov_b32_e32 v11, v7
	v_add_nc_u32_e32 v5, 0x390, v13
	ds_store_b128 v13, v[9:12]
	s_waitcnt vmcnt(0)
	ds_store_b128 v13, v[1:4] offset:912
	s_waitcnt lgkmcnt(0)
	s_waitcnt_vscnt null, 0x0
	s_barrier
	buffer_gl0_inv
	s_and_saveexec_b32 s3, s2
	s_cbranch_execz .LBB120_19
; %bb.18:
	scratch_load_b128 v[1:4], v14, off
	ds_load_b128 v[6:9], v5
	v_mov_b32_e32 v10, 0
	ds_load_b128 v[15:18], v10 offset:16
	s_waitcnt vmcnt(0) lgkmcnt(1)
	v_mul_f64 v[10:11], v[6:7], v[3:4]
	v_mul_f64 v[3:4], v[8:9], v[3:4]
	s_delay_alu instid0(VALU_DEP_2) | instskip(NEXT) | instid1(VALU_DEP_2)
	v_fma_f64 v[8:9], v[8:9], v[1:2], v[10:11]
	v_fma_f64 v[1:2], v[6:7], v[1:2], -v[3:4]
	s_delay_alu instid0(VALU_DEP_2) | instskip(NEXT) | instid1(VALU_DEP_2)
	v_add_f64 v[3:4], v[8:9], 0
	v_add_f64 v[1:2], v[1:2], 0
	s_waitcnt lgkmcnt(0)
	s_delay_alu instid0(VALU_DEP_2) | instskip(NEXT) | instid1(VALU_DEP_2)
	v_mul_f64 v[6:7], v[3:4], v[17:18]
	v_mul_f64 v[8:9], v[1:2], v[17:18]
	s_delay_alu instid0(VALU_DEP_2) | instskip(NEXT) | instid1(VALU_DEP_2)
	v_fma_f64 v[1:2], v[1:2], v[15:16], -v[6:7]
	v_fma_f64 v[3:4], v[3:4], v[15:16], v[8:9]
	scratch_store_b128 off, v[1:4], off offset:16
.LBB120_19:
	s_or_b32 exec_lo, exec_lo, s3
	s_waitcnt_vscnt null, 0x0
	s_barrier
	buffer_gl0_inv
	scratch_load_b128 v[1:4], v211, off
	s_mov_b32 s3, exec_lo
	s_waitcnt vmcnt(0)
	ds_store_b128 v5, v[1:4]
	s_waitcnt lgkmcnt(0)
	s_barrier
	buffer_gl0_inv
	v_cmpx_gt_u32_e32 2, v156
	s_cbranch_execz .LBB120_23
; %bb.20:
	scratch_load_b128 v[1:4], v14, off
	ds_load_b128 v[6:9], v5
	s_waitcnt vmcnt(0) lgkmcnt(0)
	v_mul_f64 v[10:11], v[8:9], v[3:4]
	v_mul_f64 v[3:4], v[6:7], v[3:4]
	s_delay_alu instid0(VALU_DEP_2) | instskip(NEXT) | instid1(VALU_DEP_2)
	v_fma_f64 v[6:7], v[6:7], v[1:2], -v[10:11]
	v_fma_f64 v[3:4], v[8:9], v[1:2], v[3:4]
	s_delay_alu instid0(VALU_DEP_2) | instskip(NEXT) | instid1(VALU_DEP_2)
	v_add_f64 v[1:2], v[6:7], 0
	v_add_f64 v[3:4], v[3:4], 0
	s_and_saveexec_b32 s4, s2
	s_cbranch_execz .LBB120_22
; %bb.21:
	scratch_load_b128 v[6:9], off, off offset:16
	v_mov_b32_e32 v10, 0
	ds_load_b128 v[15:18], v10 offset:928
	s_waitcnt vmcnt(0) lgkmcnt(0)
	v_mul_f64 v[10:11], v[15:16], v[8:9]
	v_mul_f64 v[8:9], v[17:18], v[8:9]
	s_delay_alu instid0(VALU_DEP_2) | instskip(NEXT) | instid1(VALU_DEP_2)
	v_fma_f64 v[10:11], v[17:18], v[6:7], v[10:11]
	v_fma_f64 v[6:7], v[15:16], v[6:7], -v[8:9]
	s_delay_alu instid0(VALU_DEP_2) | instskip(NEXT) | instid1(VALU_DEP_2)
	v_add_f64 v[3:4], v[3:4], v[10:11]
	v_add_f64 v[1:2], v[1:2], v[6:7]
.LBB120_22:
	s_or_b32 exec_lo, exec_lo, s4
	v_mov_b32_e32 v6, 0
	ds_load_b128 v[6:9], v6 offset:32
	s_waitcnt lgkmcnt(0)
	v_mul_f64 v[10:11], v[3:4], v[8:9]
	v_mul_f64 v[8:9], v[1:2], v[8:9]
	s_delay_alu instid0(VALU_DEP_2) | instskip(NEXT) | instid1(VALU_DEP_2)
	v_fma_f64 v[1:2], v[1:2], v[6:7], -v[10:11]
	v_fma_f64 v[3:4], v[3:4], v[6:7], v[8:9]
	scratch_store_b128 off, v[1:4], off offset:32
.LBB120_23:
	s_or_b32 exec_lo, exec_lo, s3
	s_waitcnt_vscnt null, 0x0
	s_barrier
	buffer_gl0_inv
	scratch_load_b128 v[1:4], v210, off
	v_add_nc_u32_e32 v6, -1, v156
	s_mov_b32 s2, exec_lo
	s_waitcnt vmcnt(0)
	ds_store_b128 v5, v[1:4]
	s_waitcnt lgkmcnt(0)
	s_barrier
	buffer_gl0_inv
	v_cmpx_gt_u32_e32 3, v156
	s_cbranch_execz .LBB120_27
; %bb.24:
	v_dual_mov_b32 v1, 0 :: v_dual_add_nc_u32 v8, 0x390, v13
	v_dual_mov_b32 v2, 0 :: v_dual_add_nc_u32 v7, -1, v156
	v_or_b32_e32 v9, 8, v14
	s_mov_b32 s3, 0
	s_delay_alu instid0(VALU_DEP_2)
	v_dual_mov_b32 v4, v2 :: v_dual_mov_b32 v3, v1
	.p2align	6
.LBB120_25:                             ; =>This Inner Loop Header: Depth=1
	scratch_load_b128 v[15:18], v9, off offset:-8
	ds_load_b128 v[19:22], v8
	v_add_nc_u32_e32 v7, 1, v7
	v_add_nc_u32_e32 v8, 16, v8
	;; [unrolled: 1-line block ×3, first 2 shown]
	s_delay_alu instid0(VALU_DEP_3) | instskip(SKIP_4) | instid1(VALU_DEP_2)
	v_cmp_lt_u32_e32 vcc_lo, 1, v7
	s_or_b32 s3, vcc_lo, s3
	s_waitcnt vmcnt(0) lgkmcnt(0)
	v_mul_f64 v[10:11], v[21:22], v[17:18]
	v_mul_f64 v[17:18], v[19:20], v[17:18]
	v_fma_f64 v[10:11], v[19:20], v[15:16], -v[10:11]
	s_delay_alu instid0(VALU_DEP_2) | instskip(NEXT) | instid1(VALU_DEP_2)
	v_fma_f64 v[15:16], v[21:22], v[15:16], v[17:18]
	v_add_f64 v[3:4], v[3:4], v[10:11]
	s_delay_alu instid0(VALU_DEP_2)
	v_add_f64 v[1:2], v[1:2], v[15:16]
	s_and_not1_b32 exec_lo, exec_lo, s3
	s_cbranch_execnz .LBB120_25
; %bb.26:
	s_or_b32 exec_lo, exec_lo, s3
	v_mov_b32_e32 v7, 0
	ds_load_b128 v[7:10], v7 offset:48
	s_waitcnt lgkmcnt(0)
	v_mul_f64 v[11:12], v[1:2], v[9:10]
	v_mul_f64 v[15:16], v[3:4], v[9:10]
	s_delay_alu instid0(VALU_DEP_2) | instskip(NEXT) | instid1(VALU_DEP_2)
	v_fma_f64 v[9:10], v[3:4], v[7:8], -v[11:12]
	v_fma_f64 v[11:12], v[1:2], v[7:8], v[15:16]
	scratch_store_b128 off, v[9:12], off offset:48
.LBB120_27:
	s_or_b32 exec_lo, exec_lo, s2
	s_waitcnt_vscnt null, 0x0
	s_barrier
	buffer_gl0_inv
	scratch_load_b128 v[1:4], v209, off
	s_mov_b32 s2, exec_lo
	s_waitcnt vmcnt(0)
	ds_store_b128 v5, v[1:4]
	s_waitcnt lgkmcnt(0)
	s_barrier
	buffer_gl0_inv
	v_cmpx_gt_u32_e32 4, v156
	s_cbranch_execz .LBB120_31
; %bb.28:
	v_dual_mov_b32 v1, 0 :: v_dual_add_nc_u32 v8, 0x390, v13
	v_dual_mov_b32 v2, 0 :: v_dual_add_nc_u32 v7, -1, v156
	v_or_b32_e32 v9, 8, v14
	s_mov_b32 s3, 0
	s_delay_alu instid0(VALU_DEP_2)
	v_dual_mov_b32 v4, v2 :: v_dual_mov_b32 v3, v1
	.p2align	6
.LBB120_29:                             ; =>This Inner Loop Header: Depth=1
	scratch_load_b128 v[15:18], v9, off offset:-8
	ds_load_b128 v[19:22], v8
	v_add_nc_u32_e32 v7, 1, v7
	v_add_nc_u32_e32 v8, 16, v8
	;; [unrolled: 1-line block ×3, first 2 shown]
	s_delay_alu instid0(VALU_DEP_3) | instskip(SKIP_4) | instid1(VALU_DEP_2)
	v_cmp_lt_u32_e32 vcc_lo, 2, v7
	s_or_b32 s3, vcc_lo, s3
	s_waitcnt vmcnt(0) lgkmcnt(0)
	v_mul_f64 v[10:11], v[21:22], v[17:18]
	v_mul_f64 v[17:18], v[19:20], v[17:18]
	v_fma_f64 v[10:11], v[19:20], v[15:16], -v[10:11]
	s_delay_alu instid0(VALU_DEP_2) | instskip(NEXT) | instid1(VALU_DEP_2)
	v_fma_f64 v[15:16], v[21:22], v[15:16], v[17:18]
	v_add_f64 v[3:4], v[3:4], v[10:11]
	s_delay_alu instid0(VALU_DEP_2)
	v_add_f64 v[1:2], v[1:2], v[15:16]
	s_and_not1_b32 exec_lo, exec_lo, s3
	s_cbranch_execnz .LBB120_29
; %bb.30:
	s_or_b32 exec_lo, exec_lo, s3
	v_mov_b32_e32 v7, 0
	ds_load_b128 v[7:10], v7 offset:64
	s_waitcnt lgkmcnt(0)
	v_mul_f64 v[11:12], v[1:2], v[9:10]
	v_mul_f64 v[15:16], v[3:4], v[9:10]
	s_delay_alu instid0(VALU_DEP_2) | instskip(NEXT) | instid1(VALU_DEP_2)
	v_fma_f64 v[9:10], v[3:4], v[7:8], -v[11:12]
	v_fma_f64 v[11:12], v[1:2], v[7:8], v[15:16]
	scratch_store_b128 off, v[9:12], off offset:64
.LBB120_31:
	s_or_b32 exec_lo, exec_lo, s2
	s_waitcnt_vscnt null, 0x0
	s_barrier
	buffer_gl0_inv
	scratch_load_b128 v[1:4], v208, off
	s_mov_b32 s2, exec_lo
	s_waitcnt vmcnt(0)
	ds_store_b128 v5, v[1:4]
	s_waitcnt lgkmcnt(0)
	s_barrier
	buffer_gl0_inv
	v_cmpx_gt_u32_e32 5, v156
	s_cbranch_execz .LBB120_35
; %bb.32:
	v_dual_mov_b32 v1, 0 :: v_dual_add_nc_u32 v8, 0x390, v13
	v_dual_mov_b32 v2, 0 :: v_dual_add_nc_u32 v7, -1, v156
	v_or_b32_e32 v9, 8, v14
	s_mov_b32 s3, 0
	s_delay_alu instid0(VALU_DEP_2)
	v_dual_mov_b32 v4, v2 :: v_dual_mov_b32 v3, v1
	.p2align	6
.LBB120_33:                             ; =>This Inner Loop Header: Depth=1
	scratch_load_b128 v[15:18], v9, off offset:-8
	ds_load_b128 v[19:22], v8
	v_add_nc_u32_e32 v7, 1, v7
	v_add_nc_u32_e32 v8, 16, v8
	;; [unrolled: 1-line block ×3, first 2 shown]
	s_delay_alu instid0(VALU_DEP_3) | instskip(SKIP_4) | instid1(VALU_DEP_2)
	v_cmp_lt_u32_e32 vcc_lo, 3, v7
	s_or_b32 s3, vcc_lo, s3
	s_waitcnt vmcnt(0) lgkmcnt(0)
	v_mul_f64 v[10:11], v[21:22], v[17:18]
	v_mul_f64 v[17:18], v[19:20], v[17:18]
	v_fma_f64 v[10:11], v[19:20], v[15:16], -v[10:11]
	s_delay_alu instid0(VALU_DEP_2) | instskip(NEXT) | instid1(VALU_DEP_2)
	v_fma_f64 v[15:16], v[21:22], v[15:16], v[17:18]
	v_add_f64 v[3:4], v[3:4], v[10:11]
	s_delay_alu instid0(VALU_DEP_2)
	v_add_f64 v[1:2], v[1:2], v[15:16]
	s_and_not1_b32 exec_lo, exec_lo, s3
	s_cbranch_execnz .LBB120_33
; %bb.34:
	s_or_b32 exec_lo, exec_lo, s3
	v_mov_b32_e32 v7, 0
	ds_load_b128 v[7:10], v7 offset:80
	s_waitcnt lgkmcnt(0)
	v_mul_f64 v[11:12], v[1:2], v[9:10]
	v_mul_f64 v[15:16], v[3:4], v[9:10]
	s_delay_alu instid0(VALU_DEP_2) | instskip(NEXT) | instid1(VALU_DEP_2)
	v_fma_f64 v[9:10], v[3:4], v[7:8], -v[11:12]
	v_fma_f64 v[11:12], v[1:2], v[7:8], v[15:16]
	scratch_store_b128 off, v[9:12], off offset:80
.LBB120_35:
	s_or_b32 exec_lo, exec_lo, s2
	s_waitcnt_vscnt null, 0x0
	s_barrier
	buffer_gl0_inv
	scratch_load_b128 v[1:4], v207, off
	s_mov_b32 s2, exec_lo
	s_waitcnt vmcnt(0)
	ds_store_b128 v5, v[1:4]
	s_waitcnt lgkmcnt(0)
	s_barrier
	buffer_gl0_inv
	v_cmpx_gt_u32_e32 6, v156
	s_cbranch_execz .LBB120_39
; %bb.36:
	v_dual_mov_b32 v1, 0 :: v_dual_add_nc_u32 v8, 0x390, v13
	v_dual_mov_b32 v2, 0 :: v_dual_add_nc_u32 v7, -1, v156
	v_or_b32_e32 v9, 8, v14
	s_mov_b32 s3, 0
	s_delay_alu instid0(VALU_DEP_2)
	v_dual_mov_b32 v4, v2 :: v_dual_mov_b32 v3, v1
	.p2align	6
.LBB120_37:                             ; =>This Inner Loop Header: Depth=1
	scratch_load_b128 v[15:18], v9, off offset:-8
	ds_load_b128 v[19:22], v8
	v_add_nc_u32_e32 v7, 1, v7
	v_add_nc_u32_e32 v8, 16, v8
	;; [unrolled: 1-line block ×3, first 2 shown]
	s_delay_alu instid0(VALU_DEP_3) | instskip(SKIP_4) | instid1(VALU_DEP_2)
	v_cmp_lt_u32_e32 vcc_lo, 4, v7
	s_or_b32 s3, vcc_lo, s3
	s_waitcnt vmcnt(0) lgkmcnt(0)
	v_mul_f64 v[10:11], v[21:22], v[17:18]
	v_mul_f64 v[17:18], v[19:20], v[17:18]
	v_fma_f64 v[10:11], v[19:20], v[15:16], -v[10:11]
	s_delay_alu instid0(VALU_DEP_2) | instskip(NEXT) | instid1(VALU_DEP_2)
	v_fma_f64 v[15:16], v[21:22], v[15:16], v[17:18]
	v_add_f64 v[3:4], v[3:4], v[10:11]
	s_delay_alu instid0(VALU_DEP_2)
	v_add_f64 v[1:2], v[1:2], v[15:16]
	s_and_not1_b32 exec_lo, exec_lo, s3
	s_cbranch_execnz .LBB120_37
; %bb.38:
	s_or_b32 exec_lo, exec_lo, s3
	v_mov_b32_e32 v7, 0
	ds_load_b128 v[7:10], v7 offset:96
	s_waitcnt lgkmcnt(0)
	v_mul_f64 v[11:12], v[1:2], v[9:10]
	v_mul_f64 v[15:16], v[3:4], v[9:10]
	s_delay_alu instid0(VALU_DEP_2) | instskip(NEXT) | instid1(VALU_DEP_2)
	v_fma_f64 v[9:10], v[3:4], v[7:8], -v[11:12]
	v_fma_f64 v[11:12], v[1:2], v[7:8], v[15:16]
	scratch_store_b128 off, v[9:12], off offset:96
.LBB120_39:
	s_or_b32 exec_lo, exec_lo, s2
	s_waitcnt_vscnt null, 0x0
	s_barrier
	buffer_gl0_inv
	scratch_load_b128 v[1:4], v206, off
	s_mov_b32 s2, exec_lo
	s_waitcnt vmcnt(0)
	ds_store_b128 v5, v[1:4]
	s_waitcnt lgkmcnt(0)
	s_barrier
	buffer_gl0_inv
	v_cmpx_gt_u32_e32 7, v156
	s_cbranch_execz .LBB120_43
; %bb.40:
	v_dual_mov_b32 v1, 0 :: v_dual_add_nc_u32 v8, 0x390, v13
	v_dual_mov_b32 v2, 0 :: v_dual_add_nc_u32 v7, -1, v156
	v_or_b32_e32 v9, 8, v14
	s_mov_b32 s3, 0
	s_delay_alu instid0(VALU_DEP_2)
	v_dual_mov_b32 v4, v2 :: v_dual_mov_b32 v3, v1
	.p2align	6
.LBB120_41:                             ; =>This Inner Loop Header: Depth=1
	scratch_load_b128 v[15:18], v9, off offset:-8
	ds_load_b128 v[19:22], v8
	v_add_nc_u32_e32 v7, 1, v7
	v_add_nc_u32_e32 v8, 16, v8
	;; [unrolled: 1-line block ×3, first 2 shown]
	s_delay_alu instid0(VALU_DEP_3) | instskip(SKIP_4) | instid1(VALU_DEP_2)
	v_cmp_lt_u32_e32 vcc_lo, 5, v7
	s_or_b32 s3, vcc_lo, s3
	s_waitcnt vmcnt(0) lgkmcnt(0)
	v_mul_f64 v[10:11], v[21:22], v[17:18]
	v_mul_f64 v[17:18], v[19:20], v[17:18]
	v_fma_f64 v[10:11], v[19:20], v[15:16], -v[10:11]
	s_delay_alu instid0(VALU_DEP_2) | instskip(NEXT) | instid1(VALU_DEP_2)
	v_fma_f64 v[15:16], v[21:22], v[15:16], v[17:18]
	v_add_f64 v[3:4], v[3:4], v[10:11]
	s_delay_alu instid0(VALU_DEP_2)
	v_add_f64 v[1:2], v[1:2], v[15:16]
	s_and_not1_b32 exec_lo, exec_lo, s3
	s_cbranch_execnz .LBB120_41
; %bb.42:
	s_or_b32 exec_lo, exec_lo, s3
	v_mov_b32_e32 v7, 0
	ds_load_b128 v[7:10], v7 offset:112
	s_waitcnt lgkmcnt(0)
	v_mul_f64 v[11:12], v[1:2], v[9:10]
	v_mul_f64 v[15:16], v[3:4], v[9:10]
	s_delay_alu instid0(VALU_DEP_2) | instskip(NEXT) | instid1(VALU_DEP_2)
	v_fma_f64 v[9:10], v[3:4], v[7:8], -v[11:12]
	v_fma_f64 v[11:12], v[1:2], v[7:8], v[15:16]
	scratch_store_b128 off, v[9:12], off offset:112
.LBB120_43:
	s_or_b32 exec_lo, exec_lo, s2
	s_waitcnt_vscnt null, 0x0
	s_barrier
	buffer_gl0_inv
	scratch_load_b128 v[1:4], v205, off
	s_mov_b32 s2, exec_lo
	s_waitcnt vmcnt(0)
	ds_store_b128 v5, v[1:4]
	s_waitcnt lgkmcnt(0)
	s_barrier
	buffer_gl0_inv
	v_cmpx_gt_u32_e32 8, v156
	s_cbranch_execz .LBB120_47
; %bb.44:
	v_dual_mov_b32 v1, 0 :: v_dual_add_nc_u32 v8, 0x390, v13
	v_dual_mov_b32 v2, 0 :: v_dual_add_nc_u32 v7, -1, v156
	v_or_b32_e32 v9, 8, v14
	s_mov_b32 s3, 0
	s_delay_alu instid0(VALU_DEP_2)
	v_dual_mov_b32 v4, v2 :: v_dual_mov_b32 v3, v1
	.p2align	6
.LBB120_45:                             ; =>This Inner Loop Header: Depth=1
	scratch_load_b128 v[15:18], v9, off offset:-8
	ds_load_b128 v[19:22], v8
	v_add_nc_u32_e32 v7, 1, v7
	v_add_nc_u32_e32 v8, 16, v8
	;; [unrolled: 1-line block ×3, first 2 shown]
	s_delay_alu instid0(VALU_DEP_3) | instskip(SKIP_4) | instid1(VALU_DEP_2)
	v_cmp_lt_u32_e32 vcc_lo, 6, v7
	s_or_b32 s3, vcc_lo, s3
	s_waitcnt vmcnt(0) lgkmcnt(0)
	v_mul_f64 v[10:11], v[21:22], v[17:18]
	v_mul_f64 v[17:18], v[19:20], v[17:18]
	v_fma_f64 v[10:11], v[19:20], v[15:16], -v[10:11]
	s_delay_alu instid0(VALU_DEP_2) | instskip(NEXT) | instid1(VALU_DEP_2)
	v_fma_f64 v[15:16], v[21:22], v[15:16], v[17:18]
	v_add_f64 v[3:4], v[3:4], v[10:11]
	s_delay_alu instid0(VALU_DEP_2)
	v_add_f64 v[1:2], v[1:2], v[15:16]
	s_and_not1_b32 exec_lo, exec_lo, s3
	s_cbranch_execnz .LBB120_45
; %bb.46:
	s_or_b32 exec_lo, exec_lo, s3
	v_mov_b32_e32 v7, 0
	ds_load_b128 v[7:10], v7 offset:128
	s_waitcnt lgkmcnt(0)
	v_mul_f64 v[11:12], v[1:2], v[9:10]
	v_mul_f64 v[15:16], v[3:4], v[9:10]
	s_delay_alu instid0(VALU_DEP_2) | instskip(NEXT) | instid1(VALU_DEP_2)
	v_fma_f64 v[9:10], v[3:4], v[7:8], -v[11:12]
	v_fma_f64 v[11:12], v[1:2], v[7:8], v[15:16]
	scratch_store_b128 off, v[9:12], off offset:128
.LBB120_47:
	s_or_b32 exec_lo, exec_lo, s2
	s_waitcnt_vscnt null, 0x0
	s_barrier
	buffer_gl0_inv
	scratch_load_b128 v[1:4], v204, off
	s_mov_b32 s2, exec_lo
	s_waitcnt vmcnt(0)
	ds_store_b128 v5, v[1:4]
	s_waitcnt lgkmcnt(0)
	s_barrier
	buffer_gl0_inv
	v_cmpx_gt_u32_e32 9, v156
	s_cbranch_execz .LBB120_51
; %bb.48:
	v_dual_mov_b32 v1, 0 :: v_dual_add_nc_u32 v8, 0x390, v13
	v_dual_mov_b32 v2, 0 :: v_dual_add_nc_u32 v7, -1, v156
	v_or_b32_e32 v9, 8, v14
	s_mov_b32 s3, 0
	s_delay_alu instid0(VALU_DEP_2)
	v_dual_mov_b32 v4, v2 :: v_dual_mov_b32 v3, v1
	.p2align	6
.LBB120_49:                             ; =>This Inner Loop Header: Depth=1
	scratch_load_b128 v[15:18], v9, off offset:-8
	ds_load_b128 v[19:22], v8
	v_add_nc_u32_e32 v7, 1, v7
	v_add_nc_u32_e32 v8, 16, v8
	;; [unrolled: 1-line block ×3, first 2 shown]
	s_delay_alu instid0(VALU_DEP_3) | instskip(SKIP_4) | instid1(VALU_DEP_2)
	v_cmp_lt_u32_e32 vcc_lo, 7, v7
	s_or_b32 s3, vcc_lo, s3
	s_waitcnt vmcnt(0) lgkmcnt(0)
	v_mul_f64 v[10:11], v[21:22], v[17:18]
	v_mul_f64 v[17:18], v[19:20], v[17:18]
	v_fma_f64 v[10:11], v[19:20], v[15:16], -v[10:11]
	s_delay_alu instid0(VALU_DEP_2) | instskip(NEXT) | instid1(VALU_DEP_2)
	v_fma_f64 v[15:16], v[21:22], v[15:16], v[17:18]
	v_add_f64 v[3:4], v[3:4], v[10:11]
	s_delay_alu instid0(VALU_DEP_2)
	v_add_f64 v[1:2], v[1:2], v[15:16]
	s_and_not1_b32 exec_lo, exec_lo, s3
	s_cbranch_execnz .LBB120_49
; %bb.50:
	s_or_b32 exec_lo, exec_lo, s3
	v_mov_b32_e32 v7, 0
	ds_load_b128 v[7:10], v7 offset:144
	s_waitcnt lgkmcnt(0)
	v_mul_f64 v[11:12], v[1:2], v[9:10]
	v_mul_f64 v[15:16], v[3:4], v[9:10]
	s_delay_alu instid0(VALU_DEP_2) | instskip(NEXT) | instid1(VALU_DEP_2)
	v_fma_f64 v[9:10], v[3:4], v[7:8], -v[11:12]
	v_fma_f64 v[11:12], v[1:2], v[7:8], v[15:16]
	scratch_store_b128 off, v[9:12], off offset:144
.LBB120_51:
	s_or_b32 exec_lo, exec_lo, s2
	s_waitcnt_vscnt null, 0x0
	s_barrier
	buffer_gl0_inv
	scratch_load_b128 v[1:4], v203, off
	s_mov_b32 s2, exec_lo
	s_waitcnt vmcnt(0)
	ds_store_b128 v5, v[1:4]
	s_waitcnt lgkmcnt(0)
	s_barrier
	buffer_gl0_inv
	v_cmpx_gt_u32_e32 10, v156
	s_cbranch_execz .LBB120_55
; %bb.52:
	v_dual_mov_b32 v1, 0 :: v_dual_add_nc_u32 v8, 0x390, v13
	v_dual_mov_b32 v2, 0 :: v_dual_add_nc_u32 v7, -1, v156
	v_or_b32_e32 v9, 8, v14
	s_mov_b32 s3, 0
	s_delay_alu instid0(VALU_DEP_2)
	v_dual_mov_b32 v4, v2 :: v_dual_mov_b32 v3, v1
	.p2align	6
.LBB120_53:                             ; =>This Inner Loop Header: Depth=1
	scratch_load_b128 v[15:18], v9, off offset:-8
	ds_load_b128 v[19:22], v8
	v_add_nc_u32_e32 v7, 1, v7
	v_add_nc_u32_e32 v8, 16, v8
	;; [unrolled: 1-line block ×3, first 2 shown]
	s_delay_alu instid0(VALU_DEP_3) | instskip(SKIP_4) | instid1(VALU_DEP_2)
	v_cmp_lt_u32_e32 vcc_lo, 8, v7
	s_or_b32 s3, vcc_lo, s3
	s_waitcnt vmcnt(0) lgkmcnt(0)
	v_mul_f64 v[10:11], v[21:22], v[17:18]
	v_mul_f64 v[17:18], v[19:20], v[17:18]
	v_fma_f64 v[10:11], v[19:20], v[15:16], -v[10:11]
	s_delay_alu instid0(VALU_DEP_2) | instskip(NEXT) | instid1(VALU_DEP_2)
	v_fma_f64 v[15:16], v[21:22], v[15:16], v[17:18]
	v_add_f64 v[3:4], v[3:4], v[10:11]
	s_delay_alu instid0(VALU_DEP_2)
	v_add_f64 v[1:2], v[1:2], v[15:16]
	s_and_not1_b32 exec_lo, exec_lo, s3
	s_cbranch_execnz .LBB120_53
; %bb.54:
	s_or_b32 exec_lo, exec_lo, s3
	v_mov_b32_e32 v7, 0
	ds_load_b128 v[7:10], v7 offset:160
	s_waitcnt lgkmcnt(0)
	v_mul_f64 v[11:12], v[1:2], v[9:10]
	v_mul_f64 v[15:16], v[3:4], v[9:10]
	s_delay_alu instid0(VALU_DEP_2) | instskip(NEXT) | instid1(VALU_DEP_2)
	v_fma_f64 v[9:10], v[3:4], v[7:8], -v[11:12]
	v_fma_f64 v[11:12], v[1:2], v[7:8], v[15:16]
	scratch_store_b128 off, v[9:12], off offset:160
.LBB120_55:
	s_or_b32 exec_lo, exec_lo, s2
	s_waitcnt_vscnt null, 0x0
	s_barrier
	buffer_gl0_inv
	scratch_load_b128 v[1:4], v202, off
	s_mov_b32 s2, exec_lo
	s_waitcnt vmcnt(0)
	ds_store_b128 v5, v[1:4]
	s_waitcnt lgkmcnt(0)
	s_barrier
	buffer_gl0_inv
	v_cmpx_gt_u32_e32 11, v156
	s_cbranch_execz .LBB120_59
; %bb.56:
	v_dual_mov_b32 v1, 0 :: v_dual_add_nc_u32 v8, 0x390, v13
	v_dual_mov_b32 v2, 0 :: v_dual_add_nc_u32 v7, -1, v156
	v_or_b32_e32 v9, 8, v14
	s_mov_b32 s3, 0
	s_delay_alu instid0(VALU_DEP_2)
	v_dual_mov_b32 v4, v2 :: v_dual_mov_b32 v3, v1
	.p2align	6
.LBB120_57:                             ; =>This Inner Loop Header: Depth=1
	scratch_load_b128 v[15:18], v9, off offset:-8
	ds_load_b128 v[19:22], v8
	v_add_nc_u32_e32 v7, 1, v7
	v_add_nc_u32_e32 v8, 16, v8
	;; [unrolled: 1-line block ×3, first 2 shown]
	s_delay_alu instid0(VALU_DEP_3) | instskip(SKIP_4) | instid1(VALU_DEP_2)
	v_cmp_lt_u32_e32 vcc_lo, 9, v7
	s_or_b32 s3, vcc_lo, s3
	s_waitcnt vmcnt(0) lgkmcnt(0)
	v_mul_f64 v[10:11], v[21:22], v[17:18]
	v_mul_f64 v[17:18], v[19:20], v[17:18]
	v_fma_f64 v[10:11], v[19:20], v[15:16], -v[10:11]
	s_delay_alu instid0(VALU_DEP_2) | instskip(NEXT) | instid1(VALU_DEP_2)
	v_fma_f64 v[15:16], v[21:22], v[15:16], v[17:18]
	v_add_f64 v[3:4], v[3:4], v[10:11]
	s_delay_alu instid0(VALU_DEP_2)
	v_add_f64 v[1:2], v[1:2], v[15:16]
	s_and_not1_b32 exec_lo, exec_lo, s3
	s_cbranch_execnz .LBB120_57
; %bb.58:
	s_or_b32 exec_lo, exec_lo, s3
	v_mov_b32_e32 v7, 0
	ds_load_b128 v[7:10], v7 offset:176
	s_waitcnt lgkmcnt(0)
	v_mul_f64 v[11:12], v[1:2], v[9:10]
	v_mul_f64 v[15:16], v[3:4], v[9:10]
	s_delay_alu instid0(VALU_DEP_2) | instskip(NEXT) | instid1(VALU_DEP_2)
	v_fma_f64 v[9:10], v[3:4], v[7:8], -v[11:12]
	v_fma_f64 v[11:12], v[1:2], v[7:8], v[15:16]
	scratch_store_b128 off, v[9:12], off offset:176
.LBB120_59:
	s_or_b32 exec_lo, exec_lo, s2
	s_waitcnt_vscnt null, 0x0
	s_barrier
	buffer_gl0_inv
	scratch_load_b128 v[1:4], v201, off
	s_mov_b32 s2, exec_lo
	s_waitcnt vmcnt(0)
	ds_store_b128 v5, v[1:4]
	s_waitcnt lgkmcnt(0)
	s_barrier
	buffer_gl0_inv
	v_cmpx_gt_u32_e32 12, v156
	s_cbranch_execz .LBB120_63
; %bb.60:
	v_dual_mov_b32 v1, 0 :: v_dual_add_nc_u32 v8, 0x390, v13
	v_dual_mov_b32 v2, 0 :: v_dual_add_nc_u32 v7, -1, v156
	v_or_b32_e32 v9, 8, v14
	s_mov_b32 s3, 0
	s_delay_alu instid0(VALU_DEP_2)
	v_dual_mov_b32 v4, v2 :: v_dual_mov_b32 v3, v1
	.p2align	6
.LBB120_61:                             ; =>This Inner Loop Header: Depth=1
	scratch_load_b128 v[15:18], v9, off offset:-8
	ds_load_b128 v[19:22], v8
	v_add_nc_u32_e32 v7, 1, v7
	v_add_nc_u32_e32 v8, 16, v8
	;; [unrolled: 1-line block ×3, first 2 shown]
	s_delay_alu instid0(VALU_DEP_3) | instskip(SKIP_4) | instid1(VALU_DEP_2)
	v_cmp_lt_u32_e32 vcc_lo, 10, v7
	s_or_b32 s3, vcc_lo, s3
	s_waitcnt vmcnt(0) lgkmcnt(0)
	v_mul_f64 v[10:11], v[21:22], v[17:18]
	v_mul_f64 v[17:18], v[19:20], v[17:18]
	v_fma_f64 v[10:11], v[19:20], v[15:16], -v[10:11]
	s_delay_alu instid0(VALU_DEP_2) | instskip(NEXT) | instid1(VALU_DEP_2)
	v_fma_f64 v[15:16], v[21:22], v[15:16], v[17:18]
	v_add_f64 v[3:4], v[3:4], v[10:11]
	s_delay_alu instid0(VALU_DEP_2)
	v_add_f64 v[1:2], v[1:2], v[15:16]
	s_and_not1_b32 exec_lo, exec_lo, s3
	s_cbranch_execnz .LBB120_61
; %bb.62:
	s_or_b32 exec_lo, exec_lo, s3
	v_mov_b32_e32 v7, 0
	ds_load_b128 v[7:10], v7 offset:192
	s_waitcnt lgkmcnt(0)
	v_mul_f64 v[11:12], v[1:2], v[9:10]
	v_mul_f64 v[15:16], v[3:4], v[9:10]
	s_delay_alu instid0(VALU_DEP_2) | instskip(NEXT) | instid1(VALU_DEP_2)
	v_fma_f64 v[9:10], v[3:4], v[7:8], -v[11:12]
	v_fma_f64 v[11:12], v[1:2], v[7:8], v[15:16]
	scratch_store_b128 off, v[9:12], off offset:192
.LBB120_63:
	s_or_b32 exec_lo, exec_lo, s2
	s_waitcnt_vscnt null, 0x0
	s_barrier
	buffer_gl0_inv
	scratch_load_b128 v[1:4], v200, off
	s_mov_b32 s2, exec_lo
	s_waitcnt vmcnt(0)
	ds_store_b128 v5, v[1:4]
	s_waitcnt lgkmcnt(0)
	s_barrier
	buffer_gl0_inv
	v_cmpx_gt_u32_e32 13, v156
	s_cbranch_execz .LBB120_67
; %bb.64:
	v_dual_mov_b32 v1, 0 :: v_dual_add_nc_u32 v8, 0x390, v13
	v_dual_mov_b32 v2, 0 :: v_dual_add_nc_u32 v7, -1, v156
	v_or_b32_e32 v9, 8, v14
	s_mov_b32 s3, 0
	s_delay_alu instid0(VALU_DEP_2)
	v_dual_mov_b32 v4, v2 :: v_dual_mov_b32 v3, v1
	.p2align	6
.LBB120_65:                             ; =>This Inner Loop Header: Depth=1
	scratch_load_b128 v[15:18], v9, off offset:-8
	ds_load_b128 v[19:22], v8
	v_add_nc_u32_e32 v7, 1, v7
	v_add_nc_u32_e32 v8, 16, v8
	;; [unrolled: 1-line block ×3, first 2 shown]
	s_delay_alu instid0(VALU_DEP_3) | instskip(SKIP_4) | instid1(VALU_DEP_2)
	v_cmp_lt_u32_e32 vcc_lo, 11, v7
	s_or_b32 s3, vcc_lo, s3
	s_waitcnt vmcnt(0) lgkmcnt(0)
	v_mul_f64 v[10:11], v[21:22], v[17:18]
	v_mul_f64 v[17:18], v[19:20], v[17:18]
	v_fma_f64 v[10:11], v[19:20], v[15:16], -v[10:11]
	s_delay_alu instid0(VALU_DEP_2) | instskip(NEXT) | instid1(VALU_DEP_2)
	v_fma_f64 v[15:16], v[21:22], v[15:16], v[17:18]
	v_add_f64 v[3:4], v[3:4], v[10:11]
	s_delay_alu instid0(VALU_DEP_2)
	v_add_f64 v[1:2], v[1:2], v[15:16]
	s_and_not1_b32 exec_lo, exec_lo, s3
	s_cbranch_execnz .LBB120_65
; %bb.66:
	s_or_b32 exec_lo, exec_lo, s3
	v_mov_b32_e32 v7, 0
	ds_load_b128 v[7:10], v7 offset:208
	s_waitcnt lgkmcnt(0)
	v_mul_f64 v[11:12], v[1:2], v[9:10]
	v_mul_f64 v[15:16], v[3:4], v[9:10]
	s_delay_alu instid0(VALU_DEP_2) | instskip(NEXT) | instid1(VALU_DEP_2)
	v_fma_f64 v[9:10], v[3:4], v[7:8], -v[11:12]
	v_fma_f64 v[11:12], v[1:2], v[7:8], v[15:16]
	scratch_store_b128 off, v[9:12], off offset:208
.LBB120_67:
	s_or_b32 exec_lo, exec_lo, s2
	s_waitcnt_vscnt null, 0x0
	s_barrier
	buffer_gl0_inv
	scratch_load_b128 v[1:4], v199, off
	s_mov_b32 s2, exec_lo
	s_waitcnt vmcnt(0)
	ds_store_b128 v5, v[1:4]
	s_waitcnt lgkmcnt(0)
	s_barrier
	buffer_gl0_inv
	v_cmpx_gt_u32_e32 14, v156
	s_cbranch_execz .LBB120_71
; %bb.68:
	v_dual_mov_b32 v1, 0 :: v_dual_add_nc_u32 v8, 0x390, v13
	v_dual_mov_b32 v2, 0 :: v_dual_add_nc_u32 v7, -1, v156
	v_or_b32_e32 v9, 8, v14
	s_mov_b32 s3, 0
	s_delay_alu instid0(VALU_DEP_2)
	v_dual_mov_b32 v4, v2 :: v_dual_mov_b32 v3, v1
	.p2align	6
.LBB120_69:                             ; =>This Inner Loop Header: Depth=1
	scratch_load_b128 v[15:18], v9, off offset:-8
	ds_load_b128 v[19:22], v8
	v_add_nc_u32_e32 v7, 1, v7
	v_add_nc_u32_e32 v8, 16, v8
	;; [unrolled: 1-line block ×3, first 2 shown]
	s_delay_alu instid0(VALU_DEP_3) | instskip(SKIP_4) | instid1(VALU_DEP_2)
	v_cmp_lt_u32_e32 vcc_lo, 12, v7
	s_or_b32 s3, vcc_lo, s3
	s_waitcnt vmcnt(0) lgkmcnt(0)
	v_mul_f64 v[10:11], v[21:22], v[17:18]
	v_mul_f64 v[17:18], v[19:20], v[17:18]
	v_fma_f64 v[10:11], v[19:20], v[15:16], -v[10:11]
	s_delay_alu instid0(VALU_DEP_2) | instskip(NEXT) | instid1(VALU_DEP_2)
	v_fma_f64 v[15:16], v[21:22], v[15:16], v[17:18]
	v_add_f64 v[3:4], v[3:4], v[10:11]
	s_delay_alu instid0(VALU_DEP_2)
	v_add_f64 v[1:2], v[1:2], v[15:16]
	s_and_not1_b32 exec_lo, exec_lo, s3
	s_cbranch_execnz .LBB120_69
; %bb.70:
	s_or_b32 exec_lo, exec_lo, s3
	v_mov_b32_e32 v7, 0
	ds_load_b128 v[7:10], v7 offset:224
	s_waitcnt lgkmcnt(0)
	v_mul_f64 v[11:12], v[1:2], v[9:10]
	v_mul_f64 v[15:16], v[3:4], v[9:10]
	s_delay_alu instid0(VALU_DEP_2) | instskip(NEXT) | instid1(VALU_DEP_2)
	v_fma_f64 v[9:10], v[3:4], v[7:8], -v[11:12]
	v_fma_f64 v[11:12], v[1:2], v[7:8], v[15:16]
	scratch_store_b128 off, v[9:12], off offset:224
.LBB120_71:
	s_or_b32 exec_lo, exec_lo, s2
	s_waitcnt_vscnt null, 0x0
	s_barrier
	buffer_gl0_inv
	scratch_load_b128 v[1:4], v198, off
	s_mov_b32 s2, exec_lo
	s_waitcnt vmcnt(0)
	ds_store_b128 v5, v[1:4]
	s_waitcnt lgkmcnt(0)
	s_barrier
	buffer_gl0_inv
	v_cmpx_gt_u32_e32 15, v156
	s_cbranch_execz .LBB120_75
; %bb.72:
	v_dual_mov_b32 v1, 0 :: v_dual_add_nc_u32 v8, 0x390, v13
	v_dual_mov_b32 v2, 0 :: v_dual_add_nc_u32 v7, -1, v156
	v_or_b32_e32 v9, 8, v14
	s_mov_b32 s3, 0
	s_delay_alu instid0(VALU_DEP_2)
	v_dual_mov_b32 v4, v2 :: v_dual_mov_b32 v3, v1
	.p2align	6
.LBB120_73:                             ; =>This Inner Loop Header: Depth=1
	scratch_load_b128 v[15:18], v9, off offset:-8
	ds_load_b128 v[19:22], v8
	v_add_nc_u32_e32 v7, 1, v7
	v_add_nc_u32_e32 v8, 16, v8
	;; [unrolled: 1-line block ×3, first 2 shown]
	s_delay_alu instid0(VALU_DEP_3) | instskip(SKIP_4) | instid1(VALU_DEP_2)
	v_cmp_lt_u32_e32 vcc_lo, 13, v7
	s_or_b32 s3, vcc_lo, s3
	s_waitcnt vmcnt(0) lgkmcnt(0)
	v_mul_f64 v[10:11], v[21:22], v[17:18]
	v_mul_f64 v[17:18], v[19:20], v[17:18]
	v_fma_f64 v[10:11], v[19:20], v[15:16], -v[10:11]
	s_delay_alu instid0(VALU_DEP_2) | instskip(NEXT) | instid1(VALU_DEP_2)
	v_fma_f64 v[15:16], v[21:22], v[15:16], v[17:18]
	v_add_f64 v[3:4], v[3:4], v[10:11]
	s_delay_alu instid0(VALU_DEP_2)
	v_add_f64 v[1:2], v[1:2], v[15:16]
	s_and_not1_b32 exec_lo, exec_lo, s3
	s_cbranch_execnz .LBB120_73
; %bb.74:
	s_or_b32 exec_lo, exec_lo, s3
	v_mov_b32_e32 v7, 0
	ds_load_b128 v[7:10], v7 offset:240
	s_waitcnt lgkmcnt(0)
	v_mul_f64 v[11:12], v[1:2], v[9:10]
	v_mul_f64 v[15:16], v[3:4], v[9:10]
	s_delay_alu instid0(VALU_DEP_2) | instskip(NEXT) | instid1(VALU_DEP_2)
	v_fma_f64 v[9:10], v[3:4], v[7:8], -v[11:12]
	v_fma_f64 v[11:12], v[1:2], v[7:8], v[15:16]
	scratch_store_b128 off, v[9:12], off offset:240
.LBB120_75:
	s_or_b32 exec_lo, exec_lo, s2
	s_waitcnt_vscnt null, 0x0
	s_barrier
	buffer_gl0_inv
	scratch_load_b128 v[1:4], v197, off
	s_mov_b32 s2, exec_lo
	s_waitcnt vmcnt(0)
	ds_store_b128 v5, v[1:4]
	s_waitcnt lgkmcnt(0)
	s_barrier
	buffer_gl0_inv
	v_cmpx_gt_u32_e32 16, v156
	s_cbranch_execz .LBB120_79
; %bb.76:
	v_dual_mov_b32 v1, 0 :: v_dual_add_nc_u32 v8, 0x390, v13
	v_dual_mov_b32 v2, 0 :: v_dual_add_nc_u32 v7, -1, v156
	v_or_b32_e32 v9, 8, v14
	s_mov_b32 s3, 0
	s_delay_alu instid0(VALU_DEP_2)
	v_dual_mov_b32 v4, v2 :: v_dual_mov_b32 v3, v1
	.p2align	6
.LBB120_77:                             ; =>This Inner Loop Header: Depth=1
	scratch_load_b128 v[15:18], v9, off offset:-8
	ds_load_b128 v[19:22], v8
	v_add_nc_u32_e32 v7, 1, v7
	v_add_nc_u32_e32 v8, 16, v8
	;; [unrolled: 1-line block ×3, first 2 shown]
	s_delay_alu instid0(VALU_DEP_3) | instskip(SKIP_4) | instid1(VALU_DEP_2)
	v_cmp_lt_u32_e32 vcc_lo, 14, v7
	s_or_b32 s3, vcc_lo, s3
	s_waitcnt vmcnt(0) lgkmcnt(0)
	v_mul_f64 v[10:11], v[21:22], v[17:18]
	v_mul_f64 v[17:18], v[19:20], v[17:18]
	v_fma_f64 v[10:11], v[19:20], v[15:16], -v[10:11]
	s_delay_alu instid0(VALU_DEP_2) | instskip(NEXT) | instid1(VALU_DEP_2)
	v_fma_f64 v[15:16], v[21:22], v[15:16], v[17:18]
	v_add_f64 v[3:4], v[3:4], v[10:11]
	s_delay_alu instid0(VALU_DEP_2)
	v_add_f64 v[1:2], v[1:2], v[15:16]
	s_and_not1_b32 exec_lo, exec_lo, s3
	s_cbranch_execnz .LBB120_77
; %bb.78:
	s_or_b32 exec_lo, exec_lo, s3
	v_mov_b32_e32 v7, 0
	ds_load_b128 v[7:10], v7 offset:256
	s_waitcnt lgkmcnt(0)
	v_mul_f64 v[11:12], v[1:2], v[9:10]
	v_mul_f64 v[15:16], v[3:4], v[9:10]
	s_delay_alu instid0(VALU_DEP_2) | instskip(NEXT) | instid1(VALU_DEP_2)
	v_fma_f64 v[9:10], v[3:4], v[7:8], -v[11:12]
	v_fma_f64 v[11:12], v[1:2], v[7:8], v[15:16]
	scratch_store_b128 off, v[9:12], off offset:256
.LBB120_79:
	s_or_b32 exec_lo, exec_lo, s2
	s_waitcnt_vscnt null, 0x0
	s_barrier
	buffer_gl0_inv
	scratch_load_b128 v[1:4], v196, off
	s_mov_b32 s2, exec_lo
	s_waitcnt vmcnt(0)
	ds_store_b128 v5, v[1:4]
	s_waitcnt lgkmcnt(0)
	s_barrier
	buffer_gl0_inv
	v_cmpx_gt_u32_e32 17, v156
	s_cbranch_execz .LBB120_83
; %bb.80:
	v_dual_mov_b32 v1, 0 :: v_dual_add_nc_u32 v8, 0x390, v13
	v_dual_mov_b32 v2, 0 :: v_dual_add_nc_u32 v7, -1, v156
	v_or_b32_e32 v9, 8, v14
	s_mov_b32 s3, 0
	s_delay_alu instid0(VALU_DEP_2)
	v_dual_mov_b32 v4, v2 :: v_dual_mov_b32 v3, v1
	.p2align	6
.LBB120_81:                             ; =>This Inner Loop Header: Depth=1
	scratch_load_b128 v[15:18], v9, off offset:-8
	ds_load_b128 v[19:22], v8
	v_add_nc_u32_e32 v7, 1, v7
	v_add_nc_u32_e32 v8, 16, v8
	;; [unrolled: 1-line block ×3, first 2 shown]
	s_delay_alu instid0(VALU_DEP_3) | instskip(SKIP_4) | instid1(VALU_DEP_2)
	v_cmp_lt_u32_e32 vcc_lo, 15, v7
	s_or_b32 s3, vcc_lo, s3
	s_waitcnt vmcnt(0) lgkmcnt(0)
	v_mul_f64 v[10:11], v[21:22], v[17:18]
	v_mul_f64 v[17:18], v[19:20], v[17:18]
	v_fma_f64 v[10:11], v[19:20], v[15:16], -v[10:11]
	s_delay_alu instid0(VALU_DEP_2) | instskip(NEXT) | instid1(VALU_DEP_2)
	v_fma_f64 v[15:16], v[21:22], v[15:16], v[17:18]
	v_add_f64 v[3:4], v[3:4], v[10:11]
	s_delay_alu instid0(VALU_DEP_2)
	v_add_f64 v[1:2], v[1:2], v[15:16]
	s_and_not1_b32 exec_lo, exec_lo, s3
	s_cbranch_execnz .LBB120_81
; %bb.82:
	s_or_b32 exec_lo, exec_lo, s3
	v_mov_b32_e32 v7, 0
	ds_load_b128 v[7:10], v7 offset:272
	s_waitcnt lgkmcnt(0)
	v_mul_f64 v[11:12], v[1:2], v[9:10]
	v_mul_f64 v[15:16], v[3:4], v[9:10]
	s_delay_alu instid0(VALU_DEP_2) | instskip(NEXT) | instid1(VALU_DEP_2)
	v_fma_f64 v[9:10], v[3:4], v[7:8], -v[11:12]
	v_fma_f64 v[11:12], v[1:2], v[7:8], v[15:16]
	scratch_store_b128 off, v[9:12], off offset:272
.LBB120_83:
	s_or_b32 exec_lo, exec_lo, s2
	s_waitcnt_vscnt null, 0x0
	s_barrier
	buffer_gl0_inv
	scratch_load_b128 v[1:4], v195, off
	s_mov_b32 s2, exec_lo
	s_waitcnt vmcnt(0)
	ds_store_b128 v5, v[1:4]
	s_waitcnt lgkmcnt(0)
	s_barrier
	buffer_gl0_inv
	v_cmpx_gt_u32_e32 18, v156
	s_cbranch_execz .LBB120_87
; %bb.84:
	v_dual_mov_b32 v1, 0 :: v_dual_add_nc_u32 v8, 0x390, v13
	v_dual_mov_b32 v2, 0 :: v_dual_add_nc_u32 v7, -1, v156
	v_or_b32_e32 v9, 8, v14
	s_mov_b32 s3, 0
	s_delay_alu instid0(VALU_DEP_2)
	v_dual_mov_b32 v4, v2 :: v_dual_mov_b32 v3, v1
	.p2align	6
.LBB120_85:                             ; =>This Inner Loop Header: Depth=1
	scratch_load_b128 v[15:18], v9, off offset:-8
	ds_load_b128 v[19:22], v8
	v_add_nc_u32_e32 v7, 1, v7
	v_add_nc_u32_e32 v8, 16, v8
	;; [unrolled: 1-line block ×3, first 2 shown]
	s_delay_alu instid0(VALU_DEP_3) | instskip(SKIP_4) | instid1(VALU_DEP_2)
	v_cmp_lt_u32_e32 vcc_lo, 16, v7
	s_or_b32 s3, vcc_lo, s3
	s_waitcnt vmcnt(0) lgkmcnt(0)
	v_mul_f64 v[10:11], v[21:22], v[17:18]
	v_mul_f64 v[17:18], v[19:20], v[17:18]
	v_fma_f64 v[10:11], v[19:20], v[15:16], -v[10:11]
	s_delay_alu instid0(VALU_DEP_2) | instskip(NEXT) | instid1(VALU_DEP_2)
	v_fma_f64 v[15:16], v[21:22], v[15:16], v[17:18]
	v_add_f64 v[3:4], v[3:4], v[10:11]
	s_delay_alu instid0(VALU_DEP_2)
	v_add_f64 v[1:2], v[1:2], v[15:16]
	s_and_not1_b32 exec_lo, exec_lo, s3
	s_cbranch_execnz .LBB120_85
; %bb.86:
	s_or_b32 exec_lo, exec_lo, s3
	v_mov_b32_e32 v7, 0
	ds_load_b128 v[7:10], v7 offset:288
	s_waitcnt lgkmcnt(0)
	v_mul_f64 v[11:12], v[1:2], v[9:10]
	v_mul_f64 v[15:16], v[3:4], v[9:10]
	s_delay_alu instid0(VALU_DEP_2) | instskip(NEXT) | instid1(VALU_DEP_2)
	v_fma_f64 v[9:10], v[3:4], v[7:8], -v[11:12]
	v_fma_f64 v[11:12], v[1:2], v[7:8], v[15:16]
	scratch_store_b128 off, v[9:12], off offset:288
.LBB120_87:
	s_or_b32 exec_lo, exec_lo, s2
	s_waitcnt_vscnt null, 0x0
	s_barrier
	buffer_gl0_inv
	scratch_load_b128 v[1:4], v194, off
	s_mov_b32 s2, exec_lo
	s_waitcnt vmcnt(0)
	ds_store_b128 v5, v[1:4]
	s_waitcnt lgkmcnt(0)
	s_barrier
	buffer_gl0_inv
	v_cmpx_gt_u32_e32 19, v156
	s_cbranch_execz .LBB120_91
; %bb.88:
	v_dual_mov_b32 v1, 0 :: v_dual_add_nc_u32 v8, 0x390, v13
	v_dual_mov_b32 v2, 0 :: v_dual_add_nc_u32 v7, -1, v156
	v_or_b32_e32 v9, 8, v14
	s_mov_b32 s3, 0
	s_delay_alu instid0(VALU_DEP_2)
	v_dual_mov_b32 v4, v2 :: v_dual_mov_b32 v3, v1
	.p2align	6
.LBB120_89:                             ; =>This Inner Loop Header: Depth=1
	scratch_load_b128 v[15:18], v9, off offset:-8
	ds_load_b128 v[19:22], v8
	v_add_nc_u32_e32 v7, 1, v7
	v_add_nc_u32_e32 v8, 16, v8
	;; [unrolled: 1-line block ×3, first 2 shown]
	s_delay_alu instid0(VALU_DEP_3) | instskip(SKIP_4) | instid1(VALU_DEP_2)
	v_cmp_lt_u32_e32 vcc_lo, 17, v7
	s_or_b32 s3, vcc_lo, s3
	s_waitcnt vmcnt(0) lgkmcnt(0)
	v_mul_f64 v[10:11], v[21:22], v[17:18]
	v_mul_f64 v[17:18], v[19:20], v[17:18]
	v_fma_f64 v[10:11], v[19:20], v[15:16], -v[10:11]
	s_delay_alu instid0(VALU_DEP_2) | instskip(NEXT) | instid1(VALU_DEP_2)
	v_fma_f64 v[15:16], v[21:22], v[15:16], v[17:18]
	v_add_f64 v[3:4], v[3:4], v[10:11]
	s_delay_alu instid0(VALU_DEP_2)
	v_add_f64 v[1:2], v[1:2], v[15:16]
	s_and_not1_b32 exec_lo, exec_lo, s3
	s_cbranch_execnz .LBB120_89
; %bb.90:
	s_or_b32 exec_lo, exec_lo, s3
	v_mov_b32_e32 v7, 0
	ds_load_b128 v[7:10], v7 offset:304
	s_waitcnt lgkmcnt(0)
	v_mul_f64 v[11:12], v[1:2], v[9:10]
	v_mul_f64 v[15:16], v[3:4], v[9:10]
	s_delay_alu instid0(VALU_DEP_2) | instskip(NEXT) | instid1(VALU_DEP_2)
	v_fma_f64 v[9:10], v[3:4], v[7:8], -v[11:12]
	v_fma_f64 v[11:12], v[1:2], v[7:8], v[15:16]
	scratch_store_b128 off, v[9:12], off offset:304
.LBB120_91:
	s_or_b32 exec_lo, exec_lo, s2
	s_waitcnt_vscnt null, 0x0
	s_barrier
	buffer_gl0_inv
	scratch_load_b128 v[1:4], v214, off
	s_mov_b32 s2, exec_lo
	s_waitcnt vmcnt(0)
	ds_store_b128 v5, v[1:4]
	s_waitcnt lgkmcnt(0)
	s_barrier
	buffer_gl0_inv
	v_cmpx_gt_u32_e32 20, v156
	s_cbranch_execz .LBB120_95
; %bb.92:
	v_dual_mov_b32 v1, 0 :: v_dual_add_nc_u32 v8, 0x390, v13
	v_dual_mov_b32 v2, 0 :: v_dual_add_nc_u32 v7, -1, v156
	v_or_b32_e32 v9, 8, v14
	s_mov_b32 s3, 0
	s_delay_alu instid0(VALU_DEP_2)
	v_dual_mov_b32 v4, v2 :: v_dual_mov_b32 v3, v1
	.p2align	6
.LBB120_93:                             ; =>This Inner Loop Header: Depth=1
	scratch_load_b128 v[15:18], v9, off offset:-8
	ds_load_b128 v[19:22], v8
	v_add_nc_u32_e32 v7, 1, v7
	v_add_nc_u32_e32 v8, 16, v8
	;; [unrolled: 1-line block ×3, first 2 shown]
	s_delay_alu instid0(VALU_DEP_3) | instskip(SKIP_4) | instid1(VALU_DEP_2)
	v_cmp_lt_u32_e32 vcc_lo, 18, v7
	s_or_b32 s3, vcc_lo, s3
	s_waitcnt vmcnt(0) lgkmcnt(0)
	v_mul_f64 v[10:11], v[21:22], v[17:18]
	v_mul_f64 v[17:18], v[19:20], v[17:18]
	v_fma_f64 v[10:11], v[19:20], v[15:16], -v[10:11]
	s_delay_alu instid0(VALU_DEP_2) | instskip(NEXT) | instid1(VALU_DEP_2)
	v_fma_f64 v[15:16], v[21:22], v[15:16], v[17:18]
	v_add_f64 v[3:4], v[3:4], v[10:11]
	s_delay_alu instid0(VALU_DEP_2)
	v_add_f64 v[1:2], v[1:2], v[15:16]
	s_and_not1_b32 exec_lo, exec_lo, s3
	s_cbranch_execnz .LBB120_93
; %bb.94:
	s_or_b32 exec_lo, exec_lo, s3
	v_mov_b32_e32 v7, 0
	ds_load_b128 v[7:10], v7 offset:320
	s_waitcnt lgkmcnt(0)
	v_mul_f64 v[11:12], v[1:2], v[9:10]
	v_mul_f64 v[15:16], v[3:4], v[9:10]
	s_delay_alu instid0(VALU_DEP_2) | instskip(NEXT) | instid1(VALU_DEP_2)
	v_fma_f64 v[9:10], v[3:4], v[7:8], -v[11:12]
	v_fma_f64 v[11:12], v[1:2], v[7:8], v[15:16]
	scratch_store_b128 off, v[9:12], off offset:320
.LBB120_95:
	s_or_b32 exec_lo, exec_lo, s2
	s_waitcnt_vscnt null, 0x0
	s_barrier
	buffer_gl0_inv
	scratch_load_b128 v[1:4], v161, off
	s_mov_b32 s2, exec_lo
	s_waitcnt vmcnt(0)
	ds_store_b128 v5, v[1:4]
	s_waitcnt lgkmcnt(0)
	s_barrier
	buffer_gl0_inv
	v_cmpx_gt_u32_e32 21, v156
	s_cbranch_execz .LBB120_99
; %bb.96:
	v_dual_mov_b32 v1, 0 :: v_dual_add_nc_u32 v8, 0x390, v13
	v_dual_mov_b32 v2, 0 :: v_dual_add_nc_u32 v7, -1, v156
	v_or_b32_e32 v9, 8, v14
	s_mov_b32 s3, 0
	s_delay_alu instid0(VALU_DEP_2)
	v_dual_mov_b32 v4, v2 :: v_dual_mov_b32 v3, v1
	.p2align	6
.LBB120_97:                             ; =>This Inner Loop Header: Depth=1
	scratch_load_b128 v[15:18], v9, off offset:-8
	ds_load_b128 v[19:22], v8
	v_add_nc_u32_e32 v7, 1, v7
	v_add_nc_u32_e32 v8, 16, v8
	;; [unrolled: 1-line block ×3, first 2 shown]
	s_delay_alu instid0(VALU_DEP_3) | instskip(SKIP_4) | instid1(VALU_DEP_2)
	v_cmp_lt_u32_e32 vcc_lo, 19, v7
	s_or_b32 s3, vcc_lo, s3
	s_waitcnt vmcnt(0) lgkmcnt(0)
	v_mul_f64 v[10:11], v[21:22], v[17:18]
	v_mul_f64 v[17:18], v[19:20], v[17:18]
	v_fma_f64 v[10:11], v[19:20], v[15:16], -v[10:11]
	s_delay_alu instid0(VALU_DEP_2) | instskip(NEXT) | instid1(VALU_DEP_2)
	v_fma_f64 v[15:16], v[21:22], v[15:16], v[17:18]
	v_add_f64 v[3:4], v[3:4], v[10:11]
	s_delay_alu instid0(VALU_DEP_2)
	v_add_f64 v[1:2], v[1:2], v[15:16]
	s_and_not1_b32 exec_lo, exec_lo, s3
	s_cbranch_execnz .LBB120_97
; %bb.98:
	s_or_b32 exec_lo, exec_lo, s3
	v_mov_b32_e32 v7, 0
	ds_load_b128 v[7:10], v7 offset:336
	s_waitcnt lgkmcnt(0)
	v_mul_f64 v[11:12], v[1:2], v[9:10]
	v_mul_f64 v[15:16], v[3:4], v[9:10]
	s_delay_alu instid0(VALU_DEP_2) | instskip(NEXT) | instid1(VALU_DEP_2)
	v_fma_f64 v[9:10], v[3:4], v[7:8], -v[11:12]
	v_fma_f64 v[11:12], v[1:2], v[7:8], v[15:16]
	scratch_store_b128 off, v[9:12], off offset:336
.LBB120_99:
	s_or_b32 exec_lo, exec_lo, s2
	s_waitcnt_vscnt null, 0x0
	s_barrier
	buffer_gl0_inv
	scratch_load_b128 v[1:4], v255, off
	s_mov_b32 s2, exec_lo
	s_waitcnt vmcnt(0)
	ds_store_b128 v5, v[1:4]
	s_waitcnt lgkmcnt(0)
	s_barrier
	buffer_gl0_inv
	v_cmpx_gt_u32_e32 22, v156
	s_cbranch_execz .LBB120_103
; %bb.100:
	v_dual_mov_b32 v1, 0 :: v_dual_add_nc_u32 v8, 0x390, v13
	v_dual_mov_b32 v2, 0 :: v_dual_add_nc_u32 v7, -1, v156
	v_or_b32_e32 v9, 8, v14
	s_mov_b32 s3, 0
	s_delay_alu instid0(VALU_DEP_2)
	v_dual_mov_b32 v4, v2 :: v_dual_mov_b32 v3, v1
	.p2align	6
.LBB120_101:                            ; =>This Inner Loop Header: Depth=1
	scratch_load_b128 v[15:18], v9, off offset:-8
	ds_load_b128 v[19:22], v8
	v_add_nc_u32_e32 v7, 1, v7
	v_add_nc_u32_e32 v8, 16, v8
	;; [unrolled: 1-line block ×3, first 2 shown]
	s_delay_alu instid0(VALU_DEP_3) | instskip(SKIP_4) | instid1(VALU_DEP_2)
	v_cmp_lt_u32_e32 vcc_lo, 20, v7
	s_or_b32 s3, vcc_lo, s3
	s_waitcnt vmcnt(0) lgkmcnt(0)
	v_mul_f64 v[10:11], v[21:22], v[17:18]
	v_mul_f64 v[17:18], v[19:20], v[17:18]
	v_fma_f64 v[10:11], v[19:20], v[15:16], -v[10:11]
	s_delay_alu instid0(VALU_DEP_2) | instskip(NEXT) | instid1(VALU_DEP_2)
	v_fma_f64 v[15:16], v[21:22], v[15:16], v[17:18]
	v_add_f64 v[3:4], v[3:4], v[10:11]
	s_delay_alu instid0(VALU_DEP_2)
	v_add_f64 v[1:2], v[1:2], v[15:16]
	s_and_not1_b32 exec_lo, exec_lo, s3
	s_cbranch_execnz .LBB120_101
; %bb.102:
	s_or_b32 exec_lo, exec_lo, s3
	v_mov_b32_e32 v7, 0
	ds_load_b128 v[7:10], v7 offset:352
	s_waitcnt lgkmcnt(0)
	v_mul_f64 v[11:12], v[1:2], v[9:10]
	v_mul_f64 v[15:16], v[3:4], v[9:10]
	s_delay_alu instid0(VALU_DEP_2) | instskip(NEXT) | instid1(VALU_DEP_2)
	v_fma_f64 v[9:10], v[3:4], v[7:8], -v[11:12]
	v_fma_f64 v[11:12], v[1:2], v[7:8], v[15:16]
	scratch_store_b128 off, v[9:12], off offset:352
.LBB120_103:
	s_or_b32 exec_lo, exec_lo, s2
	s_waitcnt_vscnt null, 0x0
	s_barrier
	buffer_gl0_inv
	scratch_load_b128 v[1:4], v254, off
	s_mov_b32 s2, exec_lo
	s_waitcnt vmcnt(0)
	ds_store_b128 v5, v[1:4]
	s_waitcnt lgkmcnt(0)
	s_barrier
	buffer_gl0_inv
	v_cmpx_gt_u32_e32 23, v156
	s_cbranch_execz .LBB120_107
; %bb.104:
	v_dual_mov_b32 v1, 0 :: v_dual_add_nc_u32 v8, 0x390, v13
	v_dual_mov_b32 v2, 0 :: v_dual_add_nc_u32 v7, -1, v156
	v_or_b32_e32 v9, 8, v14
	s_mov_b32 s3, 0
	s_delay_alu instid0(VALU_DEP_2)
	v_dual_mov_b32 v4, v2 :: v_dual_mov_b32 v3, v1
	.p2align	6
.LBB120_105:                            ; =>This Inner Loop Header: Depth=1
	scratch_load_b128 v[15:18], v9, off offset:-8
	ds_load_b128 v[19:22], v8
	v_add_nc_u32_e32 v7, 1, v7
	v_add_nc_u32_e32 v8, 16, v8
	;; [unrolled: 1-line block ×3, first 2 shown]
	s_delay_alu instid0(VALU_DEP_3) | instskip(SKIP_4) | instid1(VALU_DEP_2)
	v_cmp_lt_u32_e32 vcc_lo, 21, v7
	s_or_b32 s3, vcc_lo, s3
	s_waitcnt vmcnt(0) lgkmcnt(0)
	v_mul_f64 v[10:11], v[21:22], v[17:18]
	v_mul_f64 v[17:18], v[19:20], v[17:18]
	v_fma_f64 v[10:11], v[19:20], v[15:16], -v[10:11]
	s_delay_alu instid0(VALU_DEP_2) | instskip(NEXT) | instid1(VALU_DEP_2)
	v_fma_f64 v[15:16], v[21:22], v[15:16], v[17:18]
	v_add_f64 v[3:4], v[3:4], v[10:11]
	s_delay_alu instid0(VALU_DEP_2)
	v_add_f64 v[1:2], v[1:2], v[15:16]
	s_and_not1_b32 exec_lo, exec_lo, s3
	s_cbranch_execnz .LBB120_105
; %bb.106:
	s_or_b32 exec_lo, exec_lo, s3
	v_mov_b32_e32 v7, 0
	ds_load_b128 v[7:10], v7 offset:368
	s_waitcnt lgkmcnt(0)
	v_mul_f64 v[11:12], v[1:2], v[9:10]
	v_mul_f64 v[15:16], v[3:4], v[9:10]
	s_delay_alu instid0(VALU_DEP_2) | instskip(NEXT) | instid1(VALU_DEP_2)
	v_fma_f64 v[9:10], v[3:4], v[7:8], -v[11:12]
	v_fma_f64 v[11:12], v[1:2], v[7:8], v[15:16]
	scratch_store_b128 off, v[9:12], off offset:368
.LBB120_107:
	s_or_b32 exec_lo, exec_lo, s2
	s_waitcnt_vscnt null, 0x0
	s_barrier
	buffer_gl0_inv
	scratch_load_b128 v[1:4], v253, off
	s_mov_b32 s2, exec_lo
	s_waitcnt vmcnt(0)
	ds_store_b128 v5, v[1:4]
	s_waitcnt lgkmcnt(0)
	s_barrier
	buffer_gl0_inv
	v_cmpx_gt_u32_e32 24, v156
	s_cbranch_execz .LBB120_111
; %bb.108:
	v_dual_mov_b32 v1, 0 :: v_dual_add_nc_u32 v8, 0x390, v13
	v_dual_mov_b32 v2, 0 :: v_dual_add_nc_u32 v7, -1, v156
	v_or_b32_e32 v9, 8, v14
	s_mov_b32 s3, 0
	s_delay_alu instid0(VALU_DEP_2)
	v_dual_mov_b32 v4, v2 :: v_dual_mov_b32 v3, v1
	.p2align	6
.LBB120_109:                            ; =>This Inner Loop Header: Depth=1
	scratch_load_b128 v[15:18], v9, off offset:-8
	ds_load_b128 v[19:22], v8
	v_add_nc_u32_e32 v7, 1, v7
	v_add_nc_u32_e32 v8, 16, v8
	;; [unrolled: 1-line block ×3, first 2 shown]
	s_delay_alu instid0(VALU_DEP_3) | instskip(SKIP_4) | instid1(VALU_DEP_2)
	v_cmp_lt_u32_e32 vcc_lo, 22, v7
	s_or_b32 s3, vcc_lo, s3
	s_waitcnt vmcnt(0) lgkmcnt(0)
	v_mul_f64 v[10:11], v[21:22], v[17:18]
	v_mul_f64 v[17:18], v[19:20], v[17:18]
	v_fma_f64 v[10:11], v[19:20], v[15:16], -v[10:11]
	s_delay_alu instid0(VALU_DEP_2) | instskip(NEXT) | instid1(VALU_DEP_2)
	v_fma_f64 v[15:16], v[21:22], v[15:16], v[17:18]
	v_add_f64 v[3:4], v[3:4], v[10:11]
	s_delay_alu instid0(VALU_DEP_2)
	v_add_f64 v[1:2], v[1:2], v[15:16]
	s_and_not1_b32 exec_lo, exec_lo, s3
	s_cbranch_execnz .LBB120_109
; %bb.110:
	s_or_b32 exec_lo, exec_lo, s3
	v_mov_b32_e32 v7, 0
	ds_load_b128 v[7:10], v7 offset:384
	s_waitcnt lgkmcnt(0)
	v_mul_f64 v[11:12], v[1:2], v[9:10]
	v_mul_f64 v[15:16], v[3:4], v[9:10]
	s_delay_alu instid0(VALU_DEP_2) | instskip(NEXT) | instid1(VALU_DEP_2)
	v_fma_f64 v[9:10], v[3:4], v[7:8], -v[11:12]
	v_fma_f64 v[11:12], v[1:2], v[7:8], v[15:16]
	scratch_store_b128 off, v[9:12], off offset:384
.LBB120_111:
	s_or_b32 exec_lo, exec_lo, s2
	s_waitcnt_vscnt null, 0x0
	s_barrier
	buffer_gl0_inv
	scratch_load_b128 v[1:4], v233, off
	s_mov_b32 s2, exec_lo
	s_waitcnt vmcnt(0)
	ds_store_b128 v5, v[1:4]
	s_waitcnt lgkmcnt(0)
	s_barrier
	buffer_gl0_inv
	v_cmpx_gt_u32_e32 25, v156
	s_cbranch_execz .LBB120_115
; %bb.112:
	v_dual_mov_b32 v1, 0 :: v_dual_add_nc_u32 v8, 0x390, v13
	v_dual_mov_b32 v2, 0 :: v_dual_add_nc_u32 v7, -1, v156
	v_or_b32_e32 v9, 8, v14
	s_mov_b32 s3, 0
	s_delay_alu instid0(VALU_DEP_2)
	v_dual_mov_b32 v4, v2 :: v_dual_mov_b32 v3, v1
	.p2align	6
.LBB120_113:                            ; =>This Inner Loop Header: Depth=1
	scratch_load_b128 v[15:18], v9, off offset:-8
	ds_load_b128 v[19:22], v8
	v_add_nc_u32_e32 v7, 1, v7
	v_add_nc_u32_e32 v8, 16, v8
	;; [unrolled: 1-line block ×3, first 2 shown]
	s_delay_alu instid0(VALU_DEP_3) | instskip(SKIP_4) | instid1(VALU_DEP_2)
	v_cmp_lt_u32_e32 vcc_lo, 23, v7
	s_or_b32 s3, vcc_lo, s3
	s_waitcnt vmcnt(0) lgkmcnt(0)
	v_mul_f64 v[10:11], v[21:22], v[17:18]
	v_mul_f64 v[17:18], v[19:20], v[17:18]
	v_fma_f64 v[10:11], v[19:20], v[15:16], -v[10:11]
	s_delay_alu instid0(VALU_DEP_2) | instskip(NEXT) | instid1(VALU_DEP_2)
	v_fma_f64 v[15:16], v[21:22], v[15:16], v[17:18]
	v_add_f64 v[3:4], v[3:4], v[10:11]
	s_delay_alu instid0(VALU_DEP_2)
	v_add_f64 v[1:2], v[1:2], v[15:16]
	s_and_not1_b32 exec_lo, exec_lo, s3
	s_cbranch_execnz .LBB120_113
; %bb.114:
	s_or_b32 exec_lo, exec_lo, s3
	v_mov_b32_e32 v7, 0
	ds_load_b128 v[7:10], v7 offset:400
	s_waitcnt lgkmcnt(0)
	v_mul_f64 v[11:12], v[1:2], v[9:10]
	v_mul_f64 v[15:16], v[3:4], v[9:10]
	s_delay_alu instid0(VALU_DEP_2) | instskip(NEXT) | instid1(VALU_DEP_2)
	v_fma_f64 v[9:10], v[3:4], v[7:8], -v[11:12]
	v_fma_f64 v[11:12], v[1:2], v[7:8], v[15:16]
	scratch_store_b128 off, v[9:12], off offset:400
.LBB120_115:
	s_or_b32 exec_lo, exec_lo, s2
	s_waitcnt_vscnt null, 0x0
	s_barrier
	buffer_gl0_inv
	scratch_load_b128 v[1:4], v232, off
	s_mov_b32 s2, exec_lo
	s_waitcnt vmcnt(0)
	ds_store_b128 v5, v[1:4]
	s_waitcnt lgkmcnt(0)
	s_barrier
	buffer_gl0_inv
	v_cmpx_gt_u32_e32 26, v156
	s_cbranch_execz .LBB120_119
; %bb.116:
	v_dual_mov_b32 v1, 0 :: v_dual_add_nc_u32 v8, 0x390, v13
	v_dual_mov_b32 v2, 0 :: v_dual_add_nc_u32 v7, -1, v156
	v_or_b32_e32 v9, 8, v14
	s_mov_b32 s3, 0
	s_delay_alu instid0(VALU_DEP_2)
	v_dual_mov_b32 v4, v2 :: v_dual_mov_b32 v3, v1
	.p2align	6
.LBB120_117:                            ; =>This Inner Loop Header: Depth=1
	scratch_load_b128 v[15:18], v9, off offset:-8
	ds_load_b128 v[19:22], v8
	v_add_nc_u32_e32 v7, 1, v7
	v_add_nc_u32_e32 v8, 16, v8
	;; [unrolled: 1-line block ×3, first 2 shown]
	s_delay_alu instid0(VALU_DEP_3) | instskip(SKIP_4) | instid1(VALU_DEP_2)
	v_cmp_lt_u32_e32 vcc_lo, 24, v7
	s_or_b32 s3, vcc_lo, s3
	s_waitcnt vmcnt(0) lgkmcnt(0)
	v_mul_f64 v[10:11], v[21:22], v[17:18]
	v_mul_f64 v[17:18], v[19:20], v[17:18]
	v_fma_f64 v[10:11], v[19:20], v[15:16], -v[10:11]
	s_delay_alu instid0(VALU_DEP_2) | instskip(NEXT) | instid1(VALU_DEP_2)
	v_fma_f64 v[15:16], v[21:22], v[15:16], v[17:18]
	v_add_f64 v[3:4], v[3:4], v[10:11]
	s_delay_alu instid0(VALU_DEP_2)
	v_add_f64 v[1:2], v[1:2], v[15:16]
	s_and_not1_b32 exec_lo, exec_lo, s3
	s_cbranch_execnz .LBB120_117
; %bb.118:
	s_or_b32 exec_lo, exec_lo, s3
	v_mov_b32_e32 v7, 0
	ds_load_b128 v[7:10], v7 offset:416
	s_waitcnt lgkmcnt(0)
	v_mul_f64 v[11:12], v[1:2], v[9:10]
	v_mul_f64 v[15:16], v[3:4], v[9:10]
	s_delay_alu instid0(VALU_DEP_2) | instskip(NEXT) | instid1(VALU_DEP_2)
	v_fma_f64 v[9:10], v[3:4], v[7:8], -v[11:12]
	v_fma_f64 v[11:12], v[1:2], v[7:8], v[15:16]
	scratch_store_b128 off, v[9:12], off offset:416
.LBB120_119:
	s_or_b32 exec_lo, exec_lo, s2
	s_waitcnt_vscnt null, 0x0
	s_barrier
	buffer_gl0_inv
	scratch_load_b128 v[1:4], v231, off
	s_mov_b32 s2, exec_lo
	s_waitcnt vmcnt(0)
	ds_store_b128 v5, v[1:4]
	s_waitcnt lgkmcnt(0)
	s_barrier
	buffer_gl0_inv
	v_cmpx_gt_u32_e32 27, v156
	s_cbranch_execz .LBB120_123
; %bb.120:
	v_dual_mov_b32 v1, 0 :: v_dual_add_nc_u32 v8, 0x390, v13
	v_dual_mov_b32 v2, 0 :: v_dual_add_nc_u32 v7, -1, v156
	v_or_b32_e32 v9, 8, v14
	s_mov_b32 s3, 0
	s_delay_alu instid0(VALU_DEP_2)
	v_dual_mov_b32 v4, v2 :: v_dual_mov_b32 v3, v1
	.p2align	6
.LBB120_121:                            ; =>This Inner Loop Header: Depth=1
	scratch_load_b128 v[15:18], v9, off offset:-8
	ds_load_b128 v[19:22], v8
	v_add_nc_u32_e32 v7, 1, v7
	v_add_nc_u32_e32 v8, 16, v8
	;; [unrolled: 1-line block ×3, first 2 shown]
	s_delay_alu instid0(VALU_DEP_3) | instskip(SKIP_4) | instid1(VALU_DEP_2)
	v_cmp_lt_u32_e32 vcc_lo, 25, v7
	s_or_b32 s3, vcc_lo, s3
	s_waitcnt vmcnt(0) lgkmcnt(0)
	v_mul_f64 v[10:11], v[21:22], v[17:18]
	v_mul_f64 v[17:18], v[19:20], v[17:18]
	v_fma_f64 v[10:11], v[19:20], v[15:16], -v[10:11]
	s_delay_alu instid0(VALU_DEP_2) | instskip(NEXT) | instid1(VALU_DEP_2)
	v_fma_f64 v[15:16], v[21:22], v[15:16], v[17:18]
	v_add_f64 v[3:4], v[3:4], v[10:11]
	s_delay_alu instid0(VALU_DEP_2)
	v_add_f64 v[1:2], v[1:2], v[15:16]
	s_and_not1_b32 exec_lo, exec_lo, s3
	s_cbranch_execnz .LBB120_121
; %bb.122:
	s_or_b32 exec_lo, exec_lo, s3
	v_mov_b32_e32 v7, 0
	ds_load_b128 v[7:10], v7 offset:432
	s_waitcnt lgkmcnt(0)
	v_mul_f64 v[11:12], v[1:2], v[9:10]
	v_mul_f64 v[15:16], v[3:4], v[9:10]
	s_delay_alu instid0(VALU_DEP_2) | instskip(NEXT) | instid1(VALU_DEP_2)
	v_fma_f64 v[9:10], v[3:4], v[7:8], -v[11:12]
	v_fma_f64 v[11:12], v[1:2], v[7:8], v[15:16]
	scratch_store_b128 off, v[9:12], off offset:432
.LBB120_123:
	s_or_b32 exec_lo, exec_lo, s2
	s_waitcnt_vscnt null, 0x0
	s_barrier
	buffer_gl0_inv
	scratch_load_b128 v[1:4], v230, off
	s_mov_b32 s2, exec_lo
	s_waitcnt vmcnt(0)
	ds_store_b128 v5, v[1:4]
	s_waitcnt lgkmcnt(0)
	s_barrier
	buffer_gl0_inv
	v_cmpx_gt_u32_e32 28, v156
	s_cbranch_execz .LBB120_127
; %bb.124:
	v_dual_mov_b32 v1, 0 :: v_dual_add_nc_u32 v8, 0x390, v13
	v_dual_mov_b32 v2, 0 :: v_dual_add_nc_u32 v7, -1, v156
	v_or_b32_e32 v9, 8, v14
	s_mov_b32 s3, 0
	s_delay_alu instid0(VALU_DEP_2)
	v_dual_mov_b32 v4, v2 :: v_dual_mov_b32 v3, v1
	.p2align	6
.LBB120_125:                            ; =>This Inner Loop Header: Depth=1
	scratch_load_b128 v[15:18], v9, off offset:-8
	ds_load_b128 v[19:22], v8
	v_add_nc_u32_e32 v7, 1, v7
	v_add_nc_u32_e32 v8, 16, v8
	;; [unrolled: 1-line block ×3, first 2 shown]
	s_delay_alu instid0(VALU_DEP_3) | instskip(SKIP_4) | instid1(VALU_DEP_2)
	v_cmp_lt_u32_e32 vcc_lo, 26, v7
	s_or_b32 s3, vcc_lo, s3
	s_waitcnt vmcnt(0) lgkmcnt(0)
	v_mul_f64 v[10:11], v[21:22], v[17:18]
	v_mul_f64 v[17:18], v[19:20], v[17:18]
	v_fma_f64 v[10:11], v[19:20], v[15:16], -v[10:11]
	s_delay_alu instid0(VALU_DEP_2) | instskip(NEXT) | instid1(VALU_DEP_2)
	v_fma_f64 v[15:16], v[21:22], v[15:16], v[17:18]
	v_add_f64 v[3:4], v[3:4], v[10:11]
	s_delay_alu instid0(VALU_DEP_2)
	v_add_f64 v[1:2], v[1:2], v[15:16]
	s_and_not1_b32 exec_lo, exec_lo, s3
	s_cbranch_execnz .LBB120_125
; %bb.126:
	s_or_b32 exec_lo, exec_lo, s3
	v_mov_b32_e32 v7, 0
	ds_load_b128 v[7:10], v7 offset:448
	s_waitcnt lgkmcnt(0)
	v_mul_f64 v[11:12], v[1:2], v[9:10]
	v_mul_f64 v[15:16], v[3:4], v[9:10]
	s_delay_alu instid0(VALU_DEP_2) | instskip(NEXT) | instid1(VALU_DEP_2)
	v_fma_f64 v[9:10], v[3:4], v[7:8], -v[11:12]
	v_fma_f64 v[11:12], v[1:2], v[7:8], v[15:16]
	scratch_store_b128 off, v[9:12], off offset:448
.LBB120_127:
	s_or_b32 exec_lo, exec_lo, s2
	s_waitcnt_vscnt null, 0x0
	s_barrier
	buffer_gl0_inv
	scratch_load_b128 v[1:4], v229, off
	s_mov_b32 s2, exec_lo
	s_waitcnt vmcnt(0)
	ds_store_b128 v5, v[1:4]
	s_waitcnt lgkmcnt(0)
	s_barrier
	buffer_gl0_inv
	v_cmpx_gt_u32_e32 29, v156
	s_cbranch_execz .LBB120_131
; %bb.128:
	v_dual_mov_b32 v1, 0 :: v_dual_add_nc_u32 v8, 0x390, v13
	v_dual_mov_b32 v2, 0 :: v_dual_add_nc_u32 v7, -1, v156
	v_or_b32_e32 v9, 8, v14
	s_mov_b32 s3, 0
	s_delay_alu instid0(VALU_DEP_2)
	v_dual_mov_b32 v4, v2 :: v_dual_mov_b32 v3, v1
	.p2align	6
.LBB120_129:                            ; =>This Inner Loop Header: Depth=1
	scratch_load_b128 v[15:18], v9, off offset:-8
	ds_load_b128 v[19:22], v8
	v_add_nc_u32_e32 v7, 1, v7
	v_add_nc_u32_e32 v8, 16, v8
	;; [unrolled: 1-line block ×3, first 2 shown]
	s_delay_alu instid0(VALU_DEP_3) | instskip(SKIP_4) | instid1(VALU_DEP_2)
	v_cmp_lt_u32_e32 vcc_lo, 27, v7
	s_or_b32 s3, vcc_lo, s3
	s_waitcnt vmcnt(0) lgkmcnt(0)
	v_mul_f64 v[10:11], v[21:22], v[17:18]
	v_mul_f64 v[17:18], v[19:20], v[17:18]
	v_fma_f64 v[10:11], v[19:20], v[15:16], -v[10:11]
	s_delay_alu instid0(VALU_DEP_2) | instskip(NEXT) | instid1(VALU_DEP_2)
	v_fma_f64 v[15:16], v[21:22], v[15:16], v[17:18]
	v_add_f64 v[3:4], v[3:4], v[10:11]
	s_delay_alu instid0(VALU_DEP_2)
	v_add_f64 v[1:2], v[1:2], v[15:16]
	s_and_not1_b32 exec_lo, exec_lo, s3
	s_cbranch_execnz .LBB120_129
; %bb.130:
	s_or_b32 exec_lo, exec_lo, s3
	v_mov_b32_e32 v7, 0
	ds_load_b128 v[7:10], v7 offset:464
	s_waitcnt lgkmcnt(0)
	v_mul_f64 v[11:12], v[1:2], v[9:10]
	v_mul_f64 v[15:16], v[3:4], v[9:10]
	s_delay_alu instid0(VALU_DEP_2) | instskip(NEXT) | instid1(VALU_DEP_2)
	v_fma_f64 v[9:10], v[3:4], v[7:8], -v[11:12]
	v_fma_f64 v[11:12], v[1:2], v[7:8], v[15:16]
	scratch_store_b128 off, v[9:12], off offset:464
.LBB120_131:
	s_or_b32 exec_lo, exec_lo, s2
	s_waitcnt_vscnt null, 0x0
	s_barrier
	buffer_gl0_inv
	scratch_load_b128 v[1:4], v228, off
	s_mov_b32 s2, exec_lo
	s_waitcnt vmcnt(0)
	ds_store_b128 v5, v[1:4]
	s_waitcnt lgkmcnt(0)
	s_barrier
	buffer_gl0_inv
	v_cmpx_gt_u32_e32 30, v156
	s_cbranch_execz .LBB120_135
; %bb.132:
	v_dual_mov_b32 v1, 0 :: v_dual_add_nc_u32 v8, 0x390, v13
	v_dual_mov_b32 v2, 0 :: v_dual_add_nc_u32 v7, -1, v156
	v_or_b32_e32 v9, 8, v14
	s_mov_b32 s3, 0
	s_delay_alu instid0(VALU_DEP_2)
	v_dual_mov_b32 v4, v2 :: v_dual_mov_b32 v3, v1
	.p2align	6
.LBB120_133:                            ; =>This Inner Loop Header: Depth=1
	scratch_load_b128 v[15:18], v9, off offset:-8
	ds_load_b128 v[19:22], v8
	v_add_nc_u32_e32 v7, 1, v7
	v_add_nc_u32_e32 v8, 16, v8
	;; [unrolled: 1-line block ×3, first 2 shown]
	s_delay_alu instid0(VALU_DEP_3) | instskip(SKIP_4) | instid1(VALU_DEP_2)
	v_cmp_lt_u32_e32 vcc_lo, 28, v7
	s_or_b32 s3, vcc_lo, s3
	s_waitcnt vmcnt(0) lgkmcnt(0)
	v_mul_f64 v[10:11], v[21:22], v[17:18]
	v_mul_f64 v[17:18], v[19:20], v[17:18]
	v_fma_f64 v[10:11], v[19:20], v[15:16], -v[10:11]
	s_delay_alu instid0(VALU_DEP_2) | instskip(NEXT) | instid1(VALU_DEP_2)
	v_fma_f64 v[15:16], v[21:22], v[15:16], v[17:18]
	v_add_f64 v[3:4], v[3:4], v[10:11]
	s_delay_alu instid0(VALU_DEP_2)
	v_add_f64 v[1:2], v[1:2], v[15:16]
	s_and_not1_b32 exec_lo, exec_lo, s3
	s_cbranch_execnz .LBB120_133
; %bb.134:
	s_or_b32 exec_lo, exec_lo, s3
	v_mov_b32_e32 v7, 0
	ds_load_b128 v[7:10], v7 offset:480
	s_waitcnt lgkmcnt(0)
	v_mul_f64 v[11:12], v[1:2], v[9:10]
	v_mul_f64 v[15:16], v[3:4], v[9:10]
	s_delay_alu instid0(VALU_DEP_2) | instskip(NEXT) | instid1(VALU_DEP_2)
	v_fma_f64 v[9:10], v[3:4], v[7:8], -v[11:12]
	v_fma_f64 v[11:12], v[1:2], v[7:8], v[15:16]
	scratch_store_b128 off, v[9:12], off offset:480
.LBB120_135:
	s_or_b32 exec_lo, exec_lo, s2
	s_waitcnt_vscnt null, 0x0
	s_barrier
	buffer_gl0_inv
	scratch_load_b128 v[1:4], v227, off
	s_mov_b32 s2, exec_lo
	s_waitcnt vmcnt(0)
	ds_store_b128 v5, v[1:4]
	s_waitcnt lgkmcnt(0)
	s_barrier
	buffer_gl0_inv
	v_cmpx_gt_u32_e32 31, v156
	s_cbranch_execz .LBB120_139
; %bb.136:
	v_dual_mov_b32 v1, 0 :: v_dual_add_nc_u32 v8, 0x390, v13
	v_dual_mov_b32 v2, 0 :: v_dual_add_nc_u32 v7, -1, v156
	v_or_b32_e32 v9, 8, v14
	s_mov_b32 s3, 0
	s_delay_alu instid0(VALU_DEP_2)
	v_dual_mov_b32 v4, v2 :: v_dual_mov_b32 v3, v1
	.p2align	6
.LBB120_137:                            ; =>This Inner Loop Header: Depth=1
	scratch_load_b128 v[15:18], v9, off offset:-8
	ds_load_b128 v[19:22], v8
	v_add_nc_u32_e32 v7, 1, v7
	v_add_nc_u32_e32 v8, 16, v8
	;; [unrolled: 1-line block ×3, first 2 shown]
	s_delay_alu instid0(VALU_DEP_3) | instskip(SKIP_4) | instid1(VALU_DEP_2)
	v_cmp_lt_u32_e32 vcc_lo, 29, v7
	s_or_b32 s3, vcc_lo, s3
	s_waitcnt vmcnt(0) lgkmcnt(0)
	v_mul_f64 v[10:11], v[21:22], v[17:18]
	v_mul_f64 v[17:18], v[19:20], v[17:18]
	v_fma_f64 v[10:11], v[19:20], v[15:16], -v[10:11]
	s_delay_alu instid0(VALU_DEP_2) | instskip(NEXT) | instid1(VALU_DEP_2)
	v_fma_f64 v[15:16], v[21:22], v[15:16], v[17:18]
	v_add_f64 v[3:4], v[3:4], v[10:11]
	s_delay_alu instid0(VALU_DEP_2)
	v_add_f64 v[1:2], v[1:2], v[15:16]
	s_and_not1_b32 exec_lo, exec_lo, s3
	s_cbranch_execnz .LBB120_137
; %bb.138:
	s_or_b32 exec_lo, exec_lo, s3
	v_mov_b32_e32 v7, 0
	ds_load_b128 v[7:10], v7 offset:496
	s_waitcnt lgkmcnt(0)
	v_mul_f64 v[11:12], v[1:2], v[9:10]
	v_mul_f64 v[15:16], v[3:4], v[9:10]
	s_delay_alu instid0(VALU_DEP_2) | instskip(NEXT) | instid1(VALU_DEP_2)
	v_fma_f64 v[9:10], v[3:4], v[7:8], -v[11:12]
	v_fma_f64 v[11:12], v[1:2], v[7:8], v[15:16]
	scratch_store_b128 off, v[9:12], off offset:496
.LBB120_139:
	s_or_b32 exec_lo, exec_lo, s2
	s_waitcnt_vscnt null, 0x0
	s_barrier
	buffer_gl0_inv
	scratch_load_b128 v[1:4], v226, off
	s_mov_b32 s2, exec_lo
	s_waitcnt vmcnt(0)
	ds_store_b128 v5, v[1:4]
	s_waitcnt lgkmcnt(0)
	s_barrier
	buffer_gl0_inv
	v_cmpx_gt_u32_e32 32, v156
	s_cbranch_execz .LBB120_143
; %bb.140:
	v_dual_mov_b32 v1, 0 :: v_dual_add_nc_u32 v8, 0x390, v13
	v_dual_mov_b32 v2, 0 :: v_dual_add_nc_u32 v7, -1, v156
	v_or_b32_e32 v9, 8, v14
	s_mov_b32 s3, 0
	s_delay_alu instid0(VALU_DEP_2)
	v_dual_mov_b32 v4, v2 :: v_dual_mov_b32 v3, v1
	.p2align	6
.LBB120_141:                            ; =>This Inner Loop Header: Depth=1
	scratch_load_b128 v[15:18], v9, off offset:-8
	ds_load_b128 v[19:22], v8
	v_add_nc_u32_e32 v7, 1, v7
	v_add_nc_u32_e32 v8, 16, v8
	;; [unrolled: 1-line block ×3, first 2 shown]
	s_delay_alu instid0(VALU_DEP_3) | instskip(SKIP_4) | instid1(VALU_DEP_2)
	v_cmp_lt_u32_e32 vcc_lo, 30, v7
	s_or_b32 s3, vcc_lo, s3
	s_waitcnt vmcnt(0) lgkmcnt(0)
	v_mul_f64 v[10:11], v[21:22], v[17:18]
	v_mul_f64 v[17:18], v[19:20], v[17:18]
	v_fma_f64 v[10:11], v[19:20], v[15:16], -v[10:11]
	s_delay_alu instid0(VALU_DEP_2) | instskip(NEXT) | instid1(VALU_DEP_2)
	v_fma_f64 v[15:16], v[21:22], v[15:16], v[17:18]
	v_add_f64 v[3:4], v[3:4], v[10:11]
	s_delay_alu instid0(VALU_DEP_2)
	v_add_f64 v[1:2], v[1:2], v[15:16]
	s_and_not1_b32 exec_lo, exec_lo, s3
	s_cbranch_execnz .LBB120_141
; %bb.142:
	s_or_b32 exec_lo, exec_lo, s3
	v_mov_b32_e32 v7, 0
	ds_load_b128 v[7:10], v7 offset:512
	s_waitcnt lgkmcnt(0)
	v_mul_f64 v[11:12], v[1:2], v[9:10]
	v_mul_f64 v[15:16], v[3:4], v[9:10]
	s_delay_alu instid0(VALU_DEP_2) | instskip(NEXT) | instid1(VALU_DEP_2)
	v_fma_f64 v[9:10], v[3:4], v[7:8], -v[11:12]
	v_fma_f64 v[11:12], v[1:2], v[7:8], v[15:16]
	scratch_store_b128 off, v[9:12], off offset:512
.LBB120_143:
	s_or_b32 exec_lo, exec_lo, s2
	s_waitcnt_vscnt null, 0x0
	s_barrier
	buffer_gl0_inv
	scratch_load_b128 v[1:4], v225, off
	s_mov_b32 s2, exec_lo
	s_waitcnt vmcnt(0)
	ds_store_b128 v5, v[1:4]
	s_waitcnt lgkmcnt(0)
	s_barrier
	buffer_gl0_inv
	v_cmpx_gt_u32_e32 33, v156
	s_cbranch_execz .LBB120_147
; %bb.144:
	v_dual_mov_b32 v1, 0 :: v_dual_add_nc_u32 v8, 0x390, v13
	v_dual_mov_b32 v2, 0 :: v_dual_add_nc_u32 v7, -1, v156
	v_or_b32_e32 v9, 8, v14
	s_mov_b32 s3, 0
	s_delay_alu instid0(VALU_DEP_2)
	v_dual_mov_b32 v4, v2 :: v_dual_mov_b32 v3, v1
	.p2align	6
.LBB120_145:                            ; =>This Inner Loop Header: Depth=1
	scratch_load_b128 v[15:18], v9, off offset:-8
	ds_load_b128 v[19:22], v8
	v_add_nc_u32_e32 v7, 1, v7
	v_add_nc_u32_e32 v8, 16, v8
	;; [unrolled: 1-line block ×3, first 2 shown]
	s_delay_alu instid0(VALU_DEP_3) | instskip(SKIP_4) | instid1(VALU_DEP_2)
	v_cmp_lt_u32_e32 vcc_lo, 31, v7
	s_or_b32 s3, vcc_lo, s3
	s_waitcnt vmcnt(0) lgkmcnt(0)
	v_mul_f64 v[10:11], v[21:22], v[17:18]
	v_mul_f64 v[17:18], v[19:20], v[17:18]
	v_fma_f64 v[10:11], v[19:20], v[15:16], -v[10:11]
	s_delay_alu instid0(VALU_DEP_2) | instskip(NEXT) | instid1(VALU_DEP_2)
	v_fma_f64 v[15:16], v[21:22], v[15:16], v[17:18]
	v_add_f64 v[3:4], v[3:4], v[10:11]
	s_delay_alu instid0(VALU_DEP_2)
	v_add_f64 v[1:2], v[1:2], v[15:16]
	s_and_not1_b32 exec_lo, exec_lo, s3
	s_cbranch_execnz .LBB120_145
; %bb.146:
	s_or_b32 exec_lo, exec_lo, s3
	v_mov_b32_e32 v7, 0
	ds_load_b128 v[7:10], v7 offset:528
	s_waitcnt lgkmcnt(0)
	v_mul_f64 v[11:12], v[1:2], v[9:10]
	v_mul_f64 v[15:16], v[3:4], v[9:10]
	s_delay_alu instid0(VALU_DEP_2) | instskip(NEXT) | instid1(VALU_DEP_2)
	v_fma_f64 v[9:10], v[3:4], v[7:8], -v[11:12]
	v_fma_f64 v[11:12], v[1:2], v[7:8], v[15:16]
	scratch_store_b128 off, v[9:12], off offset:528
.LBB120_147:
	s_or_b32 exec_lo, exec_lo, s2
	s_waitcnt_vscnt null, 0x0
	s_barrier
	buffer_gl0_inv
	scratch_load_b128 v[1:4], v224, off
	s_mov_b32 s2, exec_lo
	s_waitcnt vmcnt(0)
	ds_store_b128 v5, v[1:4]
	s_waitcnt lgkmcnt(0)
	s_barrier
	buffer_gl0_inv
	v_cmpx_gt_u32_e32 34, v156
	s_cbranch_execz .LBB120_151
; %bb.148:
	v_dual_mov_b32 v1, 0 :: v_dual_add_nc_u32 v8, 0x390, v13
	v_dual_mov_b32 v2, 0 :: v_dual_add_nc_u32 v7, -1, v156
	v_or_b32_e32 v9, 8, v14
	s_mov_b32 s3, 0
	s_delay_alu instid0(VALU_DEP_2)
	v_dual_mov_b32 v4, v2 :: v_dual_mov_b32 v3, v1
	.p2align	6
.LBB120_149:                            ; =>This Inner Loop Header: Depth=1
	scratch_load_b128 v[15:18], v9, off offset:-8
	ds_load_b128 v[19:22], v8
	v_add_nc_u32_e32 v7, 1, v7
	v_add_nc_u32_e32 v8, 16, v8
	;; [unrolled: 1-line block ×3, first 2 shown]
	s_delay_alu instid0(VALU_DEP_3) | instskip(SKIP_4) | instid1(VALU_DEP_2)
	v_cmp_lt_u32_e32 vcc_lo, 32, v7
	s_or_b32 s3, vcc_lo, s3
	s_waitcnt vmcnt(0) lgkmcnt(0)
	v_mul_f64 v[10:11], v[21:22], v[17:18]
	v_mul_f64 v[17:18], v[19:20], v[17:18]
	v_fma_f64 v[10:11], v[19:20], v[15:16], -v[10:11]
	s_delay_alu instid0(VALU_DEP_2) | instskip(NEXT) | instid1(VALU_DEP_2)
	v_fma_f64 v[15:16], v[21:22], v[15:16], v[17:18]
	v_add_f64 v[3:4], v[3:4], v[10:11]
	s_delay_alu instid0(VALU_DEP_2)
	v_add_f64 v[1:2], v[1:2], v[15:16]
	s_and_not1_b32 exec_lo, exec_lo, s3
	s_cbranch_execnz .LBB120_149
; %bb.150:
	s_or_b32 exec_lo, exec_lo, s3
	v_mov_b32_e32 v7, 0
	ds_load_b128 v[7:10], v7 offset:544
	s_waitcnt lgkmcnt(0)
	v_mul_f64 v[11:12], v[1:2], v[9:10]
	v_mul_f64 v[15:16], v[3:4], v[9:10]
	s_delay_alu instid0(VALU_DEP_2) | instskip(NEXT) | instid1(VALU_DEP_2)
	v_fma_f64 v[9:10], v[3:4], v[7:8], -v[11:12]
	v_fma_f64 v[11:12], v[1:2], v[7:8], v[15:16]
	scratch_store_b128 off, v[9:12], off offset:544
.LBB120_151:
	s_or_b32 exec_lo, exec_lo, s2
	s_waitcnt_vscnt null, 0x0
	s_barrier
	buffer_gl0_inv
	scratch_load_b128 v[1:4], v223, off
	s_mov_b32 s2, exec_lo
	s_waitcnt vmcnt(0)
	ds_store_b128 v5, v[1:4]
	s_waitcnt lgkmcnt(0)
	s_barrier
	buffer_gl0_inv
	v_cmpx_gt_u32_e32 35, v156
	s_cbranch_execz .LBB120_155
; %bb.152:
	v_dual_mov_b32 v1, 0 :: v_dual_add_nc_u32 v8, 0x390, v13
	v_dual_mov_b32 v2, 0 :: v_dual_add_nc_u32 v7, -1, v156
	v_or_b32_e32 v9, 8, v14
	s_mov_b32 s3, 0
	s_delay_alu instid0(VALU_DEP_2)
	v_dual_mov_b32 v4, v2 :: v_dual_mov_b32 v3, v1
	.p2align	6
.LBB120_153:                            ; =>This Inner Loop Header: Depth=1
	scratch_load_b128 v[15:18], v9, off offset:-8
	ds_load_b128 v[19:22], v8
	v_add_nc_u32_e32 v7, 1, v7
	v_add_nc_u32_e32 v8, 16, v8
	;; [unrolled: 1-line block ×3, first 2 shown]
	s_delay_alu instid0(VALU_DEP_3) | instskip(SKIP_4) | instid1(VALU_DEP_2)
	v_cmp_lt_u32_e32 vcc_lo, 33, v7
	s_or_b32 s3, vcc_lo, s3
	s_waitcnt vmcnt(0) lgkmcnt(0)
	v_mul_f64 v[10:11], v[21:22], v[17:18]
	v_mul_f64 v[17:18], v[19:20], v[17:18]
	v_fma_f64 v[10:11], v[19:20], v[15:16], -v[10:11]
	s_delay_alu instid0(VALU_DEP_2) | instskip(NEXT) | instid1(VALU_DEP_2)
	v_fma_f64 v[15:16], v[21:22], v[15:16], v[17:18]
	v_add_f64 v[3:4], v[3:4], v[10:11]
	s_delay_alu instid0(VALU_DEP_2)
	v_add_f64 v[1:2], v[1:2], v[15:16]
	s_and_not1_b32 exec_lo, exec_lo, s3
	s_cbranch_execnz .LBB120_153
; %bb.154:
	s_or_b32 exec_lo, exec_lo, s3
	v_mov_b32_e32 v7, 0
	ds_load_b128 v[7:10], v7 offset:560
	s_waitcnt lgkmcnt(0)
	v_mul_f64 v[11:12], v[1:2], v[9:10]
	v_mul_f64 v[15:16], v[3:4], v[9:10]
	s_delay_alu instid0(VALU_DEP_2) | instskip(NEXT) | instid1(VALU_DEP_2)
	v_fma_f64 v[9:10], v[3:4], v[7:8], -v[11:12]
	v_fma_f64 v[11:12], v[1:2], v[7:8], v[15:16]
	scratch_store_b128 off, v[9:12], off offset:560
.LBB120_155:
	s_or_b32 exec_lo, exec_lo, s2
	s_waitcnt_vscnt null, 0x0
	s_barrier
	buffer_gl0_inv
	scratch_load_b128 v[1:4], v222, off
	s_mov_b32 s2, exec_lo
	s_waitcnt vmcnt(0)
	ds_store_b128 v5, v[1:4]
	s_waitcnt lgkmcnt(0)
	s_barrier
	buffer_gl0_inv
	v_cmpx_gt_u32_e32 36, v156
	s_cbranch_execz .LBB120_159
; %bb.156:
	v_dual_mov_b32 v1, 0 :: v_dual_add_nc_u32 v8, 0x390, v13
	v_dual_mov_b32 v2, 0 :: v_dual_add_nc_u32 v7, -1, v156
	v_or_b32_e32 v9, 8, v14
	s_mov_b32 s3, 0
	s_delay_alu instid0(VALU_DEP_2)
	v_dual_mov_b32 v4, v2 :: v_dual_mov_b32 v3, v1
	.p2align	6
.LBB120_157:                            ; =>This Inner Loop Header: Depth=1
	scratch_load_b128 v[15:18], v9, off offset:-8
	ds_load_b128 v[19:22], v8
	v_add_nc_u32_e32 v7, 1, v7
	v_add_nc_u32_e32 v8, 16, v8
	;; [unrolled: 1-line block ×3, first 2 shown]
	s_delay_alu instid0(VALU_DEP_3) | instskip(SKIP_4) | instid1(VALU_DEP_2)
	v_cmp_lt_u32_e32 vcc_lo, 34, v7
	s_or_b32 s3, vcc_lo, s3
	s_waitcnt vmcnt(0) lgkmcnt(0)
	v_mul_f64 v[10:11], v[21:22], v[17:18]
	v_mul_f64 v[17:18], v[19:20], v[17:18]
	v_fma_f64 v[10:11], v[19:20], v[15:16], -v[10:11]
	s_delay_alu instid0(VALU_DEP_2) | instskip(NEXT) | instid1(VALU_DEP_2)
	v_fma_f64 v[15:16], v[21:22], v[15:16], v[17:18]
	v_add_f64 v[3:4], v[3:4], v[10:11]
	s_delay_alu instid0(VALU_DEP_2)
	v_add_f64 v[1:2], v[1:2], v[15:16]
	s_and_not1_b32 exec_lo, exec_lo, s3
	s_cbranch_execnz .LBB120_157
; %bb.158:
	s_or_b32 exec_lo, exec_lo, s3
	v_mov_b32_e32 v7, 0
	ds_load_b128 v[7:10], v7 offset:576
	s_waitcnt lgkmcnt(0)
	v_mul_f64 v[11:12], v[1:2], v[9:10]
	v_mul_f64 v[15:16], v[3:4], v[9:10]
	s_delay_alu instid0(VALU_DEP_2) | instskip(NEXT) | instid1(VALU_DEP_2)
	v_fma_f64 v[9:10], v[3:4], v[7:8], -v[11:12]
	v_fma_f64 v[11:12], v[1:2], v[7:8], v[15:16]
	scratch_store_b128 off, v[9:12], off offset:576
.LBB120_159:
	s_or_b32 exec_lo, exec_lo, s2
	s_waitcnt_vscnt null, 0x0
	s_barrier
	buffer_gl0_inv
	scratch_load_b128 v[1:4], v221, off
	s_mov_b32 s2, exec_lo
	s_waitcnt vmcnt(0)
	ds_store_b128 v5, v[1:4]
	s_waitcnt lgkmcnt(0)
	s_barrier
	buffer_gl0_inv
	v_cmpx_gt_u32_e32 37, v156
	s_cbranch_execz .LBB120_163
; %bb.160:
	v_dual_mov_b32 v1, 0 :: v_dual_add_nc_u32 v8, 0x390, v13
	v_dual_mov_b32 v2, 0 :: v_dual_add_nc_u32 v7, -1, v156
	v_or_b32_e32 v9, 8, v14
	s_mov_b32 s3, 0
	s_delay_alu instid0(VALU_DEP_2)
	v_dual_mov_b32 v4, v2 :: v_dual_mov_b32 v3, v1
	.p2align	6
.LBB120_161:                            ; =>This Inner Loop Header: Depth=1
	scratch_load_b128 v[15:18], v9, off offset:-8
	ds_load_b128 v[19:22], v8
	v_add_nc_u32_e32 v7, 1, v7
	v_add_nc_u32_e32 v8, 16, v8
	;; [unrolled: 1-line block ×3, first 2 shown]
	s_delay_alu instid0(VALU_DEP_3) | instskip(SKIP_4) | instid1(VALU_DEP_2)
	v_cmp_lt_u32_e32 vcc_lo, 35, v7
	s_or_b32 s3, vcc_lo, s3
	s_waitcnt vmcnt(0) lgkmcnt(0)
	v_mul_f64 v[10:11], v[21:22], v[17:18]
	v_mul_f64 v[17:18], v[19:20], v[17:18]
	v_fma_f64 v[10:11], v[19:20], v[15:16], -v[10:11]
	s_delay_alu instid0(VALU_DEP_2) | instskip(NEXT) | instid1(VALU_DEP_2)
	v_fma_f64 v[15:16], v[21:22], v[15:16], v[17:18]
	v_add_f64 v[3:4], v[3:4], v[10:11]
	s_delay_alu instid0(VALU_DEP_2)
	v_add_f64 v[1:2], v[1:2], v[15:16]
	s_and_not1_b32 exec_lo, exec_lo, s3
	s_cbranch_execnz .LBB120_161
; %bb.162:
	s_or_b32 exec_lo, exec_lo, s3
	v_mov_b32_e32 v7, 0
	ds_load_b128 v[7:10], v7 offset:592
	s_waitcnt lgkmcnt(0)
	v_mul_f64 v[11:12], v[1:2], v[9:10]
	v_mul_f64 v[15:16], v[3:4], v[9:10]
	s_delay_alu instid0(VALU_DEP_2) | instskip(NEXT) | instid1(VALU_DEP_2)
	v_fma_f64 v[9:10], v[3:4], v[7:8], -v[11:12]
	v_fma_f64 v[11:12], v[1:2], v[7:8], v[15:16]
	scratch_store_b128 off, v[9:12], off offset:592
.LBB120_163:
	s_or_b32 exec_lo, exec_lo, s2
	s_waitcnt_vscnt null, 0x0
	s_barrier
	buffer_gl0_inv
	scratch_load_b128 v[1:4], v220, off
	s_mov_b32 s2, exec_lo
	s_waitcnt vmcnt(0)
	ds_store_b128 v5, v[1:4]
	s_waitcnt lgkmcnt(0)
	s_barrier
	buffer_gl0_inv
	v_cmpx_gt_u32_e32 38, v156
	s_cbranch_execz .LBB120_167
; %bb.164:
	v_dual_mov_b32 v1, 0 :: v_dual_add_nc_u32 v8, 0x390, v13
	v_dual_mov_b32 v2, 0 :: v_dual_add_nc_u32 v7, -1, v156
	v_or_b32_e32 v9, 8, v14
	s_mov_b32 s3, 0
	s_delay_alu instid0(VALU_DEP_2)
	v_dual_mov_b32 v4, v2 :: v_dual_mov_b32 v3, v1
	.p2align	6
.LBB120_165:                            ; =>This Inner Loop Header: Depth=1
	scratch_load_b128 v[15:18], v9, off offset:-8
	ds_load_b128 v[19:22], v8
	v_add_nc_u32_e32 v7, 1, v7
	v_add_nc_u32_e32 v8, 16, v8
	;; [unrolled: 1-line block ×3, first 2 shown]
	s_delay_alu instid0(VALU_DEP_3) | instskip(SKIP_4) | instid1(VALU_DEP_2)
	v_cmp_lt_u32_e32 vcc_lo, 36, v7
	s_or_b32 s3, vcc_lo, s3
	s_waitcnt vmcnt(0) lgkmcnt(0)
	v_mul_f64 v[10:11], v[21:22], v[17:18]
	v_mul_f64 v[17:18], v[19:20], v[17:18]
	v_fma_f64 v[10:11], v[19:20], v[15:16], -v[10:11]
	s_delay_alu instid0(VALU_DEP_2) | instskip(NEXT) | instid1(VALU_DEP_2)
	v_fma_f64 v[15:16], v[21:22], v[15:16], v[17:18]
	v_add_f64 v[3:4], v[3:4], v[10:11]
	s_delay_alu instid0(VALU_DEP_2)
	v_add_f64 v[1:2], v[1:2], v[15:16]
	s_and_not1_b32 exec_lo, exec_lo, s3
	s_cbranch_execnz .LBB120_165
; %bb.166:
	s_or_b32 exec_lo, exec_lo, s3
	v_mov_b32_e32 v7, 0
	ds_load_b128 v[7:10], v7 offset:608
	s_waitcnt lgkmcnt(0)
	v_mul_f64 v[11:12], v[1:2], v[9:10]
	v_mul_f64 v[15:16], v[3:4], v[9:10]
	s_delay_alu instid0(VALU_DEP_2) | instskip(NEXT) | instid1(VALU_DEP_2)
	v_fma_f64 v[9:10], v[3:4], v[7:8], -v[11:12]
	v_fma_f64 v[11:12], v[1:2], v[7:8], v[15:16]
	scratch_store_b128 off, v[9:12], off offset:608
.LBB120_167:
	s_or_b32 exec_lo, exec_lo, s2
	s_waitcnt_vscnt null, 0x0
	s_barrier
	buffer_gl0_inv
	scratch_load_b128 v[1:4], v219, off
	s_mov_b32 s2, exec_lo
	s_waitcnt vmcnt(0)
	ds_store_b128 v5, v[1:4]
	s_waitcnt lgkmcnt(0)
	s_barrier
	buffer_gl0_inv
	v_cmpx_gt_u32_e32 39, v156
	s_cbranch_execz .LBB120_171
; %bb.168:
	v_dual_mov_b32 v1, 0 :: v_dual_add_nc_u32 v8, 0x390, v13
	v_dual_mov_b32 v2, 0 :: v_dual_add_nc_u32 v7, -1, v156
	v_or_b32_e32 v9, 8, v14
	s_mov_b32 s3, 0
	s_delay_alu instid0(VALU_DEP_2)
	v_dual_mov_b32 v4, v2 :: v_dual_mov_b32 v3, v1
	.p2align	6
.LBB120_169:                            ; =>This Inner Loop Header: Depth=1
	scratch_load_b128 v[15:18], v9, off offset:-8
	ds_load_b128 v[19:22], v8
	v_add_nc_u32_e32 v7, 1, v7
	v_add_nc_u32_e32 v8, 16, v8
	;; [unrolled: 1-line block ×3, first 2 shown]
	s_delay_alu instid0(VALU_DEP_3) | instskip(SKIP_4) | instid1(VALU_DEP_2)
	v_cmp_lt_u32_e32 vcc_lo, 37, v7
	s_or_b32 s3, vcc_lo, s3
	s_waitcnt vmcnt(0) lgkmcnt(0)
	v_mul_f64 v[10:11], v[21:22], v[17:18]
	v_mul_f64 v[17:18], v[19:20], v[17:18]
	v_fma_f64 v[10:11], v[19:20], v[15:16], -v[10:11]
	s_delay_alu instid0(VALU_DEP_2) | instskip(NEXT) | instid1(VALU_DEP_2)
	v_fma_f64 v[15:16], v[21:22], v[15:16], v[17:18]
	v_add_f64 v[3:4], v[3:4], v[10:11]
	s_delay_alu instid0(VALU_DEP_2)
	v_add_f64 v[1:2], v[1:2], v[15:16]
	s_and_not1_b32 exec_lo, exec_lo, s3
	s_cbranch_execnz .LBB120_169
; %bb.170:
	s_or_b32 exec_lo, exec_lo, s3
	v_mov_b32_e32 v7, 0
	ds_load_b128 v[7:10], v7 offset:624
	s_waitcnt lgkmcnt(0)
	v_mul_f64 v[11:12], v[1:2], v[9:10]
	v_mul_f64 v[15:16], v[3:4], v[9:10]
	s_delay_alu instid0(VALU_DEP_2) | instskip(NEXT) | instid1(VALU_DEP_2)
	v_fma_f64 v[9:10], v[3:4], v[7:8], -v[11:12]
	v_fma_f64 v[11:12], v[1:2], v[7:8], v[15:16]
	scratch_store_b128 off, v[9:12], off offset:624
.LBB120_171:
	s_or_b32 exec_lo, exec_lo, s2
	s_waitcnt_vscnt null, 0x0
	s_barrier
	buffer_gl0_inv
	scratch_load_b128 v[1:4], v218, off
	s_mov_b32 s2, exec_lo
	s_waitcnt vmcnt(0)
	ds_store_b128 v5, v[1:4]
	s_waitcnt lgkmcnt(0)
	s_barrier
	buffer_gl0_inv
	v_cmpx_gt_u32_e32 40, v156
	s_cbranch_execz .LBB120_175
; %bb.172:
	v_dual_mov_b32 v1, 0 :: v_dual_add_nc_u32 v8, 0x390, v13
	v_dual_mov_b32 v2, 0 :: v_dual_add_nc_u32 v7, -1, v156
	v_or_b32_e32 v9, 8, v14
	s_mov_b32 s3, 0
	s_delay_alu instid0(VALU_DEP_2)
	v_dual_mov_b32 v4, v2 :: v_dual_mov_b32 v3, v1
	.p2align	6
.LBB120_173:                            ; =>This Inner Loop Header: Depth=1
	scratch_load_b128 v[15:18], v9, off offset:-8
	ds_load_b128 v[19:22], v8
	v_add_nc_u32_e32 v7, 1, v7
	v_add_nc_u32_e32 v8, 16, v8
	;; [unrolled: 1-line block ×3, first 2 shown]
	s_delay_alu instid0(VALU_DEP_3) | instskip(SKIP_4) | instid1(VALU_DEP_2)
	v_cmp_lt_u32_e32 vcc_lo, 38, v7
	s_or_b32 s3, vcc_lo, s3
	s_waitcnt vmcnt(0) lgkmcnt(0)
	v_mul_f64 v[10:11], v[21:22], v[17:18]
	v_mul_f64 v[17:18], v[19:20], v[17:18]
	v_fma_f64 v[10:11], v[19:20], v[15:16], -v[10:11]
	s_delay_alu instid0(VALU_DEP_2) | instskip(NEXT) | instid1(VALU_DEP_2)
	v_fma_f64 v[15:16], v[21:22], v[15:16], v[17:18]
	v_add_f64 v[3:4], v[3:4], v[10:11]
	s_delay_alu instid0(VALU_DEP_2)
	v_add_f64 v[1:2], v[1:2], v[15:16]
	s_and_not1_b32 exec_lo, exec_lo, s3
	s_cbranch_execnz .LBB120_173
; %bb.174:
	s_or_b32 exec_lo, exec_lo, s3
	v_mov_b32_e32 v7, 0
	ds_load_b128 v[7:10], v7 offset:640
	s_waitcnt lgkmcnt(0)
	v_mul_f64 v[11:12], v[1:2], v[9:10]
	v_mul_f64 v[15:16], v[3:4], v[9:10]
	s_delay_alu instid0(VALU_DEP_2) | instskip(NEXT) | instid1(VALU_DEP_2)
	v_fma_f64 v[9:10], v[3:4], v[7:8], -v[11:12]
	v_fma_f64 v[11:12], v[1:2], v[7:8], v[15:16]
	scratch_store_b128 off, v[9:12], off offset:640
.LBB120_175:
	s_or_b32 exec_lo, exec_lo, s2
	s_waitcnt_vscnt null, 0x0
	s_barrier
	buffer_gl0_inv
	scratch_load_b128 v[1:4], v217, off
	s_mov_b32 s2, exec_lo
	s_waitcnt vmcnt(0)
	ds_store_b128 v5, v[1:4]
	s_waitcnt lgkmcnt(0)
	s_barrier
	buffer_gl0_inv
	v_cmpx_gt_u32_e32 41, v156
	s_cbranch_execz .LBB120_179
; %bb.176:
	v_dual_mov_b32 v1, 0 :: v_dual_add_nc_u32 v8, 0x390, v13
	v_dual_mov_b32 v2, 0 :: v_dual_add_nc_u32 v7, -1, v156
	v_or_b32_e32 v9, 8, v14
	s_mov_b32 s3, 0
	s_delay_alu instid0(VALU_DEP_2)
	v_dual_mov_b32 v4, v2 :: v_dual_mov_b32 v3, v1
	.p2align	6
.LBB120_177:                            ; =>This Inner Loop Header: Depth=1
	scratch_load_b128 v[15:18], v9, off offset:-8
	ds_load_b128 v[19:22], v8
	v_add_nc_u32_e32 v7, 1, v7
	v_add_nc_u32_e32 v8, 16, v8
	;; [unrolled: 1-line block ×3, first 2 shown]
	s_delay_alu instid0(VALU_DEP_3) | instskip(SKIP_4) | instid1(VALU_DEP_2)
	v_cmp_lt_u32_e32 vcc_lo, 39, v7
	s_or_b32 s3, vcc_lo, s3
	s_waitcnt vmcnt(0) lgkmcnt(0)
	v_mul_f64 v[10:11], v[21:22], v[17:18]
	v_mul_f64 v[17:18], v[19:20], v[17:18]
	v_fma_f64 v[10:11], v[19:20], v[15:16], -v[10:11]
	s_delay_alu instid0(VALU_DEP_2) | instskip(NEXT) | instid1(VALU_DEP_2)
	v_fma_f64 v[15:16], v[21:22], v[15:16], v[17:18]
	v_add_f64 v[3:4], v[3:4], v[10:11]
	s_delay_alu instid0(VALU_DEP_2)
	v_add_f64 v[1:2], v[1:2], v[15:16]
	s_and_not1_b32 exec_lo, exec_lo, s3
	s_cbranch_execnz .LBB120_177
; %bb.178:
	s_or_b32 exec_lo, exec_lo, s3
	v_mov_b32_e32 v7, 0
	ds_load_b128 v[7:10], v7 offset:656
	s_waitcnt lgkmcnt(0)
	v_mul_f64 v[11:12], v[1:2], v[9:10]
	v_mul_f64 v[15:16], v[3:4], v[9:10]
	s_delay_alu instid0(VALU_DEP_2) | instskip(NEXT) | instid1(VALU_DEP_2)
	v_fma_f64 v[9:10], v[3:4], v[7:8], -v[11:12]
	v_fma_f64 v[11:12], v[1:2], v[7:8], v[15:16]
	scratch_store_b128 off, v[9:12], off offset:656
.LBB120_179:
	s_or_b32 exec_lo, exec_lo, s2
	s_waitcnt_vscnt null, 0x0
	s_barrier
	buffer_gl0_inv
	scratch_load_b128 v[1:4], v216, off
	s_mov_b32 s2, exec_lo
	s_waitcnt vmcnt(0)
	ds_store_b128 v5, v[1:4]
	s_waitcnt lgkmcnt(0)
	s_barrier
	buffer_gl0_inv
	v_cmpx_gt_u32_e32 42, v156
	s_cbranch_execz .LBB120_183
; %bb.180:
	v_dual_mov_b32 v1, 0 :: v_dual_add_nc_u32 v8, 0x390, v13
	v_dual_mov_b32 v2, 0 :: v_dual_add_nc_u32 v7, -1, v156
	v_or_b32_e32 v9, 8, v14
	s_mov_b32 s3, 0
	s_delay_alu instid0(VALU_DEP_2)
	v_dual_mov_b32 v4, v2 :: v_dual_mov_b32 v3, v1
	.p2align	6
.LBB120_181:                            ; =>This Inner Loop Header: Depth=1
	scratch_load_b128 v[15:18], v9, off offset:-8
	ds_load_b128 v[19:22], v8
	v_add_nc_u32_e32 v7, 1, v7
	v_add_nc_u32_e32 v8, 16, v8
	;; [unrolled: 1-line block ×3, first 2 shown]
	s_delay_alu instid0(VALU_DEP_3) | instskip(SKIP_4) | instid1(VALU_DEP_2)
	v_cmp_lt_u32_e32 vcc_lo, 40, v7
	s_or_b32 s3, vcc_lo, s3
	s_waitcnt vmcnt(0) lgkmcnt(0)
	v_mul_f64 v[10:11], v[21:22], v[17:18]
	v_mul_f64 v[17:18], v[19:20], v[17:18]
	v_fma_f64 v[10:11], v[19:20], v[15:16], -v[10:11]
	s_delay_alu instid0(VALU_DEP_2) | instskip(NEXT) | instid1(VALU_DEP_2)
	v_fma_f64 v[15:16], v[21:22], v[15:16], v[17:18]
	v_add_f64 v[3:4], v[3:4], v[10:11]
	s_delay_alu instid0(VALU_DEP_2)
	v_add_f64 v[1:2], v[1:2], v[15:16]
	s_and_not1_b32 exec_lo, exec_lo, s3
	s_cbranch_execnz .LBB120_181
; %bb.182:
	s_or_b32 exec_lo, exec_lo, s3
	v_mov_b32_e32 v7, 0
	ds_load_b128 v[7:10], v7 offset:672
	s_waitcnt lgkmcnt(0)
	v_mul_f64 v[11:12], v[1:2], v[9:10]
	v_mul_f64 v[15:16], v[3:4], v[9:10]
	s_delay_alu instid0(VALU_DEP_2) | instskip(NEXT) | instid1(VALU_DEP_2)
	v_fma_f64 v[9:10], v[3:4], v[7:8], -v[11:12]
	v_fma_f64 v[11:12], v[1:2], v[7:8], v[15:16]
	scratch_store_b128 off, v[9:12], off offset:672
.LBB120_183:
	s_or_b32 exec_lo, exec_lo, s2
	s_waitcnt_vscnt null, 0x0
	s_barrier
	buffer_gl0_inv
	scratch_load_b128 v[1:4], v215, off
	s_mov_b32 s2, exec_lo
	s_waitcnt vmcnt(0)
	ds_store_b128 v5, v[1:4]
	s_waitcnt lgkmcnt(0)
	s_barrier
	buffer_gl0_inv
	v_cmpx_gt_u32_e32 43, v156
	s_cbranch_execz .LBB120_187
; %bb.184:
	v_dual_mov_b32 v1, 0 :: v_dual_add_nc_u32 v8, 0x390, v13
	v_dual_mov_b32 v2, 0 :: v_dual_add_nc_u32 v7, -1, v156
	v_or_b32_e32 v9, 8, v14
	s_mov_b32 s3, 0
	s_delay_alu instid0(VALU_DEP_2)
	v_dual_mov_b32 v4, v2 :: v_dual_mov_b32 v3, v1
	.p2align	6
.LBB120_185:                            ; =>This Inner Loop Header: Depth=1
	scratch_load_b128 v[15:18], v9, off offset:-8
	ds_load_b128 v[19:22], v8
	v_add_nc_u32_e32 v7, 1, v7
	v_add_nc_u32_e32 v8, 16, v8
	;; [unrolled: 1-line block ×3, first 2 shown]
	s_delay_alu instid0(VALU_DEP_3) | instskip(SKIP_4) | instid1(VALU_DEP_2)
	v_cmp_lt_u32_e32 vcc_lo, 41, v7
	s_or_b32 s3, vcc_lo, s3
	s_waitcnt vmcnt(0) lgkmcnt(0)
	v_mul_f64 v[10:11], v[21:22], v[17:18]
	v_mul_f64 v[17:18], v[19:20], v[17:18]
	v_fma_f64 v[10:11], v[19:20], v[15:16], -v[10:11]
	s_delay_alu instid0(VALU_DEP_2) | instskip(NEXT) | instid1(VALU_DEP_2)
	v_fma_f64 v[15:16], v[21:22], v[15:16], v[17:18]
	v_add_f64 v[3:4], v[3:4], v[10:11]
	s_delay_alu instid0(VALU_DEP_2)
	v_add_f64 v[1:2], v[1:2], v[15:16]
	s_and_not1_b32 exec_lo, exec_lo, s3
	s_cbranch_execnz .LBB120_185
; %bb.186:
	s_or_b32 exec_lo, exec_lo, s3
	v_mov_b32_e32 v7, 0
	ds_load_b128 v[7:10], v7 offset:688
	s_waitcnt lgkmcnt(0)
	v_mul_f64 v[11:12], v[1:2], v[9:10]
	v_mul_f64 v[15:16], v[3:4], v[9:10]
	s_delay_alu instid0(VALU_DEP_2) | instskip(NEXT) | instid1(VALU_DEP_2)
	v_fma_f64 v[9:10], v[3:4], v[7:8], -v[11:12]
	v_fma_f64 v[11:12], v[1:2], v[7:8], v[15:16]
	scratch_store_b128 off, v[9:12], off offset:688
.LBB120_187:
	s_or_b32 exec_lo, exec_lo, s2
	s_waitcnt_vscnt null, 0x0
	s_barrier
	buffer_gl0_inv
	scratch_load_b128 v[1:4], v235, off
	s_mov_b32 s2, exec_lo
	s_waitcnt vmcnt(0)
	ds_store_b128 v5, v[1:4]
	s_waitcnt lgkmcnt(0)
	s_barrier
	buffer_gl0_inv
	v_cmpx_gt_u32_e32 44, v156
	s_cbranch_execz .LBB120_191
; %bb.188:
	v_dual_mov_b32 v1, 0 :: v_dual_add_nc_u32 v8, 0x390, v13
	v_dual_mov_b32 v2, 0 :: v_dual_add_nc_u32 v7, -1, v156
	v_or_b32_e32 v9, 8, v14
	s_mov_b32 s3, 0
	s_delay_alu instid0(VALU_DEP_2)
	v_dual_mov_b32 v4, v2 :: v_dual_mov_b32 v3, v1
	.p2align	6
.LBB120_189:                            ; =>This Inner Loop Header: Depth=1
	scratch_load_b128 v[15:18], v9, off offset:-8
	ds_load_b128 v[19:22], v8
	v_add_nc_u32_e32 v7, 1, v7
	v_add_nc_u32_e32 v8, 16, v8
	;; [unrolled: 1-line block ×3, first 2 shown]
	s_delay_alu instid0(VALU_DEP_3) | instskip(SKIP_4) | instid1(VALU_DEP_2)
	v_cmp_lt_u32_e32 vcc_lo, 42, v7
	s_or_b32 s3, vcc_lo, s3
	s_waitcnt vmcnt(0) lgkmcnt(0)
	v_mul_f64 v[10:11], v[21:22], v[17:18]
	v_mul_f64 v[17:18], v[19:20], v[17:18]
	v_fma_f64 v[10:11], v[19:20], v[15:16], -v[10:11]
	s_delay_alu instid0(VALU_DEP_2) | instskip(NEXT) | instid1(VALU_DEP_2)
	v_fma_f64 v[15:16], v[21:22], v[15:16], v[17:18]
	v_add_f64 v[3:4], v[3:4], v[10:11]
	s_delay_alu instid0(VALU_DEP_2)
	v_add_f64 v[1:2], v[1:2], v[15:16]
	s_and_not1_b32 exec_lo, exec_lo, s3
	s_cbranch_execnz .LBB120_189
; %bb.190:
	s_or_b32 exec_lo, exec_lo, s3
	v_mov_b32_e32 v7, 0
	ds_load_b128 v[7:10], v7 offset:704
	s_waitcnt lgkmcnt(0)
	v_mul_f64 v[11:12], v[1:2], v[9:10]
	v_mul_f64 v[15:16], v[3:4], v[9:10]
	s_delay_alu instid0(VALU_DEP_2) | instskip(NEXT) | instid1(VALU_DEP_2)
	v_fma_f64 v[9:10], v[3:4], v[7:8], -v[11:12]
	v_fma_f64 v[11:12], v[1:2], v[7:8], v[15:16]
	scratch_store_b128 off, v[9:12], off offset:704
.LBB120_191:
	s_or_b32 exec_lo, exec_lo, s2
	s_waitcnt_vscnt null, 0x0
	s_barrier
	buffer_gl0_inv
	scratch_load_b128 v[1:4], v234, off
	s_mov_b32 s2, exec_lo
	s_waitcnt vmcnt(0)
	ds_store_b128 v5, v[1:4]
	s_waitcnt lgkmcnt(0)
	s_barrier
	buffer_gl0_inv
	v_cmpx_gt_u32_e32 45, v156
	s_cbranch_execz .LBB120_195
; %bb.192:
	v_dual_mov_b32 v1, 0 :: v_dual_add_nc_u32 v8, 0x390, v13
	v_dual_mov_b32 v2, 0 :: v_dual_add_nc_u32 v7, -1, v156
	v_or_b32_e32 v9, 8, v14
	s_mov_b32 s3, 0
	s_delay_alu instid0(VALU_DEP_2)
	v_dual_mov_b32 v4, v2 :: v_dual_mov_b32 v3, v1
	.p2align	6
.LBB120_193:                            ; =>This Inner Loop Header: Depth=1
	scratch_load_b128 v[15:18], v9, off offset:-8
	ds_load_b128 v[19:22], v8
	v_add_nc_u32_e32 v7, 1, v7
	v_add_nc_u32_e32 v8, 16, v8
	;; [unrolled: 1-line block ×3, first 2 shown]
	s_delay_alu instid0(VALU_DEP_3) | instskip(SKIP_4) | instid1(VALU_DEP_2)
	v_cmp_lt_u32_e32 vcc_lo, 43, v7
	s_or_b32 s3, vcc_lo, s3
	s_waitcnt vmcnt(0) lgkmcnt(0)
	v_mul_f64 v[10:11], v[21:22], v[17:18]
	v_mul_f64 v[17:18], v[19:20], v[17:18]
	v_fma_f64 v[10:11], v[19:20], v[15:16], -v[10:11]
	s_delay_alu instid0(VALU_DEP_2) | instskip(NEXT) | instid1(VALU_DEP_2)
	v_fma_f64 v[15:16], v[21:22], v[15:16], v[17:18]
	v_add_f64 v[3:4], v[3:4], v[10:11]
	s_delay_alu instid0(VALU_DEP_2)
	v_add_f64 v[1:2], v[1:2], v[15:16]
	s_and_not1_b32 exec_lo, exec_lo, s3
	s_cbranch_execnz .LBB120_193
; %bb.194:
	s_or_b32 exec_lo, exec_lo, s3
	v_mov_b32_e32 v7, 0
	ds_load_b128 v[7:10], v7 offset:720
	s_waitcnt lgkmcnt(0)
	v_mul_f64 v[11:12], v[1:2], v[9:10]
	v_mul_f64 v[15:16], v[3:4], v[9:10]
	s_delay_alu instid0(VALU_DEP_2) | instskip(NEXT) | instid1(VALU_DEP_2)
	v_fma_f64 v[9:10], v[3:4], v[7:8], -v[11:12]
	v_fma_f64 v[11:12], v[1:2], v[7:8], v[15:16]
	scratch_store_b128 off, v[9:12], off offset:720
.LBB120_195:
	s_or_b32 exec_lo, exec_lo, s2
	s_waitcnt_vscnt null, 0x0
	s_barrier
	buffer_gl0_inv
	scratch_load_b128 v[1:4], v172, off
	s_mov_b32 s2, exec_lo
	s_waitcnt vmcnt(0)
	ds_store_b128 v5, v[1:4]
	s_waitcnt lgkmcnt(0)
	s_barrier
	buffer_gl0_inv
	v_cmpx_gt_u32_e32 46, v156
	s_cbranch_execz .LBB120_199
; %bb.196:
	v_dual_mov_b32 v1, 0 :: v_dual_add_nc_u32 v8, 0x390, v13
	v_dual_mov_b32 v2, 0 :: v_dual_add_nc_u32 v7, -1, v156
	v_or_b32_e32 v9, 8, v14
	s_mov_b32 s3, 0
	s_delay_alu instid0(VALU_DEP_2)
	v_dual_mov_b32 v4, v2 :: v_dual_mov_b32 v3, v1
	.p2align	6
.LBB120_197:                            ; =>This Inner Loop Header: Depth=1
	scratch_load_b128 v[15:18], v9, off offset:-8
	ds_load_b128 v[19:22], v8
	v_add_nc_u32_e32 v7, 1, v7
	v_add_nc_u32_e32 v8, 16, v8
	v_add_nc_u32_e32 v9, 16, v9
	s_delay_alu instid0(VALU_DEP_3) | instskip(SKIP_4) | instid1(VALU_DEP_2)
	v_cmp_lt_u32_e32 vcc_lo, 44, v7
	s_or_b32 s3, vcc_lo, s3
	s_waitcnt vmcnt(0) lgkmcnt(0)
	v_mul_f64 v[10:11], v[21:22], v[17:18]
	v_mul_f64 v[17:18], v[19:20], v[17:18]
	v_fma_f64 v[10:11], v[19:20], v[15:16], -v[10:11]
	s_delay_alu instid0(VALU_DEP_2) | instskip(NEXT) | instid1(VALU_DEP_2)
	v_fma_f64 v[15:16], v[21:22], v[15:16], v[17:18]
	v_add_f64 v[3:4], v[3:4], v[10:11]
	s_delay_alu instid0(VALU_DEP_2)
	v_add_f64 v[1:2], v[1:2], v[15:16]
	s_and_not1_b32 exec_lo, exec_lo, s3
	s_cbranch_execnz .LBB120_197
; %bb.198:
	s_or_b32 exec_lo, exec_lo, s3
	v_mov_b32_e32 v7, 0
	ds_load_b128 v[7:10], v7 offset:736
	s_waitcnt lgkmcnt(0)
	v_mul_f64 v[11:12], v[1:2], v[9:10]
	v_mul_f64 v[15:16], v[3:4], v[9:10]
	s_delay_alu instid0(VALU_DEP_2) | instskip(NEXT) | instid1(VALU_DEP_2)
	v_fma_f64 v[9:10], v[3:4], v[7:8], -v[11:12]
	v_fma_f64 v[11:12], v[1:2], v[7:8], v[15:16]
	scratch_store_b128 off, v[9:12], off offset:736
.LBB120_199:
	s_or_b32 exec_lo, exec_lo, s2
	s_waitcnt_vscnt null, 0x0
	s_barrier
	buffer_gl0_inv
	scratch_load_b128 v[1:4], v169, off
	s_mov_b32 s2, exec_lo
	s_waitcnt vmcnt(0)
	ds_store_b128 v5, v[1:4]
	s_waitcnt lgkmcnt(0)
	s_barrier
	buffer_gl0_inv
	v_cmpx_gt_u32_e32 47, v156
	s_cbranch_execz .LBB120_203
; %bb.200:
	v_dual_mov_b32 v1, 0 :: v_dual_add_nc_u32 v8, 0x390, v13
	v_dual_mov_b32 v2, 0 :: v_dual_add_nc_u32 v7, -1, v156
	v_or_b32_e32 v9, 8, v14
	s_mov_b32 s3, 0
	s_delay_alu instid0(VALU_DEP_2)
	v_dual_mov_b32 v4, v2 :: v_dual_mov_b32 v3, v1
	.p2align	6
.LBB120_201:                            ; =>This Inner Loop Header: Depth=1
	scratch_load_b128 v[15:18], v9, off offset:-8
	ds_load_b128 v[19:22], v8
	v_add_nc_u32_e32 v7, 1, v7
	v_add_nc_u32_e32 v8, 16, v8
	;; [unrolled: 1-line block ×3, first 2 shown]
	s_delay_alu instid0(VALU_DEP_3) | instskip(SKIP_4) | instid1(VALU_DEP_2)
	v_cmp_lt_u32_e32 vcc_lo, 45, v7
	s_or_b32 s3, vcc_lo, s3
	s_waitcnt vmcnt(0) lgkmcnt(0)
	v_mul_f64 v[10:11], v[21:22], v[17:18]
	v_mul_f64 v[17:18], v[19:20], v[17:18]
	v_fma_f64 v[10:11], v[19:20], v[15:16], -v[10:11]
	s_delay_alu instid0(VALU_DEP_2) | instskip(NEXT) | instid1(VALU_DEP_2)
	v_fma_f64 v[15:16], v[21:22], v[15:16], v[17:18]
	v_add_f64 v[3:4], v[3:4], v[10:11]
	s_delay_alu instid0(VALU_DEP_2)
	v_add_f64 v[1:2], v[1:2], v[15:16]
	s_and_not1_b32 exec_lo, exec_lo, s3
	s_cbranch_execnz .LBB120_201
; %bb.202:
	s_or_b32 exec_lo, exec_lo, s3
	v_mov_b32_e32 v7, 0
	ds_load_b128 v[7:10], v7 offset:752
	s_waitcnt lgkmcnt(0)
	v_mul_f64 v[11:12], v[1:2], v[9:10]
	v_mul_f64 v[15:16], v[3:4], v[9:10]
	s_delay_alu instid0(VALU_DEP_2) | instskip(NEXT) | instid1(VALU_DEP_2)
	v_fma_f64 v[9:10], v[3:4], v[7:8], -v[11:12]
	v_fma_f64 v[11:12], v[1:2], v[7:8], v[15:16]
	scratch_store_b128 off, v[9:12], off offset:752
.LBB120_203:
	s_or_b32 exec_lo, exec_lo, s2
	s_waitcnt_vscnt null, 0x0
	s_barrier
	buffer_gl0_inv
	scratch_load_b128 v[1:4], v168, off
	s_mov_b32 s2, exec_lo
	s_waitcnt vmcnt(0)
	ds_store_b128 v5, v[1:4]
	s_waitcnt lgkmcnt(0)
	s_barrier
	buffer_gl0_inv
	v_cmpx_gt_u32_e32 48, v156
	s_cbranch_execz .LBB120_207
; %bb.204:
	v_dual_mov_b32 v1, 0 :: v_dual_add_nc_u32 v8, 0x390, v13
	v_dual_mov_b32 v2, 0 :: v_dual_add_nc_u32 v7, -1, v156
	v_or_b32_e32 v9, 8, v14
	s_mov_b32 s3, 0
	s_delay_alu instid0(VALU_DEP_2)
	v_dual_mov_b32 v4, v2 :: v_dual_mov_b32 v3, v1
	.p2align	6
.LBB120_205:                            ; =>This Inner Loop Header: Depth=1
	scratch_load_b128 v[15:18], v9, off offset:-8
	ds_load_b128 v[19:22], v8
	v_add_nc_u32_e32 v7, 1, v7
	v_add_nc_u32_e32 v8, 16, v8
	;; [unrolled: 1-line block ×3, first 2 shown]
	s_delay_alu instid0(VALU_DEP_3) | instskip(SKIP_4) | instid1(VALU_DEP_2)
	v_cmp_lt_u32_e32 vcc_lo, 46, v7
	s_or_b32 s3, vcc_lo, s3
	s_waitcnt vmcnt(0) lgkmcnt(0)
	v_mul_f64 v[10:11], v[21:22], v[17:18]
	v_mul_f64 v[17:18], v[19:20], v[17:18]
	v_fma_f64 v[10:11], v[19:20], v[15:16], -v[10:11]
	s_delay_alu instid0(VALU_DEP_2) | instskip(NEXT) | instid1(VALU_DEP_2)
	v_fma_f64 v[15:16], v[21:22], v[15:16], v[17:18]
	v_add_f64 v[3:4], v[3:4], v[10:11]
	s_delay_alu instid0(VALU_DEP_2)
	v_add_f64 v[1:2], v[1:2], v[15:16]
	s_and_not1_b32 exec_lo, exec_lo, s3
	s_cbranch_execnz .LBB120_205
; %bb.206:
	s_or_b32 exec_lo, exec_lo, s3
	v_mov_b32_e32 v7, 0
	ds_load_b128 v[7:10], v7 offset:768
	s_waitcnt lgkmcnt(0)
	v_mul_f64 v[11:12], v[1:2], v[9:10]
	v_mul_f64 v[15:16], v[3:4], v[9:10]
	s_delay_alu instid0(VALU_DEP_2) | instskip(NEXT) | instid1(VALU_DEP_2)
	v_fma_f64 v[9:10], v[3:4], v[7:8], -v[11:12]
	v_fma_f64 v[11:12], v[1:2], v[7:8], v[15:16]
	scratch_store_b128 off, v[9:12], off offset:768
.LBB120_207:
	s_or_b32 exec_lo, exec_lo, s2
	s_waitcnt_vscnt null, 0x0
	s_barrier
	buffer_gl0_inv
	scratch_load_b128 v[1:4], v165, off
	s_mov_b32 s2, exec_lo
	s_waitcnt vmcnt(0)
	ds_store_b128 v5, v[1:4]
	s_waitcnt lgkmcnt(0)
	s_barrier
	buffer_gl0_inv
	v_cmpx_gt_u32_e32 49, v156
	s_cbranch_execz .LBB120_211
; %bb.208:
	v_dual_mov_b32 v1, 0 :: v_dual_add_nc_u32 v8, 0x390, v13
	v_dual_mov_b32 v2, 0 :: v_dual_add_nc_u32 v7, -1, v156
	v_or_b32_e32 v9, 8, v14
	s_mov_b32 s3, 0
	s_delay_alu instid0(VALU_DEP_2)
	v_dual_mov_b32 v4, v2 :: v_dual_mov_b32 v3, v1
	.p2align	6
.LBB120_209:                            ; =>This Inner Loop Header: Depth=1
	scratch_load_b128 v[15:18], v9, off offset:-8
	ds_load_b128 v[19:22], v8
	v_add_nc_u32_e32 v7, 1, v7
	v_add_nc_u32_e32 v8, 16, v8
	;; [unrolled: 1-line block ×3, first 2 shown]
	s_delay_alu instid0(VALU_DEP_3) | instskip(SKIP_4) | instid1(VALU_DEP_2)
	v_cmp_lt_u32_e32 vcc_lo, 47, v7
	s_or_b32 s3, vcc_lo, s3
	s_waitcnt vmcnt(0) lgkmcnt(0)
	v_mul_f64 v[10:11], v[21:22], v[17:18]
	v_mul_f64 v[17:18], v[19:20], v[17:18]
	v_fma_f64 v[10:11], v[19:20], v[15:16], -v[10:11]
	s_delay_alu instid0(VALU_DEP_2) | instskip(NEXT) | instid1(VALU_DEP_2)
	v_fma_f64 v[15:16], v[21:22], v[15:16], v[17:18]
	v_add_f64 v[3:4], v[3:4], v[10:11]
	s_delay_alu instid0(VALU_DEP_2)
	v_add_f64 v[1:2], v[1:2], v[15:16]
	s_and_not1_b32 exec_lo, exec_lo, s3
	s_cbranch_execnz .LBB120_209
; %bb.210:
	s_or_b32 exec_lo, exec_lo, s3
	v_mov_b32_e32 v7, 0
	ds_load_b128 v[7:10], v7 offset:784
	s_waitcnt lgkmcnt(0)
	v_mul_f64 v[11:12], v[1:2], v[9:10]
	v_mul_f64 v[15:16], v[3:4], v[9:10]
	s_delay_alu instid0(VALU_DEP_2) | instskip(NEXT) | instid1(VALU_DEP_2)
	v_fma_f64 v[9:10], v[3:4], v[7:8], -v[11:12]
	v_fma_f64 v[11:12], v[1:2], v[7:8], v[15:16]
	scratch_store_b128 off, v[9:12], off offset:784
.LBB120_211:
	s_or_b32 exec_lo, exec_lo, s2
	s_waitcnt_vscnt null, 0x0
	s_barrier
	buffer_gl0_inv
	scratch_load_b128 v[1:4], v164, off
	s_mov_b32 s2, exec_lo
	s_waitcnt vmcnt(0)
	ds_store_b128 v5, v[1:4]
	s_waitcnt lgkmcnt(0)
	s_barrier
	buffer_gl0_inv
	v_cmpx_gt_u32_e32 50, v156
	s_cbranch_execz .LBB120_215
; %bb.212:
	v_dual_mov_b32 v1, 0 :: v_dual_add_nc_u32 v8, 0x390, v13
	v_dual_mov_b32 v2, 0 :: v_dual_add_nc_u32 v7, -1, v156
	v_or_b32_e32 v9, 8, v14
	s_mov_b32 s3, 0
	s_delay_alu instid0(VALU_DEP_2)
	v_dual_mov_b32 v4, v2 :: v_dual_mov_b32 v3, v1
	.p2align	6
.LBB120_213:                            ; =>This Inner Loop Header: Depth=1
	scratch_load_b128 v[15:18], v9, off offset:-8
	ds_load_b128 v[19:22], v8
	v_add_nc_u32_e32 v7, 1, v7
	v_add_nc_u32_e32 v8, 16, v8
	;; [unrolled: 1-line block ×3, first 2 shown]
	s_delay_alu instid0(VALU_DEP_3) | instskip(SKIP_4) | instid1(VALU_DEP_2)
	v_cmp_lt_u32_e32 vcc_lo, 48, v7
	s_or_b32 s3, vcc_lo, s3
	s_waitcnt vmcnt(0) lgkmcnt(0)
	v_mul_f64 v[10:11], v[21:22], v[17:18]
	v_mul_f64 v[17:18], v[19:20], v[17:18]
	v_fma_f64 v[10:11], v[19:20], v[15:16], -v[10:11]
	s_delay_alu instid0(VALU_DEP_2) | instskip(NEXT) | instid1(VALU_DEP_2)
	v_fma_f64 v[15:16], v[21:22], v[15:16], v[17:18]
	v_add_f64 v[3:4], v[3:4], v[10:11]
	s_delay_alu instid0(VALU_DEP_2)
	v_add_f64 v[1:2], v[1:2], v[15:16]
	s_and_not1_b32 exec_lo, exec_lo, s3
	s_cbranch_execnz .LBB120_213
; %bb.214:
	s_or_b32 exec_lo, exec_lo, s3
	v_mov_b32_e32 v7, 0
	ds_load_b128 v[7:10], v7 offset:800
	s_waitcnt lgkmcnt(0)
	v_mul_f64 v[11:12], v[1:2], v[9:10]
	v_mul_f64 v[15:16], v[3:4], v[9:10]
	s_delay_alu instid0(VALU_DEP_2) | instskip(NEXT) | instid1(VALU_DEP_2)
	v_fma_f64 v[9:10], v[3:4], v[7:8], -v[11:12]
	v_fma_f64 v[11:12], v[1:2], v[7:8], v[15:16]
	scratch_store_b128 off, v[9:12], off offset:800
.LBB120_215:
	s_or_b32 exec_lo, exec_lo, s2
	s_waitcnt_vscnt null, 0x0
	s_barrier
	buffer_gl0_inv
	scratch_load_b128 v[1:4], v163, off
	s_mov_b32 s2, exec_lo
	s_waitcnt vmcnt(0)
	ds_store_b128 v5, v[1:4]
	s_waitcnt lgkmcnt(0)
	s_barrier
	buffer_gl0_inv
	v_cmpx_gt_u32_e32 51, v156
	s_cbranch_execz .LBB120_219
; %bb.216:
	v_dual_mov_b32 v1, 0 :: v_dual_add_nc_u32 v8, 0x390, v13
	v_dual_mov_b32 v2, 0 :: v_dual_add_nc_u32 v7, -1, v156
	v_or_b32_e32 v9, 8, v14
	s_mov_b32 s3, 0
	s_delay_alu instid0(VALU_DEP_2)
	v_dual_mov_b32 v4, v2 :: v_dual_mov_b32 v3, v1
	.p2align	6
.LBB120_217:                            ; =>This Inner Loop Header: Depth=1
	scratch_load_b128 v[15:18], v9, off offset:-8
	ds_load_b128 v[19:22], v8
	v_add_nc_u32_e32 v7, 1, v7
	v_add_nc_u32_e32 v8, 16, v8
	;; [unrolled: 1-line block ×3, first 2 shown]
	s_delay_alu instid0(VALU_DEP_3) | instskip(SKIP_4) | instid1(VALU_DEP_2)
	v_cmp_lt_u32_e32 vcc_lo, 49, v7
	s_or_b32 s3, vcc_lo, s3
	s_waitcnt vmcnt(0) lgkmcnt(0)
	v_mul_f64 v[10:11], v[21:22], v[17:18]
	v_mul_f64 v[17:18], v[19:20], v[17:18]
	v_fma_f64 v[10:11], v[19:20], v[15:16], -v[10:11]
	s_delay_alu instid0(VALU_DEP_2) | instskip(NEXT) | instid1(VALU_DEP_2)
	v_fma_f64 v[15:16], v[21:22], v[15:16], v[17:18]
	v_add_f64 v[3:4], v[3:4], v[10:11]
	s_delay_alu instid0(VALU_DEP_2)
	v_add_f64 v[1:2], v[1:2], v[15:16]
	s_and_not1_b32 exec_lo, exec_lo, s3
	s_cbranch_execnz .LBB120_217
; %bb.218:
	s_or_b32 exec_lo, exec_lo, s3
	v_mov_b32_e32 v7, 0
	ds_load_b128 v[7:10], v7 offset:816
	s_waitcnt lgkmcnt(0)
	v_mul_f64 v[11:12], v[1:2], v[9:10]
	v_mul_f64 v[15:16], v[3:4], v[9:10]
	s_delay_alu instid0(VALU_DEP_2) | instskip(NEXT) | instid1(VALU_DEP_2)
	v_fma_f64 v[9:10], v[3:4], v[7:8], -v[11:12]
	v_fma_f64 v[11:12], v[1:2], v[7:8], v[15:16]
	scratch_store_b128 off, v[9:12], off offset:816
.LBB120_219:
	s_or_b32 exec_lo, exec_lo, s2
	s_waitcnt_vscnt null, 0x0
	s_barrier
	buffer_gl0_inv
	scratch_load_b128 v[1:4], v162, off
	s_mov_b32 s2, exec_lo
	s_waitcnt vmcnt(0)
	ds_store_b128 v5, v[1:4]
	s_waitcnt lgkmcnt(0)
	s_barrier
	buffer_gl0_inv
	v_cmpx_gt_u32_e32 52, v156
	s_cbranch_execz .LBB120_223
; %bb.220:
	v_dual_mov_b32 v1, 0 :: v_dual_add_nc_u32 v8, 0x390, v13
	v_dual_mov_b32 v2, 0 :: v_dual_add_nc_u32 v7, -1, v156
	v_or_b32_e32 v9, 8, v14
	s_mov_b32 s3, 0
	s_delay_alu instid0(VALU_DEP_2)
	v_dual_mov_b32 v4, v2 :: v_dual_mov_b32 v3, v1
	.p2align	6
.LBB120_221:                            ; =>This Inner Loop Header: Depth=1
	scratch_load_b128 v[15:18], v9, off offset:-8
	ds_load_b128 v[19:22], v8
	v_add_nc_u32_e32 v7, 1, v7
	v_add_nc_u32_e32 v8, 16, v8
	v_add_nc_u32_e32 v9, 16, v9
	s_delay_alu instid0(VALU_DEP_3) | instskip(SKIP_4) | instid1(VALU_DEP_2)
	v_cmp_lt_u32_e32 vcc_lo, 50, v7
	s_or_b32 s3, vcc_lo, s3
	s_waitcnt vmcnt(0) lgkmcnt(0)
	v_mul_f64 v[10:11], v[21:22], v[17:18]
	v_mul_f64 v[17:18], v[19:20], v[17:18]
	v_fma_f64 v[10:11], v[19:20], v[15:16], -v[10:11]
	s_delay_alu instid0(VALU_DEP_2) | instskip(NEXT) | instid1(VALU_DEP_2)
	v_fma_f64 v[15:16], v[21:22], v[15:16], v[17:18]
	v_add_f64 v[3:4], v[3:4], v[10:11]
	s_delay_alu instid0(VALU_DEP_2)
	v_add_f64 v[1:2], v[1:2], v[15:16]
	s_and_not1_b32 exec_lo, exec_lo, s3
	s_cbranch_execnz .LBB120_221
; %bb.222:
	s_or_b32 exec_lo, exec_lo, s3
	v_mov_b32_e32 v7, 0
	ds_load_b128 v[7:10], v7 offset:832
	s_waitcnt lgkmcnt(0)
	v_mul_f64 v[11:12], v[1:2], v[9:10]
	v_mul_f64 v[15:16], v[3:4], v[9:10]
	s_delay_alu instid0(VALU_DEP_2) | instskip(NEXT) | instid1(VALU_DEP_2)
	v_fma_f64 v[9:10], v[3:4], v[7:8], -v[11:12]
	v_fma_f64 v[11:12], v[1:2], v[7:8], v[15:16]
	scratch_store_b128 off, v[9:12], off offset:832
.LBB120_223:
	s_or_b32 exec_lo, exec_lo, s2
	s_waitcnt_vscnt null, 0x0
	s_barrier
	buffer_gl0_inv
	scratch_load_b128 v[1:4], v160, off
	s_mov_b32 s2, exec_lo
	s_waitcnt vmcnt(0)
	ds_store_b128 v5, v[1:4]
	s_waitcnt lgkmcnt(0)
	s_barrier
	buffer_gl0_inv
	v_cmpx_gt_u32_e32 53, v156
	s_cbranch_execz .LBB120_227
; %bb.224:
	v_dual_mov_b32 v1, 0 :: v_dual_add_nc_u32 v8, 0x390, v13
	v_dual_mov_b32 v2, 0 :: v_dual_add_nc_u32 v7, -1, v156
	v_or_b32_e32 v9, 8, v14
	s_mov_b32 s3, 0
	s_delay_alu instid0(VALU_DEP_2)
	v_dual_mov_b32 v4, v2 :: v_dual_mov_b32 v3, v1
	.p2align	6
.LBB120_225:                            ; =>This Inner Loop Header: Depth=1
	scratch_load_b128 v[15:18], v9, off offset:-8
	ds_load_b128 v[19:22], v8
	v_add_nc_u32_e32 v7, 1, v7
	v_add_nc_u32_e32 v8, 16, v8
	;; [unrolled: 1-line block ×3, first 2 shown]
	s_delay_alu instid0(VALU_DEP_3) | instskip(SKIP_4) | instid1(VALU_DEP_2)
	v_cmp_lt_u32_e32 vcc_lo, 51, v7
	s_or_b32 s3, vcc_lo, s3
	s_waitcnt vmcnt(0) lgkmcnt(0)
	v_mul_f64 v[10:11], v[21:22], v[17:18]
	v_mul_f64 v[17:18], v[19:20], v[17:18]
	v_fma_f64 v[10:11], v[19:20], v[15:16], -v[10:11]
	s_delay_alu instid0(VALU_DEP_2) | instskip(NEXT) | instid1(VALU_DEP_2)
	v_fma_f64 v[15:16], v[21:22], v[15:16], v[17:18]
	v_add_f64 v[3:4], v[3:4], v[10:11]
	s_delay_alu instid0(VALU_DEP_2)
	v_add_f64 v[1:2], v[1:2], v[15:16]
	s_and_not1_b32 exec_lo, exec_lo, s3
	s_cbranch_execnz .LBB120_225
; %bb.226:
	s_or_b32 exec_lo, exec_lo, s3
	v_mov_b32_e32 v7, 0
	ds_load_b128 v[7:10], v7 offset:848
	s_waitcnt lgkmcnt(0)
	v_mul_f64 v[11:12], v[1:2], v[9:10]
	v_mul_f64 v[15:16], v[3:4], v[9:10]
	s_delay_alu instid0(VALU_DEP_2) | instskip(NEXT) | instid1(VALU_DEP_2)
	v_fma_f64 v[9:10], v[3:4], v[7:8], -v[11:12]
	v_fma_f64 v[11:12], v[1:2], v[7:8], v[15:16]
	scratch_store_b128 off, v[9:12], off offset:848
.LBB120_227:
	s_or_b32 exec_lo, exec_lo, s2
	s_waitcnt_vscnt null, 0x0
	s_barrier
	buffer_gl0_inv
	scratch_load_b128 v[1:4], v159, off
	s_mov_b32 s2, exec_lo
	s_waitcnt vmcnt(0)
	ds_store_b128 v5, v[1:4]
	s_waitcnt lgkmcnt(0)
	s_barrier
	buffer_gl0_inv
	v_cmpx_gt_u32_e32 54, v156
	s_cbranch_execz .LBB120_231
; %bb.228:
	v_dual_mov_b32 v1, 0 :: v_dual_add_nc_u32 v8, 0x390, v13
	v_dual_mov_b32 v2, 0 :: v_dual_add_nc_u32 v7, -1, v156
	v_or_b32_e32 v9, 8, v14
	s_mov_b32 s3, 0
	s_delay_alu instid0(VALU_DEP_2)
	v_dual_mov_b32 v4, v2 :: v_dual_mov_b32 v3, v1
	.p2align	6
.LBB120_229:                            ; =>This Inner Loop Header: Depth=1
	scratch_load_b128 v[15:18], v9, off offset:-8
	ds_load_b128 v[19:22], v8
	v_add_nc_u32_e32 v7, 1, v7
	v_add_nc_u32_e32 v8, 16, v8
	v_add_nc_u32_e32 v9, 16, v9
	s_delay_alu instid0(VALU_DEP_3) | instskip(SKIP_4) | instid1(VALU_DEP_2)
	v_cmp_lt_u32_e32 vcc_lo, 52, v7
	s_or_b32 s3, vcc_lo, s3
	s_waitcnt vmcnt(0) lgkmcnt(0)
	v_mul_f64 v[10:11], v[21:22], v[17:18]
	v_mul_f64 v[17:18], v[19:20], v[17:18]
	v_fma_f64 v[10:11], v[19:20], v[15:16], -v[10:11]
	s_delay_alu instid0(VALU_DEP_2) | instskip(NEXT) | instid1(VALU_DEP_2)
	v_fma_f64 v[15:16], v[21:22], v[15:16], v[17:18]
	v_add_f64 v[3:4], v[3:4], v[10:11]
	s_delay_alu instid0(VALU_DEP_2)
	v_add_f64 v[1:2], v[1:2], v[15:16]
	s_and_not1_b32 exec_lo, exec_lo, s3
	s_cbranch_execnz .LBB120_229
; %bb.230:
	s_or_b32 exec_lo, exec_lo, s3
	v_mov_b32_e32 v7, 0
	ds_load_b128 v[7:10], v7 offset:864
	s_waitcnt lgkmcnt(0)
	v_mul_f64 v[11:12], v[1:2], v[9:10]
	v_mul_f64 v[15:16], v[3:4], v[9:10]
	s_delay_alu instid0(VALU_DEP_2) | instskip(NEXT) | instid1(VALU_DEP_2)
	v_fma_f64 v[9:10], v[3:4], v[7:8], -v[11:12]
	v_fma_f64 v[11:12], v[1:2], v[7:8], v[15:16]
	scratch_store_b128 off, v[9:12], off offset:864
.LBB120_231:
	s_or_b32 exec_lo, exec_lo, s2
	s_waitcnt_vscnt null, 0x0
	s_barrier
	buffer_gl0_inv
	scratch_load_b128 v[1:4], v158, off
	s_mov_b32 s2, exec_lo
	s_waitcnt vmcnt(0)
	ds_store_b128 v5, v[1:4]
	s_waitcnt lgkmcnt(0)
	s_barrier
	buffer_gl0_inv
	v_cmpx_gt_u32_e32 55, v156
	s_cbranch_execz .LBB120_235
; %bb.232:
	v_dual_mov_b32 v1, 0 :: v_dual_add_nc_u32 v8, 0x390, v13
	v_dual_mov_b32 v2, 0 :: v_dual_add_nc_u32 v7, -1, v156
	v_or_b32_e32 v9, 8, v14
	s_mov_b32 s3, 0
	s_delay_alu instid0(VALU_DEP_2)
	v_dual_mov_b32 v4, v2 :: v_dual_mov_b32 v3, v1
	.p2align	6
.LBB120_233:                            ; =>This Inner Loop Header: Depth=1
	scratch_load_b128 v[10:13], v9, off offset:-8
	ds_load_b128 v[15:18], v8
	v_add_nc_u32_e32 v7, 1, v7
	v_add_nc_u32_e32 v8, 16, v8
	;; [unrolled: 1-line block ×3, first 2 shown]
	s_delay_alu instid0(VALU_DEP_3) | instskip(SKIP_4) | instid1(VALU_DEP_2)
	v_cmp_lt_u32_e32 vcc_lo, 53, v7
	s_or_b32 s3, vcc_lo, s3
	s_waitcnt vmcnt(0) lgkmcnt(0)
	v_mul_f64 v[19:20], v[17:18], v[12:13]
	v_mul_f64 v[12:13], v[15:16], v[12:13]
	v_fma_f64 v[15:16], v[15:16], v[10:11], -v[19:20]
	s_delay_alu instid0(VALU_DEP_2) | instskip(NEXT) | instid1(VALU_DEP_2)
	v_fma_f64 v[10:11], v[17:18], v[10:11], v[12:13]
	v_add_f64 v[3:4], v[3:4], v[15:16]
	s_delay_alu instid0(VALU_DEP_2)
	v_add_f64 v[1:2], v[1:2], v[10:11]
	s_and_not1_b32 exec_lo, exec_lo, s3
	s_cbranch_execnz .LBB120_233
; %bb.234:
	s_or_b32 exec_lo, exec_lo, s3
	v_mov_b32_e32 v7, 0
	ds_load_b128 v[7:10], v7 offset:880
	s_waitcnt lgkmcnt(0)
	v_mul_f64 v[11:12], v[1:2], v[9:10]
	v_mul_f64 v[15:16], v[3:4], v[9:10]
	s_delay_alu instid0(VALU_DEP_2) | instskip(NEXT) | instid1(VALU_DEP_2)
	v_fma_f64 v[9:10], v[3:4], v[7:8], -v[11:12]
	v_fma_f64 v[11:12], v[1:2], v[7:8], v[15:16]
	scratch_store_b128 off, v[9:12], off offset:880
.LBB120_235:
	s_or_b32 exec_lo, exec_lo, s2
	s_waitcnt_vscnt null, 0x0
	s_barrier
	buffer_gl0_inv
	scratch_load_b128 v[1:4], v157, off
	s_mov_b32 s2, exec_lo
	s_waitcnt vmcnt(0)
	ds_store_b128 v5, v[1:4]
	s_waitcnt lgkmcnt(0)
	s_barrier
	buffer_gl0_inv
	v_cmpx_ne_u32_e32 56, v156
	s_cbranch_execz .LBB120_239
; %bb.236:
	v_mov_b32_e32 v1, 0
	v_mov_b32_e32 v2, 0
	v_or_b32_e32 v7, 8, v14
	s_mov_b32 s3, 0
	s_delay_alu instid0(VALU_DEP_2)
	v_dual_mov_b32 v4, v2 :: v_dual_mov_b32 v3, v1
	.p2align	6
.LBB120_237:                            ; =>This Inner Loop Header: Depth=1
	scratch_load_b128 v[8:11], v7, off offset:-8
	ds_load_b128 v[12:15], v5
	v_add_nc_u32_e32 v6, 1, v6
	v_add_nc_u32_e32 v5, 16, v5
	;; [unrolled: 1-line block ×3, first 2 shown]
	s_delay_alu instid0(VALU_DEP_3) | instskip(SKIP_4) | instid1(VALU_DEP_2)
	v_cmp_lt_u32_e32 vcc_lo, 54, v6
	s_or_b32 s3, vcc_lo, s3
	s_waitcnt vmcnt(0) lgkmcnt(0)
	v_mul_f64 v[16:17], v[14:15], v[10:11]
	v_mul_f64 v[10:11], v[12:13], v[10:11]
	v_fma_f64 v[12:13], v[12:13], v[8:9], -v[16:17]
	s_delay_alu instid0(VALU_DEP_2) | instskip(NEXT) | instid1(VALU_DEP_2)
	v_fma_f64 v[8:9], v[14:15], v[8:9], v[10:11]
	v_add_f64 v[3:4], v[3:4], v[12:13]
	s_delay_alu instid0(VALU_DEP_2)
	v_add_f64 v[1:2], v[1:2], v[8:9]
	s_and_not1_b32 exec_lo, exec_lo, s3
	s_cbranch_execnz .LBB120_237
; %bb.238:
	s_or_b32 exec_lo, exec_lo, s3
	v_mov_b32_e32 v5, 0
	ds_load_b128 v[5:8], v5 offset:896
	s_waitcnt lgkmcnt(0)
	v_mul_f64 v[9:10], v[1:2], v[7:8]
	v_mul_f64 v[7:8], v[3:4], v[7:8]
	s_delay_alu instid0(VALU_DEP_2) | instskip(NEXT) | instid1(VALU_DEP_2)
	v_fma_f64 v[3:4], v[3:4], v[5:6], -v[9:10]
	v_fma_f64 v[5:6], v[1:2], v[5:6], v[7:8]
	scratch_store_b128 off, v[3:6], off offset:896
.LBB120_239:
	s_or_b32 exec_lo, exec_lo, s2
	s_mov_b32 s3, -1
	s_waitcnt_vscnt null, 0x0
	s_barrier
	buffer_gl0_inv
.LBB120_240:
	s_and_b32 vcc_lo, exec_lo, s3
	s_cbranch_vccz .LBB120_242
; %bb.241:
	s_lshl_b64 s[2:3], s[10:11], 2
	v_mov_b32_e32 v1, 0
	s_add_u32 s2, s6, s2
	s_addc_u32 s3, s7, s3
	global_load_b32 v1, v1, s[2:3]
	s_waitcnt vmcnt(0)
	v_cmp_ne_u32_e32 vcc_lo, 0, v1
	s_cbranch_vccz .LBB120_243
.LBB120_242:
	s_endpgm
.LBB120_243:
	v_lshl_add_u32 v213, v156, 4, 0x390
	s_mov_b32 s2, exec_lo
	v_cmpx_eq_u32_e32 56, v156
	s_cbranch_execz .LBB120_245
; %bb.244:
	scratch_load_b128 v[1:4], v158, off
	v_mov_b32_e32 v5, 0
	s_delay_alu instid0(VALU_DEP_1)
	v_mov_b32_e32 v6, v5
	v_mov_b32_e32 v7, v5
	;; [unrolled: 1-line block ×3, first 2 shown]
	scratch_store_b128 off, v[5:8], off offset:880
	s_waitcnt vmcnt(0)
	ds_store_b128 v213, v[1:4]
.LBB120_245:
	s_or_b32 exec_lo, exec_lo, s2
	s_waitcnt lgkmcnt(0)
	s_waitcnt_vscnt null, 0x0
	s_barrier
	buffer_gl0_inv
	s_clause 0x1
	scratch_load_b128 v[2:5], off, off offset:896
	scratch_load_b128 v[6:9], off, off offset:880
	v_mov_b32_e32 v1, 0
	s_mov_b32 s2, exec_lo
	ds_load_b128 v[10:13], v1 offset:1808
	s_waitcnt vmcnt(1) lgkmcnt(0)
	v_mul_f64 v[14:15], v[12:13], v[4:5]
	v_mul_f64 v[4:5], v[10:11], v[4:5]
	s_delay_alu instid0(VALU_DEP_2) | instskip(NEXT) | instid1(VALU_DEP_2)
	v_fma_f64 v[10:11], v[10:11], v[2:3], -v[14:15]
	v_fma_f64 v[2:3], v[12:13], v[2:3], v[4:5]
	s_delay_alu instid0(VALU_DEP_2) | instskip(NEXT) | instid1(VALU_DEP_2)
	v_add_f64 v[4:5], v[10:11], 0
	v_add_f64 v[10:11], v[2:3], 0
	s_waitcnt vmcnt(0)
	s_delay_alu instid0(VALU_DEP_2) | instskip(NEXT) | instid1(VALU_DEP_2)
	v_add_f64 v[2:3], v[6:7], -v[4:5]
	v_add_f64 v[4:5], v[8:9], -v[10:11]
	scratch_store_b128 off, v[2:5], off offset:880
	v_cmpx_lt_u32_e32 54, v156
	s_cbranch_execz .LBB120_247
; %bb.246:
	scratch_load_b128 v[5:8], v159, off
	v_mov_b32_e32 v2, v1
	v_mov_b32_e32 v3, v1
	;; [unrolled: 1-line block ×3, first 2 shown]
	scratch_store_b128 off, v[1:4], off offset:864
	s_waitcnt vmcnt(0)
	ds_store_b128 v213, v[5:8]
.LBB120_247:
	s_or_b32 exec_lo, exec_lo, s2
	s_waitcnt lgkmcnt(0)
	s_waitcnt_vscnt null, 0x0
	s_barrier
	buffer_gl0_inv
	s_clause 0x2
	scratch_load_b128 v[2:5], off, off offset:880
	scratch_load_b128 v[6:9], off, off offset:896
	;; [unrolled: 1-line block ×3, first 2 shown]
	ds_load_b128 v[14:17], v1 offset:1792
	ds_load_b128 v[18:21], v1 offset:1808
	s_mov_b32 s2, exec_lo
	s_waitcnt vmcnt(2) lgkmcnt(1)
	v_mul_f64 v[22:23], v[16:17], v[4:5]
	v_mul_f64 v[4:5], v[14:15], v[4:5]
	s_waitcnt vmcnt(1) lgkmcnt(0)
	v_mul_f64 v[24:25], v[18:19], v[8:9]
	v_mul_f64 v[8:9], v[20:21], v[8:9]
	s_delay_alu instid0(VALU_DEP_4) | instskip(NEXT) | instid1(VALU_DEP_4)
	v_fma_f64 v[14:15], v[14:15], v[2:3], -v[22:23]
	v_fma_f64 v[1:2], v[16:17], v[2:3], v[4:5]
	s_delay_alu instid0(VALU_DEP_4) | instskip(NEXT) | instid1(VALU_DEP_4)
	v_fma_f64 v[3:4], v[20:21], v[6:7], v[24:25]
	v_fma_f64 v[5:6], v[18:19], v[6:7], -v[8:9]
	s_delay_alu instid0(VALU_DEP_4) | instskip(NEXT) | instid1(VALU_DEP_4)
	v_add_f64 v[7:8], v[14:15], 0
	v_add_f64 v[1:2], v[1:2], 0
	s_delay_alu instid0(VALU_DEP_2) | instskip(NEXT) | instid1(VALU_DEP_2)
	v_add_f64 v[5:6], v[7:8], v[5:6]
	v_add_f64 v[3:4], v[1:2], v[3:4]
	s_waitcnt vmcnt(0)
	s_delay_alu instid0(VALU_DEP_2) | instskip(NEXT) | instid1(VALU_DEP_2)
	v_add_f64 v[1:2], v[10:11], -v[5:6]
	v_add_f64 v[3:4], v[12:13], -v[3:4]
	scratch_store_b128 off, v[1:4], off offset:864
	v_cmpx_lt_u32_e32 53, v156
	s_cbranch_execz .LBB120_249
; %bb.248:
	scratch_load_b128 v[1:4], v160, off
	v_mov_b32_e32 v5, 0
	s_delay_alu instid0(VALU_DEP_1)
	v_mov_b32_e32 v6, v5
	v_mov_b32_e32 v7, v5
	;; [unrolled: 1-line block ×3, first 2 shown]
	scratch_store_b128 off, v[5:8], off offset:848
	s_waitcnt vmcnt(0)
	ds_store_b128 v213, v[1:4]
.LBB120_249:
	s_or_b32 exec_lo, exec_lo, s2
	s_waitcnt lgkmcnt(0)
	s_waitcnt_vscnt null, 0x0
	s_barrier
	buffer_gl0_inv
	s_clause 0x3
	scratch_load_b128 v[2:5], off, off offset:864
	scratch_load_b128 v[6:9], off, off offset:880
	;; [unrolled: 1-line block ×4, first 2 shown]
	v_mov_b32_e32 v1, 0
	ds_load_b128 v[18:21], v1 offset:1776
	ds_load_b128 v[22:25], v1 offset:1792
	s_mov_b32 s2, exec_lo
	s_waitcnt vmcnt(3) lgkmcnt(1)
	v_mul_f64 v[26:27], v[20:21], v[4:5]
	v_mul_f64 v[4:5], v[18:19], v[4:5]
	s_waitcnt vmcnt(2) lgkmcnt(0)
	v_mul_f64 v[28:29], v[22:23], v[8:9]
	v_mul_f64 v[8:9], v[24:25], v[8:9]
	s_delay_alu instid0(VALU_DEP_4) | instskip(NEXT) | instid1(VALU_DEP_4)
	v_fma_f64 v[18:19], v[18:19], v[2:3], -v[26:27]
	v_fma_f64 v[20:21], v[20:21], v[2:3], v[4:5]
	ds_load_b128 v[2:5], v1 offset:1808
	v_fma_f64 v[24:25], v[24:25], v[6:7], v[28:29]
	v_fma_f64 v[6:7], v[22:23], v[6:7], -v[8:9]
	s_waitcnt vmcnt(1) lgkmcnt(0)
	v_mul_f64 v[26:27], v[2:3], v[12:13]
	v_mul_f64 v[12:13], v[4:5], v[12:13]
	v_add_f64 v[8:9], v[18:19], 0
	v_add_f64 v[18:19], v[20:21], 0
	s_delay_alu instid0(VALU_DEP_4) | instskip(NEXT) | instid1(VALU_DEP_4)
	v_fma_f64 v[4:5], v[4:5], v[10:11], v[26:27]
	v_fma_f64 v[2:3], v[2:3], v[10:11], -v[12:13]
	s_delay_alu instid0(VALU_DEP_4) | instskip(NEXT) | instid1(VALU_DEP_4)
	v_add_f64 v[6:7], v[8:9], v[6:7]
	v_add_f64 v[8:9], v[18:19], v[24:25]
	s_delay_alu instid0(VALU_DEP_2) | instskip(NEXT) | instid1(VALU_DEP_2)
	v_add_f64 v[2:3], v[6:7], v[2:3]
	v_add_f64 v[4:5], v[8:9], v[4:5]
	s_waitcnt vmcnt(0)
	s_delay_alu instid0(VALU_DEP_2) | instskip(NEXT) | instid1(VALU_DEP_2)
	v_add_f64 v[2:3], v[14:15], -v[2:3]
	v_add_f64 v[4:5], v[16:17], -v[4:5]
	scratch_store_b128 off, v[2:5], off offset:848
	v_cmpx_lt_u32_e32 52, v156
	s_cbranch_execz .LBB120_251
; %bb.250:
	scratch_load_b128 v[5:8], v162, off
	v_mov_b32_e32 v2, v1
	v_mov_b32_e32 v3, v1
	;; [unrolled: 1-line block ×3, first 2 shown]
	scratch_store_b128 off, v[1:4], off offset:832
	s_waitcnt vmcnt(0)
	ds_store_b128 v213, v[5:8]
.LBB120_251:
	s_or_b32 exec_lo, exec_lo, s2
	s_waitcnt lgkmcnt(0)
	s_waitcnt_vscnt null, 0x0
	s_barrier
	buffer_gl0_inv
	s_clause 0x4
	scratch_load_b128 v[2:5], off, off offset:848
	scratch_load_b128 v[6:9], off, off offset:864
	;; [unrolled: 1-line block ×5, first 2 shown]
	ds_load_b128 v[22:25], v1 offset:1760
	ds_load_b128 v[26:29], v1 offset:1776
	s_mov_b32 s2, exec_lo
	s_waitcnt vmcnt(4) lgkmcnt(1)
	v_mul_f64 v[30:31], v[24:25], v[4:5]
	v_mul_f64 v[4:5], v[22:23], v[4:5]
	s_waitcnt vmcnt(3) lgkmcnt(0)
	v_mul_f64 v[32:33], v[26:27], v[8:9]
	v_mul_f64 v[8:9], v[28:29], v[8:9]
	s_delay_alu instid0(VALU_DEP_4) | instskip(NEXT) | instid1(VALU_DEP_4)
	v_fma_f64 v[30:31], v[22:23], v[2:3], -v[30:31]
	v_fma_f64 v[34:35], v[24:25], v[2:3], v[4:5]
	ds_load_b128 v[2:5], v1 offset:1792
	ds_load_b128 v[22:25], v1 offset:1808
	v_fma_f64 v[28:29], v[28:29], v[6:7], v[32:33]
	v_fma_f64 v[6:7], v[26:27], v[6:7], -v[8:9]
	s_waitcnt vmcnt(2) lgkmcnt(1)
	v_mul_f64 v[36:37], v[2:3], v[12:13]
	v_mul_f64 v[12:13], v[4:5], v[12:13]
	v_add_f64 v[8:9], v[30:31], 0
	v_add_f64 v[26:27], v[34:35], 0
	s_waitcnt vmcnt(1) lgkmcnt(0)
	v_mul_f64 v[30:31], v[22:23], v[16:17]
	v_mul_f64 v[16:17], v[24:25], v[16:17]
	v_fma_f64 v[4:5], v[4:5], v[10:11], v[36:37]
	v_fma_f64 v[1:2], v[2:3], v[10:11], -v[12:13]
	v_add_f64 v[6:7], v[8:9], v[6:7]
	v_add_f64 v[8:9], v[26:27], v[28:29]
	v_fma_f64 v[10:11], v[24:25], v[14:15], v[30:31]
	v_fma_f64 v[12:13], v[22:23], v[14:15], -v[16:17]
	s_delay_alu instid0(VALU_DEP_4) | instskip(NEXT) | instid1(VALU_DEP_4)
	v_add_f64 v[1:2], v[6:7], v[1:2]
	v_add_f64 v[3:4], v[8:9], v[4:5]
	s_delay_alu instid0(VALU_DEP_2) | instskip(NEXT) | instid1(VALU_DEP_2)
	v_add_f64 v[1:2], v[1:2], v[12:13]
	v_add_f64 v[3:4], v[3:4], v[10:11]
	s_waitcnt vmcnt(0)
	s_delay_alu instid0(VALU_DEP_2) | instskip(NEXT) | instid1(VALU_DEP_2)
	v_add_f64 v[1:2], v[18:19], -v[1:2]
	v_add_f64 v[3:4], v[20:21], -v[3:4]
	scratch_store_b128 off, v[1:4], off offset:832
	v_cmpx_lt_u32_e32 51, v156
	s_cbranch_execz .LBB120_253
; %bb.252:
	scratch_load_b128 v[1:4], v163, off
	v_mov_b32_e32 v5, 0
	s_delay_alu instid0(VALU_DEP_1)
	v_mov_b32_e32 v6, v5
	v_mov_b32_e32 v7, v5
	;; [unrolled: 1-line block ×3, first 2 shown]
	scratch_store_b128 off, v[5:8], off offset:816
	s_waitcnt vmcnt(0)
	ds_store_b128 v213, v[1:4]
.LBB120_253:
	s_or_b32 exec_lo, exec_lo, s2
	s_waitcnt lgkmcnt(0)
	s_waitcnt_vscnt null, 0x0
	s_barrier
	buffer_gl0_inv
	s_clause 0x5
	scratch_load_b128 v[2:5], off, off offset:832
	scratch_load_b128 v[6:9], off, off offset:848
	;; [unrolled: 1-line block ×6, first 2 shown]
	v_mov_b32_e32 v1, 0
	ds_load_b128 v[26:29], v1 offset:1744
	ds_load_b128 v[30:33], v1 offset:1760
	s_mov_b32 s2, exec_lo
	s_waitcnt vmcnt(5) lgkmcnt(1)
	v_mul_f64 v[34:35], v[28:29], v[4:5]
	v_mul_f64 v[4:5], v[26:27], v[4:5]
	s_waitcnt vmcnt(4) lgkmcnt(0)
	v_mul_f64 v[36:37], v[30:31], v[8:9]
	v_mul_f64 v[8:9], v[32:33], v[8:9]
	s_delay_alu instid0(VALU_DEP_4) | instskip(NEXT) | instid1(VALU_DEP_4)
	v_fma_f64 v[34:35], v[26:27], v[2:3], -v[34:35]
	v_fma_f64 v[38:39], v[28:29], v[2:3], v[4:5]
	ds_load_b128 v[2:5], v1 offset:1776
	ds_load_b128 v[26:29], v1 offset:1792
	v_fma_f64 v[32:33], v[32:33], v[6:7], v[36:37]
	v_fma_f64 v[6:7], v[30:31], v[6:7], -v[8:9]
	s_waitcnt vmcnt(3) lgkmcnt(1)
	v_mul_f64 v[40:41], v[2:3], v[12:13]
	v_mul_f64 v[12:13], v[4:5], v[12:13]
	v_add_f64 v[8:9], v[34:35], 0
	v_add_f64 v[30:31], v[38:39], 0
	s_waitcnt vmcnt(2) lgkmcnt(0)
	v_mul_f64 v[34:35], v[26:27], v[16:17]
	v_mul_f64 v[16:17], v[28:29], v[16:17]
	v_fma_f64 v[36:37], v[4:5], v[10:11], v[40:41]
	v_fma_f64 v[10:11], v[2:3], v[10:11], -v[12:13]
	ds_load_b128 v[2:5], v1 offset:1808
	v_add_f64 v[6:7], v[8:9], v[6:7]
	v_add_f64 v[8:9], v[30:31], v[32:33]
	v_fma_f64 v[28:29], v[28:29], v[14:15], v[34:35]
	v_fma_f64 v[14:15], v[26:27], v[14:15], -v[16:17]
	s_waitcnt vmcnt(1) lgkmcnt(0)
	v_mul_f64 v[12:13], v[2:3], v[20:21]
	v_mul_f64 v[20:21], v[4:5], v[20:21]
	v_add_f64 v[6:7], v[6:7], v[10:11]
	v_add_f64 v[8:9], v[8:9], v[36:37]
	s_delay_alu instid0(VALU_DEP_4) | instskip(NEXT) | instid1(VALU_DEP_4)
	v_fma_f64 v[4:5], v[4:5], v[18:19], v[12:13]
	v_fma_f64 v[2:3], v[2:3], v[18:19], -v[20:21]
	s_delay_alu instid0(VALU_DEP_4) | instskip(NEXT) | instid1(VALU_DEP_4)
	v_add_f64 v[6:7], v[6:7], v[14:15]
	v_add_f64 v[8:9], v[8:9], v[28:29]
	s_delay_alu instid0(VALU_DEP_2) | instskip(NEXT) | instid1(VALU_DEP_2)
	v_add_f64 v[2:3], v[6:7], v[2:3]
	v_add_f64 v[4:5], v[8:9], v[4:5]
	s_waitcnt vmcnt(0)
	s_delay_alu instid0(VALU_DEP_2) | instskip(NEXT) | instid1(VALU_DEP_2)
	v_add_f64 v[2:3], v[22:23], -v[2:3]
	v_add_f64 v[4:5], v[24:25], -v[4:5]
	scratch_store_b128 off, v[2:5], off offset:816
	v_cmpx_lt_u32_e32 50, v156
	s_cbranch_execz .LBB120_255
; %bb.254:
	scratch_load_b128 v[5:8], v164, off
	v_mov_b32_e32 v2, v1
	v_mov_b32_e32 v3, v1
	;; [unrolled: 1-line block ×3, first 2 shown]
	scratch_store_b128 off, v[1:4], off offset:800
	s_waitcnt vmcnt(0)
	ds_store_b128 v213, v[5:8]
.LBB120_255:
	s_or_b32 exec_lo, exec_lo, s2
	s_waitcnt lgkmcnt(0)
	s_waitcnt_vscnt null, 0x0
	s_barrier
	buffer_gl0_inv
	s_clause 0x5
	scratch_load_b128 v[2:5], off, off offset:816
	scratch_load_b128 v[6:9], off, off offset:832
	;; [unrolled: 1-line block ×6, first 2 shown]
	ds_load_b128 v[26:29], v1 offset:1728
	ds_load_b128 v[34:37], v1 offset:1744
	scratch_load_b128 v[30:33], off, off offset:800
	s_mov_b32 s2, exec_lo
	s_waitcnt vmcnt(6) lgkmcnt(1)
	v_mul_f64 v[38:39], v[28:29], v[4:5]
	v_mul_f64 v[4:5], v[26:27], v[4:5]
	s_waitcnt vmcnt(5) lgkmcnt(0)
	v_mul_f64 v[40:41], v[34:35], v[8:9]
	v_mul_f64 v[8:9], v[36:37], v[8:9]
	s_delay_alu instid0(VALU_DEP_4) | instskip(NEXT) | instid1(VALU_DEP_4)
	v_fma_f64 v[38:39], v[26:27], v[2:3], -v[38:39]
	v_fma_f64 v[166:167], v[28:29], v[2:3], v[4:5]
	ds_load_b128 v[2:5], v1 offset:1760
	ds_load_b128 v[26:29], v1 offset:1776
	v_fma_f64 v[36:37], v[36:37], v[6:7], v[40:41]
	v_fma_f64 v[6:7], v[34:35], v[6:7], -v[8:9]
	s_waitcnt vmcnt(4) lgkmcnt(1)
	v_mul_f64 v[170:171], v[2:3], v[12:13]
	v_mul_f64 v[12:13], v[4:5], v[12:13]
	v_add_f64 v[8:9], v[38:39], 0
	v_add_f64 v[34:35], v[166:167], 0
	s_waitcnt vmcnt(3) lgkmcnt(0)
	v_mul_f64 v[38:39], v[26:27], v[16:17]
	v_mul_f64 v[16:17], v[28:29], v[16:17]
	v_fma_f64 v[40:41], v[4:5], v[10:11], v[170:171]
	v_fma_f64 v[10:11], v[2:3], v[10:11], -v[12:13]
	v_add_f64 v[12:13], v[8:9], v[6:7]
	v_add_f64 v[34:35], v[34:35], v[36:37]
	ds_load_b128 v[2:5], v1 offset:1792
	ds_load_b128 v[6:9], v1 offset:1808
	v_fma_f64 v[28:29], v[28:29], v[14:15], v[38:39]
	v_fma_f64 v[14:15], v[26:27], v[14:15], -v[16:17]
	s_waitcnt vmcnt(2) lgkmcnt(1)
	v_mul_f64 v[36:37], v[2:3], v[20:21]
	v_mul_f64 v[20:21], v[4:5], v[20:21]
	s_waitcnt vmcnt(1) lgkmcnt(0)
	v_mul_f64 v[16:17], v[6:7], v[24:25]
	v_mul_f64 v[24:25], v[8:9], v[24:25]
	v_add_f64 v[10:11], v[12:13], v[10:11]
	v_add_f64 v[12:13], v[34:35], v[40:41]
	v_fma_f64 v[4:5], v[4:5], v[18:19], v[36:37]
	v_fma_f64 v[1:2], v[2:3], v[18:19], -v[20:21]
	v_fma_f64 v[8:9], v[8:9], v[22:23], v[16:17]
	v_fma_f64 v[6:7], v[6:7], v[22:23], -v[24:25]
	v_add_f64 v[10:11], v[10:11], v[14:15]
	v_add_f64 v[12:13], v[12:13], v[28:29]
	s_delay_alu instid0(VALU_DEP_2) | instskip(NEXT) | instid1(VALU_DEP_2)
	v_add_f64 v[1:2], v[10:11], v[1:2]
	v_add_f64 v[3:4], v[12:13], v[4:5]
	s_delay_alu instid0(VALU_DEP_2) | instskip(NEXT) | instid1(VALU_DEP_2)
	v_add_f64 v[1:2], v[1:2], v[6:7]
	v_add_f64 v[3:4], v[3:4], v[8:9]
	s_waitcnt vmcnt(0)
	s_delay_alu instid0(VALU_DEP_2) | instskip(NEXT) | instid1(VALU_DEP_2)
	v_add_f64 v[1:2], v[30:31], -v[1:2]
	v_add_f64 v[3:4], v[32:33], -v[3:4]
	scratch_store_b128 off, v[1:4], off offset:800
	v_cmpx_lt_u32_e32 49, v156
	s_cbranch_execz .LBB120_257
; %bb.256:
	scratch_load_b128 v[1:4], v165, off
	v_mov_b32_e32 v5, 0
	s_delay_alu instid0(VALU_DEP_1)
	v_mov_b32_e32 v6, v5
	v_mov_b32_e32 v7, v5
	;; [unrolled: 1-line block ×3, first 2 shown]
	scratch_store_b128 off, v[5:8], off offset:784
	s_waitcnt vmcnt(0)
	ds_store_b128 v213, v[1:4]
.LBB120_257:
	s_or_b32 exec_lo, exec_lo, s2
	s_waitcnt lgkmcnt(0)
	s_waitcnt_vscnt null, 0x0
	s_barrier
	buffer_gl0_inv
	s_clause 0x6
	scratch_load_b128 v[2:5], off, off offset:800
	scratch_load_b128 v[6:9], off, off offset:816
	;; [unrolled: 1-line block ×7, first 2 shown]
	v_mov_b32_e32 v1, 0
	scratch_load_b128 v[34:37], off, off offset:784
	s_mov_b32 s2, exec_lo
	ds_load_b128 v[30:33], v1 offset:1712
	ds_load_b128 v[38:41], v1 offset:1728
	s_waitcnt vmcnt(7) lgkmcnt(1)
	v_mul_f64 v[166:167], v[32:33], v[4:5]
	v_mul_f64 v[4:5], v[30:31], v[4:5]
	s_waitcnt vmcnt(6) lgkmcnt(0)
	v_mul_f64 v[170:171], v[38:39], v[8:9]
	v_mul_f64 v[8:9], v[40:41], v[8:9]
	s_delay_alu instid0(VALU_DEP_4) | instskip(NEXT) | instid1(VALU_DEP_4)
	v_fma_f64 v[166:167], v[30:31], v[2:3], -v[166:167]
	v_fma_f64 v[173:174], v[32:33], v[2:3], v[4:5]
	ds_load_b128 v[2:5], v1 offset:1744
	ds_load_b128 v[30:33], v1 offset:1760
	v_fma_f64 v[40:41], v[40:41], v[6:7], v[170:171]
	v_fma_f64 v[6:7], v[38:39], v[6:7], -v[8:9]
	s_waitcnt vmcnt(5) lgkmcnt(1)
	v_mul_f64 v[175:176], v[2:3], v[12:13]
	v_mul_f64 v[12:13], v[4:5], v[12:13]
	v_add_f64 v[8:9], v[166:167], 0
	v_add_f64 v[38:39], v[173:174], 0
	s_waitcnt vmcnt(4) lgkmcnt(0)
	v_mul_f64 v[166:167], v[30:31], v[16:17]
	v_mul_f64 v[16:17], v[32:33], v[16:17]
	v_fma_f64 v[170:171], v[4:5], v[10:11], v[175:176]
	v_fma_f64 v[10:11], v[2:3], v[10:11], -v[12:13]
	v_add_f64 v[12:13], v[8:9], v[6:7]
	v_add_f64 v[38:39], v[38:39], v[40:41]
	ds_load_b128 v[2:5], v1 offset:1776
	ds_load_b128 v[6:9], v1 offset:1792
	v_fma_f64 v[32:33], v[32:33], v[14:15], v[166:167]
	v_fma_f64 v[14:15], v[30:31], v[14:15], -v[16:17]
	s_waitcnt vmcnt(3) lgkmcnt(1)
	v_mul_f64 v[40:41], v[2:3], v[20:21]
	v_mul_f64 v[20:21], v[4:5], v[20:21]
	s_waitcnt vmcnt(2) lgkmcnt(0)
	v_mul_f64 v[16:17], v[6:7], v[24:25]
	v_mul_f64 v[24:25], v[8:9], v[24:25]
	v_add_f64 v[10:11], v[12:13], v[10:11]
	v_add_f64 v[12:13], v[38:39], v[170:171]
	v_fma_f64 v[30:31], v[4:5], v[18:19], v[40:41]
	v_fma_f64 v[18:19], v[2:3], v[18:19], -v[20:21]
	ds_load_b128 v[2:5], v1 offset:1808
	v_fma_f64 v[8:9], v[8:9], v[22:23], v[16:17]
	v_fma_f64 v[6:7], v[6:7], v[22:23], -v[24:25]
	v_add_f64 v[10:11], v[10:11], v[14:15]
	v_add_f64 v[12:13], v[12:13], v[32:33]
	s_waitcnt vmcnt(1) lgkmcnt(0)
	v_mul_f64 v[14:15], v[2:3], v[28:29]
	v_mul_f64 v[20:21], v[4:5], v[28:29]
	s_delay_alu instid0(VALU_DEP_4) | instskip(NEXT) | instid1(VALU_DEP_4)
	v_add_f64 v[10:11], v[10:11], v[18:19]
	v_add_f64 v[12:13], v[12:13], v[30:31]
	s_delay_alu instid0(VALU_DEP_4) | instskip(NEXT) | instid1(VALU_DEP_4)
	v_fma_f64 v[4:5], v[4:5], v[26:27], v[14:15]
	v_fma_f64 v[2:3], v[2:3], v[26:27], -v[20:21]
	s_delay_alu instid0(VALU_DEP_4) | instskip(NEXT) | instid1(VALU_DEP_4)
	v_add_f64 v[6:7], v[10:11], v[6:7]
	v_add_f64 v[8:9], v[12:13], v[8:9]
	s_delay_alu instid0(VALU_DEP_2) | instskip(NEXT) | instid1(VALU_DEP_2)
	v_add_f64 v[2:3], v[6:7], v[2:3]
	v_add_f64 v[4:5], v[8:9], v[4:5]
	s_waitcnt vmcnt(0)
	s_delay_alu instid0(VALU_DEP_2) | instskip(NEXT) | instid1(VALU_DEP_2)
	v_add_f64 v[2:3], v[34:35], -v[2:3]
	v_add_f64 v[4:5], v[36:37], -v[4:5]
	scratch_store_b128 off, v[2:5], off offset:784
	v_cmpx_lt_u32_e32 48, v156
	s_cbranch_execz .LBB120_259
; %bb.258:
	scratch_load_b128 v[5:8], v168, off
	v_mov_b32_e32 v2, v1
	v_mov_b32_e32 v3, v1
	;; [unrolled: 1-line block ×3, first 2 shown]
	scratch_store_b128 off, v[1:4], off offset:768
	s_waitcnt vmcnt(0)
	ds_store_b128 v213, v[5:8]
.LBB120_259:
	s_or_b32 exec_lo, exec_lo, s2
	s_waitcnt lgkmcnt(0)
	s_waitcnt_vscnt null, 0x0
	s_barrier
	buffer_gl0_inv
	s_clause 0x7
	scratch_load_b128 v[2:5], off, off offset:784
	scratch_load_b128 v[6:9], off, off offset:800
	;; [unrolled: 1-line block ×8, first 2 shown]
	ds_load_b128 v[34:37], v1 offset:1696
	ds_load_b128 v[38:41], v1 offset:1712
	scratch_load_b128 v[173:176], off, off offset:768
	s_mov_b32 s2, exec_lo
	s_waitcnt vmcnt(8) lgkmcnt(1)
	v_mul_f64 v[166:167], v[36:37], v[4:5]
	v_mul_f64 v[4:5], v[34:35], v[4:5]
	s_waitcnt vmcnt(7) lgkmcnt(0)
	v_mul_f64 v[170:171], v[38:39], v[8:9]
	v_mul_f64 v[8:9], v[40:41], v[8:9]
	s_delay_alu instid0(VALU_DEP_4) | instskip(NEXT) | instid1(VALU_DEP_4)
	v_fma_f64 v[166:167], v[34:35], v[2:3], -v[166:167]
	v_fma_f64 v[177:178], v[36:37], v[2:3], v[4:5]
	ds_load_b128 v[2:5], v1 offset:1728
	ds_load_b128 v[34:37], v1 offset:1744
	v_fma_f64 v[40:41], v[40:41], v[6:7], v[170:171]
	v_fma_f64 v[6:7], v[38:39], v[6:7], -v[8:9]
	s_waitcnt vmcnt(6) lgkmcnt(1)
	v_mul_f64 v[179:180], v[2:3], v[12:13]
	v_mul_f64 v[12:13], v[4:5], v[12:13]
	v_add_f64 v[8:9], v[166:167], 0
	v_add_f64 v[38:39], v[177:178], 0
	s_waitcnt vmcnt(5) lgkmcnt(0)
	v_mul_f64 v[166:167], v[34:35], v[16:17]
	v_mul_f64 v[16:17], v[36:37], v[16:17]
	v_fma_f64 v[170:171], v[4:5], v[10:11], v[179:180]
	v_fma_f64 v[10:11], v[2:3], v[10:11], -v[12:13]
	v_add_f64 v[12:13], v[8:9], v[6:7]
	v_add_f64 v[38:39], v[38:39], v[40:41]
	ds_load_b128 v[2:5], v1 offset:1760
	ds_load_b128 v[6:9], v1 offset:1776
	v_fma_f64 v[36:37], v[36:37], v[14:15], v[166:167]
	v_fma_f64 v[14:15], v[34:35], v[14:15], -v[16:17]
	s_waitcnt vmcnt(4) lgkmcnt(1)
	v_mul_f64 v[40:41], v[2:3], v[20:21]
	v_mul_f64 v[20:21], v[4:5], v[20:21]
	s_waitcnt vmcnt(3) lgkmcnt(0)
	v_mul_f64 v[16:17], v[6:7], v[24:25]
	v_mul_f64 v[24:25], v[8:9], v[24:25]
	v_add_f64 v[10:11], v[12:13], v[10:11]
	v_add_f64 v[12:13], v[38:39], v[170:171]
	v_fma_f64 v[34:35], v[4:5], v[18:19], v[40:41]
	v_fma_f64 v[18:19], v[2:3], v[18:19], -v[20:21]
	v_fma_f64 v[8:9], v[8:9], v[22:23], v[16:17]
	v_fma_f64 v[6:7], v[6:7], v[22:23], -v[24:25]
	v_add_f64 v[14:15], v[10:11], v[14:15]
	v_add_f64 v[20:21], v[12:13], v[36:37]
	ds_load_b128 v[2:5], v1 offset:1792
	ds_load_b128 v[10:13], v1 offset:1808
	s_waitcnt vmcnt(2) lgkmcnt(1)
	v_mul_f64 v[36:37], v[2:3], v[28:29]
	v_mul_f64 v[28:29], v[4:5], v[28:29]
	v_add_f64 v[14:15], v[14:15], v[18:19]
	v_add_f64 v[16:17], v[20:21], v[34:35]
	s_waitcnt vmcnt(1) lgkmcnt(0)
	v_mul_f64 v[18:19], v[10:11], v[32:33]
	v_mul_f64 v[20:21], v[12:13], v[32:33]
	v_fma_f64 v[4:5], v[4:5], v[26:27], v[36:37]
	v_fma_f64 v[1:2], v[2:3], v[26:27], -v[28:29]
	v_add_f64 v[6:7], v[14:15], v[6:7]
	v_add_f64 v[8:9], v[16:17], v[8:9]
	v_fma_f64 v[12:13], v[12:13], v[30:31], v[18:19]
	v_fma_f64 v[10:11], v[10:11], v[30:31], -v[20:21]
	s_delay_alu instid0(VALU_DEP_4) | instskip(NEXT) | instid1(VALU_DEP_4)
	v_add_f64 v[1:2], v[6:7], v[1:2]
	v_add_f64 v[3:4], v[8:9], v[4:5]
	s_delay_alu instid0(VALU_DEP_2) | instskip(NEXT) | instid1(VALU_DEP_2)
	v_add_f64 v[1:2], v[1:2], v[10:11]
	v_add_f64 v[3:4], v[3:4], v[12:13]
	s_waitcnt vmcnt(0)
	s_delay_alu instid0(VALU_DEP_2) | instskip(NEXT) | instid1(VALU_DEP_2)
	v_add_f64 v[1:2], v[173:174], -v[1:2]
	v_add_f64 v[3:4], v[175:176], -v[3:4]
	scratch_store_b128 off, v[1:4], off offset:768
	v_cmpx_lt_u32_e32 47, v156
	s_cbranch_execz .LBB120_261
; %bb.260:
	scratch_load_b128 v[1:4], v169, off
	v_mov_b32_e32 v5, 0
	s_delay_alu instid0(VALU_DEP_1)
	v_mov_b32_e32 v6, v5
	v_mov_b32_e32 v7, v5
	;; [unrolled: 1-line block ×3, first 2 shown]
	scratch_store_b128 off, v[5:8], off offset:752
	s_waitcnt vmcnt(0)
	ds_store_b128 v213, v[1:4]
.LBB120_261:
	s_or_b32 exec_lo, exec_lo, s2
	s_waitcnt lgkmcnt(0)
	s_waitcnt_vscnt null, 0x0
	s_barrier
	buffer_gl0_inv
	s_clause 0x7
	scratch_load_b128 v[2:5], off, off offset:768
	scratch_load_b128 v[6:9], off, off offset:784
	;; [unrolled: 1-line block ×8, first 2 shown]
	v_mov_b32_e32 v1, 0
	s_mov_b32 s2, exec_lo
	ds_load_b128 v[34:37], v1 offset:1680
	s_clause 0x1
	scratch_load_b128 v[38:41], off, off offset:896
	scratch_load_b128 v[173:176], off, off offset:752
	ds_load_b128 v[177:180], v1 offset:1696
	s_waitcnt vmcnt(9) lgkmcnt(1)
	v_mul_f64 v[166:167], v[36:37], v[4:5]
	v_mul_f64 v[4:5], v[34:35], v[4:5]
	s_waitcnt vmcnt(8) lgkmcnt(0)
	v_mul_f64 v[170:171], v[177:178], v[8:9]
	v_mul_f64 v[8:9], v[179:180], v[8:9]
	s_delay_alu instid0(VALU_DEP_4) | instskip(NEXT) | instid1(VALU_DEP_4)
	v_fma_f64 v[166:167], v[34:35], v[2:3], -v[166:167]
	v_fma_f64 v[181:182], v[36:37], v[2:3], v[4:5]
	ds_load_b128 v[2:5], v1 offset:1712
	ds_load_b128 v[34:37], v1 offset:1728
	v_fma_f64 v[170:171], v[179:180], v[6:7], v[170:171]
	v_fma_f64 v[6:7], v[177:178], v[6:7], -v[8:9]
	s_waitcnt vmcnt(7) lgkmcnt(1)
	v_mul_f64 v[183:184], v[2:3], v[12:13]
	v_mul_f64 v[12:13], v[4:5], v[12:13]
	s_waitcnt vmcnt(6) lgkmcnt(0)
	v_mul_f64 v[177:178], v[34:35], v[16:17]
	v_mul_f64 v[16:17], v[36:37], v[16:17]
	v_add_f64 v[8:9], v[166:167], 0
	v_add_f64 v[166:167], v[181:182], 0
	v_fma_f64 v[179:180], v[4:5], v[10:11], v[183:184]
	v_fma_f64 v[10:11], v[2:3], v[10:11], -v[12:13]
	v_fma_f64 v[36:37], v[36:37], v[14:15], v[177:178]
	v_fma_f64 v[14:15], v[34:35], v[14:15], -v[16:17]
	v_add_f64 v[12:13], v[8:9], v[6:7]
	v_add_f64 v[166:167], v[166:167], v[170:171]
	ds_load_b128 v[2:5], v1 offset:1744
	ds_load_b128 v[6:9], v1 offset:1760
	s_waitcnt vmcnt(5) lgkmcnt(1)
	v_mul_f64 v[170:171], v[2:3], v[20:21]
	v_mul_f64 v[20:21], v[4:5], v[20:21]
	s_waitcnt vmcnt(4) lgkmcnt(0)
	v_mul_f64 v[16:17], v[6:7], v[24:25]
	v_mul_f64 v[24:25], v[8:9], v[24:25]
	v_add_f64 v[10:11], v[12:13], v[10:11]
	v_add_f64 v[12:13], v[166:167], v[179:180]
	v_fma_f64 v[34:35], v[4:5], v[18:19], v[170:171]
	v_fma_f64 v[18:19], v[2:3], v[18:19], -v[20:21]
	v_fma_f64 v[8:9], v[8:9], v[22:23], v[16:17]
	v_fma_f64 v[6:7], v[6:7], v[22:23], -v[24:25]
	v_add_f64 v[14:15], v[10:11], v[14:15]
	v_add_f64 v[20:21], v[12:13], v[36:37]
	ds_load_b128 v[2:5], v1 offset:1776
	ds_load_b128 v[10:13], v1 offset:1792
	s_waitcnt vmcnt(3) lgkmcnt(1)
	v_mul_f64 v[36:37], v[2:3], v[28:29]
	v_mul_f64 v[28:29], v[4:5], v[28:29]
	v_add_f64 v[14:15], v[14:15], v[18:19]
	v_add_f64 v[16:17], v[20:21], v[34:35]
	s_waitcnt vmcnt(2) lgkmcnt(0)
	v_mul_f64 v[18:19], v[10:11], v[32:33]
	v_mul_f64 v[20:21], v[12:13], v[32:33]
	v_fma_f64 v[22:23], v[4:5], v[26:27], v[36:37]
	v_fma_f64 v[24:25], v[2:3], v[26:27], -v[28:29]
	ds_load_b128 v[2:5], v1 offset:1808
	v_add_f64 v[6:7], v[14:15], v[6:7]
	v_add_f64 v[8:9], v[16:17], v[8:9]
	v_fma_f64 v[12:13], v[12:13], v[30:31], v[18:19]
	v_fma_f64 v[10:11], v[10:11], v[30:31], -v[20:21]
	s_waitcnt vmcnt(1) lgkmcnt(0)
	v_mul_f64 v[14:15], v[2:3], v[40:41]
	v_mul_f64 v[16:17], v[4:5], v[40:41]
	v_add_f64 v[6:7], v[6:7], v[24:25]
	v_add_f64 v[8:9], v[8:9], v[22:23]
	s_delay_alu instid0(VALU_DEP_4) | instskip(NEXT) | instid1(VALU_DEP_4)
	v_fma_f64 v[4:5], v[4:5], v[38:39], v[14:15]
	v_fma_f64 v[2:3], v[2:3], v[38:39], -v[16:17]
	s_delay_alu instid0(VALU_DEP_4) | instskip(NEXT) | instid1(VALU_DEP_4)
	v_add_f64 v[6:7], v[6:7], v[10:11]
	v_add_f64 v[8:9], v[8:9], v[12:13]
	s_delay_alu instid0(VALU_DEP_2) | instskip(NEXT) | instid1(VALU_DEP_2)
	v_add_f64 v[2:3], v[6:7], v[2:3]
	v_add_f64 v[4:5], v[8:9], v[4:5]
	s_waitcnt vmcnt(0)
	s_delay_alu instid0(VALU_DEP_2) | instskip(NEXT) | instid1(VALU_DEP_2)
	v_add_f64 v[2:3], v[173:174], -v[2:3]
	v_add_f64 v[4:5], v[175:176], -v[4:5]
	scratch_store_b128 off, v[2:5], off offset:752
	v_cmpx_lt_u32_e32 46, v156
	s_cbranch_execz .LBB120_263
; %bb.262:
	scratch_load_b128 v[5:8], v172, off
	v_mov_b32_e32 v2, v1
	v_mov_b32_e32 v3, v1
	v_mov_b32_e32 v4, v1
	scratch_store_b128 off, v[1:4], off offset:736
	s_waitcnt vmcnt(0)
	ds_store_b128 v213, v[5:8]
.LBB120_263:
	s_or_b32 exec_lo, exec_lo, s2
	s_waitcnt lgkmcnt(0)
	s_waitcnt_vscnt null, 0x0
	s_barrier
	buffer_gl0_inv
	s_clause 0x8
	scratch_load_b128 v[2:5], off, off offset:752
	scratch_load_b128 v[6:9], off, off offset:768
	;; [unrolled: 1-line block ×9, first 2 shown]
	ds_load_b128 v[38:41], v1 offset:1664
	ds_load_b128 v[173:176], v1 offset:1680
	s_clause 0x1
	scratch_load_b128 v[177:180], off, off offset:736
	scratch_load_b128 v[181:184], off, off offset:896
	s_mov_b32 s2, exec_lo
	s_waitcnt vmcnt(10) lgkmcnt(1)
	v_mul_f64 v[166:167], v[40:41], v[4:5]
	v_mul_f64 v[4:5], v[38:39], v[4:5]
	s_waitcnt vmcnt(9) lgkmcnt(0)
	v_mul_f64 v[170:171], v[173:174], v[8:9]
	v_mul_f64 v[8:9], v[175:176], v[8:9]
	s_delay_alu instid0(VALU_DEP_4) | instskip(NEXT) | instid1(VALU_DEP_4)
	v_fma_f64 v[166:167], v[38:39], v[2:3], -v[166:167]
	v_fma_f64 v[185:186], v[40:41], v[2:3], v[4:5]
	ds_load_b128 v[2:5], v1 offset:1696
	ds_load_b128 v[38:41], v1 offset:1712
	v_fma_f64 v[170:171], v[175:176], v[6:7], v[170:171]
	v_fma_f64 v[6:7], v[173:174], v[6:7], -v[8:9]
	s_waitcnt vmcnt(8) lgkmcnt(1)
	v_mul_f64 v[187:188], v[2:3], v[12:13]
	v_mul_f64 v[12:13], v[4:5], v[12:13]
	s_waitcnt vmcnt(7) lgkmcnt(0)
	v_mul_f64 v[173:174], v[38:39], v[16:17]
	v_mul_f64 v[16:17], v[40:41], v[16:17]
	v_add_f64 v[8:9], v[166:167], 0
	v_add_f64 v[166:167], v[185:186], 0
	v_fma_f64 v[175:176], v[4:5], v[10:11], v[187:188]
	v_fma_f64 v[10:11], v[2:3], v[10:11], -v[12:13]
	v_fma_f64 v[40:41], v[40:41], v[14:15], v[173:174]
	v_fma_f64 v[14:15], v[38:39], v[14:15], -v[16:17]
	v_add_f64 v[12:13], v[8:9], v[6:7]
	v_add_f64 v[166:167], v[166:167], v[170:171]
	ds_load_b128 v[2:5], v1 offset:1728
	ds_load_b128 v[6:9], v1 offset:1744
	s_waitcnt vmcnt(6) lgkmcnt(1)
	v_mul_f64 v[170:171], v[2:3], v[20:21]
	v_mul_f64 v[20:21], v[4:5], v[20:21]
	s_waitcnt vmcnt(5) lgkmcnt(0)
	v_mul_f64 v[16:17], v[6:7], v[24:25]
	v_mul_f64 v[24:25], v[8:9], v[24:25]
	v_add_f64 v[10:11], v[12:13], v[10:11]
	v_add_f64 v[12:13], v[166:167], v[175:176]
	v_fma_f64 v[38:39], v[4:5], v[18:19], v[170:171]
	v_fma_f64 v[18:19], v[2:3], v[18:19], -v[20:21]
	v_fma_f64 v[8:9], v[8:9], v[22:23], v[16:17]
	v_fma_f64 v[6:7], v[6:7], v[22:23], -v[24:25]
	v_add_f64 v[14:15], v[10:11], v[14:15]
	v_add_f64 v[20:21], v[12:13], v[40:41]
	ds_load_b128 v[2:5], v1 offset:1760
	ds_load_b128 v[10:13], v1 offset:1776
	s_waitcnt vmcnt(4) lgkmcnt(1)
	v_mul_f64 v[40:41], v[2:3], v[28:29]
	v_mul_f64 v[28:29], v[4:5], v[28:29]
	v_add_f64 v[14:15], v[14:15], v[18:19]
	v_add_f64 v[16:17], v[20:21], v[38:39]
	s_waitcnt vmcnt(3) lgkmcnt(0)
	v_mul_f64 v[18:19], v[10:11], v[32:33]
	v_mul_f64 v[20:21], v[12:13], v[32:33]
	v_fma_f64 v[22:23], v[4:5], v[26:27], v[40:41]
	v_fma_f64 v[24:25], v[2:3], v[26:27], -v[28:29]
	v_add_f64 v[14:15], v[14:15], v[6:7]
	v_add_f64 v[16:17], v[16:17], v[8:9]
	ds_load_b128 v[2:5], v1 offset:1792
	ds_load_b128 v[6:9], v1 offset:1808
	v_fma_f64 v[12:13], v[12:13], v[30:31], v[18:19]
	v_fma_f64 v[10:11], v[10:11], v[30:31], -v[20:21]
	s_waitcnt vmcnt(2) lgkmcnt(1)
	v_mul_f64 v[26:27], v[2:3], v[36:37]
	v_mul_f64 v[28:29], v[4:5], v[36:37]
	s_waitcnt vmcnt(0) lgkmcnt(0)
	v_mul_f64 v[18:19], v[6:7], v[183:184]
	v_mul_f64 v[20:21], v[8:9], v[183:184]
	v_add_f64 v[14:15], v[14:15], v[24:25]
	v_add_f64 v[16:17], v[16:17], v[22:23]
	v_fma_f64 v[4:5], v[4:5], v[34:35], v[26:27]
	v_fma_f64 v[1:2], v[2:3], v[34:35], -v[28:29]
	v_fma_f64 v[8:9], v[8:9], v[181:182], v[18:19]
	v_fma_f64 v[6:7], v[6:7], v[181:182], -v[20:21]
	v_add_f64 v[10:11], v[14:15], v[10:11]
	v_add_f64 v[12:13], v[16:17], v[12:13]
	s_delay_alu instid0(VALU_DEP_2) | instskip(NEXT) | instid1(VALU_DEP_2)
	v_add_f64 v[1:2], v[10:11], v[1:2]
	v_add_f64 v[3:4], v[12:13], v[4:5]
	s_delay_alu instid0(VALU_DEP_2) | instskip(NEXT) | instid1(VALU_DEP_2)
	;; [unrolled: 3-line block ×3, first 2 shown]
	v_add_f64 v[1:2], v[177:178], -v[1:2]
	v_add_f64 v[3:4], v[179:180], -v[3:4]
	scratch_store_b128 off, v[1:4], off offset:736
	v_cmpx_lt_u32_e32 45, v156
	s_cbranch_execz .LBB120_265
; %bb.264:
	scratch_load_b128 v[1:4], v234, off
	v_mov_b32_e32 v5, 0
	s_delay_alu instid0(VALU_DEP_1)
	v_mov_b32_e32 v6, v5
	v_mov_b32_e32 v7, v5
	;; [unrolled: 1-line block ×3, first 2 shown]
	scratch_store_b128 off, v[5:8], off offset:720
	s_waitcnt vmcnt(0)
	ds_store_b128 v213, v[1:4]
.LBB120_265:
	s_or_b32 exec_lo, exec_lo, s2
	s_waitcnt lgkmcnt(0)
	s_waitcnt_vscnt null, 0x0
	s_barrier
	buffer_gl0_inv
	s_clause 0x7
	scratch_load_b128 v[2:5], off, off offset:736
	scratch_load_b128 v[6:9], off, off offset:752
	;; [unrolled: 1-line block ×8, first 2 shown]
	v_mov_b32_e32 v1, 0
	s_mov_b32 s2, exec_lo
	ds_load_b128 v[34:37], v1 offset:1648
	s_clause 0x1
	scratch_load_b128 v[38:41], off, off offset:864
	scratch_load_b128 v[173:176], off, off offset:720
	ds_load_b128 v[177:180], v1 offset:1664
	scratch_load_b128 v[181:184], off, off offset:880
	ds_load_b128 v[185:188], v1 offset:1696
	s_waitcnt vmcnt(10) lgkmcnt(2)
	v_mul_f64 v[166:167], v[36:37], v[4:5]
	v_mul_f64 v[4:5], v[34:35], v[4:5]
	s_delay_alu instid0(VALU_DEP_2) | instskip(NEXT) | instid1(VALU_DEP_2)
	v_fma_f64 v[166:167], v[34:35], v[2:3], -v[166:167]
	v_fma_f64 v[189:190], v[36:37], v[2:3], v[4:5]
	scratch_load_b128 v[34:37], off, off offset:896
	ds_load_b128 v[2:5], v1 offset:1680
	s_waitcnt vmcnt(10) lgkmcnt(2)
	v_mul_f64 v[170:171], v[177:178], v[8:9]
	v_mul_f64 v[8:9], v[179:180], v[8:9]
	s_waitcnt vmcnt(9) lgkmcnt(0)
	v_mul_f64 v[191:192], v[2:3], v[12:13]
	v_mul_f64 v[12:13], v[4:5], v[12:13]
	s_delay_alu instid0(VALU_DEP_4) | instskip(NEXT) | instid1(VALU_DEP_4)
	v_fma_f64 v[170:171], v[179:180], v[6:7], v[170:171]
	v_fma_f64 v[6:7], v[177:178], v[6:7], -v[8:9]
	v_add_f64 v[8:9], v[166:167], 0
	v_add_f64 v[166:167], v[189:190], 0
	s_waitcnt vmcnt(8)
	v_mul_f64 v[177:178], v[185:186], v[16:17]
	v_mul_f64 v[16:17], v[187:188], v[16:17]
	v_fma_f64 v[179:180], v[4:5], v[10:11], v[191:192]
	v_fma_f64 v[10:11], v[2:3], v[10:11], -v[12:13]
	v_add_f64 v[12:13], v[8:9], v[6:7]
	v_add_f64 v[166:167], v[166:167], v[170:171]
	ds_load_b128 v[2:5], v1 offset:1712
	ds_load_b128 v[6:9], v1 offset:1728
	v_fma_f64 v[177:178], v[187:188], v[14:15], v[177:178]
	v_fma_f64 v[14:15], v[185:186], v[14:15], -v[16:17]
	s_waitcnt vmcnt(7) lgkmcnt(1)
	v_mul_f64 v[170:171], v[2:3], v[20:21]
	v_mul_f64 v[20:21], v[4:5], v[20:21]
	s_waitcnt vmcnt(6) lgkmcnt(0)
	v_mul_f64 v[16:17], v[6:7], v[24:25]
	v_mul_f64 v[24:25], v[8:9], v[24:25]
	v_add_f64 v[10:11], v[12:13], v[10:11]
	v_add_f64 v[12:13], v[166:167], v[179:180]
	v_fma_f64 v[166:167], v[4:5], v[18:19], v[170:171]
	v_fma_f64 v[18:19], v[2:3], v[18:19], -v[20:21]
	v_fma_f64 v[8:9], v[8:9], v[22:23], v[16:17]
	v_fma_f64 v[6:7], v[6:7], v[22:23], -v[24:25]
	v_add_f64 v[14:15], v[10:11], v[14:15]
	v_add_f64 v[20:21], v[12:13], v[177:178]
	ds_load_b128 v[2:5], v1 offset:1744
	ds_load_b128 v[10:13], v1 offset:1760
	s_waitcnt vmcnt(5) lgkmcnt(1)
	v_mul_f64 v[170:171], v[2:3], v[28:29]
	v_mul_f64 v[28:29], v[4:5], v[28:29]
	v_add_f64 v[14:15], v[14:15], v[18:19]
	v_add_f64 v[16:17], v[20:21], v[166:167]
	s_waitcnt vmcnt(4) lgkmcnt(0)
	v_mul_f64 v[18:19], v[10:11], v[32:33]
	v_mul_f64 v[20:21], v[12:13], v[32:33]
	v_fma_f64 v[22:23], v[4:5], v[26:27], v[170:171]
	v_fma_f64 v[24:25], v[2:3], v[26:27], -v[28:29]
	v_add_f64 v[14:15], v[14:15], v[6:7]
	v_add_f64 v[16:17], v[16:17], v[8:9]
	ds_load_b128 v[2:5], v1 offset:1776
	ds_load_b128 v[6:9], v1 offset:1792
	v_fma_f64 v[12:13], v[12:13], v[30:31], v[18:19]
	v_fma_f64 v[10:11], v[10:11], v[30:31], -v[20:21]
	s_waitcnt vmcnt(3) lgkmcnt(1)
	v_mul_f64 v[26:27], v[2:3], v[40:41]
	v_mul_f64 v[28:29], v[4:5], v[40:41]
	s_waitcnt vmcnt(1) lgkmcnt(0)
	v_mul_f64 v[18:19], v[6:7], v[183:184]
	v_mul_f64 v[20:21], v[8:9], v[183:184]
	v_add_f64 v[14:15], v[14:15], v[24:25]
	v_add_f64 v[16:17], v[16:17], v[22:23]
	v_fma_f64 v[22:23], v[4:5], v[38:39], v[26:27]
	v_fma_f64 v[24:25], v[2:3], v[38:39], -v[28:29]
	ds_load_b128 v[2:5], v1 offset:1808
	v_fma_f64 v[8:9], v[8:9], v[181:182], v[18:19]
	v_fma_f64 v[6:7], v[6:7], v[181:182], -v[20:21]
	v_add_f64 v[10:11], v[14:15], v[10:11]
	v_add_f64 v[12:13], v[16:17], v[12:13]
	s_waitcnt vmcnt(0) lgkmcnt(0)
	v_mul_f64 v[14:15], v[2:3], v[36:37]
	v_mul_f64 v[16:17], v[4:5], v[36:37]
	s_delay_alu instid0(VALU_DEP_4) | instskip(NEXT) | instid1(VALU_DEP_4)
	v_add_f64 v[10:11], v[10:11], v[24:25]
	v_add_f64 v[12:13], v[12:13], v[22:23]
	s_delay_alu instid0(VALU_DEP_4) | instskip(NEXT) | instid1(VALU_DEP_4)
	v_fma_f64 v[4:5], v[4:5], v[34:35], v[14:15]
	v_fma_f64 v[2:3], v[2:3], v[34:35], -v[16:17]
	s_delay_alu instid0(VALU_DEP_4) | instskip(NEXT) | instid1(VALU_DEP_4)
	v_add_f64 v[6:7], v[10:11], v[6:7]
	v_add_f64 v[8:9], v[12:13], v[8:9]
	s_delay_alu instid0(VALU_DEP_2) | instskip(NEXT) | instid1(VALU_DEP_2)
	v_add_f64 v[2:3], v[6:7], v[2:3]
	v_add_f64 v[4:5], v[8:9], v[4:5]
	s_delay_alu instid0(VALU_DEP_2) | instskip(NEXT) | instid1(VALU_DEP_2)
	v_add_f64 v[2:3], v[173:174], -v[2:3]
	v_add_f64 v[4:5], v[175:176], -v[4:5]
	scratch_store_b128 off, v[2:5], off offset:720
	v_cmpx_lt_u32_e32 44, v156
	s_cbranch_execz .LBB120_267
; %bb.266:
	scratch_load_b128 v[5:8], v235, off
	v_mov_b32_e32 v2, v1
	v_mov_b32_e32 v3, v1
	;; [unrolled: 1-line block ×3, first 2 shown]
	scratch_store_b128 off, v[1:4], off offset:704
	s_waitcnt vmcnt(0)
	ds_store_b128 v213, v[5:8]
.LBB120_267:
	s_or_b32 exec_lo, exec_lo, s2
	s_waitcnt lgkmcnt(0)
	s_waitcnt_vscnt null, 0x0
	s_barrier
	buffer_gl0_inv
	s_clause 0x8
	scratch_load_b128 v[2:5], off, off offset:720
	scratch_load_b128 v[6:9], off, off offset:736
	;; [unrolled: 1-line block ×9, first 2 shown]
	ds_load_b128 v[38:41], v1 offset:1632
	ds_load_b128 v[173:176], v1 offset:1648
	s_clause 0x1
	scratch_load_b128 v[177:180], off, off offset:704
	scratch_load_b128 v[181:184], off, off offset:864
	s_mov_b32 s2, exec_lo
	ds_load_b128 v[185:188], v1 offset:1680
	s_waitcnt vmcnt(10) lgkmcnt(2)
	v_mul_f64 v[166:167], v[40:41], v[4:5]
	v_mul_f64 v[4:5], v[38:39], v[4:5]
	s_waitcnt vmcnt(9) lgkmcnt(1)
	v_mul_f64 v[170:171], v[173:174], v[8:9]
	v_mul_f64 v[8:9], v[175:176], v[8:9]
	s_delay_alu instid0(VALU_DEP_4) | instskip(NEXT) | instid1(VALU_DEP_4)
	v_fma_f64 v[166:167], v[38:39], v[2:3], -v[166:167]
	v_fma_f64 v[189:190], v[40:41], v[2:3], v[4:5]
	ds_load_b128 v[2:5], v1 offset:1664
	scratch_load_b128 v[38:41], off, off offset:880
	v_fma_f64 v[170:171], v[175:176], v[6:7], v[170:171]
	v_fma_f64 v[173:174], v[173:174], v[6:7], -v[8:9]
	scratch_load_b128 v[6:9], off, off offset:896
	s_waitcnt vmcnt(10) lgkmcnt(0)
	v_mul_f64 v[191:192], v[2:3], v[12:13]
	v_mul_f64 v[12:13], v[4:5], v[12:13]
	v_add_f64 v[166:167], v[166:167], 0
	v_add_f64 v[175:176], v[189:190], 0
	s_waitcnt vmcnt(9)
	v_mul_f64 v[189:190], v[185:186], v[16:17]
	v_mul_f64 v[16:17], v[187:188], v[16:17]
	v_fma_f64 v[191:192], v[4:5], v[10:11], v[191:192]
	v_fma_f64 v[236:237], v[2:3], v[10:11], -v[12:13]
	ds_load_b128 v[2:5], v1 offset:1696
	ds_load_b128 v[10:13], v1 offset:1712
	v_add_f64 v[166:167], v[166:167], v[173:174]
	v_add_f64 v[170:171], v[175:176], v[170:171]
	v_fma_f64 v[175:176], v[187:188], v[14:15], v[189:190]
	v_fma_f64 v[14:15], v[185:186], v[14:15], -v[16:17]
	s_waitcnt vmcnt(8) lgkmcnt(1)
	v_mul_f64 v[173:174], v[2:3], v[20:21]
	v_mul_f64 v[20:21], v[4:5], v[20:21]
	v_add_f64 v[16:17], v[166:167], v[236:237]
	v_add_f64 v[166:167], v[170:171], v[191:192]
	s_waitcnt vmcnt(7) lgkmcnt(0)
	v_mul_f64 v[170:171], v[10:11], v[24:25]
	v_mul_f64 v[24:25], v[12:13], v[24:25]
	v_fma_f64 v[173:174], v[4:5], v[18:19], v[173:174]
	v_fma_f64 v[18:19], v[2:3], v[18:19], -v[20:21]
	v_add_f64 v[20:21], v[16:17], v[14:15]
	v_add_f64 v[166:167], v[166:167], v[175:176]
	ds_load_b128 v[2:5], v1 offset:1728
	ds_load_b128 v[14:17], v1 offset:1744
	v_fma_f64 v[12:13], v[12:13], v[22:23], v[170:171]
	v_fma_f64 v[10:11], v[10:11], v[22:23], -v[24:25]
	s_waitcnt vmcnt(6) lgkmcnt(1)
	v_mul_f64 v[175:176], v[2:3], v[28:29]
	v_mul_f64 v[28:29], v[4:5], v[28:29]
	s_waitcnt vmcnt(5) lgkmcnt(0)
	v_mul_f64 v[22:23], v[14:15], v[32:33]
	v_mul_f64 v[24:25], v[16:17], v[32:33]
	v_add_f64 v[18:19], v[20:21], v[18:19]
	v_add_f64 v[20:21], v[166:167], v[173:174]
	v_fma_f64 v[32:33], v[4:5], v[26:27], v[175:176]
	v_fma_f64 v[26:27], v[2:3], v[26:27], -v[28:29]
	v_fma_f64 v[16:17], v[16:17], v[30:31], v[22:23]
	v_fma_f64 v[14:15], v[14:15], v[30:31], -v[24:25]
	v_add_f64 v[18:19], v[18:19], v[10:11]
	v_add_f64 v[20:21], v[20:21], v[12:13]
	ds_load_b128 v[2:5], v1 offset:1760
	ds_load_b128 v[10:13], v1 offset:1776
	s_waitcnt vmcnt(4) lgkmcnt(1)
	v_mul_f64 v[28:29], v[2:3], v[36:37]
	v_mul_f64 v[36:37], v[4:5], v[36:37]
	s_waitcnt vmcnt(2) lgkmcnt(0)
	v_mul_f64 v[22:23], v[10:11], v[183:184]
	v_mul_f64 v[24:25], v[12:13], v[183:184]
	v_add_f64 v[18:19], v[18:19], v[26:27]
	v_add_f64 v[20:21], v[20:21], v[32:33]
	v_fma_f64 v[26:27], v[4:5], v[34:35], v[28:29]
	v_fma_f64 v[28:29], v[2:3], v[34:35], -v[36:37]
	v_fma_f64 v[12:13], v[12:13], v[181:182], v[22:23]
	v_fma_f64 v[10:11], v[10:11], v[181:182], -v[24:25]
	v_add_f64 v[18:19], v[18:19], v[14:15]
	v_add_f64 v[20:21], v[20:21], v[16:17]
	ds_load_b128 v[2:5], v1 offset:1792
	ds_load_b128 v[14:17], v1 offset:1808
	s_waitcnt vmcnt(1) lgkmcnt(1)
	v_mul_f64 v[30:31], v[2:3], v[40:41]
	v_mul_f64 v[32:33], v[4:5], v[40:41]
	s_waitcnt vmcnt(0) lgkmcnt(0)
	v_mul_f64 v[22:23], v[14:15], v[8:9]
	v_mul_f64 v[8:9], v[16:17], v[8:9]
	v_add_f64 v[18:19], v[18:19], v[28:29]
	v_add_f64 v[20:21], v[20:21], v[26:27]
	v_fma_f64 v[4:5], v[4:5], v[38:39], v[30:31]
	v_fma_f64 v[1:2], v[2:3], v[38:39], -v[32:33]
	v_fma_f64 v[16:17], v[16:17], v[6:7], v[22:23]
	v_fma_f64 v[6:7], v[14:15], v[6:7], -v[8:9]
	v_add_f64 v[10:11], v[18:19], v[10:11]
	v_add_f64 v[12:13], v[20:21], v[12:13]
	s_delay_alu instid0(VALU_DEP_2) | instskip(NEXT) | instid1(VALU_DEP_2)
	v_add_f64 v[1:2], v[10:11], v[1:2]
	v_add_f64 v[3:4], v[12:13], v[4:5]
	s_delay_alu instid0(VALU_DEP_2) | instskip(NEXT) | instid1(VALU_DEP_2)
	;; [unrolled: 3-line block ×3, first 2 shown]
	v_add_f64 v[1:2], v[177:178], -v[1:2]
	v_add_f64 v[3:4], v[179:180], -v[3:4]
	scratch_store_b128 off, v[1:4], off offset:704
	v_cmpx_lt_u32_e32 43, v156
	s_cbranch_execz .LBB120_269
; %bb.268:
	scratch_load_b128 v[1:4], v215, off
	v_mov_b32_e32 v5, 0
	s_delay_alu instid0(VALU_DEP_1)
	v_mov_b32_e32 v6, v5
	v_mov_b32_e32 v7, v5
	;; [unrolled: 1-line block ×3, first 2 shown]
	scratch_store_b128 off, v[5:8], off offset:688
	s_waitcnt vmcnt(0)
	ds_store_b128 v213, v[1:4]
.LBB120_269:
	s_or_b32 exec_lo, exec_lo, s2
	s_waitcnt lgkmcnt(0)
	s_waitcnt_vscnt null, 0x0
	s_barrier
	buffer_gl0_inv
	s_clause 0x7
	scratch_load_b128 v[2:5], off, off offset:704
	scratch_load_b128 v[6:9], off, off offset:720
	;; [unrolled: 1-line block ×8, first 2 shown]
	v_mov_b32_e32 v1, 0
	s_clause 0x1
	scratch_load_b128 v[38:41], off, off offset:832
	scratch_load_b128 v[177:180], off, off offset:848
	s_mov_b32 s2, exec_lo
	ds_load_b128 v[34:37], v1 offset:1616
	ds_load_b128 v[173:176], v1 offset:1632
	s_waitcnt vmcnt(9) lgkmcnt(1)
	v_mul_f64 v[166:167], v[36:37], v[4:5]
	v_mul_f64 v[4:5], v[34:35], v[4:5]
	s_waitcnt vmcnt(8) lgkmcnt(0)
	v_mul_f64 v[170:171], v[173:174], v[8:9]
	v_mul_f64 v[8:9], v[175:176], v[8:9]
	s_delay_alu instid0(VALU_DEP_4) | instskip(NEXT) | instid1(VALU_DEP_4)
	v_fma_f64 v[166:167], v[34:35], v[2:3], -v[166:167]
	v_fma_f64 v[181:182], v[36:37], v[2:3], v[4:5]
	ds_load_b128 v[2:5], v1 offset:1648
	scratch_load_b128 v[34:37], off, off offset:864
	v_fma_f64 v[170:171], v[175:176], v[6:7], v[170:171]
	v_fma_f64 v[185:186], v[173:174], v[6:7], -v[8:9]
	ds_load_b128 v[6:9], v1 offset:1664
	scratch_load_b128 v[173:176], off, off offset:880
	s_waitcnt vmcnt(9) lgkmcnt(1)
	v_mul_f64 v[183:184], v[2:3], v[12:13]
	v_mul_f64 v[12:13], v[4:5], v[12:13]
	s_waitcnt vmcnt(8) lgkmcnt(0)
	v_mul_f64 v[187:188], v[6:7], v[16:17]
	v_mul_f64 v[16:17], v[8:9], v[16:17]
	v_add_f64 v[166:167], v[166:167], 0
	v_add_f64 v[181:182], v[181:182], 0
	v_fma_f64 v[183:184], v[4:5], v[10:11], v[183:184]
	v_fma_f64 v[189:190], v[2:3], v[10:11], -v[12:13]
	scratch_load_b128 v[10:13], off, off offset:896
	ds_load_b128 v[2:5], v1 offset:1680
	v_add_f64 v[166:167], v[166:167], v[185:186]
	v_add_f64 v[170:171], v[181:182], v[170:171]
	v_fma_f64 v[185:186], v[8:9], v[14:15], v[187:188]
	v_fma_f64 v[14:15], v[6:7], v[14:15], -v[16:17]
	ds_load_b128 v[6:9], v1 offset:1696
	s_waitcnt vmcnt(8) lgkmcnt(1)
	v_mul_f64 v[181:182], v[2:3], v[20:21]
	v_mul_f64 v[20:21], v[4:5], v[20:21]
	v_add_f64 v[16:17], v[166:167], v[189:190]
	v_add_f64 v[166:167], v[170:171], v[183:184]
	s_waitcnt vmcnt(7) lgkmcnt(0)
	v_mul_f64 v[170:171], v[6:7], v[24:25]
	v_mul_f64 v[24:25], v[8:9], v[24:25]
	v_fma_f64 v[181:182], v[4:5], v[18:19], v[181:182]
	v_fma_f64 v[18:19], v[2:3], v[18:19], -v[20:21]
	ds_load_b128 v[2:5], v1 offset:1712
	v_add_f64 v[14:15], v[16:17], v[14:15]
	v_add_f64 v[16:17], v[166:167], v[185:186]
	v_fma_f64 v[166:167], v[8:9], v[22:23], v[170:171]
	v_fma_f64 v[22:23], v[6:7], v[22:23], -v[24:25]
	ds_load_b128 v[6:9], v1 offset:1728
	s_waitcnt vmcnt(6) lgkmcnt(1)
	v_mul_f64 v[20:21], v[2:3], v[28:29]
	v_mul_f64 v[28:29], v[4:5], v[28:29]
	s_waitcnt vmcnt(5) lgkmcnt(0)
	v_mul_f64 v[170:171], v[6:7], v[32:33]
	v_mul_f64 v[32:33], v[8:9], v[32:33]
	v_add_f64 v[18:19], v[14:15], v[18:19]
	v_add_f64 v[24:25], v[16:17], v[181:182]
	scratch_load_b128 v[14:17], off, off offset:688
	v_fma_f64 v[20:21], v[4:5], v[26:27], v[20:21]
	v_fma_f64 v[26:27], v[2:3], v[26:27], -v[28:29]
	ds_load_b128 v[2:5], v1 offset:1744
	s_waitcnt vmcnt(5) lgkmcnt(0)
	v_mul_f64 v[28:29], v[4:5], v[40:41]
	v_add_f64 v[18:19], v[18:19], v[22:23]
	v_add_f64 v[22:23], v[24:25], v[166:167]
	v_mul_f64 v[24:25], v[2:3], v[40:41]
	v_fma_f64 v[40:41], v[8:9], v[30:31], v[170:171]
	v_fma_f64 v[30:31], v[6:7], v[30:31], -v[32:33]
	ds_load_b128 v[6:9], v1 offset:1760
	v_fma_f64 v[28:29], v[2:3], v[38:39], -v[28:29]
	v_add_f64 v[18:19], v[18:19], v[26:27]
	v_add_f64 v[20:21], v[22:23], v[20:21]
	v_fma_f64 v[24:25], v[4:5], v[38:39], v[24:25]
	ds_load_b128 v[2:5], v1 offset:1776
	s_waitcnt vmcnt(4) lgkmcnt(1)
	v_mul_f64 v[22:23], v[6:7], v[179:180]
	v_mul_f64 v[26:27], v[8:9], v[179:180]
	v_add_f64 v[18:19], v[18:19], v[30:31]
	v_add_f64 v[20:21], v[20:21], v[40:41]
	s_delay_alu instid0(VALU_DEP_4) | instskip(NEXT) | instid1(VALU_DEP_4)
	v_fma_f64 v[22:23], v[8:9], v[177:178], v[22:23]
	v_fma_f64 v[26:27], v[6:7], v[177:178], -v[26:27]
	ds_load_b128 v[6:9], v1 offset:1792
	s_waitcnt vmcnt(3) lgkmcnt(1)
	v_mul_f64 v[30:31], v[2:3], v[36:37]
	v_mul_f64 v[32:33], v[4:5], v[36:37]
	v_add_f64 v[18:19], v[18:19], v[28:29]
	v_add_f64 v[20:21], v[20:21], v[24:25]
	s_delay_alu instid0(VALU_DEP_4) | instskip(NEXT) | instid1(VALU_DEP_4)
	v_fma_f64 v[30:31], v[4:5], v[34:35], v[30:31]
	v_fma_f64 v[32:33], v[2:3], v[34:35], -v[32:33]
	ds_load_b128 v[2:5], v1 offset:1808
	s_waitcnt vmcnt(2) lgkmcnt(1)
	v_mul_f64 v[24:25], v[6:7], v[175:176]
	v_mul_f64 v[28:29], v[8:9], v[175:176]
	v_add_f64 v[18:19], v[18:19], v[26:27]
	v_add_f64 v[20:21], v[20:21], v[22:23]
	s_waitcnt vmcnt(1) lgkmcnt(0)
	v_mul_f64 v[22:23], v[2:3], v[12:13]
	v_mul_f64 v[12:13], v[4:5], v[12:13]
	v_fma_f64 v[8:9], v[8:9], v[173:174], v[24:25]
	v_fma_f64 v[6:7], v[6:7], v[173:174], -v[28:29]
	v_add_f64 v[18:19], v[18:19], v[32:33]
	v_add_f64 v[20:21], v[20:21], v[30:31]
	v_fma_f64 v[4:5], v[4:5], v[10:11], v[22:23]
	v_fma_f64 v[2:3], v[2:3], v[10:11], -v[12:13]
	s_delay_alu instid0(VALU_DEP_4) | instskip(NEXT) | instid1(VALU_DEP_4)
	v_add_f64 v[6:7], v[18:19], v[6:7]
	v_add_f64 v[8:9], v[20:21], v[8:9]
	s_delay_alu instid0(VALU_DEP_2) | instskip(NEXT) | instid1(VALU_DEP_2)
	v_add_f64 v[2:3], v[6:7], v[2:3]
	v_add_f64 v[4:5], v[8:9], v[4:5]
	s_waitcnt vmcnt(0)
	s_delay_alu instid0(VALU_DEP_2) | instskip(NEXT) | instid1(VALU_DEP_2)
	v_add_f64 v[2:3], v[14:15], -v[2:3]
	v_add_f64 v[4:5], v[16:17], -v[4:5]
	scratch_store_b128 off, v[2:5], off offset:688
	v_cmpx_lt_u32_e32 42, v156
	s_cbranch_execz .LBB120_271
; %bb.270:
	scratch_load_b128 v[5:8], v216, off
	v_mov_b32_e32 v2, v1
	v_mov_b32_e32 v3, v1
	;; [unrolled: 1-line block ×3, first 2 shown]
	scratch_store_b128 off, v[1:4], off offset:672
	s_waitcnt vmcnt(0)
	ds_store_b128 v213, v[5:8]
.LBB120_271:
	s_or_b32 exec_lo, exec_lo, s2
	s_waitcnt lgkmcnt(0)
	s_waitcnt_vscnt null, 0x0
	s_barrier
	buffer_gl0_inv
	s_clause 0x7
	scratch_load_b128 v[2:5], off, off offset:688
	scratch_load_b128 v[6:9], off, off offset:704
	scratch_load_b128 v[10:13], off, off offset:720
	scratch_load_b128 v[14:17], off, off offset:736
	scratch_load_b128 v[18:21], off, off offset:752
	scratch_load_b128 v[22:25], off, off offset:768
	scratch_load_b128 v[26:29], off, off offset:784
	scratch_load_b128 v[30:33], off, off offset:800
	ds_load_b128 v[34:37], v1 offset:1600
	ds_load_b128 v[173:176], v1 offset:1616
	s_clause 0x1
	scratch_load_b128 v[38:41], off, off offset:816
	scratch_load_b128 v[177:180], off, off offset:832
	s_mov_b32 s2, exec_lo
	s_waitcnt vmcnt(9) lgkmcnt(1)
	v_mul_f64 v[166:167], v[36:37], v[4:5]
	v_mul_f64 v[4:5], v[34:35], v[4:5]
	s_waitcnt vmcnt(8) lgkmcnt(0)
	v_mul_f64 v[170:171], v[173:174], v[8:9]
	v_mul_f64 v[8:9], v[175:176], v[8:9]
	s_delay_alu instid0(VALU_DEP_4) | instskip(NEXT) | instid1(VALU_DEP_4)
	v_fma_f64 v[166:167], v[34:35], v[2:3], -v[166:167]
	v_fma_f64 v[181:182], v[36:37], v[2:3], v[4:5]
	scratch_load_b128 v[34:37], off, off offset:848
	ds_load_b128 v[2:5], v1 offset:1632
	v_fma_f64 v[170:171], v[175:176], v[6:7], v[170:171]
	v_fma_f64 v[185:186], v[173:174], v[6:7], -v[8:9]
	ds_load_b128 v[6:9], v1 offset:1648
	scratch_load_b128 v[173:176], off, off offset:864
	s_waitcnt vmcnt(9) lgkmcnt(1)
	v_mul_f64 v[183:184], v[2:3], v[12:13]
	v_mul_f64 v[12:13], v[4:5], v[12:13]
	s_waitcnt vmcnt(8) lgkmcnt(0)
	v_mul_f64 v[187:188], v[6:7], v[16:17]
	v_mul_f64 v[16:17], v[8:9], v[16:17]
	v_add_f64 v[166:167], v[166:167], 0
	v_add_f64 v[181:182], v[181:182], 0
	v_fma_f64 v[183:184], v[4:5], v[10:11], v[183:184]
	v_fma_f64 v[189:190], v[2:3], v[10:11], -v[12:13]
	scratch_load_b128 v[10:13], off, off offset:880
	ds_load_b128 v[2:5], v1 offset:1664
	v_add_f64 v[166:167], v[166:167], v[185:186]
	v_add_f64 v[170:171], v[181:182], v[170:171]
	v_fma_f64 v[185:186], v[8:9], v[14:15], v[187:188]
	v_fma_f64 v[187:188], v[6:7], v[14:15], -v[16:17]
	ds_load_b128 v[6:9], v1 offset:1680
	scratch_load_b128 v[14:17], off, off offset:896
	s_waitcnt vmcnt(9) lgkmcnt(1)
	v_mul_f64 v[181:182], v[2:3], v[20:21]
	v_mul_f64 v[20:21], v[4:5], v[20:21]
	v_add_f64 v[166:167], v[166:167], v[189:190]
	v_add_f64 v[170:171], v[170:171], v[183:184]
	s_waitcnt vmcnt(8) lgkmcnt(0)
	v_mul_f64 v[183:184], v[6:7], v[24:25]
	v_mul_f64 v[24:25], v[8:9], v[24:25]
	v_fma_f64 v[181:182], v[4:5], v[18:19], v[181:182]
	v_fma_f64 v[18:19], v[2:3], v[18:19], -v[20:21]
	ds_load_b128 v[2:5], v1 offset:1696
	v_add_f64 v[20:21], v[166:167], v[187:188]
	v_add_f64 v[166:167], v[170:171], v[185:186]
	v_fma_f64 v[183:184], v[8:9], v[22:23], v[183:184]
	v_fma_f64 v[22:23], v[6:7], v[22:23], -v[24:25]
	ds_load_b128 v[6:9], v1 offset:1712
	s_waitcnt vmcnt(7) lgkmcnt(1)
	v_mul_f64 v[170:171], v[2:3], v[28:29]
	v_mul_f64 v[28:29], v[4:5], v[28:29]
	s_waitcnt vmcnt(6) lgkmcnt(0)
	v_mul_f64 v[24:25], v[6:7], v[32:33]
	v_mul_f64 v[32:33], v[8:9], v[32:33]
	v_add_f64 v[18:19], v[20:21], v[18:19]
	v_add_f64 v[20:21], v[166:167], v[181:182]
	v_fma_f64 v[166:167], v[4:5], v[26:27], v[170:171]
	v_fma_f64 v[26:27], v[2:3], v[26:27], -v[28:29]
	ds_load_b128 v[2:5], v1 offset:1728
	v_fma_f64 v[24:25], v[8:9], v[30:31], v[24:25]
	v_fma_f64 v[30:31], v[6:7], v[30:31], -v[32:33]
	ds_load_b128 v[6:9], v1 offset:1744
	v_add_f64 v[22:23], v[18:19], v[22:23]
	v_add_f64 v[28:29], v[20:21], v[183:184]
	scratch_load_b128 v[18:21], off, off offset:672
	s_waitcnt vmcnt(6) lgkmcnt(1)
	v_mul_f64 v[170:171], v[2:3], v[40:41]
	v_mul_f64 v[40:41], v[4:5], v[40:41]
	s_waitcnt vmcnt(5) lgkmcnt(0)
	v_mul_f64 v[32:33], v[8:9], v[179:180]
	v_add_f64 v[22:23], v[22:23], v[26:27]
	v_add_f64 v[26:27], v[28:29], v[166:167]
	v_mul_f64 v[28:29], v[6:7], v[179:180]
	v_fma_f64 v[166:167], v[4:5], v[38:39], v[170:171]
	v_fma_f64 v[38:39], v[2:3], v[38:39], -v[40:41]
	ds_load_b128 v[2:5], v1 offset:1760
	v_fma_f64 v[32:33], v[6:7], v[177:178], -v[32:33]
	v_add_f64 v[22:23], v[22:23], v[30:31]
	v_add_f64 v[24:25], v[26:27], v[24:25]
	v_fma_f64 v[28:29], v[8:9], v[177:178], v[28:29]
	ds_load_b128 v[6:9], v1 offset:1776
	s_waitcnt vmcnt(4) lgkmcnt(1)
	v_mul_f64 v[26:27], v[2:3], v[36:37]
	v_mul_f64 v[30:31], v[4:5], v[36:37]
	s_waitcnt vmcnt(3) lgkmcnt(0)
	v_mul_f64 v[36:37], v[6:7], v[175:176]
	v_add_f64 v[22:23], v[22:23], v[38:39]
	v_add_f64 v[24:25], v[24:25], v[166:167]
	v_mul_f64 v[38:39], v[8:9], v[175:176]
	v_fma_f64 v[26:27], v[4:5], v[34:35], v[26:27]
	v_fma_f64 v[30:31], v[2:3], v[34:35], -v[30:31]
	ds_load_b128 v[2:5], v1 offset:1792
	v_add_f64 v[22:23], v[22:23], v[32:33]
	v_add_f64 v[24:25], v[24:25], v[28:29]
	v_fma_f64 v[32:33], v[8:9], v[173:174], v[36:37]
	v_fma_f64 v[34:35], v[6:7], v[173:174], -v[38:39]
	ds_load_b128 v[6:9], v1 offset:1808
	s_waitcnt vmcnt(2) lgkmcnt(1)
	v_mul_f64 v[28:29], v[2:3], v[12:13]
	v_mul_f64 v[12:13], v[4:5], v[12:13]
	v_add_f64 v[22:23], v[22:23], v[30:31]
	v_add_f64 v[24:25], v[24:25], v[26:27]
	s_waitcnt vmcnt(1) lgkmcnt(0)
	v_mul_f64 v[26:27], v[6:7], v[16:17]
	v_mul_f64 v[16:17], v[8:9], v[16:17]
	v_fma_f64 v[4:5], v[4:5], v[10:11], v[28:29]
	v_fma_f64 v[1:2], v[2:3], v[10:11], -v[12:13]
	v_add_f64 v[10:11], v[22:23], v[34:35]
	v_add_f64 v[12:13], v[24:25], v[32:33]
	v_fma_f64 v[8:9], v[8:9], v[14:15], v[26:27]
	v_fma_f64 v[6:7], v[6:7], v[14:15], -v[16:17]
	s_delay_alu instid0(VALU_DEP_4) | instskip(NEXT) | instid1(VALU_DEP_4)
	v_add_f64 v[1:2], v[10:11], v[1:2]
	v_add_f64 v[3:4], v[12:13], v[4:5]
	s_delay_alu instid0(VALU_DEP_2) | instskip(NEXT) | instid1(VALU_DEP_2)
	v_add_f64 v[1:2], v[1:2], v[6:7]
	v_add_f64 v[3:4], v[3:4], v[8:9]
	s_waitcnt vmcnt(0)
	s_delay_alu instid0(VALU_DEP_2) | instskip(NEXT) | instid1(VALU_DEP_2)
	v_add_f64 v[1:2], v[18:19], -v[1:2]
	v_add_f64 v[3:4], v[20:21], -v[3:4]
	scratch_store_b128 off, v[1:4], off offset:672
	v_cmpx_lt_u32_e32 41, v156
	s_cbranch_execz .LBB120_273
; %bb.272:
	scratch_load_b128 v[1:4], v217, off
	v_mov_b32_e32 v5, 0
	s_delay_alu instid0(VALU_DEP_1)
	v_mov_b32_e32 v6, v5
	v_mov_b32_e32 v7, v5
	;; [unrolled: 1-line block ×3, first 2 shown]
	scratch_store_b128 off, v[5:8], off offset:656
	s_waitcnt vmcnt(0)
	ds_store_b128 v213, v[1:4]
.LBB120_273:
	s_or_b32 exec_lo, exec_lo, s2
	s_waitcnt lgkmcnt(0)
	s_waitcnt_vscnt null, 0x0
	s_barrier
	buffer_gl0_inv
	s_clause 0x7
	scratch_load_b128 v[2:5], off, off offset:672
	scratch_load_b128 v[6:9], off, off offset:688
	;; [unrolled: 1-line block ×8, first 2 shown]
	v_mov_b32_e32 v1, 0
	s_clause 0x1
	scratch_load_b128 v[38:41], off, off offset:800
	scratch_load_b128 v[177:180], off, off offset:816
	s_mov_b32 s2, exec_lo
	ds_load_b128 v[34:37], v1 offset:1584
	ds_load_b128 v[173:176], v1 offset:1600
	s_waitcnt vmcnt(9) lgkmcnt(1)
	v_mul_f64 v[166:167], v[36:37], v[4:5]
	v_mul_f64 v[4:5], v[34:35], v[4:5]
	s_waitcnt vmcnt(8) lgkmcnt(0)
	v_mul_f64 v[170:171], v[173:174], v[8:9]
	v_mul_f64 v[8:9], v[175:176], v[8:9]
	s_delay_alu instid0(VALU_DEP_4) | instskip(NEXT) | instid1(VALU_DEP_4)
	v_fma_f64 v[166:167], v[34:35], v[2:3], -v[166:167]
	v_fma_f64 v[181:182], v[36:37], v[2:3], v[4:5]
	ds_load_b128 v[2:5], v1 offset:1616
	scratch_load_b128 v[34:37], off, off offset:832
	v_fma_f64 v[170:171], v[175:176], v[6:7], v[170:171]
	v_fma_f64 v[185:186], v[173:174], v[6:7], -v[8:9]
	ds_load_b128 v[6:9], v1 offset:1632
	scratch_load_b128 v[173:176], off, off offset:848
	s_waitcnt vmcnt(9) lgkmcnt(1)
	v_mul_f64 v[183:184], v[2:3], v[12:13]
	v_mul_f64 v[12:13], v[4:5], v[12:13]
	s_waitcnt vmcnt(8) lgkmcnt(0)
	v_mul_f64 v[187:188], v[6:7], v[16:17]
	v_mul_f64 v[16:17], v[8:9], v[16:17]
	v_add_f64 v[166:167], v[166:167], 0
	v_add_f64 v[181:182], v[181:182], 0
	v_fma_f64 v[183:184], v[4:5], v[10:11], v[183:184]
	v_fma_f64 v[189:190], v[2:3], v[10:11], -v[12:13]
	scratch_load_b128 v[10:13], off, off offset:864
	ds_load_b128 v[2:5], v1 offset:1648
	v_add_f64 v[166:167], v[166:167], v[185:186]
	v_add_f64 v[170:171], v[181:182], v[170:171]
	v_fma_f64 v[185:186], v[8:9], v[14:15], v[187:188]
	v_fma_f64 v[187:188], v[6:7], v[14:15], -v[16:17]
	ds_load_b128 v[6:9], v1 offset:1664
	scratch_load_b128 v[14:17], off, off offset:880
	s_waitcnt vmcnt(9) lgkmcnt(1)
	v_mul_f64 v[181:182], v[2:3], v[20:21]
	v_mul_f64 v[20:21], v[4:5], v[20:21]
	v_add_f64 v[166:167], v[166:167], v[189:190]
	v_add_f64 v[170:171], v[170:171], v[183:184]
	s_waitcnt vmcnt(8) lgkmcnt(0)
	v_mul_f64 v[183:184], v[6:7], v[24:25]
	v_mul_f64 v[24:25], v[8:9], v[24:25]
	v_fma_f64 v[181:182], v[4:5], v[18:19], v[181:182]
	v_fma_f64 v[189:190], v[2:3], v[18:19], -v[20:21]
	scratch_load_b128 v[18:21], off, off offset:896
	ds_load_b128 v[2:5], v1 offset:1680
	v_add_f64 v[166:167], v[166:167], v[187:188]
	v_add_f64 v[170:171], v[170:171], v[185:186]
	v_fma_f64 v[183:184], v[8:9], v[22:23], v[183:184]
	v_fma_f64 v[22:23], v[6:7], v[22:23], -v[24:25]
	ds_load_b128 v[6:9], v1 offset:1696
	s_waitcnt vmcnt(8) lgkmcnt(1)
	v_mul_f64 v[185:186], v[2:3], v[28:29]
	v_mul_f64 v[28:29], v[4:5], v[28:29]
	v_add_f64 v[24:25], v[166:167], v[189:190]
	v_add_f64 v[166:167], v[170:171], v[181:182]
	s_waitcnt vmcnt(7) lgkmcnt(0)
	v_mul_f64 v[170:171], v[6:7], v[32:33]
	v_mul_f64 v[32:33], v[8:9], v[32:33]
	v_fma_f64 v[181:182], v[4:5], v[26:27], v[185:186]
	v_fma_f64 v[26:27], v[2:3], v[26:27], -v[28:29]
	ds_load_b128 v[2:5], v1 offset:1712
	v_add_f64 v[22:23], v[24:25], v[22:23]
	v_add_f64 v[24:25], v[166:167], v[183:184]
	v_fma_f64 v[166:167], v[8:9], v[30:31], v[170:171]
	v_fma_f64 v[30:31], v[6:7], v[30:31], -v[32:33]
	ds_load_b128 v[6:9], v1 offset:1728
	s_waitcnt vmcnt(5) lgkmcnt(0)
	v_mul_f64 v[170:171], v[6:7], v[179:180]
	v_mul_f64 v[179:180], v[8:9], v[179:180]
	v_add_f64 v[26:27], v[22:23], v[26:27]
	v_add_f64 v[32:33], v[24:25], v[181:182]
	scratch_load_b128 v[22:25], off, off offset:656
	v_mul_f64 v[28:29], v[2:3], v[40:41]
	v_mul_f64 v[40:41], v[4:5], v[40:41]
	v_add_f64 v[26:27], v[26:27], v[30:31]
	v_add_f64 v[30:31], v[32:33], v[166:167]
	v_fma_f64 v[166:167], v[6:7], v[177:178], -v[179:180]
	v_fma_f64 v[28:29], v[4:5], v[38:39], v[28:29]
	v_fma_f64 v[38:39], v[2:3], v[38:39], -v[40:41]
	ds_load_b128 v[2:5], v1 offset:1744
	v_fma_f64 v[40:41], v[8:9], v[177:178], v[170:171]
	ds_load_b128 v[6:9], v1 offset:1760
	s_waitcnt vmcnt(5) lgkmcnt(1)
	v_mul_f64 v[32:33], v[2:3], v[36:37]
	v_mul_f64 v[36:37], v[4:5], v[36:37]
	v_add_f64 v[28:29], v[30:31], v[28:29]
	v_add_f64 v[26:27], v[26:27], v[38:39]
	s_waitcnt vmcnt(4) lgkmcnt(0)
	v_mul_f64 v[30:31], v[6:7], v[175:176]
	v_mul_f64 v[38:39], v[8:9], v[175:176]
	v_fma_f64 v[32:33], v[4:5], v[34:35], v[32:33]
	v_fma_f64 v[34:35], v[2:3], v[34:35], -v[36:37]
	ds_load_b128 v[2:5], v1 offset:1776
	v_add_f64 v[28:29], v[28:29], v[40:41]
	v_add_f64 v[26:27], v[26:27], v[166:167]
	v_fma_f64 v[30:31], v[8:9], v[173:174], v[30:31]
	v_fma_f64 v[38:39], v[6:7], v[173:174], -v[38:39]
	ds_load_b128 v[6:9], v1 offset:1792
	s_waitcnt vmcnt(3) lgkmcnt(1)
	v_mul_f64 v[36:37], v[2:3], v[12:13]
	v_mul_f64 v[12:13], v[4:5], v[12:13]
	v_add_f64 v[28:29], v[28:29], v[32:33]
	v_add_f64 v[26:27], v[26:27], v[34:35]
	s_waitcnt vmcnt(2) lgkmcnt(0)
	v_mul_f64 v[32:33], v[6:7], v[16:17]
	v_mul_f64 v[16:17], v[8:9], v[16:17]
	v_fma_f64 v[34:35], v[4:5], v[10:11], v[36:37]
	v_fma_f64 v[10:11], v[2:3], v[10:11], -v[12:13]
	ds_load_b128 v[2:5], v1 offset:1808
	v_add_f64 v[12:13], v[26:27], v[38:39]
	v_add_f64 v[26:27], v[28:29], v[30:31]
	s_waitcnt vmcnt(1) lgkmcnt(0)
	v_mul_f64 v[28:29], v[2:3], v[20:21]
	v_mul_f64 v[20:21], v[4:5], v[20:21]
	v_fma_f64 v[8:9], v[8:9], v[14:15], v[32:33]
	v_fma_f64 v[6:7], v[6:7], v[14:15], -v[16:17]
	v_add_f64 v[10:11], v[12:13], v[10:11]
	v_add_f64 v[12:13], v[26:27], v[34:35]
	v_fma_f64 v[4:5], v[4:5], v[18:19], v[28:29]
	v_fma_f64 v[2:3], v[2:3], v[18:19], -v[20:21]
	s_delay_alu instid0(VALU_DEP_4) | instskip(NEXT) | instid1(VALU_DEP_4)
	v_add_f64 v[6:7], v[10:11], v[6:7]
	v_add_f64 v[8:9], v[12:13], v[8:9]
	s_delay_alu instid0(VALU_DEP_2) | instskip(NEXT) | instid1(VALU_DEP_2)
	v_add_f64 v[2:3], v[6:7], v[2:3]
	v_add_f64 v[4:5], v[8:9], v[4:5]
	s_waitcnt vmcnt(0)
	s_delay_alu instid0(VALU_DEP_2) | instskip(NEXT) | instid1(VALU_DEP_2)
	v_add_f64 v[2:3], v[22:23], -v[2:3]
	v_add_f64 v[4:5], v[24:25], -v[4:5]
	scratch_store_b128 off, v[2:5], off offset:656
	v_cmpx_lt_u32_e32 40, v156
	s_cbranch_execz .LBB120_275
; %bb.274:
	scratch_load_b128 v[5:8], v218, off
	v_mov_b32_e32 v2, v1
	v_mov_b32_e32 v3, v1
	;; [unrolled: 1-line block ×3, first 2 shown]
	scratch_store_b128 off, v[1:4], off offset:640
	s_waitcnt vmcnt(0)
	ds_store_b128 v213, v[5:8]
.LBB120_275:
	s_or_b32 exec_lo, exec_lo, s2
	s_waitcnt lgkmcnt(0)
	s_waitcnt_vscnt null, 0x0
	s_barrier
	buffer_gl0_inv
	s_clause 0x7
	scratch_load_b128 v[2:5], off, off offset:656
	scratch_load_b128 v[6:9], off, off offset:672
	;; [unrolled: 1-line block ×8, first 2 shown]
	ds_load_b128 v[34:37], v1 offset:1568
	ds_load_b128 v[173:176], v1 offset:1584
	s_clause 0x1
	scratch_load_b128 v[38:41], off, off offset:784
	scratch_load_b128 v[177:180], off, off offset:800
	s_mov_b32 s2, exec_lo
	s_waitcnt vmcnt(9) lgkmcnt(1)
	v_mul_f64 v[166:167], v[36:37], v[4:5]
	v_mul_f64 v[4:5], v[34:35], v[4:5]
	s_waitcnt vmcnt(8) lgkmcnt(0)
	v_mul_f64 v[170:171], v[173:174], v[8:9]
	v_mul_f64 v[8:9], v[175:176], v[8:9]
	s_delay_alu instid0(VALU_DEP_4) | instskip(NEXT) | instid1(VALU_DEP_4)
	v_fma_f64 v[166:167], v[34:35], v[2:3], -v[166:167]
	v_fma_f64 v[181:182], v[36:37], v[2:3], v[4:5]
	ds_load_b128 v[2:5], v1 offset:1600
	scratch_load_b128 v[34:37], off, off offset:816
	v_fma_f64 v[170:171], v[175:176], v[6:7], v[170:171]
	v_fma_f64 v[185:186], v[173:174], v[6:7], -v[8:9]
	ds_load_b128 v[6:9], v1 offset:1616
	scratch_load_b128 v[173:176], off, off offset:832
	s_waitcnt vmcnt(9) lgkmcnt(1)
	v_mul_f64 v[183:184], v[2:3], v[12:13]
	v_mul_f64 v[12:13], v[4:5], v[12:13]
	s_waitcnt vmcnt(8) lgkmcnt(0)
	v_mul_f64 v[187:188], v[6:7], v[16:17]
	v_mul_f64 v[16:17], v[8:9], v[16:17]
	v_add_f64 v[166:167], v[166:167], 0
	v_add_f64 v[181:182], v[181:182], 0
	v_fma_f64 v[183:184], v[4:5], v[10:11], v[183:184]
	v_fma_f64 v[189:190], v[2:3], v[10:11], -v[12:13]
	scratch_load_b128 v[10:13], off, off offset:848
	ds_load_b128 v[2:5], v1 offset:1632
	v_add_f64 v[166:167], v[166:167], v[185:186]
	v_add_f64 v[170:171], v[181:182], v[170:171]
	v_fma_f64 v[185:186], v[8:9], v[14:15], v[187:188]
	v_fma_f64 v[187:188], v[6:7], v[14:15], -v[16:17]
	ds_load_b128 v[6:9], v1 offset:1648
	scratch_load_b128 v[14:17], off, off offset:864
	s_waitcnt vmcnt(9) lgkmcnt(1)
	v_mul_f64 v[181:182], v[2:3], v[20:21]
	v_mul_f64 v[20:21], v[4:5], v[20:21]
	v_add_f64 v[166:167], v[166:167], v[189:190]
	v_add_f64 v[170:171], v[170:171], v[183:184]
	s_waitcnt vmcnt(8) lgkmcnt(0)
	v_mul_f64 v[183:184], v[6:7], v[24:25]
	v_mul_f64 v[24:25], v[8:9], v[24:25]
	v_fma_f64 v[181:182], v[4:5], v[18:19], v[181:182]
	v_fma_f64 v[189:190], v[2:3], v[18:19], -v[20:21]
	scratch_load_b128 v[18:21], off, off offset:880
	ds_load_b128 v[2:5], v1 offset:1664
	v_add_f64 v[166:167], v[166:167], v[187:188]
	v_add_f64 v[170:171], v[170:171], v[185:186]
	v_fma_f64 v[183:184], v[8:9], v[22:23], v[183:184]
	v_fma_f64 v[187:188], v[6:7], v[22:23], -v[24:25]
	ds_load_b128 v[6:9], v1 offset:1680
	s_waitcnt vmcnt(8) lgkmcnt(1)
	v_mul_f64 v[185:186], v[2:3], v[28:29]
	v_mul_f64 v[28:29], v[4:5], v[28:29]
	scratch_load_b128 v[22:25], off, off offset:896
	v_add_f64 v[166:167], v[166:167], v[189:190]
	v_add_f64 v[170:171], v[170:171], v[181:182]
	s_waitcnt vmcnt(8) lgkmcnt(0)
	v_mul_f64 v[181:182], v[6:7], v[32:33]
	v_mul_f64 v[32:33], v[8:9], v[32:33]
	v_fma_f64 v[185:186], v[4:5], v[26:27], v[185:186]
	v_fma_f64 v[26:27], v[2:3], v[26:27], -v[28:29]
	ds_load_b128 v[2:5], v1 offset:1696
	v_add_f64 v[28:29], v[166:167], v[187:188]
	v_add_f64 v[166:167], v[170:171], v[183:184]
	v_fma_f64 v[181:182], v[8:9], v[30:31], v[181:182]
	v_fma_f64 v[30:31], v[6:7], v[30:31], -v[32:33]
	ds_load_b128 v[6:9], v1 offset:1712
	s_waitcnt vmcnt(7) lgkmcnt(1)
	v_mul_f64 v[170:171], v[2:3], v[40:41]
	v_mul_f64 v[40:41], v[4:5], v[40:41]
	v_add_f64 v[26:27], v[28:29], v[26:27]
	v_add_f64 v[28:29], v[166:167], v[185:186]
	s_delay_alu instid0(VALU_DEP_4) | instskip(NEXT) | instid1(VALU_DEP_4)
	v_fma_f64 v[170:171], v[4:5], v[38:39], v[170:171]
	v_fma_f64 v[38:39], v[2:3], v[38:39], -v[40:41]
	ds_load_b128 v[2:5], v1 offset:1728
	v_add_f64 v[30:31], v[26:27], v[30:31]
	v_add_f64 v[40:41], v[28:29], v[181:182]
	scratch_load_b128 v[26:29], off, off offset:640
	s_waitcnt vmcnt(7) lgkmcnt(1)
	v_mul_f64 v[32:33], v[6:7], v[179:180]
	v_mul_f64 v[166:167], v[8:9], v[179:180]
	v_add_f64 v[30:31], v[30:31], v[38:39]
	v_add_f64 v[38:39], v[40:41], v[170:171]
	s_delay_alu instid0(VALU_DEP_4) | instskip(NEXT) | instid1(VALU_DEP_4)
	v_fma_f64 v[32:33], v[8:9], v[177:178], v[32:33]
	v_fma_f64 v[166:167], v[6:7], v[177:178], -v[166:167]
	ds_load_b128 v[6:9], v1 offset:1744
	s_waitcnt vmcnt(6) lgkmcnt(1)
	v_mul_f64 v[179:180], v[2:3], v[36:37]
	v_mul_f64 v[36:37], v[4:5], v[36:37]
	s_waitcnt vmcnt(5) lgkmcnt(0)
	v_mul_f64 v[40:41], v[6:7], v[175:176]
	v_mul_f64 v[170:171], v[8:9], v[175:176]
	v_add_f64 v[32:33], v[38:39], v[32:33]
	v_add_f64 v[30:31], v[30:31], v[166:167]
	v_fma_f64 v[175:176], v[4:5], v[34:35], v[179:180]
	v_fma_f64 v[34:35], v[2:3], v[34:35], -v[36:37]
	ds_load_b128 v[2:5], v1 offset:1760
	v_fma_f64 v[38:39], v[8:9], v[173:174], v[40:41]
	v_fma_f64 v[40:41], v[6:7], v[173:174], -v[170:171]
	ds_load_b128 v[6:9], v1 offset:1776
	s_waitcnt vmcnt(4) lgkmcnt(1)
	v_mul_f64 v[36:37], v[2:3], v[12:13]
	v_mul_f64 v[12:13], v[4:5], v[12:13]
	v_add_f64 v[32:33], v[32:33], v[175:176]
	v_add_f64 v[30:31], v[30:31], v[34:35]
	s_waitcnt vmcnt(3) lgkmcnt(0)
	v_mul_f64 v[34:35], v[6:7], v[16:17]
	v_mul_f64 v[16:17], v[8:9], v[16:17]
	v_fma_f64 v[36:37], v[4:5], v[10:11], v[36:37]
	v_fma_f64 v[10:11], v[2:3], v[10:11], -v[12:13]
	ds_load_b128 v[2:5], v1 offset:1792
	v_add_f64 v[12:13], v[30:31], v[40:41]
	v_add_f64 v[30:31], v[32:33], v[38:39]
	v_fma_f64 v[34:35], v[8:9], v[14:15], v[34:35]
	v_fma_f64 v[14:15], v[6:7], v[14:15], -v[16:17]
	ds_load_b128 v[6:9], v1 offset:1808
	s_waitcnt vmcnt(2) lgkmcnt(1)
	v_mul_f64 v[32:33], v[2:3], v[20:21]
	v_mul_f64 v[20:21], v[4:5], v[20:21]
	s_waitcnt vmcnt(1) lgkmcnt(0)
	v_mul_f64 v[16:17], v[6:7], v[24:25]
	v_mul_f64 v[24:25], v[8:9], v[24:25]
	v_add_f64 v[10:11], v[12:13], v[10:11]
	v_add_f64 v[12:13], v[30:31], v[36:37]
	v_fma_f64 v[4:5], v[4:5], v[18:19], v[32:33]
	v_fma_f64 v[1:2], v[2:3], v[18:19], -v[20:21]
	v_fma_f64 v[8:9], v[8:9], v[22:23], v[16:17]
	v_fma_f64 v[6:7], v[6:7], v[22:23], -v[24:25]
	v_add_f64 v[10:11], v[10:11], v[14:15]
	v_add_f64 v[12:13], v[12:13], v[34:35]
	s_delay_alu instid0(VALU_DEP_2) | instskip(NEXT) | instid1(VALU_DEP_2)
	v_add_f64 v[1:2], v[10:11], v[1:2]
	v_add_f64 v[3:4], v[12:13], v[4:5]
	s_delay_alu instid0(VALU_DEP_2) | instskip(NEXT) | instid1(VALU_DEP_2)
	v_add_f64 v[1:2], v[1:2], v[6:7]
	v_add_f64 v[3:4], v[3:4], v[8:9]
	s_waitcnt vmcnt(0)
	s_delay_alu instid0(VALU_DEP_2) | instskip(NEXT) | instid1(VALU_DEP_2)
	v_add_f64 v[1:2], v[26:27], -v[1:2]
	v_add_f64 v[3:4], v[28:29], -v[3:4]
	scratch_store_b128 off, v[1:4], off offset:640
	v_cmpx_lt_u32_e32 39, v156
	s_cbranch_execz .LBB120_277
; %bb.276:
	scratch_load_b128 v[1:4], v219, off
	v_mov_b32_e32 v5, 0
	s_delay_alu instid0(VALU_DEP_1)
	v_mov_b32_e32 v6, v5
	v_mov_b32_e32 v7, v5
	v_mov_b32_e32 v8, v5
	scratch_store_b128 off, v[5:8], off offset:624
	s_waitcnt vmcnt(0)
	ds_store_b128 v213, v[1:4]
.LBB120_277:
	s_or_b32 exec_lo, exec_lo, s2
	s_waitcnt lgkmcnt(0)
	s_waitcnt_vscnt null, 0x0
	s_barrier
	buffer_gl0_inv
	s_clause 0x7
	scratch_load_b128 v[2:5], off, off offset:640
	scratch_load_b128 v[6:9], off, off offset:656
	;; [unrolled: 1-line block ×8, first 2 shown]
	v_mov_b32_e32 v1, 0
	s_clause 0x1
	scratch_load_b128 v[38:41], off, off offset:768
	scratch_load_b128 v[177:180], off, off offset:784
	s_mov_b32 s2, exec_lo
	ds_load_b128 v[34:37], v1 offset:1552
	ds_load_b128 v[173:176], v1 offset:1568
	s_waitcnt vmcnt(9) lgkmcnt(1)
	v_mul_f64 v[166:167], v[36:37], v[4:5]
	v_mul_f64 v[4:5], v[34:35], v[4:5]
	s_waitcnt vmcnt(8) lgkmcnt(0)
	v_mul_f64 v[170:171], v[173:174], v[8:9]
	v_mul_f64 v[8:9], v[175:176], v[8:9]
	s_delay_alu instid0(VALU_DEP_4) | instskip(NEXT) | instid1(VALU_DEP_4)
	v_fma_f64 v[166:167], v[34:35], v[2:3], -v[166:167]
	v_fma_f64 v[181:182], v[36:37], v[2:3], v[4:5]
	ds_load_b128 v[2:5], v1 offset:1584
	scratch_load_b128 v[34:37], off, off offset:800
	v_fma_f64 v[170:171], v[175:176], v[6:7], v[170:171]
	v_fma_f64 v[185:186], v[173:174], v[6:7], -v[8:9]
	ds_load_b128 v[6:9], v1 offset:1600
	scratch_load_b128 v[173:176], off, off offset:816
	s_waitcnt vmcnt(9) lgkmcnt(1)
	v_mul_f64 v[183:184], v[2:3], v[12:13]
	v_mul_f64 v[12:13], v[4:5], v[12:13]
	s_waitcnt vmcnt(8) lgkmcnt(0)
	v_mul_f64 v[187:188], v[6:7], v[16:17]
	v_mul_f64 v[16:17], v[8:9], v[16:17]
	v_add_f64 v[166:167], v[166:167], 0
	v_add_f64 v[181:182], v[181:182], 0
	v_fma_f64 v[183:184], v[4:5], v[10:11], v[183:184]
	v_fma_f64 v[189:190], v[2:3], v[10:11], -v[12:13]
	scratch_load_b128 v[10:13], off, off offset:832
	ds_load_b128 v[2:5], v1 offset:1616
	v_add_f64 v[166:167], v[166:167], v[185:186]
	v_add_f64 v[170:171], v[181:182], v[170:171]
	v_fma_f64 v[185:186], v[8:9], v[14:15], v[187:188]
	v_fma_f64 v[187:188], v[6:7], v[14:15], -v[16:17]
	ds_load_b128 v[6:9], v1 offset:1632
	scratch_load_b128 v[14:17], off, off offset:848
	s_waitcnt vmcnt(9) lgkmcnt(1)
	v_mul_f64 v[181:182], v[2:3], v[20:21]
	v_mul_f64 v[20:21], v[4:5], v[20:21]
	v_add_f64 v[166:167], v[166:167], v[189:190]
	v_add_f64 v[170:171], v[170:171], v[183:184]
	s_waitcnt vmcnt(8) lgkmcnt(0)
	v_mul_f64 v[183:184], v[6:7], v[24:25]
	v_mul_f64 v[24:25], v[8:9], v[24:25]
	v_fma_f64 v[181:182], v[4:5], v[18:19], v[181:182]
	v_fma_f64 v[189:190], v[2:3], v[18:19], -v[20:21]
	scratch_load_b128 v[18:21], off, off offset:864
	ds_load_b128 v[2:5], v1 offset:1648
	v_add_f64 v[166:167], v[166:167], v[187:188]
	v_add_f64 v[170:171], v[170:171], v[185:186]
	v_fma_f64 v[183:184], v[8:9], v[22:23], v[183:184]
	v_fma_f64 v[187:188], v[6:7], v[22:23], -v[24:25]
	ds_load_b128 v[6:9], v1 offset:1664
	s_waitcnt vmcnt(8) lgkmcnt(1)
	v_mul_f64 v[185:186], v[2:3], v[28:29]
	v_mul_f64 v[28:29], v[4:5], v[28:29]
	scratch_load_b128 v[22:25], off, off offset:880
	v_add_f64 v[166:167], v[166:167], v[189:190]
	v_add_f64 v[170:171], v[170:171], v[181:182]
	s_waitcnt vmcnt(8) lgkmcnt(0)
	v_mul_f64 v[181:182], v[6:7], v[32:33]
	v_mul_f64 v[32:33], v[8:9], v[32:33]
	v_fma_f64 v[185:186], v[4:5], v[26:27], v[185:186]
	v_fma_f64 v[189:190], v[2:3], v[26:27], -v[28:29]
	scratch_load_b128 v[26:29], off, off offset:896
	ds_load_b128 v[2:5], v1 offset:1680
	v_add_f64 v[166:167], v[166:167], v[187:188]
	v_add_f64 v[170:171], v[170:171], v[183:184]
	v_fma_f64 v[181:182], v[8:9], v[30:31], v[181:182]
	v_fma_f64 v[30:31], v[6:7], v[30:31], -v[32:33]
	ds_load_b128 v[6:9], v1 offset:1696
	s_waitcnt vmcnt(8) lgkmcnt(1)
	v_mul_f64 v[183:184], v[2:3], v[40:41]
	v_mul_f64 v[40:41], v[4:5], v[40:41]
	v_add_f64 v[32:33], v[166:167], v[189:190]
	v_add_f64 v[166:167], v[170:171], v[185:186]
	s_waitcnt vmcnt(7) lgkmcnt(0)
	v_mul_f64 v[170:171], v[6:7], v[179:180]
	v_mul_f64 v[179:180], v[8:9], v[179:180]
	v_fma_f64 v[183:184], v[4:5], v[38:39], v[183:184]
	v_fma_f64 v[38:39], v[2:3], v[38:39], -v[40:41]
	ds_load_b128 v[2:5], v1 offset:1712
	v_add_f64 v[30:31], v[32:33], v[30:31]
	v_add_f64 v[32:33], v[166:167], v[181:182]
	v_fma_f64 v[166:167], v[8:9], v[177:178], v[170:171]
	v_fma_f64 v[170:171], v[6:7], v[177:178], -v[179:180]
	ds_load_b128 v[6:9], v1 offset:1728
	s_waitcnt vmcnt(5) lgkmcnt(0)
	v_mul_f64 v[179:180], v[6:7], v[175:176]
	v_mul_f64 v[175:176], v[8:9], v[175:176]
	v_add_f64 v[38:39], v[30:31], v[38:39]
	v_add_f64 v[177:178], v[32:33], v[183:184]
	scratch_load_b128 v[30:33], off, off offset:624
	v_mul_f64 v[40:41], v[2:3], v[36:37]
	v_mul_f64 v[36:37], v[4:5], v[36:37]
	s_delay_alu instid0(VALU_DEP_2) | instskip(NEXT) | instid1(VALU_DEP_2)
	v_fma_f64 v[40:41], v[4:5], v[34:35], v[40:41]
	v_fma_f64 v[34:35], v[2:3], v[34:35], -v[36:37]
	v_add_f64 v[36:37], v[38:39], v[170:171]
	v_add_f64 v[38:39], v[177:178], v[166:167]
	ds_load_b128 v[2:5], v1 offset:1744
	v_fma_f64 v[170:171], v[8:9], v[173:174], v[179:180]
	v_fma_f64 v[173:174], v[6:7], v[173:174], -v[175:176]
	ds_load_b128 v[6:9], v1 offset:1760
	s_waitcnt vmcnt(5) lgkmcnt(1)
	v_mul_f64 v[166:167], v[2:3], v[12:13]
	v_mul_f64 v[12:13], v[4:5], v[12:13]
	v_add_f64 v[34:35], v[36:37], v[34:35]
	v_add_f64 v[36:37], v[38:39], v[40:41]
	s_waitcnt vmcnt(4) lgkmcnt(0)
	v_mul_f64 v[38:39], v[6:7], v[16:17]
	v_mul_f64 v[16:17], v[8:9], v[16:17]
	v_fma_f64 v[40:41], v[4:5], v[10:11], v[166:167]
	v_fma_f64 v[10:11], v[2:3], v[10:11], -v[12:13]
	ds_load_b128 v[2:5], v1 offset:1776
	v_add_f64 v[12:13], v[34:35], v[173:174]
	v_add_f64 v[34:35], v[36:37], v[170:171]
	v_fma_f64 v[38:39], v[8:9], v[14:15], v[38:39]
	v_fma_f64 v[14:15], v[6:7], v[14:15], -v[16:17]
	ds_load_b128 v[6:9], v1 offset:1792
	s_waitcnt vmcnt(3) lgkmcnt(1)
	v_mul_f64 v[36:37], v[2:3], v[20:21]
	v_mul_f64 v[20:21], v[4:5], v[20:21]
	s_waitcnt vmcnt(2) lgkmcnt(0)
	v_mul_f64 v[16:17], v[6:7], v[24:25]
	v_mul_f64 v[24:25], v[8:9], v[24:25]
	v_add_f64 v[10:11], v[12:13], v[10:11]
	v_add_f64 v[12:13], v[34:35], v[40:41]
	v_fma_f64 v[34:35], v[4:5], v[18:19], v[36:37]
	v_fma_f64 v[18:19], v[2:3], v[18:19], -v[20:21]
	ds_load_b128 v[2:5], v1 offset:1808
	v_fma_f64 v[8:9], v[8:9], v[22:23], v[16:17]
	v_fma_f64 v[6:7], v[6:7], v[22:23], -v[24:25]
	s_waitcnt vmcnt(1) lgkmcnt(0)
	v_mul_f64 v[20:21], v[4:5], v[28:29]
	v_add_f64 v[10:11], v[10:11], v[14:15]
	v_add_f64 v[12:13], v[12:13], v[38:39]
	v_mul_f64 v[14:15], v[2:3], v[28:29]
	s_delay_alu instid0(VALU_DEP_4) | instskip(NEXT) | instid1(VALU_DEP_4)
	v_fma_f64 v[2:3], v[2:3], v[26:27], -v[20:21]
	v_add_f64 v[10:11], v[10:11], v[18:19]
	s_delay_alu instid0(VALU_DEP_4) | instskip(NEXT) | instid1(VALU_DEP_4)
	v_add_f64 v[12:13], v[12:13], v[34:35]
	v_fma_f64 v[4:5], v[4:5], v[26:27], v[14:15]
	s_delay_alu instid0(VALU_DEP_3) | instskip(NEXT) | instid1(VALU_DEP_3)
	v_add_f64 v[6:7], v[10:11], v[6:7]
	v_add_f64 v[8:9], v[12:13], v[8:9]
	s_delay_alu instid0(VALU_DEP_2) | instskip(NEXT) | instid1(VALU_DEP_2)
	v_add_f64 v[2:3], v[6:7], v[2:3]
	v_add_f64 v[4:5], v[8:9], v[4:5]
	s_waitcnt vmcnt(0)
	s_delay_alu instid0(VALU_DEP_2) | instskip(NEXT) | instid1(VALU_DEP_2)
	v_add_f64 v[2:3], v[30:31], -v[2:3]
	v_add_f64 v[4:5], v[32:33], -v[4:5]
	scratch_store_b128 off, v[2:5], off offset:624
	v_cmpx_lt_u32_e32 38, v156
	s_cbranch_execz .LBB120_279
; %bb.278:
	scratch_load_b128 v[5:8], v220, off
	v_mov_b32_e32 v2, v1
	v_mov_b32_e32 v3, v1
	;; [unrolled: 1-line block ×3, first 2 shown]
	scratch_store_b128 off, v[1:4], off offset:608
	s_waitcnt vmcnt(0)
	ds_store_b128 v213, v[5:8]
.LBB120_279:
	s_or_b32 exec_lo, exec_lo, s2
	s_waitcnt lgkmcnt(0)
	s_waitcnt_vscnt null, 0x0
	s_barrier
	buffer_gl0_inv
	s_clause 0x7
	scratch_load_b128 v[2:5], off, off offset:624
	scratch_load_b128 v[6:9], off, off offset:640
	;; [unrolled: 1-line block ×8, first 2 shown]
	ds_load_b128 v[34:37], v1 offset:1536
	ds_load_b128 v[173:176], v1 offset:1552
	s_clause 0x1
	scratch_load_b128 v[38:41], off, off offset:752
	scratch_load_b128 v[177:180], off, off offset:768
	s_mov_b32 s2, exec_lo
	s_waitcnt vmcnt(9) lgkmcnt(1)
	v_mul_f64 v[166:167], v[36:37], v[4:5]
	v_mul_f64 v[4:5], v[34:35], v[4:5]
	s_waitcnt vmcnt(8) lgkmcnt(0)
	v_mul_f64 v[170:171], v[173:174], v[8:9]
	v_mul_f64 v[8:9], v[175:176], v[8:9]
	s_delay_alu instid0(VALU_DEP_4) | instskip(NEXT) | instid1(VALU_DEP_4)
	v_fma_f64 v[166:167], v[34:35], v[2:3], -v[166:167]
	v_fma_f64 v[181:182], v[36:37], v[2:3], v[4:5]
	ds_load_b128 v[2:5], v1 offset:1568
	scratch_load_b128 v[34:37], off, off offset:784
	v_fma_f64 v[170:171], v[175:176], v[6:7], v[170:171]
	v_fma_f64 v[185:186], v[173:174], v[6:7], -v[8:9]
	ds_load_b128 v[6:9], v1 offset:1584
	scratch_load_b128 v[173:176], off, off offset:800
	s_waitcnt vmcnt(9) lgkmcnt(1)
	v_mul_f64 v[183:184], v[2:3], v[12:13]
	v_mul_f64 v[12:13], v[4:5], v[12:13]
	s_waitcnt vmcnt(8) lgkmcnt(0)
	v_mul_f64 v[187:188], v[6:7], v[16:17]
	v_mul_f64 v[16:17], v[8:9], v[16:17]
	v_add_f64 v[166:167], v[166:167], 0
	v_add_f64 v[181:182], v[181:182], 0
	v_fma_f64 v[183:184], v[4:5], v[10:11], v[183:184]
	v_fma_f64 v[189:190], v[2:3], v[10:11], -v[12:13]
	ds_load_b128 v[2:5], v1 offset:1600
	scratch_load_b128 v[10:13], off, off offset:816
	v_add_f64 v[166:167], v[166:167], v[185:186]
	v_add_f64 v[170:171], v[181:182], v[170:171]
	v_fma_f64 v[185:186], v[8:9], v[14:15], v[187:188]
	v_fma_f64 v[187:188], v[6:7], v[14:15], -v[16:17]
	ds_load_b128 v[6:9], v1 offset:1616
	scratch_load_b128 v[14:17], off, off offset:832
	s_waitcnt vmcnt(9) lgkmcnt(1)
	v_mul_f64 v[181:182], v[2:3], v[20:21]
	v_mul_f64 v[20:21], v[4:5], v[20:21]
	v_add_f64 v[166:167], v[166:167], v[189:190]
	v_add_f64 v[170:171], v[170:171], v[183:184]
	s_waitcnt vmcnt(8) lgkmcnt(0)
	v_mul_f64 v[183:184], v[6:7], v[24:25]
	v_mul_f64 v[24:25], v[8:9], v[24:25]
	v_fma_f64 v[181:182], v[4:5], v[18:19], v[181:182]
	v_fma_f64 v[189:190], v[2:3], v[18:19], -v[20:21]
	scratch_load_b128 v[18:21], off, off offset:848
	ds_load_b128 v[2:5], v1 offset:1632
	v_add_f64 v[166:167], v[166:167], v[187:188]
	v_add_f64 v[170:171], v[170:171], v[185:186]
	v_fma_f64 v[183:184], v[8:9], v[22:23], v[183:184]
	v_fma_f64 v[187:188], v[6:7], v[22:23], -v[24:25]
	ds_load_b128 v[6:9], v1 offset:1648
	s_waitcnt vmcnt(8) lgkmcnt(1)
	v_mul_f64 v[185:186], v[2:3], v[28:29]
	v_mul_f64 v[28:29], v[4:5], v[28:29]
	scratch_load_b128 v[22:25], off, off offset:864
	v_add_f64 v[166:167], v[166:167], v[189:190]
	v_add_f64 v[170:171], v[170:171], v[181:182]
	s_waitcnt vmcnt(8) lgkmcnt(0)
	v_mul_f64 v[181:182], v[6:7], v[32:33]
	v_mul_f64 v[32:33], v[8:9], v[32:33]
	v_fma_f64 v[185:186], v[4:5], v[26:27], v[185:186]
	v_fma_f64 v[189:190], v[2:3], v[26:27], -v[28:29]
	scratch_load_b128 v[26:29], off, off offset:880
	ds_load_b128 v[2:5], v1 offset:1664
	v_add_f64 v[166:167], v[166:167], v[187:188]
	v_add_f64 v[170:171], v[170:171], v[183:184]
	v_fma_f64 v[181:182], v[8:9], v[30:31], v[181:182]
	v_fma_f64 v[187:188], v[6:7], v[30:31], -v[32:33]
	ds_load_b128 v[6:9], v1 offset:1680
	s_waitcnt vmcnt(8) lgkmcnt(1)
	v_mul_f64 v[183:184], v[2:3], v[40:41]
	v_mul_f64 v[40:41], v[4:5], v[40:41]
	scratch_load_b128 v[30:33], off, off offset:896
	v_add_f64 v[166:167], v[166:167], v[189:190]
	v_add_f64 v[170:171], v[170:171], v[185:186]
	s_waitcnt vmcnt(8) lgkmcnt(0)
	v_mul_f64 v[185:186], v[6:7], v[179:180]
	v_mul_f64 v[179:180], v[8:9], v[179:180]
	v_fma_f64 v[183:184], v[4:5], v[38:39], v[183:184]
	v_fma_f64 v[38:39], v[2:3], v[38:39], -v[40:41]
	ds_load_b128 v[2:5], v1 offset:1696
	v_add_f64 v[40:41], v[166:167], v[187:188]
	v_add_f64 v[166:167], v[170:171], v[181:182]
	v_fma_f64 v[181:182], v[8:9], v[177:178], v[185:186]
	v_fma_f64 v[177:178], v[6:7], v[177:178], -v[179:180]
	ds_load_b128 v[6:9], v1 offset:1712
	s_waitcnt vmcnt(7) lgkmcnt(1)
	v_mul_f64 v[170:171], v[2:3], v[36:37]
	v_mul_f64 v[36:37], v[4:5], v[36:37]
	v_add_f64 v[38:39], v[40:41], v[38:39]
	v_add_f64 v[40:41], v[166:167], v[183:184]
	s_delay_alu instid0(VALU_DEP_4) | instskip(NEXT) | instid1(VALU_DEP_4)
	v_fma_f64 v[170:171], v[4:5], v[34:35], v[170:171]
	v_fma_f64 v[179:180], v[2:3], v[34:35], -v[36:37]
	scratch_load_b128 v[34:37], off, off offset:608
	s_waitcnt vmcnt(7) lgkmcnt(0)
	v_mul_f64 v[166:167], v[6:7], v[175:176]
	v_mul_f64 v[175:176], v[8:9], v[175:176]
	ds_load_b128 v[2:5], v1 offset:1728
	v_add_f64 v[38:39], v[38:39], v[177:178]
	v_add_f64 v[40:41], v[40:41], v[181:182]
	v_fma_f64 v[166:167], v[8:9], v[173:174], v[166:167]
	v_fma_f64 v[173:174], v[6:7], v[173:174], -v[175:176]
	ds_load_b128 v[6:9], v1 offset:1744
	s_waitcnt vmcnt(6) lgkmcnt(1)
	v_mul_f64 v[177:178], v[2:3], v[12:13]
	v_mul_f64 v[12:13], v[4:5], v[12:13]
	v_add_f64 v[38:39], v[38:39], v[179:180]
	v_add_f64 v[40:41], v[40:41], v[170:171]
	s_waitcnt vmcnt(5) lgkmcnt(0)
	v_mul_f64 v[170:171], v[6:7], v[16:17]
	v_mul_f64 v[16:17], v[8:9], v[16:17]
	v_fma_f64 v[175:176], v[4:5], v[10:11], v[177:178]
	v_fma_f64 v[10:11], v[2:3], v[10:11], -v[12:13]
	ds_load_b128 v[2:5], v1 offset:1760
	v_add_f64 v[12:13], v[38:39], v[173:174]
	v_add_f64 v[38:39], v[40:41], v[166:167]
	v_fma_f64 v[166:167], v[8:9], v[14:15], v[170:171]
	v_fma_f64 v[14:15], v[6:7], v[14:15], -v[16:17]
	ds_load_b128 v[6:9], v1 offset:1776
	s_waitcnt vmcnt(4) lgkmcnt(1)
	v_mul_f64 v[40:41], v[2:3], v[20:21]
	v_mul_f64 v[20:21], v[4:5], v[20:21]
	s_waitcnt vmcnt(3) lgkmcnt(0)
	v_mul_f64 v[16:17], v[6:7], v[24:25]
	v_mul_f64 v[24:25], v[8:9], v[24:25]
	v_add_f64 v[10:11], v[12:13], v[10:11]
	v_add_f64 v[12:13], v[38:39], v[175:176]
	v_fma_f64 v[38:39], v[4:5], v[18:19], v[40:41]
	v_fma_f64 v[18:19], v[2:3], v[18:19], -v[20:21]
	ds_load_b128 v[2:5], v1 offset:1792
	v_fma_f64 v[16:17], v[8:9], v[22:23], v[16:17]
	v_fma_f64 v[22:23], v[6:7], v[22:23], -v[24:25]
	ds_load_b128 v[6:9], v1 offset:1808
	s_waitcnt vmcnt(2) lgkmcnt(1)
	v_mul_f64 v[20:21], v[4:5], v[28:29]
	v_add_f64 v[10:11], v[10:11], v[14:15]
	v_add_f64 v[12:13], v[12:13], v[166:167]
	v_mul_f64 v[14:15], v[2:3], v[28:29]
	s_waitcnt vmcnt(1) lgkmcnt(0)
	v_mul_f64 v[24:25], v[8:9], v[32:33]
	v_fma_f64 v[1:2], v[2:3], v[26:27], -v[20:21]
	v_add_f64 v[10:11], v[10:11], v[18:19]
	v_add_f64 v[12:13], v[12:13], v[38:39]
	v_mul_f64 v[18:19], v[6:7], v[32:33]
	v_fma_f64 v[4:5], v[4:5], v[26:27], v[14:15]
	v_fma_f64 v[6:7], v[6:7], v[30:31], -v[24:25]
	v_add_f64 v[10:11], v[10:11], v[22:23]
	v_add_f64 v[12:13], v[12:13], v[16:17]
	v_fma_f64 v[8:9], v[8:9], v[30:31], v[18:19]
	s_delay_alu instid0(VALU_DEP_3) | instskip(NEXT) | instid1(VALU_DEP_3)
	v_add_f64 v[1:2], v[10:11], v[1:2]
	v_add_f64 v[3:4], v[12:13], v[4:5]
	s_delay_alu instid0(VALU_DEP_2) | instskip(NEXT) | instid1(VALU_DEP_2)
	v_add_f64 v[1:2], v[1:2], v[6:7]
	v_add_f64 v[3:4], v[3:4], v[8:9]
	s_waitcnt vmcnt(0)
	s_delay_alu instid0(VALU_DEP_2) | instskip(NEXT) | instid1(VALU_DEP_2)
	v_add_f64 v[1:2], v[34:35], -v[1:2]
	v_add_f64 v[3:4], v[36:37], -v[3:4]
	scratch_store_b128 off, v[1:4], off offset:608
	v_cmpx_lt_u32_e32 37, v156
	s_cbranch_execz .LBB120_281
; %bb.280:
	scratch_load_b128 v[1:4], v221, off
	v_mov_b32_e32 v5, 0
	s_delay_alu instid0(VALU_DEP_1)
	v_mov_b32_e32 v6, v5
	v_mov_b32_e32 v7, v5
	;; [unrolled: 1-line block ×3, first 2 shown]
	scratch_store_b128 off, v[5:8], off offset:592
	s_waitcnt vmcnt(0)
	ds_store_b128 v213, v[1:4]
.LBB120_281:
	s_or_b32 exec_lo, exec_lo, s2
	s_waitcnt lgkmcnt(0)
	s_waitcnt_vscnt null, 0x0
	s_barrier
	buffer_gl0_inv
	s_clause 0x7
	scratch_load_b128 v[2:5], off, off offset:608
	scratch_load_b128 v[6:9], off, off offset:624
	;; [unrolled: 1-line block ×8, first 2 shown]
	v_mov_b32_e32 v1, 0
	s_clause 0x1
	scratch_load_b128 v[38:41], off, off offset:736
	scratch_load_b128 v[177:180], off, off offset:752
	s_mov_b32 s2, exec_lo
	ds_load_b128 v[34:37], v1 offset:1520
	ds_load_b128 v[173:176], v1 offset:1536
	s_waitcnt vmcnt(9) lgkmcnt(1)
	v_mul_f64 v[166:167], v[36:37], v[4:5]
	v_mul_f64 v[4:5], v[34:35], v[4:5]
	s_waitcnt vmcnt(8) lgkmcnt(0)
	v_mul_f64 v[170:171], v[173:174], v[8:9]
	v_mul_f64 v[8:9], v[175:176], v[8:9]
	s_delay_alu instid0(VALU_DEP_4) | instskip(NEXT) | instid1(VALU_DEP_4)
	v_fma_f64 v[166:167], v[34:35], v[2:3], -v[166:167]
	v_fma_f64 v[181:182], v[36:37], v[2:3], v[4:5]
	ds_load_b128 v[2:5], v1 offset:1552
	scratch_load_b128 v[34:37], off, off offset:768
	v_fma_f64 v[170:171], v[175:176], v[6:7], v[170:171]
	v_fma_f64 v[185:186], v[173:174], v[6:7], -v[8:9]
	scratch_load_b128 v[173:176], off, off offset:784
	ds_load_b128 v[6:9], v1 offset:1568
	s_waitcnt vmcnt(9) lgkmcnt(1)
	v_mul_f64 v[183:184], v[2:3], v[12:13]
	v_mul_f64 v[12:13], v[4:5], v[12:13]
	s_waitcnt vmcnt(8) lgkmcnt(0)
	v_mul_f64 v[187:188], v[6:7], v[16:17]
	v_mul_f64 v[16:17], v[8:9], v[16:17]
	v_add_f64 v[166:167], v[166:167], 0
	v_add_f64 v[181:182], v[181:182], 0
	v_fma_f64 v[183:184], v[4:5], v[10:11], v[183:184]
	v_fma_f64 v[189:190], v[2:3], v[10:11], -v[12:13]
	ds_load_b128 v[2:5], v1 offset:1584
	scratch_load_b128 v[10:13], off, off offset:800
	v_add_f64 v[166:167], v[166:167], v[185:186]
	v_add_f64 v[170:171], v[181:182], v[170:171]
	v_fma_f64 v[185:186], v[8:9], v[14:15], v[187:188]
	v_fma_f64 v[187:188], v[6:7], v[14:15], -v[16:17]
	ds_load_b128 v[6:9], v1 offset:1600
	scratch_load_b128 v[14:17], off, off offset:816
	s_waitcnt vmcnt(9) lgkmcnt(1)
	v_mul_f64 v[181:182], v[2:3], v[20:21]
	v_mul_f64 v[20:21], v[4:5], v[20:21]
	v_add_f64 v[166:167], v[166:167], v[189:190]
	v_add_f64 v[170:171], v[170:171], v[183:184]
	s_waitcnt vmcnt(8) lgkmcnt(0)
	v_mul_f64 v[183:184], v[6:7], v[24:25]
	v_mul_f64 v[24:25], v[8:9], v[24:25]
	v_fma_f64 v[181:182], v[4:5], v[18:19], v[181:182]
	v_fma_f64 v[189:190], v[2:3], v[18:19], -v[20:21]
	scratch_load_b128 v[18:21], off, off offset:832
	ds_load_b128 v[2:5], v1 offset:1616
	v_add_f64 v[166:167], v[166:167], v[187:188]
	v_add_f64 v[170:171], v[170:171], v[185:186]
	v_fma_f64 v[183:184], v[8:9], v[22:23], v[183:184]
	v_fma_f64 v[187:188], v[6:7], v[22:23], -v[24:25]
	ds_load_b128 v[6:9], v1 offset:1632
	s_waitcnt vmcnt(8) lgkmcnt(1)
	v_mul_f64 v[185:186], v[2:3], v[28:29]
	v_mul_f64 v[28:29], v[4:5], v[28:29]
	scratch_load_b128 v[22:25], off, off offset:848
	v_add_f64 v[166:167], v[166:167], v[189:190]
	v_add_f64 v[170:171], v[170:171], v[181:182]
	s_waitcnt vmcnt(8) lgkmcnt(0)
	v_mul_f64 v[181:182], v[6:7], v[32:33]
	v_mul_f64 v[32:33], v[8:9], v[32:33]
	v_fma_f64 v[185:186], v[4:5], v[26:27], v[185:186]
	v_fma_f64 v[189:190], v[2:3], v[26:27], -v[28:29]
	scratch_load_b128 v[26:29], off, off offset:864
	ds_load_b128 v[2:5], v1 offset:1648
	v_add_f64 v[166:167], v[166:167], v[187:188]
	v_add_f64 v[170:171], v[170:171], v[183:184]
	v_fma_f64 v[181:182], v[8:9], v[30:31], v[181:182]
	v_fma_f64 v[187:188], v[6:7], v[30:31], -v[32:33]
	ds_load_b128 v[6:9], v1 offset:1664
	s_waitcnt vmcnt(8) lgkmcnt(1)
	v_mul_f64 v[183:184], v[2:3], v[40:41]
	v_mul_f64 v[40:41], v[4:5], v[40:41]
	scratch_load_b128 v[30:33], off, off offset:880
	v_add_f64 v[166:167], v[166:167], v[189:190]
	v_add_f64 v[170:171], v[170:171], v[185:186]
	s_waitcnt vmcnt(8) lgkmcnt(0)
	v_mul_f64 v[185:186], v[6:7], v[179:180]
	v_mul_f64 v[179:180], v[8:9], v[179:180]
	v_fma_f64 v[183:184], v[4:5], v[38:39], v[183:184]
	v_fma_f64 v[189:190], v[2:3], v[38:39], -v[40:41]
	scratch_load_b128 v[38:41], off, off offset:896
	ds_load_b128 v[2:5], v1 offset:1680
	v_add_f64 v[166:167], v[166:167], v[187:188]
	v_add_f64 v[170:171], v[170:171], v[181:182]
	v_fma_f64 v[185:186], v[8:9], v[177:178], v[185:186]
	v_fma_f64 v[177:178], v[6:7], v[177:178], -v[179:180]
	ds_load_b128 v[6:9], v1 offset:1696
	s_waitcnt vmcnt(8) lgkmcnt(1)
	v_mul_f64 v[181:182], v[2:3], v[36:37]
	v_mul_f64 v[36:37], v[4:5], v[36:37]
	s_waitcnt vmcnt(7) lgkmcnt(0)
	v_mul_f64 v[179:180], v[6:7], v[175:176]
	v_mul_f64 v[175:176], v[8:9], v[175:176]
	v_add_f64 v[166:167], v[166:167], v[189:190]
	v_add_f64 v[170:171], v[170:171], v[183:184]
	v_fma_f64 v[181:182], v[4:5], v[34:35], v[181:182]
	v_fma_f64 v[34:35], v[2:3], v[34:35], -v[36:37]
	ds_load_b128 v[2:5], v1 offset:1712
	v_add_f64 v[36:37], v[166:167], v[177:178]
	v_add_f64 v[166:167], v[170:171], v[185:186]
	v_fma_f64 v[177:178], v[8:9], v[173:174], v[179:180]
	v_fma_f64 v[173:174], v[6:7], v[173:174], -v[175:176]
	ds_load_b128 v[6:9], v1 offset:1728
	s_waitcnt vmcnt(5) lgkmcnt(0)
	v_mul_f64 v[179:180], v[6:7], v[16:17]
	v_mul_f64 v[16:17], v[8:9], v[16:17]
	v_add_f64 v[175:176], v[36:37], v[34:35]
	v_add_f64 v[166:167], v[166:167], v[181:182]
	scratch_load_b128 v[34:37], off, off offset:592
	v_mul_f64 v[170:171], v[2:3], v[12:13]
	v_mul_f64 v[12:13], v[4:5], v[12:13]
	v_add_f64 v[166:167], v[166:167], v[177:178]
	s_delay_alu instid0(VALU_DEP_3) | instskip(NEXT) | instid1(VALU_DEP_3)
	v_fma_f64 v[170:171], v[4:5], v[10:11], v[170:171]
	v_fma_f64 v[10:11], v[2:3], v[10:11], -v[12:13]
	v_add_f64 v[12:13], v[175:176], v[173:174]
	ds_load_b128 v[2:5], v1 offset:1744
	v_fma_f64 v[175:176], v[8:9], v[14:15], v[179:180]
	v_fma_f64 v[14:15], v[6:7], v[14:15], -v[16:17]
	ds_load_b128 v[6:9], v1 offset:1760
	s_waitcnt vmcnt(5) lgkmcnt(1)
	v_mul_f64 v[173:174], v[2:3], v[20:21]
	v_mul_f64 v[20:21], v[4:5], v[20:21]
	s_waitcnt vmcnt(4) lgkmcnt(0)
	v_mul_f64 v[16:17], v[6:7], v[24:25]
	v_mul_f64 v[24:25], v[8:9], v[24:25]
	v_add_f64 v[10:11], v[12:13], v[10:11]
	v_add_f64 v[12:13], v[166:167], v[170:171]
	v_fma_f64 v[166:167], v[4:5], v[18:19], v[173:174]
	v_fma_f64 v[18:19], v[2:3], v[18:19], -v[20:21]
	ds_load_b128 v[2:5], v1 offset:1776
	v_fma_f64 v[16:17], v[8:9], v[22:23], v[16:17]
	v_fma_f64 v[22:23], v[6:7], v[22:23], -v[24:25]
	ds_load_b128 v[6:9], v1 offset:1792
	v_add_f64 v[10:11], v[10:11], v[14:15]
	v_add_f64 v[12:13], v[12:13], v[175:176]
	s_waitcnt vmcnt(3) lgkmcnt(1)
	v_mul_f64 v[14:15], v[2:3], v[28:29]
	v_mul_f64 v[20:21], v[4:5], v[28:29]
	s_waitcnt vmcnt(2) lgkmcnt(0)
	v_mul_f64 v[24:25], v[8:9], v[32:33]
	v_add_f64 v[10:11], v[10:11], v[18:19]
	v_add_f64 v[12:13], v[12:13], v[166:167]
	v_mul_f64 v[18:19], v[6:7], v[32:33]
	v_fma_f64 v[14:15], v[4:5], v[26:27], v[14:15]
	v_fma_f64 v[20:21], v[2:3], v[26:27], -v[20:21]
	ds_load_b128 v[2:5], v1 offset:1808
	v_fma_f64 v[6:7], v[6:7], v[30:31], -v[24:25]
	v_add_f64 v[10:11], v[10:11], v[22:23]
	v_add_f64 v[12:13], v[12:13], v[16:17]
	s_waitcnt vmcnt(1) lgkmcnt(0)
	v_mul_f64 v[16:17], v[2:3], v[40:41]
	v_mul_f64 v[22:23], v[4:5], v[40:41]
	v_fma_f64 v[8:9], v[8:9], v[30:31], v[18:19]
	v_add_f64 v[10:11], v[10:11], v[20:21]
	v_add_f64 v[12:13], v[12:13], v[14:15]
	v_fma_f64 v[4:5], v[4:5], v[38:39], v[16:17]
	v_fma_f64 v[2:3], v[2:3], v[38:39], -v[22:23]
	s_delay_alu instid0(VALU_DEP_4) | instskip(NEXT) | instid1(VALU_DEP_4)
	v_add_f64 v[6:7], v[10:11], v[6:7]
	v_add_f64 v[8:9], v[12:13], v[8:9]
	s_delay_alu instid0(VALU_DEP_2) | instskip(NEXT) | instid1(VALU_DEP_2)
	v_add_f64 v[2:3], v[6:7], v[2:3]
	v_add_f64 v[4:5], v[8:9], v[4:5]
	s_waitcnt vmcnt(0)
	s_delay_alu instid0(VALU_DEP_2) | instskip(NEXT) | instid1(VALU_DEP_2)
	v_add_f64 v[2:3], v[34:35], -v[2:3]
	v_add_f64 v[4:5], v[36:37], -v[4:5]
	scratch_store_b128 off, v[2:5], off offset:592
	v_cmpx_lt_u32_e32 36, v156
	s_cbranch_execz .LBB120_283
; %bb.282:
	scratch_load_b128 v[5:8], v222, off
	v_mov_b32_e32 v2, v1
	v_mov_b32_e32 v3, v1
	;; [unrolled: 1-line block ×3, first 2 shown]
	scratch_store_b128 off, v[1:4], off offset:576
	s_waitcnt vmcnt(0)
	ds_store_b128 v213, v[5:8]
.LBB120_283:
	s_or_b32 exec_lo, exec_lo, s2
	s_waitcnt lgkmcnt(0)
	s_waitcnt_vscnt null, 0x0
	s_barrier
	buffer_gl0_inv
	s_clause 0x7
	scratch_load_b128 v[2:5], off, off offset:592
	scratch_load_b128 v[6:9], off, off offset:608
	scratch_load_b128 v[10:13], off, off offset:624
	scratch_load_b128 v[14:17], off, off offset:640
	scratch_load_b128 v[18:21], off, off offset:656
	scratch_load_b128 v[22:25], off, off offset:672
	scratch_load_b128 v[26:29], off, off offset:688
	scratch_load_b128 v[30:33], off, off offset:704
	ds_load_b128 v[34:37], v1 offset:1504
	ds_load_b128 v[173:176], v1 offset:1520
	s_clause 0x1
	scratch_load_b128 v[38:41], off, off offset:720
	scratch_load_b128 v[177:180], off, off offset:736
	s_mov_b32 s2, exec_lo
	s_waitcnt vmcnt(9) lgkmcnt(1)
	v_mul_f64 v[166:167], v[36:37], v[4:5]
	v_mul_f64 v[4:5], v[34:35], v[4:5]
	s_waitcnt vmcnt(8) lgkmcnt(0)
	v_mul_f64 v[170:171], v[173:174], v[8:9]
	v_mul_f64 v[8:9], v[175:176], v[8:9]
	s_delay_alu instid0(VALU_DEP_4) | instskip(NEXT) | instid1(VALU_DEP_4)
	v_fma_f64 v[166:167], v[34:35], v[2:3], -v[166:167]
	v_fma_f64 v[181:182], v[36:37], v[2:3], v[4:5]
	ds_load_b128 v[2:5], v1 offset:1536
	scratch_load_b128 v[34:37], off, off offset:752
	v_fma_f64 v[170:171], v[175:176], v[6:7], v[170:171]
	v_fma_f64 v[185:186], v[173:174], v[6:7], -v[8:9]
	scratch_load_b128 v[173:176], off, off offset:768
	ds_load_b128 v[6:9], v1 offset:1552
	s_waitcnt vmcnt(9) lgkmcnt(1)
	v_mul_f64 v[183:184], v[2:3], v[12:13]
	v_mul_f64 v[12:13], v[4:5], v[12:13]
	s_waitcnt vmcnt(8) lgkmcnt(0)
	v_mul_f64 v[187:188], v[6:7], v[16:17]
	v_mul_f64 v[16:17], v[8:9], v[16:17]
	v_add_f64 v[166:167], v[166:167], 0
	v_add_f64 v[181:182], v[181:182], 0
	v_fma_f64 v[183:184], v[4:5], v[10:11], v[183:184]
	v_fma_f64 v[189:190], v[2:3], v[10:11], -v[12:13]
	ds_load_b128 v[2:5], v1 offset:1568
	scratch_load_b128 v[10:13], off, off offset:784
	v_add_f64 v[166:167], v[166:167], v[185:186]
	v_add_f64 v[170:171], v[181:182], v[170:171]
	v_fma_f64 v[185:186], v[8:9], v[14:15], v[187:188]
	v_fma_f64 v[187:188], v[6:7], v[14:15], -v[16:17]
	ds_load_b128 v[6:9], v1 offset:1584
	scratch_load_b128 v[14:17], off, off offset:800
	s_waitcnt vmcnt(9) lgkmcnt(1)
	v_mul_f64 v[181:182], v[2:3], v[20:21]
	v_mul_f64 v[20:21], v[4:5], v[20:21]
	v_add_f64 v[166:167], v[166:167], v[189:190]
	v_add_f64 v[170:171], v[170:171], v[183:184]
	s_waitcnt vmcnt(8) lgkmcnt(0)
	v_mul_f64 v[183:184], v[6:7], v[24:25]
	v_mul_f64 v[24:25], v[8:9], v[24:25]
	v_fma_f64 v[181:182], v[4:5], v[18:19], v[181:182]
	v_fma_f64 v[189:190], v[2:3], v[18:19], -v[20:21]
	ds_load_b128 v[2:5], v1 offset:1600
	scratch_load_b128 v[18:21], off, off offset:816
	v_add_f64 v[166:167], v[166:167], v[187:188]
	v_add_f64 v[170:171], v[170:171], v[185:186]
	v_fma_f64 v[183:184], v[8:9], v[22:23], v[183:184]
	v_fma_f64 v[187:188], v[6:7], v[22:23], -v[24:25]
	ds_load_b128 v[6:9], v1 offset:1616
	s_waitcnt vmcnt(8) lgkmcnt(1)
	v_mul_f64 v[185:186], v[2:3], v[28:29]
	v_mul_f64 v[28:29], v[4:5], v[28:29]
	scratch_load_b128 v[22:25], off, off offset:832
	v_add_f64 v[166:167], v[166:167], v[189:190]
	v_add_f64 v[170:171], v[170:171], v[181:182]
	s_waitcnt vmcnt(8) lgkmcnt(0)
	v_mul_f64 v[181:182], v[6:7], v[32:33]
	v_mul_f64 v[32:33], v[8:9], v[32:33]
	v_fma_f64 v[185:186], v[4:5], v[26:27], v[185:186]
	v_fma_f64 v[189:190], v[2:3], v[26:27], -v[28:29]
	scratch_load_b128 v[26:29], off, off offset:848
	ds_load_b128 v[2:5], v1 offset:1632
	v_add_f64 v[166:167], v[166:167], v[187:188]
	v_add_f64 v[170:171], v[170:171], v[183:184]
	v_fma_f64 v[181:182], v[8:9], v[30:31], v[181:182]
	v_fma_f64 v[187:188], v[6:7], v[30:31], -v[32:33]
	ds_load_b128 v[6:9], v1 offset:1648
	s_waitcnt vmcnt(8) lgkmcnt(1)
	v_mul_f64 v[183:184], v[2:3], v[40:41]
	v_mul_f64 v[40:41], v[4:5], v[40:41]
	scratch_load_b128 v[30:33], off, off offset:864
	v_add_f64 v[166:167], v[166:167], v[189:190]
	v_add_f64 v[170:171], v[170:171], v[185:186]
	s_waitcnt vmcnt(8) lgkmcnt(0)
	v_mul_f64 v[185:186], v[6:7], v[179:180]
	v_mul_f64 v[179:180], v[8:9], v[179:180]
	v_fma_f64 v[183:184], v[4:5], v[38:39], v[183:184]
	v_fma_f64 v[189:190], v[2:3], v[38:39], -v[40:41]
	scratch_load_b128 v[38:41], off, off offset:880
	ds_load_b128 v[2:5], v1 offset:1664
	v_add_f64 v[166:167], v[166:167], v[187:188]
	v_add_f64 v[170:171], v[170:171], v[181:182]
	v_fma_f64 v[185:186], v[8:9], v[177:178], v[185:186]
	v_fma_f64 v[187:188], v[6:7], v[177:178], -v[179:180]
	ds_load_b128 v[6:9], v1 offset:1680
	scratch_load_b128 v[177:180], off, off offset:896
	s_waitcnt vmcnt(9) lgkmcnt(1)
	v_mul_f64 v[181:182], v[2:3], v[36:37]
	v_mul_f64 v[36:37], v[4:5], v[36:37]
	v_add_f64 v[166:167], v[166:167], v[189:190]
	v_add_f64 v[170:171], v[170:171], v[183:184]
	s_waitcnt vmcnt(8) lgkmcnt(0)
	v_mul_f64 v[183:184], v[6:7], v[175:176]
	v_mul_f64 v[175:176], v[8:9], v[175:176]
	v_fma_f64 v[181:182], v[4:5], v[34:35], v[181:182]
	v_fma_f64 v[34:35], v[2:3], v[34:35], -v[36:37]
	ds_load_b128 v[2:5], v1 offset:1696
	v_add_f64 v[36:37], v[166:167], v[187:188]
	v_add_f64 v[166:167], v[170:171], v[185:186]
	v_fma_f64 v[183:184], v[8:9], v[173:174], v[183:184]
	v_fma_f64 v[173:174], v[6:7], v[173:174], -v[175:176]
	ds_load_b128 v[6:9], v1 offset:1712
	s_waitcnt vmcnt(7) lgkmcnt(1)
	v_mul_f64 v[170:171], v[2:3], v[12:13]
	v_mul_f64 v[12:13], v[4:5], v[12:13]
	v_add_f64 v[34:35], v[36:37], v[34:35]
	v_add_f64 v[36:37], v[166:167], v[181:182]
	s_delay_alu instid0(VALU_DEP_4) | instskip(NEXT) | instid1(VALU_DEP_4)
	v_fma_f64 v[170:171], v[4:5], v[10:11], v[170:171]
	v_fma_f64 v[175:176], v[2:3], v[10:11], -v[12:13]
	scratch_load_b128 v[10:13], off, off offset:576
	s_waitcnt vmcnt(7) lgkmcnt(0)
	v_mul_f64 v[166:167], v[6:7], v[16:17]
	v_mul_f64 v[16:17], v[8:9], v[16:17]
	ds_load_b128 v[2:5], v1 offset:1728
	v_add_f64 v[34:35], v[34:35], v[173:174]
	v_add_f64 v[36:37], v[36:37], v[183:184]
	v_fma_f64 v[166:167], v[8:9], v[14:15], v[166:167]
	v_fma_f64 v[14:15], v[6:7], v[14:15], -v[16:17]
	ds_load_b128 v[6:9], v1 offset:1744
	s_waitcnt vmcnt(6) lgkmcnt(1)
	v_mul_f64 v[173:174], v[2:3], v[20:21]
	v_mul_f64 v[20:21], v[4:5], v[20:21]
	v_add_f64 v[16:17], v[34:35], v[175:176]
	v_add_f64 v[34:35], v[36:37], v[170:171]
	s_waitcnt vmcnt(5) lgkmcnt(0)
	v_mul_f64 v[36:37], v[6:7], v[24:25]
	v_mul_f64 v[24:25], v[8:9], v[24:25]
	v_fma_f64 v[170:171], v[4:5], v[18:19], v[173:174]
	v_fma_f64 v[18:19], v[2:3], v[18:19], -v[20:21]
	ds_load_b128 v[2:5], v1 offset:1760
	v_add_f64 v[14:15], v[16:17], v[14:15]
	v_add_f64 v[16:17], v[34:35], v[166:167]
	v_fma_f64 v[34:35], v[8:9], v[22:23], v[36:37]
	v_fma_f64 v[22:23], v[6:7], v[22:23], -v[24:25]
	ds_load_b128 v[6:9], v1 offset:1776
	s_waitcnt vmcnt(4) lgkmcnt(1)
	v_mul_f64 v[20:21], v[2:3], v[28:29]
	v_mul_f64 v[28:29], v[4:5], v[28:29]
	s_waitcnt vmcnt(3) lgkmcnt(0)
	v_mul_f64 v[24:25], v[8:9], v[32:33]
	v_add_f64 v[14:15], v[14:15], v[18:19]
	v_add_f64 v[16:17], v[16:17], v[170:171]
	v_mul_f64 v[18:19], v[6:7], v[32:33]
	v_fma_f64 v[20:21], v[4:5], v[26:27], v[20:21]
	v_fma_f64 v[26:27], v[2:3], v[26:27], -v[28:29]
	ds_load_b128 v[2:5], v1 offset:1792
	v_fma_f64 v[24:25], v[6:7], v[30:31], -v[24:25]
	v_add_f64 v[14:15], v[14:15], v[22:23]
	v_add_f64 v[16:17], v[16:17], v[34:35]
	v_fma_f64 v[18:19], v[8:9], v[30:31], v[18:19]
	ds_load_b128 v[6:9], v1 offset:1808
	s_waitcnt vmcnt(2) lgkmcnt(1)
	v_mul_f64 v[22:23], v[2:3], v[40:41]
	v_mul_f64 v[28:29], v[4:5], v[40:41]
	v_add_f64 v[14:15], v[14:15], v[26:27]
	v_add_f64 v[16:17], v[16:17], v[20:21]
	s_waitcnt vmcnt(1) lgkmcnt(0)
	v_mul_f64 v[20:21], v[6:7], v[179:180]
	v_mul_f64 v[26:27], v[8:9], v[179:180]
	v_fma_f64 v[4:5], v[4:5], v[38:39], v[22:23]
	v_fma_f64 v[1:2], v[2:3], v[38:39], -v[28:29]
	v_add_f64 v[14:15], v[14:15], v[24:25]
	v_add_f64 v[16:17], v[16:17], v[18:19]
	v_fma_f64 v[8:9], v[8:9], v[177:178], v[20:21]
	v_fma_f64 v[6:7], v[6:7], v[177:178], -v[26:27]
	s_delay_alu instid0(VALU_DEP_4) | instskip(NEXT) | instid1(VALU_DEP_4)
	v_add_f64 v[1:2], v[14:15], v[1:2]
	v_add_f64 v[3:4], v[16:17], v[4:5]
	s_delay_alu instid0(VALU_DEP_2) | instskip(NEXT) | instid1(VALU_DEP_2)
	v_add_f64 v[1:2], v[1:2], v[6:7]
	v_add_f64 v[3:4], v[3:4], v[8:9]
	s_waitcnt vmcnt(0)
	s_delay_alu instid0(VALU_DEP_2) | instskip(NEXT) | instid1(VALU_DEP_2)
	v_add_f64 v[1:2], v[10:11], -v[1:2]
	v_add_f64 v[3:4], v[12:13], -v[3:4]
	scratch_store_b128 off, v[1:4], off offset:576
	v_cmpx_lt_u32_e32 35, v156
	s_cbranch_execz .LBB120_285
; %bb.284:
	scratch_load_b128 v[1:4], v223, off
	v_mov_b32_e32 v5, 0
	s_delay_alu instid0(VALU_DEP_1)
	v_mov_b32_e32 v6, v5
	v_mov_b32_e32 v7, v5
	;; [unrolled: 1-line block ×3, first 2 shown]
	scratch_store_b128 off, v[5:8], off offset:560
	s_waitcnt vmcnt(0)
	ds_store_b128 v213, v[1:4]
.LBB120_285:
	s_or_b32 exec_lo, exec_lo, s2
	s_waitcnt lgkmcnt(0)
	s_waitcnt_vscnt null, 0x0
	s_barrier
	buffer_gl0_inv
	s_clause 0x7
	scratch_load_b128 v[2:5], off, off offset:576
	scratch_load_b128 v[6:9], off, off offset:592
	;; [unrolled: 1-line block ×8, first 2 shown]
	v_mov_b32_e32 v1, 0
	s_clause 0x1
	scratch_load_b128 v[38:41], off, off offset:704
	scratch_load_b128 v[177:180], off, off offset:720
	s_mov_b32 s2, exec_lo
	ds_load_b128 v[34:37], v1 offset:1488
	ds_load_b128 v[173:176], v1 offset:1504
	s_waitcnt vmcnt(9) lgkmcnt(1)
	v_mul_f64 v[166:167], v[36:37], v[4:5]
	v_mul_f64 v[4:5], v[34:35], v[4:5]
	s_waitcnt vmcnt(8) lgkmcnt(0)
	v_mul_f64 v[170:171], v[173:174], v[8:9]
	v_mul_f64 v[8:9], v[175:176], v[8:9]
	s_delay_alu instid0(VALU_DEP_4) | instskip(NEXT) | instid1(VALU_DEP_4)
	v_fma_f64 v[166:167], v[34:35], v[2:3], -v[166:167]
	v_fma_f64 v[181:182], v[36:37], v[2:3], v[4:5]
	ds_load_b128 v[2:5], v1 offset:1520
	scratch_load_b128 v[34:37], off, off offset:736
	v_fma_f64 v[170:171], v[175:176], v[6:7], v[170:171]
	v_fma_f64 v[185:186], v[173:174], v[6:7], -v[8:9]
	scratch_load_b128 v[173:176], off, off offset:752
	ds_load_b128 v[6:9], v1 offset:1536
	s_waitcnt vmcnt(9) lgkmcnt(1)
	v_mul_f64 v[183:184], v[2:3], v[12:13]
	v_mul_f64 v[12:13], v[4:5], v[12:13]
	s_waitcnt vmcnt(8) lgkmcnt(0)
	v_mul_f64 v[187:188], v[6:7], v[16:17]
	v_mul_f64 v[16:17], v[8:9], v[16:17]
	v_add_f64 v[166:167], v[166:167], 0
	v_add_f64 v[181:182], v[181:182], 0
	v_fma_f64 v[183:184], v[4:5], v[10:11], v[183:184]
	v_fma_f64 v[189:190], v[2:3], v[10:11], -v[12:13]
	ds_load_b128 v[2:5], v1 offset:1552
	scratch_load_b128 v[10:13], off, off offset:768
	v_add_f64 v[166:167], v[166:167], v[185:186]
	v_add_f64 v[170:171], v[181:182], v[170:171]
	v_fma_f64 v[185:186], v[8:9], v[14:15], v[187:188]
	v_fma_f64 v[187:188], v[6:7], v[14:15], -v[16:17]
	scratch_load_b128 v[14:17], off, off offset:784
	ds_load_b128 v[6:9], v1 offset:1568
	s_waitcnt vmcnt(9) lgkmcnt(1)
	v_mul_f64 v[181:182], v[2:3], v[20:21]
	v_mul_f64 v[20:21], v[4:5], v[20:21]
	v_add_f64 v[166:167], v[166:167], v[189:190]
	v_add_f64 v[170:171], v[170:171], v[183:184]
	s_waitcnt vmcnt(8) lgkmcnt(0)
	v_mul_f64 v[183:184], v[6:7], v[24:25]
	v_mul_f64 v[24:25], v[8:9], v[24:25]
	v_fma_f64 v[181:182], v[4:5], v[18:19], v[181:182]
	v_fma_f64 v[189:190], v[2:3], v[18:19], -v[20:21]
	ds_load_b128 v[2:5], v1 offset:1584
	scratch_load_b128 v[18:21], off, off offset:800
	v_add_f64 v[166:167], v[166:167], v[187:188]
	v_add_f64 v[170:171], v[170:171], v[185:186]
	v_fma_f64 v[183:184], v[8:9], v[22:23], v[183:184]
	v_fma_f64 v[187:188], v[6:7], v[22:23], -v[24:25]
	ds_load_b128 v[6:9], v1 offset:1600
	s_waitcnt vmcnt(8) lgkmcnt(1)
	v_mul_f64 v[185:186], v[2:3], v[28:29]
	v_mul_f64 v[28:29], v[4:5], v[28:29]
	scratch_load_b128 v[22:25], off, off offset:816
	v_add_f64 v[166:167], v[166:167], v[189:190]
	v_add_f64 v[170:171], v[170:171], v[181:182]
	s_waitcnt vmcnt(8) lgkmcnt(0)
	v_mul_f64 v[181:182], v[6:7], v[32:33]
	v_mul_f64 v[32:33], v[8:9], v[32:33]
	v_fma_f64 v[185:186], v[4:5], v[26:27], v[185:186]
	v_fma_f64 v[189:190], v[2:3], v[26:27], -v[28:29]
	scratch_load_b128 v[26:29], off, off offset:832
	ds_load_b128 v[2:5], v1 offset:1616
	v_add_f64 v[166:167], v[166:167], v[187:188]
	v_add_f64 v[170:171], v[170:171], v[183:184]
	v_fma_f64 v[181:182], v[8:9], v[30:31], v[181:182]
	v_fma_f64 v[187:188], v[6:7], v[30:31], -v[32:33]
	ds_load_b128 v[6:9], v1 offset:1632
	s_waitcnt vmcnt(8) lgkmcnt(1)
	v_mul_f64 v[183:184], v[2:3], v[40:41]
	v_mul_f64 v[40:41], v[4:5], v[40:41]
	scratch_load_b128 v[30:33], off, off offset:848
	v_add_f64 v[166:167], v[166:167], v[189:190]
	v_add_f64 v[170:171], v[170:171], v[185:186]
	s_waitcnt vmcnt(8) lgkmcnt(0)
	v_mul_f64 v[185:186], v[6:7], v[179:180]
	v_mul_f64 v[179:180], v[8:9], v[179:180]
	v_fma_f64 v[183:184], v[4:5], v[38:39], v[183:184]
	v_fma_f64 v[189:190], v[2:3], v[38:39], -v[40:41]
	scratch_load_b128 v[38:41], off, off offset:864
	ds_load_b128 v[2:5], v1 offset:1648
	v_add_f64 v[166:167], v[166:167], v[187:188]
	v_add_f64 v[170:171], v[170:171], v[181:182]
	v_fma_f64 v[185:186], v[8:9], v[177:178], v[185:186]
	v_fma_f64 v[187:188], v[6:7], v[177:178], -v[179:180]
	ds_load_b128 v[6:9], v1 offset:1664
	scratch_load_b128 v[177:180], off, off offset:880
	s_waitcnt vmcnt(9) lgkmcnt(1)
	v_mul_f64 v[181:182], v[2:3], v[36:37]
	v_mul_f64 v[36:37], v[4:5], v[36:37]
	v_add_f64 v[166:167], v[166:167], v[189:190]
	v_add_f64 v[170:171], v[170:171], v[183:184]
	s_waitcnt vmcnt(8) lgkmcnt(0)
	v_mul_f64 v[183:184], v[6:7], v[175:176]
	v_mul_f64 v[175:176], v[8:9], v[175:176]
	v_fma_f64 v[181:182], v[4:5], v[34:35], v[181:182]
	v_fma_f64 v[189:190], v[2:3], v[34:35], -v[36:37]
	scratch_load_b128 v[34:37], off, off offset:896
	ds_load_b128 v[2:5], v1 offset:1680
	v_add_f64 v[166:167], v[166:167], v[187:188]
	v_add_f64 v[170:171], v[170:171], v[185:186]
	v_fma_f64 v[183:184], v[8:9], v[173:174], v[183:184]
	v_fma_f64 v[173:174], v[6:7], v[173:174], -v[175:176]
	ds_load_b128 v[6:9], v1 offset:1696
	s_waitcnt vmcnt(8) lgkmcnt(1)
	v_mul_f64 v[185:186], v[2:3], v[12:13]
	v_mul_f64 v[12:13], v[4:5], v[12:13]
	s_waitcnt vmcnt(7) lgkmcnt(0)
	v_mul_f64 v[175:176], v[6:7], v[16:17]
	v_mul_f64 v[16:17], v[8:9], v[16:17]
	v_add_f64 v[166:167], v[166:167], v[189:190]
	v_add_f64 v[170:171], v[170:171], v[181:182]
	v_fma_f64 v[181:182], v[4:5], v[10:11], v[185:186]
	v_fma_f64 v[10:11], v[2:3], v[10:11], -v[12:13]
	ds_load_b128 v[2:5], v1 offset:1712
	v_add_f64 v[12:13], v[166:167], v[173:174]
	v_add_f64 v[166:167], v[170:171], v[183:184]
	v_fma_f64 v[173:174], v[8:9], v[14:15], v[175:176]
	v_fma_f64 v[14:15], v[6:7], v[14:15], -v[16:17]
	ds_load_b128 v[6:9], v1 offset:1728
	s_waitcnt vmcnt(5) lgkmcnt(0)
	v_mul_f64 v[175:176], v[6:7], v[24:25]
	v_mul_f64 v[24:25], v[8:9], v[24:25]
	v_add_f64 v[16:17], v[12:13], v[10:11]
	v_add_f64 v[166:167], v[166:167], v[181:182]
	scratch_load_b128 v[10:13], off, off offset:560
	v_mul_f64 v[170:171], v[2:3], v[20:21]
	v_mul_f64 v[20:21], v[4:5], v[20:21]
	v_add_f64 v[14:15], v[16:17], v[14:15]
	v_add_f64 v[16:17], v[166:167], v[173:174]
	v_fma_f64 v[166:167], v[8:9], v[22:23], v[175:176]
	v_fma_f64 v[170:171], v[4:5], v[18:19], v[170:171]
	v_fma_f64 v[18:19], v[2:3], v[18:19], -v[20:21]
	ds_load_b128 v[2:5], v1 offset:1744
	v_fma_f64 v[22:23], v[6:7], v[22:23], -v[24:25]
	ds_load_b128 v[6:9], v1 offset:1760
	s_waitcnt vmcnt(5) lgkmcnt(1)
	v_mul_f64 v[20:21], v[2:3], v[28:29]
	v_mul_f64 v[28:29], v[4:5], v[28:29]
	s_waitcnt vmcnt(4) lgkmcnt(0)
	v_mul_f64 v[24:25], v[8:9], v[32:33]
	v_add_f64 v[16:17], v[16:17], v[170:171]
	v_add_f64 v[14:15], v[14:15], v[18:19]
	v_mul_f64 v[18:19], v[6:7], v[32:33]
	v_fma_f64 v[20:21], v[4:5], v[26:27], v[20:21]
	v_fma_f64 v[26:27], v[2:3], v[26:27], -v[28:29]
	ds_load_b128 v[2:5], v1 offset:1776
	v_fma_f64 v[24:25], v[6:7], v[30:31], -v[24:25]
	v_add_f64 v[16:17], v[16:17], v[166:167]
	v_add_f64 v[14:15], v[14:15], v[22:23]
	v_fma_f64 v[18:19], v[8:9], v[30:31], v[18:19]
	ds_load_b128 v[6:9], v1 offset:1792
	s_waitcnt vmcnt(3) lgkmcnt(1)
	v_mul_f64 v[22:23], v[2:3], v[40:41]
	v_mul_f64 v[28:29], v[4:5], v[40:41]
	v_add_f64 v[16:17], v[16:17], v[20:21]
	v_add_f64 v[14:15], v[14:15], v[26:27]
	s_waitcnt vmcnt(2) lgkmcnt(0)
	v_mul_f64 v[20:21], v[6:7], v[179:180]
	v_mul_f64 v[26:27], v[8:9], v[179:180]
	v_fma_f64 v[22:23], v[4:5], v[38:39], v[22:23]
	v_fma_f64 v[28:29], v[2:3], v[38:39], -v[28:29]
	ds_load_b128 v[2:5], v1 offset:1808
	v_add_f64 v[16:17], v[16:17], v[18:19]
	v_add_f64 v[14:15], v[14:15], v[24:25]
	s_waitcnt vmcnt(1) lgkmcnt(0)
	v_mul_f64 v[18:19], v[2:3], v[36:37]
	v_mul_f64 v[24:25], v[4:5], v[36:37]
	v_fma_f64 v[8:9], v[8:9], v[177:178], v[20:21]
	v_fma_f64 v[6:7], v[6:7], v[177:178], -v[26:27]
	v_add_f64 v[16:17], v[16:17], v[22:23]
	v_add_f64 v[14:15], v[14:15], v[28:29]
	v_fma_f64 v[4:5], v[4:5], v[34:35], v[18:19]
	v_fma_f64 v[2:3], v[2:3], v[34:35], -v[24:25]
	s_delay_alu instid0(VALU_DEP_4) | instskip(NEXT) | instid1(VALU_DEP_4)
	v_add_f64 v[8:9], v[16:17], v[8:9]
	v_add_f64 v[6:7], v[14:15], v[6:7]
	s_delay_alu instid0(VALU_DEP_2) | instskip(NEXT) | instid1(VALU_DEP_2)
	v_add_f64 v[4:5], v[8:9], v[4:5]
	v_add_f64 v[2:3], v[6:7], v[2:3]
	s_waitcnt vmcnt(0)
	s_delay_alu instid0(VALU_DEP_2) | instskip(NEXT) | instid1(VALU_DEP_2)
	v_add_f64 v[4:5], v[12:13], -v[4:5]
	v_add_f64 v[2:3], v[10:11], -v[2:3]
	scratch_store_b128 off, v[2:5], off offset:560
	v_cmpx_lt_u32_e32 34, v156
	s_cbranch_execz .LBB120_287
; %bb.286:
	scratch_load_b128 v[5:8], v224, off
	v_mov_b32_e32 v2, v1
	v_mov_b32_e32 v3, v1
	;; [unrolled: 1-line block ×3, first 2 shown]
	scratch_store_b128 off, v[1:4], off offset:544
	s_waitcnt vmcnt(0)
	ds_store_b128 v213, v[5:8]
.LBB120_287:
	s_or_b32 exec_lo, exec_lo, s2
	s_waitcnt lgkmcnt(0)
	s_waitcnt_vscnt null, 0x0
	s_barrier
	buffer_gl0_inv
	s_clause 0x7
	scratch_load_b128 v[2:5], off, off offset:560
	scratch_load_b128 v[6:9], off, off offset:576
	scratch_load_b128 v[10:13], off, off offset:592
	scratch_load_b128 v[14:17], off, off offset:608
	scratch_load_b128 v[18:21], off, off offset:624
	scratch_load_b128 v[22:25], off, off offset:640
	scratch_load_b128 v[26:29], off, off offset:656
	scratch_load_b128 v[30:33], off, off offset:672
	ds_load_b128 v[34:37], v1 offset:1472
	ds_load_b128 v[173:176], v1 offset:1488
	s_clause 0x1
	scratch_load_b128 v[38:41], off, off offset:688
	scratch_load_b128 v[177:180], off, off offset:704
	s_mov_b32 s2, exec_lo
	s_waitcnt vmcnt(9) lgkmcnt(1)
	v_mul_f64 v[166:167], v[36:37], v[4:5]
	v_mul_f64 v[4:5], v[34:35], v[4:5]
	s_waitcnt vmcnt(8) lgkmcnt(0)
	v_mul_f64 v[170:171], v[173:174], v[8:9]
	v_mul_f64 v[8:9], v[175:176], v[8:9]
	s_delay_alu instid0(VALU_DEP_4) | instskip(NEXT) | instid1(VALU_DEP_4)
	v_fma_f64 v[166:167], v[34:35], v[2:3], -v[166:167]
	v_fma_f64 v[181:182], v[36:37], v[2:3], v[4:5]
	ds_load_b128 v[2:5], v1 offset:1504
	scratch_load_b128 v[34:37], off, off offset:720
	v_fma_f64 v[170:171], v[175:176], v[6:7], v[170:171]
	v_fma_f64 v[185:186], v[173:174], v[6:7], -v[8:9]
	scratch_load_b128 v[173:176], off, off offset:736
	ds_load_b128 v[6:9], v1 offset:1520
	s_waitcnt vmcnt(9) lgkmcnt(1)
	v_mul_f64 v[183:184], v[2:3], v[12:13]
	v_mul_f64 v[12:13], v[4:5], v[12:13]
	s_waitcnt vmcnt(8) lgkmcnt(0)
	v_mul_f64 v[187:188], v[6:7], v[16:17]
	v_mul_f64 v[16:17], v[8:9], v[16:17]
	v_add_f64 v[166:167], v[166:167], 0
	v_add_f64 v[181:182], v[181:182], 0
	v_fma_f64 v[183:184], v[4:5], v[10:11], v[183:184]
	v_fma_f64 v[189:190], v[2:3], v[10:11], -v[12:13]
	ds_load_b128 v[2:5], v1 offset:1536
	scratch_load_b128 v[10:13], off, off offset:752
	v_add_f64 v[166:167], v[166:167], v[185:186]
	v_add_f64 v[170:171], v[181:182], v[170:171]
	v_fma_f64 v[185:186], v[8:9], v[14:15], v[187:188]
	v_fma_f64 v[187:188], v[6:7], v[14:15], -v[16:17]
	scratch_load_b128 v[14:17], off, off offset:768
	ds_load_b128 v[6:9], v1 offset:1552
	s_waitcnt vmcnt(9) lgkmcnt(1)
	v_mul_f64 v[181:182], v[2:3], v[20:21]
	v_mul_f64 v[20:21], v[4:5], v[20:21]
	v_add_f64 v[166:167], v[166:167], v[189:190]
	v_add_f64 v[170:171], v[170:171], v[183:184]
	s_waitcnt vmcnt(8) lgkmcnt(0)
	v_mul_f64 v[183:184], v[6:7], v[24:25]
	v_mul_f64 v[24:25], v[8:9], v[24:25]
	v_fma_f64 v[181:182], v[4:5], v[18:19], v[181:182]
	v_fma_f64 v[189:190], v[2:3], v[18:19], -v[20:21]
	ds_load_b128 v[2:5], v1 offset:1568
	scratch_load_b128 v[18:21], off, off offset:784
	v_add_f64 v[166:167], v[166:167], v[187:188]
	v_add_f64 v[170:171], v[170:171], v[185:186]
	v_fma_f64 v[183:184], v[8:9], v[22:23], v[183:184]
	v_fma_f64 v[187:188], v[6:7], v[22:23], -v[24:25]
	ds_load_b128 v[6:9], v1 offset:1584
	s_waitcnt vmcnt(8) lgkmcnt(1)
	v_mul_f64 v[185:186], v[2:3], v[28:29]
	v_mul_f64 v[28:29], v[4:5], v[28:29]
	scratch_load_b128 v[22:25], off, off offset:800
	v_add_f64 v[166:167], v[166:167], v[189:190]
	v_add_f64 v[170:171], v[170:171], v[181:182]
	s_waitcnt vmcnt(8) lgkmcnt(0)
	v_mul_f64 v[181:182], v[6:7], v[32:33]
	v_mul_f64 v[32:33], v[8:9], v[32:33]
	v_fma_f64 v[185:186], v[4:5], v[26:27], v[185:186]
	v_fma_f64 v[189:190], v[2:3], v[26:27], -v[28:29]
	ds_load_b128 v[2:5], v1 offset:1600
	scratch_load_b128 v[26:29], off, off offset:816
	v_add_f64 v[166:167], v[166:167], v[187:188]
	v_add_f64 v[170:171], v[170:171], v[183:184]
	v_fma_f64 v[181:182], v[8:9], v[30:31], v[181:182]
	v_fma_f64 v[187:188], v[6:7], v[30:31], -v[32:33]
	ds_load_b128 v[6:9], v1 offset:1616
	s_waitcnt vmcnt(8) lgkmcnt(1)
	v_mul_f64 v[183:184], v[2:3], v[40:41]
	v_mul_f64 v[40:41], v[4:5], v[40:41]
	scratch_load_b128 v[30:33], off, off offset:832
	v_add_f64 v[166:167], v[166:167], v[189:190]
	v_add_f64 v[170:171], v[170:171], v[185:186]
	s_waitcnt vmcnt(8) lgkmcnt(0)
	v_mul_f64 v[185:186], v[6:7], v[179:180]
	v_mul_f64 v[179:180], v[8:9], v[179:180]
	v_fma_f64 v[183:184], v[4:5], v[38:39], v[183:184]
	v_fma_f64 v[189:190], v[2:3], v[38:39], -v[40:41]
	scratch_load_b128 v[38:41], off, off offset:848
	ds_load_b128 v[2:5], v1 offset:1632
	v_add_f64 v[166:167], v[166:167], v[187:188]
	v_add_f64 v[170:171], v[170:171], v[181:182]
	v_fma_f64 v[185:186], v[8:9], v[177:178], v[185:186]
	v_fma_f64 v[187:188], v[6:7], v[177:178], -v[179:180]
	ds_load_b128 v[6:9], v1 offset:1648
	scratch_load_b128 v[177:180], off, off offset:864
	s_waitcnt vmcnt(9) lgkmcnt(1)
	v_mul_f64 v[181:182], v[2:3], v[36:37]
	v_mul_f64 v[36:37], v[4:5], v[36:37]
	v_add_f64 v[166:167], v[166:167], v[189:190]
	v_add_f64 v[170:171], v[170:171], v[183:184]
	s_waitcnt vmcnt(8) lgkmcnt(0)
	v_mul_f64 v[183:184], v[6:7], v[175:176]
	v_mul_f64 v[175:176], v[8:9], v[175:176]
	v_fma_f64 v[181:182], v[4:5], v[34:35], v[181:182]
	v_fma_f64 v[189:190], v[2:3], v[34:35], -v[36:37]
	scratch_load_b128 v[34:37], off, off offset:880
	ds_load_b128 v[2:5], v1 offset:1664
	v_add_f64 v[166:167], v[166:167], v[187:188]
	v_add_f64 v[170:171], v[170:171], v[185:186]
	v_fma_f64 v[183:184], v[8:9], v[173:174], v[183:184]
	v_fma_f64 v[187:188], v[6:7], v[173:174], -v[175:176]
	ds_load_b128 v[6:9], v1 offset:1680
	s_waitcnt vmcnt(8) lgkmcnt(1)
	v_mul_f64 v[185:186], v[2:3], v[12:13]
	v_mul_f64 v[12:13], v[4:5], v[12:13]
	scratch_load_b128 v[173:176], off, off offset:896
	v_add_f64 v[166:167], v[166:167], v[189:190]
	v_add_f64 v[170:171], v[170:171], v[181:182]
	s_waitcnt vmcnt(8) lgkmcnt(0)
	v_mul_f64 v[181:182], v[6:7], v[16:17]
	v_mul_f64 v[16:17], v[8:9], v[16:17]
	v_fma_f64 v[185:186], v[4:5], v[10:11], v[185:186]
	v_fma_f64 v[10:11], v[2:3], v[10:11], -v[12:13]
	ds_load_b128 v[2:5], v1 offset:1696
	v_add_f64 v[12:13], v[166:167], v[187:188]
	v_add_f64 v[166:167], v[170:171], v[183:184]
	v_fma_f64 v[181:182], v[8:9], v[14:15], v[181:182]
	v_fma_f64 v[14:15], v[6:7], v[14:15], -v[16:17]
	ds_load_b128 v[6:9], v1 offset:1712
	s_waitcnt vmcnt(7) lgkmcnt(1)
	v_mul_f64 v[170:171], v[2:3], v[20:21]
	v_mul_f64 v[20:21], v[4:5], v[20:21]
	v_add_f64 v[10:11], v[12:13], v[10:11]
	v_add_f64 v[12:13], v[166:167], v[185:186]
	s_delay_alu instid0(VALU_DEP_4) | instskip(NEXT) | instid1(VALU_DEP_4)
	v_fma_f64 v[166:167], v[4:5], v[18:19], v[170:171]
	v_fma_f64 v[18:19], v[2:3], v[18:19], -v[20:21]
	ds_load_b128 v[2:5], v1 offset:1728
	v_add_f64 v[14:15], v[10:11], v[14:15]
	v_add_f64 v[20:21], v[12:13], v[181:182]
	scratch_load_b128 v[10:13], off, off offset:544
	s_waitcnt vmcnt(7) lgkmcnt(1)
	v_mul_f64 v[16:17], v[6:7], v[24:25]
	v_mul_f64 v[24:25], v[8:9], v[24:25]
	v_add_f64 v[14:15], v[14:15], v[18:19]
	v_add_f64 v[18:19], v[20:21], v[166:167]
	s_delay_alu instid0(VALU_DEP_4) | instskip(NEXT) | instid1(VALU_DEP_4)
	v_fma_f64 v[16:17], v[8:9], v[22:23], v[16:17]
	v_fma_f64 v[22:23], v[6:7], v[22:23], -v[24:25]
	ds_load_b128 v[6:9], v1 offset:1744
	s_waitcnt vmcnt(6) lgkmcnt(1)
	v_mul_f64 v[170:171], v[2:3], v[28:29]
	v_mul_f64 v[28:29], v[4:5], v[28:29]
	s_waitcnt vmcnt(5) lgkmcnt(0)
	v_mul_f64 v[20:21], v[6:7], v[32:33]
	v_mul_f64 v[24:25], v[8:9], v[32:33]
	v_add_f64 v[16:17], v[18:19], v[16:17]
	v_add_f64 v[14:15], v[14:15], v[22:23]
	v_fma_f64 v[32:33], v[4:5], v[26:27], v[170:171]
	v_fma_f64 v[26:27], v[2:3], v[26:27], -v[28:29]
	ds_load_b128 v[2:5], v1 offset:1760
	v_fma_f64 v[20:21], v[8:9], v[30:31], v[20:21]
	v_fma_f64 v[24:25], v[6:7], v[30:31], -v[24:25]
	ds_load_b128 v[6:9], v1 offset:1776
	s_waitcnt vmcnt(4) lgkmcnt(1)
	v_mul_f64 v[18:19], v[2:3], v[40:41]
	v_mul_f64 v[22:23], v[4:5], v[40:41]
	v_add_f64 v[16:17], v[16:17], v[32:33]
	v_add_f64 v[14:15], v[14:15], v[26:27]
	s_waitcnt vmcnt(3) lgkmcnt(0)
	v_mul_f64 v[26:27], v[6:7], v[179:180]
	v_mul_f64 v[28:29], v[8:9], v[179:180]
	v_fma_f64 v[18:19], v[4:5], v[38:39], v[18:19]
	v_fma_f64 v[22:23], v[2:3], v[38:39], -v[22:23]
	ds_load_b128 v[2:5], v1 offset:1792
	v_add_f64 v[16:17], v[16:17], v[20:21]
	v_add_f64 v[14:15], v[14:15], v[24:25]
	v_fma_f64 v[26:27], v[8:9], v[177:178], v[26:27]
	v_fma_f64 v[28:29], v[6:7], v[177:178], -v[28:29]
	ds_load_b128 v[6:9], v1 offset:1808
	s_waitcnt vmcnt(2) lgkmcnt(1)
	v_mul_f64 v[20:21], v[2:3], v[36:37]
	v_mul_f64 v[24:25], v[4:5], v[36:37]
	v_add_f64 v[16:17], v[16:17], v[18:19]
	v_add_f64 v[14:15], v[14:15], v[22:23]
	s_waitcnt vmcnt(1) lgkmcnt(0)
	v_mul_f64 v[18:19], v[6:7], v[175:176]
	v_mul_f64 v[22:23], v[8:9], v[175:176]
	v_fma_f64 v[4:5], v[4:5], v[34:35], v[20:21]
	v_fma_f64 v[1:2], v[2:3], v[34:35], -v[24:25]
	v_add_f64 v[16:17], v[16:17], v[26:27]
	v_add_f64 v[14:15], v[14:15], v[28:29]
	v_fma_f64 v[8:9], v[8:9], v[173:174], v[18:19]
	v_fma_f64 v[6:7], v[6:7], v[173:174], -v[22:23]
	s_delay_alu instid0(VALU_DEP_4) | instskip(NEXT) | instid1(VALU_DEP_4)
	v_add_f64 v[3:4], v[16:17], v[4:5]
	v_add_f64 v[1:2], v[14:15], v[1:2]
	s_delay_alu instid0(VALU_DEP_2) | instskip(NEXT) | instid1(VALU_DEP_2)
	v_add_f64 v[3:4], v[3:4], v[8:9]
	v_add_f64 v[1:2], v[1:2], v[6:7]
	s_waitcnt vmcnt(0)
	s_delay_alu instid0(VALU_DEP_2) | instskip(NEXT) | instid1(VALU_DEP_2)
	v_add_f64 v[3:4], v[12:13], -v[3:4]
	v_add_f64 v[1:2], v[10:11], -v[1:2]
	scratch_store_b128 off, v[1:4], off offset:544
	v_cmpx_lt_u32_e32 33, v156
	s_cbranch_execz .LBB120_289
; %bb.288:
	scratch_load_b128 v[1:4], v225, off
	v_mov_b32_e32 v5, 0
	s_delay_alu instid0(VALU_DEP_1)
	v_mov_b32_e32 v6, v5
	v_mov_b32_e32 v7, v5
	;; [unrolled: 1-line block ×3, first 2 shown]
	scratch_store_b128 off, v[5:8], off offset:528
	s_waitcnt vmcnt(0)
	ds_store_b128 v213, v[1:4]
.LBB120_289:
	s_or_b32 exec_lo, exec_lo, s2
	s_waitcnt lgkmcnt(0)
	s_waitcnt_vscnt null, 0x0
	s_barrier
	buffer_gl0_inv
	s_clause 0x7
	scratch_load_b128 v[2:5], off, off offset:544
	scratch_load_b128 v[6:9], off, off offset:560
	;; [unrolled: 1-line block ×8, first 2 shown]
	v_mov_b32_e32 v1, 0
	s_clause 0x1
	scratch_load_b128 v[38:41], off, off offset:672
	scratch_load_b128 v[177:180], off, off offset:688
	s_mov_b32 s2, exec_lo
	ds_load_b128 v[34:37], v1 offset:1456
	ds_load_b128 v[173:176], v1 offset:1472
	s_waitcnt vmcnt(9) lgkmcnt(1)
	v_mul_f64 v[166:167], v[36:37], v[4:5]
	v_mul_f64 v[4:5], v[34:35], v[4:5]
	s_waitcnt vmcnt(8) lgkmcnt(0)
	v_mul_f64 v[170:171], v[173:174], v[8:9]
	v_mul_f64 v[8:9], v[175:176], v[8:9]
	s_delay_alu instid0(VALU_DEP_4) | instskip(NEXT) | instid1(VALU_DEP_4)
	v_fma_f64 v[166:167], v[34:35], v[2:3], -v[166:167]
	v_fma_f64 v[181:182], v[36:37], v[2:3], v[4:5]
	ds_load_b128 v[2:5], v1 offset:1488
	scratch_load_b128 v[34:37], off, off offset:704
	v_fma_f64 v[170:171], v[175:176], v[6:7], v[170:171]
	v_fma_f64 v[185:186], v[173:174], v[6:7], -v[8:9]
	scratch_load_b128 v[173:176], off, off offset:720
	ds_load_b128 v[6:9], v1 offset:1504
	s_waitcnt vmcnt(9) lgkmcnt(1)
	v_mul_f64 v[183:184], v[2:3], v[12:13]
	v_mul_f64 v[12:13], v[4:5], v[12:13]
	s_waitcnt vmcnt(8) lgkmcnt(0)
	v_mul_f64 v[187:188], v[6:7], v[16:17]
	v_mul_f64 v[16:17], v[8:9], v[16:17]
	v_add_f64 v[166:167], v[166:167], 0
	v_add_f64 v[181:182], v[181:182], 0
	v_fma_f64 v[183:184], v[4:5], v[10:11], v[183:184]
	v_fma_f64 v[189:190], v[2:3], v[10:11], -v[12:13]
	ds_load_b128 v[2:5], v1 offset:1520
	scratch_load_b128 v[10:13], off, off offset:736
	v_add_f64 v[166:167], v[166:167], v[185:186]
	v_add_f64 v[170:171], v[181:182], v[170:171]
	v_fma_f64 v[185:186], v[8:9], v[14:15], v[187:188]
	v_fma_f64 v[187:188], v[6:7], v[14:15], -v[16:17]
	scratch_load_b128 v[14:17], off, off offset:752
	ds_load_b128 v[6:9], v1 offset:1536
	s_waitcnt vmcnt(9) lgkmcnt(1)
	v_mul_f64 v[181:182], v[2:3], v[20:21]
	v_mul_f64 v[20:21], v[4:5], v[20:21]
	v_add_f64 v[166:167], v[166:167], v[189:190]
	v_add_f64 v[170:171], v[170:171], v[183:184]
	s_waitcnt vmcnt(8) lgkmcnt(0)
	v_mul_f64 v[183:184], v[6:7], v[24:25]
	v_mul_f64 v[24:25], v[8:9], v[24:25]
	v_fma_f64 v[181:182], v[4:5], v[18:19], v[181:182]
	v_fma_f64 v[189:190], v[2:3], v[18:19], -v[20:21]
	ds_load_b128 v[2:5], v1 offset:1552
	scratch_load_b128 v[18:21], off, off offset:768
	v_add_f64 v[166:167], v[166:167], v[187:188]
	v_add_f64 v[170:171], v[170:171], v[185:186]
	v_fma_f64 v[183:184], v[8:9], v[22:23], v[183:184]
	v_fma_f64 v[187:188], v[6:7], v[22:23], -v[24:25]
	scratch_load_b128 v[22:25], off, off offset:784
	ds_load_b128 v[6:9], v1 offset:1568
	s_waitcnt vmcnt(9) lgkmcnt(1)
	v_mul_f64 v[185:186], v[2:3], v[28:29]
	v_mul_f64 v[28:29], v[4:5], v[28:29]
	v_add_f64 v[166:167], v[166:167], v[189:190]
	v_add_f64 v[170:171], v[170:171], v[181:182]
	s_waitcnt vmcnt(8) lgkmcnt(0)
	v_mul_f64 v[181:182], v[6:7], v[32:33]
	v_mul_f64 v[32:33], v[8:9], v[32:33]
	v_fma_f64 v[185:186], v[4:5], v[26:27], v[185:186]
	v_fma_f64 v[189:190], v[2:3], v[26:27], -v[28:29]
	ds_load_b128 v[2:5], v1 offset:1584
	scratch_load_b128 v[26:29], off, off offset:800
	v_add_f64 v[166:167], v[166:167], v[187:188]
	v_add_f64 v[170:171], v[170:171], v[183:184]
	v_fma_f64 v[181:182], v[8:9], v[30:31], v[181:182]
	v_fma_f64 v[187:188], v[6:7], v[30:31], -v[32:33]
	ds_load_b128 v[6:9], v1 offset:1600
	s_waitcnt vmcnt(8) lgkmcnt(1)
	v_mul_f64 v[183:184], v[2:3], v[40:41]
	v_mul_f64 v[40:41], v[4:5], v[40:41]
	scratch_load_b128 v[30:33], off, off offset:816
	v_add_f64 v[166:167], v[166:167], v[189:190]
	v_add_f64 v[170:171], v[170:171], v[185:186]
	s_waitcnt vmcnt(8) lgkmcnt(0)
	v_mul_f64 v[185:186], v[6:7], v[179:180]
	v_mul_f64 v[179:180], v[8:9], v[179:180]
	v_fma_f64 v[183:184], v[4:5], v[38:39], v[183:184]
	v_fma_f64 v[189:190], v[2:3], v[38:39], -v[40:41]
	scratch_load_b128 v[38:41], off, off offset:832
	ds_load_b128 v[2:5], v1 offset:1616
	v_add_f64 v[166:167], v[166:167], v[187:188]
	v_add_f64 v[170:171], v[170:171], v[181:182]
	v_fma_f64 v[185:186], v[8:9], v[177:178], v[185:186]
	v_fma_f64 v[187:188], v[6:7], v[177:178], -v[179:180]
	ds_load_b128 v[6:9], v1 offset:1632
	scratch_load_b128 v[177:180], off, off offset:848
	s_waitcnt vmcnt(9) lgkmcnt(1)
	v_mul_f64 v[181:182], v[2:3], v[36:37]
	v_mul_f64 v[36:37], v[4:5], v[36:37]
	v_add_f64 v[166:167], v[166:167], v[189:190]
	v_add_f64 v[170:171], v[170:171], v[183:184]
	s_waitcnt vmcnt(8) lgkmcnt(0)
	v_mul_f64 v[183:184], v[6:7], v[175:176]
	v_mul_f64 v[175:176], v[8:9], v[175:176]
	v_fma_f64 v[181:182], v[4:5], v[34:35], v[181:182]
	v_fma_f64 v[189:190], v[2:3], v[34:35], -v[36:37]
	scratch_load_b128 v[34:37], off, off offset:864
	ds_load_b128 v[2:5], v1 offset:1648
	v_add_f64 v[166:167], v[166:167], v[187:188]
	v_add_f64 v[170:171], v[170:171], v[185:186]
	v_fma_f64 v[183:184], v[8:9], v[173:174], v[183:184]
	v_fma_f64 v[187:188], v[6:7], v[173:174], -v[175:176]
	ds_load_b128 v[6:9], v1 offset:1664
	s_waitcnt vmcnt(8) lgkmcnt(1)
	v_mul_f64 v[185:186], v[2:3], v[12:13]
	v_mul_f64 v[12:13], v[4:5], v[12:13]
	scratch_load_b128 v[173:176], off, off offset:880
	v_add_f64 v[166:167], v[166:167], v[189:190]
	v_add_f64 v[170:171], v[170:171], v[181:182]
	s_waitcnt vmcnt(8) lgkmcnt(0)
	v_mul_f64 v[181:182], v[6:7], v[16:17]
	v_mul_f64 v[16:17], v[8:9], v[16:17]
	v_fma_f64 v[185:186], v[4:5], v[10:11], v[185:186]
	v_fma_f64 v[189:190], v[2:3], v[10:11], -v[12:13]
	scratch_load_b128 v[10:13], off, off offset:896
	ds_load_b128 v[2:5], v1 offset:1680
	v_add_f64 v[166:167], v[166:167], v[187:188]
	v_add_f64 v[170:171], v[170:171], v[183:184]
	v_fma_f64 v[181:182], v[8:9], v[14:15], v[181:182]
	v_fma_f64 v[14:15], v[6:7], v[14:15], -v[16:17]
	ds_load_b128 v[6:9], v1 offset:1696
	s_waitcnt vmcnt(8) lgkmcnt(1)
	v_mul_f64 v[183:184], v[2:3], v[20:21]
	v_mul_f64 v[20:21], v[4:5], v[20:21]
	v_add_f64 v[16:17], v[166:167], v[189:190]
	v_add_f64 v[166:167], v[170:171], v[185:186]
	s_waitcnt vmcnt(7) lgkmcnt(0)
	v_mul_f64 v[170:171], v[6:7], v[24:25]
	v_mul_f64 v[24:25], v[8:9], v[24:25]
	v_fma_f64 v[183:184], v[4:5], v[18:19], v[183:184]
	v_fma_f64 v[18:19], v[2:3], v[18:19], -v[20:21]
	ds_load_b128 v[2:5], v1 offset:1712
	v_add_f64 v[14:15], v[16:17], v[14:15]
	v_add_f64 v[16:17], v[166:167], v[181:182]
	v_fma_f64 v[166:167], v[8:9], v[22:23], v[170:171]
	v_fma_f64 v[22:23], v[6:7], v[22:23], -v[24:25]
	ds_load_b128 v[6:9], v1 offset:1728
	s_waitcnt vmcnt(5) lgkmcnt(0)
	v_mul_f64 v[170:171], v[6:7], v[32:33]
	v_mul_f64 v[32:33], v[8:9], v[32:33]
	v_add_f64 v[18:19], v[14:15], v[18:19]
	v_add_f64 v[24:25], v[16:17], v[183:184]
	scratch_load_b128 v[14:17], off, off offset:528
	v_mul_f64 v[20:21], v[2:3], v[28:29]
	v_mul_f64 v[28:29], v[4:5], v[28:29]
	v_add_f64 v[18:19], v[18:19], v[22:23]
	v_add_f64 v[22:23], v[24:25], v[166:167]
	s_delay_alu instid0(VALU_DEP_4) | instskip(NEXT) | instid1(VALU_DEP_4)
	v_fma_f64 v[20:21], v[4:5], v[26:27], v[20:21]
	v_fma_f64 v[26:27], v[2:3], v[26:27], -v[28:29]
	ds_load_b128 v[2:5], v1 offset:1744
	s_waitcnt vmcnt(5) lgkmcnt(0)
	v_mul_f64 v[24:25], v[2:3], v[40:41]
	v_mul_f64 v[28:29], v[4:5], v[40:41]
	v_fma_f64 v[40:41], v[8:9], v[30:31], v[170:171]
	v_fma_f64 v[30:31], v[6:7], v[30:31], -v[32:33]
	ds_load_b128 v[6:9], v1 offset:1760
	v_add_f64 v[20:21], v[22:23], v[20:21]
	v_add_f64 v[18:19], v[18:19], v[26:27]
	v_fma_f64 v[24:25], v[4:5], v[38:39], v[24:25]
	v_fma_f64 v[28:29], v[2:3], v[38:39], -v[28:29]
	ds_load_b128 v[2:5], v1 offset:1776
	s_waitcnt vmcnt(4) lgkmcnt(1)
	v_mul_f64 v[22:23], v[6:7], v[179:180]
	v_mul_f64 v[26:27], v[8:9], v[179:180]
	v_add_f64 v[20:21], v[20:21], v[40:41]
	v_add_f64 v[18:19], v[18:19], v[30:31]
	s_waitcnt vmcnt(3) lgkmcnt(0)
	v_mul_f64 v[30:31], v[2:3], v[36:37]
	v_mul_f64 v[32:33], v[4:5], v[36:37]
	v_fma_f64 v[22:23], v[8:9], v[177:178], v[22:23]
	v_fma_f64 v[26:27], v[6:7], v[177:178], -v[26:27]
	ds_load_b128 v[6:9], v1 offset:1792
	v_add_f64 v[20:21], v[20:21], v[24:25]
	v_add_f64 v[18:19], v[18:19], v[28:29]
	v_fma_f64 v[30:31], v[4:5], v[34:35], v[30:31]
	v_fma_f64 v[32:33], v[2:3], v[34:35], -v[32:33]
	ds_load_b128 v[2:5], v1 offset:1808
	s_waitcnt vmcnt(2) lgkmcnt(1)
	v_mul_f64 v[24:25], v[6:7], v[175:176]
	v_mul_f64 v[28:29], v[8:9], v[175:176]
	v_add_f64 v[20:21], v[20:21], v[22:23]
	v_add_f64 v[18:19], v[18:19], v[26:27]
	s_waitcnt vmcnt(1) lgkmcnt(0)
	v_mul_f64 v[22:23], v[2:3], v[12:13]
	v_mul_f64 v[12:13], v[4:5], v[12:13]
	v_fma_f64 v[8:9], v[8:9], v[173:174], v[24:25]
	v_fma_f64 v[6:7], v[6:7], v[173:174], -v[28:29]
	v_add_f64 v[20:21], v[20:21], v[30:31]
	v_add_f64 v[18:19], v[18:19], v[32:33]
	v_fma_f64 v[4:5], v[4:5], v[10:11], v[22:23]
	v_fma_f64 v[2:3], v[2:3], v[10:11], -v[12:13]
	s_delay_alu instid0(VALU_DEP_4) | instskip(NEXT) | instid1(VALU_DEP_4)
	v_add_f64 v[8:9], v[20:21], v[8:9]
	v_add_f64 v[6:7], v[18:19], v[6:7]
	s_delay_alu instid0(VALU_DEP_2) | instskip(NEXT) | instid1(VALU_DEP_2)
	v_add_f64 v[4:5], v[8:9], v[4:5]
	v_add_f64 v[2:3], v[6:7], v[2:3]
	s_waitcnt vmcnt(0)
	s_delay_alu instid0(VALU_DEP_2) | instskip(NEXT) | instid1(VALU_DEP_2)
	v_add_f64 v[4:5], v[16:17], -v[4:5]
	v_add_f64 v[2:3], v[14:15], -v[2:3]
	scratch_store_b128 off, v[2:5], off offset:528
	v_cmpx_lt_u32_e32 32, v156
	s_cbranch_execz .LBB120_291
; %bb.290:
	scratch_load_b128 v[5:8], v226, off
	v_mov_b32_e32 v2, v1
	v_mov_b32_e32 v3, v1
	;; [unrolled: 1-line block ×3, first 2 shown]
	scratch_store_b128 off, v[1:4], off offset:512
	s_waitcnt vmcnt(0)
	ds_store_b128 v213, v[5:8]
.LBB120_291:
	s_or_b32 exec_lo, exec_lo, s2
	s_waitcnt lgkmcnt(0)
	s_waitcnt_vscnt null, 0x0
	s_barrier
	buffer_gl0_inv
	s_clause 0x7
	scratch_load_b128 v[2:5], off, off offset:528
	scratch_load_b128 v[6:9], off, off offset:544
	;; [unrolled: 1-line block ×8, first 2 shown]
	ds_load_b128 v[34:37], v1 offset:1440
	ds_load_b128 v[173:176], v1 offset:1456
	s_clause 0x1
	scratch_load_b128 v[38:41], off, off offset:656
	scratch_load_b128 v[177:180], off, off offset:672
	s_mov_b32 s2, exec_lo
	s_waitcnt vmcnt(9) lgkmcnt(1)
	v_mul_f64 v[166:167], v[36:37], v[4:5]
	v_mul_f64 v[4:5], v[34:35], v[4:5]
	s_waitcnt vmcnt(8) lgkmcnt(0)
	v_mul_f64 v[170:171], v[173:174], v[8:9]
	v_mul_f64 v[8:9], v[175:176], v[8:9]
	s_delay_alu instid0(VALU_DEP_4) | instskip(NEXT) | instid1(VALU_DEP_4)
	v_fma_f64 v[166:167], v[34:35], v[2:3], -v[166:167]
	v_fma_f64 v[181:182], v[36:37], v[2:3], v[4:5]
	ds_load_b128 v[2:5], v1 offset:1472
	scratch_load_b128 v[34:37], off, off offset:688
	v_fma_f64 v[170:171], v[175:176], v[6:7], v[170:171]
	v_fma_f64 v[185:186], v[173:174], v[6:7], -v[8:9]
	scratch_load_b128 v[173:176], off, off offset:704
	ds_load_b128 v[6:9], v1 offset:1488
	s_waitcnt vmcnt(9) lgkmcnt(1)
	v_mul_f64 v[183:184], v[2:3], v[12:13]
	v_mul_f64 v[12:13], v[4:5], v[12:13]
	s_waitcnt vmcnt(8) lgkmcnt(0)
	v_mul_f64 v[187:188], v[6:7], v[16:17]
	v_mul_f64 v[16:17], v[8:9], v[16:17]
	v_add_f64 v[166:167], v[166:167], 0
	v_add_f64 v[181:182], v[181:182], 0
	v_fma_f64 v[183:184], v[4:5], v[10:11], v[183:184]
	v_fma_f64 v[189:190], v[2:3], v[10:11], -v[12:13]
	ds_load_b128 v[2:5], v1 offset:1504
	scratch_load_b128 v[10:13], off, off offset:720
	v_add_f64 v[166:167], v[166:167], v[185:186]
	v_add_f64 v[170:171], v[181:182], v[170:171]
	v_fma_f64 v[185:186], v[8:9], v[14:15], v[187:188]
	v_fma_f64 v[187:188], v[6:7], v[14:15], -v[16:17]
	scratch_load_b128 v[14:17], off, off offset:736
	ds_load_b128 v[6:9], v1 offset:1520
	s_waitcnt vmcnt(9) lgkmcnt(1)
	v_mul_f64 v[181:182], v[2:3], v[20:21]
	v_mul_f64 v[20:21], v[4:5], v[20:21]
	v_add_f64 v[166:167], v[166:167], v[189:190]
	v_add_f64 v[170:171], v[170:171], v[183:184]
	s_waitcnt vmcnt(8) lgkmcnt(0)
	v_mul_f64 v[183:184], v[6:7], v[24:25]
	v_mul_f64 v[24:25], v[8:9], v[24:25]
	v_fma_f64 v[181:182], v[4:5], v[18:19], v[181:182]
	v_fma_f64 v[189:190], v[2:3], v[18:19], -v[20:21]
	ds_load_b128 v[2:5], v1 offset:1536
	scratch_load_b128 v[18:21], off, off offset:752
	v_add_f64 v[166:167], v[166:167], v[187:188]
	v_add_f64 v[170:171], v[170:171], v[185:186]
	v_fma_f64 v[183:184], v[8:9], v[22:23], v[183:184]
	v_fma_f64 v[187:188], v[6:7], v[22:23], -v[24:25]
	scratch_load_b128 v[22:25], off, off offset:768
	ds_load_b128 v[6:9], v1 offset:1552
	s_waitcnt vmcnt(9) lgkmcnt(1)
	v_mul_f64 v[185:186], v[2:3], v[28:29]
	v_mul_f64 v[28:29], v[4:5], v[28:29]
	v_add_f64 v[166:167], v[166:167], v[189:190]
	v_add_f64 v[170:171], v[170:171], v[181:182]
	s_waitcnt vmcnt(8) lgkmcnt(0)
	v_mul_f64 v[181:182], v[6:7], v[32:33]
	v_mul_f64 v[32:33], v[8:9], v[32:33]
	v_fma_f64 v[185:186], v[4:5], v[26:27], v[185:186]
	v_fma_f64 v[189:190], v[2:3], v[26:27], -v[28:29]
	ds_load_b128 v[2:5], v1 offset:1568
	scratch_load_b128 v[26:29], off, off offset:784
	v_add_f64 v[166:167], v[166:167], v[187:188]
	v_add_f64 v[170:171], v[170:171], v[183:184]
	v_fma_f64 v[181:182], v[8:9], v[30:31], v[181:182]
	v_fma_f64 v[187:188], v[6:7], v[30:31], -v[32:33]
	ds_load_b128 v[6:9], v1 offset:1584
	s_waitcnt vmcnt(8) lgkmcnt(1)
	v_mul_f64 v[183:184], v[2:3], v[40:41]
	v_mul_f64 v[40:41], v[4:5], v[40:41]
	scratch_load_b128 v[30:33], off, off offset:800
	v_add_f64 v[166:167], v[166:167], v[189:190]
	v_add_f64 v[170:171], v[170:171], v[185:186]
	s_waitcnt vmcnt(8) lgkmcnt(0)
	v_mul_f64 v[185:186], v[6:7], v[179:180]
	v_mul_f64 v[179:180], v[8:9], v[179:180]
	v_fma_f64 v[183:184], v[4:5], v[38:39], v[183:184]
	v_fma_f64 v[189:190], v[2:3], v[38:39], -v[40:41]
	ds_load_b128 v[2:5], v1 offset:1600
	scratch_load_b128 v[38:41], off, off offset:816
	v_add_f64 v[166:167], v[166:167], v[187:188]
	v_add_f64 v[170:171], v[170:171], v[181:182]
	v_fma_f64 v[185:186], v[8:9], v[177:178], v[185:186]
	v_fma_f64 v[187:188], v[6:7], v[177:178], -v[179:180]
	ds_load_b128 v[6:9], v1 offset:1616
	scratch_load_b128 v[177:180], off, off offset:832
	s_waitcnt vmcnt(9) lgkmcnt(1)
	v_mul_f64 v[181:182], v[2:3], v[36:37]
	v_mul_f64 v[36:37], v[4:5], v[36:37]
	v_add_f64 v[166:167], v[166:167], v[189:190]
	v_add_f64 v[170:171], v[170:171], v[183:184]
	s_waitcnt vmcnt(8) lgkmcnt(0)
	v_mul_f64 v[183:184], v[6:7], v[175:176]
	v_mul_f64 v[175:176], v[8:9], v[175:176]
	v_fma_f64 v[181:182], v[4:5], v[34:35], v[181:182]
	v_fma_f64 v[189:190], v[2:3], v[34:35], -v[36:37]
	scratch_load_b128 v[34:37], off, off offset:848
	ds_load_b128 v[2:5], v1 offset:1632
	v_add_f64 v[166:167], v[166:167], v[187:188]
	v_add_f64 v[170:171], v[170:171], v[185:186]
	v_fma_f64 v[183:184], v[8:9], v[173:174], v[183:184]
	v_fma_f64 v[187:188], v[6:7], v[173:174], -v[175:176]
	ds_load_b128 v[6:9], v1 offset:1648
	s_waitcnt vmcnt(8) lgkmcnt(1)
	v_mul_f64 v[185:186], v[2:3], v[12:13]
	v_mul_f64 v[12:13], v[4:5], v[12:13]
	scratch_load_b128 v[173:176], off, off offset:864
	v_add_f64 v[166:167], v[166:167], v[189:190]
	v_add_f64 v[170:171], v[170:171], v[181:182]
	s_waitcnt vmcnt(8) lgkmcnt(0)
	v_mul_f64 v[181:182], v[6:7], v[16:17]
	v_mul_f64 v[16:17], v[8:9], v[16:17]
	v_fma_f64 v[185:186], v[4:5], v[10:11], v[185:186]
	v_fma_f64 v[189:190], v[2:3], v[10:11], -v[12:13]
	scratch_load_b128 v[10:13], off, off offset:880
	ds_load_b128 v[2:5], v1 offset:1664
	v_add_f64 v[166:167], v[166:167], v[187:188]
	v_add_f64 v[170:171], v[170:171], v[183:184]
	v_fma_f64 v[181:182], v[8:9], v[14:15], v[181:182]
	v_fma_f64 v[187:188], v[6:7], v[14:15], -v[16:17]
	ds_load_b128 v[6:9], v1 offset:1680
	s_waitcnt vmcnt(8) lgkmcnt(1)
	v_mul_f64 v[183:184], v[2:3], v[20:21]
	v_mul_f64 v[20:21], v[4:5], v[20:21]
	scratch_load_b128 v[14:17], off, off offset:896
	v_add_f64 v[166:167], v[166:167], v[189:190]
	v_add_f64 v[170:171], v[170:171], v[185:186]
	s_waitcnt vmcnt(8) lgkmcnt(0)
	v_mul_f64 v[185:186], v[6:7], v[24:25]
	v_mul_f64 v[24:25], v[8:9], v[24:25]
	v_fma_f64 v[183:184], v[4:5], v[18:19], v[183:184]
	v_fma_f64 v[18:19], v[2:3], v[18:19], -v[20:21]
	ds_load_b128 v[2:5], v1 offset:1696
	v_add_f64 v[20:21], v[166:167], v[187:188]
	v_add_f64 v[166:167], v[170:171], v[181:182]
	v_fma_f64 v[181:182], v[8:9], v[22:23], v[185:186]
	v_fma_f64 v[22:23], v[6:7], v[22:23], -v[24:25]
	ds_load_b128 v[6:9], v1 offset:1712
	s_waitcnt vmcnt(7) lgkmcnt(1)
	v_mul_f64 v[170:171], v[2:3], v[28:29]
	v_mul_f64 v[28:29], v[4:5], v[28:29]
	v_add_f64 v[18:19], v[20:21], v[18:19]
	v_add_f64 v[20:21], v[166:167], v[183:184]
	s_delay_alu instid0(VALU_DEP_4) | instskip(NEXT) | instid1(VALU_DEP_4)
	v_fma_f64 v[166:167], v[4:5], v[26:27], v[170:171]
	v_fma_f64 v[26:27], v[2:3], v[26:27], -v[28:29]
	ds_load_b128 v[2:5], v1 offset:1728
	v_add_f64 v[22:23], v[18:19], v[22:23]
	v_add_f64 v[28:29], v[20:21], v[181:182]
	scratch_load_b128 v[18:21], off, off offset:512
	s_waitcnt vmcnt(7) lgkmcnt(1)
	v_mul_f64 v[24:25], v[6:7], v[32:33]
	v_mul_f64 v[32:33], v[8:9], v[32:33]
	v_add_f64 v[22:23], v[22:23], v[26:27]
	v_add_f64 v[26:27], v[28:29], v[166:167]
	s_delay_alu instid0(VALU_DEP_4) | instskip(NEXT) | instid1(VALU_DEP_4)
	v_fma_f64 v[24:25], v[8:9], v[30:31], v[24:25]
	v_fma_f64 v[30:31], v[6:7], v[30:31], -v[32:33]
	ds_load_b128 v[6:9], v1 offset:1744
	s_waitcnt vmcnt(6) lgkmcnt(1)
	v_mul_f64 v[170:171], v[2:3], v[40:41]
	v_mul_f64 v[40:41], v[4:5], v[40:41]
	s_waitcnt vmcnt(5) lgkmcnt(0)
	v_mul_f64 v[28:29], v[6:7], v[179:180]
	v_mul_f64 v[32:33], v[8:9], v[179:180]
	v_add_f64 v[24:25], v[26:27], v[24:25]
	v_add_f64 v[22:23], v[22:23], v[30:31]
	v_fma_f64 v[166:167], v[4:5], v[38:39], v[170:171]
	v_fma_f64 v[38:39], v[2:3], v[38:39], -v[40:41]
	ds_load_b128 v[2:5], v1 offset:1760
	v_fma_f64 v[28:29], v[8:9], v[177:178], v[28:29]
	v_fma_f64 v[32:33], v[6:7], v[177:178], -v[32:33]
	ds_load_b128 v[6:9], v1 offset:1776
	s_waitcnt vmcnt(4) lgkmcnt(1)
	v_mul_f64 v[26:27], v[2:3], v[36:37]
	v_mul_f64 v[30:31], v[4:5], v[36:37]
	v_add_f64 v[24:25], v[24:25], v[166:167]
	v_add_f64 v[22:23], v[22:23], v[38:39]
	s_waitcnt vmcnt(3) lgkmcnt(0)
	v_mul_f64 v[36:37], v[6:7], v[175:176]
	v_mul_f64 v[38:39], v[8:9], v[175:176]
	v_fma_f64 v[26:27], v[4:5], v[34:35], v[26:27]
	v_fma_f64 v[30:31], v[2:3], v[34:35], -v[30:31]
	ds_load_b128 v[2:5], v1 offset:1792
	v_add_f64 v[24:25], v[24:25], v[28:29]
	v_add_f64 v[22:23], v[22:23], v[32:33]
	v_fma_f64 v[32:33], v[8:9], v[173:174], v[36:37]
	v_fma_f64 v[34:35], v[6:7], v[173:174], -v[38:39]
	ds_load_b128 v[6:9], v1 offset:1808
	s_waitcnt vmcnt(2) lgkmcnt(1)
	v_mul_f64 v[28:29], v[2:3], v[12:13]
	v_mul_f64 v[12:13], v[4:5], v[12:13]
	v_add_f64 v[24:25], v[24:25], v[26:27]
	v_add_f64 v[22:23], v[22:23], v[30:31]
	s_waitcnt vmcnt(1) lgkmcnt(0)
	v_mul_f64 v[26:27], v[6:7], v[16:17]
	v_mul_f64 v[16:17], v[8:9], v[16:17]
	v_fma_f64 v[4:5], v[4:5], v[10:11], v[28:29]
	v_fma_f64 v[1:2], v[2:3], v[10:11], -v[12:13]
	v_add_f64 v[12:13], v[24:25], v[32:33]
	v_add_f64 v[10:11], v[22:23], v[34:35]
	v_fma_f64 v[8:9], v[8:9], v[14:15], v[26:27]
	v_fma_f64 v[6:7], v[6:7], v[14:15], -v[16:17]
	s_delay_alu instid0(VALU_DEP_4) | instskip(NEXT) | instid1(VALU_DEP_4)
	v_add_f64 v[3:4], v[12:13], v[4:5]
	v_add_f64 v[1:2], v[10:11], v[1:2]
	s_delay_alu instid0(VALU_DEP_2) | instskip(NEXT) | instid1(VALU_DEP_2)
	v_add_f64 v[3:4], v[3:4], v[8:9]
	v_add_f64 v[1:2], v[1:2], v[6:7]
	s_waitcnt vmcnt(0)
	s_delay_alu instid0(VALU_DEP_2) | instskip(NEXT) | instid1(VALU_DEP_2)
	v_add_f64 v[3:4], v[20:21], -v[3:4]
	v_add_f64 v[1:2], v[18:19], -v[1:2]
	scratch_store_b128 off, v[1:4], off offset:512
	v_cmpx_lt_u32_e32 31, v156
	s_cbranch_execz .LBB120_293
; %bb.292:
	scratch_load_b128 v[1:4], v227, off
	v_mov_b32_e32 v5, 0
	s_delay_alu instid0(VALU_DEP_1)
	v_mov_b32_e32 v6, v5
	v_mov_b32_e32 v7, v5
	;; [unrolled: 1-line block ×3, first 2 shown]
	scratch_store_b128 off, v[5:8], off offset:496
	s_waitcnt vmcnt(0)
	ds_store_b128 v213, v[1:4]
.LBB120_293:
	s_or_b32 exec_lo, exec_lo, s2
	s_waitcnt lgkmcnt(0)
	s_waitcnt_vscnt null, 0x0
	s_barrier
	buffer_gl0_inv
	s_clause 0x7
	scratch_load_b128 v[2:5], off, off offset:512
	scratch_load_b128 v[6:9], off, off offset:528
	;; [unrolled: 1-line block ×8, first 2 shown]
	v_mov_b32_e32 v1, 0
	s_clause 0x1
	scratch_load_b128 v[38:41], off, off offset:640
	scratch_load_b128 v[177:180], off, off offset:656
	s_mov_b32 s2, exec_lo
	ds_load_b128 v[34:37], v1 offset:1424
	ds_load_b128 v[173:176], v1 offset:1440
	s_waitcnt vmcnt(9) lgkmcnt(1)
	v_mul_f64 v[166:167], v[36:37], v[4:5]
	v_mul_f64 v[4:5], v[34:35], v[4:5]
	s_waitcnt vmcnt(8) lgkmcnt(0)
	v_mul_f64 v[170:171], v[173:174], v[8:9]
	v_mul_f64 v[8:9], v[175:176], v[8:9]
	s_delay_alu instid0(VALU_DEP_4) | instskip(NEXT) | instid1(VALU_DEP_4)
	v_fma_f64 v[166:167], v[34:35], v[2:3], -v[166:167]
	v_fma_f64 v[181:182], v[36:37], v[2:3], v[4:5]
	ds_load_b128 v[2:5], v1 offset:1456
	scratch_load_b128 v[34:37], off, off offset:672
	v_fma_f64 v[170:171], v[175:176], v[6:7], v[170:171]
	v_fma_f64 v[185:186], v[173:174], v[6:7], -v[8:9]
	scratch_load_b128 v[173:176], off, off offset:688
	ds_load_b128 v[6:9], v1 offset:1472
	s_waitcnt vmcnt(9) lgkmcnt(1)
	v_mul_f64 v[183:184], v[2:3], v[12:13]
	v_mul_f64 v[12:13], v[4:5], v[12:13]
	s_waitcnt vmcnt(8) lgkmcnt(0)
	v_mul_f64 v[187:188], v[6:7], v[16:17]
	v_mul_f64 v[16:17], v[8:9], v[16:17]
	v_add_f64 v[166:167], v[166:167], 0
	v_add_f64 v[181:182], v[181:182], 0
	v_fma_f64 v[183:184], v[4:5], v[10:11], v[183:184]
	v_fma_f64 v[189:190], v[2:3], v[10:11], -v[12:13]
	ds_load_b128 v[2:5], v1 offset:1488
	scratch_load_b128 v[10:13], off, off offset:704
	v_add_f64 v[166:167], v[166:167], v[185:186]
	v_add_f64 v[170:171], v[181:182], v[170:171]
	v_fma_f64 v[185:186], v[8:9], v[14:15], v[187:188]
	v_fma_f64 v[187:188], v[6:7], v[14:15], -v[16:17]
	scratch_load_b128 v[14:17], off, off offset:720
	ds_load_b128 v[6:9], v1 offset:1504
	s_waitcnt vmcnt(9) lgkmcnt(1)
	v_mul_f64 v[181:182], v[2:3], v[20:21]
	v_mul_f64 v[20:21], v[4:5], v[20:21]
	v_add_f64 v[166:167], v[166:167], v[189:190]
	v_add_f64 v[170:171], v[170:171], v[183:184]
	s_waitcnt vmcnt(8) lgkmcnt(0)
	v_mul_f64 v[183:184], v[6:7], v[24:25]
	v_mul_f64 v[24:25], v[8:9], v[24:25]
	v_fma_f64 v[181:182], v[4:5], v[18:19], v[181:182]
	v_fma_f64 v[189:190], v[2:3], v[18:19], -v[20:21]
	ds_load_b128 v[2:5], v1 offset:1520
	scratch_load_b128 v[18:21], off, off offset:736
	v_add_f64 v[166:167], v[166:167], v[187:188]
	v_add_f64 v[170:171], v[170:171], v[185:186]
	v_fma_f64 v[183:184], v[8:9], v[22:23], v[183:184]
	v_fma_f64 v[187:188], v[6:7], v[22:23], -v[24:25]
	scratch_load_b128 v[22:25], off, off offset:752
	ds_load_b128 v[6:9], v1 offset:1536
	s_waitcnt vmcnt(9) lgkmcnt(1)
	v_mul_f64 v[185:186], v[2:3], v[28:29]
	v_mul_f64 v[28:29], v[4:5], v[28:29]
	v_add_f64 v[166:167], v[166:167], v[189:190]
	v_add_f64 v[170:171], v[170:171], v[181:182]
	s_waitcnt vmcnt(8) lgkmcnt(0)
	v_mul_f64 v[181:182], v[6:7], v[32:33]
	v_mul_f64 v[32:33], v[8:9], v[32:33]
	;; [unrolled: 18-line block ×3, first 2 shown]
	v_fma_f64 v[183:184], v[4:5], v[38:39], v[183:184]
	v_fma_f64 v[189:190], v[2:3], v[38:39], -v[40:41]
	ds_load_b128 v[2:5], v1 offset:1584
	scratch_load_b128 v[38:41], off, off offset:800
	v_add_f64 v[166:167], v[166:167], v[187:188]
	v_add_f64 v[170:171], v[170:171], v[181:182]
	v_fma_f64 v[185:186], v[8:9], v[177:178], v[185:186]
	v_fma_f64 v[187:188], v[6:7], v[177:178], -v[179:180]
	ds_load_b128 v[6:9], v1 offset:1600
	scratch_load_b128 v[177:180], off, off offset:816
	s_waitcnt vmcnt(9) lgkmcnt(1)
	v_mul_f64 v[181:182], v[2:3], v[36:37]
	v_mul_f64 v[36:37], v[4:5], v[36:37]
	v_add_f64 v[166:167], v[166:167], v[189:190]
	v_add_f64 v[170:171], v[170:171], v[183:184]
	s_waitcnt vmcnt(8) lgkmcnt(0)
	v_mul_f64 v[183:184], v[6:7], v[175:176]
	v_mul_f64 v[175:176], v[8:9], v[175:176]
	v_fma_f64 v[181:182], v[4:5], v[34:35], v[181:182]
	v_fma_f64 v[189:190], v[2:3], v[34:35], -v[36:37]
	scratch_load_b128 v[34:37], off, off offset:832
	ds_load_b128 v[2:5], v1 offset:1616
	v_add_f64 v[166:167], v[166:167], v[187:188]
	v_add_f64 v[170:171], v[170:171], v[185:186]
	v_fma_f64 v[183:184], v[8:9], v[173:174], v[183:184]
	v_fma_f64 v[187:188], v[6:7], v[173:174], -v[175:176]
	ds_load_b128 v[6:9], v1 offset:1632
	s_waitcnt vmcnt(8) lgkmcnt(1)
	v_mul_f64 v[185:186], v[2:3], v[12:13]
	v_mul_f64 v[12:13], v[4:5], v[12:13]
	scratch_load_b128 v[173:176], off, off offset:848
	v_add_f64 v[166:167], v[166:167], v[189:190]
	v_add_f64 v[170:171], v[170:171], v[181:182]
	s_waitcnt vmcnt(8) lgkmcnt(0)
	v_mul_f64 v[181:182], v[6:7], v[16:17]
	v_mul_f64 v[16:17], v[8:9], v[16:17]
	v_fma_f64 v[185:186], v[4:5], v[10:11], v[185:186]
	v_fma_f64 v[189:190], v[2:3], v[10:11], -v[12:13]
	scratch_load_b128 v[10:13], off, off offset:864
	ds_load_b128 v[2:5], v1 offset:1648
	v_add_f64 v[166:167], v[166:167], v[187:188]
	v_add_f64 v[170:171], v[170:171], v[183:184]
	v_fma_f64 v[181:182], v[8:9], v[14:15], v[181:182]
	v_fma_f64 v[187:188], v[6:7], v[14:15], -v[16:17]
	ds_load_b128 v[6:9], v1 offset:1664
	s_waitcnt vmcnt(8) lgkmcnt(1)
	v_mul_f64 v[183:184], v[2:3], v[20:21]
	v_mul_f64 v[20:21], v[4:5], v[20:21]
	scratch_load_b128 v[14:17], off, off offset:880
	v_add_f64 v[166:167], v[166:167], v[189:190]
	v_add_f64 v[170:171], v[170:171], v[185:186]
	s_waitcnt vmcnt(8) lgkmcnt(0)
	v_mul_f64 v[185:186], v[6:7], v[24:25]
	v_mul_f64 v[24:25], v[8:9], v[24:25]
	v_fma_f64 v[183:184], v[4:5], v[18:19], v[183:184]
	v_fma_f64 v[189:190], v[2:3], v[18:19], -v[20:21]
	scratch_load_b128 v[18:21], off, off offset:896
	ds_load_b128 v[2:5], v1 offset:1680
	v_add_f64 v[166:167], v[166:167], v[187:188]
	v_add_f64 v[170:171], v[170:171], v[181:182]
	v_fma_f64 v[185:186], v[8:9], v[22:23], v[185:186]
	v_fma_f64 v[22:23], v[6:7], v[22:23], -v[24:25]
	ds_load_b128 v[6:9], v1 offset:1696
	s_waitcnt vmcnt(8) lgkmcnt(1)
	v_mul_f64 v[181:182], v[2:3], v[28:29]
	v_mul_f64 v[28:29], v[4:5], v[28:29]
	v_add_f64 v[24:25], v[166:167], v[189:190]
	v_add_f64 v[166:167], v[170:171], v[183:184]
	s_waitcnt vmcnt(7) lgkmcnt(0)
	v_mul_f64 v[170:171], v[6:7], v[32:33]
	v_mul_f64 v[32:33], v[8:9], v[32:33]
	v_fma_f64 v[181:182], v[4:5], v[26:27], v[181:182]
	v_fma_f64 v[26:27], v[2:3], v[26:27], -v[28:29]
	ds_load_b128 v[2:5], v1 offset:1712
	v_add_f64 v[22:23], v[24:25], v[22:23]
	v_add_f64 v[24:25], v[166:167], v[185:186]
	v_fma_f64 v[166:167], v[8:9], v[30:31], v[170:171]
	v_fma_f64 v[30:31], v[6:7], v[30:31], -v[32:33]
	ds_load_b128 v[6:9], v1 offset:1728
	s_waitcnt vmcnt(5) lgkmcnt(0)
	v_mul_f64 v[170:171], v[6:7], v[179:180]
	v_mul_f64 v[179:180], v[8:9], v[179:180]
	v_add_f64 v[26:27], v[22:23], v[26:27]
	v_add_f64 v[32:33], v[24:25], v[181:182]
	scratch_load_b128 v[22:25], off, off offset:496
	v_mul_f64 v[28:29], v[2:3], v[40:41]
	v_mul_f64 v[40:41], v[4:5], v[40:41]
	v_add_f64 v[26:27], v[26:27], v[30:31]
	v_add_f64 v[30:31], v[32:33], v[166:167]
	v_fma_f64 v[166:167], v[6:7], v[177:178], -v[179:180]
	v_fma_f64 v[28:29], v[4:5], v[38:39], v[28:29]
	v_fma_f64 v[38:39], v[2:3], v[38:39], -v[40:41]
	ds_load_b128 v[2:5], v1 offset:1744
	v_fma_f64 v[40:41], v[8:9], v[177:178], v[170:171]
	ds_load_b128 v[6:9], v1 offset:1760
	s_waitcnt vmcnt(5) lgkmcnt(1)
	v_mul_f64 v[32:33], v[2:3], v[36:37]
	v_mul_f64 v[36:37], v[4:5], v[36:37]
	v_add_f64 v[28:29], v[30:31], v[28:29]
	v_add_f64 v[26:27], v[26:27], v[38:39]
	s_waitcnt vmcnt(4) lgkmcnt(0)
	v_mul_f64 v[30:31], v[6:7], v[175:176]
	v_mul_f64 v[38:39], v[8:9], v[175:176]
	v_fma_f64 v[32:33], v[4:5], v[34:35], v[32:33]
	v_fma_f64 v[34:35], v[2:3], v[34:35], -v[36:37]
	ds_load_b128 v[2:5], v1 offset:1776
	v_add_f64 v[28:29], v[28:29], v[40:41]
	v_add_f64 v[26:27], v[26:27], v[166:167]
	v_fma_f64 v[30:31], v[8:9], v[173:174], v[30:31]
	v_fma_f64 v[38:39], v[6:7], v[173:174], -v[38:39]
	ds_load_b128 v[6:9], v1 offset:1792
	s_waitcnt vmcnt(3) lgkmcnt(1)
	v_mul_f64 v[36:37], v[2:3], v[12:13]
	v_mul_f64 v[12:13], v[4:5], v[12:13]
	v_add_f64 v[28:29], v[28:29], v[32:33]
	v_add_f64 v[26:27], v[26:27], v[34:35]
	s_waitcnt vmcnt(2) lgkmcnt(0)
	v_mul_f64 v[32:33], v[6:7], v[16:17]
	v_mul_f64 v[16:17], v[8:9], v[16:17]
	v_fma_f64 v[34:35], v[4:5], v[10:11], v[36:37]
	v_fma_f64 v[10:11], v[2:3], v[10:11], -v[12:13]
	ds_load_b128 v[2:5], v1 offset:1808
	v_add_f64 v[12:13], v[26:27], v[38:39]
	v_add_f64 v[26:27], v[28:29], v[30:31]
	s_waitcnt vmcnt(1) lgkmcnt(0)
	v_mul_f64 v[28:29], v[2:3], v[20:21]
	v_mul_f64 v[20:21], v[4:5], v[20:21]
	v_fma_f64 v[8:9], v[8:9], v[14:15], v[32:33]
	v_fma_f64 v[6:7], v[6:7], v[14:15], -v[16:17]
	v_add_f64 v[10:11], v[12:13], v[10:11]
	v_add_f64 v[12:13], v[26:27], v[34:35]
	v_fma_f64 v[4:5], v[4:5], v[18:19], v[28:29]
	v_fma_f64 v[2:3], v[2:3], v[18:19], -v[20:21]
	s_delay_alu instid0(VALU_DEP_4) | instskip(NEXT) | instid1(VALU_DEP_4)
	v_add_f64 v[6:7], v[10:11], v[6:7]
	v_add_f64 v[8:9], v[12:13], v[8:9]
	s_delay_alu instid0(VALU_DEP_2) | instskip(NEXT) | instid1(VALU_DEP_2)
	v_add_f64 v[2:3], v[6:7], v[2:3]
	v_add_f64 v[4:5], v[8:9], v[4:5]
	s_waitcnt vmcnt(0)
	s_delay_alu instid0(VALU_DEP_2) | instskip(NEXT) | instid1(VALU_DEP_2)
	v_add_f64 v[2:3], v[22:23], -v[2:3]
	v_add_f64 v[4:5], v[24:25], -v[4:5]
	scratch_store_b128 off, v[2:5], off offset:496
	v_cmpx_lt_u32_e32 30, v156
	s_cbranch_execz .LBB120_295
; %bb.294:
	scratch_load_b128 v[5:8], v228, off
	v_mov_b32_e32 v2, v1
	v_mov_b32_e32 v3, v1
	;; [unrolled: 1-line block ×3, first 2 shown]
	scratch_store_b128 off, v[1:4], off offset:480
	s_waitcnt vmcnt(0)
	ds_store_b128 v213, v[5:8]
.LBB120_295:
	s_or_b32 exec_lo, exec_lo, s2
	s_waitcnt lgkmcnt(0)
	s_waitcnt_vscnt null, 0x0
	s_barrier
	buffer_gl0_inv
	s_clause 0x7
	scratch_load_b128 v[2:5], off, off offset:496
	scratch_load_b128 v[6:9], off, off offset:512
	;; [unrolled: 1-line block ×8, first 2 shown]
	ds_load_b128 v[38:41], v1 offset:1408
	ds_load_b128 v[173:176], v1 offset:1424
	s_clause 0x1
	scratch_load_b128 v[34:37], off, off offset:624
	scratch_load_b128 v[177:180], off, off offset:640
	s_mov_b32 s2, exec_lo
	s_waitcnt vmcnt(9) lgkmcnt(1)
	v_mul_f64 v[166:167], v[40:41], v[4:5]
	v_mul_f64 v[4:5], v[38:39], v[4:5]
	s_waitcnt vmcnt(8) lgkmcnt(0)
	v_mul_f64 v[170:171], v[173:174], v[8:9]
	v_mul_f64 v[8:9], v[175:176], v[8:9]
	s_delay_alu instid0(VALU_DEP_4) | instskip(NEXT) | instid1(VALU_DEP_4)
	v_fma_f64 v[166:167], v[38:39], v[2:3], -v[166:167]
	v_fma_f64 v[181:182], v[40:41], v[2:3], v[4:5]
	ds_load_b128 v[2:5], v1 offset:1440
	scratch_load_b128 v[38:41], off, off offset:656
	v_fma_f64 v[170:171], v[175:176], v[6:7], v[170:171]
	v_fma_f64 v[185:186], v[173:174], v[6:7], -v[8:9]
	scratch_load_b128 v[173:176], off, off offset:672
	ds_load_b128 v[6:9], v1 offset:1456
	s_waitcnt vmcnt(9) lgkmcnt(1)
	v_mul_f64 v[183:184], v[2:3], v[12:13]
	v_mul_f64 v[12:13], v[4:5], v[12:13]
	s_waitcnt vmcnt(8) lgkmcnt(0)
	v_mul_f64 v[187:188], v[6:7], v[16:17]
	v_mul_f64 v[16:17], v[8:9], v[16:17]
	v_add_f64 v[166:167], v[166:167], 0
	v_add_f64 v[181:182], v[181:182], 0
	v_fma_f64 v[183:184], v[4:5], v[10:11], v[183:184]
	v_fma_f64 v[189:190], v[2:3], v[10:11], -v[12:13]
	ds_load_b128 v[2:5], v1 offset:1472
	scratch_load_b128 v[10:13], off, off offset:688
	v_add_f64 v[166:167], v[166:167], v[185:186]
	v_add_f64 v[170:171], v[181:182], v[170:171]
	v_fma_f64 v[185:186], v[8:9], v[14:15], v[187:188]
	v_fma_f64 v[187:188], v[6:7], v[14:15], -v[16:17]
	scratch_load_b128 v[14:17], off, off offset:704
	ds_load_b128 v[6:9], v1 offset:1488
	s_waitcnt vmcnt(9) lgkmcnt(1)
	v_mul_f64 v[181:182], v[2:3], v[20:21]
	v_mul_f64 v[20:21], v[4:5], v[20:21]
	v_add_f64 v[166:167], v[166:167], v[189:190]
	v_add_f64 v[170:171], v[170:171], v[183:184]
	s_waitcnt vmcnt(8) lgkmcnt(0)
	v_mul_f64 v[183:184], v[6:7], v[24:25]
	v_mul_f64 v[24:25], v[8:9], v[24:25]
	v_fma_f64 v[181:182], v[4:5], v[18:19], v[181:182]
	v_fma_f64 v[189:190], v[2:3], v[18:19], -v[20:21]
	ds_load_b128 v[2:5], v1 offset:1504
	scratch_load_b128 v[18:21], off, off offset:720
	v_add_f64 v[166:167], v[166:167], v[187:188]
	v_add_f64 v[170:171], v[170:171], v[185:186]
	v_fma_f64 v[183:184], v[8:9], v[22:23], v[183:184]
	v_fma_f64 v[187:188], v[6:7], v[22:23], -v[24:25]
	scratch_load_b128 v[22:25], off, off offset:736
	ds_load_b128 v[6:9], v1 offset:1520
	s_waitcnt vmcnt(9) lgkmcnt(1)
	v_mul_f64 v[185:186], v[2:3], v[28:29]
	v_mul_f64 v[28:29], v[4:5], v[28:29]
	v_add_f64 v[166:167], v[166:167], v[189:190]
	v_add_f64 v[170:171], v[170:171], v[181:182]
	s_waitcnt vmcnt(8) lgkmcnt(0)
	v_mul_f64 v[181:182], v[6:7], v[32:33]
	v_mul_f64 v[32:33], v[8:9], v[32:33]
	;; [unrolled: 18-line block ×3, first 2 shown]
	v_fma_f64 v[183:184], v[4:5], v[34:35], v[183:184]
	v_fma_f64 v[189:190], v[2:3], v[34:35], -v[36:37]
	ds_load_b128 v[2:5], v1 offset:1568
	scratch_load_b128 v[34:37], off, off offset:784
	v_add_f64 v[166:167], v[166:167], v[187:188]
	v_add_f64 v[170:171], v[170:171], v[181:182]
	v_fma_f64 v[185:186], v[8:9], v[177:178], v[185:186]
	v_fma_f64 v[187:188], v[6:7], v[177:178], -v[179:180]
	ds_load_b128 v[6:9], v1 offset:1584
	scratch_load_b128 v[177:180], off, off offset:800
	s_waitcnt vmcnt(9) lgkmcnt(1)
	v_mul_f64 v[181:182], v[2:3], v[40:41]
	v_mul_f64 v[40:41], v[4:5], v[40:41]
	v_add_f64 v[166:167], v[166:167], v[189:190]
	v_add_f64 v[170:171], v[170:171], v[183:184]
	s_waitcnt vmcnt(8) lgkmcnt(0)
	v_mul_f64 v[183:184], v[6:7], v[175:176]
	v_mul_f64 v[175:176], v[8:9], v[175:176]
	v_fma_f64 v[181:182], v[4:5], v[38:39], v[181:182]
	v_fma_f64 v[189:190], v[2:3], v[38:39], -v[40:41]
	ds_load_b128 v[2:5], v1 offset:1600
	scratch_load_b128 v[38:41], off, off offset:816
	v_add_f64 v[166:167], v[166:167], v[187:188]
	v_add_f64 v[170:171], v[170:171], v[185:186]
	v_fma_f64 v[183:184], v[8:9], v[173:174], v[183:184]
	v_fma_f64 v[187:188], v[6:7], v[173:174], -v[175:176]
	ds_load_b128 v[6:9], v1 offset:1616
	s_waitcnt vmcnt(8) lgkmcnt(1)
	v_mul_f64 v[185:186], v[2:3], v[12:13]
	v_mul_f64 v[12:13], v[4:5], v[12:13]
	scratch_load_b128 v[173:176], off, off offset:832
	v_add_f64 v[166:167], v[166:167], v[189:190]
	v_add_f64 v[170:171], v[170:171], v[181:182]
	s_waitcnt vmcnt(8) lgkmcnt(0)
	v_mul_f64 v[181:182], v[6:7], v[16:17]
	v_mul_f64 v[16:17], v[8:9], v[16:17]
	v_fma_f64 v[185:186], v[4:5], v[10:11], v[185:186]
	v_fma_f64 v[189:190], v[2:3], v[10:11], -v[12:13]
	scratch_load_b128 v[10:13], off, off offset:848
	ds_load_b128 v[2:5], v1 offset:1632
	v_add_f64 v[166:167], v[166:167], v[187:188]
	v_add_f64 v[170:171], v[170:171], v[183:184]
	v_fma_f64 v[181:182], v[8:9], v[14:15], v[181:182]
	v_fma_f64 v[187:188], v[6:7], v[14:15], -v[16:17]
	ds_load_b128 v[6:9], v1 offset:1648
	s_waitcnt vmcnt(8) lgkmcnt(1)
	v_mul_f64 v[183:184], v[2:3], v[20:21]
	v_mul_f64 v[20:21], v[4:5], v[20:21]
	scratch_load_b128 v[14:17], off, off offset:864
	v_add_f64 v[166:167], v[166:167], v[189:190]
	v_add_f64 v[170:171], v[170:171], v[185:186]
	s_waitcnt vmcnt(8) lgkmcnt(0)
	v_mul_f64 v[185:186], v[6:7], v[24:25]
	v_mul_f64 v[24:25], v[8:9], v[24:25]
	v_fma_f64 v[183:184], v[4:5], v[18:19], v[183:184]
	v_fma_f64 v[189:190], v[2:3], v[18:19], -v[20:21]
	scratch_load_b128 v[18:21], off, off offset:880
	ds_load_b128 v[2:5], v1 offset:1664
	v_add_f64 v[166:167], v[166:167], v[187:188]
	v_add_f64 v[170:171], v[170:171], v[181:182]
	v_fma_f64 v[185:186], v[8:9], v[22:23], v[185:186]
	v_fma_f64 v[187:188], v[6:7], v[22:23], -v[24:25]
	ds_load_b128 v[6:9], v1 offset:1680
	s_waitcnt vmcnt(8) lgkmcnt(1)
	v_mul_f64 v[181:182], v[2:3], v[28:29]
	v_mul_f64 v[28:29], v[4:5], v[28:29]
	scratch_load_b128 v[22:25], off, off offset:896
	v_add_f64 v[166:167], v[166:167], v[189:190]
	v_add_f64 v[170:171], v[170:171], v[183:184]
	s_waitcnt vmcnt(8) lgkmcnt(0)
	v_mul_f64 v[183:184], v[6:7], v[32:33]
	v_mul_f64 v[32:33], v[8:9], v[32:33]
	v_fma_f64 v[181:182], v[4:5], v[26:27], v[181:182]
	v_fma_f64 v[26:27], v[2:3], v[26:27], -v[28:29]
	ds_load_b128 v[2:5], v1 offset:1696
	v_add_f64 v[28:29], v[166:167], v[187:188]
	v_add_f64 v[166:167], v[170:171], v[185:186]
	v_fma_f64 v[183:184], v[8:9], v[30:31], v[183:184]
	v_fma_f64 v[30:31], v[6:7], v[30:31], -v[32:33]
	ds_load_b128 v[6:9], v1 offset:1712
	s_waitcnt vmcnt(7) lgkmcnt(1)
	v_mul_f64 v[170:171], v[2:3], v[36:37]
	v_mul_f64 v[36:37], v[4:5], v[36:37]
	v_add_f64 v[26:27], v[28:29], v[26:27]
	v_add_f64 v[28:29], v[166:167], v[181:182]
	s_delay_alu instid0(VALU_DEP_4) | instskip(NEXT) | instid1(VALU_DEP_4)
	v_fma_f64 v[170:171], v[4:5], v[34:35], v[170:171]
	v_fma_f64 v[34:35], v[2:3], v[34:35], -v[36:37]
	ds_load_b128 v[2:5], v1 offset:1728
	v_add_f64 v[30:31], v[26:27], v[30:31]
	v_add_f64 v[36:37], v[28:29], v[183:184]
	scratch_load_b128 v[26:29], off, off offset:480
	s_waitcnt vmcnt(7) lgkmcnt(1)
	v_mul_f64 v[32:33], v[6:7], v[179:180]
	v_mul_f64 v[166:167], v[8:9], v[179:180]
	v_add_f64 v[30:31], v[30:31], v[34:35]
	v_add_f64 v[34:35], v[36:37], v[170:171]
	s_delay_alu instid0(VALU_DEP_4) | instskip(NEXT) | instid1(VALU_DEP_4)
	v_fma_f64 v[32:33], v[8:9], v[177:178], v[32:33]
	v_fma_f64 v[166:167], v[6:7], v[177:178], -v[166:167]
	ds_load_b128 v[6:9], v1 offset:1744
	s_waitcnt vmcnt(6) lgkmcnt(1)
	v_mul_f64 v[179:180], v[2:3], v[40:41]
	v_mul_f64 v[40:41], v[4:5], v[40:41]
	s_waitcnt vmcnt(5) lgkmcnt(0)
	v_mul_f64 v[36:37], v[6:7], v[175:176]
	v_mul_f64 v[170:171], v[8:9], v[175:176]
	v_add_f64 v[32:33], v[34:35], v[32:33]
	v_add_f64 v[30:31], v[30:31], v[166:167]
	v_fma_f64 v[175:176], v[4:5], v[38:39], v[179:180]
	v_fma_f64 v[38:39], v[2:3], v[38:39], -v[40:41]
	ds_load_b128 v[2:5], v1 offset:1760
	v_fma_f64 v[36:37], v[8:9], v[173:174], v[36:37]
	v_fma_f64 v[40:41], v[6:7], v[173:174], -v[170:171]
	ds_load_b128 v[6:9], v1 offset:1776
	s_waitcnt vmcnt(4) lgkmcnt(1)
	v_mul_f64 v[34:35], v[2:3], v[12:13]
	v_mul_f64 v[12:13], v[4:5], v[12:13]
	v_add_f64 v[32:33], v[32:33], v[175:176]
	v_add_f64 v[30:31], v[30:31], v[38:39]
	s_waitcnt vmcnt(3) lgkmcnt(0)
	v_mul_f64 v[38:39], v[6:7], v[16:17]
	v_mul_f64 v[16:17], v[8:9], v[16:17]
	v_fma_f64 v[34:35], v[4:5], v[10:11], v[34:35]
	v_fma_f64 v[10:11], v[2:3], v[10:11], -v[12:13]
	ds_load_b128 v[2:5], v1 offset:1792
	v_add_f64 v[12:13], v[30:31], v[40:41]
	v_add_f64 v[30:31], v[32:33], v[36:37]
	v_fma_f64 v[36:37], v[8:9], v[14:15], v[38:39]
	v_fma_f64 v[14:15], v[6:7], v[14:15], -v[16:17]
	ds_load_b128 v[6:9], v1 offset:1808
	s_waitcnt vmcnt(2) lgkmcnt(1)
	v_mul_f64 v[32:33], v[2:3], v[20:21]
	v_mul_f64 v[20:21], v[4:5], v[20:21]
	s_waitcnt vmcnt(1) lgkmcnt(0)
	v_mul_f64 v[16:17], v[6:7], v[24:25]
	v_mul_f64 v[24:25], v[8:9], v[24:25]
	v_add_f64 v[10:11], v[12:13], v[10:11]
	v_add_f64 v[12:13], v[30:31], v[34:35]
	v_fma_f64 v[4:5], v[4:5], v[18:19], v[32:33]
	v_fma_f64 v[1:2], v[2:3], v[18:19], -v[20:21]
	v_fma_f64 v[8:9], v[8:9], v[22:23], v[16:17]
	v_fma_f64 v[6:7], v[6:7], v[22:23], -v[24:25]
	v_add_f64 v[10:11], v[10:11], v[14:15]
	v_add_f64 v[12:13], v[12:13], v[36:37]
	s_delay_alu instid0(VALU_DEP_2) | instskip(NEXT) | instid1(VALU_DEP_2)
	v_add_f64 v[1:2], v[10:11], v[1:2]
	v_add_f64 v[3:4], v[12:13], v[4:5]
	s_delay_alu instid0(VALU_DEP_2) | instskip(NEXT) | instid1(VALU_DEP_2)
	v_add_f64 v[1:2], v[1:2], v[6:7]
	v_add_f64 v[3:4], v[3:4], v[8:9]
	s_waitcnt vmcnt(0)
	s_delay_alu instid0(VALU_DEP_2) | instskip(NEXT) | instid1(VALU_DEP_2)
	v_add_f64 v[1:2], v[26:27], -v[1:2]
	v_add_f64 v[3:4], v[28:29], -v[3:4]
	scratch_store_b128 off, v[1:4], off offset:480
	v_cmpx_lt_u32_e32 29, v156
	s_cbranch_execz .LBB120_297
; %bb.296:
	scratch_load_b128 v[1:4], v229, off
	v_mov_b32_e32 v5, 0
	s_delay_alu instid0(VALU_DEP_1)
	v_mov_b32_e32 v6, v5
	v_mov_b32_e32 v7, v5
	;; [unrolled: 1-line block ×3, first 2 shown]
	scratch_store_b128 off, v[5:8], off offset:464
	s_waitcnt vmcnt(0)
	ds_store_b128 v213, v[1:4]
.LBB120_297:
	s_or_b32 exec_lo, exec_lo, s2
	s_waitcnt lgkmcnt(0)
	s_waitcnt_vscnt null, 0x0
	s_barrier
	buffer_gl0_inv
	s_clause 0x7
	scratch_load_b128 v[2:5], off, off offset:480
	scratch_load_b128 v[6:9], off, off offset:496
	;; [unrolled: 1-line block ×8, first 2 shown]
	v_mov_b32_e32 v1, 0
	s_clause 0x1
	scratch_load_b128 v[34:37], off, off offset:608
	scratch_load_b128 v[177:180], off, off offset:624
	s_mov_b32 s2, exec_lo
	ds_load_b128 v[38:41], v1 offset:1392
	ds_load_b128 v[173:176], v1 offset:1408
	s_waitcnt vmcnt(9) lgkmcnt(1)
	v_mul_f64 v[166:167], v[40:41], v[4:5]
	v_mul_f64 v[4:5], v[38:39], v[4:5]
	s_waitcnt vmcnt(8) lgkmcnt(0)
	v_mul_f64 v[170:171], v[173:174], v[8:9]
	v_mul_f64 v[8:9], v[175:176], v[8:9]
	s_delay_alu instid0(VALU_DEP_4) | instskip(NEXT) | instid1(VALU_DEP_4)
	v_fma_f64 v[166:167], v[38:39], v[2:3], -v[166:167]
	v_fma_f64 v[181:182], v[40:41], v[2:3], v[4:5]
	ds_load_b128 v[2:5], v1 offset:1424
	scratch_load_b128 v[38:41], off, off offset:640
	v_fma_f64 v[170:171], v[175:176], v[6:7], v[170:171]
	v_fma_f64 v[185:186], v[173:174], v[6:7], -v[8:9]
	scratch_load_b128 v[173:176], off, off offset:656
	ds_load_b128 v[6:9], v1 offset:1440
	s_waitcnt vmcnt(9) lgkmcnt(1)
	v_mul_f64 v[183:184], v[2:3], v[12:13]
	v_mul_f64 v[12:13], v[4:5], v[12:13]
	s_waitcnt vmcnt(8) lgkmcnt(0)
	v_mul_f64 v[187:188], v[6:7], v[16:17]
	v_mul_f64 v[16:17], v[8:9], v[16:17]
	v_add_f64 v[166:167], v[166:167], 0
	v_add_f64 v[181:182], v[181:182], 0
	v_fma_f64 v[183:184], v[4:5], v[10:11], v[183:184]
	v_fma_f64 v[189:190], v[2:3], v[10:11], -v[12:13]
	ds_load_b128 v[2:5], v1 offset:1456
	scratch_load_b128 v[10:13], off, off offset:672
	v_add_f64 v[166:167], v[166:167], v[185:186]
	v_add_f64 v[170:171], v[181:182], v[170:171]
	v_fma_f64 v[185:186], v[8:9], v[14:15], v[187:188]
	v_fma_f64 v[187:188], v[6:7], v[14:15], -v[16:17]
	scratch_load_b128 v[14:17], off, off offset:688
	ds_load_b128 v[6:9], v1 offset:1472
	s_waitcnt vmcnt(9) lgkmcnt(1)
	v_mul_f64 v[181:182], v[2:3], v[20:21]
	v_mul_f64 v[20:21], v[4:5], v[20:21]
	v_add_f64 v[166:167], v[166:167], v[189:190]
	v_add_f64 v[170:171], v[170:171], v[183:184]
	s_waitcnt vmcnt(8) lgkmcnt(0)
	v_mul_f64 v[183:184], v[6:7], v[24:25]
	v_mul_f64 v[24:25], v[8:9], v[24:25]
	v_fma_f64 v[181:182], v[4:5], v[18:19], v[181:182]
	v_fma_f64 v[189:190], v[2:3], v[18:19], -v[20:21]
	ds_load_b128 v[2:5], v1 offset:1488
	scratch_load_b128 v[18:21], off, off offset:704
	v_add_f64 v[166:167], v[166:167], v[187:188]
	v_add_f64 v[170:171], v[170:171], v[185:186]
	v_fma_f64 v[183:184], v[8:9], v[22:23], v[183:184]
	v_fma_f64 v[187:188], v[6:7], v[22:23], -v[24:25]
	scratch_load_b128 v[22:25], off, off offset:720
	ds_load_b128 v[6:9], v1 offset:1504
	s_waitcnt vmcnt(9) lgkmcnt(1)
	v_mul_f64 v[185:186], v[2:3], v[28:29]
	v_mul_f64 v[28:29], v[4:5], v[28:29]
	v_add_f64 v[166:167], v[166:167], v[189:190]
	v_add_f64 v[170:171], v[170:171], v[181:182]
	s_waitcnt vmcnt(8) lgkmcnt(0)
	v_mul_f64 v[181:182], v[6:7], v[32:33]
	v_mul_f64 v[32:33], v[8:9], v[32:33]
	;; [unrolled: 18-line block ×4, first 2 shown]
	v_fma_f64 v[181:182], v[4:5], v[38:39], v[181:182]
	v_fma_f64 v[189:190], v[2:3], v[38:39], -v[40:41]
	ds_load_b128 v[2:5], v1 offset:1584
	scratch_load_b128 v[38:41], off, off offset:800
	v_add_f64 v[166:167], v[166:167], v[187:188]
	v_add_f64 v[170:171], v[170:171], v[185:186]
	v_fma_f64 v[183:184], v[8:9], v[173:174], v[183:184]
	v_fma_f64 v[187:188], v[6:7], v[173:174], -v[175:176]
	ds_load_b128 v[6:9], v1 offset:1600
	s_waitcnt vmcnt(8) lgkmcnt(1)
	v_mul_f64 v[185:186], v[2:3], v[12:13]
	v_mul_f64 v[12:13], v[4:5], v[12:13]
	scratch_load_b128 v[173:176], off, off offset:816
	v_add_f64 v[166:167], v[166:167], v[189:190]
	v_add_f64 v[170:171], v[170:171], v[181:182]
	s_waitcnt vmcnt(8) lgkmcnt(0)
	v_mul_f64 v[181:182], v[6:7], v[16:17]
	v_mul_f64 v[16:17], v[8:9], v[16:17]
	v_fma_f64 v[185:186], v[4:5], v[10:11], v[185:186]
	v_fma_f64 v[189:190], v[2:3], v[10:11], -v[12:13]
	scratch_load_b128 v[10:13], off, off offset:832
	ds_load_b128 v[2:5], v1 offset:1616
	v_add_f64 v[166:167], v[166:167], v[187:188]
	v_add_f64 v[170:171], v[170:171], v[183:184]
	v_fma_f64 v[181:182], v[8:9], v[14:15], v[181:182]
	v_fma_f64 v[187:188], v[6:7], v[14:15], -v[16:17]
	ds_load_b128 v[6:9], v1 offset:1632
	s_waitcnt vmcnt(8) lgkmcnt(1)
	v_mul_f64 v[183:184], v[2:3], v[20:21]
	v_mul_f64 v[20:21], v[4:5], v[20:21]
	scratch_load_b128 v[14:17], off, off offset:848
	v_add_f64 v[166:167], v[166:167], v[189:190]
	v_add_f64 v[170:171], v[170:171], v[185:186]
	s_waitcnt vmcnt(8) lgkmcnt(0)
	v_mul_f64 v[185:186], v[6:7], v[24:25]
	v_mul_f64 v[24:25], v[8:9], v[24:25]
	v_fma_f64 v[183:184], v[4:5], v[18:19], v[183:184]
	v_fma_f64 v[189:190], v[2:3], v[18:19], -v[20:21]
	scratch_load_b128 v[18:21], off, off offset:864
	ds_load_b128 v[2:5], v1 offset:1648
	;; [unrolled: 18-line block ×3, first 2 shown]
	v_add_f64 v[166:167], v[166:167], v[187:188]
	v_add_f64 v[170:171], v[170:171], v[185:186]
	v_fma_f64 v[183:184], v[8:9], v[30:31], v[183:184]
	v_fma_f64 v[30:31], v[6:7], v[30:31], -v[32:33]
	ds_load_b128 v[6:9], v1 offset:1696
	s_waitcnt vmcnt(8) lgkmcnt(1)
	v_mul_f64 v[185:186], v[2:3], v[36:37]
	v_mul_f64 v[36:37], v[4:5], v[36:37]
	v_add_f64 v[32:33], v[166:167], v[189:190]
	v_add_f64 v[166:167], v[170:171], v[181:182]
	s_waitcnt vmcnt(7) lgkmcnt(0)
	v_mul_f64 v[170:171], v[6:7], v[179:180]
	v_mul_f64 v[179:180], v[8:9], v[179:180]
	v_fma_f64 v[181:182], v[4:5], v[34:35], v[185:186]
	v_fma_f64 v[34:35], v[2:3], v[34:35], -v[36:37]
	ds_load_b128 v[2:5], v1 offset:1712
	v_add_f64 v[30:31], v[32:33], v[30:31]
	v_add_f64 v[32:33], v[166:167], v[183:184]
	v_fma_f64 v[166:167], v[8:9], v[177:178], v[170:171]
	v_fma_f64 v[170:171], v[6:7], v[177:178], -v[179:180]
	ds_load_b128 v[6:9], v1 offset:1728
	s_waitcnt vmcnt(5) lgkmcnt(0)
	v_mul_f64 v[179:180], v[6:7], v[175:176]
	v_mul_f64 v[175:176], v[8:9], v[175:176]
	v_add_f64 v[34:35], v[30:31], v[34:35]
	v_add_f64 v[177:178], v[32:33], v[181:182]
	scratch_load_b128 v[30:33], off, off offset:464
	v_mul_f64 v[36:37], v[2:3], v[40:41]
	v_mul_f64 v[40:41], v[4:5], v[40:41]
	v_add_f64 v[34:35], v[34:35], v[170:171]
	v_fma_f64 v[170:171], v[8:9], v[173:174], v[179:180]
	v_fma_f64 v[173:174], v[6:7], v[173:174], -v[175:176]
	v_fma_f64 v[36:37], v[4:5], v[38:39], v[36:37]
	v_fma_f64 v[38:39], v[2:3], v[38:39], -v[40:41]
	v_add_f64 v[40:41], v[177:178], v[166:167]
	ds_load_b128 v[2:5], v1 offset:1744
	ds_load_b128 v[6:9], v1 offset:1760
	s_waitcnt vmcnt(5) lgkmcnt(1)
	v_mul_f64 v[166:167], v[2:3], v[12:13]
	v_mul_f64 v[12:13], v[4:5], v[12:13]
	v_add_f64 v[34:35], v[34:35], v[38:39]
	v_add_f64 v[36:37], v[40:41], v[36:37]
	s_waitcnt vmcnt(4) lgkmcnt(0)
	v_mul_f64 v[38:39], v[6:7], v[16:17]
	v_mul_f64 v[16:17], v[8:9], v[16:17]
	v_fma_f64 v[40:41], v[4:5], v[10:11], v[166:167]
	v_fma_f64 v[10:11], v[2:3], v[10:11], -v[12:13]
	ds_load_b128 v[2:5], v1 offset:1776
	v_add_f64 v[12:13], v[34:35], v[173:174]
	v_add_f64 v[34:35], v[36:37], v[170:171]
	v_fma_f64 v[38:39], v[8:9], v[14:15], v[38:39]
	v_fma_f64 v[14:15], v[6:7], v[14:15], -v[16:17]
	ds_load_b128 v[6:9], v1 offset:1792
	s_waitcnt vmcnt(3) lgkmcnt(1)
	v_mul_f64 v[36:37], v[2:3], v[20:21]
	v_mul_f64 v[20:21], v[4:5], v[20:21]
	s_waitcnt vmcnt(2) lgkmcnt(0)
	v_mul_f64 v[16:17], v[6:7], v[24:25]
	v_mul_f64 v[24:25], v[8:9], v[24:25]
	v_add_f64 v[10:11], v[12:13], v[10:11]
	v_add_f64 v[12:13], v[34:35], v[40:41]
	v_fma_f64 v[34:35], v[4:5], v[18:19], v[36:37]
	v_fma_f64 v[18:19], v[2:3], v[18:19], -v[20:21]
	ds_load_b128 v[2:5], v1 offset:1808
	v_fma_f64 v[8:9], v[8:9], v[22:23], v[16:17]
	v_fma_f64 v[6:7], v[6:7], v[22:23], -v[24:25]
	s_waitcnt vmcnt(1) lgkmcnt(0)
	v_mul_f64 v[20:21], v[4:5], v[28:29]
	v_add_f64 v[10:11], v[10:11], v[14:15]
	v_add_f64 v[12:13], v[12:13], v[38:39]
	v_mul_f64 v[14:15], v[2:3], v[28:29]
	s_delay_alu instid0(VALU_DEP_4) | instskip(NEXT) | instid1(VALU_DEP_4)
	v_fma_f64 v[2:3], v[2:3], v[26:27], -v[20:21]
	v_add_f64 v[10:11], v[10:11], v[18:19]
	s_delay_alu instid0(VALU_DEP_4) | instskip(NEXT) | instid1(VALU_DEP_4)
	v_add_f64 v[12:13], v[12:13], v[34:35]
	v_fma_f64 v[4:5], v[4:5], v[26:27], v[14:15]
	s_delay_alu instid0(VALU_DEP_3) | instskip(NEXT) | instid1(VALU_DEP_3)
	v_add_f64 v[6:7], v[10:11], v[6:7]
	v_add_f64 v[8:9], v[12:13], v[8:9]
	s_delay_alu instid0(VALU_DEP_2) | instskip(NEXT) | instid1(VALU_DEP_2)
	v_add_f64 v[2:3], v[6:7], v[2:3]
	v_add_f64 v[4:5], v[8:9], v[4:5]
	s_waitcnt vmcnt(0)
	s_delay_alu instid0(VALU_DEP_2) | instskip(NEXT) | instid1(VALU_DEP_2)
	v_add_f64 v[2:3], v[30:31], -v[2:3]
	v_add_f64 v[4:5], v[32:33], -v[4:5]
	scratch_store_b128 off, v[2:5], off offset:464
	v_cmpx_lt_u32_e32 28, v156
	s_cbranch_execz .LBB120_299
; %bb.298:
	scratch_load_b128 v[5:8], v230, off
	v_mov_b32_e32 v2, v1
	v_mov_b32_e32 v3, v1
	;; [unrolled: 1-line block ×3, first 2 shown]
	scratch_store_b128 off, v[1:4], off offset:448
	s_waitcnt vmcnt(0)
	ds_store_b128 v213, v[5:8]
.LBB120_299:
	s_or_b32 exec_lo, exec_lo, s2
	s_waitcnt lgkmcnt(0)
	s_waitcnt_vscnt null, 0x0
	s_barrier
	buffer_gl0_inv
	s_clause 0x7
	scratch_load_b128 v[2:5], off, off offset:464
	scratch_load_b128 v[6:9], off, off offset:480
	;; [unrolled: 1-line block ×8, first 2 shown]
	ds_load_b128 v[38:41], v1 offset:1376
	ds_load_b128 v[173:176], v1 offset:1392
	s_clause 0x1
	scratch_load_b128 v[34:37], off, off offset:592
	scratch_load_b128 v[177:180], off, off offset:608
	s_mov_b32 s2, exec_lo
	s_waitcnt vmcnt(9) lgkmcnt(1)
	v_mul_f64 v[166:167], v[40:41], v[4:5]
	v_mul_f64 v[4:5], v[38:39], v[4:5]
	s_waitcnt vmcnt(8) lgkmcnt(0)
	v_mul_f64 v[170:171], v[173:174], v[8:9]
	v_mul_f64 v[8:9], v[175:176], v[8:9]
	s_delay_alu instid0(VALU_DEP_4) | instskip(NEXT) | instid1(VALU_DEP_4)
	v_fma_f64 v[166:167], v[38:39], v[2:3], -v[166:167]
	v_fma_f64 v[181:182], v[40:41], v[2:3], v[4:5]
	ds_load_b128 v[2:5], v1 offset:1408
	scratch_load_b128 v[38:41], off, off offset:624
	v_fma_f64 v[170:171], v[175:176], v[6:7], v[170:171]
	v_fma_f64 v[185:186], v[173:174], v[6:7], -v[8:9]
	scratch_load_b128 v[173:176], off, off offset:640
	ds_load_b128 v[6:9], v1 offset:1424
	s_waitcnt vmcnt(9) lgkmcnt(1)
	v_mul_f64 v[183:184], v[2:3], v[12:13]
	v_mul_f64 v[12:13], v[4:5], v[12:13]
	s_waitcnt vmcnt(8) lgkmcnt(0)
	v_mul_f64 v[187:188], v[6:7], v[16:17]
	v_mul_f64 v[16:17], v[8:9], v[16:17]
	v_add_f64 v[166:167], v[166:167], 0
	v_add_f64 v[181:182], v[181:182], 0
	v_fma_f64 v[183:184], v[4:5], v[10:11], v[183:184]
	v_fma_f64 v[189:190], v[2:3], v[10:11], -v[12:13]
	ds_load_b128 v[2:5], v1 offset:1440
	scratch_load_b128 v[10:13], off, off offset:656
	v_add_f64 v[166:167], v[166:167], v[185:186]
	v_add_f64 v[170:171], v[181:182], v[170:171]
	v_fma_f64 v[185:186], v[8:9], v[14:15], v[187:188]
	v_fma_f64 v[187:188], v[6:7], v[14:15], -v[16:17]
	scratch_load_b128 v[14:17], off, off offset:672
	ds_load_b128 v[6:9], v1 offset:1456
	s_waitcnt vmcnt(9) lgkmcnt(1)
	v_mul_f64 v[181:182], v[2:3], v[20:21]
	v_mul_f64 v[20:21], v[4:5], v[20:21]
	v_add_f64 v[166:167], v[166:167], v[189:190]
	v_add_f64 v[170:171], v[170:171], v[183:184]
	s_waitcnt vmcnt(8) lgkmcnt(0)
	v_mul_f64 v[183:184], v[6:7], v[24:25]
	v_mul_f64 v[24:25], v[8:9], v[24:25]
	v_fma_f64 v[181:182], v[4:5], v[18:19], v[181:182]
	v_fma_f64 v[189:190], v[2:3], v[18:19], -v[20:21]
	ds_load_b128 v[2:5], v1 offset:1472
	scratch_load_b128 v[18:21], off, off offset:688
	v_add_f64 v[166:167], v[166:167], v[187:188]
	v_add_f64 v[170:171], v[170:171], v[185:186]
	v_fma_f64 v[183:184], v[8:9], v[22:23], v[183:184]
	v_fma_f64 v[187:188], v[6:7], v[22:23], -v[24:25]
	scratch_load_b128 v[22:25], off, off offset:704
	ds_load_b128 v[6:9], v1 offset:1488
	s_waitcnt vmcnt(9) lgkmcnt(1)
	v_mul_f64 v[185:186], v[2:3], v[28:29]
	v_mul_f64 v[28:29], v[4:5], v[28:29]
	v_add_f64 v[166:167], v[166:167], v[189:190]
	v_add_f64 v[170:171], v[170:171], v[181:182]
	s_waitcnt vmcnt(8) lgkmcnt(0)
	v_mul_f64 v[181:182], v[6:7], v[32:33]
	v_mul_f64 v[32:33], v[8:9], v[32:33]
	;; [unrolled: 18-line block ×4, first 2 shown]
	v_fma_f64 v[181:182], v[4:5], v[38:39], v[181:182]
	v_fma_f64 v[189:190], v[2:3], v[38:39], -v[40:41]
	ds_load_b128 v[2:5], v1 offset:1568
	scratch_load_b128 v[38:41], off, off offset:784
	v_add_f64 v[166:167], v[166:167], v[187:188]
	v_add_f64 v[170:171], v[170:171], v[185:186]
	v_fma_f64 v[183:184], v[8:9], v[173:174], v[183:184]
	v_fma_f64 v[187:188], v[6:7], v[173:174], -v[175:176]
	ds_load_b128 v[6:9], v1 offset:1584
	s_waitcnt vmcnt(8) lgkmcnt(1)
	v_mul_f64 v[185:186], v[2:3], v[12:13]
	v_mul_f64 v[12:13], v[4:5], v[12:13]
	scratch_load_b128 v[173:176], off, off offset:800
	v_add_f64 v[166:167], v[166:167], v[189:190]
	v_add_f64 v[170:171], v[170:171], v[181:182]
	s_waitcnt vmcnt(8) lgkmcnt(0)
	v_mul_f64 v[181:182], v[6:7], v[16:17]
	v_mul_f64 v[16:17], v[8:9], v[16:17]
	v_fma_f64 v[185:186], v[4:5], v[10:11], v[185:186]
	v_fma_f64 v[189:190], v[2:3], v[10:11], -v[12:13]
	ds_load_b128 v[2:5], v1 offset:1600
	scratch_load_b128 v[10:13], off, off offset:816
	v_add_f64 v[166:167], v[166:167], v[187:188]
	v_add_f64 v[170:171], v[170:171], v[183:184]
	v_fma_f64 v[181:182], v[8:9], v[14:15], v[181:182]
	v_fma_f64 v[187:188], v[6:7], v[14:15], -v[16:17]
	ds_load_b128 v[6:9], v1 offset:1616
	s_waitcnt vmcnt(8) lgkmcnt(1)
	v_mul_f64 v[183:184], v[2:3], v[20:21]
	v_mul_f64 v[20:21], v[4:5], v[20:21]
	scratch_load_b128 v[14:17], off, off offset:832
	v_add_f64 v[166:167], v[166:167], v[189:190]
	v_add_f64 v[170:171], v[170:171], v[185:186]
	s_waitcnt vmcnt(8) lgkmcnt(0)
	v_mul_f64 v[185:186], v[6:7], v[24:25]
	v_mul_f64 v[24:25], v[8:9], v[24:25]
	v_fma_f64 v[183:184], v[4:5], v[18:19], v[183:184]
	v_fma_f64 v[189:190], v[2:3], v[18:19], -v[20:21]
	scratch_load_b128 v[18:21], off, off offset:848
	ds_load_b128 v[2:5], v1 offset:1632
	v_add_f64 v[166:167], v[166:167], v[187:188]
	v_add_f64 v[170:171], v[170:171], v[181:182]
	v_fma_f64 v[185:186], v[8:9], v[22:23], v[185:186]
	v_fma_f64 v[187:188], v[6:7], v[22:23], -v[24:25]
	ds_load_b128 v[6:9], v1 offset:1648
	s_waitcnt vmcnt(8) lgkmcnt(1)
	v_mul_f64 v[181:182], v[2:3], v[28:29]
	v_mul_f64 v[28:29], v[4:5], v[28:29]
	scratch_load_b128 v[22:25], off, off offset:864
	v_add_f64 v[166:167], v[166:167], v[189:190]
	v_add_f64 v[170:171], v[170:171], v[183:184]
	s_waitcnt vmcnt(8) lgkmcnt(0)
	v_mul_f64 v[183:184], v[6:7], v[32:33]
	v_mul_f64 v[32:33], v[8:9], v[32:33]
	v_fma_f64 v[181:182], v[4:5], v[26:27], v[181:182]
	v_fma_f64 v[189:190], v[2:3], v[26:27], -v[28:29]
	scratch_load_b128 v[26:29], off, off offset:880
	ds_load_b128 v[2:5], v1 offset:1664
	v_add_f64 v[166:167], v[166:167], v[187:188]
	v_add_f64 v[170:171], v[170:171], v[185:186]
	v_fma_f64 v[183:184], v[8:9], v[30:31], v[183:184]
	v_fma_f64 v[187:188], v[6:7], v[30:31], -v[32:33]
	ds_load_b128 v[6:9], v1 offset:1680
	s_waitcnt vmcnt(8) lgkmcnt(1)
	v_mul_f64 v[185:186], v[2:3], v[36:37]
	v_mul_f64 v[36:37], v[4:5], v[36:37]
	scratch_load_b128 v[30:33], off, off offset:896
	v_add_f64 v[166:167], v[166:167], v[189:190]
	v_add_f64 v[170:171], v[170:171], v[181:182]
	s_waitcnt vmcnt(8) lgkmcnt(0)
	v_mul_f64 v[181:182], v[6:7], v[179:180]
	v_mul_f64 v[179:180], v[8:9], v[179:180]
	v_fma_f64 v[185:186], v[4:5], v[34:35], v[185:186]
	v_fma_f64 v[34:35], v[2:3], v[34:35], -v[36:37]
	ds_load_b128 v[2:5], v1 offset:1696
	v_add_f64 v[36:37], v[166:167], v[187:188]
	v_add_f64 v[166:167], v[170:171], v[183:184]
	v_fma_f64 v[181:182], v[8:9], v[177:178], v[181:182]
	v_fma_f64 v[177:178], v[6:7], v[177:178], -v[179:180]
	ds_load_b128 v[6:9], v1 offset:1712
	s_waitcnt vmcnt(7) lgkmcnt(1)
	v_mul_f64 v[170:171], v[2:3], v[40:41]
	v_mul_f64 v[40:41], v[4:5], v[40:41]
	v_add_f64 v[34:35], v[36:37], v[34:35]
	v_add_f64 v[36:37], v[166:167], v[185:186]
	s_delay_alu instid0(VALU_DEP_4) | instskip(NEXT) | instid1(VALU_DEP_4)
	v_fma_f64 v[170:171], v[4:5], v[38:39], v[170:171]
	v_fma_f64 v[38:39], v[2:3], v[38:39], -v[40:41]
	ds_load_b128 v[2:5], v1 offset:1728
	v_add_f64 v[40:41], v[34:35], v[177:178]
	v_add_f64 v[177:178], v[36:37], v[181:182]
	scratch_load_b128 v[34:37], off, off offset:448
	s_waitcnt vmcnt(7) lgkmcnt(1)
	v_mul_f64 v[166:167], v[6:7], v[175:176]
	v_mul_f64 v[175:176], v[8:9], v[175:176]
	v_add_f64 v[38:39], v[40:41], v[38:39]
	v_add_f64 v[40:41], v[177:178], v[170:171]
	s_delay_alu instid0(VALU_DEP_4) | instskip(NEXT) | instid1(VALU_DEP_4)
	v_fma_f64 v[166:167], v[8:9], v[173:174], v[166:167]
	v_fma_f64 v[173:174], v[6:7], v[173:174], -v[175:176]
	ds_load_b128 v[6:9], v1 offset:1744
	s_waitcnt vmcnt(6) lgkmcnt(1)
	v_mul_f64 v[179:180], v[2:3], v[12:13]
	v_mul_f64 v[12:13], v[4:5], v[12:13]
	s_waitcnt vmcnt(5) lgkmcnt(0)
	v_mul_f64 v[170:171], v[6:7], v[16:17]
	v_mul_f64 v[16:17], v[8:9], v[16:17]
	s_delay_alu instid0(VALU_DEP_4) | instskip(NEXT) | instid1(VALU_DEP_4)
	v_fma_f64 v[175:176], v[4:5], v[10:11], v[179:180]
	v_fma_f64 v[10:11], v[2:3], v[10:11], -v[12:13]
	v_add_f64 v[12:13], v[38:39], v[173:174]
	v_add_f64 v[38:39], v[40:41], v[166:167]
	ds_load_b128 v[2:5], v1 offset:1760
	v_fma_f64 v[166:167], v[8:9], v[14:15], v[170:171]
	v_fma_f64 v[14:15], v[6:7], v[14:15], -v[16:17]
	ds_load_b128 v[6:9], v1 offset:1776
	s_waitcnt vmcnt(4) lgkmcnt(1)
	v_mul_f64 v[40:41], v[2:3], v[20:21]
	v_mul_f64 v[20:21], v[4:5], v[20:21]
	v_add_f64 v[10:11], v[12:13], v[10:11]
	v_add_f64 v[12:13], v[38:39], v[175:176]
	s_waitcnt vmcnt(3) lgkmcnt(0)
	v_mul_f64 v[16:17], v[6:7], v[24:25]
	v_mul_f64 v[24:25], v[8:9], v[24:25]
	v_fma_f64 v[38:39], v[4:5], v[18:19], v[40:41]
	v_fma_f64 v[18:19], v[2:3], v[18:19], -v[20:21]
	ds_load_b128 v[2:5], v1 offset:1792
	v_add_f64 v[10:11], v[10:11], v[14:15]
	v_add_f64 v[12:13], v[12:13], v[166:167]
	v_fma_f64 v[16:17], v[8:9], v[22:23], v[16:17]
	v_fma_f64 v[22:23], v[6:7], v[22:23], -v[24:25]
	ds_load_b128 v[6:9], v1 offset:1808
	s_waitcnt vmcnt(2) lgkmcnt(1)
	v_mul_f64 v[14:15], v[2:3], v[28:29]
	v_mul_f64 v[20:21], v[4:5], v[28:29]
	s_waitcnt vmcnt(1) lgkmcnt(0)
	v_mul_f64 v[24:25], v[8:9], v[32:33]
	v_add_f64 v[10:11], v[10:11], v[18:19]
	v_add_f64 v[12:13], v[12:13], v[38:39]
	v_mul_f64 v[18:19], v[6:7], v[32:33]
	v_fma_f64 v[4:5], v[4:5], v[26:27], v[14:15]
	v_fma_f64 v[1:2], v[2:3], v[26:27], -v[20:21]
	v_fma_f64 v[6:7], v[6:7], v[30:31], -v[24:25]
	v_add_f64 v[10:11], v[10:11], v[22:23]
	v_add_f64 v[12:13], v[12:13], v[16:17]
	v_fma_f64 v[8:9], v[8:9], v[30:31], v[18:19]
	s_delay_alu instid0(VALU_DEP_3) | instskip(NEXT) | instid1(VALU_DEP_3)
	v_add_f64 v[1:2], v[10:11], v[1:2]
	v_add_f64 v[3:4], v[12:13], v[4:5]
	s_delay_alu instid0(VALU_DEP_2) | instskip(NEXT) | instid1(VALU_DEP_2)
	v_add_f64 v[1:2], v[1:2], v[6:7]
	v_add_f64 v[3:4], v[3:4], v[8:9]
	s_waitcnt vmcnt(0)
	s_delay_alu instid0(VALU_DEP_2) | instskip(NEXT) | instid1(VALU_DEP_2)
	v_add_f64 v[1:2], v[34:35], -v[1:2]
	v_add_f64 v[3:4], v[36:37], -v[3:4]
	scratch_store_b128 off, v[1:4], off offset:448
	v_cmpx_lt_u32_e32 27, v156
	s_cbranch_execz .LBB120_301
; %bb.300:
	scratch_load_b128 v[1:4], v231, off
	v_mov_b32_e32 v5, 0
	s_delay_alu instid0(VALU_DEP_1)
	v_mov_b32_e32 v6, v5
	v_mov_b32_e32 v7, v5
	;; [unrolled: 1-line block ×3, first 2 shown]
	scratch_store_b128 off, v[5:8], off offset:432
	s_waitcnt vmcnt(0)
	ds_store_b128 v213, v[1:4]
.LBB120_301:
	s_or_b32 exec_lo, exec_lo, s2
	s_waitcnt lgkmcnt(0)
	s_waitcnt_vscnt null, 0x0
	s_barrier
	buffer_gl0_inv
	s_clause 0x7
	scratch_load_b128 v[2:5], off, off offset:448
	scratch_load_b128 v[6:9], off, off offset:464
	;; [unrolled: 1-line block ×8, first 2 shown]
	v_mov_b32_e32 v1, 0
	s_clause 0x1
	scratch_load_b128 v[34:37], off, off offset:576
	scratch_load_b128 v[177:180], off, off offset:592
	s_mov_b32 s2, exec_lo
	ds_load_b128 v[38:41], v1 offset:1360
	ds_load_b128 v[173:176], v1 offset:1376
	s_waitcnt vmcnt(9) lgkmcnt(1)
	v_mul_f64 v[166:167], v[40:41], v[4:5]
	v_mul_f64 v[4:5], v[38:39], v[4:5]
	s_waitcnt vmcnt(8) lgkmcnt(0)
	v_mul_f64 v[170:171], v[173:174], v[8:9]
	v_mul_f64 v[8:9], v[175:176], v[8:9]
	s_delay_alu instid0(VALU_DEP_4) | instskip(NEXT) | instid1(VALU_DEP_4)
	v_fma_f64 v[166:167], v[38:39], v[2:3], -v[166:167]
	v_fma_f64 v[181:182], v[40:41], v[2:3], v[4:5]
	ds_load_b128 v[2:5], v1 offset:1392
	scratch_load_b128 v[38:41], off, off offset:608
	v_fma_f64 v[170:171], v[175:176], v[6:7], v[170:171]
	v_fma_f64 v[185:186], v[173:174], v[6:7], -v[8:9]
	scratch_load_b128 v[173:176], off, off offset:624
	ds_load_b128 v[6:9], v1 offset:1408
	s_waitcnt vmcnt(9) lgkmcnt(1)
	v_mul_f64 v[183:184], v[2:3], v[12:13]
	v_mul_f64 v[12:13], v[4:5], v[12:13]
	s_waitcnt vmcnt(8) lgkmcnt(0)
	v_mul_f64 v[187:188], v[6:7], v[16:17]
	v_mul_f64 v[16:17], v[8:9], v[16:17]
	v_add_f64 v[166:167], v[166:167], 0
	v_add_f64 v[181:182], v[181:182], 0
	v_fma_f64 v[183:184], v[4:5], v[10:11], v[183:184]
	v_fma_f64 v[189:190], v[2:3], v[10:11], -v[12:13]
	ds_load_b128 v[2:5], v1 offset:1424
	scratch_load_b128 v[10:13], off, off offset:640
	v_add_f64 v[166:167], v[166:167], v[185:186]
	v_add_f64 v[170:171], v[181:182], v[170:171]
	v_fma_f64 v[185:186], v[8:9], v[14:15], v[187:188]
	v_fma_f64 v[187:188], v[6:7], v[14:15], -v[16:17]
	scratch_load_b128 v[14:17], off, off offset:656
	ds_load_b128 v[6:9], v1 offset:1440
	s_waitcnt vmcnt(9) lgkmcnt(1)
	v_mul_f64 v[181:182], v[2:3], v[20:21]
	v_mul_f64 v[20:21], v[4:5], v[20:21]
	v_add_f64 v[166:167], v[166:167], v[189:190]
	v_add_f64 v[170:171], v[170:171], v[183:184]
	s_waitcnt vmcnt(8) lgkmcnt(0)
	v_mul_f64 v[183:184], v[6:7], v[24:25]
	v_mul_f64 v[24:25], v[8:9], v[24:25]
	v_fma_f64 v[181:182], v[4:5], v[18:19], v[181:182]
	v_fma_f64 v[189:190], v[2:3], v[18:19], -v[20:21]
	ds_load_b128 v[2:5], v1 offset:1456
	scratch_load_b128 v[18:21], off, off offset:672
	v_add_f64 v[166:167], v[166:167], v[187:188]
	v_add_f64 v[170:171], v[170:171], v[185:186]
	v_fma_f64 v[183:184], v[8:9], v[22:23], v[183:184]
	v_fma_f64 v[187:188], v[6:7], v[22:23], -v[24:25]
	scratch_load_b128 v[22:25], off, off offset:688
	ds_load_b128 v[6:9], v1 offset:1472
	s_waitcnt vmcnt(9) lgkmcnt(1)
	v_mul_f64 v[185:186], v[2:3], v[28:29]
	v_mul_f64 v[28:29], v[4:5], v[28:29]
	v_add_f64 v[166:167], v[166:167], v[189:190]
	v_add_f64 v[170:171], v[170:171], v[181:182]
	s_waitcnt vmcnt(8) lgkmcnt(0)
	v_mul_f64 v[181:182], v[6:7], v[32:33]
	v_mul_f64 v[32:33], v[8:9], v[32:33]
	;; [unrolled: 18-line block ×5, first 2 shown]
	v_fma_f64 v[185:186], v[4:5], v[10:11], v[185:186]
	v_fma_f64 v[189:190], v[2:3], v[10:11], -v[12:13]
	ds_load_b128 v[2:5], v1 offset:1584
	scratch_load_b128 v[10:13], off, off offset:800
	v_add_f64 v[166:167], v[166:167], v[187:188]
	v_add_f64 v[170:171], v[170:171], v[183:184]
	v_fma_f64 v[181:182], v[8:9], v[14:15], v[181:182]
	v_fma_f64 v[187:188], v[6:7], v[14:15], -v[16:17]
	ds_load_b128 v[6:9], v1 offset:1600
	s_waitcnt vmcnt(8) lgkmcnt(1)
	v_mul_f64 v[183:184], v[2:3], v[20:21]
	v_mul_f64 v[20:21], v[4:5], v[20:21]
	scratch_load_b128 v[14:17], off, off offset:816
	v_add_f64 v[166:167], v[166:167], v[189:190]
	v_add_f64 v[170:171], v[170:171], v[185:186]
	s_waitcnt vmcnt(8) lgkmcnt(0)
	v_mul_f64 v[185:186], v[6:7], v[24:25]
	v_mul_f64 v[24:25], v[8:9], v[24:25]
	v_fma_f64 v[183:184], v[4:5], v[18:19], v[183:184]
	v_fma_f64 v[189:190], v[2:3], v[18:19], -v[20:21]
	scratch_load_b128 v[18:21], off, off offset:832
	ds_load_b128 v[2:5], v1 offset:1616
	v_add_f64 v[166:167], v[166:167], v[187:188]
	v_add_f64 v[170:171], v[170:171], v[181:182]
	v_fma_f64 v[185:186], v[8:9], v[22:23], v[185:186]
	v_fma_f64 v[187:188], v[6:7], v[22:23], -v[24:25]
	ds_load_b128 v[6:9], v1 offset:1632
	s_waitcnt vmcnt(8) lgkmcnt(1)
	v_mul_f64 v[181:182], v[2:3], v[28:29]
	v_mul_f64 v[28:29], v[4:5], v[28:29]
	scratch_load_b128 v[22:25], off, off offset:848
	v_add_f64 v[166:167], v[166:167], v[189:190]
	v_add_f64 v[170:171], v[170:171], v[183:184]
	s_waitcnt vmcnt(8) lgkmcnt(0)
	v_mul_f64 v[183:184], v[6:7], v[32:33]
	v_mul_f64 v[32:33], v[8:9], v[32:33]
	v_fma_f64 v[181:182], v[4:5], v[26:27], v[181:182]
	v_fma_f64 v[189:190], v[2:3], v[26:27], -v[28:29]
	scratch_load_b128 v[26:29], off, off offset:864
	ds_load_b128 v[2:5], v1 offset:1648
	;; [unrolled: 18-line block ×3, first 2 shown]
	v_add_f64 v[166:167], v[166:167], v[187:188]
	v_add_f64 v[170:171], v[170:171], v[183:184]
	v_fma_f64 v[181:182], v[8:9], v[177:178], v[181:182]
	v_fma_f64 v[177:178], v[6:7], v[177:178], -v[179:180]
	ds_load_b128 v[6:9], v1 offset:1696
	s_waitcnt vmcnt(8) lgkmcnt(1)
	v_mul_f64 v[183:184], v[2:3], v[40:41]
	v_mul_f64 v[40:41], v[4:5], v[40:41]
	s_waitcnt vmcnt(7) lgkmcnt(0)
	v_mul_f64 v[179:180], v[6:7], v[175:176]
	v_mul_f64 v[175:176], v[8:9], v[175:176]
	v_add_f64 v[166:167], v[166:167], v[189:190]
	v_add_f64 v[170:171], v[170:171], v[185:186]
	v_fma_f64 v[183:184], v[4:5], v[38:39], v[183:184]
	v_fma_f64 v[38:39], v[2:3], v[38:39], -v[40:41]
	ds_load_b128 v[2:5], v1 offset:1712
	v_add_f64 v[40:41], v[166:167], v[177:178]
	v_add_f64 v[166:167], v[170:171], v[181:182]
	v_fma_f64 v[177:178], v[8:9], v[173:174], v[179:180]
	v_fma_f64 v[173:174], v[6:7], v[173:174], -v[175:176]
	ds_load_b128 v[6:9], v1 offset:1728
	s_waitcnt vmcnt(5) lgkmcnt(0)
	v_mul_f64 v[179:180], v[6:7], v[16:17]
	v_mul_f64 v[16:17], v[8:9], v[16:17]
	v_add_f64 v[175:176], v[40:41], v[38:39]
	v_add_f64 v[166:167], v[166:167], v[183:184]
	scratch_load_b128 v[38:41], off, off offset:432
	v_mul_f64 v[170:171], v[2:3], v[12:13]
	v_mul_f64 v[12:13], v[4:5], v[12:13]
	v_add_f64 v[166:167], v[166:167], v[177:178]
	s_delay_alu instid0(VALU_DEP_3) | instskip(NEXT) | instid1(VALU_DEP_3)
	v_fma_f64 v[170:171], v[4:5], v[10:11], v[170:171]
	v_fma_f64 v[10:11], v[2:3], v[10:11], -v[12:13]
	v_add_f64 v[12:13], v[175:176], v[173:174]
	ds_load_b128 v[2:5], v1 offset:1744
	v_fma_f64 v[175:176], v[8:9], v[14:15], v[179:180]
	v_fma_f64 v[14:15], v[6:7], v[14:15], -v[16:17]
	ds_load_b128 v[6:9], v1 offset:1760
	s_waitcnt vmcnt(5) lgkmcnt(1)
	v_mul_f64 v[173:174], v[2:3], v[20:21]
	v_mul_f64 v[20:21], v[4:5], v[20:21]
	s_waitcnt vmcnt(4) lgkmcnt(0)
	v_mul_f64 v[16:17], v[6:7], v[24:25]
	v_mul_f64 v[24:25], v[8:9], v[24:25]
	v_add_f64 v[10:11], v[12:13], v[10:11]
	v_add_f64 v[12:13], v[166:167], v[170:171]
	v_fma_f64 v[166:167], v[4:5], v[18:19], v[173:174]
	v_fma_f64 v[18:19], v[2:3], v[18:19], -v[20:21]
	ds_load_b128 v[2:5], v1 offset:1776
	v_fma_f64 v[16:17], v[8:9], v[22:23], v[16:17]
	v_fma_f64 v[22:23], v[6:7], v[22:23], -v[24:25]
	ds_load_b128 v[6:9], v1 offset:1792
	v_add_f64 v[10:11], v[10:11], v[14:15]
	v_add_f64 v[12:13], v[12:13], v[175:176]
	s_waitcnt vmcnt(3) lgkmcnt(1)
	v_mul_f64 v[14:15], v[2:3], v[28:29]
	v_mul_f64 v[20:21], v[4:5], v[28:29]
	s_waitcnt vmcnt(2) lgkmcnt(0)
	v_mul_f64 v[24:25], v[8:9], v[32:33]
	v_add_f64 v[10:11], v[10:11], v[18:19]
	v_add_f64 v[12:13], v[12:13], v[166:167]
	v_mul_f64 v[18:19], v[6:7], v[32:33]
	v_fma_f64 v[14:15], v[4:5], v[26:27], v[14:15]
	v_fma_f64 v[20:21], v[2:3], v[26:27], -v[20:21]
	ds_load_b128 v[2:5], v1 offset:1808
	v_fma_f64 v[6:7], v[6:7], v[30:31], -v[24:25]
	v_add_f64 v[10:11], v[10:11], v[22:23]
	v_add_f64 v[12:13], v[12:13], v[16:17]
	s_waitcnt vmcnt(1) lgkmcnt(0)
	v_mul_f64 v[16:17], v[2:3], v[36:37]
	v_mul_f64 v[22:23], v[4:5], v[36:37]
	v_fma_f64 v[8:9], v[8:9], v[30:31], v[18:19]
	v_add_f64 v[10:11], v[10:11], v[20:21]
	v_add_f64 v[12:13], v[12:13], v[14:15]
	v_fma_f64 v[4:5], v[4:5], v[34:35], v[16:17]
	v_fma_f64 v[2:3], v[2:3], v[34:35], -v[22:23]
	s_delay_alu instid0(VALU_DEP_4) | instskip(NEXT) | instid1(VALU_DEP_4)
	v_add_f64 v[6:7], v[10:11], v[6:7]
	v_add_f64 v[8:9], v[12:13], v[8:9]
	s_delay_alu instid0(VALU_DEP_2) | instskip(NEXT) | instid1(VALU_DEP_2)
	v_add_f64 v[2:3], v[6:7], v[2:3]
	v_add_f64 v[4:5], v[8:9], v[4:5]
	s_waitcnt vmcnt(0)
	s_delay_alu instid0(VALU_DEP_2) | instskip(NEXT) | instid1(VALU_DEP_2)
	v_add_f64 v[2:3], v[38:39], -v[2:3]
	v_add_f64 v[4:5], v[40:41], -v[4:5]
	scratch_store_b128 off, v[2:5], off offset:432
	v_cmpx_lt_u32_e32 26, v156
	s_cbranch_execz .LBB120_303
; %bb.302:
	scratch_load_b128 v[5:8], v232, off
	v_mov_b32_e32 v2, v1
	v_mov_b32_e32 v3, v1
	;; [unrolled: 1-line block ×3, first 2 shown]
	scratch_store_b128 off, v[1:4], off offset:416
	s_waitcnt vmcnt(0)
	ds_store_b128 v213, v[5:8]
.LBB120_303:
	s_or_b32 exec_lo, exec_lo, s2
	s_waitcnt lgkmcnt(0)
	s_waitcnt_vscnt null, 0x0
	s_barrier
	buffer_gl0_inv
	s_clause 0x7
	scratch_load_b128 v[2:5], off, off offset:432
	scratch_load_b128 v[6:9], off, off offset:448
	;; [unrolled: 1-line block ×8, first 2 shown]
	ds_load_b128 v[38:41], v1 offset:1344
	ds_load_b128 v[173:176], v1 offset:1360
	s_clause 0x1
	scratch_load_b128 v[34:37], off, off offset:560
	scratch_load_b128 v[177:180], off, off offset:576
	s_mov_b32 s2, exec_lo
	s_waitcnt vmcnt(9) lgkmcnt(1)
	v_mul_f64 v[166:167], v[40:41], v[4:5]
	v_mul_f64 v[4:5], v[38:39], v[4:5]
	s_waitcnt vmcnt(8) lgkmcnt(0)
	v_mul_f64 v[170:171], v[173:174], v[8:9]
	v_mul_f64 v[8:9], v[175:176], v[8:9]
	s_delay_alu instid0(VALU_DEP_4) | instskip(NEXT) | instid1(VALU_DEP_4)
	v_fma_f64 v[166:167], v[38:39], v[2:3], -v[166:167]
	v_fma_f64 v[181:182], v[40:41], v[2:3], v[4:5]
	ds_load_b128 v[2:5], v1 offset:1376
	scratch_load_b128 v[38:41], off, off offset:592
	v_fma_f64 v[170:171], v[175:176], v[6:7], v[170:171]
	v_fma_f64 v[185:186], v[173:174], v[6:7], -v[8:9]
	scratch_load_b128 v[173:176], off, off offset:608
	ds_load_b128 v[6:9], v1 offset:1392
	s_waitcnt vmcnt(9) lgkmcnt(1)
	v_mul_f64 v[183:184], v[2:3], v[12:13]
	v_mul_f64 v[12:13], v[4:5], v[12:13]
	s_waitcnt vmcnt(8) lgkmcnt(0)
	v_mul_f64 v[187:188], v[6:7], v[16:17]
	v_mul_f64 v[16:17], v[8:9], v[16:17]
	v_add_f64 v[166:167], v[166:167], 0
	v_add_f64 v[181:182], v[181:182], 0
	v_fma_f64 v[183:184], v[4:5], v[10:11], v[183:184]
	v_fma_f64 v[189:190], v[2:3], v[10:11], -v[12:13]
	ds_load_b128 v[2:5], v1 offset:1408
	scratch_load_b128 v[10:13], off, off offset:624
	v_add_f64 v[166:167], v[166:167], v[185:186]
	v_add_f64 v[170:171], v[181:182], v[170:171]
	v_fma_f64 v[185:186], v[8:9], v[14:15], v[187:188]
	v_fma_f64 v[187:188], v[6:7], v[14:15], -v[16:17]
	scratch_load_b128 v[14:17], off, off offset:640
	ds_load_b128 v[6:9], v1 offset:1424
	s_waitcnt vmcnt(9) lgkmcnt(1)
	v_mul_f64 v[181:182], v[2:3], v[20:21]
	v_mul_f64 v[20:21], v[4:5], v[20:21]
	v_add_f64 v[166:167], v[166:167], v[189:190]
	v_add_f64 v[170:171], v[170:171], v[183:184]
	s_waitcnt vmcnt(8) lgkmcnt(0)
	v_mul_f64 v[183:184], v[6:7], v[24:25]
	v_mul_f64 v[24:25], v[8:9], v[24:25]
	v_fma_f64 v[181:182], v[4:5], v[18:19], v[181:182]
	v_fma_f64 v[189:190], v[2:3], v[18:19], -v[20:21]
	ds_load_b128 v[2:5], v1 offset:1440
	scratch_load_b128 v[18:21], off, off offset:656
	v_add_f64 v[166:167], v[166:167], v[187:188]
	v_add_f64 v[170:171], v[170:171], v[185:186]
	v_fma_f64 v[183:184], v[8:9], v[22:23], v[183:184]
	v_fma_f64 v[187:188], v[6:7], v[22:23], -v[24:25]
	scratch_load_b128 v[22:25], off, off offset:672
	ds_load_b128 v[6:9], v1 offset:1456
	s_waitcnt vmcnt(9) lgkmcnt(1)
	v_mul_f64 v[185:186], v[2:3], v[28:29]
	v_mul_f64 v[28:29], v[4:5], v[28:29]
	v_add_f64 v[166:167], v[166:167], v[189:190]
	v_add_f64 v[170:171], v[170:171], v[181:182]
	s_waitcnt vmcnt(8) lgkmcnt(0)
	v_mul_f64 v[181:182], v[6:7], v[32:33]
	v_mul_f64 v[32:33], v[8:9], v[32:33]
	;; [unrolled: 18-line block ×5, first 2 shown]
	v_fma_f64 v[185:186], v[4:5], v[10:11], v[185:186]
	v_fma_f64 v[189:190], v[2:3], v[10:11], -v[12:13]
	ds_load_b128 v[2:5], v1 offset:1568
	scratch_load_b128 v[10:13], off, off offset:784
	v_add_f64 v[166:167], v[166:167], v[187:188]
	v_add_f64 v[170:171], v[170:171], v[183:184]
	v_fma_f64 v[181:182], v[8:9], v[14:15], v[181:182]
	v_fma_f64 v[187:188], v[6:7], v[14:15], -v[16:17]
	ds_load_b128 v[6:9], v1 offset:1584
	s_waitcnt vmcnt(8) lgkmcnt(1)
	v_mul_f64 v[183:184], v[2:3], v[20:21]
	v_mul_f64 v[20:21], v[4:5], v[20:21]
	scratch_load_b128 v[14:17], off, off offset:800
	v_add_f64 v[166:167], v[166:167], v[189:190]
	v_add_f64 v[170:171], v[170:171], v[185:186]
	s_waitcnt vmcnt(8) lgkmcnt(0)
	v_mul_f64 v[185:186], v[6:7], v[24:25]
	v_mul_f64 v[24:25], v[8:9], v[24:25]
	v_fma_f64 v[183:184], v[4:5], v[18:19], v[183:184]
	v_fma_f64 v[189:190], v[2:3], v[18:19], -v[20:21]
	ds_load_b128 v[2:5], v1 offset:1600
	scratch_load_b128 v[18:21], off, off offset:816
	v_add_f64 v[166:167], v[166:167], v[187:188]
	v_add_f64 v[170:171], v[170:171], v[181:182]
	v_fma_f64 v[185:186], v[8:9], v[22:23], v[185:186]
	v_fma_f64 v[187:188], v[6:7], v[22:23], -v[24:25]
	ds_load_b128 v[6:9], v1 offset:1616
	s_waitcnt vmcnt(8) lgkmcnt(1)
	v_mul_f64 v[181:182], v[2:3], v[28:29]
	v_mul_f64 v[28:29], v[4:5], v[28:29]
	scratch_load_b128 v[22:25], off, off offset:832
	v_add_f64 v[166:167], v[166:167], v[189:190]
	v_add_f64 v[170:171], v[170:171], v[183:184]
	s_waitcnt vmcnt(8) lgkmcnt(0)
	v_mul_f64 v[183:184], v[6:7], v[32:33]
	v_mul_f64 v[32:33], v[8:9], v[32:33]
	v_fma_f64 v[181:182], v[4:5], v[26:27], v[181:182]
	v_fma_f64 v[189:190], v[2:3], v[26:27], -v[28:29]
	scratch_load_b128 v[26:29], off, off offset:848
	ds_load_b128 v[2:5], v1 offset:1632
	v_add_f64 v[166:167], v[166:167], v[187:188]
	v_add_f64 v[170:171], v[170:171], v[185:186]
	v_fma_f64 v[183:184], v[8:9], v[30:31], v[183:184]
	v_fma_f64 v[187:188], v[6:7], v[30:31], -v[32:33]
	ds_load_b128 v[6:9], v1 offset:1648
	s_waitcnt vmcnt(8) lgkmcnt(1)
	v_mul_f64 v[185:186], v[2:3], v[36:37]
	v_mul_f64 v[36:37], v[4:5], v[36:37]
	scratch_load_b128 v[30:33], off, off offset:864
	v_add_f64 v[166:167], v[166:167], v[189:190]
	v_add_f64 v[170:171], v[170:171], v[181:182]
	s_waitcnt vmcnt(8) lgkmcnt(0)
	v_mul_f64 v[181:182], v[6:7], v[179:180]
	v_mul_f64 v[179:180], v[8:9], v[179:180]
	v_fma_f64 v[185:186], v[4:5], v[34:35], v[185:186]
	v_fma_f64 v[189:190], v[2:3], v[34:35], -v[36:37]
	scratch_load_b128 v[34:37], off, off offset:880
	ds_load_b128 v[2:5], v1 offset:1664
	v_add_f64 v[166:167], v[166:167], v[187:188]
	v_add_f64 v[170:171], v[170:171], v[183:184]
	v_fma_f64 v[181:182], v[8:9], v[177:178], v[181:182]
	v_fma_f64 v[187:188], v[6:7], v[177:178], -v[179:180]
	ds_load_b128 v[6:9], v1 offset:1680
	s_waitcnt vmcnt(8) lgkmcnt(1)
	v_mul_f64 v[183:184], v[2:3], v[40:41]
	v_mul_f64 v[40:41], v[4:5], v[40:41]
	scratch_load_b128 v[177:180], off, off offset:896
	v_add_f64 v[166:167], v[166:167], v[189:190]
	v_add_f64 v[170:171], v[170:171], v[185:186]
	s_waitcnt vmcnt(8) lgkmcnt(0)
	v_mul_f64 v[185:186], v[6:7], v[175:176]
	v_mul_f64 v[175:176], v[8:9], v[175:176]
	v_fma_f64 v[183:184], v[4:5], v[38:39], v[183:184]
	v_fma_f64 v[38:39], v[2:3], v[38:39], -v[40:41]
	ds_load_b128 v[2:5], v1 offset:1696
	v_add_f64 v[40:41], v[166:167], v[187:188]
	v_add_f64 v[166:167], v[170:171], v[181:182]
	v_fma_f64 v[181:182], v[8:9], v[173:174], v[185:186]
	v_fma_f64 v[173:174], v[6:7], v[173:174], -v[175:176]
	ds_load_b128 v[6:9], v1 offset:1712
	s_waitcnt vmcnt(7) lgkmcnt(1)
	v_mul_f64 v[170:171], v[2:3], v[12:13]
	v_mul_f64 v[12:13], v[4:5], v[12:13]
	v_add_f64 v[38:39], v[40:41], v[38:39]
	v_add_f64 v[40:41], v[166:167], v[183:184]
	s_delay_alu instid0(VALU_DEP_4) | instskip(NEXT) | instid1(VALU_DEP_4)
	v_fma_f64 v[170:171], v[4:5], v[10:11], v[170:171]
	v_fma_f64 v[175:176], v[2:3], v[10:11], -v[12:13]
	scratch_load_b128 v[10:13], off, off offset:416
	s_waitcnt vmcnt(7) lgkmcnt(0)
	v_mul_f64 v[166:167], v[6:7], v[16:17]
	v_mul_f64 v[16:17], v[8:9], v[16:17]
	ds_load_b128 v[2:5], v1 offset:1728
	v_add_f64 v[38:39], v[38:39], v[173:174]
	v_add_f64 v[40:41], v[40:41], v[181:182]
	v_fma_f64 v[166:167], v[8:9], v[14:15], v[166:167]
	v_fma_f64 v[14:15], v[6:7], v[14:15], -v[16:17]
	ds_load_b128 v[6:9], v1 offset:1744
	s_waitcnt vmcnt(6) lgkmcnt(1)
	v_mul_f64 v[173:174], v[2:3], v[20:21]
	v_mul_f64 v[20:21], v[4:5], v[20:21]
	v_add_f64 v[16:17], v[38:39], v[175:176]
	v_add_f64 v[38:39], v[40:41], v[170:171]
	s_waitcnt vmcnt(5) lgkmcnt(0)
	v_mul_f64 v[40:41], v[6:7], v[24:25]
	v_mul_f64 v[24:25], v[8:9], v[24:25]
	v_fma_f64 v[170:171], v[4:5], v[18:19], v[173:174]
	v_fma_f64 v[18:19], v[2:3], v[18:19], -v[20:21]
	ds_load_b128 v[2:5], v1 offset:1760
	v_add_f64 v[14:15], v[16:17], v[14:15]
	v_add_f64 v[16:17], v[38:39], v[166:167]
	v_fma_f64 v[38:39], v[8:9], v[22:23], v[40:41]
	v_fma_f64 v[22:23], v[6:7], v[22:23], -v[24:25]
	ds_load_b128 v[6:9], v1 offset:1776
	s_waitcnt vmcnt(4) lgkmcnt(1)
	v_mul_f64 v[20:21], v[2:3], v[28:29]
	v_mul_f64 v[28:29], v[4:5], v[28:29]
	s_waitcnt vmcnt(3) lgkmcnt(0)
	v_mul_f64 v[24:25], v[8:9], v[32:33]
	v_add_f64 v[14:15], v[14:15], v[18:19]
	v_add_f64 v[16:17], v[16:17], v[170:171]
	v_mul_f64 v[18:19], v[6:7], v[32:33]
	v_fma_f64 v[20:21], v[4:5], v[26:27], v[20:21]
	v_fma_f64 v[26:27], v[2:3], v[26:27], -v[28:29]
	ds_load_b128 v[2:5], v1 offset:1792
	v_fma_f64 v[24:25], v[6:7], v[30:31], -v[24:25]
	v_add_f64 v[14:15], v[14:15], v[22:23]
	v_add_f64 v[16:17], v[16:17], v[38:39]
	v_fma_f64 v[18:19], v[8:9], v[30:31], v[18:19]
	ds_load_b128 v[6:9], v1 offset:1808
	s_waitcnt vmcnt(2) lgkmcnt(1)
	v_mul_f64 v[22:23], v[2:3], v[36:37]
	v_mul_f64 v[28:29], v[4:5], v[36:37]
	v_add_f64 v[14:15], v[14:15], v[26:27]
	v_add_f64 v[16:17], v[16:17], v[20:21]
	s_waitcnt vmcnt(1) lgkmcnt(0)
	v_mul_f64 v[20:21], v[6:7], v[179:180]
	v_mul_f64 v[26:27], v[8:9], v[179:180]
	v_fma_f64 v[4:5], v[4:5], v[34:35], v[22:23]
	v_fma_f64 v[1:2], v[2:3], v[34:35], -v[28:29]
	v_add_f64 v[14:15], v[14:15], v[24:25]
	v_add_f64 v[16:17], v[16:17], v[18:19]
	v_fma_f64 v[8:9], v[8:9], v[177:178], v[20:21]
	v_fma_f64 v[6:7], v[6:7], v[177:178], -v[26:27]
	s_delay_alu instid0(VALU_DEP_4) | instskip(NEXT) | instid1(VALU_DEP_4)
	v_add_f64 v[1:2], v[14:15], v[1:2]
	v_add_f64 v[3:4], v[16:17], v[4:5]
	s_delay_alu instid0(VALU_DEP_2) | instskip(NEXT) | instid1(VALU_DEP_2)
	v_add_f64 v[1:2], v[1:2], v[6:7]
	v_add_f64 v[3:4], v[3:4], v[8:9]
	s_waitcnt vmcnt(0)
	s_delay_alu instid0(VALU_DEP_2) | instskip(NEXT) | instid1(VALU_DEP_2)
	v_add_f64 v[1:2], v[10:11], -v[1:2]
	v_add_f64 v[3:4], v[12:13], -v[3:4]
	scratch_store_b128 off, v[1:4], off offset:416
	v_cmpx_lt_u32_e32 25, v156
	s_cbranch_execz .LBB120_305
; %bb.304:
	scratch_load_b128 v[1:4], v233, off
	v_mov_b32_e32 v5, 0
	s_delay_alu instid0(VALU_DEP_1)
	v_mov_b32_e32 v6, v5
	v_mov_b32_e32 v7, v5
	;; [unrolled: 1-line block ×3, first 2 shown]
	scratch_store_b128 off, v[5:8], off offset:400
	s_waitcnt vmcnt(0)
	ds_store_b128 v213, v[1:4]
.LBB120_305:
	s_or_b32 exec_lo, exec_lo, s2
	s_waitcnt lgkmcnt(0)
	s_waitcnt_vscnt null, 0x0
	s_barrier
	buffer_gl0_inv
	s_clause 0x7
	scratch_load_b128 v[2:5], off, off offset:416
	scratch_load_b128 v[6:9], off, off offset:432
	;; [unrolled: 1-line block ×8, first 2 shown]
	v_mov_b32_e32 v1, 0
	s_clause 0x1
	scratch_load_b128 v[34:37], off, off offset:544
	scratch_load_b128 v[177:180], off, off offset:560
	s_mov_b32 s2, exec_lo
	ds_load_b128 v[38:41], v1 offset:1328
	ds_load_b128 v[173:176], v1 offset:1344
	s_waitcnt vmcnt(9) lgkmcnt(1)
	v_mul_f64 v[166:167], v[40:41], v[4:5]
	v_mul_f64 v[4:5], v[38:39], v[4:5]
	s_waitcnt vmcnt(8) lgkmcnt(0)
	v_mul_f64 v[170:171], v[173:174], v[8:9]
	v_mul_f64 v[8:9], v[175:176], v[8:9]
	s_delay_alu instid0(VALU_DEP_4) | instskip(NEXT) | instid1(VALU_DEP_4)
	v_fma_f64 v[166:167], v[38:39], v[2:3], -v[166:167]
	v_fma_f64 v[181:182], v[40:41], v[2:3], v[4:5]
	ds_load_b128 v[2:5], v1 offset:1360
	scratch_load_b128 v[38:41], off, off offset:576
	v_fma_f64 v[170:171], v[175:176], v[6:7], v[170:171]
	v_fma_f64 v[185:186], v[173:174], v[6:7], -v[8:9]
	scratch_load_b128 v[173:176], off, off offset:592
	ds_load_b128 v[6:9], v1 offset:1376
	s_waitcnt vmcnt(9) lgkmcnt(1)
	v_mul_f64 v[183:184], v[2:3], v[12:13]
	v_mul_f64 v[12:13], v[4:5], v[12:13]
	s_waitcnt vmcnt(8) lgkmcnt(0)
	v_mul_f64 v[187:188], v[6:7], v[16:17]
	v_mul_f64 v[16:17], v[8:9], v[16:17]
	v_add_f64 v[166:167], v[166:167], 0
	v_add_f64 v[181:182], v[181:182], 0
	v_fma_f64 v[183:184], v[4:5], v[10:11], v[183:184]
	v_fma_f64 v[189:190], v[2:3], v[10:11], -v[12:13]
	ds_load_b128 v[2:5], v1 offset:1392
	scratch_load_b128 v[10:13], off, off offset:608
	v_add_f64 v[166:167], v[166:167], v[185:186]
	v_add_f64 v[170:171], v[181:182], v[170:171]
	v_fma_f64 v[185:186], v[8:9], v[14:15], v[187:188]
	v_fma_f64 v[187:188], v[6:7], v[14:15], -v[16:17]
	scratch_load_b128 v[14:17], off, off offset:624
	ds_load_b128 v[6:9], v1 offset:1408
	s_waitcnt vmcnt(9) lgkmcnt(1)
	v_mul_f64 v[181:182], v[2:3], v[20:21]
	v_mul_f64 v[20:21], v[4:5], v[20:21]
	v_add_f64 v[166:167], v[166:167], v[189:190]
	v_add_f64 v[170:171], v[170:171], v[183:184]
	s_waitcnt vmcnt(8) lgkmcnt(0)
	v_mul_f64 v[183:184], v[6:7], v[24:25]
	v_mul_f64 v[24:25], v[8:9], v[24:25]
	v_fma_f64 v[181:182], v[4:5], v[18:19], v[181:182]
	v_fma_f64 v[189:190], v[2:3], v[18:19], -v[20:21]
	ds_load_b128 v[2:5], v1 offset:1424
	scratch_load_b128 v[18:21], off, off offset:640
	v_add_f64 v[166:167], v[166:167], v[187:188]
	v_add_f64 v[170:171], v[170:171], v[185:186]
	v_fma_f64 v[183:184], v[8:9], v[22:23], v[183:184]
	v_fma_f64 v[187:188], v[6:7], v[22:23], -v[24:25]
	scratch_load_b128 v[22:25], off, off offset:656
	ds_load_b128 v[6:9], v1 offset:1440
	s_waitcnt vmcnt(9) lgkmcnt(1)
	v_mul_f64 v[185:186], v[2:3], v[28:29]
	v_mul_f64 v[28:29], v[4:5], v[28:29]
	v_add_f64 v[166:167], v[166:167], v[189:190]
	v_add_f64 v[170:171], v[170:171], v[181:182]
	s_waitcnt vmcnt(8) lgkmcnt(0)
	v_mul_f64 v[181:182], v[6:7], v[32:33]
	v_mul_f64 v[32:33], v[8:9], v[32:33]
	;; [unrolled: 18-line block ×6, first 2 shown]
	v_fma_f64 v[183:184], v[4:5], v[18:19], v[183:184]
	v_fma_f64 v[189:190], v[2:3], v[18:19], -v[20:21]
	ds_load_b128 v[2:5], v1 offset:1584
	scratch_load_b128 v[18:21], off, off offset:800
	v_add_f64 v[166:167], v[166:167], v[187:188]
	v_add_f64 v[170:171], v[170:171], v[181:182]
	v_fma_f64 v[185:186], v[8:9], v[22:23], v[185:186]
	v_fma_f64 v[187:188], v[6:7], v[22:23], -v[24:25]
	ds_load_b128 v[6:9], v1 offset:1600
	s_waitcnt vmcnt(8) lgkmcnt(1)
	v_mul_f64 v[181:182], v[2:3], v[28:29]
	v_mul_f64 v[28:29], v[4:5], v[28:29]
	scratch_load_b128 v[22:25], off, off offset:816
	v_add_f64 v[166:167], v[166:167], v[189:190]
	v_add_f64 v[170:171], v[170:171], v[183:184]
	s_waitcnt vmcnt(8) lgkmcnt(0)
	v_mul_f64 v[183:184], v[6:7], v[32:33]
	v_mul_f64 v[32:33], v[8:9], v[32:33]
	v_fma_f64 v[181:182], v[4:5], v[26:27], v[181:182]
	v_fma_f64 v[189:190], v[2:3], v[26:27], -v[28:29]
	scratch_load_b128 v[26:29], off, off offset:832
	ds_load_b128 v[2:5], v1 offset:1616
	v_add_f64 v[166:167], v[166:167], v[187:188]
	v_add_f64 v[170:171], v[170:171], v[185:186]
	v_fma_f64 v[183:184], v[8:9], v[30:31], v[183:184]
	v_fma_f64 v[187:188], v[6:7], v[30:31], -v[32:33]
	ds_load_b128 v[6:9], v1 offset:1632
	s_waitcnt vmcnt(8) lgkmcnt(1)
	v_mul_f64 v[185:186], v[2:3], v[36:37]
	v_mul_f64 v[36:37], v[4:5], v[36:37]
	scratch_load_b128 v[30:33], off, off offset:848
	v_add_f64 v[166:167], v[166:167], v[189:190]
	v_add_f64 v[170:171], v[170:171], v[181:182]
	s_waitcnt vmcnt(8) lgkmcnt(0)
	v_mul_f64 v[181:182], v[6:7], v[179:180]
	v_mul_f64 v[179:180], v[8:9], v[179:180]
	v_fma_f64 v[185:186], v[4:5], v[34:35], v[185:186]
	v_fma_f64 v[189:190], v[2:3], v[34:35], -v[36:37]
	scratch_load_b128 v[34:37], off, off offset:864
	ds_load_b128 v[2:5], v1 offset:1648
	;; [unrolled: 18-line block ×3, first 2 shown]
	v_add_f64 v[166:167], v[166:167], v[187:188]
	v_add_f64 v[170:171], v[170:171], v[181:182]
	v_fma_f64 v[185:186], v[8:9], v[173:174], v[185:186]
	v_fma_f64 v[173:174], v[6:7], v[173:174], -v[175:176]
	ds_load_b128 v[6:9], v1 offset:1696
	s_waitcnt vmcnt(8) lgkmcnt(1)
	v_mul_f64 v[181:182], v[2:3], v[12:13]
	v_mul_f64 v[12:13], v[4:5], v[12:13]
	s_waitcnt vmcnt(7) lgkmcnt(0)
	v_mul_f64 v[175:176], v[6:7], v[16:17]
	v_mul_f64 v[16:17], v[8:9], v[16:17]
	v_add_f64 v[166:167], v[166:167], v[189:190]
	v_add_f64 v[170:171], v[170:171], v[183:184]
	v_fma_f64 v[181:182], v[4:5], v[10:11], v[181:182]
	v_fma_f64 v[10:11], v[2:3], v[10:11], -v[12:13]
	ds_load_b128 v[2:5], v1 offset:1712
	v_add_f64 v[12:13], v[166:167], v[173:174]
	v_add_f64 v[166:167], v[170:171], v[185:186]
	v_fma_f64 v[173:174], v[8:9], v[14:15], v[175:176]
	v_fma_f64 v[14:15], v[6:7], v[14:15], -v[16:17]
	ds_load_b128 v[6:9], v1 offset:1728
	s_waitcnt vmcnt(5) lgkmcnt(0)
	v_mul_f64 v[175:176], v[6:7], v[24:25]
	v_mul_f64 v[24:25], v[8:9], v[24:25]
	v_add_f64 v[16:17], v[12:13], v[10:11]
	v_add_f64 v[166:167], v[166:167], v[181:182]
	scratch_load_b128 v[10:13], off, off offset:400
	v_mul_f64 v[170:171], v[2:3], v[20:21]
	v_mul_f64 v[20:21], v[4:5], v[20:21]
	v_add_f64 v[14:15], v[16:17], v[14:15]
	v_add_f64 v[16:17], v[166:167], v[173:174]
	v_fma_f64 v[166:167], v[8:9], v[22:23], v[175:176]
	v_fma_f64 v[170:171], v[4:5], v[18:19], v[170:171]
	v_fma_f64 v[18:19], v[2:3], v[18:19], -v[20:21]
	ds_load_b128 v[2:5], v1 offset:1744
	v_fma_f64 v[22:23], v[6:7], v[22:23], -v[24:25]
	ds_load_b128 v[6:9], v1 offset:1760
	s_waitcnt vmcnt(5) lgkmcnt(1)
	v_mul_f64 v[20:21], v[2:3], v[28:29]
	v_mul_f64 v[28:29], v[4:5], v[28:29]
	s_waitcnt vmcnt(4) lgkmcnt(0)
	v_mul_f64 v[24:25], v[8:9], v[32:33]
	v_add_f64 v[16:17], v[16:17], v[170:171]
	v_add_f64 v[14:15], v[14:15], v[18:19]
	v_mul_f64 v[18:19], v[6:7], v[32:33]
	v_fma_f64 v[20:21], v[4:5], v[26:27], v[20:21]
	v_fma_f64 v[26:27], v[2:3], v[26:27], -v[28:29]
	ds_load_b128 v[2:5], v1 offset:1776
	v_fma_f64 v[24:25], v[6:7], v[30:31], -v[24:25]
	v_add_f64 v[16:17], v[16:17], v[166:167]
	v_add_f64 v[14:15], v[14:15], v[22:23]
	v_fma_f64 v[18:19], v[8:9], v[30:31], v[18:19]
	ds_load_b128 v[6:9], v1 offset:1792
	s_waitcnt vmcnt(3) lgkmcnt(1)
	v_mul_f64 v[22:23], v[2:3], v[36:37]
	v_mul_f64 v[28:29], v[4:5], v[36:37]
	v_add_f64 v[16:17], v[16:17], v[20:21]
	v_add_f64 v[14:15], v[14:15], v[26:27]
	s_waitcnt vmcnt(2) lgkmcnt(0)
	v_mul_f64 v[20:21], v[6:7], v[179:180]
	v_mul_f64 v[26:27], v[8:9], v[179:180]
	v_fma_f64 v[22:23], v[4:5], v[34:35], v[22:23]
	v_fma_f64 v[28:29], v[2:3], v[34:35], -v[28:29]
	ds_load_b128 v[2:5], v1 offset:1808
	v_add_f64 v[16:17], v[16:17], v[18:19]
	v_add_f64 v[14:15], v[14:15], v[24:25]
	s_waitcnt vmcnt(1) lgkmcnt(0)
	v_mul_f64 v[18:19], v[2:3], v[40:41]
	v_mul_f64 v[24:25], v[4:5], v[40:41]
	v_fma_f64 v[8:9], v[8:9], v[177:178], v[20:21]
	v_fma_f64 v[6:7], v[6:7], v[177:178], -v[26:27]
	v_add_f64 v[16:17], v[16:17], v[22:23]
	v_add_f64 v[14:15], v[14:15], v[28:29]
	v_fma_f64 v[4:5], v[4:5], v[38:39], v[18:19]
	v_fma_f64 v[2:3], v[2:3], v[38:39], -v[24:25]
	s_delay_alu instid0(VALU_DEP_4) | instskip(NEXT) | instid1(VALU_DEP_4)
	v_add_f64 v[8:9], v[16:17], v[8:9]
	v_add_f64 v[6:7], v[14:15], v[6:7]
	s_delay_alu instid0(VALU_DEP_2) | instskip(NEXT) | instid1(VALU_DEP_2)
	v_add_f64 v[4:5], v[8:9], v[4:5]
	v_add_f64 v[2:3], v[6:7], v[2:3]
	s_waitcnt vmcnt(0)
	s_delay_alu instid0(VALU_DEP_2) | instskip(NEXT) | instid1(VALU_DEP_2)
	v_add_f64 v[4:5], v[12:13], -v[4:5]
	v_add_f64 v[2:3], v[10:11], -v[2:3]
	scratch_store_b128 off, v[2:5], off offset:400
	v_cmpx_lt_u32_e32 24, v156
	s_cbranch_execz .LBB120_307
; %bb.306:
	scratch_load_b128 v[5:8], v253, off
	v_mov_b32_e32 v2, v1
	v_mov_b32_e32 v3, v1
	;; [unrolled: 1-line block ×3, first 2 shown]
	scratch_store_b128 off, v[1:4], off offset:384
	s_waitcnt vmcnt(0)
	ds_store_b128 v213, v[5:8]
.LBB120_307:
	s_or_b32 exec_lo, exec_lo, s2
	s_waitcnt lgkmcnt(0)
	s_waitcnt_vscnt null, 0x0
	s_barrier
	buffer_gl0_inv
	s_clause 0x7
	scratch_load_b128 v[2:5], off, off offset:400
	scratch_load_b128 v[6:9], off, off offset:416
	;; [unrolled: 1-line block ×8, first 2 shown]
	ds_load_b128 v[38:41], v1 offset:1312
	ds_load_b128 v[173:176], v1 offset:1328
	s_clause 0x1
	scratch_load_b128 v[34:37], off, off offset:528
	scratch_load_b128 v[177:180], off, off offset:544
	s_mov_b32 s2, exec_lo
	s_waitcnt vmcnt(9) lgkmcnt(1)
	v_mul_f64 v[166:167], v[40:41], v[4:5]
	v_mul_f64 v[4:5], v[38:39], v[4:5]
	s_waitcnt vmcnt(8) lgkmcnt(0)
	v_mul_f64 v[170:171], v[173:174], v[8:9]
	v_mul_f64 v[8:9], v[175:176], v[8:9]
	s_delay_alu instid0(VALU_DEP_4) | instskip(NEXT) | instid1(VALU_DEP_4)
	v_fma_f64 v[166:167], v[38:39], v[2:3], -v[166:167]
	v_fma_f64 v[181:182], v[40:41], v[2:3], v[4:5]
	ds_load_b128 v[2:5], v1 offset:1344
	scratch_load_b128 v[38:41], off, off offset:560
	v_fma_f64 v[170:171], v[175:176], v[6:7], v[170:171]
	v_fma_f64 v[185:186], v[173:174], v[6:7], -v[8:9]
	scratch_load_b128 v[173:176], off, off offset:576
	ds_load_b128 v[6:9], v1 offset:1360
	s_waitcnt vmcnt(9) lgkmcnt(1)
	v_mul_f64 v[183:184], v[2:3], v[12:13]
	v_mul_f64 v[12:13], v[4:5], v[12:13]
	s_waitcnt vmcnt(8) lgkmcnt(0)
	v_mul_f64 v[187:188], v[6:7], v[16:17]
	v_mul_f64 v[16:17], v[8:9], v[16:17]
	v_add_f64 v[166:167], v[166:167], 0
	v_add_f64 v[181:182], v[181:182], 0
	v_fma_f64 v[183:184], v[4:5], v[10:11], v[183:184]
	v_fma_f64 v[189:190], v[2:3], v[10:11], -v[12:13]
	ds_load_b128 v[2:5], v1 offset:1376
	scratch_load_b128 v[10:13], off, off offset:592
	v_add_f64 v[166:167], v[166:167], v[185:186]
	v_add_f64 v[170:171], v[181:182], v[170:171]
	v_fma_f64 v[185:186], v[8:9], v[14:15], v[187:188]
	v_fma_f64 v[187:188], v[6:7], v[14:15], -v[16:17]
	scratch_load_b128 v[14:17], off, off offset:608
	ds_load_b128 v[6:9], v1 offset:1392
	s_waitcnt vmcnt(9) lgkmcnt(1)
	v_mul_f64 v[181:182], v[2:3], v[20:21]
	v_mul_f64 v[20:21], v[4:5], v[20:21]
	v_add_f64 v[166:167], v[166:167], v[189:190]
	v_add_f64 v[170:171], v[170:171], v[183:184]
	s_waitcnt vmcnt(8) lgkmcnt(0)
	v_mul_f64 v[183:184], v[6:7], v[24:25]
	v_mul_f64 v[24:25], v[8:9], v[24:25]
	v_fma_f64 v[181:182], v[4:5], v[18:19], v[181:182]
	v_fma_f64 v[189:190], v[2:3], v[18:19], -v[20:21]
	ds_load_b128 v[2:5], v1 offset:1408
	scratch_load_b128 v[18:21], off, off offset:624
	v_add_f64 v[166:167], v[166:167], v[187:188]
	v_add_f64 v[170:171], v[170:171], v[185:186]
	v_fma_f64 v[183:184], v[8:9], v[22:23], v[183:184]
	v_fma_f64 v[187:188], v[6:7], v[22:23], -v[24:25]
	scratch_load_b128 v[22:25], off, off offset:640
	ds_load_b128 v[6:9], v1 offset:1424
	s_waitcnt vmcnt(9) lgkmcnt(1)
	v_mul_f64 v[185:186], v[2:3], v[28:29]
	v_mul_f64 v[28:29], v[4:5], v[28:29]
	v_add_f64 v[166:167], v[166:167], v[189:190]
	v_add_f64 v[170:171], v[170:171], v[181:182]
	s_waitcnt vmcnt(8) lgkmcnt(0)
	v_mul_f64 v[181:182], v[6:7], v[32:33]
	v_mul_f64 v[32:33], v[8:9], v[32:33]
	v_fma_f64 v[185:186], v[4:5], v[26:27], v[185:186]
	v_fma_f64 v[189:190], v[2:3], v[26:27], -v[28:29]
	ds_load_b128 v[2:5], v1 offset:1440
	scratch_load_b128 v[26:29], off, off offset:656
	v_add_f64 v[166:167], v[166:167], v[187:188]
	v_add_f64 v[170:171], v[170:171], v[183:184]
	v_fma_f64 v[181:182], v[8:9], v[30:31], v[181:182]
	v_fma_f64 v[187:188], v[6:7], v[30:31], -v[32:33]
	scratch_load_b128 v[30:33], off, off offset:672
	ds_load_b128 v[6:9], v1 offset:1456
	s_waitcnt vmcnt(9) lgkmcnt(1)
	v_mul_f64 v[183:184], v[2:3], v[36:37]
	v_mul_f64 v[36:37], v[4:5], v[36:37]
	v_add_f64 v[166:167], v[166:167], v[189:190]
	v_add_f64 v[170:171], v[170:171], v[185:186]
	s_waitcnt vmcnt(8) lgkmcnt(0)
	v_mul_f64 v[185:186], v[6:7], v[179:180]
	v_mul_f64 v[179:180], v[8:9], v[179:180]
	v_fma_f64 v[183:184], v[4:5], v[34:35], v[183:184]
	v_fma_f64 v[189:190], v[2:3], v[34:35], -v[36:37]
	ds_load_b128 v[2:5], v1 offset:1472
	scratch_load_b128 v[34:37], off, off offset:688
	v_add_f64 v[166:167], v[166:167], v[187:188]
	v_add_f64 v[170:171], v[170:171], v[181:182]
	v_fma_f64 v[185:186], v[8:9], v[177:178], v[185:186]
	v_fma_f64 v[187:188], v[6:7], v[177:178], -v[179:180]
	scratch_load_b128 v[177:180], off, off offset:704
	ds_load_b128 v[6:9], v1 offset:1488
	s_waitcnt vmcnt(9) lgkmcnt(1)
	v_mul_f64 v[181:182], v[2:3], v[40:41]
	v_mul_f64 v[40:41], v[4:5], v[40:41]
	v_add_f64 v[166:167], v[166:167], v[189:190]
	v_add_f64 v[170:171], v[170:171], v[183:184]
	s_waitcnt vmcnt(8) lgkmcnt(0)
	v_mul_f64 v[183:184], v[6:7], v[175:176]
	v_mul_f64 v[175:176], v[8:9], v[175:176]
	v_fma_f64 v[181:182], v[4:5], v[38:39], v[181:182]
	v_fma_f64 v[189:190], v[2:3], v[38:39], -v[40:41]
	ds_load_b128 v[2:5], v1 offset:1504
	scratch_load_b128 v[38:41], off, off offset:720
	v_add_f64 v[166:167], v[166:167], v[187:188]
	v_add_f64 v[170:171], v[170:171], v[185:186]
	v_fma_f64 v[183:184], v[8:9], v[173:174], v[183:184]
	v_fma_f64 v[187:188], v[6:7], v[173:174], -v[175:176]
	scratch_load_b128 v[173:176], off, off offset:736
	ds_load_b128 v[6:9], v1 offset:1520
	s_waitcnt vmcnt(9) lgkmcnt(1)
	v_mul_f64 v[185:186], v[2:3], v[12:13]
	v_mul_f64 v[12:13], v[4:5], v[12:13]
	v_add_f64 v[166:167], v[166:167], v[189:190]
	v_add_f64 v[170:171], v[170:171], v[181:182]
	s_waitcnt vmcnt(8) lgkmcnt(0)
	v_mul_f64 v[181:182], v[6:7], v[16:17]
	v_mul_f64 v[16:17], v[8:9], v[16:17]
	v_fma_f64 v[185:186], v[4:5], v[10:11], v[185:186]
	v_fma_f64 v[189:190], v[2:3], v[10:11], -v[12:13]
	ds_load_b128 v[2:5], v1 offset:1536
	scratch_load_b128 v[10:13], off, off offset:752
	v_add_f64 v[166:167], v[166:167], v[187:188]
	v_add_f64 v[170:171], v[170:171], v[183:184]
	v_fma_f64 v[181:182], v[8:9], v[14:15], v[181:182]
	v_fma_f64 v[187:188], v[6:7], v[14:15], -v[16:17]
	scratch_load_b128 v[14:17], off, off offset:768
	ds_load_b128 v[6:9], v1 offset:1552
	s_waitcnt vmcnt(9) lgkmcnt(1)
	v_mul_f64 v[183:184], v[2:3], v[20:21]
	v_mul_f64 v[20:21], v[4:5], v[20:21]
	v_add_f64 v[166:167], v[166:167], v[189:190]
	v_add_f64 v[170:171], v[170:171], v[185:186]
	s_waitcnt vmcnt(8) lgkmcnt(0)
	v_mul_f64 v[185:186], v[6:7], v[24:25]
	v_mul_f64 v[24:25], v[8:9], v[24:25]
	v_fma_f64 v[183:184], v[4:5], v[18:19], v[183:184]
	v_fma_f64 v[189:190], v[2:3], v[18:19], -v[20:21]
	ds_load_b128 v[2:5], v1 offset:1568
	scratch_load_b128 v[18:21], off, off offset:784
	v_add_f64 v[166:167], v[166:167], v[187:188]
	v_add_f64 v[170:171], v[170:171], v[181:182]
	v_fma_f64 v[185:186], v[8:9], v[22:23], v[185:186]
	v_fma_f64 v[187:188], v[6:7], v[22:23], -v[24:25]
	ds_load_b128 v[6:9], v1 offset:1584
	s_waitcnt vmcnt(8) lgkmcnt(1)
	v_mul_f64 v[181:182], v[2:3], v[28:29]
	v_mul_f64 v[28:29], v[4:5], v[28:29]
	scratch_load_b128 v[22:25], off, off offset:800
	v_add_f64 v[166:167], v[166:167], v[189:190]
	v_add_f64 v[170:171], v[170:171], v[183:184]
	s_waitcnt vmcnt(8) lgkmcnt(0)
	v_mul_f64 v[183:184], v[6:7], v[32:33]
	v_mul_f64 v[32:33], v[8:9], v[32:33]
	v_fma_f64 v[181:182], v[4:5], v[26:27], v[181:182]
	v_fma_f64 v[189:190], v[2:3], v[26:27], -v[28:29]
	ds_load_b128 v[2:5], v1 offset:1600
	scratch_load_b128 v[26:29], off, off offset:816
	v_add_f64 v[166:167], v[166:167], v[187:188]
	v_add_f64 v[170:171], v[170:171], v[185:186]
	v_fma_f64 v[183:184], v[8:9], v[30:31], v[183:184]
	v_fma_f64 v[187:188], v[6:7], v[30:31], -v[32:33]
	ds_load_b128 v[6:9], v1 offset:1616
	s_waitcnt vmcnt(8) lgkmcnt(1)
	v_mul_f64 v[185:186], v[2:3], v[36:37]
	v_mul_f64 v[36:37], v[4:5], v[36:37]
	scratch_load_b128 v[30:33], off, off offset:832
	v_add_f64 v[166:167], v[166:167], v[189:190]
	v_add_f64 v[170:171], v[170:171], v[181:182]
	s_waitcnt vmcnt(8) lgkmcnt(0)
	v_mul_f64 v[181:182], v[6:7], v[179:180]
	v_mul_f64 v[179:180], v[8:9], v[179:180]
	v_fma_f64 v[185:186], v[4:5], v[34:35], v[185:186]
	v_fma_f64 v[189:190], v[2:3], v[34:35], -v[36:37]
	scratch_load_b128 v[34:37], off, off offset:848
	ds_load_b128 v[2:5], v1 offset:1632
	v_add_f64 v[166:167], v[166:167], v[187:188]
	v_add_f64 v[170:171], v[170:171], v[183:184]
	v_fma_f64 v[181:182], v[8:9], v[177:178], v[181:182]
	v_fma_f64 v[187:188], v[6:7], v[177:178], -v[179:180]
	ds_load_b128 v[6:9], v1 offset:1648
	s_waitcnt vmcnt(8) lgkmcnt(1)
	v_mul_f64 v[183:184], v[2:3], v[40:41]
	v_mul_f64 v[40:41], v[4:5], v[40:41]
	scratch_load_b128 v[177:180], off, off offset:864
	v_add_f64 v[166:167], v[166:167], v[189:190]
	v_add_f64 v[170:171], v[170:171], v[185:186]
	s_waitcnt vmcnt(8) lgkmcnt(0)
	v_mul_f64 v[185:186], v[6:7], v[175:176]
	v_mul_f64 v[175:176], v[8:9], v[175:176]
	v_fma_f64 v[183:184], v[4:5], v[38:39], v[183:184]
	v_fma_f64 v[189:190], v[2:3], v[38:39], -v[40:41]
	scratch_load_b128 v[38:41], off, off offset:880
	ds_load_b128 v[2:5], v1 offset:1664
	v_add_f64 v[166:167], v[166:167], v[187:188]
	v_add_f64 v[170:171], v[170:171], v[181:182]
	v_fma_f64 v[185:186], v[8:9], v[173:174], v[185:186]
	v_fma_f64 v[187:188], v[6:7], v[173:174], -v[175:176]
	ds_load_b128 v[6:9], v1 offset:1680
	s_waitcnt vmcnt(8) lgkmcnt(1)
	v_mul_f64 v[181:182], v[2:3], v[12:13]
	v_mul_f64 v[12:13], v[4:5], v[12:13]
	scratch_load_b128 v[173:176], off, off offset:896
	v_add_f64 v[166:167], v[166:167], v[189:190]
	v_add_f64 v[170:171], v[170:171], v[183:184]
	s_waitcnt vmcnt(8) lgkmcnt(0)
	v_mul_f64 v[183:184], v[6:7], v[16:17]
	v_mul_f64 v[16:17], v[8:9], v[16:17]
	v_fma_f64 v[181:182], v[4:5], v[10:11], v[181:182]
	v_fma_f64 v[10:11], v[2:3], v[10:11], -v[12:13]
	ds_load_b128 v[2:5], v1 offset:1696
	v_add_f64 v[12:13], v[166:167], v[187:188]
	v_add_f64 v[166:167], v[170:171], v[185:186]
	v_fma_f64 v[183:184], v[8:9], v[14:15], v[183:184]
	v_fma_f64 v[14:15], v[6:7], v[14:15], -v[16:17]
	ds_load_b128 v[6:9], v1 offset:1712
	s_waitcnt vmcnt(7) lgkmcnt(1)
	v_mul_f64 v[170:171], v[2:3], v[20:21]
	v_mul_f64 v[20:21], v[4:5], v[20:21]
	v_add_f64 v[10:11], v[12:13], v[10:11]
	v_add_f64 v[12:13], v[166:167], v[181:182]
	s_delay_alu instid0(VALU_DEP_4) | instskip(NEXT) | instid1(VALU_DEP_4)
	v_fma_f64 v[166:167], v[4:5], v[18:19], v[170:171]
	v_fma_f64 v[18:19], v[2:3], v[18:19], -v[20:21]
	ds_load_b128 v[2:5], v1 offset:1728
	v_add_f64 v[14:15], v[10:11], v[14:15]
	v_add_f64 v[20:21], v[12:13], v[183:184]
	scratch_load_b128 v[10:13], off, off offset:384
	s_waitcnt vmcnt(7) lgkmcnt(1)
	v_mul_f64 v[16:17], v[6:7], v[24:25]
	v_mul_f64 v[24:25], v[8:9], v[24:25]
	v_add_f64 v[14:15], v[14:15], v[18:19]
	v_add_f64 v[18:19], v[20:21], v[166:167]
	s_delay_alu instid0(VALU_DEP_4) | instskip(NEXT) | instid1(VALU_DEP_4)
	v_fma_f64 v[16:17], v[8:9], v[22:23], v[16:17]
	v_fma_f64 v[22:23], v[6:7], v[22:23], -v[24:25]
	ds_load_b128 v[6:9], v1 offset:1744
	s_waitcnt vmcnt(6) lgkmcnt(1)
	v_mul_f64 v[170:171], v[2:3], v[28:29]
	v_mul_f64 v[28:29], v[4:5], v[28:29]
	s_waitcnt vmcnt(5) lgkmcnt(0)
	v_mul_f64 v[20:21], v[6:7], v[32:33]
	v_mul_f64 v[24:25], v[8:9], v[32:33]
	v_add_f64 v[16:17], v[18:19], v[16:17]
	v_add_f64 v[14:15], v[14:15], v[22:23]
	v_fma_f64 v[32:33], v[4:5], v[26:27], v[170:171]
	v_fma_f64 v[26:27], v[2:3], v[26:27], -v[28:29]
	ds_load_b128 v[2:5], v1 offset:1760
	v_fma_f64 v[20:21], v[8:9], v[30:31], v[20:21]
	v_fma_f64 v[24:25], v[6:7], v[30:31], -v[24:25]
	ds_load_b128 v[6:9], v1 offset:1776
	s_waitcnt vmcnt(4) lgkmcnt(1)
	v_mul_f64 v[18:19], v[2:3], v[36:37]
	v_mul_f64 v[22:23], v[4:5], v[36:37]
	v_add_f64 v[16:17], v[16:17], v[32:33]
	v_add_f64 v[14:15], v[14:15], v[26:27]
	s_waitcnt vmcnt(3) lgkmcnt(0)
	v_mul_f64 v[26:27], v[6:7], v[179:180]
	v_mul_f64 v[28:29], v[8:9], v[179:180]
	v_fma_f64 v[18:19], v[4:5], v[34:35], v[18:19]
	v_fma_f64 v[22:23], v[2:3], v[34:35], -v[22:23]
	ds_load_b128 v[2:5], v1 offset:1792
	v_add_f64 v[16:17], v[16:17], v[20:21]
	v_add_f64 v[14:15], v[14:15], v[24:25]
	v_fma_f64 v[26:27], v[8:9], v[177:178], v[26:27]
	v_fma_f64 v[28:29], v[6:7], v[177:178], -v[28:29]
	ds_load_b128 v[6:9], v1 offset:1808
	s_waitcnt vmcnt(2) lgkmcnt(1)
	v_mul_f64 v[20:21], v[2:3], v[40:41]
	v_mul_f64 v[24:25], v[4:5], v[40:41]
	v_add_f64 v[16:17], v[16:17], v[18:19]
	v_add_f64 v[14:15], v[14:15], v[22:23]
	s_waitcnt vmcnt(1) lgkmcnt(0)
	v_mul_f64 v[18:19], v[6:7], v[175:176]
	v_mul_f64 v[22:23], v[8:9], v[175:176]
	v_fma_f64 v[4:5], v[4:5], v[38:39], v[20:21]
	v_fma_f64 v[1:2], v[2:3], v[38:39], -v[24:25]
	v_add_f64 v[16:17], v[16:17], v[26:27]
	v_add_f64 v[14:15], v[14:15], v[28:29]
	v_fma_f64 v[8:9], v[8:9], v[173:174], v[18:19]
	v_fma_f64 v[6:7], v[6:7], v[173:174], -v[22:23]
	s_delay_alu instid0(VALU_DEP_4) | instskip(NEXT) | instid1(VALU_DEP_4)
	v_add_f64 v[3:4], v[16:17], v[4:5]
	v_add_f64 v[1:2], v[14:15], v[1:2]
	s_delay_alu instid0(VALU_DEP_2) | instskip(NEXT) | instid1(VALU_DEP_2)
	v_add_f64 v[3:4], v[3:4], v[8:9]
	v_add_f64 v[1:2], v[1:2], v[6:7]
	s_waitcnt vmcnt(0)
	s_delay_alu instid0(VALU_DEP_2) | instskip(NEXT) | instid1(VALU_DEP_2)
	v_add_f64 v[3:4], v[12:13], -v[3:4]
	v_add_f64 v[1:2], v[10:11], -v[1:2]
	scratch_store_b128 off, v[1:4], off offset:384
	v_cmpx_lt_u32_e32 23, v156
	s_cbranch_execz .LBB120_309
; %bb.308:
	scratch_load_b128 v[1:4], v254, off
	v_mov_b32_e32 v5, 0
	s_delay_alu instid0(VALU_DEP_1)
	v_mov_b32_e32 v6, v5
	v_mov_b32_e32 v7, v5
	;; [unrolled: 1-line block ×3, first 2 shown]
	scratch_store_b128 off, v[5:8], off offset:368
	s_waitcnt vmcnt(0)
	ds_store_b128 v213, v[1:4]
.LBB120_309:
	s_or_b32 exec_lo, exec_lo, s2
	s_waitcnt lgkmcnt(0)
	s_waitcnt_vscnt null, 0x0
	s_barrier
	buffer_gl0_inv
	s_clause 0x7
	scratch_load_b128 v[2:5], off, off offset:384
	scratch_load_b128 v[6:9], off, off offset:400
	;; [unrolled: 1-line block ×8, first 2 shown]
	v_mov_b32_e32 v1, 0
	s_clause 0x1
	scratch_load_b128 v[34:37], off, off offset:512
	scratch_load_b128 v[177:180], off, off offset:528
	s_mov_b32 s2, exec_lo
	ds_load_b128 v[38:41], v1 offset:1296
	ds_load_b128 v[173:176], v1 offset:1312
	s_waitcnt vmcnt(9) lgkmcnt(1)
	v_mul_f64 v[166:167], v[40:41], v[4:5]
	v_mul_f64 v[4:5], v[38:39], v[4:5]
	s_waitcnt vmcnt(8) lgkmcnt(0)
	v_mul_f64 v[170:171], v[173:174], v[8:9]
	v_mul_f64 v[8:9], v[175:176], v[8:9]
	s_delay_alu instid0(VALU_DEP_4) | instskip(NEXT) | instid1(VALU_DEP_4)
	v_fma_f64 v[166:167], v[38:39], v[2:3], -v[166:167]
	v_fma_f64 v[181:182], v[40:41], v[2:3], v[4:5]
	ds_load_b128 v[2:5], v1 offset:1328
	scratch_load_b128 v[38:41], off, off offset:544
	v_fma_f64 v[170:171], v[175:176], v[6:7], v[170:171]
	v_fma_f64 v[185:186], v[173:174], v[6:7], -v[8:9]
	scratch_load_b128 v[173:176], off, off offset:560
	ds_load_b128 v[6:9], v1 offset:1344
	s_waitcnt vmcnt(9) lgkmcnt(1)
	v_mul_f64 v[183:184], v[2:3], v[12:13]
	v_mul_f64 v[12:13], v[4:5], v[12:13]
	s_waitcnt vmcnt(8) lgkmcnt(0)
	v_mul_f64 v[187:188], v[6:7], v[16:17]
	v_mul_f64 v[16:17], v[8:9], v[16:17]
	v_add_f64 v[166:167], v[166:167], 0
	v_add_f64 v[181:182], v[181:182], 0
	v_fma_f64 v[183:184], v[4:5], v[10:11], v[183:184]
	v_fma_f64 v[189:190], v[2:3], v[10:11], -v[12:13]
	ds_load_b128 v[2:5], v1 offset:1360
	scratch_load_b128 v[10:13], off, off offset:576
	v_add_f64 v[166:167], v[166:167], v[185:186]
	v_add_f64 v[170:171], v[181:182], v[170:171]
	v_fma_f64 v[185:186], v[8:9], v[14:15], v[187:188]
	v_fma_f64 v[187:188], v[6:7], v[14:15], -v[16:17]
	scratch_load_b128 v[14:17], off, off offset:592
	ds_load_b128 v[6:9], v1 offset:1376
	s_waitcnt vmcnt(9) lgkmcnt(1)
	v_mul_f64 v[181:182], v[2:3], v[20:21]
	v_mul_f64 v[20:21], v[4:5], v[20:21]
	v_add_f64 v[166:167], v[166:167], v[189:190]
	v_add_f64 v[170:171], v[170:171], v[183:184]
	s_waitcnt vmcnt(8) lgkmcnt(0)
	v_mul_f64 v[183:184], v[6:7], v[24:25]
	v_mul_f64 v[24:25], v[8:9], v[24:25]
	v_fma_f64 v[181:182], v[4:5], v[18:19], v[181:182]
	v_fma_f64 v[189:190], v[2:3], v[18:19], -v[20:21]
	ds_load_b128 v[2:5], v1 offset:1392
	scratch_load_b128 v[18:21], off, off offset:608
	v_add_f64 v[166:167], v[166:167], v[187:188]
	v_add_f64 v[170:171], v[170:171], v[185:186]
	v_fma_f64 v[183:184], v[8:9], v[22:23], v[183:184]
	v_fma_f64 v[187:188], v[6:7], v[22:23], -v[24:25]
	scratch_load_b128 v[22:25], off, off offset:624
	ds_load_b128 v[6:9], v1 offset:1408
	s_waitcnt vmcnt(9) lgkmcnt(1)
	v_mul_f64 v[185:186], v[2:3], v[28:29]
	v_mul_f64 v[28:29], v[4:5], v[28:29]
	v_add_f64 v[166:167], v[166:167], v[189:190]
	v_add_f64 v[170:171], v[170:171], v[181:182]
	s_waitcnt vmcnt(8) lgkmcnt(0)
	v_mul_f64 v[181:182], v[6:7], v[32:33]
	v_mul_f64 v[32:33], v[8:9], v[32:33]
	;; [unrolled: 18-line block ×7, first 2 shown]
	v_fma_f64 v[181:182], v[4:5], v[26:27], v[181:182]
	v_fma_f64 v[189:190], v[2:3], v[26:27], -v[28:29]
	ds_load_b128 v[2:5], v1 offset:1584
	scratch_load_b128 v[26:29], off, off offset:800
	v_add_f64 v[166:167], v[166:167], v[187:188]
	v_add_f64 v[170:171], v[170:171], v[185:186]
	v_fma_f64 v[183:184], v[8:9], v[30:31], v[183:184]
	v_fma_f64 v[187:188], v[6:7], v[30:31], -v[32:33]
	ds_load_b128 v[6:9], v1 offset:1600
	s_waitcnt vmcnt(8) lgkmcnt(1)
	v_mul_f64 v[185:186], v[2:3], v[36:37]
	v_mul_f64 v[36:37], v[4:5], v[36:37]
	scratch_load_b128 v[30:33], off, off offset:816
	v_add_f64 v[166:167], v[166:167], v[189:190]
	v_add_f64 v[170:171], v[170:171], v[181:182]
	s_waitcnt vmcnt(8) lgkmcnt(0)
	v_mul_f64 v[181:182], v[6:7], v[179:180]
	v_mul_f64 v[179:180], v[8:9], v[179:180]
	v_fma_f64 v[185:186], v[4:5], v[34:35], v[185:186]
	v_fma_f64 v[189:190], v[2:3], v[34:35], -v[36:37]
	scratch_load_b128 v[34:37], off, off offset:832
	ds_load_b128 v[2:5], v1 offset:1616
	v_add_f64 v[166:167], v[166:167], v[187:188]
	v_add_f64 v[170:171], v[170:171], v[183:184]
	v_fma_f64 v[181:182], v[8:9], v[177:178], v[181:182]
	v_fma_f64 v[187:188], v[6:7], v[177:178], -v[179:180]
	ds_load_b128 v[6:9], v1 offset:1632
	s_waitcnt vmcnt(8) lgkmcnt(1)
	v_mul_f64 v[183:184], v[2:3], v[40:41]
	v_mul_f64 v[40:41], v[4:5], v[40:41]
	scratch_load_b128 v[177:180], off, off offset:848
	v_add_f64 v[166:167], v[166:167], v[189:190]
	v_add_f64 v[170:171], v[170:171], v[185:186]
	s_waitcnt vmcnt(8) lgkmcnt(0)
	v_mul_f64 v[185:186], v[6:7], v[175:176]
	v_mul_f64 v[175:176], v[8:9], v[175:176]
	v_fma_f64 v[183:184], v[4:5], v[38:39], v[183:184]
	v_fma_f64 v[189:190], v[2:3], v[38:39], -v[40:41]
	scratch_load_b128 v[38:41], off, off offset:864
	ds_load_b128 v[2:5], v1 offset:1648
	;; [unrolled: 18-line block ×3, first 2 shown]
	v_add_f64 v[166:167], v[166:167], v[187:188]
	v_add_f64 v[170:171], v[170:171], v[185:186]
	v_fma_f64 v[183:184], v[8:9], v[14:15], v[183:184]
	v_fma_f64 v[14:15], v[6:7], v[14:15], -v[16:17]
	ds_load_b128 v[6:9], v1 offset:1696
	s_waitcnt vmcnt(8) lgkmcnt(1)
	v_mul_f64 v[185:186], v[2:3], v[20:21]
	v_mul_f64 v[20:21], v[4:5], v[20:21]
	v_add_f64 v[16:17], v[166:167], v[189:190]
	v_add_f64 v[166:167], v[170:171], v[181:182]
	s_waitcnt vmcnt(7) lgkmcnt(0)
	v_mul_f64 v[170:171], v[6:7], v[24:25]
	v_mul_f64 v[24:25], v[8:9], v[24:25]
	v_fma_f64 v[181:182], v[4:5], v[18:19], v[185:186]
	v_fma_f64 v[18:19], v[2:3], v[18:19], -v[20:21]
	ds_load_b128 v[2:5], v1 offset:1712
	v_add_f64 v[14:15], v[16:17], v[14:15]
	v_add_f64 v[16:17], v[166:167], v[183:184]
	v_fma_f64 v[166:167], v[8:9], v[22:23], v[170:171]
	v_fma_f64 v[22:23], v[6:7], v[22:23], -v[24:25]
	ds_load_b128 v[6:9], v1 offset:1728
	s_waitcnt vmcnt(5) lgkmcnt(0)
	v_mul_f64 v[170:171], v[6:7], v[32:33]
	v_mul_f64 v[32:33], v[8:9], v[32:33]
	v_add_f64 v[18:19], v[14:15], v[18:19]
	v_add_f64 v[24:25], v[16:17], v[181:182]
	scratch_load_b128 v[14:17], off, off offset:368
	v_mul_f64 v[20:21], v[2:3], v[28:29]
	v_mul_f64 v[28:29], v[4:5], v[28:29]
	v_add_f64 v[18:19], v[18:19], v[22:23]
	v_add_f64 v[22:23], v[24:25], v[166:167]
	s_delay_alu instid0(VALU_DEP_4) | instskip(NEXT) | instid1(VALU_DEP_4)
	v_fma_f64 v[20:21], v[4:5], v[26:27], v[20:21]
	v_fma_f64 v[26:27], v[2:3], v[26:27], -v[28:29]
	ds_load_b128 v[2:5], v1 offset:1744
	s_waitcnt vmcnt(5) lgkmcnt(0)
	v_mul_f64 v[24:25], v[2:3], v[36:37]
	v_mul_f64 v[28:29], v[4:5], v[36:37]
	v_fma_f64 v[36:37], v[8:9], v[30:31], v[170:171]
	v_fma_f64 v[30:31], v[6:7], v[30:31], -v[32:33]
	ds_load_b128 v[6:9], v1 offset:1760
	v_add_f64 v[20:21], v[22:23], v[20:21]
	v_add_f64 v[18:19], v[18:19], v[26:27]
	v_fma_f64 v[24:25], v[4:5], v[34:35], v[24:25]
	v_fma_f64 v[28:29], v[2:3], v[34:35], -v[28:29]
	ds_load_b128 v[2:5], v1 offset:1776
	s_waitcnt vmcnt(4) lgkmcnt(1)
	v_mul_f64 v[22:23], v[6:7], v[179:180]
	v_mul_f64 v[26:27], v[8:9], v[179:180]
	v_add_f64 v[20:21], v[20:21], v[36:37]
	v_add_f64 v[18:19], v[18:19], v[30:31]
	s_waitcnt vmcnt(3) lgkmcnt(0)
	v_mul_f64 v[30:31], v[2:3], v[40:41]
	v_mul_f64 v[32:33], v[4:5], v[40:41]
	v_fma_f64 v[22:23], v[8:9], v[177:178], v[22:23]
	v_fma_f64 v[26:27], v[6:7], v[177:178], -v[26:27]
	ds_load_b128 v[6:9], v1 offset:1792
	v_add_f64 v[20:21], v[20:21], v[24:25]
	v_add_f64 v[18:19], v[18:19], v[28:29]
	v_fma_f64 v[30:31], v[4:5], v[38:39], v[30:31]
	v_fma_f64 v[32:33], v[2:3], v[38:39], -v[32:33]
	ds_load_b128 v[2:5], v1 offset:1808
	s_waitcnt vmcnt(2) lgkmcnt(1)
	v_mul_f64 v[24:25], v[6:7], v[175:176]
	v_mul_f64 v[28:29], v[8:9], v[175:176]
	v_add_f64 v[20:21], v[20:21], v[22:23]
	v_add_f64 v[18:19], v[18:19], v[26:27]
	s_waitcnt vmcnt(1) lgkmcnt(0)
	v_mul_f64 v[22:23], v[2:3], v[12:13]
	v_mul_f64 v[12:13], v[4:5], v[12:13]
	v_fma_f64 v[8:9], v[8:9], v[173:174], v[24:25]
	v_fma_f64 v[6:7], v[6:7], v[173:174], -v[28:29]
	v_add_f64 v[20:21], v[20:21], v[30:31]
	v_add_f64 v[18:19], v[18:19], v[32:33]
	v_fma_f64 v[4:5], v[4:5], v[10:11], v[22:23]
	v_fma_f64 v[2:3], v[2:3], v[10:11], -v[12:13]
	s_delay_alu instid0(VALU_DEP_4) | instskip(NEXT) | instid1(VALU_DEP_4)
	v_add_f64 v[8:9], v[20:21], v[8:9]
	v_add_f64 v[6:7], v[18:19], v[6:7]
	s_delay_alu instid0(VALU_DEP_2) | instskip(NEXT) | instid1(VALU_DEP_2)
	v_add_f64 v[4:5], v[8:9], v[4:5]
	v_add_f64 v[2:3], v[6:7], v[2:3]
	s_waitcnt vmcnt(0)
	s_delay_alu instid0(VALU_DEP_2) | instskip(NEXT) | instid1(VALU_DEP_2)
	v_add_f64 v[4:5], v[16:17], -v[4:5]
	v_add_f64 v[2:3], v[14:15], -v[2:3]
	scratch_store_b128 off, v[2:5], off offset:368
	v_cmpx_lt_u32_e32 22, v156
	s_cbranch_execz .LBB120_311
; %bb.310:
	scratch_load_b128 v[5:8], v255, off
	v_mov_b32_e32 v2, v1
	v_mov_b32_e32 v3, v1
	v_mov_b32_e32 v4, v1
	scratch_store_b128 off, v[1:4], off offset:352
	s_waitcnt vmcnt(0)
	ds_store_b128 v213, v[5:8]
.LBB120_311:
	s_or_b32 exec_lo, exec_lo, s2
	s_waitcnt lgkmcnt(0)
	s_waitcnt_vscnt null, 0x0
	s_barrier
	buffer_gl0_inv
	s_clause 0x7
	scratch_load_b128 v[2:5], off, off offset:368
	scratch_load_b128 v[6:9], off, off offset:384
	;; [unrolled: 1-line block ×8, first 2 shown]
	ds_load_b128 v[38:41], v1 offset:1280
	ds_load_b128 v[173:176], v1 offset:1296
	s_clause 0x1
	scratch_load_b128 v[34:37], off, off offset:496
	scratch_load_b128 v[177:180], off, off offset:512
	s_mov_b32 s2, exec_lo
	s_waitcnt vmcnt(9) lgkmcnt(1)
	v_mul_f64 v[166:167], v[40:41], v[4:5]
	v_mul_f64 v[4:5], v[38:39], v[4:5]
	s_waitcnt vmcnt(8) lgkmcnt(0)
	v_mul_f64 v[170:171], v[173:174], v[8:9]
	v_mul_f64 v[8:9], v[175:176], v[8:9]
	s_delay_alu instid0(VALU_DEP_4) | instskip(NEXT) | instid1(VALU_DEP_4)
	v_fma_f64 v[166:167], v[38:39], v[2:3], -v[166:167]
	v_fma_f64 v[181:182], v[40:41], v[2:3], v[4:5]
	ds_load_b128 v[2:5], v1 offset:1312
	scratch_load_b128 v[38:41], off, off offset:528
	v_fma_f64 v[170:171], v[175:176], v[6:7], v[170:171]
	v_fma_f64 v[185:186], v[173:174], v[6:7], -v[8:9]
	scratch_load_b128 v[173:176], off, off offset:544
	ds_load_b128 v[6:9], v1 offset:1328
	s_waitcnt vmcnt(9) lgkmcnt(1)
	v_mul_f64 v[183:184], v[2:3], v[12:13]
	v_mul_f64 v[12:13], v[4:5], v[12:13]
	s_waitcnt vmcnt(8) lgkmcnt(0)
	v_mul_f64 v[187:188], v[6:7], v[16:17]
	v_mul_f64 v[16:17], v[8:9], v[16:17]
	v_add_f64 v[166:167], v[166:167], 0
	v_add_f64 v[181:182], v[181:182], 0
	v_fma_f64 v[183:184], v[4:5], v[10:11], v[183:184]
	v_fma_f64 v[189:190], v[2:3], v[10:11], -v[12:13]
	ds_load_b128 v[2:5], v1 offset:1344
	scratch_load_b128 v[10:13], off, off offset:560
	v_add_f64 v[166:167], v[166:167], v[185:186]
	v_add_f64 v[170:171], v[181:182], v[170:171]
	v_fma_f64 v[185:186], v[8:9], v[14:15], v[187:188]
	v_fma_f64 v[187:188], v[6:7], v[14:15], -v[16:17]
	scratch_load_b128 v[14:17], off, off offset:576
	ds_load_b128 v[6:9], v1 offset:1360
	s_waitcnt vmcnt(9) lgkmcnt(1)
	v_mul_f64 v[181:182], v[2:3], v[20:21]
	v_mul_f64 v[20:21], v[4:5], v[20:21]
	v_add_f64 v[166:167], v[166:167], v[189:190]
	v_add_f64 v[170:171], v[170:171], v[183:184]
	s_waitcnt vmcnt(8) lgkmcnt(0)
	v_mul_f64 v[183:184], v[6:7], v[24:25]
	v_mul_f64 v[24:25], v[8:9], v[24:25]
	v_fma_f64 v[181:182], v[4:5], v[18:19], v[181:182]
	v_fma_f64 v[189:190], v[2:3], v[18:19], -v[20:21]
	ds_load_b128 v[2:5], v1 offset:1376
	scratch_load_b128 v[18:21], off, off offset:592
	v_add_f64 v[166:167], v[166:167], v[187:188]
	v_add_f64 v[170:171], v[170:171], v[185:186]
	v_fma_f64 v[183:184], v[8:9], v[22:23], v[183:184]
	v_fma_f64 v[187:188], v[6:7], v[22:23], -v[24:25]
	scratch_load_b128 v[22:25], off, off offset:608
	ds_load_b128 v[6:9], v1 offset:1392
	s_waitcnt vmcnt(9) lgkmcnt(1)
	v_mul_f64 v[185:186], v[2:3], v[28:29]
	v_mul_f64 v[28:29], v[4:5], v[28:29]
	v_add_f64 v[166:167], v[166:167], v[189:190]
	v_add_f64 v[170:171], v[170:171], v[181:182]
	s_waitcnt vmcnt(8) lgkmcnt(0)
	v_mul_f64 v[181:182], v[6:7], v[32:33]
	v_mul_f64 v[32:33], v[8:9], v[32:33]
	;; [unrolled: 18-line block ×7, first 2 shown]
	v_fma_f64 v[181:182], v[4:5], v[26:27], v[181:182]
	v_fma_f64 v[189:190], v[2:3], v[26:27], -v[28:29]
	ds_load_b128 v[2:5], v1 offset:1568
	scratch_load_b128 v[26:29], off, off offset:784
	v_add_f64 v[166:167], v[166:167], v[187:188]
	v_add_f64 v[170:171], v[170:171], v[185:186]
	v_fma_f64 v[183:184], v[8:9], v[30:31], v[183:184]
	v_fma_f64 v[187:188], v[6:7], v[30:31], -v[32:33]
	ds_load_b128 v[6:9], v1 offset:1584
	s_waitcnt vmcnt(8) lgkmcnt(1)
	v_mul_f64 v[185:186], v[2:3], v[36:37]
	v_mul_f64 v[36:37], v[4:5], v[36:37]
	scratch_load_b128 v[30:33], off, off offset:800
	v_add_f64 v[166:167], v[166:167], v[189:190]
	v_add_f64 v[170:171], v[170:171], v[181:182]
	s_waitcnt vmcnt(8) lgkmcnt(0)
	v_mul_f64 v[181:182], v[6:7], v[179:180]
	v_mul_f64 v[179:180], v[8:9], v[179:180]
	v_fma_f64 v[185:186], v[4:5], v[34:35], v[185:186]
	v_fma_f64 v[189:190], v[2:3], v[34:35], -v[36:37]
	ds_load_b128 v[2:5], v1 offset:1600
	scratch_load_b128 v[34:37], off, off offset:816
	v_add_f64 v[166:167], v[166:167], v[187:188]
	v_add_f64 v[170:171], v[170:171], v[183:184]
	v_fma_f64 v[181:182], v[8:9], v[177:178], v[181:182]
	v_fma_f64 v[187:188], v[6:7], v[177:178], -v[179:180]
	ds_load_b128 v[6:9], v1 offset:1616
	s_waitcnt vmcnt(8) lgkmcnt(1)
	v_mul_f64 v[183:184], v[2:3], v[40:41]
	v_mul_f64 v[40:41], v[4:5], v[40:41]
	scratch_load_b128 v[177:180], off, off offset:832
	v_add_f64 v[166:167], v[166:167], v[189:190]
	v_add_f64 v[170:171], v[170:171], v[185:186]
	s_waitcnt vmcnt(8) lgkmcnt(0)
	v_mul_f64 v[185:186], v[6:7], v[175:176]
	v_mul_f64 v[175:176], v[8:9], v[175:176]
	v_fma_f64 v[183:184], v[4:5], v[38:39], v[183:184]
	v_fma_f64 v[189:190], v[2:3], v[38:39], -v[40:41]
	scratch_load_b128 v[38:41], off, off offset:848
	ds_load_b128 v[2:5], v1 offset:1632
	v_add_f64 v[166:167], v[166:167], v[187:188]
	v_add_f64 v[170:171], v[170:171], v[181:182]
	v_fma_f64 v[185:186], v[8:9], v[173:174], v[185:186]
	v_fma_f64 v[187:188], v[6:7], v[173:174], -v[175:176]
	ds_load_b128 v[6:9], v1 offset:1648
	s_waitcnt vmcnt(8) lgkmcnt(1)
	v_mul_f64 v[181:182], v[2:3], v[12:13]
	v_mul_f64 v[12:13], v[4:5], v[12:13]
	scratch_load_b128 v[173:176], off, off offset:864
	v_add_f64 v[166:167], v[166:167], v[189:190]
	v_add_f64 v[170:171], v[170:171], v[183:184]
	s_waitcnt vmcnt(8) lgkmcnt(0)
	v_mul_f64 v[183:184], v[6:7], v[16:17]
	v_mul_f64 v[16:17], v[8:9], v[16:17]
	v_fma_f64 v[181:182], v[4:5], v[10:11], v[181:182]
	v_fma_f64 v[189:190], v[2:3], v[10:11], -v[12:13]
	scratch_load_b128 v[10:13], off, off offset:880
	ds_load_b128 v[2:5], v1 offset:1664
	v_add_f64 v[166:167], v[166:167], v[187:188]
	v_add_f64 v[170:171], v[170:171], v[185:186]
	v_fma_f64 v[183:184], v[8:9], v[14:15], v[183:184]
	v_fma_f64 v[187:188], v[6:7], v[14:15], -v[16:17]
	ds_load_b128 v[6:9], v1 offset:1680
	s_waitcnt vmcnt(8) lgkmcnt(1)
	v_mul_f64 v[185:186], v[2:3], v[20:21]
	v_mul_f64 v[20:21], v[4:5], v[20:21]
	scratch_load_b128 v[14:17], off, off offset:896
	v_add_f64 v[166:167], v[166:167], v[189:190]
	v_add_f64 v[170:171], v[170:171], v[181:182]
	s_waitcnt vmcnt(8) lgkmcnt(0)
	v_mul_f64 v[181:182], v[6:7], v[24:25]
	v_mul_f64 v[24:25], v[8:9], v[24:25]
	v_fma_f64 v[185:186], v[4:5], v[18:19], v[185:186]
	v_fma_f64 v[18:19], v[2:3], v[18:19], -v[20:21]
	ds_load_b128 v[2:5], v1 offset:1696
	v_add_f64 v[20:21], v[166:167], v[187:188]
	v_add_f64 v[166:167], v[170:171], v[183:184]
	v_fma_f64 v[181:182], v[8:9], v[22:23], v[181:182]
	v_fma_f64 v[22:23], v[6:7], v[22:23], -v[24:25]
	ds_load_b128 v[6:9], v1 offset:1712
	s_waitcnt vmcnt(7) lgkmcnt(1)
	v_mul_f64 v[170:171], v[2:3], v[28:29]
	v_mul_f64 v[28:29], v[4:5], v[28:29]
	v_add_f64 v[18:19], v[20:21], v[18:19]
	v_add_f64 v[20:21], v[166:167], v[185:186]
	s_delay_alu instid0(VALU_DEP_4) | instskip(NEXT) | instid1(VALU_DEP_4)
	v_fma_f64 v[166:167], v[4:5], v[26:27], v[170:171]
	v_fma_f64 v[26:27], v[2:3], v[26:27], -v[28:29]
	ds_load_b128 v[2:5], v1 offset:1728
	v_add_f64 v[22:23], v[18:19], v[22:23]
	v_add_f64 v[28:29], v[20:21], v[181:182]
	scratch_load_b128 v[18:21], off, off offset:352
	s_waitcnt vmcnt(7) lgkmcnt(1)
	v_mul_f64 v[24:25], v[6:7], v[32:33]
	v_mul_f64 v[32:33], v[8:9], v[32:33]
	v_add_f64 v[22:23], v[22:23], v[26:27]
	v_add_f64 v[26:27], v[28:29], v[166:167]
	s_delay_alu instid0(VALU_DEP_4) | instskip(NEXT) | instid1(VALU_DEP_4)
	v_fma_f64 v[24:25], v[8:9], v[30:31], v[24:25]
	v_fma_f64 v[30:31], v[6:7], v[30:31], -v[32:33]
	ds_load_b128 v[6:9], v1 offset:1744
	s_waitcnt vmcnt(6) lgkmcnt(1)
	v_mul_f64 v[170:171], v[2:3], v[36:37]
	v_mul_f64 v[36:37], v[4:5], v[36:37]
	s_waitcnt vmcnt(5) lgkmcnt(0)
	v_mul_f64 v[28:29], v[6:7], v[179:180]
	v_mul_f64 v[32:33], v[8:9], v[179:180]
	v_add_f64 v[24:25], v[26:27], v[24:25]
	v_add_f64 v[22:23], v[22:23], v[30:31]
	v_fma_f64 v[166:167], v[4:5], v[34:35], v[170:171]
	v_fma_f64 v[34:35], v[2:3], v[34:35], -v[36:37]
	ds_load_b128 v[2:5], v1 offset:1760
	v_fma_f64 v[28:29], v[8:9], v[177:178], v[28:29]
	v_fma_f64 v[32:33], v[6:7], v[177:178], -v[32:33]
	ds_load_b128 v[6:9], v1 offset:1776
	s_waitcnt vmcnt(4) lgkmcnt(1)
	v_mul_f64 v[26:27], v[2:3], v[40:41]
	v_mul_f64 v[30:31], v[4:5], v[40:41]
	v_add_f64 v[24:25], v[24:25], v[166:167]
	v_add_f64 v[22:23], v[22:23], v[34:35]
	s_waitcnt vmcnt(3) lgkmcnt(0)
	v_mul_f64 v[34:35], v[6:7], v[175:176]
	v_mul_f64 v[36:37], v[8:9], v[175:176]
	v_fma_f64 v[26:27], v[4:5], v[38:39], v[26:27]
	v_fma_f64 v[30:31], v[2:3], v[38:39], -v[30:31]
	ds_load_b128 v[2:5], v1 offset:1792
	v_add_f64 v[24:25], v[24:25], v[28:29]
	v_add_f64 v[22:23], v[22:23], v[32:33]
	v_fma_f64 v[32:33], v[8:9], v[173:174], v[34:35]
	v_fma_f64 v[34:35], v[6:7], v[173:174], -v[36:37]
	ds_load_b128 v[6:9], v1 offset:1808
	s_waitcnt vmcnt(2) lgkmcnt(1)
	v_mul_f64 v[28:29], v[2:3], v[12:13]
	v_mul_f64 v[12:13], v[4:5], v[12:13]
	v_add_f64 v[24:25], v[24:25], v[26:27]
	v_add_f64 v[22:23], v[22:23], v[30:31]
	s_waitcnt vmcnt(1) lgkmcnt(0)
	v_mul_f64 v[26:27], v[6:7], v[16:17]
	v_mul_f64 v[16:17], v[8:9], v[16:17]
	v_fma_f64 v[4:5], v[4:5], v[10:11], v[28:29]
	v_fma_f64 v[1:2], v[2:3], v[10:11], -v[12:13]
	v_add_f64 v[12:13], v[24:25], v[32:33]
	v_add_f64 v[10:11], v[22:23], v[34:35]
	v_fma_f64 v[8:9], v[8:9], v[14:15], v[26:27]
	v_fma_f64 v[6:7], v[6:7], v[14:15], -v[16:17]
	s_delay_alu instid0(VALU_DEP_4) | instskip(NEXT) | instid1(VALU_DEP_4)
	v_add_f64 v[3:4], v[12:13], v[4:5]
	v_add_f64 v[1:2], v[10:11], v[1:2]
	s_delay_alu instid0(VALU_DEP_2) | instskip(NEXT) | instid1(VALU_DEP_2)
	v_add_f64 v[3:4], v[3:4], v[8:9]
	v_add_f64 v[1:2], v[1:2], v[6:7]
	s_waitcnt vmcnt(0)
	s_delay_alu instid0(VALU_DEP_2) | instskip(NEXT) | instid1(VALU_DEP_2)
	v_add_f64 v[3:4], v[20:21], -v[3:4]
	v_add_f64 v[1:2], v[18:19], -v[1:2]
	scratch_store_b128 off, v[1:4], off offset:352
	v_cmpx_lt_u32_e32 21, v156
	s_cbranch_execz .LBB120_313
; %bb.312:
	scratch_load_b128 v[1:4], v161, off
	v_mov_b32_e32 v5, 0
	s_delay_alu instid0(VALU_DEP_1)
	v_mov_b32_e32 v6, v5
	v_mov_b32_e32 v7, v5
	;; [unrolled: 1-line block ×3, first 2 shown]
	scratch_store_b128 off, v[5:8], off offset:336
	s_waitcnt vmcnt(0)
	ds_store_b128 v213, v[1:4]
.LBB120_313:
	s_or_b32 exec_lo, exec_lo, s2
	s_waitcnt lgkmcnt(0)
	s_waitcnt_vscnt null, 0x0
	s_barrier
	buffer_gl0_inv
	s_clause 0x7
	scratch_load_b128 v[2:5], off, off offset:352
	scratch_load_b128 v[6:9], off, off offset:368
	;; [unrolled: 1-line block ×8, first 2 shown]
	v_mov_b32_e32 v1, 0
	s_clause 0x1
	scratch_load_b128 v[34:37], off, off offset:480
	scratch_load_b128 v[177:180], off, off offset:496
	s_mov_b32 s2, exec_lo
	ds_load_b128 v[38:41], v1 offset:1264
	ds_load_b128 v[173:176], v1 offset:1280
	s_waitcnt vmcnt(9) lgkmcnt(1)
	v_mul_f64 v[166:167], v[40:41], v[4:5]
	v_mul_f64 v[4:5], v[38:39], v[4:5]
	s_waitcnt vmcnt(8) lgkmcnt(0)
	v_mul_f64 v[170:171], v[173:174], v[8:9]
	v_mul_f64 v[8:9], v[175:176], v[8:9]
	s_delay_alu instid0(VALU_DEP_4) | instskip(NEXT) | instid1(VALU_DEP_4)
	v_fma_f64 v[166:167], v[38:39], v[2:3], -v[166:167]
	v_fma_f64 v[181:182], v[40:41], v[2:3], v[4:5]
	ds_load_b128 v[2:5], v1 offset:1296
	scratch_load_b128 v[38:41], off, off offset:512
	v_fma_f64 v[170:171], v[175:176], v[6:7], v[170:171]
	v_fma_f64 v[185:186], v[173:174], v[6:7], -v[8:9]
	scratch_load_b128 v[173:176], off, off offset:528
	ds_load_b128 v[6:9], v1 offset:1312
	s_waitcnt vmcnt(9) lgkmcnt(1)
	v_mul_f64 v[183:184], v[2:3], v[12:13]
	v_mul_f64 v[12:13], v[4:5], v[12:13]
	s_waitcnt vmcnt(8) lgkmcnt(0)
	v_mul_f64 v[187:188], v[6:7], v[16:17]
	v_mul_f64 v[16:17], v[8:9], v[16:17]
	v_add_f64 v[166:167], v[166:167], 0
	v_add_f64 v[181:182], v[181:182], 0
	v_fma_f64 v[183:184], v[4:5], v[10:11], v[183:184]
	v_fma_f64 v[189:190], v[2:3], v[10:11], -v[12:13]
	ds_load_b128 v[2:5], v1 offset:1328
	scratch_load_b128 v[10:13], off, off offset:544
	v_add_f64 v[166:167], v[166:167], v[185:186]
	v_add_f64 v[170:171], v[181:182], v[170:171]
	v_fma_f64 v[185:186], v[8:9], v[14:15], v[187:188]
	v_fma_f64 v[187:188], v[6:7], v[14:15], -v[16:17]
	scratch_load_b128 v[14:17], off, off offset:560
	ds_load_b128 v[6:9], v1 offset:1344
	s_waitcnt vmcnt(9) lgkmcnt(1)
	v_mul_f64 v[181:182], v[2:3], v[20:21]
	v_mul_f64 v[20:21], v[4:5], v[20:21]
	v_add_f64 v[166:167], v[166:167], v[189:190]
	v_add_f64 v[170:171], v[170:171], v[183:184]
	s_waitcnt vmcnt(8) lgkmcnt(0)
	v_mul_f64 v[183:184], v[6:7], v[24:25]
	v_mul_f64 v[24:25], v[8:9], v[24:25]
	v_fma_f64 v[181:182], v[4:5], v[18:19], v[181:182]
	v_fma_f64 v[189:190], v[2:3], v[18:19], -v[20:21]
	ds_load_b128 v[2:5], v1 offset:1360
	scratch_load_b128 v[18:21], off, off offset:576
	v_add_f64 v[166:167], v[166:167], v[187:188]
	v_add_f64 v[170:171], v[170:171], v[185:186]
	v_fma_f64 v[183:184], v[8:9], v[22:23], v[183:184]
	v_fma_f64 v[187:188], v[6:7], v[22:23], -v[24:25]
	scratch_load_b128 v[22:25], off, off offset:592
	ds_load_b128 v[6:9], v1 offset:1376
	s_waitcnt vmcnt(9) lgkmcnt(1)
	v_mul_f64 v[185:186], v[2:3], v[28:29]
	v_mul_f64 v[28:29], v[4:5], v[28:29]
	v_add_f64 v[166:167], v[166:167], v[189:190]
	v_add_f64 v[170:171], v[170:171], v[181:182]
	s_waitcnt vmcnt(8) lgkmcnt(0)
	v_mul_f64 v[181:182], v[6:7], v[32:33]
	v_mul_f64 v[32:33], v[8:9], v[32:33]
	;; [unrolled: 18-line block ×8, first 2 shown]
	v_fma_f64 v[185:186], v[4:5], v[34:35], v[185:186]
	v_fma_f64 v[189:190], v[2:3], v[34:35], -v[36:37]
	ds_load_b128 v[2:5], v1 offset:1584
	scratch_load_b128 v[34:37], off, off offset:800
	v_add_f64 v[166:167], v[166:167], v[187:188]
	v_add_f64 v[170:171], v[170:171], v[183:184]
	v_fma_f64 v[181:182], v[8:9], v[177:178], v[181:182]
	v_fma_f64 v[187:188], v[6:7], v[177:178], -v[179:180]
	ds_load_b128 v[6:9], v1 offset:1600
	s_waitcnt vmcnt(8) lgkmcnt(1)
	v_mul_f64 v[183:184], v[2:3], v[40:41]
	v_mul_f64 v[40:41], v[4:5], v[40:41]
	scratch_load_b128 v[177:180], off, off offset:816
	v_add_f64 v[166:167], v[166:167], v[189:190]
	v_add_f64 v[170:171], v[170:171], v[185:186]
	s_waitcnt vmcnt(8) lgkmcnt(0)
	v_mul_f64 v[185:186], v[6:7], v[175:176]
	v_mul_f64 v[175:176], v[8:9], v[175:176]
	v_fma_f64 v[183:184], v[4:5], v[38:39], v[183:184]
	v_fma_f64 v[189:190], v[2:3], v[38:39], -v[40:41]
	scratch_load_b128 v[38:41], off, off offset:832
	ds_load_b128 v[2:5], v1 offset:1616
	v_add_f64 v[166:167], v[166:167], v[187:188]
	v_add_f64 v[170:171], v[170:171], v[181:182]
	v_fma_f64 v[185:186], v[8:9], v[173:174], v[185:186]
	v_fma_f64 v[187:188], v[6:7], v[173:174], -v[175:176]
	ds_load_b128 v[6:9], v1 offset:1632
	s_waitcnt vmcnt(8) lgkmcnt(1)
	v_mul_f64 v[181:182], v[2:3], v[12:13]
	v_mul_f64 v[12:13], v[4:5], v[12:13]
	scratch_load_b128 v[173:176], off, off offset:848
	v_add_f64 v[166:167], v[166:167], v[189:190]
	v_add_f64 v[170:171], v[170:171], v[183:184]
	s_waitcnt vmcnt(8) lgkmcnt(0)
	v_mul_f64 v[183:184], v[6:7], v[16:17]
	v_mul_f64 v[16:17], v[8:9], v[16:17]
	v_fma_f64 v[181:182], v[4:5], v[10:11], v[181:182]
	v_fma_f64 v[189:190], v[2:3], v[10:11], -v[12:13]
	scratch_load_b128 v[10:13], off, off offset:864
	ds_load_b128 v[2:5], v1 offset:1648
	;; [unrolled: 18-line block ×3, first 2 shown]
	v_add_f64 v[166:167], v[166:167], v[187:188]
	v_add_f64 v[170:171], v[170:171], v[183:184]
	v_fma_f64 v[181:182], v[8:9], v[22:23], v[181:182]
	v_fma_f64 v[22:23], v[6:7], v[22:23], -v[24:25]
	ds_load_b128 v[6:9], v1 offset:1696
	s_waitcnt vmcnt(8) lgkmcnt(1)
	v_mul_f64 v[183:184], v[2:3], v[28:29]
	v_mul_f64 v[28:29], v[4:5], v[28:29]
	v_add_f64 v[24:25], v[166:167], v[189:190]
	v_add_f64 v[166:167], v[170:171], v[185:186]
	s_waitcnt vmcnt(7) lgkmcnt(0)
	v_mul_f64 v[170:171], v[6:7], v[32:33]
	v_mul_f64 v[32:33], v[8:9], v[32:33]
	v_fma_f64 v[183:184], v[4:5], v[26:27], v[183:184]
	v_fma_f64 v[26:27], v[2:3], v[26:27], -v[28:29]
	ds_load_b128 v[2:5], v1 offset:1712
	v_add_f64 v[22:23], v[24:25], v[22:23]
	v_add_f64 v[24:25], v[166:167], v[181:182]
	v_fma_f64 v[166:167], v[8:9], v[30:31], v[170:171]
	v_fma_f64 v[30:31], v[6:7], v[30:31], -v[32:33]
	ds_load_b128 v[6:9], v1 offset:1728
	s_waitcnt vmcnt(5) lgkmcnt(0)
	v_mul_f64 v[170:171], v[6:7], v[179:180]
	v_mul_f64 v[179:180], v[8:9], v[179:180]
	v_add_f64 v[26:27], v[22:23], v[26:27]
	v_add_f64 v[32:33], v[24:25], v[183:184]
	scratch_load_b128 v[22:25], off, off offset:336
	v_mul_f64 v[28:29], v[2:3], v[36:37]
	v_mul_f64 v[36:37], v[4:5], v[36:37]
	v_add_f64 v[26:27], v[26:27], v[30:31]
	v_add_f64 v[30:31], v[32:33], v[166:167]
	v_fma_f64 v[166:167], v[6:7], v[177:178], -v[179:180]
	v_fma_f64 v[28:29], v[4:5], v[34:35], v[28:29]
	v_fma_f64 v[34:35], v[2:3], v[34:35], -v[36:37]
	ds_load_b128 v[2:5], v1 offset:1744
	s_waitcnt vmcnt(5) lgkmcnt(0)
	v_mul_f64 v[32:33], v[2:3], v[40:41]
	v_mul_f64 v[36:37], v[4:5], v[40:41]
	v_fma_f64 v[40:41], v[8:9], v[177:178], v[170:171]
	ds_load_b128 v[6:9], v1 offset:1760
	v_add_f64 v[28:29], v[30:31], v[28:29]
	v_add_f64 v[26:27], v[26:27], v[34:35]
	v_fma_f64 v[32:33], v[4:5], v[38:39], v[32:33]
	v_fma_f64 v[36:37], v[2:3], v[38:39], -v[36:37]
	ds_load_b128 v[2:5], v1 offset:1776
	s_waitcnt vmcnt(4) lgkmcnt(1)
	v_mul_f64 v[30:31], v[6:7], v[175:176]
	v_mul_f64 v[34:35], v[8:9], v[175:176]
	v_add_f64 v[28:29], v[28:29], v[40:41]
	v_add_f64 v[26:27], v[26:27], v[166:167]
	s_waitcnt vmcnt(3) lgkmcnt(0)
	v_mul_f64 v[38:39], v[2:3], v[12:13]
	v_mul_f64 v[12:13], v[4:5], v[12:13]
	v_fma_f64 v[30:31], v[8:9], v[173:174], v[30:31]
	v_fma_f64 v[34:35], v[6:7], v[173:174], -v[34:35]
	ds_load_b128 v[6:9], v1 offset:1792
	v_add_f64 v[28:29], v[28:29], v[32:33]
	v_add_f64 v[26:27], v[26:27], v[36:37]
	v_fma_f64 v[36:37], v[4:5], v[10:11], v[38:39]
	v_fma_f64 v[10:11], v[2:3], v[10:11], -v[12:13]
	ds_load_b128 v[2:5], v1 offset:1808
	s_waitcnt vmcnt(2) lgkmcnt(1)
	v_mul_f64 v[32:33], v[6:7], v[16:17]
	v_mul_f64 v[16:17], v[8:9], v[16:17]
	v_add_f64 v[12:13], v[26:27], v[34:35]
	v_add_f64 v[26:27], v[28:29], v[30:31]
	s_waitcnt vmcnt(1) lgkmcnt(0)
	v_mul_f64 v[28:29], v[2:3], v[20:21]
	v_mul_f64 v[20:21], v[4:5], v[20:21]
	v_fma_f64 v[8:9], v[8:9], v[14:15], v[32:33]
	v_fma_f64 v[6:7], v[6:7], v[14:15], -v[16:17]
	v_add_f64 v[10:11], v[12:13], v[10:11]
	v_add_f64 v[12:13], v[26:27], v[36:37]
	v_fma_f64 v[4:5], v[4:5], v[18:19], v[28:29]
	v_fma_f64 v[2:3], v[2:3], v[18:19], -v[20:21]
	s_delay_alu instid0(VALU_DEP_4) | instskip(NEXT) | instid1(VALU_DEP_4)
	v_add_f64 v[6:7], v[10:11], v[6:7]
	v_add_f64 v[8:9], v[12:13], v[8:9]
	s_delay_alu instid0(VALU_DEP_2) | instskip(NEXT) | instid1(VALU_DEP_2)
	v_add_f64 v[2:3], v[6:7], v[2:3]
	v_add_f64 v[4:5], v[8:9], v[4:5]
	s_waitcnt vmcnt(0)
	s_delay_alu instid0(VALU_DEP_2) | instskip(NEXT) | instid1(VALU_DEP_2)
	v_add_f64 v[2:3], v[22:23], -v[2:3]
	v_add_f64 v[4:5], v[24:25], -v[4:5]
	scratch_store_b128 off, v[2:5], off offset:336
	v_cmpx_lt_u32_e32 20, v156
	s_cbranch_execz .LBB120_315
; %bb.314:
	scratch_load_b128 v[5:8], v214, off
	v_mov_b32_e32 v2, v1
	v_mov_b32_e32 v3, v1
	;; [unrolled: 1-line block ×3, first 2 shown]
	scratch_store_b128 off, v[1:4], off offset:320
	s_waitcnt vmcnt(0)
	ds_store_b128 v213, v[5:8]
.LBB120_315:
	s_or_b32 exec_lo, exec_lo, s2
	s_waitcnt lgkmcnt(0)
	s_waitcnt_vscnt null, 0x0
	s_barrier
	buffer_gl0_inv
	s_clause 0x7
	scratch_load_b128 v[2:5], off, off offset:336
	scratch_load_b128 v[6:9], off, off offset:352
	scratch_load_b128 v[10:13], off, off offset:368
	scratch_load_b128 v[14:17], off, off offset:384
	scratch_load_b128 v[18:21], off, off offset:400
	scratch_load_b128 v[22:25], off, off offset:416
	scratch_load_b128 v[26:29], off, off offset:432
	scratch_load_b128 v[30:33], off, off offset:448
	ds_load_b128 v[38:41], v1 offset:1248
	ds_load_b128 v[173:176], v1 offset:1264
	s_clause 0x1
	scratch_load_b128 v[34:37], off, off offset:464
	scratch_load_b128 v[177:180], off, off offset:480
	s_mov_b32 s2, exec_lo
	s_waitcnt vmcnt(9) lgkmcnt(1)
	v_mul_f64 v[166:167], v[40:41], v[4:5]
	v_mul_f64 v[4:5], v[38:39], v[4:5]
	s_waitcnt vmcnt(8) lgkmcnt(0)
	v_mul_f64 v[170:171], v[173:174], v[8:9]
	v_mul_f64 v[8:9], v[175:176], v[8:9]
	s_delay_alu instid0(VALU_DEP_4) | instskip(NEXT) | instid1(VALU_DEP_4)
	v_fma_f64 v[166:167], v[38:39], v[2:3], -v[166:167]
	v_fma_f64 v[181:182], v[40:41], v[2:3], v[4:5]
	ds_load_b128 v[2:5], v1 offset:1280
	scratch_load_b128 v[38:41], off, off offset:496
	v_fma_f64 v[170:171], v[175:176], v[6:7], v[170:171]
	v_fma_f64 v[185:186], v[173:174], v[6:7], -v[8:9]
	scratch_load_b128 v[173:176], off, off offset:512
	ds_load_b128 v[6:9], v1 offset:1296
	s_waitcnt vmcnt(9) lgkmcnt(1)
	v_mul_f64 v[183:184], v[2:3], v[12:13]
	v_mul_f64 v[12:13], v[4:5], v[12:13]
	s_waitcnt vmcnt(8) lgkmcnt(0)
	v_mul_f64 v[187:188], v[6:7], v[16:17]
	v_mul_f64 v[16:17], v[8:9], v[16:17]
	v_add_f64 v[166:167], v[166:167], 0
	v_add_f64 v[181:182], v[181:182], 0
	v_fma_f64 v[183:184], v[4:5], v[10:11], v[183:184]
	v_fma_f64 v[189:190], v[2:3], v[10:11], -v[12:13]
	ds_load_b128 v[2:5], v1 offset:1312
	scratch_load_b128 v[10:13], off, off offset:528
	v_add_f64 v[166:167], v[166:167], v[185:186]
	v_add_f64 v[170:171], v[181:182], v[170:171]
	v_fma_f64 v[185:186], v[8:9], v[14:15], v[187:188]
	v_fma_f64 v[187:188], v[6:7], v[14:15], -v[16:17]
	scratch_load_b128 v[14:17], off, off offset:544
	ds_load_b128 v[6:9], v1 offset:1328
	s_waitcnt vmcnt(9) lgkmcnt(1)
	v_mul_f64 v[181:182], v[2:3], v[20:21]
	v_mul_f64 v[20:21], v[4:5], v[20:21]
	v_add_f64 v[166:167], v[166:167], v[189:190]
	v_add_f64 v[170:171], v[170:171], v[183:184]
	s_waitcnt vmcnt(8) lgkmcnt(0)
	v_mul_f64 v[183:184], v[6:7], v[24:25]
	v_mul_f64 v[24:25], v[8:9], v[24:25]
	v_fma_f64 v[181:182], v[4:5], v[18:19], v[181:182]
	v_fma_f64 v[189:190], v[2:3], v[18:19], -v[20:21]
	ds_load_b128 v[2:5], v1 offset:1344
	scratch_load_b128 v[18:21], off, off offset:560
	v_add_f64 v[166:167], v[166:167], v[187:188]
	v_add_f64 v[170:171], v[170:171], v[185:186]
	v_fma_f64 v[183:184], v[8:9], v[22:23], v[183:184]
	v_fma_f64 v[187:188], v[6:7], v[22:23], -v[24:25]
	scratch_load_b128 v[22:25], off, off offset:576
	ds_load_b128 v[6:9], v1 offset:1360
	s_waitcnt vmcnt(9) lgkmcnt(1)
	v_mul_f64 v[185:186], v[2:3], v[28:29]
	v_mul_f64 v[28:29], v[4:5], v[28:29]
	v_add_f64 v[166:167], v[166:167], v[189:190]
	v_add_f64 v[170:171], v[170:171], v[181:182]
	s_waitcnt vmcnt(8) lgkmcnt(0)
	v_mul_f64 v[181:182], v[6:7], v[32:33]
	v_mul_f64 v[32:33], v[8:9], v[32:33]
	;; [unrolled: 18-line block ×8, first 2 shown]
	v_fma_f64 v[185:186], v[4:5], v[34:35], v[185:186]
	v_fma_f64 v[189:190], v[2:3], v[34:35], -v[36:37]
	ds_load_b128 v[2:5], v1 offset:1568
	scratch_load_b128 v[34:37], off, off offset:784
	v_add_f64 v[166:167], v[166:167], v[187:188]
	v_add_f64 v[170:171], v[170:171], v[183:184]
	v_fma_f64 v[181:182], v[8:9], v[177:178], v[181:182]
	v_fma_f64 v[187:188], v[6:7], v[177:178], -v[179:180]
	ds_load_b128 v[6:9], v1 offset:1584
	s_waitcnt vmcnt(8) lgkmcnt(1)
	v_mul_f64 v[183:184], v[2:3], v[40:41]
	v_mul_f64 v[40:41], v[4:5], v[40:41]
	scratch_load_b128 v[177:180], off, off offset:800
	v_add_f64 v[166:167], v[166:167], v[189:190]
	v_add_f64 v[170:171], v[170:171], v[185:186]
	s_waitcnt vmcnt(8) lgkmcnt(0)
	v_mul_f64 v[185:186], v[6:7], v[175:176]
	v_mul_f64 v[175:176], v[8:9], v[175:176]
	v_fma_f64 v[183:184], v[4:5], v[38:39], v[183:184]
	v_fma_f64 v[189:190], v[2:3], v[38:39], -v[40:41]
	ds_load_b128 v[2:5], v1 offset:1600
	scratch_load_b128 v[38:41], off, off offset:816
	v_add_f64 v[166:167], v[166:167], v[187:188]
	v_add_f64 v[170:171], v[170:171], v[181:182]
	v_fma_f64 v[185:186], v[8:9], v[173:174], v[185:186]
	v_fma_f64 v[187:188], v[6:7], v[173:174], -v[175:176]
	ds_load_b128 v[6:9], v1 offset:1616
	s_waitcnt vmcnt(8) lgkmcnt(1)
	v_mul_f64 v[181:182], v[2:3], v[12:13]
	v_mul_f64 v[12:13], v[4:5], v[12:13]
	scratch_load_b128 v[173:176], off, off offset:832
	v_add_f64 v[166:167], v[166:167], v[189:190]
	v_add_f64 v[170:171], v[170:171], v[183:184]
	s_waitcnt vmcnt(8) lgkmcnt(0)
	v_mul_f64 v[183:184], v[6:7], v[16:17]
	v_mul_f64 v[16:17], v[8:9], v[16:17]
	v_fma_f64 v[181:182], v[4:5], v[10:11], v[181:182]
	v_fma_f64 v[189:190], v[2:3], v[10:11], -v[12:13]
	scratch_load_b128 v[10:13], off, off offset:848
	ds_load_b128 v[2:5], v1 offset:1632
	v_add_f64 v[166:167], v[166:167], v[187:188]
	v_add_f64 v[170:171], v[170:171], v[185:186]
	v_fma_f64 v[183:184], v[8:9], v[14:15], v[183:184]
	v_fma_f64 v[187:188], v[6:7], v[14:15], -v[16:17]
	ds_load_b128 v[6:9], v1 offset:1648
	s_waitcnt vmcnt(8) lgkmcnt(1)
	v_mul_f64 v[185:186], v[2:3], v[20:21]
	v_mul_f64 v[20:21], v[4:5], v[20:21]
	scratch_load_b128 v[14:17], off, off offset:864
	v_add_f64 v[166:167], v[166:167], v[189:190]
	v_add_f64 v[170:171], v[170:171], v[181:182]
	s_waitcnt vmcnt(8) lgkmcnt(0)
	v_mul_f64 v[181:182], v[6:7], v[24:25]
	v_mul_f64 v[24:25], v[8:9], v[24:25]
	v_fma_f64 v[185:186], v[4:5], v[18:19], v[185:186]
	v_fma_f64 v[189:190], v[2:3], v[18:19], -v[20:21]
	scratch_load_b128 v[18:21], off, off offset:880
	ds_load_b128 v[2:5], v1 offset:1664
	v_add_f64 v[166:167], v[166:167], v[187:188]
	v_add_f64 v[170:171], v[170:171], v[183:184]
	v_fma_f64 v[181:182], v[8:9], v[22:23], v[181:182]
	v_fma_f64 v[187:188], v[6:7], v[22:23], -v[24:25]
	ds_load_b128 v[6:9], v1 offset:1680
	s_waitcnt vmcnt(8) lgkmcnt(1)
	v_mul_f64 v[183:184], v[2:3], v[28:29]
	v_mul_f64 v[28:29], v[4:5], v[28:29]
	scratch_load_b128 v[22:25], off, off offset:896
	v_add_f64 v[166:167], v[166:167], v[189:190]
	v_add_f64 v[170:171], v[170:171], v[185:186]
	s_waitcnt vmcnt(8) lgkmcnt(0)
	v_mul_f64 v[185:186], v[6:7], v[32:33]
	v_mul_f64 v[32:33], v[8:9], v[32:33]
	v_fma_f64 v[183:184], v[4:5], v[26:27], v[183:184]
	v_fma_f64 v[26:27], v[2:3], v[26:27], -v[28:29]
	ds_load_b128 v[2:5], v1 offset:1696
	v_add_f64 v[28:29], v[166:167], v[187:188]
	v_add_f64 v[166:167], v[170:171], v[181:182]
	v_fma_f64 v[181:182], v[8:9], v[30:31], v[185:186]
	v_fma_f64 v[30:31], v[6:7], v[30:31], -v[32:33]
	ds_load_b128 v[6:9], v1 offset:1712
	s_waitcnt vmcnt(7) lgkmcnt(1)
	v_mul_f64 v[170:171], v[2:3], v[36:37]
	v_mul_f64 v[36:37], v[4:5], v[36:37]
	v_add_f64 v[26:27], v[28:29], v[26:27]
	v_add_f64 v[28:29], v[166:167], v[183:184]
	s_delay_alu instid0(VALU_DEP_4) | instskip(NEXT) | instid1(VALU_DEP_4)
	v_fma_f64 v[170:171], v[4:5], v[34:35], v[170:171]
	v_fma_f64 v[34:35], v[2:3], v[34:35], -v[36:37]
	ds_load_b128 v[2:5], v1 offset:1728
	v_add_f64 v[30:31], v[26:27], v[30:31]
	v_add_f64 v[36:37], v[28:29], v[181:182]
	scratch_load_b128 v[26:29], off, off offset:320
	s_waitcnt vmcnt(7) lgkmcnt(1)
	v_mul_f64 v[32:33], v[6:7], v[179:180]
	v_mul_f64 v[166:167], v[8:9], v[179:180]
	v_add_f64 v[30:31], v[30:31], v[34:35]
	v_add_f64 v[34:35], v[36:37], v[170:171]
	s_delay_alu instid0(VALU_DEP_4) | instskip(NEXT) | instid1(VALU_DEP_4)
	v_fma_f64 v[32:33], v[8:9], v[177:178], v[32:33]
	v_fma_f64 v[166:167], v[6:7], v[177:178], -v[166:167]
	ds_load_b128 v[6:9], v1 offset:1744
	s_waitcnt vmcnt(6) lgkmcnt(1)
	v_mul_f64 v[179:180], v[2:3], v[40:41]
	v_mul_f64 v[40:41], v[4:5], v[40:41]
	s_waitcnt vmcnt(5) lgkmcnt(0)
	v_mul_f64 v[36:37], v[6:7], v[175:176]
	v_mul_f64 v[170:171], v[8:9], v[175:176]
	v_add_f64 v[32:33], v[34:35], v[32:33]
	v_add_f64 v[30:31], v[30:31], v[166:167]
	v_fma_f64 v[175:176], v[4:5], v[38:39], v[179:180]
	v_fma_f64 v[38:39], v[2:3], v[38:39], -v[40:41]
	ds_load_b128 v[2:5], v1 offset:1760
	v_fma_f64 v[36:37], v[8:9], v[173:174], v[36:37]
	v_fma_f64 v[40:41], v[6:7], v[173:174], -v[170:171]
	ds_load_b128 v[6:9], v1 offset:1776
	s_waitcnt vmcnt(4) lgkmcnt(1)
	v_mul_f64 v[34:35], v[2:3], v[12:13]
	v_mul_f64 v[12:13], v[4:5], v[12:13]
	v_add_f64 v[32:33], v[32:33], v[175:176]
	v_add_f64 v[30:31], v[30:31], v[38:39]
	s_waitcnt vmcnt(3) lgkmcnt(0)
	v_mul_f64 v[38:39], v[6:7], v[16:17]
	v_mul_f64 v[16:17], v[8:9], v[16:17]
	v_fma_f64 v[34:35], v[4:5], v[10:11], v[34:35]
	v_fma_f64 v[10:11], v[2:3], v[10:11], -v[12:13]
	ds_load_b128 v[2:5], v1 offset:1792
	v_add_f64 v[12:13], v[30:31], v[40:41]
	v_add_f64 v[30:31], v[32:33], v[36:37]
	v_fma_f64 v[36:37], v[8:9], v[14:15], v[38:39]
	v_fma_f64 v[14:15], v[6:7], v[14:15], -v[16:17]
	ds_load_b128 v[6:9], v1 offset:1808
	s_waitcnt vmcnt(2) lgkmcnt(1)
	v_mul_f64 v[32:33], v[2:3], v[20:21]
	v_mul_f64 v[20:21], v[4:5], v[20:21]
	s_waitcnt vmcnt(1) lgkmcnt(0)
	v_mul_f64 v[16:17], v[6:7], v[24:25]
	v_mul_f64 v[24:25], v[8:9], v[24:25]
	v_add_f64 v[10:11], v[12:13], v[10:11]
	v_add_f64 v[12:13], v[30:31], v[34:35]
	v_fma_f64 v[4:5], v[4:5], v[18:19], v[32:33]
	v_fma_f64 v[1:2], v[2:3], v[18:19], -v[20:21]
	v_fma_f64 v[8:9], v[8:9], v[22:23], v[16:17]
	v_fma_f64 v[6:7], v[6:7], v[22:23], -v[24:25]
	v_add_f64 v[10:11], v[10:11], v[14:15]
	v_add_f64 v[12:13], v[12:13], v[36:37]
	s_delay_alu instid0(VALU_DEP_2) | instskip(NEXT) | instid1(VALU_DEP_2)
	v_add_f64 v[1:2], v[10:11], v[1:2]
	v_add_f64 v[3:4], v[12:13], v[4:5]
	s_delay_alu instid0(VALU_DEP_2) | instskip(NEXT) | instid1(VALU_DEP_2)
	v_add_f64 v[1:2], v[1:2], v[6:7]
	v_add_f64 v[3:4], v[3:4], v[8:9]
	s_waitcnt vmcnt(0)
	s_delay_alu instid0(VALU_DEP_2) | instskip(NEXT) | instid1(VALU_DEP_2)
	v_add_f64 v[1:2], v[26:27], -v[1:2]
	v_add_f64 v[3:4], v[28:29], -v[3:4]
	scratch_store_b128 off, v[1:4], off offset:320
	v_cmpx_lt_u32_e32 19, v156
	s_cbranch_execz .LBB120_317
; %bb.316:
	scratch_load_b128 v[1:4], v194, off
	v_mov_b32_e32 v5, 0
	s_delay_alu instid0(VALU_DEP_1)
	v_mov_b32_e32 v6, v5
	v_mov_b32_e32 v7, v5
	;; [unrolled: 1-line block ×3, first 2 shown]
	scratch_store_b128 off, v[5:8], off offset:304
	s_waitcnt vmcnt(0)
	ds_store_b128 v213, v[1:4]
.LBB120_317:
	s_or_b32 exec_lo, exec_lo, s2
	s_waitcnt lgkmcnt(0)
	s_waitcnt_vscnt null, 0x0
	s_barrier
	buffer_gl0_inv
	s_clause 0x7
	scratch_load_b128 v[2:5], off, off offset:320
	scratch_load_b128 v[6:9], off, off offset:336
	;; [unrolled: 1-line block ×8, first 2 shown]
	v_mov_b32_e32 v1, 0
	s_clause 0x1
	scratch_load_b128 v[34:37], off, off offset:448
	scratch_load_b128 v[177:180], off, off offset:464
	s_mov_b32 s2, exec_lo
	ds_load_b128 v[38:41], v1 offset:1232
	ds_load_b128 v[173:176], v1 offset:1248
	s_waitcnt vmcnt(9) lgkmcnt(1)
	v_mul_f64 v[166:167], v[40:41], v[4:5]
	v_mul_f64 v[4:5], v[38:39], v[4:5]
	s_waitcnt vmcnt(8) lgkmcnt(0)
	v_mul_f64 v[170:171], v[173:174], v[8:9]
	v_mul_f64 v[8:9], v[175:176], v[8:9]
	s_delay_alu instid0(VALU_DEP_4) | instskip(NEXT) | instid1(VALU_DEP_4)
	v_fma_f64 v[166:167], v[38:39], v[2:3], -v[166:167]
	v_fma_f64 v[181:182], v[40:41], v[2:3], v[4:5]
	ds_load_b128 v[2:5], v1 offset:1264
	scratch_load_b128 v[38:41], off, off offset:480
	v_fma_f64 v[170:171], v[175:176], v[6:7], v[170:171]
	v_fma_f64 v[185:186], v[173:174], v[6:7], -v[8:9]
	scratch_load_b128 v[173:176], off, off offset:496
	ds_load_b128 v[6:9], v1 offset:1280
	s_waitcnt vmcnt(9) lgkmcnt(1)
	v_mul_f64 v[183:184], v[2:3], v[12:13]
	v_mul_f64 v[12:13], v[4:5], v[12:13]
	s_waitcnt vmcnt(8) lgkmcnt(0)
	v_mul_f64 v[187:188], v[6:7], v[16:17]
	v_mul_f64 v[16:17], v[8:9], v[16:17]
	v_add_f64 v[166:167], v[166:167], 0
	v_add_f64 v[181:182], v[181:182], 0
	v_fma_f64 v[183:184], v[4:5], v[10:11], v[183:184]
	v_fma_f64 v[189:190], v[2:3], v[10:11], -v[12:13]
	ds_load_b128 v[2:5], v1 offset:1296
	scratch_load_b128 v[10:13], off, off offset:512
	v_add_f64 v[166:167], v[166:167], v[185:186]
	v_add_f64 v[170:171], v[181:182], v[170:171]
	v_fma_f64 v[185:186], v[8:9], v[14:15], v[187:188]
	v_fma_f64 v[187:188], v[6:7], v[14:15], -v[16:17]
	scratch_load_b128 v[14:17], off, off offset:528
	ds_load_b128 v[6:9], v1 offset:1312
	s_waitcnt vmcnt(9) lgkmcnt(1)
	v_mul_f64 v[181:182], v[2:3], v[20:21]
	v_mul_f64 v[20:21], v[4:5], v[20:21]
	v_add_f64 v[166:167], v[166:167], v[189:190]
	v_add_f64 v[170:171], v[170:171], v[183:184]
	s_waitcnt vmcnt(8) lgkmcnt(0)
	v_mul_f64 v[183:184], v[6:7], v[24:25]
	v_mul_f64 v[24:25], v[8:9], v[24:25]
	v_fma_f64 v[181:182], v[4:5], v[18:19], v[181:182]
	v_fma_f64 v[189:190], v[2:3], v[18:19], -v[20:21]
	ds_load_b128 v[2:5], v1 offset:1328
	scratch_load_b128 v[18:21], off, off offset:544
	v_add_f64 v[166:167], v[166:167], v[187:188]
	v_add_f64 v[170:171], v[170:171], v[185:186]
	v_fma_f64 v[183:184], v[8:9], v[22:23], v[183:184]
	v_fma_f64 v[187:188], v[6:7], v[22:23], -v[24:25]
	scratch_load_b128 v[22:25], off, off offset:560
	ds_load_b128 v[6:9], v1 offset:1344
	s_waitcnt vmcnt(9) lgkmcnt(1)
	v_mul_f64 v[185:186], v[2:3], v[28:29]
	v_mul_f64 v[28:29], v[4:5], v[28:29]
	v_add_f64 v[166:167], v[166:167], v[189:190]
	v_add_f64 v[170:171], v[170:171], v[181:182]
	s_waitcnt vmcnt(8) lgkmcnt(0)
	v_mul_f64 v[181:182], v[6:7], v[32:33]
	v_mul_f64 v[32:33], v[8:9], v[32:33]
	v_fma_f64 v[185:186], v[4:5], v[26:27], v[185:186]
	v_fma_f64 v[189:190], v[2:3], v[26:27], -v[28:29]
	ds_load_b128 v[2:5], v1 offset:1360
	scratch_load_b128 v[26:29], off, off offset:576
	v_add_f64 v[166:167], v[166:167], v[187:188]
	v_add_f64 v[170:171], v[170:171], v[183:184]
	v_fma_f64 v[181:182], v[8:9], v[30:31], v[181:182]
	v_fma_f64 v[187:188], v[6:7], v[30:31], -v[32:33]
	scratch_load_b128 v[30:33], off, off offset:592
	ds_load_b128 v[6:9], v1 offset:1376
	s_waitcnt vmcnt(9) lgkmcnt(1)
	v_mul_f64 v[183:184], v[2:3], v[36:37]
	v_mul_f64 v[36:37], v[4:5], v[36:37]
	v_add_f64 v[166:167], v[166:167], v[189:190]
	v_add_f64 v[170:171], v[170:171], v[185:186]
	s_waitcnt vmcnt(8) lgkmcnt(0)
	v_mul_f64 v[185:186], v[6:7], v[179:180]
	v_mul_f64 v[179:180], v[8:9], v[179:180]
	v_fma_f64 v[183:184], v[4:5], v[34:35], v[183:184]
	v_fma_f64 v[189:190], v[2:3], v[34:35], -v[36:37]
	ds_load_b128 v[2:5], v1 offset:1392
	scratch_load_b128 v[34:37], off, off offset:608
	v_add_f64 v[166:167], v[166:167], v[187:188]
	v_add_f64 v[170:171], v[170:171], v[181:182]
	v_fma_f64 v[185:186], v[8:9], v[177:178], v[185:186]
	v_fma_f64 v[187:188], v[6:7], v[177:178], -v[179:180]
	scratch_load_b128 v[177:180], off, off offset:624
	ds_load_b128 v[6:9], v1 offset:1408
	s_waitcnt vmcnt(9) lgkmcnt(1)
	v_mul_f64 v[181:182], v[2:3], v[40:41]
	v_mul_f64 v[40:41], v[4:5], v[40:41]
	v_add_f64 v[166:167], v[166:167], v[189:190]
	v_add_f64 v[170:171], v[170:171], v[183:184]
	s_waitcnt vmcnt(8) lgkmcnt(0)
	v_mul_f64 v[183:184], v[6:7], v[175:176]
	v_mul_f64 v[175:176], v[8:9], v[175:176]
	v_fma_f64 v[181:182], v[4:5], v[38:39], v[181:182]
	v_fma_f64 v[189:190], v[2:3], v[38:39], -v[40:41]
	ds_load_b128 v[2:5], v1 offset:1424
	scratch_load_b128 v[38:41], off, off offset:640
	v_add_f64 v[166:167], v[166:167], v[187:188]
	v_add_f64 v[170:171], v[170:171], v[185:186]
	v_fma_f64 v[183:184], v[8:9], v[173:174], v[183:184]
	v_fma_f64 v[187:188], v[6:7], v[173:174], -v[175:176]
	scratch_load_b128 v[173:176], off, off offset:656
	ds_load_b128 v[6:9], v1 offset:1440
	s_waitcnt vmcnt(9) lgkmcnt(1)
	v_mul_f64 v[185:186], v[2:3], v[12:13]
	v_mul_f64 v[12:13], v[4:5], v[12:13]
	v_add_f64 v[166:167], v[166:167], v[189:190]
	v_add_f64 v[170:171], v[170:171], v[181:182]
	s_waitcnt vmcnt(8) lgkmcnt(0)
	v_mul_f64 v[181:182], v[6:7], v[16:17]
	v_mul_f64 v[16:17], v[8:9], v[16:17]
	v_fma_f64 v[185:186], v[4:5], v[10:11], v[185:186]
	v_fma_f64 v[189:190], v[2:3], v[10:11], -v[12:13]
	ds_load_b128 v[2:5], v1 offset:1456
	scratch_load_b128 v[10:13], off, off offset:672
	v_add_f64 v[166:167], v[166:167], v[187:188]
	v_add_f64 v[170:171], v[170:171], v[183:184]
	v_fma_f64 v[181:182], v[8:9], v[14:15], v[181:182]
	v_fma_f64 v[187:188], v[6:7], v[14:15], -v[16:17]
	scratch_load_b128 v[14:17], off, off offset:688
	ds_load_b128 v[6:9], v1 offset:1472
	s_waitcnt vmcnt(9) lgkmcnt(1)
	v_mul_f64 v[183:184], v[2:3], v[20:21]
	v_mul_f64 v[20:21], v[4:5], v[20:21]
	v_add_f64 v[166:167], v[166:167], v[189:190]
	v_add_f64 v[170:171], v[170:171], v[185:186]
	s_waitcnt vmcnt(8) lgkmcnt(0)
	v_mul_f64 v[185:186], v[6:7], v[24:25]
	v_mul_f64 v[24:25], v[8:9], v[24:25]
	v_fma_f64 v[183:184], v[4:5], v[18:19], v[183:184]
	v_fma_f64 v[189:190], v[2:3], v[18:19], -v[20:21]
	ds_load_b128 v[2:5], v1 offset:1488
	scratch_load_b128 v[18:21], off, off offset:704
	v_add_f64 v[166:167], v[166:167], v[187:188]
	v_add_f64 v[170:171], v[170:171], v[181:182]
	v_fma_f64 v[185:186], v[8:9], v[22:23], v[185:186]
	v_fma_f64 v[187:188], v[6:7], v[22:23], -v[24:25]
	scratch_load_b128 v[22:25], off, off offset:720
	ds_load_b128 v[6:9], v1 offset:1504
	s_waitcnt vmcnt(9) lgkmcnt(1)
	v_mul_f64 v[181:182], v[2:3], v[28:29]
	v_mul_f64 v[28:29], v[4:5], v[28:29]
	v_add_f64 v[166:167], v[166:167], v[189:190]
	v_add_f64 v[170:171], v[170:171], v[183:184]
	s_waitcnt vmcnt(8) lgkmcnt(0)
	v_mul_f64 v[183:184], v[6:7], v[32:33]
	v_mul_f64 v[32:33], v[8:9], v[32:33]
	v_fma_f64 v[181:182], v[4:5], v[26:27], v[181:182]
	v_fma_f64 v[189:190], v[2:3], v[26:27], -v[28:29]
	ds_load_b128 v[2:5], v1 offset:1520
	scratch_load_b128 v[26:29], off, off offset:736
	v_add_f64 v[166:167], v[166:167], v[187:188]
	v_add_f64 v[170:171], v[170:171], v[185:186]
	v_fma_f64 v[183:184], v[8:9], v[30:31], v[183:184]
	v_fma_f64 v[187:188], v[6:7], v[30:31], -v[32:33]
	scratch_load_b128 v[30:33], off, off offset:752
	ds_load_b128 v[6:9], v1 offset:1536
	s_waitcnt vmcnt(9) lgkmcnt(1)
	v_mul_f64 v[185:186], v[2:3], v[36:37]
	v_mul_f64 v[36:37], v[4:5], v[36:37]
	v_add_f64 v[166:167], v[166:167], v[189:190]
	v_add_f64 v[170:171], v[170:171], v[181:182]
	s_waitcnt vmcnt(8) lgkmcnt(0)
	v_mul_f64 v[181:182], v[6:7], v[179:180]
	v_mul_f64 v[179:180], v[8:9], v[179:180]
	v_fma_f64 v[185:186], v[4:5], v[34:35], v[185:186]
	v_fma_f64 v[189:190], v[2:3], v[34:35], -v[36:37]
	ds_load_b128 v[2:5], v1 offset:1552
	scratch_load_b128 v[34:37], off, off offset:768
	v_add_f64 v[166:167], v[166:167], v[187:188]
	v_add_f64 v[170:171], v[170:171], v[183:184]
	v_fma_f64 v[181:182], v[8:9], v[177:178], v[181:182]
	v_fma_f64 v[187:188], v[6:7], v[177:178], -v[179:180]
	scratch_load_b128 v[177:180], off, off offset:784
	ds_load_b128 v[6:9], v1 offset:1568
	s_waitcnt vmcnt(9) lgkmcnt(1)
	v_mul_f64 v[183:184], v[2:3], v[40:41]
	v_mul_f64 v[40:41], v[4:5], v[40:41]
	v_add_f64 v[166:167], v[166:167], v[189:190]
	v_add_f64 v[170:171], v[170:171], v[185:186]
	s_waitcnt vmcnt(8) lgkmcnt(0)
	v_mul_f64 v[185:186], v[6:7], v[175:176]
	v_mul_f64 v[175:176], v[8:9], v[175:176]
	v_fma_f64 v[183:184], v[4:5], v[38:39], v[183:184]
	v_fma_f64 v[189:190], v[2:3], v[38:39], -v[40:41]
	ds_load_b128 v[2:5], v1 offset:1584
	scratch_load_b128 v[38:41], off, off offset:800
	v_add_f64 v[166:167], v[166:167], v[187:188]
	v_add_f64 v[170:171], v[170:171], v[181:182]
	v_fma_f64 v[185:186], v[8:9], v[173:174], v[185:186]
	v_fma_f64 v[187:188], v[6:7], v[173:174], -v[175:176]
	ds_load_b128 v[6:9], v1 offset:1600
	s_waitcnt vmcnt(8) lgkmcnt(1)
	v_mul_f64 v[181:182], v[2:3], v[12:13]
	v_mul_f64 v[12:13], v[4:5], v[12:13]
	scratch_load_b128 v[173:176], off, off offset:816
	v_add_f64 v[166:167], v[166:167], v[189:190]
	v_add_f64 v[170:171], v[170:171], v[183:184]
	s_waitcnt vmcnt(8) lgkmcnt(0)
	v_mul_f64 v[183:184], v[6:7], v[16:17]
	v_mul_f64 v[16:17], v[8:9], v[16:17]
	v_fma_f64 v[181:182], v[4:5], v[10:11], v[181:182]
	v_fma_f64 v[189:190], v[2:3], v[10:11], -v[12:13]
	scratch_load_b128 v[10:13], off, off offset:832
	ds_load_b128 v[2:5], v1 offset:1616
	v_add_f64 v[166:167], v[166:167], v[187:188]
	v_add_f64 v[170:171], v[170:171], v[185:186]
	v_fma_f64 v[183:184], v[8:9], v[14:15], v[183:184]
	v_fma_f64 v[187:188], v[6:7], v[14:15], -v[16:17]
	ds_load_b128 v[6:9], v1 offset:1632
	s_waitcnt vmcnt(8) lgkmcnt(1)
	v_mul_f64 v[185:186], v[2:3], v[20:21]
	v_mul_f64 v[20:21], v[4:5], v[20:21]
	scratch_load_b128 v[14:17], off, off offset:848
	v_add_f64 v[166:167], v[166:167], v[189:190]
	v_add_f64 v[170:171], v[170:171], v[181:182]
	s_waitcnt vmcnt(8) lgkmcnt(0)
	v_mul_f64 v[181:182], v[6:7], v[24:25]
	v_mul_f64 v[24:25], v[8:9], v[24:25]
	v_fma_f64 v[185:186], v[4:5], v[18:19], v[185:186]
	v_fma_f64 v[189:190], v[2:3], v[18:19], -v[20:21]
	scratch_load_b128 v[18:21], off, off offset:864
	ds_load_b128 v[2:5], v1 offset:1648
	;; [unrolled: 18-line block ×3, first 2 shown]
	v_add_f64 v[166:167], v[166:167], v[187:188]
	v_add_f64 v[170:171], v[170:171], v[181:182]
	v_fma_f64 v[185:186], v[8:9], v[30:31], v[185:186]
	v_fma_f64 v[30:31], v[6:7], v[30:31], -v[32:33]
	ds_load_b128 v[6:9], v1 offset:1696
	s_waitcnt vmcnt(8) lgkmcnt(1)
	v_mul_f64 v[181:182], v[2:3], v[36:37]
	v_mul_f64 v[36:37], v[4:5], v[36:37]
	v_add_f64 v[32:33], v[166:167], v[189:190]
	v_add_f64 v[166:167], v[170:171], v[183:184]
	s_waitcnt vmcnt(7) lgkmcnt(0)
	v_mul_f64 v[170:171], v[6:7], v[179:180]
	v_mul_f64 v[179:180], v[8:9], v[179:180]
	v_fma_f64 v[181:182], v[4:5], v[34:35], v[181:182]
	v_fma_f64 v[34:35], v[2:3], v[34:35], -v[36:37]
	ds_load_b128 v[2:5], v1 offset:1712
	v_add_f64 v[30:31], v[32:33], v[30:31]
	v_add_f64 v[32:33], v[166:167], v[185:186]
	v_fma_f64 v[166:167], v[8:9], v[177:178], v[170:171]
	v_fma_f64 v[170:171], v[6:7], v[177:178], -v[179:180]
	ds_load_b128 v[6:9], v1 offset:1728
	s_waitcnt vmcnt(5) lgkmcnt(0)
	v_mul_f64 v[179:180], v[6:7], v[175:176]
	v_mul_f64 v[175:176], v[8:9], v[175:176]
	v_add_f64 v[34:35], v[30:31], v[34:35]
	v_add_f64 v[177:178], v[32:33], v[181:182]
	scratch_load_b128 v[30:33], off, off offset:304
	v_mul_f64 v[36:37], v[2:3], v[40:41]
	v_mul_f64 v[40:41], v[4:5], v[40:41]
	v_add_f64 v[34:35], v[34:35], v[170:171]
	v_fma_f64 v[170:171], v[8:9], v[173:174], v[179:180]
	v_fma_f64 v[173:174], v[6:7], v[173:174], -v[175:176]
	v_fma_f64 v[36:37], v[4:5], v[38:39], v[36:37]
	v_fma_f64 v[38:39], v[2:3], v[38:39], -v[40:41]
	v_add_f64 v[40:41], v[177:178], v[166:167]
	ds_load_b128 v[2:5], v1 offset:1744
	ds_load_b128 v[6:9], v1 offset:1760
	s_waitcnt vmcnt(5) lgkmcnt(1)
	v_mul_f64 v[166:167], v[2:3], v[12:13]
	v_mul_f64 v[12:13], v[4:5], v[12:13]
	v_add_f64 v[34:35], v[34:35], v[38:39]
	v_add_f64 v[36:37], v[40:41], v[36:37]
	s_waitcnt vmcnt(4) lgkmcnt(0)
	v_mul_f64 v[38:39], v[6:7], v[16:17]
	v_mul_f64 v[16:17], v[8:9], v[16:17]
	v_fma_f64 v[40:41], v[4:5], v[10:11], v[166:167]
	v_fma_f64 v[10:11], v[2:3], v[10:11], -v[12:13]
	ds_load_b128 v[2:5], v1 offset:1776
	v_add_f64 v[12:13], v[34:35], v[173:174]
	v_add_f64 v[34:35], v[36:37], v[170:171]
	v_fma_f64 v[38:39], v[8:9], v[14:15], v[38:39]
	v_fma_f64 v[14:15], v[6:7], v[14:15], -v[16:17]
	ds_load_b128 v[6:9], v1 offset:1792
	s_waitcnt vmcnt(3) lgkmcnt(1)
	v_mul_f64 v[36:37], v[2:3], v[20:21]
	v_mul_f64 v[20:21], v[4:5], v[20:21]
	s_waitcnt vmcnt(2) lgkmcnt(0)
	v_mul_f64 v[16:17], v[6:7], v[24:25]
	v_mul_f64 v[24:25], v[8:9], v[24:25]
	v_add_f64 v[10:11], v[12:13], v[10:11]
	v_add_f64 v[12:13], v[34:35], v[40:41]
	v_fma_f64 v[34:35], v[4:5], v[18:19], v[36:37]
	v_fma_f64 v[18:19], v[2:3], v[18:19], -v[20:21]
	ds_load_b128 v[2:5], v1 offset:1808
	v_fma_f64 v[8:9], v[8:9], v[22:23], v[16:17]
	v_fma_f64 v[6:7], v[6:7], v[22:23], -v[24:25]
	s_waitcnt vmcnt(1) lgkmcnt(0)
	v_mul_f64 v[20:21], v[4:5], v[28:29]
	v_add_f64 v[10:11], v[10:11], v[14:15]
	v_add_f64 v[12:13], v[12:13], v[38:39]
	v_mul_f64 v[14:15], v[2:3], v[28:29]
	s_delay_alu instid0(VALU_DEP_4) | instskip(NEXT) | instid1(VALU_DEP_4)
	v_fma_f64 v[2:3], v[2:3], v[26:27], -v[20:21]
	v_add_f64 v[10:11], v[10:11], v[18:19]
	s_delay_alu instid0(VALU_DEP_4) | instskip(NEXT) | instid1(VALU_DEP_4)
	v_add_f64 v[12:13], v[12:13], v[34:35]
	v_fma_f64 v[4:5], v[4:5], v[26:27], v[14:15]
	s_delay_alu instid0(VALU_DEP_3) | instskip(NEXT) | instid1(VALU_DEP_3)
	v_add_f64 v[6:7], v[10:11], v[6:7]
	v_add_f64 v[8:9], v[12:13], v[8:9]
	s_delay_alu instid0(VALU_DEP_2) | instskip(NEXT) | instid1(VALU_DEP_2)
	v_add_f64 v[2:3], v[6:7], v[2:3]
	v_add_f64 v[4:5], v[8:9], v[4:5]
	s_waitcnt vmcnt(0)
	s_delay_alu instid0(VALU_DEP_2) | instskip(NEXT) | instid1(VALU_DEP_2)
	v_add_f64 v[2:3], v[30:31], -v[2:3]
	v_add_f64 v[4:5], v[32:33], -v[4:5]
	scratch_store_b128 off, v[2:5], off offset:304
	v_cmpx_lt_u32_e32 18, v156
	s_cbranch_execz .LBB120_319
; %bb.318:
	scratch_load_b128 v[5:8], v195, off
	v_mov_b32_e32 v2, v1
	v_mov_b32_e32 v3, v1
	;; [unrolled: 1-line block ×3, first 2 shown]
	scratch_store_b128 off, v[1:4], off offset:288
	s_waitcnt vmcnt(0)
	ds_store_b128 v213, v[5:8]
.LBB120_319:
	s_or_b32 exec_lo, exec_lo, s2
	s_waitcnt lgkmcnt(0)
	s_waitcnt_vscnt null, 0x0
	s_barrier
	buffer_gl0_inv
	s_clause 0x7
	scratch_load_b128 v[2:5], off, off offset:304
	scratch_load_b128 v[6:9], off, off offset:320
	;; [unrolled: 1-line block ×8, first 2 shown]
	ds_load_b128 v[38:41], v1 offset:1216
	ds_load_b128 v[173:176], v1 offset:1232
	s_clause 0x1
	scratch_load_b128 v[34:37], off, off offset:432
	scratch_load_b128 v[177:180], off, off offset:448
	s_mov_b32 s2, exec_lo
	s_waitcnt vmcnt(9) lgkmcnt(1)
	v_mul_f64 v[166:167], v[40:41], v[4:5]
	v_mul_f64 v[4:5], v[38:39], v[4:5]
	s_waitcnt vmcnt(8) lgkmcnt(0)
	v_mul_f64 v[170:171], v[173:174], v[8:9]
	v_mul_f64 v[8:9], v[175:176], v[8:9]
	s_delay_alu instid0(VALU_DEP_4) | instskip(NEXT) | instid1(VALU_DEP_4)
	v_fma_f64 v[166:167], v[38:39], v[2:3], -v[166:167]
	v_fma_f64 v[181:182], v[40:41], v[2:3], v[4:5]
	ds_load_b128 v[2:5], v1 offset:1248
	scratch_load_b128 v[38:41], off, off offset:464
	v_fma_f64 v[170:171], v[175:176], v[6:7], v[170:171]
	v_fma_f64 v[185:186], v[173:174], v[6:7], -v[8:9]
	scratch_load_b128 v[173:176], off, off offset:480
	ds_load_b128 v[6:9], v1 offset:1264
	s_waitcnt vmcnt(9) lgkmcnt(1)
	v_mul_f64 v[183:184], v[2:3], v[12:13]
	v_mul_f64 v[12:13], v[4:5], v[12:13]
	s_waitcnt vmcnt(8) lgkmcnt(0)
	v_mul_f64 v[187:188], v[6:7], v[16:17]
	v_mul_f64 v[16:17], v[8:9], v[16:17]
	v_add_f64 v[166:167], v[166:167], 0
	v_add_f64 v[181:182], v[181:182], 0
	v_fma_f64 v[183:184], v[4:5], v[10:11], v[183:184]
	v_fma_f64 v[189:190], v[2:3], v[10:11], -v[12:13]
	ds_load_b128 v[2:5], v1 offset:1280
	scratch_load_b128 v[10:13], off, off offset:496
	v_add_f64 v[166:167], v[166:167], v[185:186]
	v_add_f64 v[170:171], v[181:182], v[170:171]
	v_fma_f64 v[185:186], v[8:9], v[14:15], v[187:188]
	v_fma_f64 v[187:188], v[6:7], v[14:15], -v[16:17]
	scratch_load_b128 v[14:17], off, off offset:512
	ds_load_b128 v[6:9], v1 offset:1296
	s_waitcnt vmcnt(9) lgkmcnt(1)
	v_mul_f64 v[181:182], v[2:3], v[20:21]
	v_mul_f64 v[20:21], v[4:5], v[20:21]
	v_add_f64 v[166:167], v[166:167], v[189:190]
	v_add_f64 v[170:171], v[170:171], v[183:184]
	s_waitcnt vmcnt(8) lgkmcnt(0)
	v_mul_f64 v[183:184], v[6:7], v[24:25]
	v_mul_f64 v[24:25], v[8:9], v[24:25]
	v_fma_f64 v[181:182], v[4:5], v[18:19], v[181:182]
	v_fma_f64 v[189:190], v[2:3], v[18:19], -v[20:21]
	ds_load_b128 v[2:5], v1 offset:1312
	scratch_load_b128 v[18:21], off, off offset:528
	v_add_f64 v[166:167], v[166:167], v[187:188]
	v_add_f64 v[170:171], v[170:171], v[185:186]
	v_fma_f64 v[183:184], v[8:9], v[22:23], v[183:184]
	v_fma_f64 v[187:188], v[6:7], v[22:23], -v[24:25]
	scratch_load_b128 v[22:25], off, off offset:544
	ds_load_b128 v[6:9], v1 offset:1328
	s_waitcnt vmcnt(9) lgkmcnt(1)
	v_mul_f64 v[185:186], v[2:3], v[28:29]
	v_mul_f64 v[28:29], v[4:5], v[28:29]
	v_add_f64 v[166:167], v[166:167], v[189:190]
	v_add_f64 v[170:171], v[170:171], v[181:182]
	s_waitcnt vmcnt(8) lgkmcnt(0)
	v_mul_f64 v[181:182], v[6:7], v[32:33]
	v_mul_f64 v[32:33], v[8:9], v[32:33]
	;; [unrolled: 18-line block ×9, first 2 shown]
	v_fma_f64 v[183:184], v[4:5], v[38:39], v[183:184]
	v_fma_f64 v[189:190], v[2:3], v[38:39], -v[40:41]
	ds_load_b128 v[2:5], v1 offset:1568
	scratch_load_b128 v[38:41], off, off offset:784
	v_add_f64 v[166:167], v[166:167], v[187:188]
	v_add_f64 v[170:171], v[170:171], v[181:182]
	v_fma_f64 v[185:186], v[8:9], v[173:174], v[185:186]
	v_fma_f64 v[187:188], v[6:7], v[173:174], -v[175:176]
	ds_load_b128 v[6:9], v1 offset:1584
	s_waitcnt vmcnt(8) lgkmcnt(1)
	v_mul_f64 v[181:182], v[2:3], v[12:13]
	v_mul_f64 v[12:13], v[4:5], v[12:13]
	scratch_load_b128 v[173:176], off, off offset:800
	v_add_f64 v[166:167], v[166:167], v[189:190]
	v_add_f64 v[170:171], v[170:171], v[183:184]
	s_waitcnt vmcnt(8) lgkmcnt(0)
	v_mul_f64 v[183:184], v[6:7], v[16:17]
	v_mul_f64 v[16:17], v[8:9], v[16:17]
	v_fma_f64 v[181:182], v[4:5], v[10:11], v[181:182]
	v_fma_f64 v[189:190], v[2:3], v[10:11], -v[12:13]
	ds_load_b128 v[2:5], v1 offset:1600
	scratch_load_b128 v[10:13], off, off offset:816
	v_add_f64 v[166:167], v[166:167], v[187:188]
	v_add_f64 v[170:171], v[170:171], v[185:186]
	v_fma_f64 v[183:184], v[8:9], v[14:15], v[183:184]
	v_fma_f64 v[187:188], v[6:7], v[14:15], -v[16:17]
	ds_load_b128 v[6:9], v1 offset:1616
	s_waitcnt vmcnt(8) lgkmcnt(1)
	v_mul_f64 v[185:186], v[2:3], v[20:21]
	v_mul_f64 v[20:21], v[4:5], v[20:21]
	scratch_load_b128 v[14:17], off, off offset:832
	v_add_f64 v[166:167], v[166:167], v[189:190]
	v_add_f64 v[170:171], v[170:171], v[181:182]
	s_waitcnt vmcnt(8) lgkmcnt(0)
	v_mul_f64 v[181:182], v[6:7], v[24:25]
	v_mul_f64 v[24:25], v[8:9], v[24:25]
	v_fma_f64 v[185:186], v[4:5], v[18:19], v[185:186]
	v_fma_f64 v[189:190], v[2:3], v[18:19], -v[20:21]
	scratch_load_b128 v[18:21], off, off offset:848
	ds_load_b128 v[2:5], v1 offset:1632
	v_add_f64 v[166:167], v[166:167], v[187:188]
	v_add_f64 v[170:171], v[170:171], v[183:184]
	v_fma_f64 v[181:182], v[8:9], v[22:23], v[181:182]
	v_fma_f64 v[187:188], v[6:7], v[22:23], -v[24:25]
	ds_load_b128 v[6:9], v1 offset:1648
	s_waitcnt vmcnt(8) lgkmcnt(1)
	v_mul_f64 v[183:184], v[2:3], v[28:29]
	v_mul_f64 v[28:29], v[4:5], v[28:29]
	scratch_load_b128 v[22:25], off, off offset:864
	v_add_f64 v[166:167], v[166:167], v[189:190]
	v_add_f64 v[170:171], v[170:171], v[185:186]
	s_waitcnt vmcnt(8) lgkmcnt(0)
	v_mul_f64 v[185:186], v[6:7], v[32:33]
	v_mul_f64 v[32:33], v[8:9], v[32:33]
	v_fma_f64 v[183:184], v[4:5], v[26:27], v[183:184]
	v_fma_f64 v[189:190], v[2:3], v[26:27], -v[28:29]
	scratch_load_b128 v[26:29], off, off offset:880
	ds_load_b128 v[2:5], v1 offset:1664
	v_add_f64 v[166:167], v[166:167], v[187:188]
	v_add_f64 v[170:171], v[170:171], v[181:182]
	v_fma_f64 v[185:186], v[8:9], v[30:31], v[185:186]
	v_fma_f64 v[187:188], v[6:7], v[30:31], -v[32:33]
	ds_load_b128 v[6:9], v1 offset:1680
	s_waitcnt vmcnt(8) lgkmcnt(1)
	v_mul_f64 v[181:182], v[2:3], v[36:37]
	v_mul_f64 v[36:37], v[4:5], v[36:37]
	scratch_load_b128 v[30:33], off, off offset:896
	v_add_f64 v[166:167], v[166:167], v[189:190]
	v_add_f64 v[170:171], v[170:171], v[183:184]
	s_waitcnt vmcnt(8) lgkmcnt(0)
	v_mul_f64 v[183:184], v[6:7], v[179:180]
	v_mul_f64 v[179:180], v[8:9], v[179:180]
	v_fma_f64 v[181:182], v[4:5], v[34:35], v[181:182]
	v_fma_f64 v[34:35], v[2:3], v[34:35], -v[36:37]
	ds_load_b128 v[2:5], v1 offset:1696
	v_add_f64 v[36:37], v[166:167], v[187:188]
	v_add_f64 v[166:167], v[170:171], v[185:186]
	v_fma_f64 v[183:184], v[8:9], v[177:178], v[183:184]
	v_fma_f64 v[177:178], v[6:7], v[177:178], -v[179:180]
	ds_load_b128 v[6:9], v1 offset:1712
	s_waitcnt vmcnt(7) lgkmcnt(1)
	v_mul_f64 v[170:171], v[2:3], v[40:41]
	v_mul_f64 v[40:41], v[4:5], v[40:41]
	v_add_f64 v[34:35], v[36:37], v[34:35]
	v_add_f64 v[36:37], v[166:167], v[181:182]
	s_delay_alu instid0(VALU_DEP_4) | instskip(NEXT) | instid1(VALU_DEP_4)
	v_fma_f64 v[170:171], v[4:5], v[38:39], v[170:171]
	v_fma_f64 v[38:39], v[2:3], v[38:39], -v[40:41]
	ds_load_b128 v[2:5], v1 offset:1728
	v_add_f64 v[40:41], v[34:35], v[177:178]
	v_add_f64 v[177:178], v[36:37], v[183:184]
	scratch_load_b128 v[34:37], off, off offset:288
	s_waitcnt vmcnt(7) lgkmcnt(1)
	v_mul_f64 v[166:167], v[6:7], v[175:176]
	v_mul_f64 v[175:176], v[8:9], v[175:176]
	v_add_f64 v[38:39], v[40:41], v[38:39]
	v_add_f64 v[40:41], v[177:178], v[170:171]
	s_delay_alu instid0(VALU_DEP_4) | instskip(NEXT) | instid1(VALU_DEP_4)
	v_fma_f64 v[166:167], v[8:9], v[173:174], v[166:167]
	v_fma_f64 v[173:174], v[6:7], v[173:174], -v[175:176]
	ds_load_b128 v[6:9], v1 offset:1744
	s_waitcnt vmcnt(6) lgkmcnt(1)
	v_mul_f64 v[179:180], v[2:3], v[12:13]
	v_mul_f64 v[12:13], v[4:5], v[12:13]
	s_waitcnt vmcnt(5) lgkmcnt(0)
	v_mul_f64 v[170:171], v[6:7], v[16:17]
	v_mul_f64 v[16:17], v[8:9], v[16:17]
	s_delay_alu instid0(VALU_DEP_4) | instskip(NEXT) | instid1(VALU_DEP_4)
	v_fma_f64 v[175:176], v[4:5], v[10:11], v[179:180]
	v_fma_f64 v[10:11], v[2:3], v[10:11], -v[12:13]
	v_add_f64 v[12:13], v[38:39], v[173:174]
	v_add_f64 v[38:39], v[40:41], v[166:167]
	ds_load_b128 v[2:5], v1 offset:1760
	v_fma_f64 v[166:167], v[8:9], v[14:15], v[170:171]
	v_fma_f64 v[14:15], v[6:7], v[14:15], -v[16:17]
	ds_load_b128 v[6:9], v1 offset:1776
	s_waitcnt vmcnt(4) lgkmcnt(1)
	v_mul_f64 v[40:41], v[2:3], v[20:21]
	v_mul_f64 v[20:21], v[4:5], v[20:21]
	v_add_f64 v[10:11], v[12:13], v[10:11]
	v_add_f64 v[12:13], v[38:39], v[175:176]
	s_waitcnt vmcnt(3) lgkmcnt(0)
	v_mul_f64 v[16:17], v[6:7], v[24:25]
	v_mul_f64 v[24:25], v[8:9], v[24:25]
	v_fma_f64 v[38:39], v[4:5], v[18:19], v[40:41]
	v_fma_f64 v[18:19], v[2:3], v[18:19], -v[20:21]
	ds_load_b128 v[2:5], v1 offset:1792
	v_add_f64 v[10:11], v[10:11], v[14:15]
	v_add_f64 v[12:13], v[12:13], v[166:167]
	v_fma_f64 v[16:17], v[8:9], v[22:23], v[16:17]
	v_fma_f64 v[22:23], v[6:7], v[22:23], -v[24:25]
	ds_load_b128 v[6:9], v1 offset:1808
	s_waitcnt vmcnt(2) lgkmcnt(1)
	v_mul_f64 v[14:15], v[2:3], v[28:29]
	v_mul_f64 v[20:21], v[4:5], v[28:29]
	s_waitcnt vmcnt(1) lgkmcnt(0)
	v_mul_f64 v[24:25], v[8:9], v[32:33]
	v_add_f64 v[10:11], v[10:11], v[18:19]
	v_add_f64 v[12:13], v[12:13], v[38:39]
	v_mul_f64 v[18:19], v[6:7], v[32:33]
	v_fma_f64 v[4:5], v[4:5], v[26:27], v[14:15]
	v_fma_f64 v[1:2], v[2:3], v[26:27], -v[20:21]
	v_fma_f64 v[6:7], v[6:7], v[30:31], -v[24:25]
	v_add_f64 v[10:11], v[10:11], v[22:23]
	v_add_f64 v[12:13], v[12:13], v[16:17]
	v_fma_f64 v[8:9], v[8:9], v[30:31], v[18:19]
	s_delay_alu instid0(VALU_DEP_3) | instskip(NEXT) | instid1(VALU_DEP_3)
	v_add_f64 v[1:2], v[10:11], v[1:2]
	v_add_f64 v[3:4], v[12:13], v[4:5]
	s_delay_alu instid0(VALU_DEP_2) | instskip(NEXT) | instid1(VALU_DEP_2)
	v_add_f64 v[1:2], v[1:2], v[6:7]
	v_add_f64 v[3:4], v[3:4], v[8:9]
	s_waitcnt vmcnt(0)
	s_delay_alu instid0(VALU_DEP_2) | instskip(NEXT) | instid1(VALU_DEP_2)
	v_add_f64 v[1:2], v[34:35], -v[1:2]
	v_add_f64 v[3:4], v[36:37], -v[3:4]
	scratch_store_b128 off, v[1:4], off offset:288
	v_cmpx_lt_u32_e32 17, v156
	s_cbranch_execz .LBB120_321
; %bb.320:
	scratch_load_b128 v[1:4], v196, off
	v_mov_b32_e32 v5, 0
	s_delay_alu instid0(VALU_DEP_1)
	v_mov_b32_e32 v6, v5
	v_mov_b32_e32 v7, v5
	;; [unrolled: 1-line block ×3, first 2 shown]
	scratch_store_b128 off, v[5:8], off offset:272
	s_waitcnt vmcnt(0)
	ds_store_b128 v213, v[1:4]
.LBB120_321:
	s_or_b32 exec_lo, exec_lo, s2
	s_waitcnt lgkmcnt(0)
	s_waitcnt_vscnt null, 0x0
	s_barrier
	buffer_gl0_inv
	s_clause 0x7
	scratch_load_b128 v[2:5], off, off offset:288
	scratch_load_b128 v[6:9], off, off offset:304
	;; [unrolled: 1-line block ×8, first 2 shown]
	v_mov_b32_e32 v1, 0
	s_clause 0x1
	scratch_load_b128 v[34:37], off, off offset:416
	scratch_load_b128 v[177:180], off, off offset:432
	s_mov_b32 s2, exec_lo
	ds_load_b128 v[38:41], v1 offset:1200
	ds_load_b128 v[173:176], v1 offset:1216
	s_waitcnt vmcnt(9) lgkmcnt(1)
	v_mul_f64 v[166:167], v[40:41], v[4:5]
	v_mul_f64 v[4:5], v[38:39], v[4:5]
	s_waitcnt vmcnt(8) lgkmcnt(0)
	v_mul_f64 v[170:171], v[173:174], v[8:9]
	v_mul_f64 v[8:9], v[175:176], v[8:9]
	s_delay_alu instid0(VALU_DEP_4) | instskip(NEXT) | instid1(VALU_DEP_4)
	v_fma_f64 v[166:167], v[38:39], v[2:3], -v[166:167]
	v_fma_f64 v[181:182], v[40:41], v[2:3], v[4:5]
	ds_load_b128 v[2:5], v1 offset:1232
	scratch_load_b128 v[38:41], off, off offset:448
	v_fma_f64 v[170:171], v[175:176], v[6:7], v[170:171]
	v_fma_f64 v[185:186], v[173:174], v[6:7], -v[8:9]
	scratch_load_b128 v[173:176], off, off offset:464
	ds_load_b128 v[6:9], v1 offset:1248
	s_waitcnt vmcnt(9) lgkmcnt(1)
	v_mul_f64 v[183:184], v[2:3], v[12:13]
	v_mul_f64 v[12:13], v[4:5], v[12:13]
	s_waitcnt vmcnt(8) lgkmcnt(0)
	v_mul_f64 v[187:188], v[6:7], v[16:17]
	v_mul_f64 v[16:17], v[8:9], v[16:17]
	v_add_f64 v[166:167], v[166:167], 0
	v_add_f64 v[181:182], v[181:182], 0
	v_fma_f64 v[183:184], v[4:5], v[10:11], v[183:184]
	v_fma_f64 v[189:190], v[2:3], v[10:11], -v[12:13]
	ds_load_b128 v[2:5], v1 offset:1264
	scratch_load_b128 v[10:13], off, off offset:480
	v_add_f64 v[166:167], v[166:167], v[185:186]
	v_add_f64 v[170:171], v[181:182], v[170:171]
	v_fma_f64 v[185:186], v[8:9], v[14:15], v[187:188]
	v_fma_f64 v[187:188], v[6:7], v[14:15], -v[16:17]
	scratch_load_b128 v[14:17], off, off offset:496
	ds_load_b128 v[6:9], v1 offset:1280
	s_waitcnt vmcnt(9) lgkmcnt(1)
	v_mul_f64 v[181:182], v[2:3], v[20:21]
	v_mul_f64 v[20:21], v[4:5], v[20:21]
	v_add_f64 v[166:167], v[166:167], v[189:190]
	v_add_f64 v[170:171], v[170:171], v[183:184]
	s_waitcnt vmcnt(8) lgkmcnt(0)
	v_mul_f64 v[183:184], v[6:7], v[24:25]
	v_mul_f64 v[24:25], v[8:9], v[24:25]
	v_fma_f64 v[181:182], v[4:5], v[18:19], v[181:182]
	v_fma_f64 v[189:190], v[2:3], v[18:19], -v[20:21]
	ds_load_b128 v[2:5], v1 offset:1296
	scratch_load_b128 v[18:21], off, off offset:512
	v_add_f64 v[166:167], v[166:167], v[187:188]
	v_add_f64 v[170:171], v[170:171], v[185:186]
	v_fma_f64 v[183:184], v[8:9], v[22:23], v[183:184]
	v_fma_f64 v[187:188], v[6:7], v[22:23], -v[24:25]
	scratch_load_b128 v[22:25], off, off offset:528
	ds_load_b128 v[6:9], v1 offset:1312
	s_waitcnt vmcnt(9) lgkmcnt(1)
	v_mul_f64 v[185:186], v[2:3], v[28:29]
	v_mul_f64 v[28:29], v[4:5], v[28:29]
	v_add_f64 v[166:167], v[166:167], v[189:190]
	v_add_f64 v[170:171], v[170:171], v[181:182]
	s_waitcnt vmcnt(8) lgkmcnt(0)
	v_mul_f64 v[181:182], v[6:7], v[32:33]
	v_mul_f64 v[32:33], v[8:9], v[32:33]
	;; [unrolled: 18-line block ×10, first 2 shown]
	v_fma_f64 v[181:182], v[4:5], v[10:11], v[181:182]
	v_fma_f64 v[189:190], v[2:3], v[10:11], -v[12:13]
	ds_load_b128 v[2:5], v1 offset:1584
	scratch_load_b128 v[10:13], off, off offset:800
	v_add_f64 v[166:167], v[166:167], v[187:188]
	v_add_f64 v[170:171], v[170:171], v[185:186]
	v_fma_f64 v[183:184], v[8:9], v[14:15], v[183:184]
	v_fma_f64 v[187:188], v[6:7], v[14:15], -v[16:17]
	ds_load_b128 v[6:9], v1 offset:1600
	s_waitcnt vmcnt(8) lgkmcnt(1)
	v_mul_f64 v[185:186], v[2:3], v[20:21]
	v_mul_f64 v[20:21], v[4:5], v[20:21]
	scratch_load_b128 v[14:17], off, off offset:816
	v_add_f64 v[166:167], v[166:167], v[189:190]
	v_add_f64 v[170:171], v[170:171], v[181:182]
	s_waitcnt vmcnt(8) lgkmcnt(0)
	v_mul_f64 v[181:182], v[6:7], v[24:25]
	v_mul_f64 v[24:25], v[8:9], v[24:25]
	v_fma_f64 v[185:186], v[4:5], v[18:19], v[185:186]
	v_fma_f64 v[189:190], v[2:3], v[18:19], -v[20:21]
	scratch_load_b128 v[18:21], off, off offset:832
	ds_load_b128 v[2:5], v1 offset:1616
	v_add_f64 v[166:167], v[166:167], v[187:188]
	v_add_f64 v[170:171], v[170:171], v[183:184]
	v_fma_f64 v[181:182], v[8:9], v[22:23], v[181:182]
	v_fma_f64 v[187:188], v[6:7], v[22:23], -v[24:25]
	ds_load_b128 v[6:9], v1 offset:1632
	s_waitcnt vmcnt(8) lgkmcnt(1)
	v_mul_f64 v[183:184], v[2:3], v[28:29]
	v_mul_f64 v[28:29], v[4:5], v[28:29]
	scratch_load_b128 v[22:25], off, off offset:848
	v_add_f64 v[166:167], v[166:167], v[189:190]
	v_add_f64 v[170:171], v[170:171], v[185:186]
	s_waitcnt vmcnt(8) lgkmcnt(0)
	v_mul_f64 v[185:186], v[6:7], v[32:33]
	v_mul_f64 v[32:33], v[8:9], v[32:33]
	v_fma_f64 v[183:184], v[4:5], v[26:27], v[183:184]
	v_fma_f64 v[189:190], v[2:3], v[26:27], -v[28:29]
	scratch_load_b128 v[26:29], off, off offset:864
	ds_load_b128 v[2:5], v1 offset:1648
	;; [unrolled: 18-line block ×3, first 2 shown]
	v_add_f64 v[166:167], v[166:167], v[187:188]
	v_add_f64 v[170:171], v[170:171], v[185:186]
	v_fma_f64 v[183:184], v[8:9], v[177:178], v[183:184]
	v_fma_f64 v[177:178], v[6:7], v[177:178], -v[179:180]
	ds_load_b128 v[6:9], v1 offset:1696
	s_waitcnt vmcnt(8) lgkmcnt(1)
	v_mul_f64 v[185:186], v[2:3], v[40:41]
	v_mul_f64 v[40:41], v[4:5], v[40:41]
	s_waitcnt vmcnt(7) lgkmcnt(0)
	v_mul_f64 v[179:180], v[6:7], v[175:176]
	v_mul_f64 v[175:176], v[8:9], v[175:176]
	v_add_f64 v[166:167], v[166:167], v[189:190]
	v_add_f64 v[170:171], v[170:171], v[181:182]
	v_fma_f64 v[181:182], v[4:5], v[38:39], v[185:186]
	v_fma_f64 v[38:39], v[2:3], v[38:39], -v[40:41]
	ds_load_b128 v[2:5], v1 offset:1712
	v_add_f64 v[40:41], v[166:167], v[177:178]
	v_add_f64 v[166:167], v[170:171], v[183:184]
	v_fma_f64 v[177:178], v[8:9], v[173:174], v[179:180]
	v_fma_f64 v[173:174], v[6:7], v[173:174], -v[175:176]
	ds_load_b128 v[6:9], v1 offset:1728
	s_waitcnt vmcnt(5) lgkmcnt(0)
	v_mul_f64 v[179:180], v[6:7], v[16:17]
	v_mul_f64 v[16:17], v[8:9], v[16:17]
	v_add_f64 v[175:176], v[40:41], v[38:39]
	v_add_f64 v[166:167], v[166:167], v[181:182]
	scratch_load_b128 v[38:41], off, off offset:272
	v_mul_f64 v[170:171], v[2:3], v[12:13]
	v_mul_f64 v[12:13], v[4:5], v[12:13]
	v_add_f64 v[166:167], v[166:167], v[177:178]
	s_delay_alu instid0(VALU_DEP_3) | instskip(NEXT) | instid1(VALU_DEP_3)
	v_fma_f64 v[170:171], v[4:5], v[10:11], v[170:171]
	v_fma_f64 v[10:11], v[2:3], v[10:11], -v[12:13]
	v_add_f64 v[12:13], v[175:176], v[173:174]
	ds_load_b128 v[2:5], v1 offset:1744
	v_fma_f64 v[175:176], v[8:9], v[14:15], v[179:180]
	v_fma_f64 v[14:15], v[6:7], v[14:15], -v[16:17]
	ds_load_b128 v[6:9], v1 offset:1760
	s_waitcnt vmcnt(5) lgkmcnt(1)
	v_mul_f64 v[173:174], v[2:3], v[20:21]
	v_mul_f64 v[20:21], v[4:5], v[20:21]
	s_waitcnt vmcnt(4) lgkmcnt(0)
	v_mul_f64 v[16:17], v[6:7], v[24:25]
	v_mul_f64 v[24:25], v[8:9], v[24:25]
	v_add_f64 v[10:11], v[12:13], v[10:11]
	v_add_f64 v[12:13], v[166:167], v[170:171]
	v_fma_f64 v[166:167], v[4:5], v[18:19], v[173:174]
	v_fma_f64 v[18:19], v[2:3], v[18:19], -v[20:21]
	ds_load_b128 v[2:5], v1 offset:1776
	v_fma_f64 v[16:17], v[8:9], v[22:23], v[16:17]
	v_fma_f64 v[22:23], v[6:7], v[22:23], -v[24:25]
	ds_load_b128 v[6:9], v1 offset:1792
	v_add_f64 v[10:11], v[10:11], v[14:15]
	v_add_f64 v[12:13], v[12:13], v[175:176]
	s_waitcnt vmcnt(3) lgkmcnt(1)
	v_mul_f64 v[14:15], v[2:3], v[28:29]
	v_mul_f64 v[20:21], v[4:5], v[28:29]
	s_waitcnt vmcnt(2) lgkmcnt(0)
	v_mul_f64 v[24:25], v[8:9], v[32:33]
	v_add_f64 v[10:11], v[10:11], v[18:19]
	v_add_f64 v[12:13], v[12:13], v[166:167]
	v_mul_f64 v[18:19], v[6:7], v[32:33]
	v_fma_f64 v[14:15], v[4:5], v[26:27], v[14:15]
	v_fma_f64 v[20:21], v[2:3], v[26:27], -v[20:21]
	ds_load_b128 v[2:5], v1 offset:1808
	v_fma_f64 v[6:7], v[6:7], v[30:31], -v[24:25]
	v_add_f64 v[10:11], v[10:11], v[22:23]
	v_add_f64 v[12:13], v[12:13], v[16:17]
	s_waitcnt vmcnt(1) lgkmcnt(0)
	v_mul_f64 v[16:17], v[2:3], v[36:37]
	v_mul_f64 v[22:23], v[4:5], v[36:37]
	v_fma_f64 v[8:9], v[8:9], v[30:31], v[18:19]
	v_add_f64 v[10:11], v[10:11], v[20:21]
	v_add_f64 v[12:13], v[12:13], v[14:15]
	v_fma_f64 v[4:5], v[4:5], v[34:35], v[16:17]
	v_fma_f64 v[2:3], v[2:3], v[34:35], -v[22:23]
	s_delay_alu instid0(VALU_DEP_4) | instskip(NEXT) | instid1(VALU_DEP_4)
	v_add_f64 v[6:7], v[10:11], v[6:7]
	v_add_f64 v[8:9], v[12:13], v[8:9]
	s_delay_alu instid0(VALU_DEP_2) | instskip(NEXT) | instid1(VALU_DEP_2)
	v_add_f64 v[2:3], v[6:7], v[2:3]
	v_add_f64 v[4:5], v[8:9], v[4:5]
	s_waitcnt vmcnt(0)
	s_delay_alu instid0(VALU_DEP_2) | instskip(NEXT) | instid1(VALU_DEP_2)
	v_add_f64 v[2:3], v[38:39], -v[2:3]
	v_add_f64 v[4:5], v[40:41], -v[4:5]
	scratch_store_b128 off, v[2:5], off offset:272
	v_cmpx_lt_u32_e32 16, v156
	s_cbranch_execz .LBB120_323
; %bb.322:
	scratch_load_b128 v[5:8], v197, off
	v_mov_b32_e32 v2, v1
	v_mov_b32_e32 v3, v1
	;; [unrolled: 1-line block ×3, first 2 shown]
	scratch_store_b128 off, v[1:4], off offset:256
	s_waitcnt vmcnt(0)
	ds_store_b128 v213, v[5:8]
.LBB120_323:
	s_or_b32 exec_lo, exec_lo, s2
	s_waitcnt lgkmcnt(0)
	s_waitcnt_vscnt null, 0x0
	s_barrier
	buffer_gl0_inv
	s_clause 0x7
	scratch_load_b128 v[2:5], off, off offset:272
	scratch_load_b128 v[6:9], off, off offset:288
	;; [unrolled: 1-line block ×8, first 2 shown]
	ds_load_b128 v[38:41], v1 offset:1184
	ds_load_b128 v[173:176], v1 offset:1200
	s_clause 0x1
	scratch_load_b128 v[34:37], off, off offset:400
	scratch_load_b128 v[177:180], off, off offset:416
	s_mov_b32 s2, exec_lo
	s_waitcnt vmcnt(9) lgkmcnt(1)
	v_mul_f64 v[166:167], v[40:41], v[4:5]
	v_mul_f64 v[4:5], v[38:39], v[4:5]
	s_waitcnt vmcnt(8) lgkmcnt(0)
	v_mul_f64 v[170:171], v[173:174], v[8:9]
	v_mul_f64 v[8:9], v[175:176], v[8:9]
	s_delay_alu instid0(VALU_DEP_4) | instskip(NEXT) | instid1(VALU_DEP_4)
	v_fma_f64 v[166:167], v[38:39], v[2:3], -v[166:167]
	v_fma_f64 v[181:182], v[40:41], v[2:3], v[4:5]
	ds_load_b128 v[2:5], v1 offset:1216
	scratch_load_b128 v[38:41], off, off offset:432
	v_fma_f64 v[170:171], v[175:176], v[6:7], v[170:171]
	v_fma_f64 v[185:186], v[173:174], v[6:7], -v[8:9]
	scratch_load_b128 v[173:176], off, off offset:448
	ds_load_b128 v[6:9], v1 offset:1232
	s_waitcnt vmcnt(9) lgkmcnt(1)
	v_mul_f64 v[183:184], v[2:3], v[12:13]
	v_mul_f64 v[12:13], v[4:5], v[12:13]
	s_waitcnt vmcnt(8) lgkmcnt(0)
	v_mul_f64 v[187:188], v[6:7], v[16:17]
	v_mul_f64 v[16:17], v[8:9], v[16:17]
	v_add_f64 v[166:167], v[166:167], 0
	v_add_f64 v[181:182], v[181:182], 0
	v_fma_f64 v[183:184], v[4:5], v[10:11], v[183:184]
	v_fma_f64 v[189:190], v[2:3], v[10:11], -v[12:13]
	ds_load_b128 v[2:5], v1 offset:1248
	scratch_load_b128 v[10:13], off, off offset:464
	v_add_f64 v[166:167], v[166:167], v[185:186]
	v_add_f64 v[170:171], v[181:182], v[170:171]
	v_fma_f64 v[185:186], v[8:9], v[14:15], v[187:188]
	v_fma_f64 v[187:188], v[6:7], v[14:15], -v[16:17]
	scratch_load_b128 v[14:17], off, off offset:480
	ds_load_b128 v[6:9], v1 offset:1264
	s_waitcnt vmcnt(9) lgkmcnt(1)
	v_mul_f64 v[181:182], v[2:3], v[20:21]
	v_mul_f64 v[20:21], v[4:5], v[20:21]
	v_add_f64 v[166:167], v[166:167], v[189:190]
	v_add_f64 v[170:171], v[170:171], v[183:184]
	s_waitcnt vmcnt(8) lgkmcnt(0)
	v_mul_f64 v[183:184], v[6:7], v[24:25]
	v_mul_f64 v[24:25], v[8:9], v[24:25]
	v_fma_f64 v[181:182], v[4:5], v[18:19], v[181:182]
	v_fma_f64 v[189:190], v[2:3], v[18:19], -v[20:21]
	ds_load_b128 v[2:5], v1 offset:1280
	scratch_load_b128 v[18:21], off, off offset:496
	v_add_f64 v[166:167], v[166:167], v[187:188]
	v_add_f64 v[170:171], v[170:171], v[185:186]
	v_fma_f64 v[183:184], v[8:9], v[22:23], v[183:184]
	v_fma_f64 v[187:188], v[6:7], v[22:23], -v[24:25]
	scratch_load_b128 v[22:25], off, off offset:512
	ds_load_b128 v[6:9], v1 offset:1296
	s_waitcnt vmcnt(9) lgkmcnt(1)
	v_mul_f64 v[185:186], v[2:3], v[28:29]
	v_mul_f64 v[28:29], v[4:5], v[28:29]
	v_add_f64 v[166:167], v[166:167], v[189:190]
	v_add_f64 v[170:171], v[170:171], v[181:182]
	s_waitcnt vmcnt(8) lgkmcnt(0)
	v_mul_f64 v[181:182], v[6:7], v[32:33]
	v_mul_f64 v[32:33], v[8:9], v[32:33]
	;; [unrolled: 18-line block ×10, first 2 shown]
	v_fma_f64 v[181:182], v[4:5], v[10:11], v[181:182]
	v_fma_f64 v[189:190], v[2:3], v[10:11], -v[12:13]
	ds_load_b128 v[2:5], v1 offset:1568
	scratch_load_b128 v[10:13], off, off offset:784
	v_add_f64 v[166:167], v[166:167], v[187:188]
	v_add_f64 v[170:171], v[170:171], v[185:186]
	v_fma_f64 v[183:184], v[8:9], v[14:15], v[183:184]
	v_fma_f64 v[187:188], v[6:7], v[14:15], -v[16:17]
	ds_load_b128 v[6:9], v1 offset:1584
	s_waitcnt vmcnt(8) lgkmcnt(1)
	v_mul_f64 v[185:186], v[2:3], v[20:21]
	v_mul_f64 v[20:21], v[4:5], v[20:21]
	scratch_load_b128 v[14:17], off, off offset:800
	v_add_f64 v[166:167], v[166:167], v[189:190]
	v_add_f64 v[170:171], v[170:171], v[181:182]
	s_waitcnt vmcnt(8) lgkmcnt(0)
	v_mul_f64 v[181:182], v[6:7], v[24:25]
	v_mul_f64 v[24:25], v[8:9], v[24:25]
	v_fma_f64 v[185:186], v[4:5], v[18:19], v[185:186]
	v_fma_f64 v[189:190], v[2:3], v[18:19], -v[20:21]
	ds_load_b128 v[2:5], v1 offset:1600
	scratch_load_b128 v[18:21], off, off offset:816
	v_add_f64 v[166:167], v[166:167], v[187:188]
	v_add_f64 v[170:171], v[170:171], v[183:184]
	v_fma_f64 v[181:182], v[8:9], v[22:23], v[181:182]
	v_fma_f64 v[187:188], v[6:7], v[22:23], -v[24:25]
	ds_load_b128 v[6:9], v1 offset:1616
	s_waitcnt vmcnt(8) lgkmcnt(1)
	v_mul_f64 v[183:184], v[2:3], v[28:29]
	v_mul_f64 v[28:29], v[4:5], v[28:29]
	scratch_load_b128 v[22:25], off, off offset:832
	v_add_f64 v[166:167], v[166:167], v[189:190]
	v_add_f64 v[170:171], v[170:171], v[185:186]
	s_waitcnt vmcnt(8) lgkmcnt(0)
	v_mul_f64 v[185:186], v[6:7], v[32:33]
	v_mul_f64 v[32:33], v[8:9], v[32:33]
	v_fma_f64 v[183:184], v[4:5], v[26:27], v[183:184]
	v_fma_f64 v[189:190], v[2:3], v[26:27], -v[28:29]
	scratch_load_b128 v[26:29], off, off offset:848
	ds_load_b128 v[2:5], v1 offset:1632
	v_add_f64 v[166:167], v[166:167], v[187:188]
	v_add_f64 v[170:171], v[170:171], v[181:182]
	v_fma_f64 v[185:186], v[8:9], v[30:31], v[185:186]
	v_fma_f64 v[187:188], v[6:7], v[30:31], -v[32:33]
	ds_load_b128 v[6:9], v1 offset:1648
	s_waitcnt vmcnt(8) lgkmcnt(1)
	v_mul_f64 v[181:182], v[2:3], v[36:37]
	v_mul_f64 v[36:37], v[4:5], v[36:37]
	scratch_load_b128 v[30:33], off, off offset:864
	v_add_f64 v[166:167], v[166:167], v[189:190]
	v_add_f64 v[170:171], v[170:171], v[183:184]
	s_waitcnt vmcnt(8) lgkmcnt(0)
	v_mul_f64 v[183:184], v[6:7], v[179:180]
	v_mul_f64 v[179:180], v[8:9], v[179:180]
	v_fma_f64 v[181:182], v[4:5], v[34:35], v[181:182]
	v_fma_f64 v[189:190], v[2:3], v[34:35], -v[36:37]
	scratch_load_b128 v[34:37], off, off offset:880
	ds_load_b128 v[2:5], v1 offset:1664
	v_add_f64 v[166:167], v[166:167], v[187:188]
	v_add_f64 v[170:171], v[170:171], v[185:186]
	v_fma_f64 v[183:184], v[8:9], v[177:178], v[183:184]
	v_fma_f64 v[187:188], v[6:7], v[177:178], -v[179:180]
	ds_load_b128 v[6:9], v1 offset:1680
	s_waitcnt vmcnt(8) lgkmcnt(1)
	v_mul_f64 v[185:186], v[2:3], v[40:41]
	v_mul_f64 v[40:41], v[4:5], v[40:41]
	scratch_load_b128 v[177:180], off, off offset:896
	v_add_f64 v[166:167], v[166:167], v[189:190]
	v_add_f64 v[170:171], v[170:171], v[181:182]
	s_waitcnt vmcnt(8) lgkmcnt(0)
	v_mul_f64 v[181:182], v[6:7], v[175:176]
	v_mul_f64 v[175:176], v[8:9], v[175:176]
	v_fma_f64 v[185:186], v[4:5], v[38:39], v[185:186]
	v_fma_f64 v[38:39], v[2:3], v[38:39], -v[40:41]
	ds_load_b128 v[2:5], v1 offset:1696
	v_add_f64 v[40:41], v[166:167], v[187:188]
	v_add_f64 v[166:167], v[170:171], v[183:184]
	v_fma_f64 v[181:182], v[8:9], v[173:174], v[181:182]
	v_fma_f64 v[173:174], v[6:7], v[173:174], -v[175:176]
	ds_load_b128 v[6:9], v1 offset:1712
	s_waitcnt vmcnt(7) lgkmcnt(1)
	v_mul_f64 v[170:171], v[2:3], v[12:13]
	v_mul_f64 v[12:13], v[4:5], v[12:13]
	v_add_f64 v[38:39], v[40:41], v[38:39]
	v_add_f64 v[40:41], v[166:167], v[185:186]
	s_delay_alu instid0(VALU_DEP_4) | instskip(NEXT) | instid1(VALU_DEP_4)
	v_fma_f64 v[170:171], v[4:5], v[10:11], v[170:171]
	v_fma_f64 v[175:176], v[2:3], v[10:11], -v[12:13]
	scratch_load_b128 v[10:13], off, off offset:256
	s_waitcnt vmcnt(7) lgkmcnt(0)
	v_mul_f64 v[166:167], v[6:7], v[16:17]
	v_mul_f64 v[16:17], v[8:9], v[16:17]
	ds_load_b128 v[2:5], v1 offset:1728
	v_add_f64 v[38:39], v[38:39], v[173:174]
	v_add_f64 v[40:41], v[40:41], v[181:182]
	v_fma_f64 v[166:167], v[8:9], v[14:15], v[166:167]
	v_fma_f64 v[14:15], v[6:7], v[14:15], -v[16:17]
	ds_load_b128 v[6:9], v1 offset:1744
	s_waitcnt vmcnt(6) lgkmcnt(1)
	v_mul_f64 v[173:174], v[2:3], v[20:21]
	v_mul_f64 v[20:21], v[4:5], v[20:21]
	v_add_f64 v[16:17], v[38:39], v[175:176]
	v_add_f64 v[38:39], v[40:41], v[170:171]
	s_waitcnt vmcnt(5) lgkmcnt(0)
	v_mul_f64 v[40:41], v[6:7], v[24:25]
	v_mul_f64 v[24:25], v[8:9], v[24:25]
	v_fma_f64 v[170:171], v[4:5], v[18:19], v[173:174]
	v_fma_f64 v[18:19], v[2:3], v[18:19], -v[20:21]
	ds_load_b128 v[2:5], v1 offset:1760
	v_add_f64 v[14:15], v[16:17], v[14:15]
	v_add_f64 v[16:17], v[38:39], v[166:167]
	v_fma_f64 v[38:39], v[8:9], v[22:23], v[40:41]
	v_fma_f64 v[22:23], v[6:7], v[22:23], -v[24:25]
	ds_load_b128 v[6:9], v1 offset:1776
	s_waitcnt vmcnt(4) lgkmcnt(1)
	v_mul_f64 v[20:21], v[2:3], v[28:29]
	v_mul_f64 v[28:29], v[4:5], v[28:29]
	s_waitcnt vmcnt(3) lgkmcnt(0)
	v_mul_f64 v[24:25], v[8:9], v[32:33]
	v_add_f64 v[14:15], v[14:15], v[18:19]
	v_add_f64 v[16:17], v[16:17], v[170:171]
	v_mul_f64 v[18:19], v[6:7], v[32:33]
	v_fma_f64 v[20:21], v[4:5], v[26:27], v[20:21]
	v_fma_f64 v[26:27], v[2:3], v[26:27], -v[28:29]
	ds_load_b128 v[2:5], v1 offset:1792
	v_fma_f64 v[24:25], v[6:7], v[30:31], -v[24:25]
	v_add_f64 v[14:15], v[14:15], v[22:23]
	v_add_f64 v[16:17], v[16:17], v[38:39]
	v_fma_f64 v[18:19], v[8:9], v[30:31], v[18:19]
	ds_load_b128 v[6:9], v1 offset:1808
	s_waitcnt vmcnt(2) lgkmcnt(1)
	v_mul_f64 v[22:23], v[2:3], v[36:37]
	v_mul_f64 v[28:29], v[4:5], v[36:37]
	v_add_f64 v[14:15], v[14:15], v[26:27]
	v_add_f64 v[16:17], v[16:17], v[20:21]
	s_waitcnt vmcnt(1) lgkmcnt(0)
	v_mul_f64 v[20:21], v[6:7], v[179:180]
	v_mul_f64 v[26:27], v[8:9], v[179:180]
	v_fma_f64 v[4:5], v[4:5], v[34:35], v[22:23]
	v_fma_f64 v[1:2], v[2:3], v[34:35], -v[28:29]
	v_add_f64 v[14:15], v[14:15], v[24:25]
	v_add_f64 v[16:17], v[16:17], v[18:19]
	v_fma_f64 v[8:9], v[8:9], v[177:178], v[20:21]
	v_fma_f64 v[6:7], v[6:7], v[177:178], -v[26:27]
	s_delay_alu instid0(VALU_DEP_4) | instskip(NEXT) | instid1(VALU_DEP_4)
	v_add_f64 v[1:2], v[14:15], v[1:2]
	v_add_f64 v[3:4], v[16:17], v[4:5]
	s_delay_alu instid0(VALU_DEP_2) | instskip(NEXT) | instid1(VALU_DEP_2)
	v_add_f64 v[1:2], v[1:2], v[6:7]
	v_add_f64 v[3:4], v[3:4], v[8:9]
	s_waitcnt vmcnt(0)
	s_delay_alu instid0(VALU_DEP_2) | instskip(NEXT) | instid1(VALU_DEP_2)
	v_add_f64 v[1:2], v[10:11], -v[1:2]
	v_add_f64 v[3:4], v[12:13], -v[3:4]
	scratch_store_b128 off, v[1:4], off offset:256
	v_cmpx_lt_u32_e32 15, v156
	s_cbranch_execz .LBB120_325
; %bb.324:
	scratch_load_b128 v[1:4], v198, off
	v_mov_b32_e32 v5, 0
	s_delay_alu instid0(VALU_DEP_1)
	v_mov_b32_e32 v6, v5
	v_mov_b32_e32 v7, v5
	;; [unrolled: 1-line block ×3, first 2 shown]
	scratch_store_b128 off, v[5:8], off offset:240
	s_waitcnt vmcnt(0)
	ds_store_b128 v213, v[1:4]
.LBB120_325:
	s_or_b32 exec_lo, exec_lo, s2
	s_waitcnt lgkmcnt(0)
	s_waitcnt_vscnt null, 0x0
	s_barrier
	buffer_gl0_inv
	s_clause 0x7
	scratch_load_b128 v[2:5], off, off offset:256
	scratch_load_b128 v[6:9], off, off offset:272
	;; [unrolled: 1-line block ×8, first 2 shown]
	v_mov_b32_e32 v1, 0
	s_clause 0x1
	scratch_load_b128 v[34:37], off, off offset:384
	scratch_load_b128 v[177:180], off, off offset:400
	s_mov_b32 s2, exec_lo
	ds_load_b128 v[38:41], v1 offset:1168
	ds_load_b128 v[173:176], v1 offset:1184
	s_waitcnt vmcnt(9) lgkmcnt(1)
	v_mul_f64 v[166:167], v[40:41], v[4:5]
	v_mul_f64 v[4:5], v[38:39], v[4:5]
	s_waitcnt vmcnt(8) lgkmcnt(0)
	v_mul_f64 v[170:171], v[173:174], v[8:9]
	v_mul_f64 v[8:9], v[175:176], v[8:9]
	s_delay_alu instid0(VALU_DEP_4) | instskip(NEXT) | instid1(VALU_DEP_4)
	v_fma_f64 v[166:167], v[38:39], v[2:3], -v[166:167]
	v_fma_f64 v[181:182], v[40:41], v[2:3], v[4:5]
	ds_load_b128 v[2:5], v1 offset:1200
	scratch_load_b128 v[38:41], off, off offset:416
	v_fma_f64 v[170:171], v[175:176], v[6:7], v[170:171]
	v_fma_f64 v[185:186], v[173:174], v[6:7], -v[8:9]
	scratch_load_b128 v[173:176], off, off offset:432
	ds_load_b128 v[6:9], v1 offset:1216
	s_waitcnt vmcnt(9) lgkmcnt(1)
	v_mul_f64 v[183:184], v[2:3], v[12:13]
	v_mul_f64 v[12:13], v[4:5], v[12:13]
	s_waitcnt vmcnt(8) lgkmcnt(0)
	v_mul_f64 v[187:188], v[6:7], v[16:17]
	v_mul_f64 v[16:17], v[8:9], v[16:17]
	v_add_f64 v[166:167], v[166:167], 0
	v_add_f64 v[181:182], v[181:182], 0
	v_fma_f64 v[183:184], v[4:5], v[10:11], v[183:184]
	v_fma_f64 v[189:190], v[2:3], v[10:11], -v[12:13]
	ds_load_b128 v[2:5], v1 offset:1232
	scratch_load_b128 v[10:13], off, off offset:448
	v_add_f64 v[166:167], v[166:167], v[185:186]
	v_add_f64 v[170:171], v[181:182], v[170:171]
	v_fma_f64 v[185:186], v[8:9], v[14:15], v[187:188]
	v_fma_f64 v[187:188], v[6:7], v[14:15], -v[16:17]
	scratch_load_b128 v[14:17], off, off offset:464
	ds_load_b128 v[6:9], v1 offset:1248
	s_waitcnt vmcnt(9) lgkmcnt(1)
	v_mul_f64 v[181:182], v[2:3], v[20:21]
	v_mul_f64 v[20:21], v[4:5], v[20:21]
	v_add_f64 v[166:167], v[166:167], v[189:190]
	v_add_f64 v[170:171], v[170:171], v[183:184]
	s_waitcnt vmcnt(8) lgkmcnt(0)
	v_mul_f64 v[183:184], v[6:7], v[24:25]
	v_mul_f64 v[24:25], v[8:9], v[24:25]
	v_fma_f64 v[181:182], v[4:5], v[18:19], v[181:182]
	v_fma_f64 v[189:190], v[2:3], v[18:19], -v[20:21]
	ds_load_b128 v[2:5], v1 offset:1264
	scratch_load_b128 v[18:21], off, off offset:480
	v_add_f64 v[166:167], v[166:167], v[187:188]
	v_add_f64 v[170:171], v[170:171], v[185:186]
	v_fma_f64 v[183:184], v[8:9], v[22:23], v[183:184]
	v_fma_f64 v[187:188], v[6:7], v[22:23], -v[24:25]
	scratch_load_b128 v[22:25], off, off offset:496
	ds_load_b128 v[6:9], v1 offset:1280
	s_waitcnt vmcnt(9) lgkmcnt(1)
	v_mul_f64 v[185:186], v[2:3], v[28:29]
	v_mul_f64 v[28:29], v[4:5], v[28:29]
	v_add_f64 v[166:167], v[166:167], v[189:190]
	v_add_f64 v[170:171], v[170:171], v[181:182]
	s_waitcnt vmcnt(8) lgkmcnt(0)
	v_mul_f64 v[181:182], v[6:7], v[32:33]
	v_mul_f64 v[32:33], v[8:9], v[32:33]
	;; [unrolled: 18-line block ×11, first 2 shown]
	v_fma_f64 v[185:186], v[4:5], v[18:19], v[185:186]
	v_fma_f64 v[189:190], v[2:3], v[18:19], -v[20:21]
	ds_load_b128 v[2:5], v1 offset:1584
	scratch_load_b128 v[18:21], off, off offset:800
	v_add_f64 v[166:167], v[166:167], v[187:188]
	v_add_f64 v[170:171], v[170:171], v[183:184]
	v_fma_f64 v[181:182], v[8:9], v[22:23], v[181:182]
	v_fma_f64 v[187:188], v[6:7], v[22:23], -v[24:25]
	ds_load_b128 v[6:9], v1 offset:1600
	s_waitcnt vmcnt(8) lgkmcnt(1)
	v_mul_f64 v[183:184], v[2:3], v[28:29]
	v_mul_f64 v[28:29], v[4:5], v[28:29]
	scratch_load_b128 v[22:25], off, off offset:816
	v_add_f64 v[166:167], v[166:167], v[189:190]
	v_add_f64 v[170:171], v[170:171], v[185:186]
	s_waitcnt vmcnt(8) lgkmcnt(0)
	v_mul_f64 v[185:186], v[6:7], v[32:33]
	v_mul_f64 v[32:33], v[8:9], v[32:33]
	v_fma_f64 v[183:184], v[4:5], v[26:27], v[183:184]
	v_fma_f64 v[189:190], v[2:3], v[26:27], -v[28:29]
	scratch_load_b128 v[26:29], off, off offset:832
	ds_load_b128 v[2:5], v1 offset:1616
	v_add_f64 v[166:167], v[166:167], v[187:188]
	v_add_f64 v[170:171], v[170:171], v[181:182]
	v_fma_f64 v[185:186], v[8:9], v[30:31], v[185:186]
	v_fma_f64 v[187:188], v[6:7], v[30:31], -v[32:33]
	ds_load_b128 v[6:9], v1 offset:1632
	s_waitcnt vmcnt(8) lgkmcnt(1)
	v_mul_f64 v[181:182], v[2:3], v[36:37]
	v_mul_f64 v[36:37], v[4:5], v[36:37]
	scratch_load_b128 v[30:33], off, off offset:848
	v_add_f64 v[166:167], v[166:167], v[189:190]
	v_add_f64 v[170:171], v[170:171], v[183:184]
	s_waitcnt vmcnt(8) lgkmcnt(0)
	v_mul_f64 v[183:184], v[6:7], v[179:180]
	v_mul_f64 v[179:180], v[8:9], v[179:180]
	v_fma_f64 v[181:182], v[4:5], v[34:35], v[181:182]
	v_fma_f64 v[189:190], v[2:3], v[34:35], -v[36:37]
	scratch_load_b128 v[34:37], off, off offset:864
	ds_load_b128 v[2:5], v1 offset:1648
	;; [unrolled: 18-line block ×3, first 2 shown]
	v_add_f64 v[166:167], v[166:167], v[187:188]
	v_add_f64 v[170:171], v[170:171], v[183:184]
	v_fma_f64 v[181:182], v[8:9], v[173:174], v[181:182]
	v_fma_f64 v[173:174], v[6:7], v[173:174], -v[175:176]
	ds_load_b128 v[6:9], v1 offset:1696
	s_waitcnt vmcnt(8) lgkmcnt(1)
	v_mul_f64 v[183:184], v[2:3], v[12:13]
	v_mul_f64 v[12:13], v[4:5], v[12:13]
	s_waitcnt vmcnt(7) lgkmcnt(0)
	v_mul_f64 v[175:176], v[6:7], v[16:17]
	v_mul_f64 v[16:17], v[8:9], v[16:17]
	v_add_f64 v[166:167], v[166:167], v[189:190]
	v_add_f64 v[170:171], v[170:171], v[185:186]
	v_fma_f64 v[183:184], v[4:5], v[10:11], v[183:184]
	v_fma_f64 v[10:11], v[2:3], v[10:11], -v[12:13]
	ds_load_b128 v[2:5], v1 offset:1712
	v_add_f64 v[12:13], v[166:167], v[173:174]
	v_add_f64 v[166:167], v[170:171], v[181:182]
	v_fma_f64 v[173:174], v[8:9], v[14:15], v[175:176]
	v_fma_f64 v[14:15], v[6:7], v[14:15], -v[16:17]
	ds_load_b128 v[6:9], v1 offset:1728
	s_waitcnt vmcnt(5) lgkmcnt(0)
	v_mul_f64 v[175:176], v[6:7], v[24:25]
	v_mul_f64 v[24:25], v[8:9], v[24:25]
	v_add_f64 v[16:17], v[12:13], v[10:11]
	v_add_f64 v[166:167], v[166:167], v[183:184]
	scratch_load_b128 v[10:13], off, off offset:240
	v_mul_f64 v[170:171], v[2:3], v[20:21]
	v_mul_f64 v[20:21], v[4:5], v[20:21]
	v_add_f64 v[14:15], v[16:17], v[14:15]
	v_add_f64 v[16:17], v[166:167], v[173:174]
	v_fma_f64 v[166:167], v[8:9], v[22:23], v[175:176]
	v_fma_f64 v[170:171], v[4:5], v[18:19], v[170:171]
	v_fma_f64 v[18:19], v[2:3], v[18:19], -v[20:21]
	ds_load_b128 v[2:5], v1 offset:1744
	v_fma_f64 v[22:23], v[6:7], v[22:23], -v[24:25]
	ds_load_b128 v[6:9], v1 offset:1760
	s_waitcnt vmcnt(5) lgkmcnt(1)
	v_mul_f64 v[20:21], v[2:3], v[28:29]
	v_mul_f64 v[28:29], v[4:5], v[28:29]
	s_waitcnt vmcnt(4) lgkmcnt(0)
	v_mul_f64 v[24:25], v[8:9], v[32:33]
	v_add_f64 v[16:17], v[16:17], v[170:171]
	v_add_f64 v[14:15], v[14:15], v[18:19]
	v_mul_f64 v[18:19], v[6:7], v[32:33]
	v_fma_f64 v[20:21], v[4:5], v[26:27], v[20:21]
	v_fma_f64 v[26:27], v[2:3], v[26:27], -v[28:29]
	ds_load_b128 v[2:5], v1 offset:1776
	v_fma_f64 v[24:25], v[6:7], v[30:31], -v[24:25]
	v_add_f64 v[16:17], v[16:17], v[166:167]
	v_add_f64 v[14:15], v[14:15], v[22:23]
	v_fma_f64 v[18:19], v[8:9], v[30:31], v[18:19]
	ds_load_b128 v[6:9], v1 offset:1792
	s_waitcnt vmcnt(3) lgkmcnt(1)
	v_mul_f64 v[22:23], v[2:3], v[36:37]
	v_mul_f64 v[28:29], v[4:5], v[36:37]
	v_add_f64 v[16:17], v[16:17], v[20:21]
	v_add_f64 v[14:15], v[14:15], v[26:27]
	s_waitcnt vmcnt(2) lgkmcnt(0)
	v_mul_f64 v[20:21], v[6:7], v[179:180]
	v_mul_f64 v[26:27], v[8:9], v[179:180]
	v_fma_f64 v[22:23], v[4:5], v[34:35], v[22:23]
	v_fma_f64 v[28:29], v[2:3], v[34:35], -v[28:29]
	ds_load_b128 v[2:5], v1 offset:1808
	v_add_f64 v[16:17], v[16:17], v[18:19]
	v_add_f64 v[14:15], v[14:15], v[24:25]
	s_waitcnt vmcnt(1) lgkmcnt(0)
	v_mul_f64 v[18:19], v[2:3], v[40:41]
	v_mul_f64 v[24:25], v[4:5], v[40:41]
	v_fma_f64 v[8:9], v[8:9], v[177:178], v[20:21]
	v_fma_f64 v[6:7], v[6:7], v[177:178], -v[26:27]
	v_add_f64 v[16:17], v[16:17], v[22:23]
	v_add_f64 v[14:15], v[14:15], v[28:29]
	v_fma_f64 v[4:5], v[4:5], v[38:39], v[18:19]
	v_fma_f64 v[2:3], v[2:3], v[38:39], -v[24:25]
	s_delay_alu instid0(VALU_DEP_4) | instskip(NEXT) | instid1(VALU_DEP_4)
	v_add_f64 v[8:9], v[16:17], v[8:9]
	v_add_f64 v[6:7], v[14:15], v[6:7]
	s_delay_alu instid0(VALU_DEP_2) | instskip(NEXT) | instid1(VALU_DEP_2)
	v_add_f64 v[4:5], v[8:9], v[4:5]
	v_add_f64 v[2:3], v[6:7], v[2:3]
	s_waitcnt vmcnt(0)
	s_delay_alu instid0(VALU_DEP_2) | instskip(NEXT) | instid1(VALU_DEP_2)
	v_add_f64 v[4:5], v[12:13], -v[4:5]
	v_add_f64 v[2:3], v[10:11], -v[2:3]
	scratch_store_b128 off, v[2:5], off offset:240
	v_cmpx_lt_u32_e32 14, v156
	s_cbranch_execz .LBB120_327
; %bb.326:
	scratch_load_b128 v[5:8], v199, off
	v_mov_b32_e32 v2, v1
	v_mov_b32_e32 v3, v1
	;; [unrolled: 1-line block ×3, first 2 shown]
	scratch_store_b128 off, v[1:4], off offset:224
	s_waitcnt vmcnt(0)
	ds_store_b128 v213, v[5:8]
.LBB120_327:
	s_or_b32 exec_lo, exec_lo, s2
	s_waitcnt lgkmcnt(0)
	s_waitcnt_vscnt null, 0x0
	s_barrier
	buffer_gl0_inv
	s_clause 0x7
	scratch_load_b128 v[2:5], off, off offset:240
	scratch_load_b128 v[6:9], off, off offset:256
	;; [unrolled: 1-line block ×8, first 2 shown]
	ds_load_b128 v[38:41], v1 offset:1152
	ds_load_b128 v[173:176], v1 offset:1168
	s_clause 0x1
	scratch_load_b128 v[34:37], off, off offset:368
	scratch_load_b128 v[177:180], off, off offset:384
	s_mov_b32 s2, exec_lo
	s_waitcnt vmcnt(9) lgkmcnt(1)
	v_mul_f64 v[166:167], v[40:41], v[4:5]
	v_mul_f64 v[4:5], v[38:39], v[4:5]
	s_waitcnt vmcnt(8) lgkmcnt(0)
	v_mul_f64 v[170:171], v[173:174], v[8:9]
	v_mul_f64 v[8:9], v[175:176], v[8:9]
	s_delay_alu instid0(VALU_DEP_4) | instskip(NEXT) | instid1(VALU_DEP_4)
	v_fma_f64 v[166:167], v[38:39], v[2:3], -v[166:167]
	v_fma_f64 v[181:182], v[40:41], v[2:3], v[4:5]
	ds_load_b128 v[2:5], v1 offset:1184
	scratch_load_b128 v[38:41], off, off offset:400
	v_fma_f64 v[170:171], v[175:176], v[6:7], v[170:171]
	v_fma_f64 v[185:186], v[173:174], v[6:7], -v[8:9]
	scratch_load_b128 v[173:176], off, off offset:416
	ds_load_b128 v[6:9], v1 offset:1200
	s_waitcnt vmcnt(9) lgkmcnt(1)
	v_mul_f64 v[183:184], v[2:3], v[12:13]
	v_mul_f64 v[12:13], v[4:5], v[12:13]
	s_waitcnt vmcnt(8) lgkmcnt(0)
	v_mul_f64 v[187:188], v[6:7], v[16:17]
	v_mul_f64 v[16:17], v[8:9], v[16:17]
	v_add_f64 v[166:167], v[166:167], 0
	v_add_f64 v[181:182], v[181:182], 0
	v_fma_f64 v[183:184], v[4:5], v[10:11], v[183:184]
	v_fma_f64 v[189:190], v[2:3], v[10:11], -v[12:13]
	ds_load_b128 v[2:5], v1 offset:1216
	scratch_load_b128 v[10:13], off, off offset:432
	v_add_f64 v[166:167], v[166:167], v[185:186]
	v_add_f64 v[170:171], v[181:182], v[170:171]
	v_fma_f64 v[185:186], v[8:9], v[14:15], v[187:188]
	v_fma_f64 v[187:188], v[6:7], v[14:15], -v[16:17]
	scratch_load_b128 v[14:17], off, off offset:448
	ds_load_b128 v[6:9], v1 offset:1232
	s_waitcnt vmcnt(9) lgkmcnt(1)
	v_mul_f64 v[181:182], v[2:3], v[20:21]
	v_mul_f64 v[20:21], v[4:5], v[20:21]
	v_add_f64 v[166:167], v[166:167], v[189:190]
	v_add_f64 v[170:171], v[170:171], v[183:184]
	s_waitcnt vmcnt(8) lgkmcnt(0)
	v_mul_f64 v[183:184], v[6:7], v[24:25]
	v_mul_f64 v[24:25], v[8:9], v[24:25]
	v_fma_f64 v[181:182], v[4:5], v[18:19], v[181:182]
	v_fma_f64 v[189:190], v[2:3], v[18:19], -v[20:21]
	ds_load_b128 v[2:5], v1 offset:1248
	scratch_load_b128 v[18:21], off, off offset:464
	v_add_f64 v[166:167], v[166:167], v[187:188]
	v_add_f64 v[170:171], v[170:171], v[185:186]
	v_fma_f64 v[183:184], v[8:9], v[22:23], v[183:184]
	v_fma_f64 v[187:188], v[6:7], v[22:23], -v[24:25]
	scratch_load_b128 v[22:25], off, off offset:480
	ds_load_b128 v[6:9], v1 offset:1264
	s_waitcnt vmcnt(9) lgkmcnt(1)
	v_mul_f64 v[185:186], v[2:3], v[28:29]
	v_mul_f64 v[28:29], v[4:5], v[28:29]
	v_add_f64 v[166:167], v[166:167], v[189:190]
	v_add_f64 v[170:171], v[170:171], v[181:182]
	s_waitcnt vmcnt(8) lgkmcnt(0)
	v_mul_f64 v[181:182], v[6:7], v[32:33]
	v_mul_f64 v[32:33], v[8:9], v[32:33]
	v_fma_f64 v[185:186], v[4:5], v[26:27], v[185:186]
	v_fma_f64 v[189:190], v[2:3], v[26:27], -v[28:29]
	ds_load_b128 v[2:5], v1 offset:1280
	scratch_load_b128 v[26:29], off, off offset:496
	v_add_f64 v[166:167], v[166:167], v[187:188]
	v_add_f64 v[170:171], v[170:171], v[183:184]
	v_fma_f64 v[181:182], v[8:9], v[30:31], v[181:182]
	v_fma_f64 v[187:188], v[6:7], v[30:31], -v[32:33]
	scratch_load_b128 v[30:33], off, off offset:512
	ds_load_b128 v[6:9], v1 offset:1296
	s_waitcnt vmcnt(9) lgkmcnt(1)
	v_mul_f64 v[183:184], v[2:3], v[36:37]
	v_mul_f64 v[36:37], v[4:5], v[36:37]
	v_add_f64 v[166:167], v[166:167], v[189:190]
	v_add_f64 v[170:171], v[170:171], v[185:186]
	s_waitcnt vmcnt(8) lgkmcnt(0)
	v_mul_f64 v[185:186], v[6:7], v[179:180]
	v_mul_f64 v[179:180], v[8:9], v[179:180]
	v_fma_f64 v[183:184], v[4:5], v[34:35], v[183:184]
	v_fma_f64 v[189:190], v[2:3], v[34:35], -v[36:37]
	ds_load_b128 v[2:5], v1 offset:1312
	scratch_load_b128 v[34:37], off, off offset:528
	v_add_f64 v[166:167], v[166:167], v[187:188]
	v_add_f64 v[170:171], v[170:171], v[181:182]
	v_fma_f64 v[185:186], v[8:9], v[177:178], v[185:186]
	v_fma_f64 v[187:188], v[6:7], v[177:178], -v[179:180]
	scratch_load_b128 v[177:180], off, off offset:544
	ds_load_b128 v[6:9], v1 offset:1328
	s_waitcnt vmcnt(9) lgkmcnt(1)
	v_mul_f64 v[181:182], v[2:3], v[40:41]
	v_mul_f64 v[40:41], v[4:5], v[40:41]
	v_add_f64 v[166:167], v[166:167], v[189:190]
	v_add_f64 v[170:171], v[170:171], v[183:184]
	s_waitcnt vmcnt(8) lgkmcnt(0)
	v_mul_f64 v[183:184], v[6:7], v[175:176]
	v_mul_f64 v[175:176], v[8:9], v[175:176]
	v_fma_f64 v[181:182], v[4:5], v[38:39], v[181:182]
	v_fma_f64 v[189:190], v[2:3], v[38:39], -v[40:41]
	ds_load_b128 v[2:5], v1 offset:1344
	scratch_load_b128 v[38:41], off, off offset:560
	v_add_f64 v[166:167], v[166:167], v[187:188]
	v_add_f64 v[170:171], v[170:171], v[185:186]
	v_fma_f64 v[183:184], v[8:9], v[173:174], v[183:184]
	v_fma_f64 v[187:188], v[6:7], v[173:174], -v[175:176]
	scratch_load_b128 v[173:176], off, off offset:576
	ds_load_b128 v[6:9], v1 offset:1360
	s_waitcnt vmcnt(9) lgkmcnt(1)
	v_mul_f64 v[185:186], v[2:3], v[12:13]
	v_mul_f64 v[12:13], v[4:5], v[12:13]
	v_add_f64 v[166:167], v[166:167], v[189:190]
	v_add_f64 v[170:171], v[170:171], v[181:182]
	s_waitcnt vmcnt(8) lgkmcnt(0)
	v_mul_f64 v[181:182], v[6:7], v[16:17]
	v_mul_f64 v[16:17], v[8:9], v[16:17]
	v_fma_f64 v[185:186], v[4:5], v[10:11], v[185:186]
	v_fma_f64 v[189:190], v[2:3], v[10:11], -v[12:13]
	ds_load_b128 v[2:5], v1 offset:1376
	scratch_load_b128 v[10:13], off, off offset:592
	v_add_f64 v[166:167], v[166:167], v[187:188]
	v_add_f64 v[170:171], v[170:171], v[183:184]
	v_fma_f64 v[181:182], v[8:9], v[14:15], v[181:182]
	v_fma_f64 v[187:188], v[6:7], v[14:15], -v[16:17]
	scratch_load_b128 v[14:17], off, off offset:608
	ds_load_b128 v[6:9], v1 offset:1392
	s_waitcnt vmcnt(9) lgkmcnt(1)
	v_mul_f64 v[183:184], v[2:3], v[20:21]
	v_mul_f64 v[20:21], v[4:5], v[20:21]
	v_add_f64 v[166:167], v[166:167], v[189:190]
	v_add_f64 v[170:171], v[170:171], v[185:186]
	s_waitcnt vmcnt(8) lgkmcnt(0)
	v_mul_f64 v[185:186], v[6:7], v[24:25]
	v_mul_f64 v[24:25], v[8:9], v[24:25]
	v_fma_f64 v[183:184], v[4:5], v[18:19], v[183:184]
	v_fma_f64 v[189:190], v[2:3], v[18:19], -v[20:21]
	ds_load_b128 v[2:5], v1 offset:1408
	scratch_load_b128 v[18:21], off, off offset:624
	v_add_f64 v[166:167], v[166:167], v[187:188]
	v_add_f64 v[170:171], v[170:171], v[181:182]
	v_fma_f64 v[185:186], v[8:9], v[22:23], v[185:186]
	v_fma_f64 v[187:188], v[6:7], v[22:23], -v[24:25]
	scratch_load_b128 v[22:25], off, off offset:640
	ds_load_b128 v[6:9], v1 offset:1424
	s_waitcnt vmcnt(9) lgkmcnt(1)
	v_mul_f64 v[181:182], v[2:3], v[28:29]
	v_mul_f64 v[28:29], v[4:5], v[28:29]
	v_add_f64 v[166:167], v[166:167], v[189:190]
	v_add_f64 v[170:171], v[170:171], v[183:184]
	s_waitcnt vmcnt(8) lgkmcnt(0)
	v_mul_f64 v[183:184], v[6:7], v[32:33]
	v_mul_f64 v[32:33], v[8:9], v[32:33]
	v_fma_f64 v[181:182], v[4:5], v[26:27], v[181:182]
	v_fma_f64 v[189:190], v[2:3], v[26:27], -v[28:29]
	ds_load_b128 v[2:5], v1 offset:1440
	scratch_load_b128 v[26:29], off, off offset:656
	v_add_f64 v[166:167], v[166:167], v[187:188]
	v_add_f64 v[170:171], v[170:171], v[185:186]
	v_fma_f64 v[183:184], v[8:9], v[30:31], v[183:184]
	v_fma_f64 v[187:188], v[6:7], v[30:31], -v[32:33]
	scratch_load_b128 v[30:33], off, off offset:672
	ds_load_b128 v[6:9], v1 offset:1456
	s_waitcnt vmcnt(9) lgkmcnt(1)
	v_mul_f64 v[185:186], v[2:3], v[36:37]
	v_mul_f64 v[36:37], v[4:5], v[36:37]
	v_add_f64 v[166:167], v[166:167], v[189:190]
	v_add_f64 v[170:171], v[170:171], v[181:182]
	s_waitcnt vmcnt(8) lgkmcnt(0)
	v_mul_f64 v[181:182], v[6:7], v[179:180]
	v_mul_f64 v[179:180], v[8:9], v[179:180]
	v_fma_f64 v[185:186], v[4:5], v[34:35], v[185:186]
	v_fma_f64 v[189:190], v[2:3], v[34:35], -v[36:37]
	ds_load_b128 v[2:5], v1 offset:1472
	scratch_load_b128 v[34:37], off, off offset:688
	v_add_f64 v[166:167], v[166:167], v[187:188]
	v_add_f64 v[170:171], v[170:171], v[183:184]
	v_fma_f64 v[181:182], v[8:9], v[177:178], v[181:182]
	v_fma_f64 v[187:188], v[6:7], v[177:178], -v[179:180]
	scratch_load_b128 v[177:180], off, off offset:704
	ds_load_b128 v[6:9], v1 offset:1488
	s_waitcnt vmcnt(9) lgkmcnt(1)
	v_mul_f64 v[183:184], v[2:3], v[40:41]
	v_mul_f64 v[40:41], v[4:5], v[40:41]
	v_add_f64 v[166:167], v[166:167], v[189:190]
	v_add_f64 v[170:171], v[170:171], v[185:186]
	s_waitcnt vmcnt(8) lgkmcnt(0)
	v_mul_f64 v[185:186], v[6:7], v[175:176]
	v_mul_f64 v[175:176], v[8:9], v[175:176]
	v_fma_f64 v[183:184], v[4:5], v[38:39], v[183:184]
	v_fma_f64 v[189:190], v[2:3], v[38:39], -v[40:41]
	ds_load_b128 v[2:5], v1 offset:1504
	scratch_load_b128 v[38:41], off, off offset:720
	v_add_f64 v[166:167], v[166:167], v[187:188]
	v_add_f64 v[170:171], v[170:171], v[181:182]
	v_fma_f64 v[185:186], v[8:9], v[173:174], v[185:186]
	v_fma_f64 v[187:188], v[6:7], v[173:174], -v[175:176]
	scratch_load_b128 v[173:176], off, off offset:736
	ds_load_b128 v[6:9], v1 offset:1520
	s_waitcnt vmcnt(9) lgkmcnt(1)
	v_mul_f64 v[181:182], v[2:3], v[12:13]
	v_mul_f64 v[12:13], v[4:5], v[12:13]
	v_add_f64 v[166:167], v[166:167], v[189:190]
	v_add_f64 v[170:171], v[170:171], v[183:184]
	s_waitcnt vmcnt(8) lgkmcnt(0)
	v_mul_f64 v[183:184], v[6:7], v[16:17]
	v_mul_f64 v[16:17], v[8:9], v[16:17]
	v_fma_f64 v[181:182], v[4:5], v[10:11], v[181:182]
	v_fma_f64 v[189:190], v[2:3], v[10:11], -v[12:13]
	ds_load_b128 v[2:5], v1 offset:1536
	scratch_load_b128 v[10:13], off, off offset:752
	v_add_f64 v[166:167], v[166:167], v[187:188]
	v_add_f64 v[170:171], v[170:171], v[185:186]
	v_fma_f64 v[183:184], v[8:9], v[14:15], v[183:184]
	v_fma_f64 v[187:188], v[6:7], v[14:15], -v[16:17]
	scratch_load_b128 v[14:17], off, off offset:768
	ds_load_b128 v[6:9], v1 offset:1552
	s_waitcnt vmcnt(9) lgkmcnt(1)
	v_mul_f64 v[185:186], v[2:3], v[20:21]
	v_mul_f64 v[20:21], v[4:5], v[20:21]
	v_add_f64 v[166:167], v[166:167], v[189:190]
	v_add_f64 v[170:171], v[170:171], v[181:182]
	s_waitcnt vmcnt(8) lgkmcnt(0)
	v_mul_f64 v[181:182], v[6:7], v[24:25]
	v_mul_f64 v[24:25], v[8:9], v[24:25]
	v_fma_f64 v[185:186], v[4:5], v[18:19], v[185:186]
	v_fma_f64 v[189:190], v[2:3], v[18:19], -v[20:21]
	ds_load_b128 v[2:5], v1 offset:1568
	scratch_load_b128 v[18:21], off, off offset:784
	v_add_f64 v[166:167], v[166:167], v[187:188]
	v_add_f64 v[170:171], v[170:171], v[183:184]
	v_fma_f64 v[181:182], v[8:9], v[22:23], v[181:182]
	v_fma_f64 v[187:188], v[6:7], v[22:23], -v[24:25]
	ds_load_b128 v[6:9], v1 offset:1584
	s_waitcnt vmcnt(8) lgkmcnt(1)
	v_mul_f64 v[183:184], v[2:3], v[28:29]
	v_mul_f64 v[28:29], v[4:5], v[28:29]
	scratch_load_b128 v[22:25], off, off offset:800
	v_add_f64 v[166:167], v[166:167], v[189:190]
	v_add_f64 v[170:171], v[170:171], v[185:186]
	s_waitcnt vmcnt(8) lgkmcnt(0)
	v_mul_f64 v[185:186], v[6:7], v[32:33]
	v_mul_f64 v[32:33], v[8:9], v[32:33]
	v_fma_f64 v[183:184], v[4:5], v[26:27], v[183:184]
	v_fma_f64 v[189:190], v[2:3], v[26:27], -v[28:29]
	ds_load_b128 v[2:5], v1 offset:1600
	scratch_load_b128 v[26:29], off, off offset:816
	v_add_f64 v[166:167], v[166:167], v[187:188]
	v_add_f64 v[170:171], v[170:171], v[181:182]
	v_fma_f64 v[185:186], v[8:9], v[30:31], v[185:186]
	v_fma_f64 v[187:188], v[6:7], v[30:31], -v[32:33]
	ds_load_b128 v[6:9], v1 offset:1616
	s_waitcnt vmcnt(8) lgkmcnt(1)
	v_mul_f64 v[181:182], v[2:3], v[36:37]
	v_mul_f64 v[36:37], v[4:5], v[36:37]
	scratch_load_b128 v[30:33], off, off offset:832
	v_add_f64 v[166:167], v[166:167], v[189:190]
	v_add_f64 v[170:171], v[170:171], v[183:184]
	s_waitcnt vmcnt(8) lgkmcnt(0)
	v_mul_f64 v[183:184], v[6:7], v[179:180]
	v_mul_f64 v[179:180], v[8:9], v[179:180]
	v_fma_f64 v[181:182], v[4:5], v[34:35], v[181:182]
	v_fma_f64 v[189:190], v[2:3], v[34:35], -v[36:37]
	scratch_load_b128 v[34:37], off, off offset:848
	ds_load_b128 v[2:5], v1 offset:1632
	v_add_f64 v[166:167], v[166:167], v[187:188]
	v_add_f64 v[170:171], v[170:171], v[185:186]
	v_fma_f64 v[183:184], v[8:9], v[177:178], v[183:184]
	v_fma_f64 v[187:188], v[6:7], v[177:178], -v[179:180]
	ds_load_b128 v[6:9], v1 offset:1648
	s_waitcnt vmcnt(8) lgkmcnt(1)
	v_mul_f64 v[185:186], v[2:3], v[40:41]
	v_mul_f64 v[40:41], v[4:5], v[40:41]
	scratch_load_b128 v[177:180], off, off offset:864
	v_add_f64 v[166:167], v[166:167], v[189:190]
	v_add_f64 v[170:171], v[170:171], v[181:182]
	s_waitcnt vmcnt(8) lgkmcnt(0)
	v_mul_f64 v[181:182], v[6:7], v[175:176]
	v_mul_f64 v[175:176], v[8:9], v[175:176]
	v_fma_f64 v[185:186], v[4:5], v[38:39], v[185:186]
	v_fma_f64 v[189:190], v[2:3], v[38:39], -v[40:41]
	scratch_load_b128 v[38:41], off, off offset:880
	ds_load_b128 v[2:5], v1 offset:1664
	v_add_f64 v[166:167], v[166:167], v[187:188]
	v_add_f64 v[170:171], v[170:171], v[183:184]
	v_fma_f64 v[181:182], v[8:9], v[173:174], v[181:182]
	v_fma_f64 v[187:188], v[6:7], v[173:174], -v[175:176]
	ds_load_b128 v[6:9], v1 offset:1680
	s_waitcnt vmcnt(8) lgkmcnt(1)
	v_mul_f64 v[183:184], v[2:3], v[12:13]
	v_mul_f64 v[12:13], v[4:5], v[12:13]
	scratch_load_b128 v[173:176], off, off offset:896
	v_add_f64 v[166:167], v[166:167], v[189:190]
	v_add_f64 v[170:171], v[170:171], v[185:186]
	s_waitcnt vmcnt(8) lgkmcnt(0)
	v_mul_f64 v[185:186], v[6:7], v[16:17]
	v_mul_f64 v[16:17], v[8:9], v[16:17]
	v_fma_f64 v[183:184], v[4:5], v[10:11], v[183:184]
	v_fma_f64 v[10:11], v[2:3], v[10:11], -v[12:13]
	ds_load_b128 v[2:5], v1 offset:1696
	v_add_f64 v[12:13], v[166:167], v[187:188]
	v_add_f64 v[166:167], v[170:171], v[181:182]
	v_fma_f64 v[181:182], v[8:9], v[14:15], v[185:186]
	v_fma_f64 v[14:15], v[6:7], v[14:15], -v[16:17]
	ds_load_b128 v[6:9], v1 offset:1712
	s_waitcnt vmcnt(7) lgkmcnt(1)
	v_mul_f64 v[170:171], v[2:3], v[20:21]
	v_mul_f64 v[20:21], v[4:5], v[20:21]
	v_add_f64 v[10:11], v[12:13], v[10:11]
	v_add_f64 v[12:13], v[166:167], v[183:184]
	s_delay_alu instid0(VALU_DEP_4) | instskip(NEXT) | instid1(VALU_DEP_4)
	v_fma_f64 v[166:167], v[4:5], v[18:19], v[170:171]
	v_fma_f64 v[18:19], v[2:3], v[18:19], -v[20:21]
	ds_load_b128 v[2:5], v1 offset:1728
	v_add_f64 v[14:15], v[10:11], v[14:15]
	v_add_f64 v[20:21], v[12:13], v[181:182]
	scratch_load_b128 v[10:13], off, off offset:224
	s_waitcnt vmcnt(7) lgkmcnt(1)
	v_mul_f64 v[16:17], v[6:7], v[24:25]
	v_mul_f64 v[24:25], v[8:9], v[24:25]
	v_add_f64 v[14:15], v[14:15], v[18:19]
	v_add_f64 v[18:19], v[20:21], v[166:167]
	s_delay_alu instid0(VALU_DEP_4) | instskip(NEXT) | instid1(VALU_DEP_4)
	v_fma_f64 v[16:17], v[8:9], v[22:23], v[16:17]
	v_fma_f64 v[22:23], v[6:7], v[22:23], -v[24:25]
	ds_load_b128 v[6:9], v1 offset:1744
	s_waitcnt vmcnt(6) lgkmcnt(1)
	v_mul_f64 v[170:171], v[2:3], v[28:29]
	v_mul_f64 v[28:29], v[4:5], v[28:29]
	s_waitcnt vmcnt(5) lgkmcnt(0)
	v_mul_f64 v[20:21], v[6:7], v[32:33]
	v_mul_f64 v[24:25], v[8:9], v[32:33]
	v_add_f64 v[16:17], v[18:19], v[16:17]
	v_add_f64 v[14:15], v[14:15], v[22:23]
	v_fma_f64 v[32:33], v[4:5], v[26:27], v[170:171]
	v_fma_f64 v[26:27], v[2:3], v[26:27], -v[28:29]
	ds_load_b128 v[2:5], v1 offset:1760
	v_fma_f64 v[20:21], v[8:9], v[30:31], v[20:21]
	v_fma_f64 v[24:25], v[6:7], v[30:31], -v[24:25]
	ds_load_b128 v[6:9], v1 offset:1776
	s_waitcnt vmcnt(4) lgkmcnt(1)
	v_mul_f64 v[18:19], v[2:3], v[36:37]
	v_mul_f64 v[22:23], v[4:5], v[36:37]
	v_add_f64 v[16:17], v[16:17], v[32:33]
	v_add_f64 v[14:15], v[14:15], v[26:27]
	s_waitcnt vmcnt(3) lgkmcnt(0)
	v_mul_f64 v[26:27], v[6:7], v[179:180]
	v_mul_f64 v[28:29], v[8:9], v[179:180]
	v_fma_f64 v[18:19], v[4:5], v[34:35], v[18:19]
	v_fma_f64 v[22:23], v[2:3], v[34:35], -v[22:23]
	ds_load_b128 v[2:5], v1 offset:1792
	v_add_f64 v[16:17], v[16:17], v[20:21]
	v_add_f64 v[14:15], v[14:15], v[24:25]
	v_fma_f64 v[26:27], v[8:9], v[177:178], v[26:27]
	v_fma_f64 v[28:29], v[6:7], v[177:178], -v[28:29]
	ds_load_b128 v[6:9], v1 offset:1808
	s_waitcnt vmcnt(2) lgkmcnt(1)
	v_mul_f64 v[20:21], v[2:3], v[40:41]
	v_mul_f64 v[24:25], v[4:5], v[40:41]
	v_add_f64 v[16:17], v[16:17], v[18:19]
	v_add_f64 v[14:15], v[14:15], v[22:23]
	s_waitcnt vmcnt(1) lgkmcnt(0)
	v_mul_f64 v[18:19], v[6:7], v[175:176]
	v_mul_f64 v[22:23], v[8:9], v[175:176]
	v_fma_f64 v[4:5], v[4:5], v[38:39], v[20:21]
	v_fma_f64 v[1:2], v[2:3], v[38:39], -v[24:25]
	v_add_f64 v[16:17], v[16:17], v[26:27]
	v_add_f64 v[14:15], v[14:15], v[28:29]
	v_fma_f64 v[8:9], v[8:9], v[173:174], v[18:19]
	v_fma_f64 v[6:7], v[6:7], v[173:174], -v[22:23]
	s_delay_alu instid0(VALU_DEP_4) | instskip(NEXT) | instid1(VALU_DEP_4)
	v_add_f64 v[3:4], v[16:17], v[4:5]
	v_add_f64 v[1:2], v[14:15], v[1:2]
	s_delay_alu instid0(VALU_DEP_2) | instskip(NEXT) | instid1(VALU_DEP_2)
	v_add_f64 v[3:4], v[3:4], v[8:9]
	v_add_f64 v[1:2], v[1:2], v[6:7]
	s_waitcnt vmcnt(0)
	s_delay_alu instid0(VALU_DEP_2) | instskip(NEXT) | instid1(VALU_DEP_2)
	v_add_f64 v[3:4], v[12:13], -v[3:4]
	v_add_f64 v[1:2], v[10:11], -v[1:2]
	scratch_store_b128 off, v[1:4], off offset:224
	v_cmpx_lt_u32_e32 13, v156
	s_cbranch_execz .LBB120_329
; %bb.328:
	scratch_load_b128 v[1:4], v200, off
	v_mov_b32_e32 v5, 0
	s_delay_alu instid0(VALU_DEP_1)
	v_mov_b32_e32 v6, v5
	v_mov_b32_e32 v7, v5
	v_mov_b32_e32 v8, v5
	scratch_store_b128 off, v[5:8], off offset:208
	s_waitcnt vmcnt(0)
	ds_store_b128 v213, v[1:4]
.LBB120_329:
	s_or_b32 exec_lo, exec_lo, s2
	s_waitcnt lgkmcnt(0)
	s_waitcnt_vscnt null, 0x0
	s_barrier
	buffer_gl0_inv
	s_clause 0x7
	scratch_load_b128 v[2:5], off, off offset:224
	scratch_load_b128 v[6:9], off, off offset:240
	;; [unrolled: 1-line block ×8, first 2 shown]
	v_mov_b32_e32 v1, 0
	s_clause 0x1
	scratch_load_b128 v[34:37], off, off offset:352
	scratch_load_b128 v[177:180], off, off offset:368
	s_mov_b32 s2, exec_lo
	ds_load_b128 v[38:41], v1 offset:1136
	ds_load_b128 v[173:176], v1 offset:1152
	s_waitcnt vmcnt(9) lgkmcnt(1)
	v_mul_f64 v[166:167], v[40:41], v[4:5]
	v_mul_f64 v[4:5], v[38:39], v[4:5]
	s_waitcnt vmcnt(8) lgkmcnt(0)
	v_mul_f64 v[170:171], v[173:174], v[8:9]
	v_mul_f64 v[8:9], v[175:176], v[8:9]
	s_delay_alu instid0(VALU_DEP_4) | instskip(NEXT) | instid1(VALU_DEP_4)
	v_fma_f64 v[166:167], v[38:39], v[2:3], -v[166:167]
	v_fma_f64 v[181:182], v[40:41], v[2:3], v[4:5]
	ds_load_b128 v[2:5], v1 offset:1168
	scratch_load_b128 v[38:41], off, off offset:384
	v_fma_f64 v[170:171], v[175:176], v[6:7], v[170:171]
	v_fma_f64 v[185:186], v[173:174], v[6:7], -v[8:9]
	scratch_load_b128 v[173:176], off, off offset:400
	ds_load_b128 v[6:9], v1 offset:1184
	s_waitcnt vmcnt(9) lgkmcnt(1)
	v_mul_f64 v[183:184], v[2:3], v[12:13]
	v_mul_f64 v[12:13], v[4:5], v[12:13]
	s_waitcnt vmcnt(8) lgkmcnt(0)
	v_mul_f64 v[187:188], v[6:7], v[16:17]
	v_mul_f64 v[16:17], v[8:9], v[16:17]
	v_add_f64 v[166:167], v[166:167], 0
	v_add_f64 v[181:182], v[181:182], 0
	v_fma_f64 v[183:184], v[4:5], v[10:11], v[183:184]
	v_fma_f64 v[189:190], v[2:3], v[10:11], -v[12:13]
	ds_load_b128 v[2:5], v1 offset:1200
	scratch_load_b128 v[10:13], off, off offset:416
	v_add_f64 v[166:167], v[166:167], v[185:186]
	v_add_f64 v[170:171], v[181:182], v[170:171]
	v_fma_f64 v[185:186], v[8:9], v[14:15], v[187:188]
	v_fma_f64 v[187:188], v[6:7], v[14:15], -v[16:17]
	scratch_load_b128 v[14:17], off, off offset:432
	ds_load_b128 v[6:9], v1 offset:1216
	s_waitcnt vmcnt(9) lgkmcnt(1)
	v_mul_f64 v[181:182], v[2:3], v[20:21]
	v_mul_f64 v[20:21], v[4:5], v[20:21]
	v_add_f64 v[166:167], v[166:167], v[189:190]
	v_add_f64 v[170:171], v[170:171], v[183:184]
	s_waitcnt vmcnt(8) lgkmcnt(0)
	v_mul_f64 v[183:184], v[6:7], v[24:25]
	v_mul_f64 v[24:25], v[8:9], v[24:25]
	v_fma_f64 v[181:182], v[4:5], v[18:19], v[181:182]
	v_fma_f64 v[189:190], v[2:3], v[18:19], -v[20:21]
	ds_load_b128 v[2:5], v1 offset:1232
	scratch_load_b128 v[18:21], off, off offset:448
	v_add_f64 v[166:167], v[166:167], v[187:188]
	v_add_f64 v[170:171], v[170:171], v[185:186]
	v_fma_f64 v[183:184], v[8:9], v[22:23], v[183:184]
	v_fma_f64 v[187:188], v[6:7], v[22:23], -v[24:25]
	scratch_load_b128 v[22:25], off, off offset:464
	ds_load_b128 v[6:9], v1 offset:1248
	s_waitcnt vmcnt(9) lgkmcnt(1)
	v_mul_f64 v[185:186], v[2:3], v[28:29]
	v_mul_f64 v[28:29], v[4:5], v[28:29]
	v_add_f64 v[166:167], v[166:167], v[189:190]
	v_add_f64 v[170:171], v[170:171], v[181:182]
	s_waitcnt vmcnt(8) lgkmcnt(0)
	v_mul_f64 v[181:182], v[6:7], v[32:33]
	v_mul_f64 v[32:33], v[8:9], v[32:33]
	;; [unrolled: 18-line block ×12, first 2 shown]
	v_fma_f64 v[183:184], v[4:5], v[26:27], v[183:184]
	v_fma_f64 v[189:190], v[2:3], v[26:27], -v[28:29]
	ds_load_b128 v[2:5], v1 offset:1584
	scratch_load_b128 v[26:29], off, off offset:800
	v_add_f64 v[166:167], v[166:167], v[187:188]
	v_add_f64 v[170:171], v[170:171], v[181:182]
	v_fma_f64 v[185:186], v[8:9], v[30:31], v[185:186]
	v_fma_f64 v[187:188], v[6:7], v[30:31], -v[32:33]
	ds_load_b128 v[6:9], v1 offset:1600
	s_waitcnt vmcnt(8) lgkmcnt(1)
	v_mul_f64 v[181:182], v[2:3], v[36:37]
	v_mul_f64 v[36:37], v[4:5], v[36:37]
	scratch_load_b128 v[30:33], off, off offset:816
	v_add_f64 v[166:167], v[166:167], v[189:190]
	v_add_f64 v[170:171], v[170:171], v[183:184]
	s_waitcnt vmcnt(8) lgkmcnt(0)
	v_mul_f64 v[183:184], v[6:7], v[179:180]
	v_mul_f64 v[179:180], v[8:9], v[179:180]
	v_fma_f64 v[181:182], v[4:5], v[34:35], v[181:182]
	v_fma_f64 v[189:190], v[2:3], v[34:35], -v[36:37]
	scratch_load_b128 v[34:37], off, off offset:832
	ds_load_b128 v[2:5], v1 offset:1616
	v_add_f64 v[166:167], v[166:167], v[187:188]
	v_add_f64 v[170:171], v[170:171], v[185:186]
	v_fma_f64 v[183:184], v[8:9], v[177:178], v[183:184]
	v_fma_f64 v[187:188], v[6:7], v[177:178], -v[179:180]
	ds_load_b128 v[6:9], v1 offset:1632
	s_waitcnt vmcnt(8) lgkmcnt(1)
	v_mul_f64 v[185:186], v[2:3], v[40:41]
	v_mul_f64 v[40:41], v[4:5], v[40:41]
	scratch_load_b128 v[177:180], off, off offset:848
	v_add_f64 v[166:167], v[166:167], v[189:190]
	v_add_f64 v[170:171], v[170:171], v[181:182]
	s_waitcnt vmcnt(8) lgkmcnt(0)
	v_mul_f64 v[181:182], v[6:7], v[175:176]
	v_mul_f64 v[175:176], v[8:9], v[175:176]
	v_fma_f64 v[185:186], v[4:5], v[38:39], v[185:186]
	v_fma_f64 v[189:190], v[2:3], v[38:39], -v[40:41]
	scratch_load_b128 v[38:41], off, off offset:864
	ds_load_b128 v[2:5], v1 offset:1648
	;; [unrolled: 18-line block ×3, first 2 shown]
	v_add_f64 v[166:167], v[166:167], v[187:188]
	v_add_f64 v[170:171], v[170:171], v[181:182]
	v_fma_f64 v[185:186], v[8:9], v[14:15], v[185:186]
	v_fma_f64 v[14:15], v[6:7], v[14:15], -v[16:17]
	ds_load_b128 v[6:9], v1 offset:1696
	s_waitcnt vmcnt(8) lgkmcnt(1)
	v_mul_f64 v[181:182], v[2:3], v[20:21]
	v_mul_f64 v[20:21], v[4:5], v[20:21]
	v_add_f64 v[16:17], v[166:167], v[189:190]
	v_add_f64 v[166:167], v[170:171], v[183:184]
	s_waitcnt vmcnt(7) lgkmcnt(0)
	v_mul_f64 v[170:171], v[6:7], v[24:25]
	v_mul_f64 v[24:25], v[8:9], v[24:25]
	v_fma_f64 v[181:182], v[4:5], v[18:19], v[181:182]
	v_fma_f64 v[18:19], v[2:3], v[18:19], -v[20:21]
	ds_load_b128 v[2:5], v1 offset:1712
	v_add_f64 v[14:15], v[16:17], v[14:15]
	v_add_f64 v[16:17], v[166:167], v[185:186]
	v_fma_f64 v[166:167], v[8:9], v[22:23], v[170:171]
	v_fma_f64 v[22:23], v[6:7], v[22:23], -v[24:25]
	ds_load_b128 v[6:9], v1 offset:1728
	s_waitcnt vmcnt(5) lgkmcnt(0)
	v_mul_f64 v[170:171], v[6:7], v[32:33]
	v_mul_f64 v[32:33], v[8:9], v[32:33]
	v_add_f64 v[18:19], v[14:15], v[18:19]
	v_add_f64 v[24:25], v[16:17], v[181:182]
	scratch_load_b128 v[14:17], off, off offset:208
	v_mul_f64 v[20:21], v[2:3], v[28:29]
	v_mul_f64 v[28:29], v[4:5], v[28:29]
	v_add_f64 v[18:19], v[18:19], v[22:23]
	v_add_f64 v[22:23], v[24:25], v[166:167]
	s_delay_alu instid0(VALU_DEP_4) | instskip(NEXT) | instid1(VALU_DEP_4)
	v_fma_f64 v[20:21], v[4:5], v[26:27], v[20:21]
	v_fma_f64 v[26:27], v[2:3], v[26:27], -v[28:29]
	ds_load_b128 v[2:5], v1 offset:1744
	s_waitcnt vmcnt(5) lgkmcnt(0)
	v_mul_f64 v[24:25], v[2:3], v[36:37]
	v_mul_f64 v[28:29], v[4:5], v[36:37]
	v_fma_f64 v[36:37], v[8:9], v[30:31], v[170:171]
	v_fma_f64 v[30:31], v[6:7], v[30:31], -v[32:33]
	ds_load_b128 v[6:9], v1 offset:1760
	v_add_f64 v[20:21], v[22:23], v[20:21]
	v_add_f64 v[18:19], v[18:19], v[26:27]
	v_fma_f64 v[24:25], v[4:5], v[34:35], v[24:25]
	v_fma_f64 v[28:29], v[2:3], v[34:35], -v[28:29]
	ds_load_b128 v[2:5], v1 offset:1776
	s_waitcnt vmcnt(4) lgkmcnt(1)
	v_mul_f64 v[22:23], v[6:7], v[179:180]
	v_mul_f64 v[26:27], v[8:9], v[179:180]
	v_add_f64 v[20:21], v[20:21], v[36:37]
	v_add_f64 v[18:19], v[18:19], v[30:31]
	s_waitcnt vmcnt(3) lgkmcnt(0)
	v_mul_f64 v[30:31], v[2:3], v[40:41]
	v_mul_f64 v[32:33], v[4:5], v[40:41]
	v_fma_f64 v[22:23], v[8:9], v[177:178], v[22:23]
	v_fma_f64 v[26:27], v[6:7], v[177:178], -v[26:27]
	ds_load_b128 v[6:9], v1 offset:1792
	v_add_f64 v[20:21], v[20:21], v[24:25]
	v_add_f64 v[18:19], v[18:19], v[28:29]
	v_fma_f64 v[30:31], v[4:5], v[38:39], v[30:31]
	v_fma_f64 v[32:33], v[2:3], v[38:39], -v[32:33]
	ds_load_b128 v[2:5], v1 offset:1808
	s_waitcnt vmcnt(2) lgkmcnt(1)
	v_mul_f64 v[24:25], v[6:7], v[175:176]
	v_mul_f64 v[28:29], v[8:9], v[175:176]
	v_add_f64 v[20:21], v[20:21], v[22:23]
	v_add_f64 v[18:19], v[18:19], v[26:27]
	s_waitcnt vmcnt(1) lgkmcnt(0)
	v_mul_f64 v[22:23], v[2:3], v[12:13]
	v_mul_f64 v[12:13], v[4:5], v[12:13]
	v_fma_f64 v[8:9], v[8:9], v[173:174], v[24:25]
	v_fma_f64 v[6:7], v[6:7], v[173:174], -v[28:29]
	v_add_f64 v[20:21], v[20:21], v[30:31]
	v_add_f64 v[18:19], v[18:19], v[32:33]
	v_fma_f64 v[4:5], v[4:5], v[10:11], v[22:23]
	v_fma_f64 v[2:3], v[2:3], v[10:11], -v[12:13]
	s_delay_alu instid0(VALU_DEP_4) | instskip(NEXT) | instid1(VALU_DEP_4)
	v_add_f64 v[8:9], v[20:21], v[8:9]
	v_add_f64 v[6:7], v[18:19], v[6:7]
	s_delay_alu instid0(VALU_DEP_2) | instskip(NEXT) | instid1(VALU_DEP_2)
	v_add_f64 v[4:5], v[8:9], v[4:5]
	v_add_f64 v[2:3], v[6:7], v[2:3]
	s_waitcnt vmcnt(0)
	s_delay_alu instid0(VALU_DEP_2) | instskip(NEXT) | instid1(VALU_DEP_2)
	v_add_f64 v[4:5], v[16:17], -v[4:5]
	v_add_f64 v[2:3], v[14:15], -v[2:3]
	scratch_store_b128 off, v[2:5], off offset:208
	v_cmpx_lt_u32_e32 12, v156
	s_cbranch_execz .LBB120_331
; %bb.330:
	scratch_load_b128 v[5:8], v201, off
	v_mov_b32_e32 v2, v1
	v_mov_b32_e32 v3, v1
	;; [unrolled: 1-line block ×3, first 2 shown]
	scratch_store_b128 off, v[1:4], off offset:192
	s_waitcnt vmcnt(0)
	ds_store_b128 v213, v[5:8]
.LBB120_331:
	s_or_b32 exec_lo, exec_lo, s2
	s_waitcnt lgkmcnt(0)
	s_waitcnt_vscnt null, 0x0
	s_barrier
	buffer_gl0_inv
	s_clause 0x7
	scratch_load_b128 v[2:5], off, off offset:208
	scratch_load_b128 v[6:9], off, off offset:224
	;; [unrolled: 1-line block ×8, first 2 shown]
	ds_load_b128 v[38:41], v1 offset:1120
	ds_load_b128 v[173:176], v1 offset:1136
	s_clause 0x1
	scratch_load_b128 v[34:37], off, off offset:336
	scratch_load_b128 v[177:180], off, off offset:352
	s_mov_b32 s2, exec_lo
	s_waitcnt vmcnt(9) lgkmcnt(1)
	v_mul_f64 v[166:167], v[40:41], v[4:5]
	v_mul_f64 v[4:5], v[38:39], v[4:5]
	s_waitcnt vmcnt(8) lgkmcnt(0)
	v_mul_f64 v[170:171], v[173:174], v[8:9]
	v_mul_f64 v[8:9], v[175:176], v[8:9]
	s_delay_alu instid0(VALU_DEP_4) | instskip(NEXT) | instid1(VALU_DEP_4)
	v_fma_f64 v[166:167], v[38:39], v[2:3], -v[166:167]
	v_fma_f64 v[181:182], v[40:41], v[2:3], v[4:5]
	ds_load_b128 v[2:5], v1 offset:1152
	scratch_load_b128 v[38:41], off, off offset:368
	v_fma_f64 v[170:171], v[175:176], v[6:7], v[170:171]
	v_fma_f64 v[185:186], v[173:174], v[6:7], -v[8:9]
	scratch_load_b128 v[173:176], off, off offset:384
	ds_load_b128 v[6:9], v1 offset:1168
	s_waitcnt vmcnt(9) lgkmcnt(1)
	v_mul_f64 v[183:184], v[2:3], v[12:13]
	v_mul_f64 v[12:13], v[4:5], v[12:13]
	s_waitcnt vmcnt(8) lgkmcnt(0)
	v_mul_f64 v[187:188], v[6:7], v[16:17]
	v_mul_f64 v[16:17], v[8:9], v[16:17]
	v_add_f64 v[166:167], v[166:167], 0
	v_add_f64 v[181:182], v[181:182], 0
	v_fma_f64 v[183:184], v[4:5], v[10:11], v[183:184]
	v_fma_f64 v[189:190], v[2:3], v[10:11], -v[12:13]
	ds_load_b128 v[2:5], v1 offset:1184
	scratch_load_b128 v[10:13], off, off offset:400
	v_add_f64 v[166:167], v[166:167], v[185:186]
	v_add_f64 v[170:171], v[181:182], v[170:171]
	v_fma_f64 v[185:186], v[8:9], v[14:15], v[187:188]
	v_fma_f64 v[187:188], v[6:7], v[14:15], -v[16:17]
	scratch_load_b128 v[14:17], off, off offset:416
	ds_load_b128 v[6:9], v1 offset:1200
	s_waitcnt vmcnt(9) lgkmcnt(1)
	v_mul_f64 v[181:182], v[2:3], v[20:21]
	v_mul_f64 v[20:21], v[4:5], v[20:21]
	v_add_f64 v[166:167], v[166:167], v[189:190]
	v_add_f64 v[170:171], v[170:171], v[183:184]
	s_waitcnt vmcnt(8) lgkmcnt(0)
	v_mul_f64 v[183:184], v[6:7], v[24:25]
	v_mul_f64 v[24:25], v[8:9], v[24:25]
	v_fma_f64 v[181:182], v[4:5], v[18:19], v[181:182]
	v_fma_f64 v[189:190], v[2:3], v[18:19], -v[20:21]
	ds_load_b128 v[2:5], v1 offset:1216
	scratch_load_b128 v[18:21], off, off offset:432
	v_add_f64 v[166:167], v[166:167], v[187:188]
	v_add_f64 v[170:171], v[170:171], v[185:186]
	v_fma_f64 v[183:184], v[8:9], v[22:23], v[183:184]
	v_fma_f64 v[187:188], v[6:7], v[22:23], -v[24:25]
	scratch_load_b128 v[22:25], off, off offset:448
	ds_load_b128 v[6:9], v1 offset:1232
	s_waitcnt vmcnt(9) lgkmcnt(1)
	v_mul_f64 v[185:186], v[2:3], v[28:29]
	v_mul_f64 v[28:29], v[4:5], v[28:29]
	v_add_f64 v[166:167], v[166:167], v[189:190]
	v_add_f64 v[170:171], v[170:171], v[181:182]
	s_waitcnt vmcnt(8) lgkmcnt(0)
	v_mul_f64 v[181:182], v[6:7], v[32:33]
	v_mul_f64 v[32:33], v[8:9], v[32:33]
	;; [unrolled: 18-line block ×12, first 2 shown]
	v_fma_f64 v[183:184], v[4:5], v[26:27], v[183:184]
	v_fma_f64 v[189:190], v[2:3], v[26:27], -v[28:29]
	ds_load_b128 v[2:5], v1 offset:1568
	scratch_load_b128 v[26:29], off, off offset:784
	v_add_f64 v[166:167], v[166:167], v[187:188]
	v_add_f64 v[170:171], v[170:171], v[181:182]
	v_fma_f64 v[185:186], v[8:9], v[30:31], v[185:186]
	v_fma_f64 v[187:188], v[6:7], v[30:31], -v[32:33]
	ds_load_b128 v[6:9], v1 offset:1584
	s_waitcnt vmcnt(8) lgkmcnt(1)
	v_mul_f64 v[181:182], v[2:3], v[36:37]
	v_mul_f64 v[36:37], v[4:5], v[36:37]
	scratch_load_b128 v[30:33], off, off offset:800
	v_add_f64 v[166:167], v[166:167], v[189:190]
	v_add_f64 v[170:171], v[170:171], v[183:184]
	s_waitcnt vmcnt(8) lgkmcnt(0)
	v_mul_f64 v[183:184], v[6:7], v[179:180]
	v_mul_f64 v[179:180], v[8:9], v[179:180]
	v_fma_f64 v[181:182], v[4:5], v[34:35], v[181:182]
	v_fma_f64 v[189:190], v[2:3], v[34:35], -v[36:37]
	ds_load_b128 v[2:5], v1 offset:1600
	scratch_load_b128 v[34:37], off, off offset:816
	v_add_f64 v[166:167], v[166:167], v[187:188]
	v_add_f64 v[170:171], v[170:171], v[185:186]
	v_fma_f64 v[183:184], v[8:9], v[177:178], v[183:184]
	v_fma_f64 v[187:188], v[6:7], v[177:178], -v[179:180]
	ds_load_b128 v[6:9], v1 offset:1616
	s_waitcnt vmcnt(8) lgkmcnt(1)
	v_mul_f64 v[185:186], v[2:3], v[40:41]
	v_mul_f64 v[40:41], v[4:5], v[40:41]
	scratch_load_b128 v[177:180], off, off offset:832
	v_add_f64 v[166:167], v[166:167], v[189:190]
	v_add_f64 v[170:171], v[170:171], v[181:182]
	s_waitcnt vmcnt(8) lgkmcnt(0)
	v_mul_f64 v[181:182], v[6:7], v[175:176]
	v_mul_f64 v[175:176], v[8:9], v[175:176]
	v_fma_f64 v[185:186], v[4:5], v[38:39], v[185:186]
	v_fma_f64 v[189:190], v[2:3], v[38:39], -v[40:41]
	scratch_load_b128 v[38:41], off, off offset:848
	ds_load_b128 v[2:5], v1 offset:1632
	v_add_f64 v[166:167], v[166:167], v[187:188]
	v_add_f64 v[170:171], v[170:171], v[183:184]
	v_fma_f64 v[181:182], v[8:9], v[173:174], v[181:182]
	v_fma_f64 v[187:188], v[6:7], v[173:174], -v[175:176]
	ds_load_b128 v[6:9], v1 offset:1648
	s_waitcnt vmcnt(8) lgkmcnt(1)
	v_mul_f64 v[183:184], v[2:3], v[12:13]
	v_mul_f64 v[12:13], v[4:5], v[12:13]
	scratch_load_b128 v[173:176], off, off offset:864
	v_add_f64 v[166:167], v[166:167], v[189:190]
	v_add_f64 v[170:171], v[170:171], v[185:186]
	s_waitcnt vmcnt(8) lgkmcnt(0)
	v_mul_f64 v[185:186], v[6:7], v[16:17]
	v_mul_f64 v[16:17], v[8:9], v[16:17]
	v_fma_f64 v[183:184], v[4:5], v[10:11], v[183:184]
	v_fma_f64 v[189:190], v[2:3], v[10:11], -v[12:13]
	scratch_load_b128 v[10:13], off, off offset:880
	ds_load_b128 v[2:5], v1 offset:1664
	v_add_f64 v[166:167], v[166:167], v[187:188]
	v_add_f64 v[170:171], v[170:171], v[181:182]
	v_fma_f64 v[185:186], v[8:9], v[14:15], v[185:186]
	v_fma_f64 v[187:188], v[6:7], v[14:15], -v[16:17]
	ds_load_b128 v[6:9], v1 offset:1680
	s_waitcnt vmcnt(8) lgkmcnt(1)
	v_mul_f64 v[181:182], v[2:3], v[20:21]
	v_mul_f64 v[20:21], v[4:5], v[20:21]
	scratch_load_b128 v[14:17], off, off offset:896
	v_add_f64 v[166:167], v[166:167], v[189:190]
	v_add_f64 v[170:171], v[170:171], v[183:184]
	s_waitcnt vmcnt(8) lgkmcnt(0)
	v_mul_f64 v[183:184], v[6:7], v[24:25]
	v_mul_f64 v[24:25], v[8:9], v[24:25]
	v_fma_f64 v[181:182], v[4:5], v[18:19], v[181:182]
	v_fma_f64 v[18:19], v[2:3], v[18:19], -v[20:21]
	ds_load_b128 v[2:5], v1 offset:1696
	v_add_f64 v[20:21], v[166:167], v[187:188]
	v_add_f64 v[166:167], v[170:171], v[185:186]
	v_fma_f64 v[183:184], v[8:9], v[22:23], v[183:184]
	v_fma_f64 v[22:23], v[6:7], v[22:23], -v[24:25]
	ds_load_b128 v[6:9], v1 offset:1712
	s_waitcnt vmcnt(7) lgkmcnt(1)
	v_mul_f64 v[170:171], v[2:3], v[28:29]
	v_mul_f64 v[28:29], v[4:5], v[28:29]
	v_add_f64 v[18:19], v[20:21], v[18:19]
	v_add_f64 v[20:21], v[166:167], v[181:182]
	s_delay_alu instid0(VALU_DEP_4) | instskip(NEXT) | instid1(VALU_DEP_4)
	v_fma_f64 v[166:167], v[4:5], v[26:27], v[170:171]
	v_fma_f64 v[26:27], v[2:3], v[26:27], -v[28:29]
	ds_load_b128 v[2:5], v1 offset:1728
	v_add_f64 v[22:23], v[18:19], v[22:23]
	v_add_f64 v[28:29], v[20:21], v[183:184]
	scratch_load_b128 v[18:21], off, off offset:192
	s_waitcnt vmcnt(7) lgkmcnt(1)
	v_mul_f64 v[24:25], v[6:7], v[32:33]
	v_mul_f64 v[32:33], v[8:9], v[32:33]
	v_add_f64 v[22:23], v[22:23], v[26:27]
	v_add_f64 v[26:27], v[28:29], v[166:167]
	s_delay_alu instid0(VALU_DEP_4) | instskip(NEXT) | instid1(VALU_DEP_4)
	v_fma_f64 v[24:25], v[8:9], v[30:31], v[24:25]
	v_fma_f64 v[30:31], v[6:7], v[30:31], -v[32:33]
	ds_load_b128 v[6:9], v1 offset:1744
	s_waitcnt vmcnt(6) lgkmcnt(1)
	v_mul_f64 v[170:171], v[2:3], v[36:37]
	v_mul_f64 v[36:37], v[4:5], v[36:37]
	s_waitcnt vmcnt(5) lgkmcnt(0)
	v_mul_f64 v[28:29], v[6:7], v[179:180]
	v_mul_f64 v[32:33], v[8:9], v[179:180]
	v_add_f64 v[24:25], v[26:27], v[24:25]
	v_add_f64 v[22:23], v[22:23], v[30:31]
	v_fma_f64 v[166:167], v[4:5], v[34:35], v[170:171]
	v_fma_f64 v[34:35], v[2:3], v[34:35], -v[36:37]
	ds_load_b128 v[2:5], v1 offset:1760
	v_fma_f64 v[28:29], v[8:9], v[177:178], v[28:29]
	v_fma_f64 v[32:33], v[6:7], v[177:178], -v[32:33]
	ds_load_b128 v[6:9], v1 offset:1776
	s_waitcnt vmcnt(4) lgkmcnt(1)
	v_mul_f64 v[26:27], v[2:3], v[40:41]
	v_mul_f64 v[30:31], v[4:5], v[40:41]
	v_add_f64 v[24:25], v[24:25], v[166:167]
	v_add_f64 v[22:23], v[22:23], v[34:35]
	s_waitcnt vmcnt(3) lgkmcnt(0)
	v_mul_f64 v[34:35], v[6:7], v[175:176]
	v_mul_f64 v[36:37], v[8:9], v[175:176]
	v_fma_f64 v[26:27], v[4:5], v[38:39], v[26:27]
	v_fma_f64 v[30:31], v[2:3], v[38:39], -v[30:31]
	ds_load_b128 v[2:5], v1 offset:1792
	v_add_f64 v[24:25], v[24:25], v[28:29]
	v_add_f64 v[22:23], v[22:23], v[32:33]
	v_fma_f64 v[32:33], v[8:9], v[173:174], v[34:35]
	v_fma_f64 v[34:35], v[6:7], v[173:174], -v[36:37]
	ds_load_b128 v[6:9], v1 offset:1808
	s_waitcnt vmcnt(2) lgkmcnt(1)
	v_mul_f64 v[28:29], v[2:3], v[12:13]
	v_mul_f64 v[12:13], v[4:5], v[12:13]
	v_add_f64 v[24:25], v[24:25], v[26:27]
	v_add_f64 v[22:23], v[22:23], v[30:31]
	s_waitcnt vmcnt(1) lgkmcnt(0)
	v_mul_f64 v[26:27], v[6:7], v[16:17]
	v_mul_f64 v[16:17], v[8:9], v[16:17]
	v_fma_f64 v[4:5], v[4:5], v[10:11], v[28:29]
	v_fma_f64 v[1:2], v[2:3], v[10:11], -v[12:13]
	v_add_f64 v[12:13], v[24:25], v[32:33]
	v_add_f64 v[10:11], v[22:23], v[34:35]
	v_fma_f64 v[8:9], v[8:9], v[14:15], v[26:27]
	v_fma_f64 v[6:7], v[6:7], v[14:15], -v[16:17]
	s_delay_alu instid0(VALU_DEP_4) | instskip(NEXT) | instid1(VALU_DEP_4)
	v_add_f64 v[3:4], v[12:13], v[4:5]
	v_add_f64 v[1:2], v[10:11], v[1:2]
	s_delay_alu instid0(VALU_DEP_2) | instskip(NEXT) | instid1(VALU_DEP_2)
	v_add_f64 v[3:4], v[3:4], v[8:9]
	v_add_f64 v[1:2], v[1:2], v[6:7]
	s_waitcnt vmcnt(0)
	s_delay_alu instid0(VALU_DEP_2) | instskip(NEXT) | instid1(VALU_DEP_2)
	v_add_f64 v[3:4], v[20:21], -v[3:4]
	v_add_f64 v[1:2], v[18:19], -v[1:2]
	scratch_store_b128 off, v[1:4], off offset:192
	v_cmpx_lt_u32_e32 11, v156
	s_cbranch_execz .LBB120_333
; %bb.332:
	scratch_load_b128 v[1:4], v202, off
	v_mov_b32_e32 v5, 0
	s_delay_alu instid0(VALU_DEP_1)
	v_mov_b32_e32 v6, v5
	v_mov_b32_e32 v7, v5
	;; [unrolled: 1-line block ×3, first 2 shown]
	scratch_store_b128 off, v[5:8], off offset:176
	s_waitcnt vmcnt(0)
	ds_store_b128 v213, v[1:4]
.LBB120_333:
	s_or_b32 exec_lo, exec_lo, s2
	s_waitcnt lgkmcnt(0)
	s_waitcnt_vscnt null, 0x0
	s_barrier
	buffer_gl0_inv
	s_clause 0x7
	scratch_load_b128 v[2:5], off, off offset:192
	scratch_load_b128 v[6:9], off, off offset:208
	;; [unrolled: 1-line block ×8, first 2 shown]
	v_mov_b32_e32 v1, 0
	s_clause 0x1
	scratch_load_b128 v[34:37], off, off offset:320
	scratch_load_b128 v[177:180], off, off offset:336
	s_mov_b32 s2, exec_lo
	ds_load_b128 v[38:41], v1 offset:1104
	ds_load_b128 v[173:176], v1 offset:1120
	s_waitcnt vmcnt(9) lgkmcnt(1)
	v_mul_f64 v[166:167], v[40:41], v[4:5]
	v_mul_f64 v[4:5], v[38:39], v[4:5]
	s_waitcnt vmcnt(8) lgkmcnt(0)
	v_mul_f64 v[170:171], v[173:174], v[8:9]
	v_mul_f64 v[8:9], v[175:176], v[8:9]
	s_delay_alu instid0(VALU_DEP_4) | instskip(NEXT) | instid1(VALU_DEP_4)
	v_fma_f64 v[166:167], v[38:39], v[2:3], -v[166:167]
	v_fma_f64 v[181:182], v[40:41], v[2:3], v[4:5]
	ds_load_b128 v[2:5], v1 offset:1136
	scratch_load_b128 v[38:41], off, off offset:352
	v_fma_f64 v[170:171], v[175:176], v[6:7], v[170:171]
	v_fma_f64 v[185:186], v[173:174], v[6:7], -v[8:9]
	scratch_load_b128 v[173:176], off, off offset:368
	ds_load_b128 v[6:9], v1 offset:1152
	s_waitcnt vmcnt(9) lgkmcnt(1)
	v_mul_f64 v[183:184], v[2:3], v[12:13]
	v_mul_f64 v[12:13], v[4:5], v[12:13]
	s_waitcnt vmcnt(8) lgkmcnt(0)
	v_mul_f64 v[187:188], v[6:7], v[16:17]
	v_mul_f64 v[16:17], v[8:9], v[16:17]
	v_add_f64 v[166:167], v[166:167], 0
	v_add_f64 v[181:182], v[181:182], 0
	v_fma_f64 v[183:184], v[4:5], v[10:11], v[183:184]
	v_fma_f64 v[189:190], v[2:3], v[10:11], -v[12:13]
	ds_load_b128 v[2:5], v1 offset:1168
	scratch_load_b128 v[10:13], off, off offset:384
	v_add_f64 v[166:167], v[166:167], v[185:186]
	v_add_f64 v[170:171], v[181:182], v[170:171]
	v_fma_f64 v[185:186], v[8:9], v[14:15], v[187:188]
	v_fma_f64 v[187:188], v[6:7], v[14:15], -v[16:17]
	scratch_load_b128 v[14:17], off, off offset:400
	ds_load_b128 v[6:9], v1 offset:1184
	s_waitcnt vmcnt(9) lgkmcnt(1)
	v_mul_f64 v[181:182], v[2:3], v[20:21]
	v_mul_f64 v[20:21], v[4:5], v[20:21]
	v_add_f64 v[166:167], v[166:167], v[189:190]
	v_add_f64 v[170:171], v[170:171], v[183:184]
	s_waitcnt vmcnt(8) lgkmcnt(0)
	v_mul_f64 v[183:184], v[6:7], v[24:25]
	v_mul_f64 v[24:25], v[8:9], v[24:25]
	v_fma_f64 v[181:182], v[4:5], v[18:19], v[181:182]
	v_fma_f64 v[189:190], v[2:3], v[18:19], -v[20:21]
	ds_load_b128 v[2:5], v1 offset:1200
	scratch_load_b128 v[18:21], off, off offset:416
	v_add_f64 v[166:167], v[166:167], v[187:188]
	v_add_f64 v[170:171], v[170:171], v[185:186]
	v_fma_f64 v[183:184], v[8:9], v[22:23], v[183:184]
	v_fma_f64 v[187:188], v[6:7], v[22:23], -v[24:25]
	scratch_load_b128 v[22:25], off, off offset:432
	ds_load_b128 v[6:9], v1 offset:1216
	s_waitcnt vmcnt(9) lgkmcnt(1)
	v_mul_f64 v[185:186], v[2:3], v[28:29]
	v_mul_f64 v[28:29], v[4:5], v[28:29]
	v_add_f64 v[166:167], v[166:167], v[189:190]
	v_add_f64 v[170:171], v[170:171], v[181:182]
	s_waitcnt vmcnt(8) lgkmcnt(0)
	v_mul_f64 v[181:182], v[6:7], v[32:33]
	v_mul_f64 v[32:33], v[8:9], v[32:33]
	v_fma_f64 v[185:186], v[4:5], v[26:27], v[185:186]
	v_fma_f64 v[189:190], v[2:3], v[26:27], -v[28:29]
	ds_load_b128 v[2:5], v1 offset:1232
	scratch_load_b128 v[26:29], off, off offset:448
	v_add_f64 v[166:167], v[166:167], v[187:188]
	v_add_f64 v[170:171], v[170:171], v[183:184]
	v_fma_f64 v[181:182], v[8:9], v[30:31], v[181:182]
	v_fma_f64 v[187:188], v[6:7], v[30:31], -v[32:33]
	scratch_load_b128 v[30:33], off, off offset:464
	ds_load_b128 v[6:9], v1 offset:1248
	s_waitcnt vmcnt(9) lgkmcnt(1)
	v_mul_f64 v[183:184], v[2:3], v[36:37]
	v_mul_f64 v[36:37], v[4:5], v[36:37]
	v_add_f64 v[166:167], v[166:167], v[189:190]
	v_add_f64 v[170:171], v[170:171], v[185:186]
	s_waitcnt vmcnt(8) lgkmcnt(0)
	v_mul_f64 v[185:186], v[6:7], v[179:180]
	v_mul_f64 v[179:180], v[8:9], v[179:180]
	v_fma_f64 v[183:184], v[4:5], v[34:35], v[183:184]
	v_fma_f64 v[189:190], v[2:3], v[34:35], -v[36:37]
	ds_load_b128 v[2:5], v1 offset:1264
	scratch_load_b128 v[34:37], off, off offset:480
	v_add_f64 v[166:167], v[166:167], v[187:188]
	v_add_f64 v[170:171], v[170:171], v[181:182]
	v_fma_f64 v[185:186], v[8:9], v[177:178], v[185:186]
	v_fma_f64 v[187:188], v[6:7], v[177:178], -v[179:180]
	scratch_load_b128 v[177:180], off, off offset:496
	ds_load_b128 v[6:9], v1 offset:1280
	s_waitcnt vmcnt(9) lgkmcnt(1)
	v_mul_f64 v[181:182], v[2:3], v[40:41]
	v_mul_f64 v[40:41], v[4:5], v[40:41]
	v_add_f64 v[166:167], v[166:167], v[189:190]
	v_add_f64 v[170:171], v[170:171], v[183:184]
	s_waitcnt vmcnt(8) lgkmcnt(0)
	v_mul_f64 v[183:184], v[6:7], v[175:176]
	v_mul_f64 v[175:176], v[8:9], v[175:176]
	v_fma_f64 v[181:182], v[4:5], v[38:39], v[181:182]
	v_fma_f64 v[189:190], v[2:3], v[38:39], -v[40:41]
	ds_load_b128 v[2:5], v1 offset:1296
	scratch_load_b128 v[38:41], off, off offset:512
	v_add_f64 v[166:167], v[166:167], v[187:188]
	v_add_f64 v[170:171], v[170:171], v[185:186]
	v_fma_f64 v[183:184], v[8:9], v[173:174], v[183:184]
	v_fma_f64 v[187:188], v[6:7], v[173:174], -v[175:176]
	scratch_load_b128 v[173:176], off, off offset:528
	ds_load_b128 v[6:9], v1 offset:1312
	s_waitcnt vmcnt(9) lgkmcnt(1)
	v_mul_f64 v[185:186], v[2:3], v[12:13]
	v_mul_f64 v[12:13], v[4:5], v[12:13]
	v_add_f64 v[166:167], v[166:167], v[189:190]
	v_add_f64 v[170:171], v[170:171], v[181:182]
	s_waitcnt vmcnt(8) lgkmcnt(0)
	v_mul_f64 v[181:182], v[6:7], v[16:17]
	v_mul_f64 v[16:17], v[8:9], v[16:17]
	v_fma_f64 v[185:186], v[4:5], v[10:11], v[185:186]
	v_fma_f64 v[189:190], v[2:3], v[10:11], -v[12:13]
	ds_load_b128 v[2:5], v1 offset:1328
	scratch_load_b128 v[10:13], off, off offset:544
	v_add_f64 v[166:167], v[166:167], v[187:188]
	v_add_f64 v[170:171], v[170:171], v[183:184]
	v_fma_f64 v[181:182], v[8:9], v[14:15], v[181:182]
	v_fma_f64 v[187:188], v[6:7], v[14:15], -v[16:17]
	scratch_load_b128 v[14:17], off, off offset:560
	ds_load_b128 v[6:9], v1 offset:1344
	s_waitcnt vmcnt(9) lgkmcnt(1)
	v_mul_f64 v[183:184], v[2:3], v[20:21]
	v_mul_f64 v[20:21], v[4:5], v[20:21]
	v_add_f64 v[166:167], v[166:167], v[189:190]
	v_add_f64 v[170:171], v[170:171], v[185:186]
	s_waitcnt vmcnt(8) lgkmcnt(0)
	v_mul_f64 v[185:186], v[6:7], v[24:25]
	v_mul_f64 v[24:25], v[8:9], v[24:25]
	v_fma_f64 v[183:184], v[4:5], v[18:19], v[183:184]
	v_fma_f64 v[189:190], v[2:3], v[18:19], -v[20:21]
	ds_load_b128 v[2:5], v1 offset:1360
	scratch_load_b128 v[18:21], off, off offset:576
	v_add_f64 v[166:167], v[166:167], v[187:188]
	v_add_f64 v[170:171], v[170:171], v[181:182]
	v_fma_f64 v[185:186], v[8:9], v[22:23], v[185:186]
	v_fma_f64 v[187:188], v[6:7], v[22:23], -v[24:25]
	scratch_load_b128 v[22:25], off, off offset:592
	ds_load_b128 v[6:9], v1 offset:1376
	s_waitcnt vmcnt(9) lgkmcnt(1)
	v_mul_f64 v[181:182], v[2:3], v[28:29]
	v_mul_f64 v[28:29], v[4:5], v[28:29]
	v_add_f64 v[166:167], v[166:167], v[189:190]
	v_add_f64 v[170:171], v[170:171], v[183:184]
	s_waitcnt vmcnt(8) lgkmcnt(0)
	v_mul_f64 v[183:184], v[6:7], v[32:33]
	v_mul_f64 v[32:33], v[8:9], v[32:33]
	v_fma_f64 v[181:182], v[4:5], v[26:27], v[181:182]
	v_fma_f64 v[189:190], v[2:3], v[26:27], -v[28:29]
	ds_load_b128 v[2:5], v1 offset:1392
	scratch_load_b128 v[26:29], off, off offset:608
	v_add_f64 v[166:167], v[166:167], v[187:188]
	v_add_f64 v[170:171], v[170:171], v[185:186]
	v_fma_f64 v[183:184], v[8:9], v[30:31], v[183:184]
	v_fma_f64 v[187:188], v[6:7], v[30:31], -v[32:33]
	scratch_load_b128 v[30:33], off, off offset:624
	ds_load_b128 v[6:9], v1 offset:1408
	s_waitcnt vmcnt(9) lgkmcnt(1)
	v_mul_f64 v[185:186], v[2:3], v[36:37]
	v_mul_f64 v[36:37], v[4:5], v[36:37]
	v_add_f64 v[166:167], v[166:167], v[189:190]
	v_add_f64 v[170:171], v[170:171], v[181:182]
	s_waitcnt vmcnt(8) lgkmcnt(0)
	v_mul_f64 v[181:182], v[6:7], v[179:180]
	v_mul_f64 v[179:180], v[8:9], v[179:180]
	v_fma_f64 v[185:186], v[4:5], v[34:35], v[185:186]
	v_fma_f64 v[189:190], v[2:3], v[34:35], -v[36:37]
	ds_load_b128 v[2:5], v1 offset:1424
	scratch_load_b128 v[34:37], off, off offset:640
	v_add_f64 v[166:167], v[166:167], v[187:188]
	v_add_f64 v[170:171], v[170:171], v[183:184]
	v_fma_f64 v[181:182], v[8:9], v[177:178], v[181:182]
	v_fma_f64 v[187:188], v[6:7], v[177:178], -v[179:180]
	scratch_load_b128 v[177:180], off, off offset:656
	ds_load_b128 v[6:9], v1 offset:1440
	s_waitcnt vmcnt(9) lgkmcnt(1)
	v_mul_f64 v[183:184], v[2:3], v[40:41]
	v_mul_f64 v[40:41], v[4:5], v[40:41]
	v_add_f64 v[166:167], v[166:167], v[189:190]
	v_add_f64 v[170:171], v[170:171], v[185:186]
	s_waitcnt vmcnt(8) lgkmcnt(0)
	v_mul_f64 v[185:186], v[6:7], v[175:176]
	v_mul_f64 v[175:176], v[8:9], v[175:176]
	v_fma_f64 v[183:184], v[4:5], v[38:39], v[183:184]
	v_fma_f64 v[189:190], v[2:3], v[38:39], -v[40:41]
	ds_load_b128 v[2:5], v1 offset:1456
	scratch_load_b128 v[38:41], off, off offset:672
	v_add_f64 v[166:167], v[166:167], v[187:188]
	v_add_f64 v[170:171], v[170:171], v[181:182]
	v_fma_f64 v[185:186], v[8:9], v[173:174], v[185:186]
	v_fma_f64 v[187:188], v[6:7], v[173:174], -v[175:176]
	scratch_load_b128 v[173:176], off, off offset:688
	ds_load_b128 v[6:9], v1 offset:1472
	s_waitcnt vmcnt(9) lgkmcnt(1)
	v_mul_f64 v[181:182], v[2:3], v[12:13]
	v_mul_f64 v[12:13], v[4:5], v[12:13]
	v_add_f64 v[166:167], v[166:167], v[189:190]
	v_add_f64 v[170:171], v[170:171], v[183:184]
	s_waitcnt vmcnt(8) lgkmcnt(0)
	v_mul_f64 v[183:184], v[6:7], v[16:17]
	v_mul_f64 v[16:17], v[8:9], v[16:17]
	v_fma_f64 v[181:182], v[4:5], v[10:11], v[181:182]
	v_fma_f64 v[189:190], v[2:3], v[10:11], -v[12:13]
	ds_load_b128 v[2:5], v1 offset:1488
	scratch_load_b128 v[10:13], off, off offset:704
	v_add_f64 v[166:167], v[166:167], v[187:188]
	v_add_f64 v[170:171], v[170:171], v[185:186]
	v_fma_f64 v[183:184], v[8:9], v[14:15], v[183:184]
	v_fma_f64 v[187:188], v[6:7], v[14:15], -v[16:17]
	scratch_load_b128 v[14:17], off, off offset:720
	ds_load_b128 v[6:9], v1 offset:1504
	s_waitcnt vmcnt(9) lgkmcnt(1)
	v_mul_f64 v[185:186], v[2:3], v[20:21]
	v_mul_f64 v[20:21], v[4:5], v[20:21]
	v_add_f64 v[166:167], v[166:167], v[189:190]
	v_add_f64 v[170:171], v[170:171], v[181:182]
	s_waitcnt vmcnt(8) lgkmcnt(0)
	v_mul_f64 v[181:182], v[6:7], v[24:25]
	v_mul_f64 v[24:25], v[8:9], v[24:25]
	v_fma_f64 v[185:186], v[4:5], v[18:19], v[185:186]
	v_fma_f64 v[189:190], v[2:3], v[18:19], -v[20:21]
	ds_load_b128 v[2:5], v1 offset:1520
	scratch_load_b128 v[18:21], off, off offset:736
	v_add_f64 v[166:167], v[166:167], v[187:188]
	v_add_f64 v[170:171], v[170:171], v[183:184]
	v_fma_f64 v[181:182], v[8:9], v[22:23], v[181:182]
	v_fma_f64 v[187:188], v[6:7], v[22:23], -v[24:25]
	scratch_load_b128 v[22:25], off, off offset:752
	ds_load_b128 v[6:9], v1 offset:1536
	s_waitcnt vmcnt(9) lgkmcnt(1)
	v_mul_f64 v[183:184], v[2:3], v[28:29]
	v_mul_f64 v[28:29], v[4:5], v[28:29]
	v_add_f64 v[166:167], v[166:167], v[189:190]
	v_add_f64 v[170:171], v[170:171], v[185:186]
	s_waitcnt vmcnt(8) lgkmcnt(0)
	v_mul_f64 v[185:186], v[6:7], v[32:33]
	v_mul_f64 v[32:33], v[8:9], v[32:33]
	v_fma_f64 v[183:184], v[4:5], v[26:27], v[183:184]
	v_fma_f64 v[189:190], v[2:3], v[26:27], -v[28:29]
	ds_load_b128 v[2:5], v1 offset:1552
	scratch_load_b128 v[26:29], off, off offset:768
	v_add_f64 v[166:167], v[166:167], v[187:188]
	v_add_f64 v[170:171], v[170:171], v[181:182]
	v_fma_f64 v[185:186], v[8:9], v[30:31], v[185:186]
	v_fma_f64 v[187:188], v[6:7], v[30:31], -v[32:33]
	scratch_load_b128 v[30:33], off, off offset:784
	ds_load_b128 v[6:9], v1 offset:1568
	s_waitcnt vmcnt(9) lgkmcnt(1)
	v_mul_f64 v[181:182], v[2:3], v[36:37]
	v_mul_f64 v[36:37], v[4:5], v[36:37]
	v_add_f64 v[166:167], v[166:167], v[189:190]
	v_add_f64 v[170:171], v[170:171], v[183:184]
	s_waitcnt vmcnt(8) lgkmcnt(0)
	v_mul_f64 v[183:184], v[6:7], v[179:180]
	v_mul_f64 v[179:180], v[8:9], v[179:180]
	v_fma_f64 v[181:182], v[4:5], v[34:35], v[181:182]
	v_fma_f64 v[189:190], v[2:3], v[34:35], -v[36:37]
	ds_load_b128 v[2:5], v1 offset:1584
	scratch_load_b128 v[34:37], off, off offset:800
	v_add_f64 v[166:167], v[166:167], v[187:188]
	v_add_f64 v[170:171], v[170:171], v[185:186]
	v_fma_f64 v[183:184], v[8:9], v[177:178], v[183:184]
	v_fma_f64 v[187:188], v[6:7], v[177:178], -v[179:180]
	ds_load_b128 v[6:9], v1 offset:1600
	s_waitcnt vmcnt(8) lgkmcnt(1)
	v_mul_f64 v[185:186], v[2:3], v[40:41]
	v_mul_f64 v[40:41], v[4:5], v[40:41]
	scratch_load_b128 v[177:180], off, off offset:816
	v_add_f64 v[166:167], v[166:167], v[189:190]
	v_add_f64 v[170:171], v[170:171], v[181:182]
	s_waitcnt vmcnt(8) lgkmcnt(0)
	v_mul_f64 v[181:182], v[6:7], v[175:176]
	v_mul_f64 v[175:176], v[8:9], v[175:176]
	v_fma_f64 v[185:186], v[4:5], v[38:39], v[185:186]
	v_fma_f64 v[189:190], v[2:3], v[38:39], -v[40:41]
	scratch_load_b128 v[38:41], off, off offset:832
	ds_load_b128 v[2:5], v1 offset:1616
	v_add_f64 v[166:167], v[166:167], v[187:188]
	v_add_f64 v[170:171], v[170:171], v[183:184]
	v_fma_f64 v[181:182], v[8:9], v[173:174], v[181:182]
	v_fma_f64 v[187:188], v[6:7], v[173:174], -v[175:176]
	ds_load_b128 v[6:9], v1 offset:1632
	s_waitcnt vmcnt(8) lgkmcnt(1)
	v_mul_f64 v[183:184], v[2:3], v[12:13]
	v_mul_f64 v[12:13], v[4:5], v[12:13]
	scratch_load_b128 v[173:176], off, off offset:848
	v_add_f64 v[166:167], v[166:167], v[189:190]
	v_add_f64 v[170:171], v[170:171], v[185:186]
	s_waitcnt vmcnt(8) lgkmcnt(0)
	v_mul_f64 v[185:186], v[6:7], v[16:17]
	v_mul_f64 v[16:17], v[8:9], v[16:17]
	v_fma_f64 v[183:184], v[4:5], v[10:11], v[183:184]
	v_fma_f64 v[189:190], v[2:3], v[10:11], -v[12:13]
	scratch_load_b128 v[10:13], off, off offset:864
	ds_load_b128 v[2:5], v1 offset:1648
	;; [unrolled: 18-line block ×3, first 2 shown]
	v_add_f64 v[166:167], v[166:167], v[187:188]
	v_add_f64 v[170:171], v[170:171], v[185:186]
	v_fma_f64 v[183:184], v[8:9], v[22:23], v[183:184]
	v_fma_f64 v[22:23], v[6:7], v[22:23], -v[24:25]
	ds_load_b128 v[6:9], v1 offset:1696
	s_waitcnt vmcnt(8) lgkmcnt(1)
	v_mul_f64 v[185:186], v[2:3], v[28:29]
	v_mul_f64 v[28:29], v[4:5], v[28:29]
	v_add_f64 v[24:25], v[166:167], v[189:190]
	v_add_f64 v[166:167], v[170:171], v[181:182]
	s_waitcnt vmcnt(7) lgkmcnt(0)
	v_mul_f64 v[170:171], v[6:7], v[32:33]
	v_mul_f64 v[32:33], v[8:9], v[32:33]
	v_fma_f64 v[181:182], v[4:5], v[26:27], v[185:186]
	v_fma_f64 v[26:27], v[2:3], v[26:27], -v[28:29]
	ds_load_b128 v[2:5], v1 offset:1712
	v_add_f64 v[22:23], v[24:25], v[22:23]
	v_add_f64 v[24:25], v[166:167], v[183:184]
	v_fma_f64 v[166:167], v[8:9], v[30:31], v[170:171]
	v_fma_f64 v[30:31], v[6:7], v[30:31], -v[32:33]
	ds_load_b128 v[6:9], v1 offset:1728
	s_waitcnt vmcnt(5) lgkmcnt(0)
	v_mul_f64 v[170:171], v[6:7], v[179:180]
	v_mul_f64 v[179:180], v[8:9], v[179:180]
	v_add_f64 v[26:27], v[22:23], v[26:27]
	v_add_f64 v[32:33], v[24:25], v[181:182]
	scratch_load_b128 v[22:25], off, off offset:176
	v_mul_f64 v[28:29], v[2:3], v[36:37]
	v_mul_f64 v[36:37], v[4:5], v[36:37]
	v_add_f64 v[26:27], v[26:27], v[30:31]
	v_add_f64 v[30:31], v[32:33], v[166:167]
	v_fma_f64 v[166:167], v[6:7], v[177:178], -v[179:180]
	v_fma_f64 v[28:29], v[4:5], v[34:35], v[28:29]
	v_fma_f64 v[34:35], v[2:3], v[34:35], -v[36:37]
	ds_load_b128 v[2:5], v1 offset:1744
	s_waitcnt vmcnt(5) lgkmcnt(0)
	v_mul_f64 v[32:33], v[2:3], v[40:41]
	v_mul_f64 v[36:37], v[4:5], v[40:41]
	v_fma_f64 v[40:41], v[8:9], v[177:178], v[170:171]
	ds_load_b128 v[6:9], v1 offset:1760
	v_add_f64 v[28:29], v[30:31], v[28:29]
	v_add_f64 v[26:27], v[26:27], v[34:35]
	v_fma_f64 v[32:33], v[4:5], v[38:39], v[32:33]
	v_fma_f64 v[36:37], v[2:3], v[38:39], -v[36:37]
	ds_load_b128 v[2:5], v1 offset:1776
	s_waitcnt vmcnt(4) lgkmcnt(1)
	v_mul_f64 v[30:31], v[6:7], v[175:176]
	v_mul_f64 v[34:35], v[8:9], v[175:176]
	v_add_f64 v[28:29], v[28:29], v[40:41]
	v_add_f64 v[26:27], v[26:27], v[166:167]
	s_waitcnt vmcnt(3) lgkmcnt(0)
	v_mul_f64 v[38:39], v[2:3], v[12:13]
	v_mul_f64 v[12:13], v[4:5], v[12:13]
	v_fma_f64 v[30:31], v[8:9], v[173:174], v[30:31]
	v_fma_f64 v[34:35], v[6:7], v[173:174], -v[34:35]
	ds_load_b128 v[6:9], v1 offset:1792
	v_add_f64 v[28:29], v[28:29], v[32:33]
	v_add_f64 v[26:27], v[26:27], v[36:37]
	v_fma_f64 v[36:37], v[4:5], v[10:11], v[38:39]
	v_fma_f64 v[10:11], v[2:3], v[10:11], -v[12:13]
	ds_load_b128 v[2:5], v1 offset:1808
	s_waitcnt vmcnt(2) lgkmcnt(1)
	v_mul_f64 v[32:33], v[6:7], v[16:17]
	v_mul_f64 v[16:17], v[8:9], v[16:17]
	v_add_f64 v[12:13], v[26:27], v[34:35]
	v_add_f64 v[26:27], v[28:29], v[30:31]
	s_waitcnt vmcnt(1) lgkmcnt(0)
	v_mul_f64 v[28:29], v[2:3], v[20:21]
	v_mul_f64 v[20:21], v[4:5], v[20:21]
	v_fma_f64 v[8:9], v[8:9], v[14:15], v[32:33]
	v_fma_f64 v[6:7], v[6:7], v[14:15], -v[16:17]
	v_add_f64 v[10:11], v[12:13], v[10:11]
	v_add_f64 v[12:13], v[26:27], v[36:37]
	v_fma_f64 v[4:5], v[4:5], v[18:19], v[28:29]
	v_fma_f64 v[2:3], v[2:3], v[18:19], -v[20:21]
	s_delay_alu instid0(VALU_DEP_4) | instskip(NEXT) | instid1(VALU_DEP_4)
	v_add_f64 v[6:7], v[10:11], v[6:7]
	v_add_f64 v[8:9], v[12:13], v[8:9]
	s_delay_alu instid0(VALU_DEP_2) | instskip(NEXT) | instid1(VALU_DEP_2)
	v_add_f64 v[2:3], v[6:7], v[2:3]
	v_add_f64 v[4:5], v[8:9], v[4:5]
	s_waitcnt vmcnt(0)
	s_delay_alu instid0(VALU_DEP_2) | instskip(NEXT) | instid1(VALU_DEP_2)
	v_add_f64 v[2:3], v[22:23], -v[2:3]
	v_add_f64 v[4:5], v[24:25], -v[4:5]
	scratch_store_b128 off, v[2:5], off offset:176
	v_cmpx_lt_u32_e32 10, v156
	s_cbranch_execz .LBB120_335
; %bb.334:
	scratch_load_b128 v[5:8], v203, off
	v_mov_b32_e32 v2, v1
	v_mov_b32_e32 v3, v1
	;; [unrolled: 1-line block ×3, first 2 shown]
	scratch_store_b128 off, v[1:4], off offset:160
	s_waitcnt vmcnt(0)
	ds_store_b128 v213, v[5:8]
.LBB120_335:
	s_or_b32 exec_lo, exec_lo, s2
	s_waitcnt lgkmcnt(0)
	s_waitcnt_vscnt null, 0x0
	s_barrier
	buffer_gl0_inv
	s_clause 0x7
	scratch_load_b128 v[2:5], off, off offset:176
	scratch_load_b128 v[6:9], off, off offset:192
	;; [unrolled: 1-line block ×8, first 2 shown]
	ds_load_b128 v[38:41], v1 offset:1088
	ds_load_b128 v[173:176], v1 offset:1104
	s_clause 0x1
	scratch_load_b128 v[34:37], off, off offset:304
	scratch_load_b128 v[177:180], off, off offset:320
	s_mov_b32 s2, exec_lo
	s_waitcnt vmcnt(9) lgkmcnt(1)
	v_mul_f64 v[166:167], v[40:41], v[4:5]
	v_mul_f64 v[4:5], v[38:39], v[4:5]
	s_waitcnt vmcnt(8) lgkmcnt(0)
	v_mul_f64 v[170:171], v[173:174], v[8:9]
	v_mul_f64 v[8:9], v[175:176], v[8:9]
	s_delay_alu instid0(VALU_DEP_4) | instskip(NEXT) | instid1(VALU_DEP_4)
	v_fma_f64 v[166:167], v[38:39], v[2:3], -v[166:167]
	v_fma_f64 v[181:182], v[40:41], v[2:3], v[4:5]
	ds_load_b128 v[2:5], v1 offset:1120
	scratch_load_b128 v[38:41], off, off offset:336
	v_fma_f64 v[170:171], v[175:176], v[6:7], v[170:171]
	v_fma_f64 v[185:186], v[173:174], v[6:7], -v[8:9]
	scratch_load_b128 v[173:176], off, off offset:352
	ds_load_b128 v[6:9], v1 offset:1136
	s_waitcnt vmcnt(9) lgkmcnt(1)
	v_mul_f64 v[183:184], v[2:3], v[12:13]
	v_mul_f64 v[12:13], v[4:5], v[12:13]
	s_waitcnt vmcnt(8) lgkmcnt(0)
	v_mul_f64 v[187:188], v[6:7], v[16:17]
	v_mul_f64 v[16:17], v[8:9], v[16:17]
	v_add_f64 v[166:167], v[166:167], 0
	v_add_f64 v[181:182], v[181:182], 0
	v_fma_f64 v[183:184], v[4:5], v[10:11], v[183:184]
	v_fma_f64 v[189:190], v[2:3], v[10:11], -v[12:13]
	ds_load_b128 v[2:5], v1 offset:1152
	scratch_load_b128 v[10:13], off, off offset:368
	v_add_f64 v[166:167], v[166:167], v[185:186]
	v_add_f64 v[170:171], v[181:182], v[170:171]
	v_fma_f64 v[185:186], v[8:9], v[14:15], v[187:188]
	v_fma_f64 v[187:188], v[6:7], v[14:15], -v[16:17]
	scratch_load_b128 v[14:17], off, off offset:384
	ds_load_b128 v[6:9], v1 offset:1168
	s_waitcnt vmcnt(9) lgkmcnt(1)
	v_mul_f64 v[181:182], v[2:3], v[20:21]
	v_mul_f64 v[20:21], v[4:5], v[20:21]
	v_add_f64 v[166:167], v[166:167], v[189:190]
	v_add_f64 v[170:171], v[170:171], v[183:184]
	s_waitcnt vmcnt(8) lgkmcnt(0)
	v_mul_f64 v[183:184], v[6:7], v[24:25]
	v_mul_f64 v[24:25], v[8:9], v[24:25]
	v_fma_f64 v[181:182], v[4:5], v[18:19], v[181:182]
	v_fma_f64 v[189:190], v[2:3], v[18:19], -v[20:21]
	ds_load_b128 v[2:5], v1 offset:1184
	scratch_load_b128 v[18:21], off, off offset:400
	v_add_f64 v[166:167], v[166:167], v[187:188]
	v_add_f64 v[170:171], v[170:171], v[185:186]
	v_fma_f64 v[183:184], v[8:9], v[22:23], v[183:184]
	v_fma_f64 v[187:188], v[6:7], v[22:23], -v[24:25]
	scratch_load_b128 v[22:25], off, off offset:416
	ds_load_b128 v[6:9], v1 offset:1200
	s_waitcnt vmcnt(9) lgkmcnt(1)
	v_mul_f64 v[185:186], v[2:3], v[28:29]
	v_mul_f64 v[28:29], v[4:5], v[28:29]
	v_add_f64 v[166:167], v[166:167], v[189:190]
	v_add_f64 v[170:171], v[170:171], v[181:182]
	s_waitcnt vmcnt(8) lgkmcnt(0)
	v_mul_f64 v[181:182], v[6:7], v[32:33]
	v_mul_f64 v[32:33], v[8:9], v[32:33]
	;; [unrolled: 18-line block ×13, first 2 shown]
	v_fma_f64 v[181:182], v[4:5], v[34:35], v[181:182]
	v_fma_f64 v[189:190], v[2:3], v[34:35], -v[36:37]
	ds_load_b128 v[2:5], v1 offset:1568
	scratch_load_b128 v[34:37], off, off offset:784
	v_add_f64 v[166:167], v[166:167], v[187:188]
	v_add_f64 v[170:171], v[170:171], v[185:186]
	v_fma_f64 v[183:184], v[8:9], v[177:178], v[183:184]
	v_fma_f64 v[187:188], v[6:7], v[177:178], -v[179:180]
	ds_load_b128 v[6:9], v1 offset:1584
	s_waitcnt vmcnt(8) lgkmcnt(1)
	v_mul_f64 v[185:186], v[2:3], v[40:41]
	v_mul_f64 v[40:41], v[4:5], v[40:41]
	scratch_load_b128 v[177:180], off, off offset:800
	v_add_f64 v[166:167], v[166:167], v[189:190]
	v_add_f64 v[170:171], v[170:171], v[181:182]
	s_waitcnt vmcnt(8) lgkmcnt(0)
	v_mul_f64 v[181:182], v[6:7], v[175:176]
	v_mul_f64 v[175:176], v[8:9], v[175:176]
	v_fma_f64 v[185:186], v[4:5], v[38:39], v[185:186]
	v_fma_f64 v[189:190], v[2:3], v[38:39], -v[40:41]
	ds_load_b128 v[2:5], v1 offset:1600
	scratch_load_b128 v[38:41], off, off offset:816
	v_add_f64 v[166:167], v[166:167], v[187:188]
	v_add_f64 v[170:171], v[170:171], v[183:184]
	v_fma_f64 v[181:182], v[8:9], v[173:174], v[181:182]
	v_fma_f64 v[187:188], v[6:7], v[173:174], -v[175:176]
	ds_load_b128 v[6:9], v1 offset:1616
	s_waitcnt vmcnt(8) lgkmcnt(1)
	v_mul_f64 v[183:184], v[2:3], v[12:13]
	v_mul_f64 v[12:13], v[4:5], v[12:13]
	scratch_load_b128 v[173:176], off, off offset:832
	v_add_f64 v[166:167], v[166:167], v[189:190]
	v_add_f64 v[170:171], v[170:171], v[185:186]
	s_waitcnt vmcnt(8) lgkmcnt(0)
	v_mul_f64 v[185:186], v[6:7], v[16:17]
	v_mul_f64 v[16:17], v[8:9], v[16:17]
	v_fma_f64 v[183:184], v[4:5], v[10:11], v[183:184]
	v_fma_f64 v[189:190], v[2:3], v[10:11], -v[12:13]
	scratch_load_b128 v[10:13], off, off offset:848
	ds_load_b128 v[2:5], v1 offset:1632
	v_add_f64 v[166:167], v[166:167], v[187:188]
	v_add_f64 v[170:171], v[170:171], v[181:182]
	v_fma_f64 v[185:186], v[8:9], v[14:15], v[185:186]
	v_fma_f64 v[187:188], v[6:7], v[14:15], -v[16:17]
	ds_load_b128 v[6:9], v1 offset:1648
	s_waitcnt vmcnt(8) lgkmcnt(1)
	v_mul_f64 v[181:182], v[2:3], v[20:21]
	v_mul_f64 v[20:21], v[4:5], v[20:21]
	scratch_load_b128 v[14:17], off, off offset:864
	v_add_f64 v[166:167], v[166:167], v[189:190]
	v_add_f64 v[170:171], v[170:171], v[183:184]
	s_waitcnt vmcnt(8) lgkmcnt(0)
	v_mul_f64 v[183:184], v[6:7], v[24:25]
	v_mul_f64 v[24:25], v[8:9], v[24:25]
	v_fma_f64 v[181:182], v[4:5], v[18:19], v[181:182]
	v_fma_f64 v[189:190], v[2:3], v[18:19], -v[20:21]
	scratch_load_b128 v[18:21], off, off offset:880
	ds_load_b128 v[2:5], v1 offset:1664
	v_add_f64 v[166:167], v[166:167], v[187:188]
	v_add_f64 v[170:171], v[170:171], v[185:186]
	v_fma_f64 v[183:184], v[8:9], v[22:23], v[183:184]
	v_fma_f64 v[187:188], v[6:7], v[22:23], -v[24:25]
	ds_load_b128 v[6:9], v1 offset:1680
	s_waitcnt vmcnt(8) lgkmcnt(1)
	v_mul_f64 v[185:186], v[2:3], v[28:29]
	v_mul_f64 v[28:29], v[4:5], v[28:29]
	scratch_load_b128 v[22:25], off, off offset:896
	v_add_f64 v[166:167], v[166:167], v[189:190]
	v_add_f64 v[170:171], v[170:171], v[181:182]
	s_waitcnt vmcnt(8) lgkmcnt(0)
	v_mul_f64 v[181:182], v[6:7], v[32:33]
	v_mul_f64 v[32:33], v[8:9], v[32:33]
	v_fma_f64 v[185:186], v[4:5], v[26:27], v[185:186]
	v_fma_f64 v[26:27], v[2:3], v[26:27], -v[28:29]
	ds_load_b128 v[2:5], v1 offset:1696
	v_add_f64 v[28:29], v[166:167], v[187:188]
	v_add_f64 v[166:167], v[170:171], v[183:184]
	v_fma_f64 v[181:182], v[8:9], v[30:31], v[181:182]
	v_fma_f64 v[30:31], v[6:7], v[30:31], -v[32:33]
	ds_load_b128 v[6:9], v1 offset:1712
	s_waitcnt vmcnt(7) lgkmcnt(1)
	v_mul_f64 v[170:171], v[2:3], v[36:37]
	v_mul_f64 v[36:37], v[4:5], v[36:37]
	v_add_f64 v[26:27], v[28:29], v[26:27]
	v_add_f64 v[28:29], v[166:167], v[185:186]
	s_delay_alu instid0(VALU_DEP_4) | instskip(NEXT) | instid1(VALU_DEP_4)
	v_fma_f64 v[170:171], v[4:5], v[34:35], v[170:171]
	v_fma_f64 v[34:35], v[2:3], v[34:35], -v[36:37]
	ds_load_b128 v[2:5], v1 offset:1728
	v_add_f64 v[30:31], v[26:27], v[30:31]
	v_add_f64 v[36:37], v[28:29], v[181:182]
	scratch_load_b128 v[26:29], off, off offset:160
	s_waitcnt vmcnt(7) lgkmcnt(1)
	v_mul_f64 v[32:33], v[6:7], v[179:180]
	v_mul_f64 v[166:167], v[8:9], v[179:180]
	v_add_f64 v[30:31], v[30:31], v[34:35]
	v_add_f64 v[34:35], v[36:37], v[170:171]
	s_delay_alu instid0(VALU_DEP_4) | instskip(NEXT) | instid1(VALU_DEP_4)
	v_fma_f64 v[32:33], v[8:9], v[177:178], v[32:33]
	v_fma_f64 v[166:167], v[6:7], v[177:178], -v[166:167]
	ds_load_b128 v[6:9], v1 offset:1744
	s_waitcnt vmcnt(6) lgkmcnt(1)
	v_mul_f64 v[179:180], v[2:3], v[40:41]
	v_mul_f64 v[40:41], v[4:5], v[40:41]
	s_waitcnt vmcnt(5) lgkmcnt(0)
	v_mul_f64 v[36:37], v[6:7], v[175:176]
	v_mul_f64 v[170:171], v[8:9], v[175:176]
	v_add_f64 v[32:33], v[34:35], v[32:33]
	v_add_f64 v[30:31], v[30:31], v[166:167]
	v_fma_f64 v[175:176], v[4:5], v[38:39], v[179:180]
	v_fma_f64 v[38:39], v[2:3], v[38:39], -v[40:41]
	ds_load_b128 v[2:5], v1 offset:1760
	v_fma_f64 v[36:37], v[8:9], v[173:174], v[36:37]
	v_fma_f64 v[40:41], v[6:7], v[173:174], -v[170:171]
	ds_load_b128 v[6:9], v1 offset:1776
	s_waitcnt vmcnt(4) lgkmcnt(1)
	v_mul_f64 v[34:35], v[2:3], v[12:13]
	v_mul_f64 v[12:13], v[4:5], v[12:13]
	v_add_f64 v[32:33], v[32:33], v[175:176]
	v_add_f64 v[30:31], v[30:31], v[38:39]
	s_waitcnt vmcnt(3) lgkmcnt(0)
	v_mul_f64 v[38:39], v[6:7], v[16:17]
	v_mul_f64 v[16:17], v[8:9], v[16:17]
	v_fma_f64 v[34:35], v[4:5], v[10:11], v[34:35]
	v_fma_f64 v[10:11], v[2:3], v[10:11], -v[12:13]
	ds_load_b128 v[2:5], v1 offset:1792
	v_add_f64 v[12:13], v[30:31], v[40:41]
	v_add_f64 v[30:31], v[32:33], v[36:37]
	v_fma_f64 v[36:37], v[8:9], v[14:15], v[38:39]
	v_fma_f64 v[14:15], v[6:7], v[14:15], -v[16:17]
	ds_load_b128 v[6:9], v1 offset:1808
	s_waitcnt vmcnt(2) lgkmcnt(1)
	v_mul_f64 v[32:33], v[2:3], v[20:21]
	v_mul_f64 v[20:21], v[4:5], v[20:21]
	s_waitcnt vmcnt(1) lgkmcnt(0)
	v_mul_f64 v[16:17], v[6:7], v[24:25]
	v_mul_f64 v[24:25], v[8:9], v[24:25]
	v_add_f64 v[10:11], v[12:13], v[10:11]
	v_add_f64 v[12:13], v[30:31], v[34:35]
	v_fma_f64 v[4:5], v[4:5], v[18:19], v[32:33]
	v_fma_f64 v[1:2], v[2:3], v[18:19], -v[20:21]
	v_fma_f64 v[8:9], v[8:9], v[22:23], v[16:17]
	v_fma_f64 v[6:7], v[6:7], v[22:23], -v[24:25]
	v_add_f64 v[10:11], v[10:11], v[14:15]
	v_add_f64 v[12:13], v[12:13], v[36:37]
	s_delay_alu instid0(VALU_DEP_2) | instskip(NEXT) | instid1(VALU_DEP_2)
	v_add_f64 v[1:2], v[10:11], v[1:2]
	v_add_f64 v[3:4], v[12:13], v[4:5]
	s_delay_alu instid0(VALU_DEP_2) | instskip(NEXT) | instid1(VALU_DEP_2)
	v_add_f64 v[1:2], v[1:2], v[6:7]
	v_add_f64 v[3:4], v[3:4], v[8:9]
	s_waitcnt vmcnt(0)
	s_delay_alu instid0(VALU_DEP_2) | instskip(NEXT) | instid1(VALU_DEP_2)
	v_add_f64 v[1:2], v[26:27], -v[1:2]
	v_add_f64 v[3:4], v[28:29], -v[3:4]
	scratch_store_b128 off, v[1:4], off offset:160
	v_cmpx_lt_u32_e32 9, v156
	s_cbranch_execz .LBB120_337
; %bb.336:
	scratch_load_b128 v[1:4], v204, off
	v_mov_b32_e32 v5, 0
	s_delay_alu instid0(VALU_DEP_1)
	v_mov_b32_e32 v6, v5
	v_mov_b32_e32 v7, v5
	;; [unrolled: 1-line block ×3, first 2 shown]
	scratch_store_b128 off, v[5:8], off offset:144
	s_waitcnt vmcnt(0)
	ds_store_b128 v213, v[1:4]
.LBB120_337:
	s_or_b32 exec_lo, exec_lo, s2
	s_waitcnt lgkmcnt(0)
	s_waitcnt_vscnt null, 0x0
	s_barrier
	buffer_gl0_inv
	s_clause 0x7
	scratch_load_b128 v[2:5], off, off offset:160
	scratch_load_b128 v[6:9], off, off offset:176
	;; [unrolled: 1-line block ×8, first 2 shown]
	v_mov_b32_e32 v1, 0
	s_clause 0x1
	scratch_load_b128 v[34:37], off, off offset:288
	scratch_load_b128 v[177:180], off, off offset:304
	s_mov_b32 s2, exec_lo
	ds_load_b128 v[38:41], v1 offset:1072
	ds_load_b128 v[173:176], v1 offset:1088
	s_waitcnt vmcnt(9) lgkmcnt(1)
	v_mul_f64 v[166:167], v[40:41], v[4:5]
	v_mul_f64 v[4:5], v[38:39], v[4:5]
	s_waitcnt vmcnt(8) lgkmcnt(0)
	v_mul_f64 v[170:171], v[173:174], v[8:9]
	v_mul_f64 v[8:9], v[175:176], v[8:9]
	s_delay_alu instid0(VALU_DEP_4) | instskip(NEXT) | instid1(VALU_DEP_4)
	v_fma_f64 v[166:167], v[38:39], v[2:3], -v[166:167]
	v_fma_f64 v[181:182], v[40:41], v[2:3], v[4:5]
	ds_load_b128 v[2:5], v1 offset:1104
	scratch_load_b128 v[38:41], off, off offset:320
	v_fma_f64 v[170:171], v[175:176], v[6:7], v[170:171]
	v_fma_f64 v[185:186], v[173:174], v[6:7], -v[8:9]
	scratch_load_b128 v[173:176], off, off offset:336
	ds_load_b128 v[6:9], v1 offset:1120
	s_waitcnt vmcnt(9) lgkmcnt(1)
	v_mul_f64 v[183:184], v[2:3], v[12:13]
	v_mul_f64 v[12:13], v[4:5], v[12:13]
	s_waitcnt vmcnt(8) lgkmcnt(0)
	v_mul_f64 v[187:188], v[6:7], v[16:17]
	v_mul_f64 v[16:17], v[8:9], v[16:17]
	v_add_f64 v[166:167], v[166:167], 0
	v_add_f64 v[181:182], v[181:182], 0
	v_fma_f64 v[183:184], v[4:5], v[10:11], v[183:184]
	v_fma_f64 v[189:190], v[2:3], v[10:11], -v[12:13]
	ds_load_b128 v[2:5], v1 offset:1136
	scratch_load_b128 v[10:13], off, off offset:352
	v_add_f64 v[166:167], v[166:167], v[185:186]
	v_add_f64 v[170:171], v[181:182], v[170:171]
	v_fma_f64 v[185:186], v[8:9], v[14:15], v[187:188]
	v_fma_f64 v[187:188], v[6:7], v[14:15], -v[16:17]
	scratch_load_b128 v[14:17], off, off offset:368
	ds_load_b128 v[6:9], v1 offset:1152
	s_waitcnt vmcnt(9) lgkmcnt(1)
	v_mul_f64 v[181:182], v[2:3], v[20:21]
	v_mul_f64 v[20:21], v[4:5], v[20:21]
	v_add_f64 v[166:167], v[166:167], v[189:190]
	v_add_f64 v[170:171], v[170:171], v[183:184]
	s_waitcnt vmcnt(8) lgkmcnt(0)
	v_mul_f64 v[183:184], v[6:7], v[24:25]
	v_mul_f64 v[24:25], v[8:9], v[24:25]
	v_fma_f64 v[181:182], v[4:5], v[18:19], v[181:182]
	v_fma_f64 v[189:190], v[2:3], v[18:19], -v[20:21]
	ds_load_b128 v[2:5], v1 offset:1168
	scratch_load_b128 v[18:21], off, off offset:384
	v_add_f64 v[166:167], v[166:167], v[187:188]
	v_add_f64 v[170:171], v[170:171], v[185:186]
	v_fma_f64 v[183:184], v[8:9], v[22:23], v[183:184]
	v_fma_f64 v[187:188], v[6:7], v[22:23], -v[24:25]
	scratch_load_b128 v[22:25], off, off offset:400
	ds_load_b128 v[6:9], v1 offset:1184
	s_waitcnt vmcnt(9) lgkmcnt(1)
	v_mul_f64 v[185:186], v[2:3], v[28:29]
	v_mul_f64 v[28:29], v[4:5], v[28:29]
	v_add_f64 v[166:167], v[166:167], v[189:190]
	v_add_f64 v[170:171], v[170:171], v[181:182]
	s_waitcnt vmcnt(8) lgkmcnt(0)
	v_mul_f64 v[181:182], v[6:7], v[32:33]
	v_mul_f64 v[32:33], v[8:9], v[32:33]
	;; [unrolled: 18-line block ×14, first 2 shown]
	v_fma_f64 v[185:186], v[4:5], v[38:39], v[185:186]
	v_fma_f64 v[189:190], v[2:3], v[38:39], -v[40:41]
	ds_load_b128 v[2:5], v1 offset:1584
	scratch_load_b128 v[38:41], off, off offset:800
	v_add_f64 v[166:167], v[166:167], v[187:188]
	v_add_f64 v[170:171], v[170:171], v[183:184]
	v_fma_f64 v[181:182], v[8:9], v[173:174], v[181:182]
	v_fma_f64 v[187:188], v[6:7], v[173:174], -v[175:176]
	ds_load_b128 v[6:9], v1 offset:1600
	s_waitcnt vmcnt(8) lgkmcnt(1)
	v_mul_f64 v[183:184], v[2:3], v[12:13]
	v_mul_f64 v[12:13], v[4:5], v[12:13]
	scratch_load_b128 v[173:176], off, off offset:816
	v_add_f64 v[166:167], v[166:167], v[189:190]
	v_add_f64 v[170:171], v[170:171], v[185:186]
	s_waitcnt vmcnt(8) lgkmcnt(0)
	v_mul_f64 v[185:186], v[6:7], v[16:17]
	v_mul_f64 v[16:17], v[8:9], v[16:17]
	v_fma_f64 v[183:184], v[4:5], v[10:11], v[183:184]
	v_fma_f64 v[189:190], v[2:3], v[10:11], -v[12:13]
	scratch_load_b128 v[10:13], off, off offset:832
	ds_load_b128 v[2:5], v1 offset:1616
	v_add_f64 v[166:167], v[166:167], v[187:188]
	v_add_f64 v[170:171], v[170:171], v[181:182]
	v_fma_f64 v[185:186], v[8:9], v[14:15], v[185:186]
	v_fma_f64 v[187:188], v[6:7], v[14:15], -v[16:17]
	ds_load_b128 v[6:9], v1 offset:1632
	s_waitcnt vmcnt(8) lgkmcnt(1)
	v_mul_f64 v[181:182], v[2:3], v[20:21]
	v_mul_f64 v[20:21], v[4:5], v[20:21]
	scratch_load_b128 v[14:17], off, off offset:848
	v_add_f64 v[166:167], v[166:167], v[189:190]
	v_add_f64 v[170:171], v[170:171], v[183:184]
	s_waitcnt vmcnt(8) lgkmcnt(0)
	v_mul_f64 v[183:184], v[6:7], v[24:25]
	v_mul_f64 v[24:25], v[8:9], v[24:25]
	v_fma_f64 v[181:182], v[4:5], v[18:19], v[181:182]
	v_fma_f64 v[189:190], v[2:3], v[18:19], -v[20:21]
	scratch_load_b128 v[18:21], off, off offset:864
	ds_load_b128 v[2:5], v1 offset:1648
	;; [unrolled: 18-line block ×3, first 2 shown]
	v_add_f64 v[166:167], v[166:167], v[187:188]
	v_add_f64 v[170:171], v[170:171], v[183:184]
	v_fma_f64 v[181:182], v[8:9], v[30:31], v[181:182]
	v_fma_f64 v[30:31], v[6:7], v[30:31], -v[32:33]
	ds_load_b128 v[6:9], v1 offset:1696
	s_waitcnt vmcnt(8) lgkmcnt(1)
	v_mul_f64 v[183:184], v[2:3], v[36:37]
	v_mul_f64 v[36:37], v[4:5], v[36:37]
	v_add_f64 v[32:33], v[166:167], v[189:190]
	v_add_f64 v[166:167], v[170:171], v[185:186]
	s_waitcnt vmcnt(7) lgkmcnt(0)
	v_mul_f64 v[170:171], v[6:7], v[179:180]
	v_mul_f64 v[179:180], v[8:9], v[179:180]
	v_fma_f64 v[183:184], v[4:5], v[34:35], v[183:184]
	v_fma_f64 v[34:35], v[2:3], v[34:35], -v[36:37]
	ds_load_b128 v[2:5], v1 offset:1712
	v_add_f64 v[30:31], v[32:33], v[30:31]
	v_add_f64 v[32:33], v[166:167], v[181:182]
	v_fma_f64 v[166:167], v[8:9], v[177:178], v[170:171]
	v_fma_f64 v[170:171], v[6:7], v[177:178], -v[179:180]
	ds_load_b128 v[6:9], v1 offset:1728
	s_waitcnt vmcnt(5) lgkmcnt(0)
	v_mul_f64 v[179:180], v[6:7], v[175:176]
	v_mul_f64 v[175:176], v[8:9], v[175:176]
	v_add_f64 v[34:35], v[30:31], v[34:35]
	v_add_f64 v[177:178], v[32:33], v[183:184]
	scratch_load_b128 v[30:33], off, off offset:144
	v_mul_f64 v[36:37], v[2:3], v[40:41]
	v_mul_f64 v[40:41], v[4:5], v[40:41]
	v_add_f64 v[34:35], v[34:35], v[170:171]
	v_fma_f64 v[170:171], v[8:9], v[173:174], v[179:180]
	v_fma_f64 v[173:174], v[6:7], v[173:174], -v[175:176]
	v_fma_f64 v[36:37], v[4:5], v[38:39], v[36:37]
	v_fma_f64 v[38:39], v[2:3], v[38:39], -v[40:41]
	v_add_f64 v[40:41], v[177:178], v[166:167]
	ds_load_b128 v[2:5], v1 offset:1744
	ds_load_b128 v[6:9], v1 offset:1760
	s_waitcnt vmcnt(5) lgkmcnt(1)
	v_mul_f64 v[166:167], v[2:3], v[12:13]
	v_mul_f64 v[12:13], v[4:5], v[12:13]
	v_add_f64 v[34:35], v[34:35], v[38:39]
	v_add_f64 v[36:37], v[40:41], v[36:37]
	s_waitcnt vmcnt(4) lgkmcnt(0)
	v_mul_f64 v[38:39], v[6:7], v[16:17]
	v_mul_f64 v[16:17], v[8:9], v[16:17]
	v_fma_f64 v[40:41], v[4:5], v[10:11], v[166:167]
	v_fma_f64 v[10:11], v[2:3], v[10:11], -v[12:13]
	ds_load_b128 v[2:5], v1 offset:1776
	v_add_f64 v[12:13], v[34:35], v[173:174]
	v_add_f64 v[34:35], v[36:37], v[170:171]
	v_fma_f64 v[38:39], v[8:9], v[14:15], v[38:39]
	v_fma_f64 v[14:15], v[6:7], v[14:15], -v[16:17]
	ds_load_b128 v[6:9], v1 offset:1792
	s_waitcnt vmcnt(3) lgkmcnt(1)
	v_mul_f64 v[36:37], v[2:3], v[20:21]
	v_mul_f64 v[20:21], v[4:5], v[20:21]
	s_waitcnt vmcnt(2) lgkmcnt(0)
	v_mul_f64 v[16:17], v[6:7], v[24:25]
	v_mul_f64 v[24:25], v[8:9], v[24:25]
	v_add_f64 v[10:11], v[12:13], v[10:11]
	v_add_f64 v[12:13], v[34:35], v[40:41]
	v_fma_f64 v[34:35], v[4:5], v[18:19], v[36:37]
	v_fma_f64 v[18:19], v[2:3], v[18:19], -v[20:21]
	ds_load_b128 v[2:5], v1 offset:1808
	v_fma_f64 v[8:9], v[8:9], v[22:23], v[16:17]
	v_fma_f64 v[6:7], v[6:7], v[22:23], -v[24:25]
	s_waitcnt vmcnt(1) lgkmcnt(0)
	v_mul_f64 v[20:21], v[4:5], v[28:29]
	v_add_f64 v[10:11], v[10:11], v[14:15]
	v_add_f64 v[12:13], v[12:13], v[38:39]
	v_mul_f64 v[14:15], v[2:3], v[28:29]
	s_delay_alu instid0(VALU_DEP_4) | instskip(NEXT) | instid1(VALU_DEP_4)
	v_fma_f64 v[2:3], v[2:3], v[26:27], -v[20:21]
	v_add_f64 v[10:11], v[10:11], v[18:19]
	s_delay_alu instid0(VALU_DEP_4) | instskip(NEXT) | instid1(VALU_DEP_4)
	v_add_f64 v[12:13], v[12:13], v[34:35]
	v_fma_f64 v[4:5], v[4:5], v[26:27], v[14:15]
	s_delay_alu instid0(VALU_DEP_3) | instskip(NEXT) | instid1(VALU_DEP_3)
	v_add_f64 v[6:7], v[10:11], v[6:7]
	v_add_f64 v[8:9], v[12:13], v[8:9]
	s_delay_alu instid0(VALU_DEP_2) | instskip(NEXT) | instid1(VALU_DEP_2)
	v_add_f64 v[2:3], v[6:7], v[2:3]
	v_add_f64 v[4:5], v[8:9], v[4:5]
	s_waitcnt vmcnt(0)
	s_delay_alu instid0(VALU_DEP_2) | instskip(NEXT) | instid1(VALU_DEP_2)
	v_add_f64 v[2:3], v[30:31], -v[2:3]
	v_add_f64 v[4:5], v[32:33], -v[4:5]
	scratch_store_b128 off, v[2:5], off offset:144
	v_cmpx_lt_u32_e32 8, v156
	s_cbranch_execz .LBB120_339
; %bb.338:
	scratch_load_b128 v[5:8], v205, off
	v_mov_b32_e32 v2, v1
	v_mov_b32_e32 v3, v1
	;; [unrolled: 1-line block ×3, first 2 shown]
	scratch_store_b128 off, v[1:4], off offset:128
	s_waitcnt vmcnt(0)
	ds_store_b128 v213, v[5:8]
.LBB120_339:
	s_or_b32 exec_lo, exec_lo, s2
	s_waitcnt lgkmcnt(0)
	s_waitcnt_vscnt null, 0x0
	s_barrier
	buffer_gl0_inv
	s_clause 0x7
	scratch_load_b128 v[2:5], off, off offset:144
	scratch_load_b128 v[6:9], off, off offset:160
	;; [unrolled: 1-line block ×8, first 2 shown]
	ds_load_b128 v[38:41], v1 offset:1056
	ds_load_b128 v[173:176], v1 offset:1072
	s_clause 0x1
	scratch_load_b128 v[34:37], off, off offset:272
	scratch_load_b128 v[177:180], off, off offset:288
	s_mov_b32 s2, exec_lo
	s_waitcnt vmcnt(9) lgkmcnt(1)
	v_mul_f64 v[166:167], v[40:41], v[4:5]
	v_mul_f64 v[4:5], v[38:39], v[4:5]
	s_waitcnt vmcnt(8) lgkmcnt(0)
	v_mul_f64 v[170:171], v[173:174], v[8:9]
	v_mul_f64 v[8:9], v[175:176], v[8:9]
	s_delay_alu instid0(VALU_DEP_4) | instskip(NEXT) | instid1(VALU_DEP_4)
	v_fma_f64 v[166:167], v[38:39], v[2:3], -v[166:167]
	v_fma_f64 v[181:182], v[40:41], v[2:3], v[4:5]
	ds_load_b128 v[2:5], v1 offset:1088
	scratch_load_b128 v[38:41], off, off offset:304
	v_fma_f64 v[170:171], v[175:176], v[6:7], v[170:171]
	v_fma_f64 v[185:186], v[173:174], v[6:7], -v[8:9]
	scratch_load_b128 v[173:176], off, off offset:320
	ds_load_b128 v[6:9], v1 offset:1104
	s_waitcnt vmcnt(9) lgkmcnt(1)
	v_mul_f64 v[183:184], v[2:3], v[12:13]
	v_mul_f64 v[12:13], v[4:5], v[12:13]
	s_waitcnt vmcnt(8) lgkmcnt(0)
	v_mul_f64 v[187:188], v[6:7], v[16:17]
	v_mul_f64 v[16:17], v[8:9], v[16:17]
	v_add_f64 v[166:167], v[166:167], 0
	v_add_f64 v[181:182], v[181:182], 0
	v_fma_f64 v[183:184], v[4:5], v[10:11], v[183:184]
	v_fma_f64 v[189:190], v[2:3], v[10:11], -v[12:13]
	ds_load_b128 v[2:5], v1 offset:1120
	scratch_load_b128 v[10:13], off, off offset:336
	v_add_f64 v[166:167], v[166:167], v[185:186]
	v_add_f64 v[170:171], v[181:182], v[170:171]
	v_fma_f64 v[185:186], v[8:9], v[14:15], v[187:188]
	v_fma_f64 v[187:188], v[6:7], v[14:15], -v[16:17]
	scratch_load_b128 v[14:17], off, off offset:352
	ds_load_b128 v[6:9], v1 offset:1136
	s_waitcnt vmcnt(9) lgkmcnt(1)
	v_mul_f64 v[181:182], v[2:3], v[20:21]
	v_mul_f64 v[20:21], v[4:5], v[20:21]
	v_add_f64 v[166:167], v[166:167], v[189:190]
	v_add_f64 v[170:171], v[170:171], v[183:184]
	s_waitcnt vmcnt(8) lgkmcnt(0)
	v_mul_f64 v[183:184], v[6:7], v[24:25]
	v_mul_f64 v[24:25], v[8:9], v[24:25]
	v_fma_f64 v[181:182], v[4:5], v[18:19], v[181:182]
	v_fma_f64 v[189:190], v[2:3], v[18:19], -v[20:21]
	ds_load_b128 v[2:5], v1 offset:1152
	scratch_load_b128 v[18:21], off, off offset:368
	v_add_f64 v[166:167], v[166:167], v[187:188]
	v_add_f64 v[170:171], v[170:171], v[185:186]
	v_fma_f64 v[183:184], v[8:9], v[22:23], v[183:184]
	v_fma_f64 v[187:188], v[6:7], v[22:23], -v[24:25]
	scratch_load_b128 v[22:25], off, off offset:384
	ds_load_b128 v[6:9], v1 offset:1168
	s_waitcnt vmcnt(9) lgkmcnt(1)
	v_mul_f64 v[185:186], v[2:3], v[28:29]
	v_mul_f64 v[28:29], v[4:5], v[28:29]
	v_add_f64 v[166:167], v[166:167], v[189:190]
	v_add_f64 v[170:171], v[170:171], v[181:182]
	s_waitcnt vmcnt(8) lgkmcnt(0)
	v_mul_f64 v[181:182], v[6:7], v[32:33]
	v_mul_f64 v[32:33], v[8:9], v[32:33]
	;; [unrolled: 18-line block ×14, first 2 shown]
	v_fma_f64 v[185:186], v[4:5], v[38:39], v[185:186]
	v_fma_f64 v[189:190], v[2:3], v[38:39], -v[40:41]
	ds_load_b128 v[2:5], v1 offset:1568
	scratch_load_b128 v[38:41], off, off offset:784
	v_add_f64 v[166:167], v[166:167], v[187:188]
	v_add_f64 v[170:171], v[170:171], v[183:184]
	v_fma_f64 v[181:182], v[8:9], v[173:174], v[181:182]
	v_fma_f64 v[187:188], v[6:7], v[173:174], -v[175:176]
	ds_load_b128 v[6:9], v1 offset:1584
	s_waitcnt vmcnt(8) lgkmcnt(1)
	v_mul_f64 v[183:184], v[2:3], v[12:13]
	v_mul_f64 v[12:13], v[4:5], v[12:13]
	scratch_load_b128 v[173:176], off, off offset:800
	v_add_f64 v[166:167], v[166:167], v[189:190]
	v_add_f64 v[170:171], v[170:171], v[185:186]
	s_waitcnt vmcnt(8) lgkmcnt(0)
	v_mul_f64 v[185:186], v[6:7], v[16:17]
	v_mul_f64 v[16:17], v[8:9], v[16:17]
	v_fma_f64 v[183:184], v[4:5], v[10:11], v[183:184]
	v_fma_f64 v[189:190], v[2:3], v[10:11], -v[12:13]
	ds_load_b128 v[2:5], v1 offset:1600
	scratch_load_b128 v[10:13], off, off offset:816
	v_add_f64 v[166:167], v[166:167], v[187:188]
	v_add_f64 v[170:171], v[170:171], v[181:182]
	v_fma_f64 v[185:186], v[8:9], v[14:15], v[185:186]
	v_fma_f64 v[187:188], v[6:7], v[14:15], -v[16:17]
	ds_load_b128 v[6:9], v1 offset:1616
	s_waitcnt vmcnt(8) lgkmcnt(1)
	v_mul_f64 v[181:182], v[2:3], v[20:21]
	v_mul_f64 v[20:21], v[4:5], v[20:21]
	scratch_load_b128 v[14:17], off, off offset:832
	v_add_f64 v[166:167], v[166:167], v[189:190]
	v_add_f64 v[170:171], v[170:171], v[183:184]
	s_waitcnt vmcnt(8) lgkmcnt(0)
	v_mul_f64 v[183:184], v[6:7], v[24:25]
	v_mul_f64 v[24:25], v[8:9], v[24:25]
	v_fma_f64 v[181:182], v[4:5], v[18:19], v[181:182]
	v_fma_f64 v[189:190], v[2:3], v[18:19], -v[20:21]
	scratch_load_b128 v[18:21], off, off offset:848
	ds_load_b128 v[2:5], v1 offset:1632
	v_add_f64 v[166:167], v[166:167], v[187:188]
	v_add_f64 v[170:171], v[170:171], v[185:186]
	v_fma_f64 v[183:184], v[8:9], v[22:23], v[183:184]
	v_fma_f64 v[187:188], v[6:7], v[22:23], -v[24:25]
	ds_load_b128 v[6:9], v1 offset:1648
	s_waitcnt vmcnt(8) lgkmcnt(1)
	v_mul_f64 v[185:186], v[2:3], v[28:29]
	v_mul_f64 v[28:29], v[4:5], v[28:29]
	scratch_load_b128 v[22:25], off, off offset:864
	v_add_f64 v[166:167], v[166:167], v[189:190]
	v_add_f64 v[170:171], v[170:171], v[181:182]
	s_waitcnt vmcnt(8) lgkmcnt(0)
	v_mul_f64 v[181:182], v[6:7], v[32:33]
	v_mul_f64 v[32:33], v[8:9], v[32:33]
	v_fma_f64 v[185:186], v[4:5], v[26:27], v[185:186]
	v_fma_f64 v[189:190], v[2:3], v[26:27], -v[28:29]
	scratch_load_b128 v[26:29], off, off offset:880
	ds_load_b128 v[2:5], v1 offset:1664
	v_add_f64 v[166:167], v[166:167], v[187:188]
	v_add_f64 v[170:171], v[170:171], v[183:184]
	v_fma_f64 v[181:182], v[8:9], v[30:31], v[181:182]
	v_fma_f64 v[187:188], v[6:7], v[30:31], -v[32:33]
	ds_load_b128 v[6:9], v1 offset:1680
	s_waitcnt vmcnt(8) lgkmcnt(1)
	v_mul_f64 v[183:184], v[2:3], v[36:37]
	v_mul_f64 v[36:37], v[4:5], v[36:37]
	scratch_load_b128 v[30:33], off, off offset:896
	v_add_f64 v[166:167], v[166:167], v[189:190]
	v_add_f64 v[170:171], v[170:171], v[185:186]
	s_waitcnt vmcnt(8) lgkmcnt(0)
	v_mul_f64 v[185:186], v[6:7], v[179:180]
	v_mul_f64 v[179:180], v[8:9], v[179:180]
	v_fma_f64 v[183:184], v[4:5], v[34:35], v[183:184]
	v_fma_f64 v[34:35], v[2:3], v[34:35], -v[36:37]
	ds_load_b128 v[2:5], v1 offset:1696
	v_add_f64 v[36:37], v[166:167], v[187:188]
	v_add_f64 v[166:167], v[170:171], v[181:182]
	v_fma_f64 v[181:182], v[8:9], v[177:178], v[185:186]
	v_fma_f64 v[177:178], v[6:7], v[177:178], -v[179:180]
	ds_load_b128 v[6:9], v1 offset:1712
	s_waitcnt vmcnt(7) lgkmcnt(1)
	v_mul_f64 v[170:171], v[2:3], v[40:41]
	v_mul_f64 v[40:41], v[4:5], v[40:41]
	v_add_f64 v[34:35], v[36:37], v[34:35]
	v_add_f64 v[36:37], v[166:167], v[183:184]
	s_delay_alu instid0(VALU_DEP_4) | instskip(NEXT) | instid1(VALU_DEP_4)
	v_fma_f64 v[170:171], v[4:5], v[38:39], v[170:171]
	v_fma_f64 v[38:39], v[2:3], v[38:39], -v[40:41]
	ds_load_b128 v[2:5], v1 offset:1728
	v_add_f64 v[40:41], v[34:35], v[177:178]
	v_add_f64 v[177:178], v[36:37], v[181:182]
	scratch_load_b128 v[34:37], off, off offset:128
	s_waitcnt vmcnt(7) lgkmcnt(1)
	v_mul_f64 v[166:167], v[6:7], v[175:176]
	v_mul_f64 v[175:176], v[8:9], v[175:176]
	v_add_f64 v[38:39], v[40:41], v[38:39]
	v_add_f64 v[40:41], v[177:178], v[170:171]
	s_delay_alu instid0(VALU_DEP_4) | instskip(NEXT) | instid1(VALU_DEP_4)
	v_fma_f64 v[166:167], v[8:9], v[173:174], v[166:167]
	v_fma_f64 v[173:174], v[6:7], v[173:174], -v[175:176]
	ds_load_b128 v[6:9], v1 offset:1744
	s_waitcnt vmcnt(6) lgkmcnt(1)
	v_mul_f64 v[179:180], v[2:3], v[12:13]
	v_mul_f64 v[12:13], v[4:5], v[12:13]
	s_waitcnt vmcnt(5) lgkmcnt(0)
	v_mul_f64 v[170:171], v[6:7], v[16:17]
	v_mul_f64 v[16:17], v[8:9], v[16:17]
	s_delay_alu instid0(VALU_DEP_4) | instskip(NEXT) | instid1(VALU_DEP_4)
	v_fma_f64 v[175:176], v[4:5], v[10:11], v[179:180]
	v_fma_f64 v[10:11], v[2:3], v[10:11], -v[12:13]
	v_add_f64 v[12:13], v[38:39], v[173:174]
	v_add_f64 v[38:39], v[40:41], v[166:167]
	ds_load_b128 v[2:5], v1 offset:1760
	v_fma_f64 v[166:167], v[8:9], v[14:15], v[170:171]
	v_fma_f64 v[14:15], v[6:7], v[14:15], -v[16:17]
	ds_load_b128 v[6:9], v1 offset:1776
	s_waitcnt vmcnt(4) lgkmcnt(1)
	v_mul_f64 v[40:41], v[2:3], v[20:21]
	v_mul_f64 v[20:21], v[4:5], v[20:21]
	v_add_f64 v[10:11], v[12:13], v[10:11]
	v_add_f64 v[12:13], v[38:39], v[175:176]
	s_waitcnt vmcnt(3) lgkmcnt(0)
	v_mul_f64 v[16:17], v[6:7], v[24:25]
	v_mul_f64 v[24:25], v[8:9], v[24:25]
	v_fma_f64 v[38:39], v[4:5], v[18:19], v[40:41]
	v_fma_f64 v[18:19], v[2:3], v[18:19], -v[20:21]
	ds_load_b128 v[2:5], v1 offset:1792
	v_add_f64 v[10:11], v[10:11], v[14:15]
	v_add_f64 v[12:13], v[12:13], v[166:167]
	v_fma_f64 v[16:17], v[8:9], v[22:23], v[16:17]
	v_fma_f64 v[22:23], v[6:7], v[22:23], -v[24:25]
	ds_load_b128 v[6:9], v1 offset:1808
	s_waitcnt vmcnt(2) lgkmcnt(1)
	v_mul_f64 v[14:15], v[2:3], v[28:29]
	v_mul_f64 v[20:21], v[4:5], v[28:29]
	s_waitcnt vmcnt(1) lgkmcnt(0)
	v_mul_f64 v[24:25], v[8:9], v[32:33]
	v_add_f64 v[10:11], v[10:11], v[18:19]
	v_add_f64 v[12:13], v[12:13], v[38:39]
	v_mul_f64 v[18:19], v[6:7], v[32:33]
	v_fma_f64 v[4:5], v[4:5], v[26:27], v[14:15]
	v_fma_f64 v[1:2], v[2:3], v[26:27], -v[20:21]
	v_fma_f64 v[6:7], v[6:7], v[30:31], -v[24:25]
	v_add_f64 v[10:11], v[10:11], v[22:23]
	v_add_f64 v[12:13], v[12:13], v[16:17]
	v_fma_f64 v[8:9], v[8:9], v[30:31], v[18:19]
	s_delay_alu instid0(VALU_DEP_3) | instskip(NEXT) | instid1(VALU_DEP_3)
	v_add_f64 v[1:2], v[10:11], v[1:2]
	v_add_f64 v[3:4], v[12:13], v[4:5]
	s_delay_alu instid0(VALU_DEP_2) | instskip(NEXT) | instid1(VALU_DEP_2)
	v_add_f64 v[1:2], v[1:2], v[6:7]
	v_add_f64 v[3:4], v[3:4], v[8:9]
	s_waitcnt vmcnt(0)
	s_delay_alu instid0(VALU_DEP_2) | instskip(NEXT) | instid1(VALU_DEP_2)
	v_add_f64 v[1:2], v[34:35], -v[1:2]
	v_add_f64 v[3:4], v[36:37], -v[3:4]
	scratch_store_b128 off, v[1:4], off offset:128
	v_cmpx_lt_u32_e32 7, v156
	s_cbranch_execz .LBB120_341
; %bb.340:
	scratch_load_b128 v[1:4], v206, off
	v_mov_b32_e32 v5, 0
	s_delay_alu instid0(VALU_DEP_1)
	v_mov_b32_e32 v6, v5
	v_mov_b32_e32 v7, v5
	v_mov_b32_e32 v8, v5
	scratch_store_b128 off, v[5:8], off offset:112
	s_waitcnt vmcnt(0)
	ds_store_b128 v213, v[1:4]
.LBB120_341:
	s_or_b32 exec_lo, exec_lo, s2
	s_waitcnt lgkmcnt(0)
	s_waitcnt_vscnt null, 0x0
	s_barrier
	buffer_gl0_inv
	s_clause 0x7
	scratch_load_b128 v[2:5], off, off offset:128
	scratch_load_b128 v[6:9], off, off offset:144
	scratch_load_b128 v[10:13], off, off offset:160
	scratch_load_b128 v[14:17], off, off offset:176
	scratch_load_b128 v[18:21], off, off offset:192
	scratch_load_b128 v[22:25], off, off offset:208
	scratch_load_b128 v[26:29], off, off offset:224
	scratch_load_b128 v[30:33], off, off offset:240
	v_mov_b32_e32 v1, 0
	s_clause 0x1
	scratch_load_b128 v[34:37], off, off offset:256
	scratch_load_b128 v[177:180], off, off offset:272
	s_mov_b32 s2, exec_lo
	ds_load_b128 v[38:41], v1 offset:1040
	ds_load_b128 v[173:176], v1 offset:1056
	s_waitcnt vmcnt(9) lgkmcnt(1)
	v_mul_f64 v[166:167], v[40:41], v[4:5]
	v_mul_f64 v[4:5], v[38:39], v[4:5]
	s_waitcnt vmcnt(8) lgkmcnt(0)
	v_mul_f64 v[170:171], v[173:174], v[8:9]
	v_mul_f64 v[8:9], v[175:176], v[8:9]
	s_delay_alu instid0(VALU_DEP_4) | instskip(NEXT) | instid1(VALU_DEP_4)
	v_fma_f64 v[166:167], v[38:39], v[2:3], -v[166:167]
	v_fma_f64 v[181:182], v[40:41], v[2:3], v[4:5]
	ds_load_b128 v[2:5], v1 offset:1072
	scratch_load_b128 v[38:41], off, off offset:288
	v_fma_f64 v[170:171], v[175:176], v[6:7], v[170:171]
	v_fma_f64 v[185:186], v[173:174], v[6:7], -v[8:9]
	scratch_load_b128 v[173:176], off, off offset:304
	ds_load_b128 v[6:9], v1 offset:1088
	s_waitcnt vmcnt(9) lgkmcnt(1)
	v_mul_f64 v[183:184], v[2:3], v[12:13]
	v_mul_f64 v[12:13], v[4:5], v[12:13]
	s_waitcnt vmcnt(8) lgkmcnt(0)
	v_mul_f64 v[187:188], v[6:7], v[16:17]
	v_mul_f64 v[16:17], v[8:9], v[16:17]
	v_add_f64 v[166:167], v[166:167], 0
	v_add_f64 v[181:182], v[181:182], 0
	v_fma_f64 v[183:184], v[4:5], v[10:11], v[183:184]
	v_fma_f64 v[189:190], v[2:3], v[10:11], -v[12:13]
	ds_load_b128 v[2:5], v1 offset:1104
	scratch_load_b128 v[10:13], off, off offset:320
	v_add_f64 v[166:167], v[166:167], v[185:186]
	v_add_f64 v[170:171], v[181:182], v[170:171]
	v_fma_f64 v[185:186], v[8:9], v[14:15], v[187:188]
	v_fma_f64 v[187:188], v[6:7], v[14:15], -v[16:17]
	scratch_load_b128 v[14:17], off, off offset:336
	ds_load_b128 v[6:9], v1 offset:1120
	s_waitcnt vmcnt(9) lgkmcnt(1)
	v_mul_f64 v[181:182], v[2:3], v[20:21]
	v_mul_f64 v[20:21], v[4:5], v[20:21]
	v_add_f64 v[166:167], v[166:167], v[189:190]
	v_add_f64 v[170:171], v[170:171], v[183:184]
	s_waitcnt vmcnt(8) lgkmcnt(0)
	v_mul_f64 v[183:184], v[6:7], v[24:25]
	v_mul_f64 v[24:25], v[8:9], v[24:25]
	v_fma_f64 v[181:182], v[4:5], v[18:19], v[181:182]
	v_fma_f64 v[189:190], v[2:3], v[18:19], -v[20:21]
	ds_load_b128 v[2:5], v1 offset:1136
	scratch_load_b128 v[18:21], off, off offset:352
	v_add_f64 v[166:167], v[166:167], v[187:188]
	v_add_f64 v[170:171], v[170:171], v[185:186]
	v_fma_f64 v[183:184], v[8:9], v[22:23], v[183:184]
	v_fma_f64 v[187:188], v[6:7], v[22:23], -v[24:25]
	scratch_load_b128 v[22:25], off, off offset:368
	ds_load_b128 v[6:9], v1 offset:1152
	s_waitcnt vmcnt(9) lgkmcnt(1)
	v_mul_f64 v[185:186], v[2:3], v[28:29]
	v_mul_f64 v[28:29], v[4:5], v[28:29]
	v_add_f64 v[166:167], v[166:167], v[189:190]
	v_add_f64 v[170:171], v[170:171], v[181:182]
	s_waitcnt vmcnt(8) lgkmcnt(0)
	v_mul_f64 v[181:182], v[6:7], v[32:33]
	v_mul_f64 v[32:33], v[8:9], v[32:33]
	;; [unrolled: 18-line block ×15, first 2 shown]
	v_fma_f64 v[183:184], v[4:5], v[10:11], v[183:184]
	v_fma_f64 v[189:190], v[2:3], v[10:11], -v[12:13]
	ds_load_b128 v[2:5], v1 offset:1584
	scratch_load_b128 v[10:13], off, off offset:800
	v_add_f64 v[166:167], v[166:167], v[187:188]
	v_add_f64 v[170:171], v[170:171], v[181:182]
	v_fma_f64 v[185:186], v[8:9], v[14:15], v[185:186]
	v_fma_f64 v[187:188], v[6:7], v[14:15], -v[16:17]
	ds_load_b128 v[6:9], v1 offset:1600
	s_waitcnt vmcnt(8) lgkmcnt(1)
	v_mul_f64 v[181:182], v[2:3], v[20:21]
	v_mul_f64 v[20:21], v[4:5], v[20:21]
	scratch_load_b128 v[14:17], off, off offset:816
	v_add_f64 v[166:167], v[166:167], v[189:190]
	v_add_f64 v[170:171], v[170:171], v[183:184]
	s_waitcnt vmcnt(8) lgkmcnt(0)
	v_mul_f64 v[183:184], v[6:7], v[24:25]
	v_mul_f64 v[24:25], v[8:9], v[24:25]
	v_fma_f64 v[181:182], v[4:5], v[18:19], v[181:182]
	v_fma_f64 v[189:190], v[2:3], v[18:19], -v[20:21]
	scratch_load_b128 v[18:21], off, off offset:832
	ds_load_b128 v[2:5], v1 offset:1616
	v_add_f64 v[166:167], v[166:167], v[187:188]
	v_add_f64 v[170:171], v[170:171], v[185:186]
	v_fma_f64 v[183:184], v[8:9], v[22:23], v[183:184]
	v_fma_f64 v[187:188], v[6:7], v[22:23], -v[24:25]
	ds_load_b128 v[6:9], v1 offset:1632
	s_waitcnt vmcnt(8) lgkmcnt(1)
	v_mul_f64 v[185:186], v[2:3], v[28:29]
	v_mul_f64 v[28:29], v[4:5], v[28:29]
	scratch_load_b128 v[22:25], off, off offset:848
	v_add_f64 v[166:167], v[166:167], v[189:190]
	v_add_f64 v[170:171], v[170:171], v[181:182]
	s_waitcnt vmcnt(8) lgkmcnt(0)
	v_mul_f64 v[181:182], v[6:7], v[32:33]
	v_mul_f64 v[32:33], v[8:9], v[32:33]
	v_fma_f64 v[185:186], v[4:5], v[26:27], v[185:186]
	v_fma_f64 v[189:190], v[2:3], v[26:27], -v[28:29]
	scratch_load_b128 v[26:29], off, off offset:864
	ds_load_b128 v[2:5], v1 offset:1648
	;; [unrolled: 18-line block ×3, first 2 shown]
	v_add_f64 v[166:167], v[166:167], v[187:188]
	v_add_f64 v[170:171], v[170:171], v[181:182]
	v_fma_f64 v[185:186], v[8:9], v[177:178], v[185:186]
	v_fma_f64 v[177:178], v[6:7], v[177:178], -v[179:180]
	ds_load_b128 v[6:9], v1 offset:1696
	s_waitcnt vmcnt(8) lgkmcnt(1)
	v_mul_f64 v[181:182], v[2:3], v[40:41]
	v_mul_f64 v[40:41], v[4:5], v[40:41]
	s_waitcnt vmcnt(7) lgkmcnt(0)
	v_mul_f64 v[179:180], v[6:7], v[175:176]
	v_mul_f64 v[175:176], v[8:9], v[175:176]
	v_add_f64 v[166:167], v[166:167], v[189:190]
	v_add_f64 v[170:171], v[170:171], v[183:184]
	v_fma_f64 v[181:182], v[4:5], v[38:39], v[181:182]
	v_fma_f64 v[38:39], v[2:3], v[38:39], -v[40:41]
	ds_load_b128 v[2:5], v1 offset:1712
	v_add_f64 v[40:41], v[166:167], v[177:178]
	v_add_f64 v[166:167], v[170:171], v[185:186]
	v_fma_f64 v[177:178], v[8:9], v[173:174], v[179:180]
	v_fma_f64 v[173:174], v[6:7], v[173:174], -v[175:176]
	ds_load_b128 v[6:9], v1 offset:1728
	s_waitcnt vmcnt(5) lgkmcnt(0)
	v_mul_f64 v[179:180], v[6:7], v[16:17]
	v_mul_f64 v[16:17], v[8:9], v[16:17]
	v_add_f64 v[175:176], v[40:41], v[38:39]
	v_add_f64 v[166:167], v[166:167], v[181:182]
	scratch_load_b128 v[38:41], off, off offset:112
	v_mul_f64 v[170:171], v[2:3], v[12:13]
	v_mul_f64 v[12:13], v[4:5], v[12:13]
	v_add_f64 v[166:167], v[166:167], v[177:178]
	s_delay_alu instid0(VALU_DEP_3) | instskip(NEXT) | instid1(VALU_DEP_3)
	v_fma_f64 v[170:171], v[4:5], v[10:11], v[170:171]
	v_fma_f64 v[10:11], v[2:3], v[10:11], -v[12:13]
	v_add_f64 v[12:13], v[175:176], v[173:174]
	ds_load_b128 v[2:5], v1 offset:1744
	v_fma_f64 v[175:176], v[8:9], v[14:15], v[179:180]
	v_fma_f64 v[14:15], v[6:7], v[14:15], -v[16:17]
	ds_load_b128 v[6:9], v1 offset:1760
	s_waitcnt vmcnt(5) lgkmcnt(1)
	v_mul_f64 v[173:174], v[2:3], v[20:21]
	v_mul_f64 v[20:21], v[4:5], v[20:21]
	s_waitcnt vmcnt(4) lgkmcnt(0)
	v_mul_f64 v[16:17], v[6:7], v[24:25]
	v_mul_f64 v[24:25], v[8:9], v[24:25]
	v_add_f64 v[10:11], v[12:13], v[10:11]
	v_add_f64 v[12:13], v[166:167], v[170:171]
	v_fma_f64 v[166:167], v[4:5], v[18:19], v[173:174]
	v_fma_f64 v[18:19], v[2:3], v[18:19], -v[20:21]
	ds_load_b128 v[2:5], v1 offset:1776
	v_fma_f64 v[16:17], v[8:9], v[22:23], v[16:17]
	v_fma_f64 v[22:23], v[6:7], v[22:23], -v[24:25]
	ds_load_b128 v[6:9], v1 offset:1792
	v_add_f64 v[10:11], v[10:11], v[14:15]
	v_add_f64 v[12:13], v[12:13], v[175:176]
	s_waitcnt vmcnt(3) lgkmcnt(1)
	v_mul_f64 v[14:15], v[2:3], v[28:29]
	v_mul_f64 v[20:21], v[4:5], v[28:29]
	s_waitcnt vmcnt(2) lgkmcnt(0)
	v_mul_f64 v[24:25], v[8:9], v[32:33]
	v_add_f64 v[10:11], v[10:11], v[18:19]
	v_add_f64 v[12:13], v[12:13], v[166:167]
	v_mul_f64 v[18:19], v[6:7], v[32:33]
	v_fma_f64 v[14:15], v[4:5], v[26:27], v[14:15]
	v_fma_f64 v[20:21], v[2:3], v[26:27], -v[20:21]
	ds_load_b128 v[2:5], v1 offset:1808
	v_fma_f64 v[6:7], v[6:7], v[30:31], -v[24:25]
	v_add_f64 v[10:11], v[10:11], v[22:23]
	v_add_f64 v[12:13], v[12:13], v[16:17]
	s_waitcnt vmcnt(1) lgkmcnt(0)
	v_mul_f64 v[16:17], v[2:3], v[36:37]
	v_mul_f64 v[22:23], v[4:5], v[36:37]
	v_fma_f64 v[8:9], v[8:9], v[30:31], v[18:19]
	v_add_f64 v[10:11], v[10:11], v[20:21]
	v_add_f64 v[12:13], v[12:13], v[14:15]
	v_fma_f64 v[4:5], v[4:5], v[34:35], v[16:17]
	v_fma_f64 v[2:3], v[2:3], v[34:35], -v[22:23]
	s_delay_alu instid0(VALU_DEP_4) | instskip(NEXT) | instid1(VALU_DEP_4)
	v_add_f64 v[6:7], v[10:11], v[6:7]
	v_add_f64 v[8:9], v[12:13], v[8:9]
	s_delay_alu instid0(VALU_DEP_2) | instskip(NEXT) | instid1(VALU_DEP_2)
	v_add_f64 v[2:3], v[6:7], v[2:3]
	v_add_f64 v[4:5], v[8:9], v[4:5]
	s_waitcnt vmcnt(0)
	s_delay_alu instid0(VALU_DEP_2) | instskip(NEXT) | instid1(VALU_DEP_2)
	v_add_f64 v[2:3], v[38:39], -v[2:3]
	v_add_f64 v[4:5], v[40:41], -v[4:5]
	scratch_store_b128 off, v[2:5], off offset:112
	v_cmpx_lt_u32_e32 6, v156
	s_cbranch_execz .LBB120_343
; %bb.342:
	scratch_load_b128 v[5:8], v207, off
	v_mov_b32_e32 v2, v1
	v_mov_b32_e32 v3, v1
	;; [unrolled: 1-line block ×3, first 2 shown]
	scratch_store_b128 off, v[1:4], off offset:96
	s_waitcnt vmcnt(0)
	ds_store_b128 v213, v[5:8]
.LBB120_343:
	s_or_b32 exec_lo, exec_lo, s2
	s_waitcnt lgkmcnt(0)
	s_waitcnt_vscnt null, 0x0
	s_barrier
	buffer_gl0_inv
	s_clause 0x7
	scratch_load_b128 v[2:5], off, off offset:112
	scratch_load_b128 v[6:9], off, off offset:128
	;; [unrolled: 1-line block ×8, first 2 shown]
	ds_load_b128 v[38:41], v1 offset:1024
	ds_load_b128 v[173:176], v1 offset:1040
	s_clause 0x1
	scratch_load_b128 v[34:37], off, off offset:240
	scratch_load_b128 v[177:180], off, off offset:256
	s_mov_b32 s2, exec_lo
	s_waitcnt vmcnt(9) lgkmcnt(1)
	v_mul_f64 v[166:167], v[40:41], v[4:5]
	v_mul_f64 v[4:5], v[38:39], v[4:5]
	s_waitcnt vmcnt(8) lgkmcnt(0)
	v_mul_f64 v[170:171], v[173:174], v[8:9]
	v_mul_f64 v[8:9], v[175:176], v[8:9]
	s_delay_alu instid0(VALU_DEP_4) | instskip(NEXT) | instid1(VALU_DEP_4)
	v_fma_f64 v[166:167], v[38:39], v[2:3], -v[166:167]
	v_fma_f64 v[181:182], v[40:41], v[2:3], v[4:5]
	ds_load_b128 v[2:5], v1 offset:1056
	scratch_load_b128 v[38:41], off, off offset:272
	v_fma_f64 v[170:171], v[175:176], v[6:7], v[170:171]
	v_fma_f64 v[185:186], v[173:174], v[6:7], -v[8:9]
	scratch_load_b128 v[173:176], off, off offset:288
	ds_load_b128 v[6:9], v1 offset:1072
	s_waitcnt vmcnt(9) lgkmcnt(1)
	v_mul_f64 v[183:184], v[2:3], v[12:13]
	v_mul_f64 v[12:13], v[4:5], v[12:13]
	s_waitcnt vmcnt(8) lgkmcnt(0)
	v_mul_f64 v[187:188], v[6:7], v[16:17]
	v_mul_f64 v[16:17], v[8:9], v[16:17]
	v_add_f64 v[166:167], v[166:167], 0
	v_add_f64 v[181:182], v[181:182], 0
	v_fma_f64 v[183:184], v[4:5], v[10:11], v[183:184]
	v_fma_f64 v[189:190], v[2:3], v[10:11], -v[12:13]
	ds_load_b128 v[2:5], v1 offset:1088
	scratch_load_b128 v[10:13], off, off offset:304
	v_add_f64 v[166:167], v[166:167], v[185:186]
	v_add_f64 v[170:171], v[181:182], v[170:171]
	v_fma_f64 v[185:186], v[8:9], v[14:15], v[187:188]
	v_fma_f64 v[187:188], v[6:7], v[14:15], -v[16:17]
	scratch_load_b128 v[14:17], off, off offset:320
	ds_load_b128 v[6:9], v1 offset:1104
	s_waitcnt vmcnt(9) lgkmcnt(1)
	v_mul_f64 v[181:182], v[2:3], v[20:21]
	v_mul_f64 v[20:21], v[4:5], v[20:21]
	v_add_f64 v[166:167], v[166:167], v[189:190]
	v_add_f64 v[170:171], v[170:171], v[183:184]
	s_waitcnt vmcnt(8) lgkmcnt(0)
	v_mul_f64 v[183:184], v[6:7], v[24:25]
	v_mul_f64 v[24:25], v[8:9], v[24:25]
	v_fma_f64 v[181:182], v[4:5], v[18:19], v[181:182]
	v_fma_f64 v[189:190], v[2:3], v[18:19], -v[20:21]
	ds_load_b128 v[2:5], v1 offset:1120
	scratch_load_b128 v[18:21], off, off offset:336
	v_add_f64 v[166:167], v[166:167], v[187:188]
	v_add_f64 v[170:171], v[170:171], v[185:186]
	v_fma_f64 v[183:184], v[8:9], v[22:23], v[183:184]
	v_fma_f64 v[187:188], v[6:7], v[22:23], -v[24:25]
	scratch_load_b128 v[22:25], off, off offset:352
	ds_load_b128 v[6:9], v1 offset:1136
	s_waitcnt vmcnt(9) lgkmcnt(1)
	v_mul_f64 v[185:186], v[2:3], v[28:29]
	v_mul_f64 v[28:29], v[4:5], v[28:29]
	v_add_f64 v[166:167], v[166:167], v[189:190]
	v_add_f64 v[170:171], v[170:171], v[181:182]
	s_waitcnt vmcnt(8) lgkmcnt(0)
	v_mul_f64 v[181:182], v[6:7], v[32:33]
	v_mul_f64 v[32:33], v[8:9], v[32:33]
	;; [unrolled: 18-line block ×15, first 2 shown]
	v_fma_f64 v[183:184], v[4:5], v[10:11], v[183:184]
	v_fma_f64 v[189:190], v[2:3], v[10:11], -v[12:13]
	ds_load_b128 v[2:5], v1 offset:1568
	scratch_load_b128 v[10:13], off, off offset:784
	v_add_f64 v[166:167], v[166:167], v[187:188]
	v_add_f64 v[170:171], v[170:171], v[181:182]
	v_fma_f64 v[185:186], v[8:9], v[14:15], v[185:186]
	v_fma_f64 v[187:188], v[6:7], v[14:15], -v[16:17]
	ds_load_b128 v[6:9], v1 offset:1584
	s_waitcnt vmcnt(8) lgkmcnt(1)
	v_mul_f64 v[181:182], v[2:3], v[20:21]
	v_mul_f64 v[20:21], v[4:5], v[20:21]
	scratch_load_b128 v[14:17], off, off offset:800
	v_add_f64 v[166:167], v[166:167], v[189:190]
	v_add_f64 v[170:171], v[170:171], v[183:184]
	s_waitcnt vmcnt(8) lgkmcnt(0)
	v_mul_f64 v[183:184], v[6:7], v[24:25]
	v_mul_f64 v[24:25], v[8:9], v[24:25]
	v_fma_f64 v[181:182], v[4:5], v[18:19], v[181:182]
	v_fma_f64 v[189:190], v[2:3], v[18:19], -v[20:21]
	ds_load_b128 v[2:5], v1 offset:1600
	scratch_load_b128 v[18:21], off, off offset:816
	v_add_f64 v[166:167], v[166:167], v[187:188]
	v_add_f64 v[170:171], v[170:171], v[185:186]
	v_fma_f64 v[183:184], v[8:9], v[22:23], v[183:184]
	v_fma_f64 v[187:188], v[6:7], v[22:23], -v[24:25]
	ds_load_b128 v[6:9], v1 offset:1616
	s_waitcnt vmcnt(8) lgkmcnt(1)
	v_mul_f64 v[185:186], v[2:3], v[28:29]
	v_mul_f64 v[28:29], v[4:5], v[28:29]
	scratch_load_b128 v[22:25], off, off offset:832
	v_add_f64 v[166:167], v[166:167], v[189:190]
	v_add_f64 v[170:171], v[170:171], v[181:182]
	s_waitcnt vmcnt(8) lgkmcnt(0)
	v_mul_f64 v[181:182], v[6:7], v[32:33]
	v_mul_f64 v[32:33], v[8:9], v[32:33]
	v_fma_f64 v[185:186], v[4:5], v[26:27], v[185:186]
	v_fma_f64 v[189:190], v[2:3], v[26:27], -v[28:29]
	scratch_load_b128 v[26:29], off, off offset:848
	ds_load_b128 v[2:5], v1 offset:1632
	v_add_f64 v[166:167], v[166:167], v[187:188]
	v_add_f64 v[170:171], v[170:171], v[183:184]
	v_fma_f64 v[181:182], v[8:9], v[30:31], v[181:182]
	v_fma_f64 v[187:188], v[6:7], v[30:31], -v[32:33]
	ds_load_b128 v[6:9], v1 offset:1648
	s_waitcnt vmcnt(8) lgkmcnt(1)
	v_mul_f64 v[183:184], v[2:3], v[36:37]
	v_mul_f64 v[36:37], v[4:5], v[36:37]
	scratch_load_b128 v[30:33], off, off offset:864
	v_add_f64 v[166:167], v[166:167], v[189:190]
	v_add_f64 v[170:171], v[170:171], v[185:186]
	s_waitcnt vmcnt(8) lgkmcnt(0)
	v_mul_f64 v[185:186], v[6:7], v[179:180]
	v_mul_f64 v[179:180], v[8:9], v[179:180]
	v_fma_f64 v[183:184], v[4:5], v[34:35], v[183:184]
	v_fma_f64 v[189:190], v[2:3], v[34:35], -v[36:37]
	scratch_load_b128 v[34:37], off, off offset:880
	ds_load_b128 v[2:5], v1 offset:1664
	v_add_f64 v[166:167], v[166:167], v[187:188]
	v_add_f64 v[170:171], v[170:171], v[181:182]
	v_fma_f64 v[185:186], v[8:9], v[177:178], v[185:186]
	v_fma_f64 v[187:188], v[6:7], v[177:178], -v[179:180]
	ds_load_b128 v[6:9], v1 offset:1680
	s_waitcnt vmcnt(8) lgkmcnt(1)
	v_mul_f64 v[181:182], v[2:3], v[40:41]
	v_mul_f64 v[40:41], v[4:5], v[40:41]
	scratch_load_b128 v[177:180], off, off offset:896
	v_add_f64 v[166:167], v[166:167], v[189:190]
	v_add_f64 v[170:171], v[170:171], v[183:184]
	s_waitcnt vmcnt(8) lgkmcnt(0)
	v_mul_f64 v[183:184], v[6:7], v[175:176]
	v_mul_f64 v[175:176], v[8:9], v[175:176]
	v_fma_f64 v[181:182], v[4:5], v[38:39], v[181:182]
	v_fma_f64 v[38:39], v[2:3], v[38:39], -v[40:41]
	ds_load_b128 v[2:5], v1 offset:1696
	v_add_f64 v[40:41], v[166:167], v[187:188]
	v_add_f64 v[166:167], v[170:171], v[185:186]
	v_fma_f64 v[183:184], v[8:9], v[173:174], v[183:184]
	v_fma_f64 v[173:174], v[6:7], v[173:174], -v[175:176]
	ds_load_b128 v[6:9], v1 offset:1712
	s_waitcnt vmcnt(7) lgkmcnt(1)
	v_mul_f64 v[170:171], v[2:3], v[12:13]
	v_mul_f64 v[12:13], v[4:5], v[12:13]
	v_add_f64 v[38:39], v[40:41], v[38:39]
	v_add_f64 v[40:41], v[166:167], v[181:182]
	s_delay_alu instid0(VALU_DEP_4) | instskip(NEXT) | instid1(VALU_DEP_4)
	v_fma_f64 v[170:171], v[4:5], v[10:11], v[170:171]
	v_fma_f64 v[175:176], v[2:3], v[10:11], -v[12:13]
	scratch_load_b128 v[10:13], off, off offset:96
	s_waitcnt vmcnt(7) lgkmcnt(0)
	v_mul_f64 v[166:167], v[6:7], v[16:17]
	v_mul_f64 v[16:17], v[8:9], v[16:17]
	ds_load_b128 v[2:5], v1 offset:1728
	v_add_f64 v[38:39], v[38:39], v[173:174]
	v_add_f64 v[40:41], v[40:41], v[183:184]
	v_fma_f64 v[166:167], v[8:9], v[14:15], v[166:167]
	v_fma_f64 v[14:15], v[6:7], v[14:15], -v[16:17]
	ds_load_b128 v[6:9], v1 offset:1744
	s_waitcnt vmcnt(6) lgkmcnt(1)
	v_mul_f64 v[173:174], v[2:3], v[20:21]
	v_mul_f64 v[20:21], v[4:5], v[20:21]
	v_add_f64 v[16:17], v[38:39], v[175:176]
	v_add_f64 v[38:39], v[40:41], v[170:171]
	s_waitcnt vmcnt(5) lgkmcnt(0)
	v_mul_f64 v[40:41], v[6:7], v[24:25]
	v_mul_f64 v[24:25], v[8:9], v[24:25]
	v_fma_f64 v[170:171], v[4:5], v[18:19], v[173:174]
	v_fma_f64 v[18:19], v[2:3], v[18:19], -v[20:21]
	ds_load_b128 v[2:5], v1 offset:1760
	v_add_f64 v[14:15], v[16:17], v[14:15]
	v_add_f64 v[16:17], v[38:39], v[166:167]
	v_fma_f64 v[38:39], v[8:9], v[22:23], v[40:41]
	v_fma_f64 v[22:23], v[6:7], v[22:23], -v[24:25]
	ds_load_b128 v[6:9], v1 offset:1776
	s_waitcnt vmcnt(4) lgkmcnt(1)
	v_mul_f64 v[20:21], v[2:3], v[28:29]
	v_mul_f64 v[28:29], v[4:5], v[28:29]
	s_waitcnt vmcnt(3) lgkmcnt(0)
	v_mul_f64 v[24:25], v[8:9], v[32:33]
	v_add_f64 v[14:15], v[14:15], v[18:19]
	v_add_f64 v[16:17], v[16:17], v[170:171]
	v_mul_f64 v[18:19], v[6:7], v[32:33]
	v_fma_f64 v[20:21], v[4:5], v[26:27], v[20:21]
	v_fma_f64 v[26:27], v[2:3], v[26:27], -v[28:29]
	ds_load_b128 v[2:5], v1 offset:1792
	v_fma_f64 v[24:25], v[6:7], v[30:31], -v[24:25]
	v_add_f64 v[14:15], v[14:15], v[22:23]
	v_add_f64 v[16:17], v[16:17], v[38:39]
	v_fma_f64 v[18:19], v[8:9], v[30:31], v[18:19]
	ds_load_b128 v[6:9], v1 offset:1808
	s_waitcnt vmcnt(2) lgkmcnt(1)
	v_mul_f64 v[22:23], v[2:3], v[36:37]
	v_mul_f64 v[28:29], v[4:5], v[36:37]
	v_add_f64 v[14:15], v[14:15], v[26:27]
	v_add_f64 v[16:17], v[16:17], v[20:21]
	s_waitcnt vmcnt(1) lgkmcnt(0)
	v_mul_f64 v[20:21], v[6:7], v[179:180]
	v_mul_f64 v[26:27], v[8:9], v[179:180]
	v_fma_f64 v[4:5], v[4:5], v[34:35], v[22:23]
	v_fma_f64 v[1:2], v[2:3], v[34:35], -v[28:29]
	v_add_f64 v[14:15], v[14:15], v[24:25]
	v_add_f64 v[16:17], v[16:17], v[18:19]
	v_fma_f64 v[8:9], v[8:9], v[177:178], v[20:21]
	v_fma_f64 v[6:7], v[6:7], v[177:178], -v[26:27]
	s_delay_alu instid0(VALU_DEP_4) | instskip(NEXT) | instid1(VALU_DEP_4)
	v_add_f64 v[1:2], v[14:15], v[1:2]
	v_add_f64 v[3:4], v[16:17], v[4:5]
	s_delay_alu instid0(VALU_DEP_2) | instskip(NEXT) | instid1(VALU_DEP_2)
	v_add_f64 v[1:2], v[1:2], v[6:7]
	v_add_f64 v[3:4], v[3:4], v[8:9]
	s_waitcnt vmcnt(0)
	s_delay_alu instid0(VALU_DEP_2) | instskip(NEXT) | instid1(VALU_DEP_2)
	v_add_f64 v[1:2], v[10:11], -v[1:2]
	v_add_f64 v[3:4], v[12:13], -v[3:4]
	scratch_store_b128 off, v[1:4], off offset:96
	v_cmpx_lt_u32_e32 5, v156
	s_cbranch_execz .LBB120_345
; %bb.344:
	scratch_load_b128 v[1:4], v208, off
	v_mov_b32_e32 v5, 0
	s_delay_alu instid0(VALU_DEP_1)
	v_mov_b32_e32 v6, v5
	v_mov_b32_e32 v7, v5
	v_mov_b32_e32 v8, v5
	scratch_store_b128 off, v[5:8], off offset:80
	s_waitcnt vmcnt(0)
	ds_store_b128 v213, v[1:4]
.LBB120_345:
	s_or_b32 exec_lo, exec_lo, s2
	s_waitcnt lgkmcnt(0)
	s_waitcnt_vscnt null, 0x0
	s_barrier
	buffer_gl0_inv
	s_clause 0x7
	scratch_load_b128 v[2:5], off, off offset:96
	scratch_load_b128 v[6:9], off, off offset:112
	;; [unrolled: 1-line block ×8, first 2 shown]
	v_mov_b32_e32 v1, 0
	s_clause 0x1
	scratch_load_b128 v[34:37], off, off offset:224
	scratch_load_b128 v[177:180], off, off offset:240
	s_mov_b32 s2, exec_lo
	ds_load_b128 v[38:41], v1 offset:1008
	ds_load_b128 v[173:176], v1 offset:1024
	s_waitcnt vmcnt(9) lgkmcnt(1)
	v_mul_f64 v[166:167], v[40:41], v[4:5]
	v_mul_f64 v[4:5], v[38:39], v[4:5]
	s_waitcnt vmcnt(8) lgkmcnt(0)
	v_mul_f64 v[170:171], v[173:174], v[8:9]
	v_mul_f64 v[8:9], v[175:176], v[8:9]
	s_delay_alu instid0(VALU_DEP_4) | instskip(NEXT) | instid1(VALU_DEP_4)
	v_fma_f64 v[166:167], v[38:39], v[2:3], -v[166:167]
	v_fma_f64 v[181:182], v[40:41], v[2:3], v[4:5]
	ds_load_b128 v[2:5], v1 offset:1040
	scratch_load_b128 v[38:41], off, off offset:256
	v_fma_f64 v[170:171], v[175:176], v[6:7], v[170:171]
	v_fma_f64 v[185:186], v[173:174], v[6:7], -v[8:9]
	scratch_load_b128 v[173:176], off, off offset:272
	ds_load_b128 v[6:9], v1 offset:1056
	s_waitcnt vmcnt(9) lgkmcnt(1)
	v_mul_f64 v[183:184], v[2:3], v[12:13]
	v_mul_f64 v[12:13], v[4:5], v[12:13]
	s_waitcnt vmcnt(8) lgkmcnt(0)
	v_mul_f64 v[187:188], v[6:7], v[16:17]
	v_mul_f64 v[16:17], v[8:9], v[16:17]
	v_add_f64 v[166:167], v[166:167], 0
	v_add_f64 v[181:182], v[181:182], 0
	v_fma_f64 v[183:184], v[4:5], v[10:11], v[183:184]
	v_fma_f64 v[189:190], v[2:3], v[10:11], -v[12:13]
	ds_load_b128 v[2:5], v1 offset:1072
	scratch_load_b128 v[10:13], off, off offset:288
	v_add_f64 v[166:167], v[166:167], v[185:186]
	v_add_f64 v[170:171], v[181:182], v[170:171]
	v_fma_f64 v[185:186], v[8:9], v[14:15], v[187:188]
	v_fma_f64 v[187:188], v[6:7], v[14:15], -v[16:17]
	scratch_load_b128 v[14:17], off, off offset:304
	ds_load_b128 v[6:9], v1 offset:1088
	s_waitcnt vmcnt(9) lgkmcnt(1)
	v_mul_f64 v[181:182], v[2:3], v[20:21]
	v_mul_f64 v[20:21], v[4:5], v[20:21]
	v_add_f64 v[166:167], v[166:167], v[189:190]
	v_add_f64 v[170:171], v[170:171], v[183:184]
	s_waitcnt vmcnt(8) lgkmcnt(0)
	v_mul_f64 v[183:184], v[6:7], v[24:25]
	v_mul_f64 v[24:25], v[8:9], v[24:25]
	v_fma_f64 v[181:182], v[4:5], v[18:19], v[181:182]
	v_fma_f64 v[189:190], v[2:3], v[18:19], -v[20:21]
	ds_load_b128 v[2:5], v1 offset:1104
	scratch_load_b128 v[18:21], off, off offset:320
	v_add_f64 v[166:167], v[166:167], v[187:188]
	v_add_f64 v[170:171], v[170:171], v[185:186]
	v_fma_f64 v[183:184], v[8:9], v[22:23], v[183:184]
	v_fma_f64 v[187:188], v[6:7], v[22:23], -v[24:25]
	scratch_load_b128 v[22:25], off, off offset:336
	ds_load_b128 v[6:9], v1 offset:1120
	s_waitcnt vmcnt(9) lgkmcnt(1)
	v_mul_f64 v[185:186], v[2:3], v[28:29]
	v_mul_f64 v[28:29], v[4:5], v[28:29]
	v_add_f64 v[166:167], v[166:167], v[189:190]
	v_add_f64 v[170:171], v[170:171], v[181:182]
	s_waitcnt vmcnt(8) lgkmcnt(0)
	v_mul_f64 v[181:182], v[6:7], v[32:33]
	v_mul_f64 v[32:33], v[8:9], v[32:33]
	;; [unrolled: 18-line block ×16, first 2 shown]
	v_fma_f64 v[181:182], v[4:5], v[18:19], v[181:182]
	v_fma_f64 v[189:190], v[2:3], v[18:19], -v[20:21]
	ds_load_b128 v[2:5], v1 offset:1584
	scratch_load_b128 v[18:21], off, off offset:800
	v_add_f64 v[166:167], v[166:167], v[187:188]
	v_add_f64 v[170:171], v[170:171], v[185:186]
	v_fma_f64 v[183:184], v[8:9], v[22:23], v[183:184]
	v_fma_f64 v[187:188], v[6:7], v[22:23], -v[24:25]
	ds_load_b128 v[6:9], v1 offset:1600
	s_waitcnt vmcnt(8) lgkmcnt(1)
	v_mul_f64 v[185:186], v[2:3], v[28:29]
	v_mul_f64 v[28:29], v[4:5], v[28:29]
	scratch_load_b128 v[22:25], off, off offset:816
	v_add_f64 v[166:167], v[166:167], v[189:190]
	v_add_f64 v[170:171], v[170:171], v[181:182]
	s_waitcnt vmcnt(8) lgkmcnt(0)
	v_mul_f64 v[181:182], v[6:7], v[32:33]
	v_mul_f64 v[32:33], v[8:9], v[32:33]
	v_fma_f64 v[185:186], v[4:5], v[26:27], v[185:186]
	v_fma_f64 v[189:190], v[2:3], v[26:27], -v[28:29]
	scratch_load_b128 v[26:29], off, off offset:832
	ds_load_b128 v[2:5], v1 offset:1616
	v_add_f64 v[166:167], v[166:167], v[187:188]
	v_add_f64 v[170:171], v[170:171], v[183:184]
	v_fma_f64 v[181:182], v[8:9], v[30:31], v[181:182]
	v_fma_f64 v[187:188], v[6:7], v[30:31], -v[32:33]
	ds_load_b128 v[6:9], v1 offset:1632
	s_waitcnt vmcnt(8) lgkmcnt(1)
	v_mul_f64 v[183:184], v[2:3], v[36:37]
	v_mul_f64 v[36:37], v[4:5], v[36:37]
	scratch_load_b128 v[30:33], off, off offset:848
	v_add_f64 v[166:167], v[166:167], v[189:190]
	v_add_f64 v[170:171], v[170:171], v[185:186]
	s_waitcnt vmcnt(8) lgkmcnt(0)
	v_mul_f64 v[185:186], v[6:7], v[179:180]
	v_mul_f64 v[179:180], v[8:9], v[179:180]
	v_fma_f64 v[183:184], v[4:5], v[34:35], v[183:184]
	v_fma_f64 v[189:190], v[2:3], v[34:35], -v[36:37]
	scratch_load_b128 v[34:37], off, off offset:864
	ds_load_b128 v[2:5], v1 offset:1648
	;; [unrolled: 18-line block ×3, first 2 shown]
	v_add_f64 v[166:167], v[166:167], v[187:188]
	v_add_f64 v[170:171], v[170:171], v[185:186]
	v_fma_f64 v[183:184], v[8:9], v[173:174], v[183:184]
	v_fma_f64 v[173:174], v[6:7], v[173:174], -v[175:176]
	ds_load_b128 v[6:9], v1 offset:1696
	s_waitcnt vmcnt(8) lgkmcnt(1)
	v_mul_f64 v[185:186], v[2:3], v[12:13]
	v_mul_f64 v[12:13], v[4:5], v[12:13]
	s_waitcnt vmcnt(7) lgkmcnt(0)
	v_mul_f64 v[175:176], v[6:7], v[16:17]
	v_mul_f64 v[16:17], v[8:9], v[16:17]
	v_add_f64 v[166:167], v[166:167], v[189:190]
	v_add_f64 v[170:171], v[170:171], v[181:182]
	v_fma_f64 v[181:182], v[4:5], v[10:11], v[185:186]
	v_fma_f64 v[10:11], v[2:3], v[10:11], -v[12:13]
	ds_load_b128 v[2:5], v1 offset:1712
	v_add_f64 v[12:13], v[166:167], v[173:174]
	v_add_f64 v[166:167], v[170:171], v[183:184]
	v_fma_f64 v[173:174], v[8:9], v[14:15], v[175:176]
	v_fma_f64 v[14:15], v[6:7], v[14:15], -v[16:17]
	ds_load_b128 v[6:9], v1 offset:1728
	s_waitcnt vmcnt(5) lgkmcnt(0)
	v_mul_f64 v[175:176], v[6:7], v[24:25]
	v_mul_f64 v[24:25], v[8:9], v[24:25]
	v_add_f64 v[16:17], v[12:13], v[10:11]
	v_add_f64 v[166:167], v[166:167], v[181:182]
	scratch_load_b128 v[10:13], off, off offset:80
	v_mul_f64 v[170:171], v[2:3], v[20:21]
	v_mul_f64 v[20:21], v[4:5], v[20:21]
	v_add_f64 v[14:15], v[16:17], v[14:15]
	v_add_f64 v[16:17], v[166:167], v[173:174]
	v_fma_f64 v[166:167], v[8:9], v[22:23], v[175:176]
	v_fma_f64 v[170:171], v[4:5], v[18:19], v[170:171]
	v_fma_f64 v[18:19], v[2:3], v[18:19], -v[20:21]
	ds_load_b128 v[2:5], v1 offset:1744
	v_fma_f64 v[22:23], v[6:7], v[22:23], -v[24:25]
	ds_load_b128 v[6:9], v1 offset:1760
	s_waitcnt vmcnt(5) lgkmcnt(1)
	v_mul_f64 v[20:21], v[2:3], v[28:29]
	v_mul_f64 v[28:29], v[4:5], v[28:29]
	s_waitcnt vmcnt(4) lgkmcnt(0)
	v_mul_f64 v[24:25], v[8:9], v[32:33]
	v_add_f64 v[16:17], v[16:17], v[170:171]
	v_add_f64 v[14:15], v[14:15], v[18:19]
	v_mul_f64 v[18:19], v[6:7], v[32:33]
	v_fma_f64 v[20:21], v[4:5], v[26:27], v[20:21]
	v_fma_f64 v[26:27], v[2:3], v[26:27], -v[28:29]
	ds_load_b128 v[2:5], v1 offset:1776
	v_fma_f64 v[24:25], v[6:7], v[30:31], -v[24:25]
	v_add_f64 v[16:17], v[16:17], v[166:167]
	v_add_f64 v[14:15], v[14:15], v[22:23]
	v_fma_f64 v[18:19], v[8:9], v[30:31], v[18:19]
	ds_load_b128 v[6:9], v1 offset:1792
	s_waitcnt vmcnt(3) lgkmcnt(1)
	v_mul_f64 v[22:23], v[2:3], v[36:37]
	v_mul_f64 v[28:29], v[4:5], v[36:37]
	v_add_f64 v[16:17], v[16:17], v[20:21]
	v_add_f64 v[14:15], v[14:15], v[26:27]
	s_waitcnt vmcnt(2) lgkmcnt(0)
	v_mul_f64 v[20:21], v[6:7], v[179:180]
	v_mul_f64 v[26:27], v[8:9], v[179:180]
	v_fma_f64 v[22:23], v[4:5], v[34:35], v[22:23]
	v_fma_f64 v[28:29], v[2:3], v[34:35], -v[28:29]
	ds_load_b128 v[2:5], v1 offset:1808
	v_add_f64 v[16:17], v[16:17], v[18:19]
	v_add_f64 v[14:15], v[14:15], v[24:25]
	s_waitcnt vmcnt(1) lgkmcnt(0)
	v_mul_f64 v[18:19], v[2:3], v[40:41]
	v_mul_f64 v[24:25], v[4:5], v[40:41]
	v_fma_f64 v[8:9], v[8:9], v[177:178], v[20:21]
	v_fma_f64 v[6:7], v[6:7], v[177:178], -v[26:27]
	v_add_f64 v[16:17], v[16:17], v[22:23]
	v_add_f64 v[14:15], v[14:15], v[28:29]
	v_fma_f64 v[4:5], v[4:5], v[38:39], v[18:19]
	v_fma_f64 v[2:3], v[2:3], v[38:39], -v[24:25]
	s_delay_alu instid0(VALU_DEP_4) | instskip(NEXT) | instid1(VALU_DEP_4)
	v_add_f64 v[8:9], v[16:17], v[8:9]
	v_add_f64 v[6:7], v[14:15], v[6:7]
	s_delay_alu instid0(VALU_DEP_2) | instskip(NEXT) | instid1(VALU_DEP_2)
	v_add_f64 v[4:5], v[8:9], v[4:5]
	v_add_f64 v[2:3], v[6:7], v[2:3]
	s_waitcnt vmcnt(0)
	s_delay_alu instid0(VALU_DEP_2) | instskip(NEXT) | instid1(VALU_DEP_2)
	v_add_f64 v[4:5], v[12:13], -v[4:5]
	v_add_f64 v[2:3], v[10:11], -v[2:3]
	scratch_store_b128 off, v[2:5], off offset:80
	v_cmpx_lt_u32_e32 4, v156
	s_cbranch_execz .LBB120_347
; %bb.346:
	scratch_load_b128 v[5:8], v209, off
	v_mov_b32_e32 v2, v1
	v_mov_b32_e32 v3, v1
	;; [unrolled: 1-line block ×3, first 2 shown]
	scratch_store_b128 off, v[1:4], off offset:64
	s_waitcnt vmcnt(0)
	ds_store_b128 v213, v[5:8]
.LBB120_347:
	s_or_b32 exec_lo, exec_lo, s2
	s_waitcnt lgkmcnt(0)
	s_waitcnt_vscnt null, 0x0
	s_barrier
	buffer_gl0_inv
	s_clause 0x7
	scratch_load_b128 v[2:5], off, off offset:80
	scratch_load_b128 v[6:9], off, off offset:96
	;; [unrolled: 1-line block ×8, first 2 shown]
	ds_load_b128 v[38:41], v1 offset:992
	ds_load_b128 v[173:176], v1 offset:1008
	s_clause 0x1
	scratch_load_b128 v[34:37], off, off offset:208
	scratch_load_b128 v[177:180], off, off offset:224
	s_mov_b32 s2, exec_lo
	s_waitcnt vmcnt(9) lgkmcnt(1)
	v_mul_f64 v[166:167], v[40:41], v[4:5]
	v_mul_f64 v[4:5], v[38:39], v[4:5]
	s_waitcnt vmcnt(8) lgkmcnt(0)
	v_mul_f64 v[170:171], v[173:174], v[8:9]
	v_mul_f64 v[8:9], v[175:176], v[8:9]
	s_delay_alu instid0(VALU_DEP_4) | instskip(NEXT) | instid1(VALU_DEP_4)
	v_fma_f64 v[166:167], v[38:39], v[2:3], -v[166:167]
	v_fma_f64 v[181:182], v[40:41], v[2:3], v[4:5]
	ds_load_b128 v[2:5], v1 offset:1024
	scratch_load_b128 v[38:41], off, off offset:240
	v_fma_f64 v[170:171], v[175:176], v[6:7], v[170:171]
	v_fma_f64 v[185:186], v[173:174], v[6:7], -v[8:9]
	scratch_load_b128 v[173:176], off, off offset:256
	ds_load_b128 v[6:9], v1 offset:1040
	s_waitcnt vmcnt(9) lgkmcnt(1)
	v_mul_f64 v[183:184], v[2:3], v[12:13]
	v_mul_f64 v[12:13], v[4:5], v[12:13]
	s_waitcnt vmcnt(8) lgkmcnt(0)
	v_mul_f64 v[187:188], v[6:7], v[16:17]
	v_mul_f64 v[16:17], v[8:9], v[16:17]
	v_add_f64 v[166:167], v[166:167], 0
	v_add_f64 v[181:182], v[181:182], 0
	v_fma_f64 v[183:184], v[4:5], v[10:11], v[183:184]
	v_fma_f64 v[189:190], v[2:3], v[10:11], -v[12:13]
	ds_load_b128 v[2:5], v1 offset:1056
	scratch_load_b128 v[10:13], off, off offset:272
	v_add_f64 v[166:167], v[166:167], v[185:186]
	v_add_f64 v[170:171], v[181:182], v[170:171]
	v_fma_f64 v[185:186], v[8:9], v[14:15], v[187:188]
	v_fma_f64 v[187:188], v[6:7], v[14:15], -v[16:17]
	scratch_load_b128 v[14:17], off, off offset:288
	ds_load_b128 v[6:9], v1 offset:1072
	s_waitcnt vmcnt(9) lgkmcnt(1)
	v_mul_f64 v[181:182], v[2:3], v[20:21]
	v_mul_f64 v[20:21], v[4:5], v[20:21]
	v_add_f64 v[166:167], v[166:167], v[189:190]
	v_add_f64 v[170:171], v[170:171], v[183:184]
	s_waitcnt vmcnt(8) lgkmcnt(0)
	v_mul_f64 v[183:184], v[6:7], v[24:25]
	v_mul_f64 v[24:25], v[8:9], v[24:25]
	v_fma_f64 v[181:182], v[4:5], v[18:19], v[181:182]
	v_fma_f64 v[189:190], v[2:3], v[18:19], -v[20:21]
	ds_load_b128 v[2:5], v1 offset:1088
	scratch_load_b128 v[18:21], off, off offset:304
	v_add_f64 v[166:167], v[166:167], v[187:188]
	v_add_f64 v[170:171], v[170:171], v[185:186]
	v_fma_f64 v[183:184], v[8:9], v[22:23], v[183:184]
	v_fma_f64 v[187:188], v[6:7], v[22:23], -v[24:25]
	scratch_load_b128 v[22:25], off, off offset:320
	ds_load_b128 v[6:9], v1 offset:1104
	s_waitcnt vmcnt(9) lgkmcnt(1)
	v_mul_f64 v[185:186], v[2:3], v[28:29]
	v_mul_f64 v[28:29], v[4:5], v[28:29]
	v_add_f64 v[166:167], v[166:167], v[189:190]
	v_add_f64 v[170:171], v[170:171], v[181:182]
	s_waitcnt vmcnt(8) lgkmcnt(0)
	v_mul_f64 v[181:182], v[6:7], v[32:33]
	v_mul_f64 v[32:33], v[8:9], v[32:33]
	;; [unrolled: 18-line block ×16, first 2 shown]
	v_fma_f64 v[181:182], v[4:5], v[18:19], v[181:182]
	v_fma_f64 v[189:190], v[2:3], v[18:19], -v[20:21]
	ds_load_b128 v[2:5], v1 offset:1568
	scratch_load_b128 v[18:21], off, off offset:784
	v_add_f64 v[166:167], v[166:167], v[187:188]
	v_add_f64 v[170:171], v[170:171], v[185:186]
	v_fma_f64 v[183:184], v[8:9], v[22:23], v[183:184]
	v_fma_f64 v[187:188], v[6:7], v[22:23], -v[24:25]
	ds_load_b128 v[6:9], v1 offset:1584
	s_waitcnt vmcnt(8) lgkmcnt(1)
	v_mul_f64 v[185:186], v[2:3], v[28:29]
	v_mul_f64 v[28:29], v[4:5], v[28:29]
	scratch_load_b128 v[22:25], off, off offset:800
	v_add_f64 v[166:167], v[166:167], v[189:190]
	v_add_f64 v[170:171], v[170:171], v[181:182]
	s_waitcnt vmcnt(8) lgkmcnt(0)
	v_mul_f64 v[181:182], v[6:7], v[32:33]
	v_mul_f64 v[32:33], v[8:9], v[32:33]
	v_fma_f64 v[185:186], v[4:5], v[26:27], v[185:186]
	v_fma_f64 v[189:190], v[2:3], v[26:27], -v[28:29]
	ds_load_b128 v[2:5], v1 offset:1600
	scratch_load_b128 v[26:29], off, off offset:816
	v_add_f64 v[166:167], v[166:167], v[187:188]
	v_add_f64 v[170:171], v[170:171], v[183:184]
	v_fma_f64 v[181:182], v[8:9], v[30:31], v[181:182]
	v_fma_f64 v[187:188], v[6:7], v[30:31], -v[32:33]
	ds_load_b128 v[6:9], v1 offset:1616
	s_waitcnt vmcnt(8) lgkmcnt(1)
	v_mul_f64 v[183:184], v[2:3], v[36:37]
	v_mul_f64 v[36:37], v[4:5], v[36:37]
	scratch_load_b128 v[30:33], off, off offset:832
	v_add_f64 v[166:167], v[166:167], v[189:190]
	v_add_f64 v[170:171], v[170:171], v[185:186]
	s_waitcnt vmcnt(8) lgkmcnt(0)
	v_mul_f64 v[185:186], v[6:7], v[179:180]
	v_mul_f64 v[179:180], v[8:9], v[179:180]
	v_fma_f64 v[183:184], v[4:5], v[34:35], v[183:184]
	v_fma_f64 v[189:190], v[2:3], v[34:35], -v[36:37]
	scratch_load_b128 v[34:37], off, off offset:848
	ds_load_b128 v[2:5], v1 offset:1632
	v_add_f64 v[166:167], v[166:167], v[187:188]
	v_add_f64 v[170:171], v[170:171], v[181:182]
	v_fma_f64 v[185:186], v[8:9], v[177:178], v[185:186]
	v_fma_f64 v[187:188], v[6:7], v[177:178], -v[179:180]
	ds_load_b128 v[6:9], v1 offset:1648
	s_waitcnt vmcnt(8) lgkmcnt(1)
	v_mul_f64 v[181:182], v[2:3], v[40:41]
	v_mul_f64 v[40:41], v[4:5], v[40:41]
	scratch_load_b128 v[177:180], off, off offset:864
	v_add_f64 v[166:167], v[166:167], v[189:190]
	v_add_f64 v[170:171], v[170:171], v[183:184]
	s_waitcnt vmcnt(8) lgkmcnt(0)
	v_mul_f64 v[183:184], v[6:7], v[175:176]
	v_mul_f64 v[175:176], v[8:9], v[175:176]
	v_fma_f64 v[181:182], v[4:5], v[38:39], v[181:182]
	v_fma_f64 v[189:190], v[2:3], v[38:39], -v[40:41]
	scratch_load_b128 v[38:41], off, off offset:880
	ds_load_b128 v[2:5], v1 offset:1664
	v_add_f64 v[166:167], v[166:167], v[187:188]
	v_add_f64 v[170:171], v[170:171], v[185:186]
	v_fma_f64 v[183:184], v[8:9], v[173:174], v[183:184]
	v_fma_f64 v[187:188], v[6:7], v[173:174], -v[175:176]
	ds_load_b128 v[6:9], v1 offset:1680
	s_waitcnt vmcnt(8) lgkmcnt(1)
	v_mul_f64 v[185:186], v[2:3], v[12:13]
	v_mul_f64 v[12:13], v[4:5], v[12:13]
	scratch_load_b128 v[173:176], off, off offset:896
	v_add_f64 v[166:167], v[166:167], v[189:190]
	v_add_f64 v[170:171], v[170:171], v[181:182]
	s_waitcnt vmcnt(8) lgkmcnt(0)
	v_mul_f64 v[181:182], v[6:7], v[16:17]
	v_mul_f64 v[16:17], v[8:9], v[16:17]
	v_fma_f64 v[185:186], v[4:5], v[10:11], v[185:186]
	v_fma_f64 v[10:11], v[2:3], v[10:11], -v[12:13]
	ds_load_b128 v[2:5], v1 offset:1696
	v_add_f64 v[12:13], v[166:167], v[187:188]
	v_add_f64 v[166:167], v[170:171], v[183:184]
	v_fma_f64 v[181:182], v[8:9], v[14:15], v[181:182]
	v_fma_f64 v[14:15], v[6:7], v[14:15], -v[16:17]
	ds_load_b128 v[6:9], v1 offset:1712
	s_waitcnt vmcnt(7) lgkmcnt(1)
	v_mul_f64 v[170:171], v[2:3], v[20:21]
	v_mul_f64 v[20:21], v[4:5], v[20:21]
	v_add_f64 v[10:11], v[12:13], v[10:11]
	v_add_f64 v[12:13], v[166:167], v[185:186]
	s_delay_alu instid0(VALU_DEP_4) | instskip(NEXT) | instid1(VALU_DEP_4)
	v_fma_f64 v[166:167], v[4:5], v[18:19], v[170:171]
	v_fma_f64 v[18:19], v[2:3], v[18:19], -v[20:21]
	ds_load_b128 v[2:5], v1 offset:1728
	v_add_f64 v[14:15], v[10:11], v[14:15]
	v_add_f64 v[20:21], v[12:13], v[181:182]
	scratch_load_b128 v[10:13], off, off offset:64
	s_waitcnt vmcnt(7) lgkmcnt(1)
	v_mul_f64 v[16:17], v[6:7], v[24:25]
	v_mul_f64 v[24:25], v[8:9], v[24:25]
	v_add_f64 v[14:15], v[14:15], v[18:19]
	v_add_f64 v[18:19], v[20:21], v[166:167]
	s_delay_alu instid0(VALU_DEP_4) | instskip(NEXT) | instid1(VALU_DEP_4)
	v_fma_f64 v[16:17], v[8:9], v[22:23], v[16:17]
	v_fma_f64 v[22:23], v[6:7], v[22:23], -v[24:25]
	ds_load_b128 v[6:9], v1 offset:1744
	s_waitcnt vmcnt(6) lgkmcnt(1)
	v_mul_f64 v[170:171], v[2:3], v[28:29]
	v_mul_f64 v[28:29], v[4:5], v[28:29]
	s_waitcnt vmcnt(5) lgkmcnt(0)
	v_mul_f64 v[20:21], v[6:7], v[32:33]
	v_mul_f64 v[24:25], v[8:9], v[32:33]
	v_add_f64 v[16:17], v[18:19], v[16:17]
	v_add_f64 v[14:15], v[14:15], v[22:23]
	v_fma_f64 v[32:33], v[4:5], v[26:27], v[170:171]
	v_fma_f64 v[26:27], v[2:3], v[26:27], -v[28:29]
	ds_load_b128 v[2:5], v1 offset:1760
	v_fma_f64 v[20:21], v[8:9], v[30:31], v[20:21]
	v_fma_f64 v[24:25], v[6:7], v[30:31], -v[24:25]
	ds_load_b128 v[6:9], v1 offset:1776
	s_waitcnt vmcnt(4) lgkmcnt(1)
	v_mul_f64 v[18:19], v[2:3], v[36:37]
	v_mul_f64 v[22:23], v[4:5], v[36:37]
	v_add_f64 v[16:17], v[16:17], v[32:33]
	v_add_f64 v[14:15], v[14:15], v[26:27]
	s_waitcnt vmcnt(3) lgkmcnt(0)
	v_mul_f64 v[26:27], v[6:7], v[179:180]
	v_mul_f64 v[28:29], v[8:9], v[179:180]
	v_fma_f64 v[18:19], v[4:5], v[34:35], v[18:19]
	v_fma_f64 v[22:23], v[2:3], v[34:35], -v[22:23]
	ds_load_b128 v[2:5], v1 offset:1792
	v_add_f64 v[16:17], v[16:17], v[20:21]
	v_add_f64 v[14:15], v[14:15], v[24:25]
	v_fma_f64 v[26:27], v[8:9], v[177:178], v[26:27]
	v_fma_f64 v[28:29], v[6:7], v[177:178], -v[28:29]
	ds_load_b128 v[6:9], v1 offset:1808
	s_waitcnt vmcnt(2) lgkmcnt(1)
	v_mul_f64 v[20:21], v[2:3], v[40:41]
	v_mul_f64 v[24:25], v[4:5], v[40:41]
	v_add_f64 v[16:17], v[16:17], v[18:19]
	v_add_f64 v[14:15], v[14:15], v[22:23]
	s_waitcnt vmcnt(1) lgkmcnt(0)
	v_mul_f64 v[18:19], v[6:7], v[175:176]
	v_mul_f64 v[22:23], v[8:9], v[175:176]
	v_fma_f64 v[4:5], v[4:5], v[38:39], v[20:21]
	v_fma_f64 v[1:2], v[2:3], v[38:39], -v[24:25]
	v_add_f64 v[16:17], v[16:17], v[26:27]
	v_add_f64 v[14:15], v[14:15], v[28:29]
	v_fma_f64 v[8:9], v[8:9], v[173:174], v[18:19]
	v_fma_f64 v[6:7], v[6:7], v[173:174], -v[22:23]
	s_delay_alu instid0(VALU_DEP_4) | instskip(NEXT) | instid1(VALU_DEP_4)
	v_add_f64 v[3:4], v[16:17], v[4:5]
	v_add_f64 v[1:2], v[14:15], v[1:2]
	s_delay_alu instid0(VALU_DEP_2) | instskip(NEXT) | instid1(VALU_DEP_2)
	v_add_f64 v[3:4], v[3:4], v[8:9]
	v_add_f64 v[1:2], v[1:2], v[6:7]
	s_waitcnt vmcnt(0)
	s_delay_alu instid0(VALU_DEP_2) | instskip(NEXT) | instid1(VALU_DEP_2)
	v_add_f64 v[3:4], v[12:13], -v[3:4]
	v_add_f64 v[1:2], v[10:11], -v[1:2]
	scratch_store_b128 off, v[1:4], off offset:64
	v_cmpx_lt_u32_e32 3, v156
	s_cbranch_execz .LBB120_349
; %bb.348:
	scratch_load_b128 v[1:4], v210, off
	v_mov_b32_e32 v5, 0
	s_delay_alu instid0(VALU_DEP_1)
	v_mov_b32_e32 v6, v5
	v_mov_b32_e32 v7, v5
	;; [unrolled: 1-line block ×3, first 2 shown]
	scratch_store_b128 off, v[5:8], off offset:48
	s_waitcnt vmcnt(0)
	ds_store_b128 v213, v[1:4]
.LBB120_349:
	s_or_b32 exec_lo, exec_lo, s2
	s_waitcnt lgkmcnt(0)
	s_waitcnt_vscnt null, 0x0
	s_barrier
	buffer_gl0_inv
	s_clause 0x7
	scratch_load_b128 v[2:5], off, off offset:64
	scratch_load_b128 v[6:9], off, off offset:80
	;; [unrolled: 1-line block ×8, first 2 shown]
	v_mov_b32_e32 v1, 0
	s_clause 0x1
	scratch_load_b128 v[34:37], off, off offset:192
	scratch_load_b128 v[177:180], off, off offset:208
	s_mov_b32 s2, exec_lo
	ds_load_b128 v[38:41], v1 offset:976
	ds_load_b128 v[173:176], v1 offset:992
	s_waitcnt vmcnt(9) lgkmcnt(1)
	v_mul_f64 v[166:167], v[40:41], v[4:5]
	v_mul_f64 v[4:5], v[38:39], v[4:5]
	s_waitcnt vmcnt(8) lgkmcnt(0)
	v_mul_f64 v[170:171], v[173:174], v[8:9]
	v_mul_f64 v[8:9], v[175:176], v[8:9]
	s_delay_alu instid0(VALU_DEP_4) | instskip(NEXT) | instid1(VALU_DEP_4)
	v_fma_f64 v[166:167], v[38:39], v[2:3], -v[166:167]
	v_fma_f64 v[181:182], v[40:41], v[2:3], v[4:5]
	ds_load_b128 v[2:5], v1 offset:1008
	scratch_load_b128 v[38:41], off, off offset:224
	v_fma_f64 v[170:171], v[175:176], v[6:7], v[170:171]
	v_fma_f64 v[185:186], v[173:174], v[6:7], -v[8:9]
	scratch_load_b128 v[173:176], off, off offset:240
	ds_load_b128 v[6:9], v1 offset:1024
	s_waitcnt vmcnt(9) lgkmcnt(1)
	v_mul_f64 v[183:184], v[2:3], v[12:13]
	v_mul_f64 v[12:13], v[4:5], v[12:13]
	s_waitcnt vmcnt(8) lgkmcnt(0)
	v_mul_f64 v[187:188], v[6:7], v[16:17]
	v_mul_f64 v[16:17], v[8:9], v[16:17]
	v_add_f64 v[166:167], v[166:167], 0
	v_add_f64 v[181:182], v[181:182], 0
	v_fma_f64 v[183:184], v[4:5], v[10:11], v[183:184]
	v_fma_f64 v[189:190], v[2:3], v[10:11], -v[12:13]
	ds_load_b128 v[2:5], v1 offset:1040
	scratch_load_b128 v[10:13], off, off offset:256
	v_add_f64 v[166:167], v[166:167], v[185:186]
	v_add_f64 v[170:171], v[181:182], v[170:171]
	v_fma_f64 v[185:186], v[8:9], v[14:15], v[187:188]
	v_fma_f64 v[187:188], v[6:7], v[14:15], -v[16:17]
	scratch_load_b128 v[14:17], off, off offset:272
	ds_load_b128 v[6:9], v1 offset:1056
	s_waitcnt vmcnt(9) lgkmcnt(1)
	v_mul_f64 v[181:182], v[2:3], v[20:21]
	v_mul_f64 v[20:21], v[4:5], v[20:21]
	v_add_f64 v[166:167], v[166:167], v[189:190]
	v_add_f64 v[170:171], v[170:171], v[183:184]
	s_waitcnt vmcnt(8) lgkmcnt(0)
	v_mul_f64 v[183:184], v[6:7], v[24:25]
	v_mul_f64 v[24:25], v[8:9], v[24:25]
	v_fma_f64 v[181:182], v[4:5], v[18:19], v[181:182]
	v_fma_f64 v[189:190], v[2:3], v[18:19], -v[20:21]
	ds_load_b128 v[2:5], v1 offset:1072
	scratch_load_b128 v[18:21], off, off offset:288
	v_add_f64 v[166:167], v[166:167], v[187:188]
	v_add_f64 v[170:171], v[170:171], v[185:186]
	v_fma_f64 v[183:184], v[8:9], v[22:23], v[183:184]
	v_fma_f64 v[187:188], v[6:7], v[22:23], -v[24:25]
	scratch_load_b128 v[22:25], off, off offset:304
	ds_load_b128 v[6:9], v1 offset:1088
	s_waitcnt vmcnt(9) lgkmcnt(1)
	v_mul_f64 v[185:186], v[2:3], v[28:29]
	v_mul_f64 v[28:29], v[4:5], v[28:29]
	v_add_f64 v[166:167], v[166:167], v[189:190]
	v_add_f64 v[170:171], v[170:171], v[181:182]
	s_waitcnt vmcnt(8) lgkmcnt(0)
	v_mul_f64 v[181:182], v[6:7], v[32:33]
	v_mul_f64 v[32:33], v[8:9], v[32:33]
	;; [unrolled: 18-line block ×17, first 2 shown]
	v_fma_f64 v[185:186], v[4:5], v[26:27], v[185:186]
	v_fma_f64 v[189:190], v[2:3], v[26:27], -v[28:29]
	ds_load_b128 v[2:5], v1 offset:1584
	scratch_load_b128 v[26:29], off, off offset:800
	v_add_f64 v[166:167], v[166:167], v[187:188]
	v_add_f64 v[170:171], v[170:171], v[183:184]
	v_fma_f64 v[181:182], v[8:9], v[30:31], v[181:182]
	v_fma_f64 v[187:188], v[6:7], v[30:31], -v[32:33]
	ds_load_b128 v[6:9], v1 offset:1600
	s_waitcnt vmcnt(8) lgkmcnt(1)
	v_mul_f64 v[183:184], v[2:3], v[36:37]
	v_mul_f64 v[36:37], v[4:5], v[36:37]
	scratch_load_b128 v[30:33], off, off offset:816
	v_add_f64 v[166:167], v[166:167], v[189:190]
	v_add_f64 v[170:171], v[170:171], v[185:186]
	s_waitcnt vmcnt(8) lgkmcnt(0)
	v_mul_f64 v[185:186], v[6:7], v[179:180]
	v_mul_f64 v[179:180], v[8:9], v[179:180]
	v_fma_f64 v[183:184], v[4:5], v[34:35], v[183:184]
	v_fma_f64 v[189:190], v[2:3], v[34:35], -v[36:37]
	scratch_load_b128 v[34:37], off, off offset:832
	ds_load_b128 v[2:5], v1 offset:1616
	v_add_f64 v[166:167], v[166:167], v[187:188]
	v_add_f64 v[170:171], v[170:171], v[181:182]
	v_fma_f64 v[185:186], v[8:9], v[177:178], v[185:186]
	v_fma_f64 v[187:188], v[6:7], v[177:178], -v[179:180]
	ds_load_b128 v[6:9], v1 offset:1632
	s_waitcnt vmcnt(8) lgkmcnt(1)
	v_mul_f64 v[181:182], v[2:3], v[40:41]
	v_mul_f64 v[40:41], v[4:5], v[40:41]
	scratch_load_b128 v[177:180], off, off offset:848
	v_add_f64 v[166:167], v[166:167], v[189:190]
	v_add_f64 v[170:171], v[170:171], v[183:184]
	s_waitcnt vmcnt(8) lgkmcnt(0)
	v_mul_f64 v[183:184], v[6:7], v[175:176]
	v_mul_f64 v[175:176], v[8:9], v[175:176]
	v_fma_f64 v[181:182], v[4:5], v[38:39], v[181:182]
	v_fma_f64 v[189:190], v[2:3], v[38:39], -v[40:41]
	scratch_load_b128 v[38:41], off, off offset:864
	ds_load_b128 v[2:5], v1 offset:1648
	;; [unrolled: 18-line block ×3, first 2 shown]
	v_add_f64 v[166:167], v[166:167], v[187:188]
	v_add_f64 v[170:171], v[170:171], v[183:184]
	v_fma_f64 v[181:182], v[8:9], v[14:15], v[181:182]
	v_fma_f64 v[14:15], v[6:7], v[14:15], -v[16:17]
	ds_load_b128 v[6:9], v1 offset:1696
	s_waitcnt vmcnt(8) lgkmcnt(1)
	v_mul_f64 v[183:184], v[2:3], v[20:21]
	v_mul_f64 v[20:21], v[4:5], v[20:21]
	v_add_f64 v[16:17], v[166:167], v[189:190]
	v_add_f64 v[166:167], v[170:171], v[185:186]
	s_waitcnt vmcnt(7) lgkmcnt(0)
	v_mul_f64 v[170:171], v[6:7], v[24:25]
	v_mul_f64 v[24:25], v[8:9], v[24:25]
	v_fma_f64 v[183:184], v[4:5], v[18:19], v[183:184]
	v_fma_f64 v[18:19], v[2:3], v[18:19], -v[20:21]
	ds_load_b128 v[2:5], v1 offset:1712
	v_add_f64 v[14:15], v[16:17], v[14:15]
	v_add_f64 v[16:17], v[166:167], v[181:182]
	v_fma_f64 v[166:167], v[8:9], v[22:23], v[170:171]
	v_fma_f64 v[22:23], v[6:7], v[22:23], -v[24:25]
	ds_load_b128 v[6:9], v1 offset:1728
	s_waitcnt vmcnt(5) lgkmcnt(0)
	v_mul_f64 v[170:171], v[6:7], v[32:33]
	v_mul_f64 v[32:33], v[8:9], v[32:33]
	v_add_f64 v[18:19], v[14:15], v[18:19]
	v_add_f64 v[24:25], v[16:17], v[183:184]
	scratch_load_b128 v[14:17], off, off offset:48
	v_mul_f64 v[20:21], v[2:3], v[28:29]
	v_mul_f64 v[28:29], v[4:5], v[28:29]
	v_add_f64 v[18:19], v[18:19], v[22:23]
	v_add_f64 v[22:23], v[24:25], v[166:167]
	s_delay_alu instid0(VALU_DEP_4) | instskip(NEXT) | instid1(VALU_DEP_4)
	v_fma_f64 v[20:21], v[4:5], v[26:27], v[20:21]
	v_fma_f64 v[26:27], v[2:3], v[26:27], -v[28:29]
	ds_load_b128 v[2:5], v1 offset:1744
	s_waitcnt vmcnt(5) lgkmcnt(0)
	v_mul_f64 v[24:25], v[2:3], v[36:37]
	v_mul_f64 v[28:29], v[4:5], v[36:37]
	v_fma_f64 v[36:37], v[8:9], v[30:31], v[170:171]
	v_fma_f64 v[30:31], v[6:7], v[30:31], -v[32:33]
	ds_load_b128 v[6:9], v1 offset:1760
	v_add_f64 v[20:21], v[22:23], v[20:21]
	v_add_f64 v[18:19], v[18:19], v[26:27]
	v_fma_f64 v[24:25], v[4:5], v[34:35], v[24:25]
	v_fma_f64 v[28:29], v[2:3], v[34:35], -v[28:29]
	ds_load_b128 v[2:5], v1 offset:1776
	s_waitcnt vmcnt(4) lgkmcnt(1)
	v_mul_f64 v[22:23], v[6:7], v[179:180]
	v_mul_f64 v[26:27], v[8:9], v[179:180]
	v_add_f64 v[20:21], v[20:21], v[36:37]
	v_add_f64 v[18:19], v[18:19], v[30:31]
	s_waitcnt vmcnt(3) lgkmcnt(0)
	v_mul_f64 v[30:31], v[2:3], v[40:41]
	v_mul_f64 v[32:33], v[4:5], v[40:41]
	v_fma_f64 v[22:23], v[8:9], v[177:178], v[22:23]
	v_fma_f64 v[26:27], v[6:7], v[177:178], -v[26:27]
	ds_load_b128 v[6:9], v1 offset:1792
	v_add_f64 v[20:21], v[20:21], v[24:25]
	v_add_f64 v[18:19], v[18:19], v[28:29]
	v_fma_f64 v[30:31], v[4:5], v[38:39], v[30:31]
	v_fma_f64 v[32:33], v[2:3], v[38:39], -v[32:33]
	ds_load_b128 v[2:5], v1 offset:1808
	s_waitcnt vmcnt(2) lgkmcnt(1)
	v_mul_f64 v[24:25], v[6:7], v[175:176]
	v_mul_f64 v[28:29], v[8:9], v[175:176]
	v_add_f64 v[20:21], v[20:21], v[22:23]
	v_add_f64 v[18:19], v[18:19], v[26:27]
	s_waitcnt vmcnt(1) lgkmcnt(0)
	v_mul_f64 v[22:23], v[2:3], v[12:13]
	v_mul_f64 v[12:13], v[4:5], v[12:13]
	v_fma_f64 v[8:9], v[8:9], v[173:174], v[24:25]
	v_fma_f64 v[6:7], v[6:7], v[173:174], -v[28:29]
	v_add_f64 v[20:21], v[20:21], v[30:31]
	v_add_f64 v[18:19], v[18:19], v[32:33]
	v_fma_f64 v[4:5], v[4:5], v[10:11], v[22:23]
	v_fma_f64 v[2:3], v[2:3], v[10:11], -v[12:13]
	s_delay_alu instid0(VALU_DEP_4) | instskip(NEXT) | instid1(VALU_DEP_4)
	v_add_f64 v[8:9], v[20:21], v[8:9]
	v_add_f64 v[6:7], v[18:19], v[6:7]
	s_delay_alu instid0(VALU_DEP_2) | instskip(NEXT) | instid1(VALU_DEP_2)
	v_add_f64 v[4:5], v[8:9], v[4:5]
	v_add_f64 v[2:3], v[6:7], v[2:3]
	s_waitcnt vmcnt(0)
	s_delay_alu instid0(VALU_DEP_2) | instskip(NEXT) | instid1(VALU_DEP_2)
	v_add_f64 v[4:5], v[16:17], -v[4:5]
	v_add_f64 v[2:3], v[14:15], -v[2:3]
	scratch_store_b128 off, v[2:5], off offset:48
	v_cmpx_lt_u32_e32 2, v156
	s_cbranch_execz .LBB120_351
; %bb.350:
	scratch_load_b128 v[5:8], v211, off
	v_mov_b32_e32 v2, v1
	v_mov_b32_e32 v3, v1
	;; [unrolled: 1-line block ×3, first 2 shown]
	scratch_store_b128 off, v[1:4], off offset:32
	s_waitcnt vmcnt(0)
	ds_store_b128 v213, v[5:8]
.LBB120_351:
	s_or_b32 exec_lo, exec_lo, s2
	s_waitcnt lgkmcnt(0)
	s_waitcnt_vscnt null, 0x0
	s_barrier
	buffer_gl0_inv
	s_clause 0x7
	scratch_load_b128 v[2:5], off, off offset:48
	scratch_load_b128 v[6:9], off, off offset:64
	;; [unrolled: 1-line block ×8, first 2 shown]
	ds_load_b128 v[38:41], v1 offset:960
	ds_load_b128 v[173:176], v1 offset:976
	s_clause 0x1
	scratch_load_b128 v[34:37], off, off offset:176
	scratch_load_b128 v[177:180], off, off offset:192
	s_mov_b32 s2, exec_lo
	s_waitcnt vmcnt(9) lgkmcnt(1)
	v_mul_f64 v[166:167], v[40:41], v[4:5]
	v_mul_f64 v[4:5], v[38:39], v[4:5]
	s_waitcnt vmcnt(8) lgkmcnt(0)
	v_mul_f64 v[170:171], v[173:174], v[8:9]
	v_mul_f64 v[8:9], v[175:176], v[8:9]
	s_delay_alu instid0(VALU_DEP_4) | instskip(NEXT) | instid1(VALU_DEP_4)
	v_fma_f64 v[166:167], v[38:39], v[2:3], -v[166:167]
	v_fma_f64 v[181:182], v[40:41], v[2:3], v[4:5]
	ds_load_b128 v[2:5], v1 offset:992
	scratch_load_b128 v[38:41], off, off offset:208
	v_fma_f64 v[170:171], v[175:176], v[6:7], v[170:171]
	v_fma_f64 v[185:186], v[173:174], v[6:7], -v[8:9]
	scratch_load_b128 v[173:176], off, off offset:224
	ds_load_b128 v[6:9], v1 offset:1008
	s_waitcnt vmcnt(9) lgkmcnt(1)
	v_mul_f64 v[183:184], v[2:3], v[12:13]
	v_mul_f64 v[12:13], v[4:5], v[12:13]
	s_waitcnt vmcnt(8) lgkmcnt(0)
	v_mul_f64 v[187:188], v[6:7], v[16:17]
	v_mul_f64 v[16:17], v[8:9], v[16:17]
	v_add_f64 v[166:167], v[166:167], 0
	v_add_f64 v[181:182], v[181:182], 0
	v_fma_f64 v[183:184], v[4:5], v[10:11], v[183:184]
	v_fma_f64 v[189:190], v[2:3], v[10:11], -v[12:13]
	ds_load_b128 v[2:5], v1 offset:1024
	scratch_load_b128 v[10:13], off, off offset:240
	v_add_f64 v[166:167], v[166:167], v[185:186]
	v_add_f64 v[170:171], v[181:182], v[170:171]
	v_fma_f64 v[185:186], v[8:9], v[14:15], v[187:188]
	v_fma_f64 v[187:188], v[6:7], v[14:15], -v[16:17]
	scratch_load_b128 v[14:17], off, off offset:256
	ds_load_b128 v[6:9], v1 offset:1040
	s_waitcnt vmcnt(9) lgkmcnt(1)
	v_mul_f64 v[181:182], v[2:3], v[20:21]
	v_mul_f64 v[20:21], v[4:5], v[20:21]
	v_add_f64 v[166:167], v[166:167], v[189:190]
	v_add_f64 v[170:171], v[170:171], v[183:184]
	s_waitcnt vmcnt(8) lgkmcnt(0)
	v_mul_f64 v[183:184], v[6:7], v[24:25]
	v_mul_f64 v[24:25], v[8:9], v[24:25]
	v_fma_f64 v[181:182], v[4:5], v[18:19], v[181:182]
	v_fma_f64 v[189:190], v[2:3], v[18:19], -v[20:21]
	ds_load_b128 v[2:5], v1 offset:1056
	scratch_load_b128 v[18:21], off, off offset:272
	v_add_f64 v[166:167], v[166:167], v[187:188]
	v_add_f64 v[170:171], v[170:171], v[185:186]
	v_fma_f64 v[183:184], v[8:9], v[22:23], v[183:184]
	v_fma_f64 v[187:188], v[6:7], v[22:23], -v[24:25]
	scratch_load_b128 v[22:25], off, off offset:288
	ds_load_b128 v[6:9], v1 offset:1072
	s_waitcnt vmcnt(9) lgkmcnt(1)
	v_mul_f64 v[185:186], v[2:3], v[28:29]
	v_mul_f64 v[28:29], v[4:5], v[28:29]
	v_add_f64 v[166:167], v[166:167], v[189:190]
	v_add_f64 v[170:171], v[170:171], v[181:182]
	s_waitcnt vmcnt(8) lgkmcnt(0)
	v_mul_f64 v[181:182], v[6:7], v[32:33]
	v_mul_f64 v[32:33], v[8:9], v[32:33]
	;; [unrolled: 18-line block ×17, first 2 shown]
	v_fma_f64 v[185:186], v[4:5], v[26:27], v[185:186]
	v_fma_f64 v[189:190], v[2:3], v[26:27], -v[28:29]
	ds_load_b128 v[2:5], v1 offset:1568
	scratch_load_b128 v[26:29], off, off offset:784
	v_add_f64 v[166:167], v[166:167], v[187:188]
	v_add_f64 v[170:171], v[170:171], v[183:184]
	v_fma_f64 v[181:182], v[8:9], v[30:31], v[181:182]
	v_fma_f64 v[187:188], v[6:7], v[30:31], -v[32:33]
	ds_load_b128 v[6:9], v1 offset:1584
	s_waitcnt vmcnt(8) lgkmcnt(1)
	v_mul_f64 v[183:184], v[2:3], v[36:37]
	v_mul_f64 v[36:37], v[4:5], v[36:37]
	scratch_load_b128 v[30:33], off, off offset:800
	v_add_f64 v[166:167], v[166:167], v[189:190]
	v_add_f64 v[170:171], v[170:171], v[185:186]
	s_waitcnt vmcnt(8) lgkmcnt(0)
	v_mul_f64 v[185:186], v[6:7], v[179:180]
	v_mul_f64 v[179:180], v[8:9], v[179:180]
	v_fma_f64 v[183:184], v[4:5], v[34:35], v[183:184]
	v_fma_f64 v[189:190], v[2:3], v[34:35], -v[36:37]
	ds_load_b128 v[2:5], v1 offset:1600
	scratch_load_b128 v[34:37], off, off offset:816
	v_add_f64 v[166:167], v[166:167], v[187:188]
	v_add_f64 v[170:171], v[170:171], v[181:182]
	v_fma_f64 v[185:186], v[8:9], v[177:178], v[185:186]
	v_fma_f64 v[187:188], v[6:7], v[177:178], -v[179:180]
	ds_load_b128 v[6:9], v1 offset:1616
	s_waitcnt vmcnt(8) lgkmcnt(1)
	v_mul_f64 v[181:182], v[2:3], v[40:41]
	v_mul_f64 v[40:41], v[4:5], v[40:41]
	scratch_load_b128 v[177:180], off, off offset:832
	v_add_f64 v[166:167], v[166:167], v[189:190]
	v_add_f64 v[170:171], v[170:171], v[183:184]
	s_waitcnt vmcnt(8) lgkmcnt(0)
	v_mul_f64 v[183:184], v[6:7], v[175:176]
	v_mul_f64 v[175:176], v[8:9], v[175:176]
	v_fma_f64 v[181:182], v[4:5], v[38:39], v[181:182]
	v_fma_f64 v[189:190], v[2:3], v[38:39], -v[40:41]
	scratch_load_b128 v[38:41], off, off offset:848
	ds_load_b128 v[2:5], v1 offset:1632
	v_add_f64 v[166:167], v[166:167], v[187:188]
	v_add_f64 v[170:171], v[170:171], v[185:186]
	v_fma_f64 v[183:184], v[8:9], v[173:174], v[183:184]
	v_fma_f64 v[187:188], v[6:7], v[173:174], -v[175:176]
	ds_load_b128 v[6:9], v1 offset:1648
	s_waitcnt vmcnt(8) lgkmcnt(1)
	v_mul_f64 v[185:186], v[2:3], v[12:13]
	v_mul_f64 v[12:13], v[4:5], v[12:13]
	scratch_load_b128 v[173:176], off, off offset:864
	v_add_f64 v[166:167], v[166:167], v[189:190]
	v_add_f64 v[170:171], v[170:171], v[181:182]
	s_waitcnt vmcnt(8) lgkmcnt(0)
	v_mul_f64 v[181:182], v[6:7], v[16:17]
	v_mul_f64 v[16:17], v[8:9], v[16:17]
	v_fma_f64 v[185:186], v[4:5], v[10:11], v[185:186]
	v_fma_f64 v[189:190], v[2:3], v[10:11], -v[12:13]
	scratch_load_b128 v[10:13], off, off offset:880
	ds_load_b128 v[2:5], v1 offset:1664
	v_add_f64 v[166:167], v[166:167], v[187:188]
	v_add_f64 v[170:171], v[170:171], v[183:184]
	v_fma_f64 v[181:182], v[8:9], v[14:15], v[181:182]
	v_fma_f64 v[187:188], v[6:7], v[14:15], -v[16:17]
	ds_load_b128 v[6:9], v1 offset:1680
	s_waitcnt vmcnt(8) lgkmcnt(1)
	v_mul_f64 v[183:184], v[2:3], v[20:21]
	v_mul_f64 v[20:21], v[4:5], v[20:21]
	scratch_load_b128 v[14:17], off, off offset:896
	v_add_f64 v[166:167], v[166:167], v[189:190]
	v_add_f64 v[170:171], v[170:171], v[185:186]
	s_waitcnt vmcnt(8) lgkmcnt(0)
	v_mul_f64 v[185:186], v[6:7], v[24:25]
	v_mul_f64 v[24:25], v[8:9], v[24:25]
	v_fma_f64 v[183:184], v[4:5], v[18:19], v[183:184]
	v_fma_f64 v[18:19], v[2:3], v[18:19], -v[20:21]
	ds_load_b128 v[2:5], v1 offset:1696
	v_add_f64 v[20:21], v[166:167], v[187:188]
	v_add_f64 v[166:167], v[170:171], v[181:182]
	v_fma_f64 v[181:182], v[8:9], v[22:23], v[185:186]
	v_fma_f64 v[22:23], v[6:7], v[22:23], -v[24:25]
	ds_load_b128 v[6:9], v1 offset:1712
	s_waitcnt vmcnt(7) lgkmcnt(1)
	v_mul_f64 v[170:171], v[2:3], v[28:29]
	v_mul_f64 v[28:29], v[4:5], v[28:29]
	v_add_f64 v[18:19], v[20:21], v[18:19]
	v_add_f64 v[20:21], v[166:167], v[183:184]
	s_delay_alu instid0(VALU_DEP_4) | instskip(NEXT) | instid1(VALU_DEP_4)
	v_fma_f64 v[166:167], v[4:5], v[26:27], v[170:171]
	v_fma_f64 v[26:27], v[2:3], v[26:27], -v[28:29]
	ds_load_b128 v[2:5], v1 offset:1728
	v_add_f64 v[22:23], v[18:19], v[22:23]
	v_add_f64 v[28:29], v[20:21], v[181:182]
	scratch_load_b128 v[18:21], off, off offset:32
	s_waitcnt vmcnt(7) lgkmcnt(1)
	v_mul_f64 v[24:25], v[6:7], v[32:33]
	v_mul_f64 v[32:33], v[8:9], v[32:33]
	v_add_f64 v[22:23], v[22:23], v[26:27]
	v_add_f64 v[26:27], v[28:29], v[166:167]
	s_delay_alu instid0(VALU_DEP_4) | instskip(NEXT) | instid1(VALU_DEP_4)
	v_fma_f64 v[24:25], v[8:9], v[30:31], v[24:25]
	v_fma_f64 v[30:31], v[6:7], v[30:31], -v[32:33]
	ds_load_b128 v[6:9], v1 offset:1744
	s_waitcnt vmcnt(6) lgkmcnt(1)
	v_mul_f64 v[170:171], v[2:3], v[36:37]
	v_mul_f64 v[36:37], v[4:5], v[36:37]
	s_waitcnt vmcnt(5) lgkmcnt(0)
	v_mul_f64 v[28:29], v[6:7], v[179:180]
	v_mul_f64 v[32:33], v[8:9], v[179:180]
	v_add_f64 v[24:25], v[26:27], v[24:25]
	v_add_f64 v[22:23], v[22:23], v[30:31]
	v_fma_f64 v[166:167], v[4:5], v[34:35], v[170:171]
	v_fma_f64 v[34:35], v[2:3], v[34:35], -v[36:37]
	ds_load_b128 v[2:5], v1 offset:1760
	v_fma_f64 v[28:29], v[8:9], v[177:178], v[28:29]
	v_fma_f64 v[32:33], v[6:7], v[177:178], -v[32:33]
	ds_load_b128 v[6:9], v1 offset:1776
	s_waitcnt vmcnt(4) lgkmcnt(1)
	v_mul_f64 v[26:27], v[2:3], v[40:41]
	v_mul_f64 v[30:31], v[4:5], v[40:41]
	v_add_f64 v[24:25], v[24:25], v[166:167]
	v_add_f64 v[22:23], v[22:23], v[34:35]
	s_waitcnt vmcnt(3) lgkmcnt(0)
	v_mul_f64 v[34:35], v[6:7], v[175:176]
	v_mul_f64 v[36:37], v[8:9], v[175:176]
	v_fma_f64 v[26:27], v[4:5], v[38:39], v[26:27]
	v_fma_f64 v[30:31], v[2:3], v[38:39], -v[30:31]
	ds_load_b128 v[2:5], v1 offset:1792
	v_add_f64 v[24:25], v[24:25], v[28:29]
	v_add_f64 v[22:23], v[22:23], v[32:33]
	v_fma_f64 v[32:33], v[8:9], v[173:174], v[34:35]
	v_fma_f64 v[34:35], v[6:7], v[173:174], -v[36:37]
	ds_load_b128 v[6:9], v1 offset:1808
	s_waitcnt vmcnt(2) lgkmcnt(1)
	v_mul_f64 v[28:29], v[2:3], v[12:13]
	v_mul_f64 v[12:13], v[4:5], v[12:13]
	v_add_f64 v[24:25], v[24:25], v[26:27]
	v_add_f64 v[22:23], v[22:23], v[30:31]
	s_waitcnt vmcnt(1) lgkmcnt(0)
	v_mul_f64 v[26:27], v[6:7], v[16:17]
	v_mul_f64 v[16:17], v[8:9], v[16:17]
	v_fma_f64 v[4:5], v[4:5], v[10:11], v[28:29]
	v_fma_f64 v[1:2], v[2:3], v[10:11], -v[12:13]
	v_add_f64 v[12:13], v[24:25], v[32:33]
	v_add_f64 v[10:11], v[22:23], v[34:35]
	v_fma_f64 v[8:9], v[8:9], v[14:15], v[26:27]
	v_fma_f64 v[6:7], v[6:7], v[14:15], -v[16:17]
	s_delay_alu instid0(VALU_DEP_4) | instskip(NEXT) | instid1(VALU_DEP_4)
	v_add_f64 v[3:4], v[12:13], v[4:5]
	v_add_f64 v[1:2], v[10:11], v[1:2]
	s_delay_alu instid0(VALU_DEP_2) | instskip(NEXT) | instid1(VALU_DEP_2)
	v_add_f64 v[3:4], v[3:4], v[8:9]
	v_add_f64 v[1:2], v[1:2], v[6:7]
	s_waitcnt vmcnt(0)
	s_delay_alu instid0(VALU_DEP_2) | instskip(NEXT) | instid1(VALU_DEP_2)
	v_add_f64 v[3:4], v[20:21], -v[3:4]
	v_add_f64 v[1:2], v[18:19], -v[1:2]
	scratch_store_b128 off, v[1:4], off offset:32
	v_cmpx_lt_u32_e32 1, v156
	s_cbranch_execz .LBB120_353
; %bb.352:
	scratch_load_b128 v[1:4], v212, off
	v_mov_b32_e32 v5, 0
	s_delay_alu instid0(VALU_DEP_1)
	v_mov_b32_e32 v6, v5
	v_mov_b32_e32 v7, v5
	;; [unrolled: 1-line block ×3, first 2 shown]
	scratch_store_b128 off, v[5:8], off offset:16
	s_waitcnt vmcnt(0)
	ds_store_b128 v213, v[1:4]
.LBB120_353:
	s_or_b32 exec_lo, exec_lo, s2
	s_waitcnt lgkmcnt(0)
	s_waitcnt_vscnt null, 0x0
	s_barrier
	buffer_gl0_inv
	s_clause 0x7
	scratch_load_b128 v[2:5], off, off offset:32
	scratch_load_b128 v[6:9], off, off offset:48
	;; [unrolled: 1-line block ×8, first 2 shown]
	v_mov_b32_e32 v1, 0
	s_clause 0x1
	scratch_load_b128 v[34:37], off, off offset:160
	scratch_load_b128 v[177:180], off, off offset:176
	s_mov_b32 s2, exec_lo
	ds_load_b128 v[38:41], v1 offset:944
	ds_load_b128 v[173:176], v1 offset:960
	s_waitcnt vmcnt(9) lgkmcnt(1)
	v_mul_f64 v[166:167], v[40:41], v[4:5]
	v_mul_f64 v[4:5], v[38:39], v[4:5]
	s_waitcnt vmcnt(8) lgkmcnt(0)
	v_mul_f64 v[170:171], v[173:174], v[8:9]
	v_mul_f64 v[8:9], v[175:176], v[8:9]
	s_delay_alu instid0(VALU_DEP_4) | instskip(NEXT) | instid1(VALU_DEP_4)
	v_fma_f64 v[166:167], v[38:39], v[2:3], -v[166:167]
	v_fma_f64 v[181:182], v[40:41], v[2:3], v[4:5]
	ds_load_b128 v[2:5], v1 offset:976
	scratch_load_b128 v[38:41], off, off offset:192
	v_fma_f64 v[170:171], v[175:176], v[6:7], v[170:171]
	v_fma_f64 v[185:186], v[173:174], v[6:7], -v[8:9]
	scratch_load_b128 v[173:176], off, off offset:208
	ds_load_b128 v[6:9], v1 offset:992
	s_waitcnt vmcnt(9) lgkmcnt(1)
	v_mul_f64 v[183:184], v[2:3], v[12:13]
	v_mul_f64 v[12:13], v[4:5], v[12:13]
	s_waitcnt vmcnt(8) lgkmcnt(0)
	v_mul_f64 v[187:188], v[6:7], v[16:17]
	v_mul_f64 v[16:17], v[8:9], v[16:17]
	v_add_f64 v[166:167], v[166:167], 0
	v_add_f64 v[181:182], v[181:182], 0
	v_fma_f64 v[183:184], v[4:5], v[10:11], v[183:184]
	v_fma_f64 v[189:190], v[2:3], v[10:11], -v[12:13]
	ds_load_b128 v[2:5], v1 offset:1008
	scratch_load_b128 v[10:13], off, off offset:224
	v_add_f64 v[166:167], v[166:167], v[185:186]
	v_add_f64 v[170:171], v[181:182], v[170:171]
	v_fma_f64 v[185:186], v[8:9], v[14:15], v[187:188]
	v_fma_f64 v[187:188], v[6:7], v[14:15], -v[16:17]
	scratch_load_b128 v[14:17], off, off offset:240
	ds_load_b128 v[6:9], v1 offset:1024
	s_waitcnt vmcnt(9) lgkmcnt(1)
	v_mul_f64 v[181:182], v[2:3], v[20:21]
	v_mul_f64 v[20:21], v[4:5], v[20:21]
	v_add_f64 v[166:167], v[166:167], v[189:190]
	v_add_f64 v[170:171], v[170:171], v[183:184]
	s_waitcnt vmcnt(8) lgkmcnt(0)
	v_mul_f64 v[183:184], v[6:7], v[24:25]
	v_mul_f64 v[24:25], v[8:9], v[24:25]
	v_fma_f64 v[181:182], v[4:5], v[18:19], v[181:182]
	v_fma_f64 v[189:190], v[2:3], v[18:19], -v[20:21]
	ds_load_b128 v[2:5], v1 offset:1040
	scratch_load_b128 v[18:21], off, off offset:256
	v_add_f64 v[166:167], v[166:167], v[187:188]
	v_add_f64 v[170:171], v[170:171], v[185:186]
	v_fma_f64 v[183:184], v[8:9], v[22:23], v[183:184]
	v_fma_f64 v[187:188], v[6:7], v[22:23], -v[24:25]
	scratch_load_b128 v[22:25], off, off offset:272
	ds_load_b128 v[6:9], v1 offset:1056
	s_waitcnt vmcnt(9) lgkmcnt(1)
	v_mul_f64 v[185:186], v[2:3], v[28:29]
	v_mul_f64 v[28:29], v[4:5], v[28:29]
	v_add_f64 v[166:167], v[166:167], v[189:190]
	v_add_f64 v[170:171], v[170:171], v[181:182]
	s_waitcnt vmcnt(8) lgkmcnt(0)
	v_mul_f64 v[181:182], v[6:7], v[32:33]
	v_mul_f64 v[32:33], v[8:9], v[32:33]
	;; [unrolled: 18-line block ×18, first 2 shown]
	v_fma_f64 v[183:184], v[4:5], v[34:35], v[183:184]
	v_fma_f64 v[189:190], v[2:3], v[34:35], -v[36:37]
	ds_load_b128 v[2:5], v1 offset:1584
	scratch_load_b128 v[34:37], off, off offset:800
	v_add_f64 v[166:167], v[166:167], v[187:188]
	v_add_f64 v[170:171], v[170:171], v[181:182]
	v_fma_f64 v[185:186], v[8:9], v[177:178], v[185:186]
	v_fma_f64 v[187:188], v[6:7], v[177:178], -v[179:180]
	ds_load_b128 v[6:9], v1 offset:1600
	s_waitcnt vmcnt(8) lgkmcnt(1)
	v_mul_f64 v[181:182], v[2:3], v[40:41]
	v_mul_f64 v[40:41], v[4:5], v[40:41]
	scratch_load_b128 v[177:180], off, off offset:816
	v_add_f64 v[166:167], v[166:167], v[189:190]
	v_add_f64 v[170:171], v[170:171], v[183:184]
	s_waitcnt vmcnt(8) lgkmcnt(0)
	v_mul_f64 v[183:184], v[6:7], v[175:176]
	v_mul_f64 v[175:176], v[8:9], v[175:176]
	v_fma_f64 v[181:182], v[4:5], v[38:39], v[181:182]
	v_fma_f64 v[189:190], v[2:3], v[38:39], -v[40:41]
	scratch_load_b128 v[38:41], off, off offset:832
	ds_load_b128 v[2:5], v1 offset:1616
	v_add_f64 v[166:167], v[166:167], v[187:188]
	v_add_f64 v[170:171], v[170:171], v[185:186]
	v_fma_f64 v[183:184], v[8:9], v[173:174], v[183:184]
	v_fma_f64 v[187:188], v[6:7], v[173:174], -v[175:176]
	ds_load_b128 v[6:9], v1 offset:1632
	s_waitcnt vmcnt(8) lgkmcnt(1)
	v_mul_f64 v[185:186], v[2:3], v[12:13]
	v_mul_f64 v[12:13], v[4:5], v[12:13]
	scratch_load_b128 v[173:176], off, off offset:848
	v_add_f64 v[166:167], v[166:167], v[189:190]
	v_add_f64 v[170:171], v[170:171], v[181:182]
	s_waitcnt vmcnt(8) lgkmcnt(0)
	v_mul_f64 v[181:182], v[6:7], v[16:17]
	v_mul_f64 v[16:17], v[8:9], v[16:17]
	v_fma_f64 v[185:186], v[4:5], v[10:11], v[185:186]
	v_fma_f64 v[189:190], v[2:3], v[10:11], -v[12:13]
	scratch_load_b128 v[10:13], off, off offset:864
	ds_load_b128 v[2:5], v1 offset:1648
	;; [unrolled: 18-line block ×3, first 2 shown]
	v_add_f64 v[166:167], v[166:167], v[187:188]
	v_add_f64 v[170:171], v[170:171], v[181:182]
	v_fma_f64 v[185:186], v[8:9], v[22:23], v[185:186]
	v_fma_f64 v[22:23], v[6:7], v[22:23], -v[24:25]
	ds_load_b128 v[6:9], v1 offset:1696
	s_waitcnt vmcnt(8) lgkmcnt(1)
	v_mul_f64 v[181:182], v[2:3], v[28:29]
	v_mul_f64 v[28:29], v[4:5], v[28:29]
	v_add_f64 v[24:25], v[166:167], v[189:190]
	v_add_f64 v[166:167], v[170:171], v[183:184]
	s_waitcnt vmcnt(7) lgkmcnt(0)
	v_mul_f64 v[170:171], v[6:7], v[32:33]
	v_mul_f64 v[32:33], v[8:9], v[32:33]
	v_fma_f64 v[181:182], v[4:5], v[26:27], v[181:182]
	v_fma_f64 v[26:27], v[2:3], v[26:27], -v[28:29]
	ds_load_b128 v[2:5], v1 offset:1712
	v_add_f64 v[22:23], v[24:25], v[22:23]
	v_add_f64 v[24:25], v[166:167], v[185:186]
	v_fma_f64 v[166:167], v[8:9], v[30:31], v[170:171]
	v_fma_f64 v[30:31], v[6:7], v[30:31], -v[32:33]
	ds_load_b128 v[6:9], v1 offset:1728
	s_waitcnt vmcnt(5) lgkmcnt(0)
	v_mul_f64 v[170:171], v[6:7], v[179:180]
	v_mul_f64 v[179:180], v[8:9], v[179:180]
	v_add_f64 v[26:27], v[22:23], v[26:27]
	v_add_f64 v[32:33], v[24:25], v[181:182]
	scratch_load_b128 v[22:25], off, off offset:16
	v_mul_f64 v[28:29], v[2:3], v[36:37]
	v_mul_f64 v[36:37], v[4:5], v[36:37]
	v_add_f64 v[26:27], v[26:27], v[30:31]
	v_add_f64 v[30:31], v[32:33], v[166:167]
	v_fma_f64 v[166:167], v[6:7], v[177:178], -v[179:180]
	v_fma_f64 v[28:29], v[4:5], v[34:35], v[28:29]
	v_fma_f64 v[34:35], v[2:3], v[34:35], -v[36:37]
	ds_load_b128 v[2:5], v1 offset:1744
	s_waitcnt vmcnt(5) lgkmcnt(0)
	v_mul_f64 v[32:33], v[2:3], v[40:41]
	v_mul_f64 v[36:37], v[4:5], v[40:41]
	v_fma_f64 v[40:41], v[8:9], v[177:178], v[170:171]
	ds_load_b128 v[6:9], v1 offset:1760
	v_add_f64 v[28:29], v[30:31], v[28:29]
	v_add_f64 v[26:27], v[26:27], v[34:35]
	v_fma_f64 v[32:33], v[4:5], v[38:39], v[32:33]
	v_fma_f64 v[36:37], v[2:3], v[38:39], -v[36:37]
	ds_load_b128 v[2:5], v1 offset:1776
	s_waitcnt vmcnt(4) lgkmcnt(1)
	v_mul_f64 v[30:31], v[6:7], v[175:176]
	v_mul_f64 v[34:35], v[8:9], v[175:176]
	v_add_f64 v[28:29], v[28:29], v[40:41]
	v_add_f64 v[26:27], v[26:27], v[166:167]
	s_waitcnt vmcnt(3) lgkmcnt(0)
	v_mul_f64 v[38:39], v[2:3], v[12:13]
	v_mul_f64 v[12:13], v[4:5], v[12:13]
	v_fma_f64 v[30:31], v[8:9], v[173:174], v[30:31]
	v_fma_f64 v[34:35], v[6:7], v[173:174], -v[34:35]
	ds_load_b128 v[6:9], v1 offset:1792
	v_add_f64 v[28:29], v[28:29], v[32:33]
	v_add_f64 v[26:27], v[26:27], v[36:37]
	v_fma_f64 v[36:37], v[4:5], v[10:11], v[38:39]
	v_fma_f64 v[10:11], v[2:3], v[10:11], -v[12:13]
	ds_load_b128 v[2:5], v1 offset:1808
	s_waitcnt vmcnt(2) lgkmcnt(1)
	v_mul_f64 v[32:33], v[6:7], v[16:17]
	v_mul_f64 v[16:17], v[8:9], v[16:17]
	v_add_f64 v[12:13], v[26:27], v[34:35]
	v_add_f64 v[26:27], v[28:29], v[30:31]
	s_waitcnt vmcnt(1) lgkmcnt(0)
	v_mul_f64 v[28:29], v[2:3], v[20:21]
	v_mul_f64 v[20:21], v[4:5], v[20:21]
	v_fma_f64 v[8:9], v[8:9], v[14:15], v[32:33]
	v_fma_f64 v[6:7], v[6:7], v[14:15], -v[16:17]
	v_add_f64 v[10:11], v[12:13], v[10:11]
	v_add_f64 v[12:13], v[26:27], v[36:37]
	v_fma_f64 v[4:5], v[4:5], v[18:19], v[28:29]
	v_fma_f64 v[2:3], v[2:3], v[18:19], -v[20:21]
	s_delay_alu instid0(VALU_DEP_4) | instskip(NEXT) | instid1(VALU_DEP_4)
	v_add_f64 v[6:7], v[10:11], v[6:7]
	v_add_f64 v[8:9], v[12:13], v[8:9]
	s_delay_alu instid0(VALU_DEP_2) | instskip(NEXT) | instid1(VALU_DEP_2)
	v_add_f64 v[2:3], v[6:7], v[2:3]
	v_add_f64 v[4:5], v[8:9], v[4:5]
	s_waitcnt vmcnt(0)
	s_delay_alu instid0(VALU_DEP_2) | instskip(NEXT) | instid1(VALU_DEP_2)
	v_add_f64 v[2:3], v[22:23], -v[2:3]
	v_add_f64 v[4:5], v[24:25], -v[4:5]
	scratch_store_b128 off, v[2:5], off offset:16
	v_cmpx_ne_u32_e32 0, v156
	s_cbranch_execz .LBB120_355
; %bb.354:
	scratch_load_b128 v[5:8], off, off
	v_mov_b32_e32 v2, v1
	v_mov_b32_e32 v3, v1
	;; [unrolled: 1-line block ×3, first 2 shown]
	scratch_store_b128 off, v[1:4], off
	s_waitcnt vmcnt(0)
	ds_store_b128 v213, v[5:8]
.LBB120_355:
	s_or_b32 exec_lo, exec_lo, s2
	s_waitcnt lgkmcnt(0)
	s_waitcnt_vscnt null, 0x0
	s_barrier
	buffer_gl0_inv
	s_clause 0x7
	scratch_load_b128 v[2:5], off, off offset:16
	scratch_load_b128 v[6:9], off, off offset:32
	;; [unrolled: 1-line block ×8, first 2 shown]
	ds_load_b128 v[38:41], v1 offset:928
	ds_load_b128 v[173:176], v1 offset:944
	s_clause 0x1
	scratch_load_b128 v[34:37], off, off offset:144
	scratch_load_b128 v[177:180], off, off offset:160
	s_and_b32 vcc_lo, exec_lo, s14
	s_waitcnt vmcnt(9) lgkmcnt(1)
	v_mul_f64 v[166:167], v[40:41], v[4:5]
	v_mul_f64 v[4:5], v[38:39], v[4:5]
	s_waitcnt vmcnt(8) lgkmcnt(0)
	v_mul_f64 v[170:171], v[173:174], v[8:9]
	v_mul_f64 v[8:9], v[175:176], v[8:9]
	s_delay_alu instid0(VALU_DEP_4) | instskip(NEXT) | instid1(VALU_DEP_4)
	v_fma_f64 v[166:167], v[38:39], v[2:3], -v[166:167]
	v_fma_f64 v[181:182], v[40:41], v[2:3], v[4:5]
	ds_load_b128 v[2:5], v1 offset:960
	scratch_load_b128 v[38:41], off, off offset:176
	v_fma_f64 v[170:171], v[175:176], v[6:7], v[170:171]
	v_fma_f64 v[185:186], v[173:174], v[6:7], -v[8:9]
	scratch_load_b128 v[173:176], off, off offset:192
	ds_load_b128 v[6:9], v1 offset:976
	s_waitcnt vmcnt(9) lgkmcnt(1)
	v_mul_f64 v[183:184], v[2:3], v[12:13]
	v_mul_f64 v[12:13], v[4:5], v[12:13]
	s_waitcnt vmcnt(8) lgkmcnt(0)
	v_mul_f64 v[187:188], v[6:7], v[16:17]
	v_mul_f64 v[16:17], v[8:9], v[16:17]
	v_add_f64 v[166:167], v[166:167], 0
	v_add_f64 v[181:182], v[181:182], 0
	v_fma_f64 v[183:184], v[4:5], v[10:11], v[183:184]
	v_fma_f64 v[189:190], v[2:3], v[10:11], -v[12:13]
	ds_load_b128 v[2:5], v1 offset:992
	scratch_load_b128 v[10:13], off, off offset:208
	v_add_f64 v[166:167], v[166:167], v[185:186]
	v_add_f64 v[170:171], v[181:182], v[170:171]
	v_fma_f64 v[185:186], v[8:9], v[14:15], v[187:188]
	v_fma_f64 v[187:188], v[6:7], v[14:15], -v[16:17]
	scratch_load_b128 v[14:17], off, off offset:224
	ds_load_b128 v[6:9], v1 offset:1008
	s_waitcnt vmcnt(9) lgkmcnt(1)
	v_mul_f64 v[181:182], v[2:3], v[20:21]
	v_mul_f64 v[20:21], v[4:5], v[20:21]
	v_add_f64 v[166:167], v[166:167], v[189:190]
	v_add_f64 v[170:171], v[170:171], v[183:184]
	s_waitcnt vmcnt(8) lgkmcnt(0)
	v_mul_f64 v[183:184], v[6:7], v[24:25]
	v_mul_f64 v[24:25], v[8:9], v[24:25]
	v_fma_f64 v[181:182], v[4:5], v[18:19], v[181:182]
	v_fma_f64 v[189:190], v[2:3], v[18:19], -v[20:21]
	ds_load_b128 v[2:5], v1 offset:1024
	scratch_load_b128 v[18:21], off, off offset:240
	v_add_f64 v[166:167], v[166:167], v[187:188]
	v_add_f64 v[170:171], v[170:171], v[185:186]
	v_fma_f64 v[183:184], v[8:9], v[22:23], v[183:184]
	v_fma_f64 v[187:188], v[6:7], v[22:23], -v[24:25]
	scratch_load_b128 v[22:25], off, off offset:256
	ds_load_b128 v[6:9], v1 offset:1040
	s_waitcnt vmcnt(9) lgkmcnt(1)
	v_mul_f64 v[185:186], v[2:3], v[28:29]
	v_mul_f64 v[28:29], v[4:5], v[28:29]
	v_add_f64 v[166:167], v[166:167], v[189:190]
	v_add_f64 v[170:171], v[170:171], v[181:182]
	s_waitcnt vmcnt(8) lgkmcnt(0)
	v_mul_f64 v[181:182], v[6:7], v[32:33]
	v_mul_f64 v[32:33], v[8:9], v[32:33]
	;; [unrolled: 18-line block ×18, first 2 shown]
	v_fma_f64 v[183:184], v[4:5], v[34:35], v[183:184]
	v_fma_f64 v[189:190], v[2:3], v[34:35], -v[36:37]
	ds_load_b128 v[2:5], v1 offset:1568
	scratch_load_b128 v[34:37], off, off offset:784
	v_add_f64 v[166:167], v[166:167], v[187:188]
	v_add_f64 v[170:171], v[170:171], v[181:182]
	v_fma_f64 v[185:186], v[8:9], v[177:178], v[185:186]
	v_fma_f64 v[187:188], v[6:7], v[177:178], -v[179:180]
	ds_load_b128 v[6:9], v1 offset:1584
	s_waitcnt vmcnt(8) lgkmcnt(1)
	v_mul_f64 v[181:182], v[2:3], v[40:41]
	v_mul_f64 v[40:41], v[4:5], v[40:41]
	scratch_load_b128 v[177:180], off, off offset:800
	v_add_f64 v[166:167], v[166:167], v[189:190]
	v_add_f64 v[170:171], v[170:171], v[183:184]
	s_waitcnt vmcnt(8) lgkmcnt(0)
	v_mul_f64 v[183:184], v[6:7], v[175:176]
	v_mul_f64 v[175:176], v[8:9], v[175:176]
	v_fma_f64 v[181:182], v[4:5], v[38:39], v[181:182]
	v_fma_f64 v[189:190], v[2:3], v[38:39], -v[40:41]
	ds_load_b128 v[2:5], v1 offset:1600
	scratch_load_b128 v[38:41], off, off offset:816
	v_add_f64 v[166:167], v[166:167], v[187:188]
	v_add_f64 v[170:171], v[170:171], v[185:186]
	v_fma_f64 v[183:184], v[8:9], v[173:174], v[183:184]
	v_fma_f64 v[187:188], v[6:7], v[173:174], -v[175:176]
	ds_load_b128 v[6:9], v1 offset:1616
	s_waitcnt vmcnt(8) lgkmcnt(1)
	v_mul_f64 v[185:186], v[2:3], v[12:13]
	v_mul_f64 v[12:13], v[4:5], v[12:13]
	scratch_load_b128 v[173:176], off, off offset:832
	v_add_f64 v[166:167], v[166:167], v[189:190]
	v_add_f64 v[170:171], v[170:171], v[181:182]
	s_waitcnt vmcnt(8) lgkmcnt(0)
	v_mul_f64 v[181:182], v[6:7], v[16:17]
	v_mul_f64 v[16:17], v[8:9], v[16:17]
	v_fma_f64 v[185:186], v[4:5], v[10:11], v[185:186]
	v_fma_f64 v[189:190], v[2:3], v[10:11], -v[12:13]
	scratch_load_b128 v[10:13], off, off offset:848
	ds_load_b128 v[2:5], v1 offset:1632
	v_add_f64 v[166:167], v[166:167], v[187:188]
	v_add_f64 v[170:171], v[170:171], v[183:184]
	v_fma_f64 v[181:182], v[8:9], v[14:15], v[181:182]
	v_fma_f64 v[187:188], v[6:7], v[14:15], -v[16:17]
	ds_load_b128 v[6:9], v1 offset:1648
	s_waitcnt vmcnt(8) lgkmcnt(1)
	v_mul_f64 v[183:184], v[2:3], v[20:21]
	v_mul_f64 v[20:21], v[4:5], v[20:21]
	scratch_load_b128 v[14:17], off, off offset:864
	v_add_f64 v[166:167], v[166:167], v[189:190]
	v_add_f64 v[170:171], v[170:171], v[185:186]
	s_waitcnt vmcnt(8) lgkmcnt(0)
	v_mul_f64 v[185:186], v[6:7], v[24:25]
	v_mul_f64 v[24:25], v[8:9], v[24:25]
	v_fma_f64 v[183:184], v[4:5], v[18:19], v[183:184]
	v_fma_f64 v[189:190], v[2:3], v[18:19], -v[20:21]
	scratch_load_b128 v[18:21], off, off offset:880
	ds_load_b128 v[2:5], v1 offset:1664
	v_add_f64 v[166:167], v[166:167], v[187:188]
	v_add_f64 v[170:171], v[170:171], v[181:182]
	v_fma_f64 v[185:186], v[8:9], v[22:23], v[185:186]
	v_fma_f64 v[187:188], v[6:7], v[22:23], -v[24:25]
	ds_load_b128 v[6:9], v1 offset:1680
	s_waitcnt vmcnt(8) lgkmcnt(1)
	v_mul_f64 v[181:182], v[2:3], v[28:29]
	v_mul_f64 v[28:29], v[4:5], v[28:29]
	scratch_load_b128 v[22:25], off, off offset:896
	v_add_f64 v[166:167], v[166:167], v[189:190]
	v_add_f64 v[170:171], v[170:171], v[183:184]
	s_waitcnt vmcnt(8) lgkmcnt(0)
	v_mul_f64 v[183:184], v[6:7], v[32:33]
	v_mul_f64 v[32:33], v[8:9], v[32:33]
	v_fma_f64 v[181:182], v[4:5], v[26:27], v[181:182]
	v_fma_f64 v[26:27], v[2:3], v[26:27], -v[28:29]
	ds_load_b128 v[2:5], v1 offset:1696
	v_add_f64 v[28:29], v[166:167], v[187:188]
	v_add_f64 v[166:167], v[170:171], v[185:186]
	v_fma_f64 v[183:184], v[8:9], v[30:31], v[183:184]
	v_fma_f64 v[30:31], v[6:7], v[30:31], -v[32:33]
	ds_load_b128 v[6:9], v1 offset:1712
	s_waitcnt vmcnt(7) lgkmcnt(1)
	v_mul_f64 v[170:171], v[2:3], v[36:37]
	v_mul_f64 v[36:37], v[4:5], v[36:37]
	v_add_f64 v[26:27], v[28:29], v[26:27]
	v_add_f64 v[28:29], v[166:167], v[181:182]
	s_delay_alu instid0(VALU_DEP_4) | instskip(NEXT) | instid1(VALU_DEP_4)
	v_fma_f64 v[170:171], v[4:5], v[34:35], v[170:171]
	v_fma_f64 v[34:35], v[2:3], v[34:35], -v[36:37]
	ds_load_b128 v[2:5], v1 offset:1728
	v_add_f64 v[30:31], v[26:27], v[30:31]
	v_add_f64 v[36:37], v[28:29], v[183:184]
	scratch_load_b128 v[26:29], off, off
	s_waitcnt vmcnt(7) lgkmcnt(1)
	v_mul_f64 v[32:33], v[6:7], v[179:180]
	v_mul_f64 v[166:167], v[8:9], v[179:180]
	v_add_f64 v[30:31], v[30:31], v[34:35]
	v_add_f64 v[34:35], v[36:37], v[170:171]
	s_delay_alu instid0(VALU_DEP_4) | instskip(NEXT) | instid1(VALU_DEP_4)
	v_fma_f64 v[32:33], v[8:9], v[177:178], v[32:33]
	v_fma_f64 v[166:167], v[6:7], v[177:178], -v[166:167]
	ds_load_b128 v[6:9], v1 offset:1744
	s_waitcnt vmcnt(6) lgkmcnt(1)
	v_mul_f64 v[179:180], v[2:3], v[40:41]
	v_mul_f64 v[40:41], v[4:5], v[40:41]
	s_waitcnt vmcnt(5) lgkmcnt(0)
	v_mul_f64 v[36:37], v[6:7], v[175:176]
	v_mul_f64 v[170:171], v[8:9], v[175:176]
	v_add_f64 v[32:33], v[34:35], v[32:33]
	v_add_f64 v[30:31], v[30:31], v[166:167]
	v_fma_f64 v[175:176], v[4:5], v[38:39], v[179:180]
	v_fma_f64 v[38:39], v[2:3], v[38:39], -v[40:41]
	ds_load_b128 v[2:5], v1 offset:1760
	v_fma_f64 v[36:37], v[8:9], v[173:174], v[36:37]
	v_fma_f64 v[40:41], v[6:7], v[173:174], -v[170:171]
	ds_load_b128 v[6:9], v1 offset:1776
	s_waitcnt vmcnt(4) lgkmcnt(1)
	v_mul_f64 v[34:35], v[2:3], v[12:13]
	v_mul_f64 v[12:13], v[4:5], v[12:13]
	v_add_f64 v[32:33], v[32:33], v[175:176]
	v_add_f64 v[30:31], v[30:31], v[38:39]
	s_waitcnt vmcnt(3) lgkmcnt(0)
	v_mul_f64 v[38:39], v[6:7], v[16:17]
	v_mul_f64 v[16:17], v[8:9], v[16:17]
	v_fma_f64 v[34:35], v[4:5], v[10:11], v[34:35]
	v_fma_f64 v[10:11], v[2:3], v[10:11], -v[12:13]
	ds_load_b128 v[2:5], v1 offset:1792
	v_add_f64 v[12:13], v[30:31], v[40:41]
	v_add_f64 v[30:31], v[32:33], v[36:37]
	v_fma_f64 v[36:37], v[8:9], v[14:15], v[38:39]
	v_fma_f64 v[14:15], v[6:7], v[14:15], -v[16:17]
	ds_load_b128 v[6:9], v1 offset:1808
	s_waitcnt vmcnt(2) lgkmcnt(1)
	v_mul_f64 v[32:33], v[2:3], v[20:21]
	v_mul_f64 v[20:21], v[4:5], v[20:21]
	s_waitcnt vmcnt(1) lgkmcnt(0)
	v_mul_f64 v[16:17], v[6:7], v[24:25]
	v_mul_f64 v[24:25], v[8:9], v[24:25]
	v_add_f64 v[10:11], v[12:13], v[10:11]
	v_add_f64 v[12:13], v[30:31], v[34:35]
	v_fma_f64 v[4:5], v[4:5], v[18:19], v[32:33]
	v_fma_f64 v[1:2], v[2:3], v[18:19], -v[20:21]
	v_fma_f64 v[8:9], v[8:9], v[22:23], v[16:17]
	v_fma_f64 v[6:7], v[6:7], v[22:23], -v[24:25]
	v_add_f64 v[10:11], v[10:11], v[14:15]
	v_add_f64 v[12:13], v[12:13], v[36:37]
	s_delay_alu instid0(VALU_DEP_2) | instskip(NEXT) | instid1(VALU_DEP_2)
	v_add_f64 v[1:2], v[10:11], v[1:2]
	v_add_f64 v[3:4], v[12:13], v[4:5]
	s_delay_alu instid0(VALU_DEP_2) | instskip(NEXT) | instid1(VALU_DEP_2)
	v_add_f64 v[1:2], v[1:2], v[6:7]
	v_add_f64 v[3:4], v[3:4], v[8:9]
	s_waitcnt vmcnt(0)
	s_delay_alu instid0(VALU_DEP_2) | instskip(NEXT) | instid1(VALU_DEP_2)
	v_add_f64 v[1:2], v[26:27], -v[1:2]
	v_add_f64 v[3:4], v[28:29], -v[3:4]
	scratch_store_b128 off, v[1:4], off
	s_cbranch_vccz .LBB120_469
; %bb.356:
	v_dual_mov_b32 v1, s8 :: v_dual_mov_b32 v2, s9
	s_load_b64 s[0:1], s[0:1], 0x4
	flat_load_b32 v1, v[1:2] offset:220
	v_bfe_u32 v2, v0, 10, 10
	v_bfe_u32 v0, v0, 20, 10
	s_waitcnt lgkmcnt(0)
	s_lshr_b32 s0, s0, 16
	s_delay_alu instid0(VALU_DEP_2) | instskip(SKIP_1) | instid1(SALU_CYCLE_1)
	v_mul_u32_u24_e32 v2, s1, v2
	s_mul_i32 s0, s0, s1
	v_mul_u32_u24_e32 v3, s0, v156
	s_mov_b32 s0, exec_lo
	s_delay_alu instid0(VALU_DEP_1) | instskip(NEXT) | instid1(VALU_DEP_1)
	v_add3_u32 v0, v3, v2, v0
	v_lshl_add_u32 v0, v0, 4, 0x728
	s_waitcnt vmcnt(0)
	v_cmpx_ne_u32_e32 56, v1
	s_cbranch_execz .LBB120_358
; %bb.357:
	v_lshl_add_u32 v9, v1, 4, 0
	s_clause 0x1
	scratch_load_b128 v[1:4], v158, off
	scratch_load_b128 v[5:8], v9, off offset:-16
	s_waitcnt vmcnt(1)
	ds_store_2addr_b64 v0, v[1:2], v[3:4] offset1:1
	s_waitcnt vmcnt(0)
	s_clause 0x1
	scratch_store_b128 v158, v[5:8], off
	scratch_store_b128 v9, v[1:4], off offset:-16
.LBB120_358:
	s_or_b32 exec_lo, exec_lo, s0
	v_dual_mov_b32 v1, s8 :: v_dual_mov_b32 v2, s9
	s_mov_b32 s0, exec_lo
	flat_load_b32 v1, v[1:2] offset:216
	s_waitcnt vmcnt(0) lgkmcnt(0)
	v_cmpx_ne_u32_e32 55, v1
	s_cbranch_execz .LBB120_360
; %bb.359:
	v_lshl_add_u32 v9, v1, 4, 0
	s_clause 0x1
	scratch_load_b128 v[1:4], v159, off
	scratch_load_b128 v[5:8], v9, off offset:-16
	s_waitcnt vmcnt(1)
	ds_store_2addr_b64 v0, v[1:2], v[3:4] offset1:1
	s_waitcnt vmcnt(0)
	s_clause 0x1
	scratch_store_b128 v159, v[5:8], off
	scratch_store_b128 v9, v[1:4], off offset:-16
.LBB120_360:
	s_or_b32 exec_lo, exec_lo, s0
	v_dual_mov_b32 v1, s8 :: v_dual_mov_b32 v2, s9
	s_mov_b32 s0, exec_lo
	flat_load_b32 v1, v[1:2] offset:212
	s_waitcnt vmcnt(0) lgkmcnt(0)
	v_cmpx_ne_u32_e32 54, v1
	s_cbranch_execz .LBB120_362
; %bb.361:
	v_lshl_add_u32 v9, v1, 4, 0
	s_clause 0x1
	scratch_load_b128 v[1:4], v160, off
	scratch_load_b128 v[5:8], v9, off offset:-16
	s_waitcnt vmcnt(1)
	ds_store_2addr_b64 v0, v[1:2], v[3:4] offset1:1
	s_waitcnt vmcnt(0)
	s_clause 0x1
	scratch_store_b128 v160, v[5:8], off
	scratch_store_b128 v9, v[1:4], off offset:-16
.LBB120_362:
	s_or_b32 exec_lo, exec_lo, s0
	v_dual_mov_b32 v1, s8 :: v_dual_mov_b32 v2, s9
	s_mov_b32 s0, exec_lo
	flat_load_b32 v1, v[1:2] offset:208
	s_waitcnt vmcnt(0) lgkmcnt(0)
	v_cmpx_ne_u32_e32 53, v1
	s_cbranch_execz .LBB120_364
; %bb.363:
	v_lshl_add_u32 v9, v1, 4, 0
	s_clause 0x1
	scratch_load_b128 v[1:4], v162, off
	scratch_load_b128 v[5:8], v9, off offset:-16
	s_waitcnt vmcnt(1)
	ds_store_2addr_b64 v0, v[1:2], v[3:4] offset1:1
	s_waitcnt vmcnt(0)
	s_clause 0x1
	scratch_store_b128 v162, v[5:8], off
	scratch_store_b128 v9, v[1:4], off offset:-16
.LBB120_364:
	s_or_b32 exec_lo, exec_lo, s0
	v_dual_mov_b32 v1, s8 :: v_dual_mov_b32 v2, s9
	s_mov_b32 s0, exec_lo
	flat_load_b32 v1, v[1:2] offset:204
	s_waitcnt vmcnt(0) lgkmcnt(0)
	v_cmpx_ne_u32_e32 52, v1
	s_cbranch_execz .LBB120_366
; %bb.365:
	v_lshl_add_u32 v9, v1, 4, 0
	s_clause 0x1
	scratch_load_b128 v[1:4], v163, off
	scratch_load_b128 v[5:8], v9, off offset:-16
	s_waitcnt vmcnt(1)
	ds_store_2addr_b64 v0, v[1:2], v[3:4] offset1:1
	s_waitcnt vmcnt(0)
	s_clause 0x1
	scratch_store_b128 v163, v[5:8], off
	scratch_store_b128 v9, v[1:4], off offset:-16
.LBB120_366:
	s_or_b32 exec_lo, exec_lo, s0
	v_dual_mov_b32 v1, s8 :: v_dual_mov_b32 v2, s9
	s_mov_b32 s0, exec_lo
	flat_load_b32 v1, v[1:2] offset:200
	s_waitcnt vmcnt(0) lgkmcnt(0)
	v_cmpx_ne_u32_e32 51, v1
	s_cbranch_execz .LBB120_368
; %bb.367:
	v_lshl_add_u32 v9, v1, 4, 0
	s_clause 0x1
	scratch_load_b128 v[1:4], v164, off
	scratch_load_b128 v[5:8], v9, off offset:-16
	s_waitcnt vmcnt(1)
	ds_store_2addr_b64 v0, v[1:2], v[3:4] offset1:1
	s_waitcnt vmcnt(0)
	s_clause 0x1
	scratch_store_b128 v164, v[5:8], off
	scratch_store_b128 v9, v[1:4], off offset:-16
.LBB120_368:
	s_or_b32 exec_lo, exec_lo, s0
	v_dual_mov_b32 v1, s8 :: v_dual_mov_b32 v2, s9
	s_mov_b32 s0, exec_lo
	flat_load_b32 v1, v[1:2] offset:196
	s_waitcnt vmcnt(0) lgkmcnt(0)
	v_cmpx_ne_u32_e32 50, v1
	s_cbranch_execz .LBB120_370
; %bb.369:
	v_lshl_add_u32 v9, v1, 4, 0
	s_clause 0x1
	scratch_load_b128 v[1:4], v165, off
	scratch_load_b128 v[5:8], v9, off offset:-16
	s_waitcnt vmcnt(1)
	ds_store_2addr_b64 v0, v[1:2], v[3:4] offset1:1
	s_waitcnt vmcnt(0)
	s_clause 0x1
	scratch_store_b128 v165, v[5:8], off
	scratch_store_b128 v9, v[1:4], off offset:-16
.LBB120_370:
	s_or_b32 exec_lo, exec_lo, s0
	v_dual_mov_b32 v1, s8 :: v_dual_mov_b32 v2, s9
	s_mov_b32 s0, exec_lo
	flat_load_b32 v1, v[1:2] offset:192
	s_waitcnt vmcnt(0) lgkmcnt(0)
	v_cmpx_ne_u32_e32 49, v1
	s_cbranch_execz .LBB120_372
; %bb.371:
	v_lshl_add_u32 v9, v1, 4, 0
	s_clause 0x1
	scratch_load_b128 v[1:4], v168, off
	scratch_load_b128 v[5:8], v9, off offset:-16
	s_waitcnt vmcnt(1)
	ds_store_2addr_b64 v0, v[1:2], v[3:4] offset1:1
	s_waitcnt vmcnt(0)
	s_clause 0x1
	scratch_store_b128 v168, v[5:8], off
	scratch_store_b128 v9, v[1:4], off offset:-16
.LBB120_372:
	s_or_b32 exec_lo, exec_lo, s0
	v_dual_mov_b32 v1, s8 :: v_dual_mov_b32 v2, s9
	s_mov_b32 s0, exec_lo
	flat_load_b32 v1, v[1:2] offset:188
	s_waitcnt vmcnt(0) lgkmcnt(0)
	v_cmpx_ne_u32_e32 48, v1
	s_cbranch_execz .LBB120_374
; %bb.373:
	v_lshl_add_u32 v9, v1, 4, 0
	s_clause 0x1
	scratch_load_b128 v[1:4], v169, off
	scratch_load_b128 v[5:8], v9, off offset:-16
	s_waitcnt vmcnt(1)
	ds_store_2addr_b64 v0, v[1:2], v[3:4] offset1:1
	s_waitcnt vmcnt(0)
	s_clause 0x1
	scratch_store_b128 v169, v[5:8], off
	scratch_store_b128 v9, v[1:4], off offset:-16
.LBB120_374:
	s_or_b32 exec_lo, exec_lo, s0
	v_dual_mov_b32 v1, s8 :: v_dual_mov_b32 v2, s9
	s_mov_b32 s0, exec_lo
	flat_load_b32 v1, v[1:2] offset:184
	s_waitcnt vmcnt(0) lgkmcnt(0)
	v_cmpx_ne_u32_e32 47, v1
	s_cbranch_execz .LBB120_376
; %bb.375:
	v_lshl_add_u32 v9, v1, 4, 0
	s_clause 0x1
	scratch_load_b128 v[1:4], v172, off
	scratch_load_b128 v[5:8], v9, off offset:-16
	s_waitcnt vmcnt(1)
	ds_store_2addr_b64 v0, v[1:2], v[3:4] offset1:1
	s_waitcnt vmcnt(0)
	s_clause 0x1
	scratch_store_b128 v172, v[5:8], off
	scratch_store_b128 v9, v[1:4], off offset:-16
.LBB120_376:
	s_or_b32 exec_lo, exec_lo, s0
	v_dual_mov_b32 v1, s8 :: v_dual_mov_b32 v2, s9
	s_mov_b32 s0, exec_lo
	flat_load_b32 v1, v[1:2] offset:180
	s_waitcnt vmcnt(0) lgkmcnt(0)
	v_cmpx_ne_u32_e32 46, v1
	s_cbranch_execz .LBB120_378
; %bb.377:
	v_lshl_add_u32 v9, v1, 4, 0
	s_clause 0x1
	scratch_load_b128 v[1:4], v234, off
	scratch_load_b128 v[5:8], v9, off offset:-16
	s_waitcnt vmcnt(1)
	ds_store_2addr_b64 v0, v[1:2], v[3:4] offset1:1
	s_waitcnt vmcnt(0)
	s_clause 0x1
	scratch_store_b128 v234, v[5:8], off
	scratch_store_b128 v9, v[1:4], off offset:-16
.LBB120_378:
	s_or_b32 exec_lo, exec_lo, s0
	v_dual_mov_b32 v1, s8 :: v_dual_mov_b32 v2, s9
	s_mov_b32 s0, exec_lo
	flat_load_b32 v1, v[1:2] offset:176
	s_waitcnt vmcnt(0) lgkmcnt(0)
	v_cmpx_ne_u32_e32 45, v1
	s_cbranch_execz .LBB120_380
; %bb.379:
	v_lshl_add_u32 v9, v1, 4, 0
	s_clause 0x1
	scratch_load_b128 v[1:4], v235, off
	scratch_load_b128 v[5:8], v9, off offset:-16
	s_waitcnt vmcnt(1)
	ds_store_2addr_b64 v0, v[1:2], v[3:4] offset1:1
	s_waitcnt vmcnt(0)
	s_clause 0x1
	scratch_store_b128 v235, v[5:8], off
	scratch_store_b128 v9, v[1:4], off offset:-16
.LBB120_380:
	s_or_b32 exec_lo, exec_lo, s0
	v_dual_mov_b32 v1, s8 :: v_dual_mov_b32 v2, s9
	s_mov_b32 s0, exec_lo
	flat_load_b32 v1, v[1:2] offset:172
	s_waitcnt vmcnt(0) lgkmcnt(0)
	v_cmpx_ne_u32_e32 44, v1
	s_cbranch_execz .LBB120_382
; %bb.381:
	v_lshl_add_u32 v9, v1, 4, 0
	s_clause 0x1
	scratch_load_b128 v[1:4], v215, off
	scratch_load_b128 v[5:8], v9, off offset:-16
	s_waitcnt vmcnt(1)
	ds_store_2addr_b64 v0, v[1:2], v[3:4] offset1:1
	s_waitcnt vmcnt(0)
	s_clause 0x1
	scratch_store_b128 v215, v[5:8], off
	scratch_store_b128 v9, v[1:4], off offset:-16
.LBB120_382:
	s_or_b32 exec_lo, exec_lo, s0
	v_dual_mov_b32 v1, s8 :: v_dual_mov_b32 v2, s9
	s_mov_b32 s0, exec_lo
	flat_load_b32 v1, v[1:2] offset:168
	s_waitcnt vmcnt(0) lgkmcnt(0)
	v_cmpx_ne_u32_e32 43, v1
	s_cbranch_execz .LBB120_384
; %bb.383:
	v_lshl_add_u32 v9, v1, 4, 0
	s_clause 0x1
	scratch_load_b128 v[1:4], v216, off
	scratch_load_b128 v[5:8], v9, off offset:-16
	s_waitcnt vmcnt(1)
	ds_store_2addr_b64 v0, v[1:2], v[3:4] offset1:1
	s_waitcnt vmcnt(0)
	s_clause 0x1
	scratch_store_b128 v216, v[5:8], off
	scratch_store_b128 v9, v[1:4], off offset:-16
.LBB120_384:
	s_or_b32 exec_lo, exec_lo, s0
	v_dual_mov_b32 v1, s8 :: v_dual_mov_b32 v2, s9
	s_mov_b32 s0, exec_lo
	flat_load_b32 v1, v[1:2] offset:164
	s_waitcnt vmcnt(0) lgkmcnt(0)
	v_cmpx_ne_u32_e32 42, v1
	s_cbranch_execz .LBB120_386
; %bb.385:
	v_lshl_add_u32 v9, v1, 4, 0
	s_clause 0x1
	scratch_load_b128 v[1:4], v217, off
	scratch_load_b128 v[5:8], v9, off offset:-16
	s_waitcnt vmcnt(1)
	ds_store_2addr_b64 v0, v[1:2], v[3:4] offset1:1
	s_waitcnt vmcnt(0)
	s_clause 0x1
	scratch_store_b128 v217, v[5:8], off
	scratch_store_b128 v9, v[1:4], off offset:-16
.LBB120_386:
	s_or_b32 exec_lo, exec_lo, s0
	v_dual_mov_b32 v1, s8 :: v_dual_mov_b32 v2, s9
	s_mov_b32 s0, exec_lo
	flat_load_b32 v1, v[1:2] offset:160
	s_waitcnt vmcnt(0) lgkmcnt(0)
	v_cmpx_ne_u32_e32 41, v1
	s_cbranch_execz .LBB120_388
; %bb.387:
	v_lshl_add_u32 v9, v1, 4, 0
	s_clause 0x1
	scratch_load_b128 v[1:4], v218, off
	scratch_load_b128 v[5:8], v9, off offset:-16
	s_waitcnt vmcnt(1)
	ds_store_2addr_b64 v0, v[1:2], v[3:4] offset1:1
	s_waitcnt vmcnt(0)
	s_clause 0x1
	scratch_store_b128 v218, v[5:8], off
	scratch_store_b128 v9, v[1:4], off offset:-16
.LBB120_388:
	s_or_b32 exec_lo, exec_lo, s0
	v_dual_mov_b32 v1, s8 :: v_dual_mov_b32 v2, s9
	s_mov_b32 s0, exec_lo
	flat_load_b32 v1, v[1:2] offset:156
	s_waitcnt vmcnt(0) lgkmcnt(0)
	v_cmpx_ne_u32_e32 40, v1
	s_cbranch_execz .LBB120_390
; %bb.389:
	v_lshl_add_u32 v9, v1, 4, 0
	s_clause 0x1
	scratch_load_b128 v[1:4], v219, off
	scratch_load_b128 v[5:8], v9, off offset:-16
	s_waitcnt vmcnt(1)
	ds_store_2addr_b64 v0, v[1:2], v[3:4] offset1:1
	s_waitcnt vmcnt(0)
	s_clause 0x1
	scratch_store_b128 v219, v[5:8], off
	scratch_store_b128 v9, v[1:4], off offset:-16
.LBB120_390:
	s_or_b32 exec_lo, exec_lo, s0
	v_dual_mov_b32 v1, s8 :: v_dual_mov_b32 v2, s9
	s_mov_b32 s0, exec_lo
	flat_load_b32 v1, v[1:2] offset:152
	s_waitcnt vmcnt(0) lgkmcnt(0)
	v_cmpx_ne_u32_e32 39, v1
	s_cbranch_execz .LBB120_392
; %bb.391:
	v_lshl_add_u32 v9, v1, 4, 0
	s_clause 0x1
	scratch_load_b128 v[1:4], v220, off
	scratch_load_b128 v[5:8], v9, off offset:-16
	s_waitcnt vmcnt(1)
	ds_store_2addr_b64 v0, v[1:2], v[3:4] offset1:1
	s_waitcnt vmcnt(0)
	s_clause 0x1
	scratch_store_b128 v220, v[5:8], off
	scratch_store_b128 v9, v[1:4], off offset:-16
.LBB120_392:
	s_or_b32 exec_lo, exec_lo, s0
	v_dual_mov_b32 v1, s8 :: v_dual_mov_b32 v2, s9
	s_mov_b32 s0, exec_lo
	flat_load_b32 v1, v[1:2] offset:148
	s_waitcnt vmcnt(0) lgkmcnt(0)
	v_cmpx_ne_u32_e32 38, v1
	s_cbranch_execz .LBB120_394
; %bb.393:
	v_lshl_add_u32 v9, v1, 4, 0
	s_clause 0x1
	scratch_load_b128 v[1:4], v221, off
	scratch_load_b128 v[5:8], v9, off offset:-16
	s_waitcnt vmcnt(1)
	ds_store_2addr_b64 v0, v[1:2], v[3:4] offset1:1
	s_waitcnt vmcnt(0)
	s_clause 0x1
	scratch_store_b128 v221, v[5:8], off
	scratch_store_b128 v9, v[1:4], off offset:-16
.LBB120_394:
	s_or_b32 exec_lo, exec_lo, s0
	v_dual_mov_b32 v1, s8 :: v_dual_mov_b32 v2, s9
	s_mov_b32 s0, exec_lo
	flat_load_b32 v1, v[1:2] offset:144
	s_waitcnt vmcnt(0) lgkmcnt(0)
	v_cmpx_ne_u32_e32 37, v1
	s_cbranch_execz .LBB120_396
; %bb.395:
	v_lshl_add_u32 v9, v1, 4, 0
	s_clause 0x1
	scratch_load_b128 v[1:4], v222, off
	scratch_load_b128 v[5:8], v9, off offset:-16
	s_waitcnt vmcnt(1)
	ds_store_2addr_b64 v0, v[1:2], v[3:4] offset1:1
	s_waitcnt vmcnt(0)
	s_clause 0x1
	scratch_store_b128 v222, v[5:8], off
	scratch_store_b128 v9, v[1:4], off offset:-16
.LBB120_396:
	s_or_b32 exec_lo, exec_lo, s0
	v_dual_mov_b32 v1, s8 :: v_dual_mov_b32 v2, s9
	s_mov_b32 s0, exec_lo
	flat_load_b32 v1, v[1:2] offset:140
	s_waitcnt vmcnt(0) lgkmcnt(0)
	v_cmpx_ne_u32_e32 36, v1
	s_cbranch_execz .LBB120_398
; %bb.397:
	v_lshl_add_u32 v9, v1, 4, 0
	s_clause 0x1
	scratch_load_b128 v[1:4], v223, off
	scratch_load_b128 v[5:8], v9, off offset:-16
	s_waitcnt vmcnt(1)
	ds_store_2addr_b64 v0, v[1:2], v[3:4] offset1:1
	s_waitcnt vmcnt(0)
	s_clause 0x1
	scratch_store_b128 v223, v[5:8], off
	scratch_store_b128 v9, v[1:4], off offset:-16
.LBB120_398:
	s_or_b32 exec_lo, exec_lo, s0
	v_dual_mov_b32 v1, s8 :: v_dual_mov_b32 v2, s9
	s_mov_b32 s0, exec_lo
	flat_load_b32 v1, v[1:2] offset:136
	s_waitcnt vmcnt(0) lgkmcnt(0)
	v_cmpx_ne_u32_e32 35, v1
	s_cbranch_execz .LBB120_400
; %bb.399:
	v_lshl_add_u32 v9, v1, 4, 0
	s_clause 0x1
	scratch_load_b128 v[1:4], v224, off
	scratch_load_b128 v[5:8], v9, off offset:-16
	s_waitcnt vmcnt(1)
	ds_store_2addr_b64 v0, v[1:2], v[3:4] offset1:1
	s_waitcnt vmcnt(0)
	s_clause 0x1
	scratch_store_b128 v224, v[5:8], off
	scratch_store_b128 v9, v[1:4], off offset:-16
.LBB120_400:
	s_or_b32 exec_lo, exec_lo, s0
	v_dual_mov_b32 v1, s8 :: v_dual_mov_b32 v2, s9
	s_mov_b32 s0, exec_lo
	flat_load_b32 v1, v[1:2] offset:132
	s_waitcnt vmcnt(0) lgkmcnt(0)
	v_cmpx_ne_u32_e32 34, v1
	s_cbranch_execz .LBB120_402
; %bb.401:
	v_lshl_add_u32 v9, v1, 4, 0
	s_clause 0x1
	scratch_load_b128 v[1:4], v225, off
	scratch_load_b128 v[5:8], v9, off offset:-16
	s_waitcnt vmcnt(1)
	ds_store_2addr_b64 v0, v[1:2], v[3:4] offset1:1
	s_waitcnt vmcnt(0)
	s_clause 0x1
	scratch_store_b128 v225, v[5:8], off
	scratch_store_b128 v9, v[1:4], off offset:-16
.LBB120_402:
	s_or_b32 exec_lo, exec_lo, s0
	v_dual_mov_b32 v1, s8 :: v_dual_mov_b32 v2, s9
	s_mov_b32 s0, exec_lo
	flat_load_b32 v1, v[1:2] offset:128
	s_waitcnt vmcnt(0) lgkmcnt(0)
	v_cmpx_ne_u32_e32 33, v1
	s_cbranch_execz .LBB120_404
; %bb.403:
	v_lshl_add_u32 v9, v1, 4, 0
	s_clause 0x1
	scratch_load_b128 v[1:4], v226, off
	scratch_load_b128 v[5:8], v9, off offset:-16
	s_waitcnt vmcnt(1)
	ds_store_2addr_b64 v0, v[1:2], v[3:4] offset1:1
	s_waitcnt vmcnt(0)
	s_clause 0x1
	scratch_store_b128 v226, v[5:8], off
	scratch_store_b128 v9, v[1:4], off offset:-16
.LBB120_404:
	s_or_b32 exec_lo, exec_lo, s0
	v_dual_mov_b32 v1, s8 :: v_dual_mov_b32 v2, s9
	s_mov_b32 s0, exec_lo
	flat_load_b32 v1, v[1:2] offset:124
	s_waitcnt vmcnt(0) lgkmcnt(0)
	v_cmpx_ne_u32_e32 32, v1
	s_cbranch_execz .LBB120_406
; %bb.405:
	v_lshl_add_u32 v9, v1, 4, 0
	s_clause 0x1
	scratch_load_b128 v[1:4], v227, off
	scratch_load_b128 v[5:8], v9, off offset:-16
	s_waitcnt vmcnt(1)
	ds_store_2addr_b64 v0, v[1:2], v[3:4] offset1:1
	s_waitcnt vmcnt(0)
	s_clause 0x1
	scratch_store_b128 v227, v[5:8], off
	scratch_store_b128 v9, v[1:4], off offset:-16
.LBB120_406:
	s_or_b32 exec_lo, exec_lo, s0
	v_dual_mov_b32 v1, s8 :: v_dual_mov_b32 v2, s9
	s_mov_b32 s0, exec_lo
	flat_load_b32 v1, v[1:2] offset:120
	s_waitcnt vmcnt(0) lgkmcnt(0)
	v_cmpx_ne_u32_e32 31, v1
	s_cbranch_execz .LBB120_408
; %bb.407:
	v_lshl_add_u32 v9, v1, 4, 0
	s_clause 0x1
	scratch_load_b128 v[1:4], v228, off
	scratch_load_b128 v[5:8], v9, off offset:-16
	s_waitcnt vmcnt(1)
	ds_store_2addr_b64 v0, v[1:2], v[3:4] offset1:1
	s_waitcnt vmcnt(0)
	s_clause 0x1
	scratch_store_b128 v228, v[5:8], off
	scratch_store_b128 v9, v[1:4], off offset:-16
.LBB120_408:
	s_or_b32 exec_lo, exec_lo, s0
	v_dual_mov_b32 v1, s8 :: v_dual_mov_b32 v2, s9
	s_mov_b32 s0, exec_lo
	flat_load_b32 v1, v[1:2] offset:116
	s_waitcnt vmcnt(0) lgkmcnt(0)
	v_cmpx_ne_u32_e32 30, v1
	s_cbranch_execz .LBB120_410
; %bb.409:
	v_lshl_add_u32 v9, v1, 4, 0
	s_clause 0x1
	scratch_load_b128 v[1:4], v229, off
	scratch_load_b128 v[5:8], v9, off offset:-16
	s_waitcnt vmcnt(1)
	ds_store_2addr_b64 v0, v[1:2], v[3:4] offset1:1
	s_waitcnt vmcnt(0)
	s_clause 0x1
	scratch_store_b128 v229, v[5:8], off
	scratch_store_b128 v9, v[1:4], off offset:-16
.LBB120_410:
	s_or_b32 exec_lo, exec_lo, s0
	v_dual_mov_b32 v1, s8 :: v_dual_mov_b32 v2, s9
	s_mov_b32 s0, exec_lo
	flat_load_b32 v1, v[1:2] offset:112
	s_waitcnt vmcnt(0) lgkmcnt(0)
	v_cmpx_ne_u32_e32 29, v1
	s_cbranch_execz .LBB120_412
; %bb.411:
	v_lshl_add_u32 v9, v1, 4, 0
	s_clause 0x1
	scratch_load_b128 v[1:4], v230, off
	scratch_load_b128 v[5:8], v9, off offset:-16
	s_waitcnt vmcnt(1)
	ds_store_2addr_b64 v0, v[1:2], v[3:4] offset1:1
	s_waitcnt vmcnt(0)
	s_clause 0x1
	scratch_store_b128 v230, v[5:8], off
	scratch_store_b128 v9, v[1:4], off offset:-16
.LBB120_412:
	s_or_b32 exec_lo, exec_lo, s0
	v_dual_mov_b32 v1, s8 :: v_dual_mov_b32 v2, s9
	s_mov_b32 s0, exec_lo
	flat_load_b32 v1, v[1:2] offset:108
	s_waitcnt vmcnt(0) lgkmcnt(0)
	v_cmpx_ne_u32_e32 28, v1
	s_cbranch_execz .LBB120_414
; %bb.413:
	v_lshl_add_u32 v9, v1, 4, 0
	s_clause 0x1
	scratch_load_b128 v[1:4], v231, off
	scratch_load_b128 v[5:8], v9, off offset:-16
	s_waitcnt vmcnt(1)
	ds_store_2addr_b64 v0, v[1:2], v[3:4] offset1:1
	s_waitcnt vmcnt(0)
	s_clause 0x1
	scratch_store_b128 v231, v[5:8], off
	scratch_store_b128 v9, v[1:4], off offset:-16
.LBB120_414:
	s_or_b32 exec_lo, exec_lo, s0
	v_dual_mov_b32 v1, s8 :: v_dual_mov_b32 v2, s9
	s_mov_b32 s0, exec_lo
	flat_load_b32 v1, v[1:2] offset:104
	s_waitcnt vmcnt(0) lgkmcnt(0)
	v_cmpx_ne_u32_e32 27, v1
	s_cbranch_execz .LBB120_416
; %bb.415:
	v_lshl_add_u32 v9, v1, 4, 0
	s_clause 0x1
	scratch_load_b128 v[1:4], v232, off
	scratch_load_b128 v[5:8], v9, off offset:-16
	s_waitcnt vmcnt(1)
	ds_store_2addr_b64 v0, v[1:2], v[3:4] offset1:1
	s_waitcnt vmcnt(0)
	s_clause 0x1
	scratch_store_b128 v232, v[5:8], off
	scratch_store_b128 v9, v[1:4], off offset:-16
.LBB120_416:
	s_or_b32 exec_lo, exec_lo, s0
	v_dual_mov_b32 v1, s8 :: v_dual_mov_b32 v2, s9
	s_mov_b32 s0, exec_lo
	flat_load_b32 v1, v[1:2] offset:100
	s_waitcnt vmcnt(0) lgkmcnt(0)
	v_cmpx_ne_u32_e32 26, v1
	s_cbranch_execz .LBB120_418
; %bb.417:
	v_lshl_add_u32 v9, v1, 4, 0
	s_clause 0x1
	scratch_load_b128 v[1:4], v233, off
	scratch_load_b128 v[5:8], v9, off offset:-16
	s_waitcnt vmcnt(1)
	ds_store_2addr_b64 v0, v[1:2], v[3:4] offset1:1
	s_waitcnt vmcnt(0)
	s_clause 0x1
	scratch_store_b128 v233, v[5:8], off
	scratch_store_b128 v9, v[1:4], off offset:-16
.LBB120_418:
	s_or_b32 exec_lo, exec_lo, s0
	v_dual_mov_b32 v1, s8 :: v_dual_mov_b32 v2, s9
	s_mov_b32 s0, exec_lo
	flat_load_b32 v1, v[1:2] offset:96
	s_waitcnt vmcnt(0) lgkmcnt(0)
	v_cmpx_ne_u32_e32 25, v1
	s_cbranch_execz .LBB120_420
; %bb.419:
	v_lshl_add_u32 v9, v1, 4, 0
	s_clause 0x1
	scratch_load_b128 v[1:4], v253, off
	scratch_load_b128 v[5:8], v9, off offset:-16
	s_waitcnt vmcnt(1)
	ds_store_2addr_b64 v0, v[1:2], v[3:4] offset1:1
	s_waitcnt vmcnt(0)
	s_clause 0x1
	scratch_store_b128 v253, v[5:8], off
	scratch_store_b128 v9, v[1:4], off offset:-16
.LBB120_420:
	s_or_b32 exec_lo, exec_lo, s0
	v_dual_mov_b32 v1, s8 :: v_dual_mov_b32 v2, s9
	s_mov_b32 s0, exec_lo
	flat_load_b32 v1, v[1:2] offset:92
	s_waitcnt vmcnt(0) lgkmcnt(0)
	v_cmpx_ne_u32_e32 24, v1
	s_cbranch_execz .LBB120_422
; %bb.421:
	v_lshl_add_u32 v9, v1, 4, 0
	s_clause 0x1
	scratch_load_b128 v[1:4], v254, off
	scratch_load_b128 v[5:8], v9, off offset:-16
	s_waitcnt vmcnt(1)
	ds_store_2addr_b64 v0, v[1:2], v[3:4] offset1:1
	s_waitcnt vmcnt(0)
	s_clause 0x1
	scratch_store_b128 v254, v[5:8], off
	scratch_store_b128 v9, v[1:4], off offset:-16
.LBB120_422:
	s_or_b32 exec_lo, exec_lo, s0
	v_dual_mov_b32 v1, s8 :: v_dual_mov_b32 v2, s9
	s_mov_b32 s0, exec_lo
	flat_load_b32 v1, v[1:2] offset:88
	s_waitcnt vmcnt(0) lgkmcnt(0)
	v_cmpx_ne_u32_e32 23, v1
	s_cbranch_execz .LBB120_424
; %bb.423:
	v_lshl_add_u32 v9, v1, 4, 0
	s_clause 0x1
	scratch_load_b128 v[1:4], v255, off
	scratch_load_b128 v[5:8], v9, off offset:-16
	s_waitcnt vmcnt(1)
	ds_store_2addr_b64 v0, v[1:2], v[3:4] offset1:1
	s_waitcnt vmcnt(0)
	s_clause 0x1
	scratch_store_b128 v255, v[5:8], off
	scratch_store_b128 v9, v[1:4], off offset:-16
.LBB120_424:
	s_or_b32 exec_lo, exec_lo, s0
	v_dual_mov_b32 v1, s8 :: v_dual_mov_b32 v2, s9
	s_mov_b32 s0, exec_lo
	flat_load_b32 v1, v[1:2] offset:84
	s_waitcnt vmcnt(0) lgkmcnt(0)
	v_cmpx_ne_u32_e32 22, v1
	s_cbranch_execz .LBB120_426
; %bb.425:
	v_lshl_add_u32 v9, v1, 4, 0
	s_clause 0x1
	scratch_load_b128 v[1:4], v161, off
	scratch_load_b128 v[5:8], v9, off offset:-16
	s_waitcnt vmcnt(1)
	ds_store_2addr_b64 v0, v[1:2], v[3:4] offset1:1
	s_waitcnt vmcnt(0)
	s_clause 0x1
	scratch_store_b128 v161, v[5:8], off
	scratch_store_b128 v9, v[1:4], off offset:-16
.LBB120_426:
	s_or_b32 exec_lo, exec_lo, s0
	v_dual_mov_b32 v1, s8 :: v_dual_mov_b32 v2, s9
	s_mov_b32 s0, exec_lo
	flat_load_b32 v1, v[1:2] offset:80
	s_waitcnt vmcnt(0) lgkmcnt(0)
	v_cmpx_ne_u32_e32 21, v1
	s_cbranch_execz .LBB120_428
; %bb.427:
	v_lshl_add_u32 v9, v1, 4, 0
	s_clause 0x1
	scratch_load_b128 v[1:4], v214, off
	scratch_load_b128 v[5:8], v9, off offset:-16
	s_waitcnt vmcnt(1)
	ds_store_2addr_b64 v0, v[1:2], v[3:4] offset1:1
	s_waitcnt vmcnt(0)
	s_clause 0x1
	scratch_store_b128 v214, v[5:8], off
	scratch_store_b128 v9, v[1:4], off offset:-16
.LBB120_428:
	s_or_b32 exec_lo, exec_lo, s0
	v_dual_mov_b32 v1, s8 :: v_dual_mov_b32 v2, s9
	s_mov_b32 s0, exec_lo
	flat_load_b32 v1, v[1:2] offset:76
	s_waitcnt vmcnt(0) lgkmcnt(0)
	v_cmpx_ne_u32_e32 20, v1
	s_cbranch_execz .LBB120_430
; %bb.429:
	v_lshl_add_u32 v9, v1, 4, 0
	s_clause 0x1
	scratch_load_b128 v[1:4], v194, off
	scratch_load_b128 v[5:8], v9, off offset:-16
	s_waitcnt vmcnt(1)
	ds_store_2addr_b64 v0, v[1:2], v[3:4] offset1:1
	s_waitcnt vmcnt(0)
	s_clause 0x1
	scratch_store_b128 v194, v[5:8], off
	scratch_store_b128 v9, v[1:4], off offset:-16
.LBB120_430:
	s_or_b32 exec_lo, exec_lo, s0
	v_dual_mov_b32 v1, s8 :: v_dual_mov_b32 v2, s9
	s_mov_b32 s0, exec_lo
	flat_load_b32 v1, v[1:2] offset:72
	s_waitcnt vmcnt(0) lgkmcnt(0)
	v_cmpx_ne_u32_e32 19, v1
	s_cbranch_execz .LBB120_432
; %bb.431:
	v_lshl_add_u32 v9, v1, 4, 0
	s_clause 0x1
	scratch_load_b128 v[1:4], v195, off
	scratch_load_b128 v[5:8], v9, off offset:-16
	s_waitcnt vmcnt(1)
	ds_store_2addr_b64 v0, v[1:2], v[3:4] offset1:1
	s_waitcnt vmcnt(0)
	s_clause 0x1
	scratch_store_b128 v195, v[5:8], off
	scratch_store_b128 v9, v[1:4], off offset:-16
.LBB120_432:
	s_or_b32 exec_lo, exec_lo, s0
	v_dual_mov_b32 v1, s8 :: v_dual_mov_b32 v2, s9
	s_mov_b32 s0, exec_lo
	flat_load_b32 v1, v[1:2] offset:68
	s_waitcnt vmcnt(0) lgkmcnt(0)
	v_cmpx_ne_u32_e32 18, v1
	s_cbranch_execz .LBB120_434
; %bb.433:
	v_lshl_add_u32 v9, v1, 4, 0
	s_clause 0x1
	scratch_load_b128 v[1:4], v196, off
	scratch_load_b128 v[5:8], v9, off offset:-16
	s_waitcnt vmcnt(1)
	ds_store_2addr_b64 v0, v[1:2], v[3:4] offset1:1
	s_waitcnt vmcnt(0)
	s_clause 0x1
	scratch_store_b128 v196, v[5:8], off
	scratch_store_b128 v9, v[1:4], off offset:-16
.LBB120_434:
	s_or_b32 exec_lo, exec_lo, s0
	v_dual_mov_b32 v1, s8 :: v_dual_mov_b32 v2, s9
	s_mov_b32 s0, exec_lo
	flat_load_b32 v1, v[1:2] offset:64
	s_waitcnt vmcnt(0) lgkmcnt(0)
	v_cmpx_ne_u32_e32 17, v1
	s_cbranch_execz .LBB120_436
; %bb.435:
	v_lshl_add_u32 v9, v1, 4, 0
	s_clause 0x1
	scratch_load_b128 v[1:4], v197, off
	scratch_load_b128 v[5:8], v9, off offset:-16
	s_waitcnt vmcnt(1)
	ds_store_2addr_b64 v0, v[1:2], v[3:4] offset1:1
	s_waitcnt vmcnt(0)
	s_clause 0x1
	scratch_store_b128 v197, v[5:8], off
	scratch_store_b128 v9, v[1:4], off offset:-16
.LBB120_436:
	s_or_b32 exec_lo, exec_lo, s0
	v_dual_mov_b32 v1, s8 :: v_dual_mov_b32 v2, s9
	s_mov_b32 s0, exec_lo
	flat_load_b32 v1, v[1:2] offset:60
	s_waitcnt vmcnt(0) lgkmcnt(0)
	v_cmpx_ne_u32_e32 16, v1
	s_cbranch_execz .LBB120_438
; %bb.437:
	v_lshl_add_u32 v9, v1, 4, 0
	s_clause 0x1
	scratch_load_b128 v[1:4], v198, off
	scratch_load_b128 v[5:8], v9, off offset:-16
	s_waitcnt vmcnt(1)
	ds_store_2addr_b64 v0, v[1:2], v[3:4] offset1:1
	s_waitcnt vmcnt(0)
	s_clause 0x1
	scratch_store_b128 v198, v[5:8], off
	scratch_store_b128 v9, v[1:4], off offset:-16
.LBB120_438:
	s_or_b32 exec_lo, exec_lo, s0
	v_dual_mov_b32 v1, s8 :: v_dual_mov_b32 v2, s9
	s_mov_b32 s0, exec_lo
	flat_load_b32 v1, v[1:2] offset:56
	s_waitcnt vmcnt(0) lgkmcnt(0)
	v_cmpx_ne_u32_e32 15, v1
	s_cbranch_execz .LBB120_440
; %bb.439:
	v_lshl_add_u32 v9, v1, 4, 0
	s_clause 0x1
	scratch_load_b128 v[1:4], v199, off
	scratch_load_b128 v[5:8], v9, off offset:-16
	s_waitcnt vmcnt(1)
	ds_store_2addr_b64 v0, v[1:2], v[3:4] offset1:1
	s_waitcnt vmcnt(0)
	s_clause 0x1
	scratch_store_b128 v199, v[5:8], off
	scratch_store_b128 v9, v[1:4], off offset:-16
.LBB120_440:
	s_or_b32 exec_lo, exec_lo, s0
	v_dual_mov_b32 v1, s8 :: v_dual_mov_b32 v2, s9
	s_mov_b32 s0, exec_lo
	flat_load_b32 v1, v[1:2] offset:52
	s_waitcnt vmcnt(0) lgkmcnt(0)
	v_cmpx_ne_u32_e32 14, v1
	s_cbranch_execz .LBB120_442
; %bb.441:
	v_lshl_add_u32 v9, v1, 4, 0
	s_clause 0x1
	scratch_load_b128 v[1:4], v200, off
	scratch_load_b128 v[5:8], v9, off offset:-16
	s_waitcnt vmcnt(1)
	ds_store_2addr_b64 v0, v[1:2], v[3:4] offset1:1
	s_waitcnt vmcnt(0)
	s_clause 0x1
	scratch_store_b128 v200, v[5:8], off
	scratch_store_b128 v9, v[1:4], off offset:-16
.LBB120_442:
	s_or_b32 exec_lo, exec_lo, s0
	v_dual_mov_b32 v1, s8 :: v_dual_mov_b32 v2, s9
	s_mov_b32 s0, exec_lo
	flat_load_b32 v1, v[1:2] offset:48
	s_waitcnt vmcnt(0) lgkmcnt(0)
	v_cmpx_ne_u32_e32 13, v1
	s_cbranch_execz .LBB120_444
; %bb.443:
	v_lshl_add_u32 v9, v1, 4, 0
	s_clause 0x1
	scratch_load_b128 v[1:4], v201, off
	scratch_load_b128 v[5:8], v9, off offset:-16
	s_waitcnt vmcnt(1)
	ds_store_2addr_b64 v0, v[1:2], v[3:4] offset1:1
	s_waitcnt vmcnt(0)
	s_clause 0x1
	scratch_store_b128 v201, v[5:8], off
	scratch_store_b128 v9, v[1:4], off offset:-16
.LBB120_444:
	s_or_b32 exec_lo, exec_lo, s0
	v_dual_mov_b32 v1, s8 :: v_dual_mov_b32 v2, s9
	s_mov_b32 s0, exec_lo
	flat_load_b32 v1, v[1:2] offset:44
	s_waitcnt vmcnt(0) lgkmcnt(0)
	v_cmpx_ne_u32_e32 12, v1
	s_cbranch_execz .LBB120_446
; %bb.445:
	v_lshl_add_u32 v9, v1, 4, 0
	s_clause 0x1
	scratch_load_b128 v[1:4], v202, off
	scratch_load_b128 v[5:8], v9, off offset:-16
	s_waitcnt vmcnt(1)
	ds_store_2addr_b64 v0, v[1:2], v[3:4] offset1:1
	s_waitcnt vmcnt(0)
	s_clause 0x1
	scratch_store_b128 v202, v[5:8], off
	scratch_store_b128 v9, v[1:4], off offset:-16
.LBB120_446:
	s_or_b32 exec_lo, exec_lo, s0
	v_dual_mov_b32 v1, s8 :: v_dual_mov_b32 v2, s9
	s_mov_b32 s0, exec_lo
	flat_load_b32 v1, v[1:2] offset:40
	s_waitcnt vmcnt(0) lgkmcnt(0)
	v_cmpx_ne_u32_e32 11, v1
	s_cbranch_execz .LBB120_448
; %bb.447:
	v_lshl_add_u32 v9, v1, 4, 0
	s_clause 0x1
	scratch_load_b128 v[1:4], v203, off
	scratch_load_b128 v[5:8], v9, off offset:-16
	s_waitcnt vmcnt(1)
	ds_store_2addr_b64 v0, v[1:2], v[3:4] offset1:1
	s_waitcnt vmcnt(0)
	s_clause 0x1
	scratch_store_b128 v203, v[5:8], off
	scratch_store_b128 v9, v[1:4], off offset:-16
.LBB120_448:
	s_or_b32 exec_lo, exec_lo, s0
	v_dual_mov_b32 v1, s8 :: v_dual_mov_b32 v2, s9
	s_mov_b32 s0, exec_lo
	flat_load_b32 v1, v[1:2] offset:36
	s_waitcnt vmcnt(0) lgkmcnt(0)
	v_cmpx_ne_u32_e32 10, v1
	s_cbranch_execz .LBB120_450
; %bb.449:
	v_lshl_add_u32 v9, v1, 4, 0
	s_clause 0x1
	scratch_load_b128 v[1:4], v204, off
	scratch_load_b128 v[5:8], v9, off offset:-16
	s_waitcnt vmcnt(1)
	ds_store_2addr_b64 v0, v[1:2], v[3:4] offset1:1
	s_waitcnt vmcnt(0)
	s_clause 0x1
	scratch_store_b128 v204, v[5:8], off
	scratch_store_b128 v9, v[1:4], off offset:-16
.LBB120_450:
	s_or_b32 exec_lo, exec_lo, s0
	v_dual_mov_b32 v1, s8 :: v_dual_mov_b32 v2, s9
	s_mov_b32 s0, exec_lo
	flat_load_b32 v1, v[1:2] offset:32
	s_waitcnt vmcnt(0) lgkmcnt(0)
	v_cmpx_ne_u32_e32 9, v1
	s_cbranch_execz .LBB120_452
; %bb.451:
	v_lshl_add_u32 v9, v1, 4, 0
	s_clause 0x1
	scratch_load_b128 v[1:4], v205, off
	scratch_load_b128 v[5:8], v9, off offset:-16
	s_waitcnt vmcnt(1)
	ds_store_2addr_b64 v0, v[1:2], v[3:4] offset1:1
	s_waitcnt vmcnt(0)
	s_clause 0x1
	scratch_store_b128 v205, v[5:8], off
	scratch_store_b128 v9, v[1:4], off offset:-16
.LBB120_452:
	s_or_b32 exec_lo, exec_lo, s0
	v_dual_mov_b32 v1, s8 :: v_dual_mov_b32 v2, s9
	s_mov_b32 s0, exec_lo
	flat_load_b32 v1, v[1:2] offset:28
	s_waitcnt vmcnt(0) lgkmcnt(0)
	v_cmpx_ne_u32_e32 8, v1
	s_cbranch_execz .LBB120_454
; %bb.453:
	v_lshl_add_u32 v9, v1, 4, 0
	s_clause 0x1
	scratch_load_b128 v[1:4], v206, off
	scratch_load_b128 v[5:8], v9, off offset:-16
	s_waitcnt vmcnt(1)
	ds_store_2addr_b64 v0, v[1:2], v[3:4] offset1:1
	s_waitcnt vmcnt(0)
	s_clause 0x1
	scratch_store_b128 v206, v[5:8], off
	scratch_store_b128 v9, v[1:4], off offset:-16
.LBB120_454:
	s_or_b32 exec_lo, exec_lo, s0
	v_dual_mov_b32 v1, s8 :: v_dual_mov_b32 v2, s9
	s_mov_b32 s0, exec_lo
	flat_load_b32 v1, v[1:2] offset:24
	s_waitcnt vmcnt(0) lgkmcnt(0)
	v_cmpx_ne_u32_e32 7, v1
	s_cbranch_execz .LBB120_456
; %bb.455:
	v_lshl_add_u32 v9, v1, 4, 0
	s_clause 0x1
	scratch_load_b128 v[1:4], v207, off
	scratch_load_b128 v[5:8], v9, off offset:-16
	s_waitcnt vmcnt(1)
	ds_store_2addr_b64 v0, v[1:2], v[3:4] offset1:1
	s_waitcnt vmcnt(0)
	s_clause 0x1
	scratch_store_b128 v207, v[5:8], off
	scratch_store_b128 v9, v[1:4], off offset:-16
.LBB120_456:
	s_or_b32 exec_lo, exec_lo, s0
	v_dual_mov_b32 v1, s8 :: v_dual_mov_b32 v2, s9
	s_mov_b32 s0, exec_lo
	flat_load_b32 v1, v[1:2] offset:20
	s_waitcnt vmcnt(0) lgkmcnt(0)
	v_cmpx_ne_u32_e32 6, v1
	s_cbranch_execz .LBB120_458
; %bb.457:
	v_lshl_add_u32 v9, v1, 4, 0
	s_clause 0x1
	scratch_load_b128 v[1:4], v208, off
	scratch_load_b128 v[5:8], v9, off offset:-16
	s_waitcnt vmcnt(1)
	ds_store_2addr_b64 v0, v[1:2], v[3:4] offset1:1
	s_waitcnt vmcnt(0)
	s_clause 0x1
	scratch_store_b128 v208, v[5:8], off
	scratch_store_b128 v9, v[1:4], off offset:-16
.LBB120_458:
	s_or_b32 exec_lo, exec_lo, s0
	v_dual_mov_b32 v1, s8 :: v_dual_mov_b32 v2, s9
	s_mov_b32 s0, exec_lo
	flat_load_b32 v1, v[1:2] offset:16
	s_waitcnt vmcnt(0) lgkmcnt(0)
	v_cmpx_ne_u32_e32 5, v1
	s_cbranch_execz .LBB120_460
; %bb.459:
	v_lshl_add_u32 v9, v1, 4, 0
	s_clause 0x1
	scratch_load_b128 v[1:4], v209, off
	scratch_load_b128 v[5:8], v9, off offset:-16
	s_waitcnt vmcnt(1)
	ds_store_2addr_b64 v0, v[1:2], v[3:4] offset1:1
	s_waitcnt vmcnt(0)
	s_clause 0x1
	scratch_store_b128 v209, v[5:8], off
	scratch_store_b128 v9, v[1:4], off offset:-16
.LBB120_460:
	s_or_b32 exec_lo, exec_lo, s0
	v_dual_mov_b32 v1, s8 :: v_dual_mov_b32 v2, s9
	s_mov_b32 s0, exec_lo
	flat_load_b32 v1, v[1:2] offset:12
	s_waitcnt vmcnt(0) lgkmcnt(0)
	v_cmpx_ne_u32_e32 4, v1
	s_cbranch_execz .LBB120_462
; %bb.461:
	v_lshl_add_u32 v9, v1, 4, 0
	s_clause 0x1
	scratch_load_b128 v[1:4], v210, off
	scratch_load_b128 v[5:8], v9, off offset:-16
	s_waitcnt vmcnt(1)
	ds_store_2addr_b64 v0, v[1:2], v[3:4] offset1:1
	s_waitcnt vmcnt(0)
	s_clause 0x1
	scratch_store_b128 v210, v[5:8], off
	scratch_store_b128 v9, v[1:4], off offset:-16
.LBB120_462:
	s_or_b32 exec_lo, exec_lo, s0
	v_dual_mov_b32 v1, s8 :: v_dual_mov_b32 v2, s9
	s_mov_b32 s0, exec_lo
	flat_load_b32 v1, v[1:2] offset:8
	s_waitcnt vmcnt(0) lgkmcnt(0)
	v_cmpx_ne_u32_e32 3, v1
	s_cbranch_execz .LBB120_464
; %bb.463:
	v_lshl_add_u32 v9, v1, 4, 0
	s_clause 0x1
	scratch_load_b128 v[1:4], v211, off
	scratch_load_b128 v[5:8], v9, off offset:-16
	s_waitcnt vmcnt(1)
	ds_store_2addr_b64 v0, v[1:2], v[3:4] offset1:1
	s_waitcnt vmcnt(0)
	s_clause 0x1
	scratch_store_b128 v211, v[5:8], off
	scratch_store_b128 v9, v[1:4], off offset:-16
.LBB120_464:
	s_or_b32 exec_lo, exec_lo, s0
	v_dual_mov_b32 v1, s8 :: v_dual_mov_b32 v2, s9
	s_mov_b32 s0, exec_lo
	flat_load_b32 v1, v[1:2] offset:4
	s_waitcnt vmcnt(0) lgkmcnt(0)
	v_cmpx_ne_u32_e32 2, v1
	s_cbranch_execz .LBB120_466
; %bb.465:
	v_lshl_add_u32 v9, v1, 4, 0
	s_clause 0x1
	scratch_load_b128 v[1:4], v212, off
	scratch_load_b128 v[5:8], v9, off offset:-16
	s_waitcnt vmcnt(1)
	ds_store_2addr_b64 v0, v[1:2], v[3:4] offset1:1
	s_waitcnt vmcnt(0)
	s_clause 0x1
	scratch_store_b128 v212, v[5:8], off
	scratch_store_b128 v9, v[1:4], off offset:-16
.LBB120_466:
	s_or_b32 exec_lo, exec_lo, s0
	v_dual_mov_b32 v1, s8 :: v_dual_mov_b32 v2, s9
	s_mov_b32 s0, exec_lo
	flat_load_b32 v1, v[1:2]
	s_waitcnt vmcnt(0) lgkmcnt(0)
	v_cmpx_ne_u32_e32 1, v1
	s_cbranch_execz .LBB120_468
; %bb.467:
	v_lshl_add_u32 v9, v1, 4, 0
	scratch_load_b128 v[1:4], off, off
	scratch_load_b128 v[5:8], v9, off offset:-16
	s_waitcnt vmcnt(1)
	ds_store_2addr_b64 v0, v[1:2], v[3:4] offset1:1
	s_waitcnt vmcnt(0)
	scratch_store_b128 off, v[5:8], off
	scratch_store_b128 v9, v[1:4], off offset:-16
.LBB120_468:
	s_or_b32 exec_lo, exec_lo, s0
.LBB120_469:
	scratch_load_b128 v[0:3], off, off
	s_clause 0x13
	scratch_load_b128 v[4:7], v212, off
	scratch_load_b128 v[8:11], v211, off
	;; [unrolled: 1-line block ×20, first 2 shown]
	s_waitcnt vmcnt(20)
	global_store_b128 v[42:43], v[0:3], off
	s_clause 0x1
	scratch_load_b128 v[0:3], v161, off
	scratch_load_b128 v[40:43], v255, off
	s_waitcnt vmcnt(21)
	global_store_b128 v[44:45], v[4:7], off
	s_clause 0x1
	scratch_load_b128 v[4:7], v254, off
	scratch_load_b128 v[240:243], v253, off
	;; [unrolled: 5-line block ×18, first 2 shown]
	s_waitcnt vmcnt(38)
	global_store_b128 v[78:79], v[210:213], off
	s_waitcnt vmcnt(37)
	global_store_b128 v[80:81], v[193:196], off
	;; [unrolled: 2-line block ×39, first 2 shown]
	s_endpgm
	.section	.rodata,"a",@progbits
	.p2align	6, 0x0
	.amdhsa_kernel _ZN9rocsolver6v33100L18getri_kernel_smallILi57E19rocblas_complex_numIdEPKPS3_EEvT1_iilPiilS8_bb
		.amdhsa_group_segment_fixed_size 2856
		.amdhsa_private_segment_fixed_size 928
		.amdhsa_kernarg_size 60
		.amdhsa_user_sgpr_count 15
		.amdhsa_user_sgpr_dispatch_ptr 1
		.amdhsa_user_sgpr_queue_ptr 0
		.amdhsa_user_sgpr_kernarg_segment_ptr 1
		.amdhsa_user_sgpr_dispatch_id 0
		.amdhsa_user_sgpr_private_segment_size 0
		.amdhsa_wavefront_size32 1
		.amdhsa_uses_dynamic_stack 0
		.amdhsa_enable_private_segment 1
		.amdhsa_system_sgpr_workgroup_id_x 1
		.amdhsa_system_sgpr_workgroup_id_y 0
		.amdhsa_system_sgpr_workgroup_id_z 0
		.amdhsa_system_sgpr_workgroup_info 0
		.amdhsa_system_vgpr_workitem_id 2
		.amdhsa_next_free_vgpr 256
		.amdhsa_next_free_sgpr 63
		.amdhsa_reserve_vcc 1
		.amdhsa_float_round_mode_32 0
		.amdhsa_float_round_mode_16_64 0
		.amdhsa_float_denorm_mode_32 3
		.amdhsa_float_denorm_mode_16_64 3
		.amdhsa_dx10_clamp 1
		.amdhsa_ieee_mode 1
		.amdhsa_fp16_overflow 0
		.amdhsa_workgroup_processor_mode 1
		.amdhsa_memory_ordered 1
		.amdhsa_forward_progress 0
		.amdhsa_shared_vgpr_count 0
		.amdhsa_exception_fp_ieee_invalid_op 0
		.amdhsa_exception_fp_denorm_src 0
		.amdhsa_exception_fp_ieee_div_zero 0
		.amdhsa_exception_fp_ieee_overflow 0
		.amdhsa_exception_fp_ieee_underflow 0
		.amdhsa_exception_fp_ieee_inexact 0
		.amdhsa_exception_int_div_zero 0
	.end_amdhsa_kernel
	.section	.text._ZN9rocsolver6v33100L18getri_kernel_smallILi57E19rocblas_complex_numIdEPKPS3_EEvT1_iilPiilS8_bb,"axG",@progbits,_ZN9rocsolver6v33100L18getri_kernel_smallILi57E19rocblas_complex_numIdEPKPS3_EEvT1_iilPiilS8_bb,comdat
.Lfunc_end120:
	.size	_ZN9rocsolver6v33100L18getri_kernel_smallILi57E19rocblas_complex_numIdEPKPS3_EEvT1_iilPiilS8_bb, .Lfunc_end120-_ZN9rocsolver6v33100L18getri_kernel_smallILi57E19rocblas_complex_numIdEPKPS3_EEvT1_iilPiilS8_bb
                                        ; -- End function
	.section	.AMDGPU.csdata,"",@progbits
; Kernel info:
; codeLenInByte = 143904
; NumSgprs: 65
; NumVgprs: 256
; ScratchSize: 928
; MemoryBound: 0
; FloatMode: 240
; IeeeMode: 1
; LDSByteSize: 2856 bytes/workgroup (compile time only)
; SGPRBlocks: 8
; VGPRBlocks: 31
; NumSGPRsForWavesPerEU: 65
; NumVGPRsForWavesPerEU: 256
; Occupancy: 5
; WaveLimiterHint : 1
; COMPUTE_PGM_RSRC2:SCRATCH_EN: 1
; COMPUTE_PGM_RSRC2:USER_SGPR: 15
; COMPUTE_PGM_RSRC2:TRAP_HANDLER: 0
; COMPUTE_PGM_RSRC2:TGID_X_EN: 1
; COMPUTE_PGM_RSRC2:TGID_Y_EN: 0
; COMPUTE_PGM_RSRC2:TGID_Z_EN: 0
; COMPUTE_PGM_RSRC2:TIDIG_COMP_CNT: 2
	.section	.text._ZN9rocsolver6v33100L18getri_kernel_smallILi58E19rocblas_complex_numIdEPKPS3_EEvT1_iilPiilS8_bb,"axG",@progbits,_ZN9rocsolver6v33100L18getri_kernel_smallILi58E19rocblas_complex_numIdEPKPS3_EEvT1_iilPiilS8_bb,comdat
	.globl	_ZN9rocsolver6v33100L18getri_kernel_smallILi58E19rocblas_complex_numIdEPKPS3_EEvT1_iilPiilS8_bb ; -- Begin function _ZN9rocsolver6v33100L18getri_kernel_smallILi58E19rocblas_complex_numIdEPKPS3_EEvT1_iilPiilS8_bb
	.p2align	8
	.type	_ZN9rocsolver6v33100L18getri_kernel_smallILi58E19rocblas_complex_numIdEPKPS3_EEvT1_iilPiilS8_bb,@function
_ZN9rocsolver6v33100L18getri_kernel_smallILi58E19rocblas_complex_numIdEPKPS3_EEvT1_iilPiilS8_bb: ; @_ZN9rocsolver6v33100L18getri_kernel_smallILi58E19rocblas_complex_numIdEPKPS3_EEvT1_iilPiilS8_bb
; %bb.0:
	v_and_b32_e32 v158, 0x3ff, v0
	s_mov_b32 s4, exec_lo
	s_delay_alu instid0(VALU_DEP_1)
	v_cmpx_gt_u32_e32 58, v158
	s_cbranch_execz .LBB121_246
; %bb.1:
	s_mov_b32 s10, s15
	s_clause 0x2
	s_load_b32 s15, s[2:3], 0x38
	s_load_b64 s[8:9], s[2:3], 0x0
	s_load_b128 s[4:7], s[2:3], 0x28
	s_waitcnt lgkmcnt(0)
	s_bitcmp1_b32 s15, 8
	s_cselect_b32 s14, -1, 0
	s_ashr_i32 s11, s10, 31
	s_delay_alu instid0(SALU_CYCLE_1) | instskip(NEXT) | instid1(SALU_CYCLE_1)
	s_lshl_b64 s[12:13], s[10:11], 3
	s_add_u32 s8, s8, s12
	s_addc_u32 s9, s9, s13
	s_load_b64 s[12:13], s[8:9], 0x0
	s_bfe_u32 s8, s15, 0x10008
	s_delay_alu instid0(SALU_CYCLE_1)
	s_cmp_eq_u32 s8, 0
                                        ; implicit-def: $sgpr8_sgpr9
	s_cbranch_scc1 .LBB121_3
; %bb.2:
	s_clause 0x1
	s_load_b32 s8, s[2:3], 0x20
	s_load_b64 s[16:17], s[2:3], 0x18
	s_mul_i32 s5, s10, s5
	s_mul_hi_u32 s9, s10, s4
	s_mul_i32 s18, s11, s4
	s_add_i32 s5, s9, s5
	s_mul_i32 s4, s10, s4
	s_add_i32 s5, s5, s18
	s_delay_alu instid0(SALU_CYCLE_1)
	s_lshl_b64 s[4:5], s[4:5], 2
	s_waitcnt lgkmcnt(0)
	s_ashr_i32 s9, s8, 31
	s_add_u32 s16, s16, s4
	s_addc_u32 s17, s17, s5
	s_lshl_b64 s[4:5], s[8:9], 2
	s_delay_alu instid0(SALU_CYCLE_1)
	s_add_u32 s8, s16, s4
	s_addc_u32 s9, s17, s5
.LBB121_3:
	s_load_b64 s[2:3], s[2:3], 0x8
	v_lshlrev_b32_e32 v13, 4, v158
	s_movk_i32 s23, 0x120
	s_movk_i32 s27, 0x160
	;; [unrolled: 1-line block ×18, first 2 shown]
	s_waitcnt lgkmcnt(0)
	s_ashr_i32 s5, s2, 31
	s_mov_b32 s4, s2
	v_add3_u32 v1, s3, s3, v158
	s_lshl_b64 s[4:5], s[4:5], 4
	s_movk_i32 s17, 0xc0
	s_add_u32 s4, s12, s4
	s_addc_u32 s5, s13, s5
	v_add_nc_u32_e32 v7, s3, v1
	global_load_b128 v[3:6], v13, s[4:5]
	v_ashrrev_i32_e32 v2, 31, v1
	v_add_co_u32 v42, s2, s4, v13
	v_add_nc_u32_e32 v9, s3, v7
	s_mov_b32 s12, s3
	s_ashr_i32 s13, s3, 31
	v_add_co_ci_u32_e64 v43, null, s5, 0, s2
	s_delay_alu instid0(VALU_DEP_2)
	v_add_nc_u32_e32 v11, s3, v9
	v_lshlrev_b64 v[1:2], 4, v[1:2]
	s_lshl_b64 s[12:13], s[12:13], 4
	v_ashrrev_i32_e32 v8, 31, v7
	v_add_co_u32 v16, vcc_lo, v42, s12
	v_add_nc_u32_e32 v18, s3, v11
	v_add_co_ci_u32_e32 v17, vcc_lo, s13, v43, vcc_lo
	v_add_co_u32 v14, vcc_lo, s4, v1
	s_delay_alu instid0(VALU_DEP_3)
	v_add_nc_u32_e32 v26, s3, v18
	v_ashrrev_i32_e32 v10, 31, v9
	v_lshlrev_b64 v[19:20], 4, v[7:8]
	v_ashrrev_i32_e32 v12, 31, v11
	v_add_co_ci_u32_e32 v15, vcc_lo, s5, v2, vcc_lo
	v_add_nc_u32_e32 v28, s3, v26
	v_lshlrev_b64 v[21:22], 4, v[9:10]
	v_add_co_u32 v32, vcc_lo, s4, v19
	v_lshlrev_b64 v[11:12], 4, v[11:12]
	s_delay_alu instid0(VALU_DEP_4) | instskip(SKIP_3) | instid1(VALU_DEP_4)
	v_add_nc_u32_e32 v34, s3, v28
	v_ashrrev_i32_e32 v19, 31, v18
	v_add_co_ci_u32_e32 v33, vcc_lo, s5, v20, vcc_lo
	v_add_co_u32 v23, vcc_lo, s4, v21
	v_add_nc_u32_e32 v36, s3, v34
	v_ashrrev_i32_e32 v27, 31, v26
	v_add_co_ci_u32_e32 v24, vcc_lo, s5, v22, vcc_lo
	v_lshlrev_b64 v[30:31], 4, v[18:19]
	s_delay_alu instid0(VALU_DEP_4)
	v_add_nc_u32_e32 v60, s3, v36
	s_clause 0x2
	scratch_store_b64 off, v[16:17], off offset:1004
	scratch_store_b64 off, v[23:24], off offset:1012
	;; [unrolled: 1-line block ×3, first 2 shown]
	global_load_b128 v[18:21], v[32:33], off
	v_add_nc_u32_e32 v64, s3, v60
	v_add_co_u32 v32, vcc_lo, s4, v11
	v_add_co_ci_u32_e32 v33, vcc_lo, s5, v12, vcc_lo
	s_delay_alu instid0(VALU_DEP_3) | instskip(SKIP_3) | instid1(VALU_DEP_4)
	v_add_nc_u32_e32 v68, s3, v64
	v_lshlrev_b64 v[11:12], 4, v[26:27]
	v_ashrrev_i32_e32 v29, 31, v28
	v_add_co_u32 v30, vcc_lo, s4, v30
	v_add_nc_u32_e32 v70, s3, v68
	v_ashrrev_i32_e32 v35, 31, v34
	v_add_co_ci_u32_e32 v31, vcc_lo, s5, v31, vcc_lo
	v_lshlrev_b64 v[38:39], 4, v[28:29]
	s_delay_alu instid0(VALU_DEP_4) | instskip(SKIP_2) | instid1(VALU_DEP_3)
	v_add_nc_u32_e32 v72, s3, v70
	v_add_co_u32 v40, vcc_lo, s4, v11
	v_add_co_ci_u32_e32 v41, vcc_lo, s5, v12, vcc_lo
	v_add_nc_u32_e32 v74, s3, v72
	v_lshlrev_b64 v[11:12], 4, v[34:35]
	v_ashrrev_i32_e32 v37, 31, v36
	s_clause 0x1
	global_load_b128 v[7:10], v[16:17], off
	global_load_b128 v[22:25], v[23:24], off
	v_add_nc_u32_e32 v76, s3, v74
	v_add_co_u32 v38, vcc_lo, s4, v38
	v_ashrrev_i32_e32 v61, 31, v60
	scratch_store_b64 off, v[14:15], off offset:996 ; 8-byte Folded Spill
	v_add_nc_u32_e32 v78, s3, v76
	global_load_b128 v[14:17], v[14:15], off
	v_add_co_ci_u32_e32 v39, vcc_lo, s5, v39, vcc_lo
	v_lshlrev_b64 v[66:67], 4, v[36:37]
	v_add_nc_u32_e32 v80, s3, v78
	v_add_co_u32 v62, vcc_lo, s4, v11
	s_clause 0x1
	global_load_b128 v[26:29], v[32:33], off
	global_load_b128 v[34:37], v[40:41], off
	v_add_nc_u32_e32 v82, s3, v80
	v_add_co_ci_u32_e32 v63, vcc_lo, s5, v12, vcc_lo
	v_lshlrev_b64 v[11:12], 4, v[60:61]
	v_ashrrev_i32_e32 v65, 31, v64
	s_delay_alu instid0(VALU_DEP_4)
	v_add_nc_u32_e32 v84, s3, v82
	s_clause 0x2
	scratch_store_b64 off, v[32:33], off offset:1036
	scratch_store_b64 off, v[38:39], off offset:1044
	;; [unrolled: 1-line block ×3, first 2 shown]
	global_load_b128 v[30:33], v[30:31], off
	v_add_nc_u32_e32 v1, s3, v84
	v_add_co_u32 v60, vcc_lo, s4, v66
	v_ashrrev_i32_e32 v69, 31, v68
	v_add_co_ci_u32_e32 v61, vcc_lo, s5, v67, vcc_lo
	s_delay_alu instid0(VALU_DEP_4) | instskip(SKIP_3) | instid1(VALU_DEP_4)
	v_add_nc_u32_e32 v86, s3, v1
	v_lshlrev_b64 v[64:65], 4, v[64:65]
	v_add_co_u32 v66, vcc_lo, s4, v11
	v_add_co_ci_u32_e32 v67, vcc_lo, s5, v12, vcc_lo
	v_add_nc_u32_e32 v88, s3, v86
	v_lshlrev_b64 v[11:12], 4, v[68:69]
	v_ashrrev_i32_e32 v71, 31, v70
	v_add_co_u32 v64, vcc_lo, s4, v64
	s_delay_alu instid0(VALU_DEP_4) | instskip(SKIP_3) | instid1(VALU_DEP_4)
	v_add_nc_u32_e32 v90, s3, v88
	v_ashrrev_i32_e32 v73, 31, v72
	v_add_co_ci_u32_e32 v65, vcc_lo, s5, v65, vcc_lo
	v_lshlrev_b64 v[68:69], 4, v[70:71]
	v_add_nc_u32_e32 v92, s3, v90
	v_add_co_u32 v70, vcc_lo, s4, v11
	scratch_store_b64 off, v[40:41], off offset:1052 ; 8-byte Folded Spill
	global_load_b128 v[38:41], v[38:39], off
	v_add_nc_u32_e32 v96, s3, v92
	s_clause 0x1
	global_load_b128 v[122:125], v[62:63], off
	global_load_b128 v[126:129], v[60:61], off
	v_add_co_ci_u32_e32 v71, vcc_lo, s5, v12, vcc_lo
	v_lshlrev_b64 v[11:12], 4, v[72:73]
	v_add_nc_u32_e32 v100, s3, v96
	v_ashrrev_i32_e32 v75, 31, v74
	v_add_co_u32 v68, vcc_lo, s4, v68
	v_ashrrev_i32_e32 v77, 31, v76
	s_delay_alu instid0(VALU_DEP_4)
	v_add_nc_u32_e32 v102, s3, v100
	v_add_co_ci_u32_e32 v69, vcc_lo, s5, v69, vcc_lo
	v_lshlrev_b64 v[72:73], 4, v[74:75]
	s_clause 0x1
	global_load_b128 v[130:133], v[66:67], off
	global_load_b128 v[134:137], v[64:65], off
	v_add_nc_u32_e32 v104, s3, v102
	v_add_co_u32 v74, vcc_lo, s4, v11
	v_add_co_ci_u32_e32 v75, vcc_lo, s5, v12, vcc_lo
	s_delay_alu instid0(VALU_DEP_3) | instskip(SKIP_3) | instid1(VALU_DEP_4)
	v_add_nc_u32_e32 v106, s3, v104
	v_lshlrev_b64 v[11:12], 4, v[76:77]
	v_ashrrev_i32_e32 v79, 31, v78
	v_add_co_u32 v72, vcc_lo, s4, v72
	v_add_nc_u32_e32 v108, s3, v106
	v_ashrrev_i32_e32 v81, 31, v80
	v_add_co_ci_u32_e32 v73, vcc_lo, s5, v73, vcc_lo
	v_lshlrev_b64 v[78:79], 4, v[78:79]
	s_delay_alu instid0(VALU_DEP_4) | instskip(SKIP_2) | instid1(VALU_DEP_3)
	v_add_nc_u32_e32 v110, s3, v108
	v_add_co_u32 v76, vcc_lo, s4, v11
	v_add_co_ci_u32_e32 v77, vcc_lo, s5, v12, vcc_lo
	v_add_nc_u32_e32 v112, s3, v110
	v_lshlrev_b64 v[11:12], 4, v[80:81]
	v_ashrrev_i32_e32 v83, 31, v82
	s_clause 0x1
	global_load_b128 v[138:141], v[70:71], off
	global_load_b128 v[142:145], v[68:69], off
	v_add_co_u32 v78, vcc_lo, s4, v78
	v_add_nc_u32_e32 v114, s3, v112
	v_ashrrev_i32_e32 v85, 31, v84
	v_add_co_ci_u32_e32 v79, vcc_lo, s5, v79, vcc_lo
	v_lshlrev_b64 v[82:83], 4, v[82:83]
	s_delay_alu instid0(VALU_DEP_4) | instskip(SKIP_3) | instid1(VALU_DEP_4)
	v_add_nc_u32_e32 v116, s3, v114
	v_add_co_u32 v80, vcc_lo, s4, v11
	v_ashrrev_i32_e32 v2, 31, v1
	v_add_co_ci_u32_e32 v81, vcc_lo, s5, v12, vcc_lo
	v_add_nc_u32_e32 v118, s3, v116
	v_lshlrev_b64 v[11:12], 4, v[84:85]
	v_add_co_u32 v82, vcc_lo, s4, v82
	v_lshlrev_b64 v[1:2], 4, v[1:2]
	s_delay_alu instid0(VALU_DEP_4) | instskip(SKIP_3) | instid1(VALU_DEP_4)
	v_add_nc_u32_e32 v120, s3, v118
	v_ashrrev_i32_e32 v87, 31, v86
	v_add_co_ci_u32_e32 v83, vcc_lo, s5, v83, vcc_lo
	v_add_co_u32 v84, vcc_lo, s4, v11
	v_add_nc_u32_e32 v199, s3, v120
	v_ashrrev_i32_e32 v89, 31, v88
	v_add_co_ci_u32_e32 v85, vcc_lo, s5, v12, vcc_lo
	v_lshlrev_b64 v[11:12], 4, v[86:87]
	s_delay_alu instid0(VALU_DEP_4) | instskip(SKIP_2) | instid1(VALU_DEP_3)
	v_add_nc_u32_e32 v201, s3, v199
	v_add_co_u32 v86, vcc_lo, s4, v1
	v_add_co_ci_u32_e32 v87, vcc_lo, s5, v2, vcc_lo
	v_add_nc_u32_e32 v203, s3, v201
	v_lshlrev_b64 v[1:2], 4, v[88:89]
	v_ashrrev_i32_e32 v91, 31, v90
	s_clause 0x1
	global_load_b128 v[146:149], v[74:75], off
	global_load_b128 v[150:153], v[72:73], off
	v_add_co_u32 v88, vcc_lo, s4, v11
	v_add_nc_u32_e32 v205, s3, v203
	v_ashrrev_i32_e32 v93, 31, v92
	v_add_co_ci_u32_e32 v89, vcc_lo, s5, v12, vcc_lo
	v_lshlrev_b64 v[11:12], 4, v[90:91]
	s_delay_alu instid0(VALU_DEP_4) | instskip(SKIP_2) | instid1(VALU_DEP_3)
	v_add_nc_u32_e32 v207, s3, v205
	v_add_co_u32 v90, vcc_lo, s4, v1
	v_add_co_ci_u32_e32 v91, vcc_lo, s5, v2, vcc_lo
	v_add_nc_u32_e32 v209, s3, v207
	v_lshlrev_b64 v[1:2], 4, v[92:93]
	v_ashrrev_i32_e32 v97, 31, v96
	v_add_co_u32 v94, vcc_lo, s4, v11
	s_delay_alu instid0(VALU_DEP_4) | instskip(SKIP_1) | instid1(VALU_DEP_4)
	v_add_nc_u32_e32 v211, s3, v209
	v_add_co_ci_u32_e32 v95, vcc_lo, s5, v12, vcc_lo
	v_lshlrev_b64 v[11:12], 4, v[96:97]
	v_ashrrev_i32_e32 v101, 31, v100
	s_delay_alu instid0(VALU_DEP_4) | instskip(SKIP_2) | instid1(VALU_DEP_3)
	v_add_nc_u32_e32 v213, s3, v211
	v_add_co_u32 v96, vcc_lo, s4, v1
	v_add_co_ci_u32_e32 v97, vcc_lo, s5, v2, vcc_lo
	v_add_nc_u32_e32 v248, s3, v213
	s_clause 0x1
	global_load_b128 v[154:157], v[76:77], off
	global_load_b128 v[159:162], v[78:79], off
	v_add_co_u32 v98, vcc_lo, s4, v11
	v_add_co_ci_u32_e32 v99, vcc_lo, s5, v12, vcc_lo
	v_add_nc_u32_e32 v250, s3, v248
	v_lshlrev_b64 v[11:12], 4, v[100:101]
	s_clause 0x5
	global_load_b128 v[163:166], v[80:81], off
	global_load_b128 v[167:170], v[82:83], off
	;; [unrolled: 1-line block ×6, first 2 shown]
	v_add_nc_u32_e32 v44, s3, v250
	s_clause 0x2
	global_load_b128 v[187:190], v[94:95], off
	global_load_b128 v[191:194], v[96:97], off
	;; [unrolled: 1-line block ×3, first 2 shown]
	v_ashrrev_i32_e32 v103, 31, v102
	v_ashrrev_i32_e32 v105, 31, v104
	;; [unrolled: 1-line block ×3, first 2 shown]
	v_add_nc_u32_e32 v46, s3, v44
	v_ashrrev_i32_e32 v109, 31, v108
	v_ashrrev_i32_e32 v111, 31, v110
	;; [unrolled: 1-line block ×3, first 2 shown]
	v_lshlrev_b64 v[106:107], 4, v[106:107]
	v_add_nc_u32_e32 v48, s3, v46
	v_lshlrev_b64 v[108:109], 4, v[108:109]
	v_lshlrev_b64 v[110:111], 4, v[110:111]
	;; [unrolled: 1-line block ×3, first 2 shown]
	v_ashrrev_i32_e32 v115, 31, v114
	v_add_nc_u32_e32 v50, s3, v48
	v_ashrrev_i32_e32 v117, 31, v116
	v_ashrrev_i32_e32 v119, 31, v118
	;; [unrolled: 1-line block ×3, first 2 shown]
	v_lshlrev_b64 v[114:115], 4, v[114:115]
	v_add_nc_u32_e32 v52, s3, v50
	v_lshlrev_b64 v[116:117], 4, v[116:117]
	v_lshlrev_b64 v[118:119], 4, v[118:119]
	v_ashrrev_i32_e32 v200, 31, v199
	v_lshlrev_b64 v[120:121], 4, v[120:121]
	v_add_nc_u32_e32 v54, s3, v52
	v_ashrrev_i32_e32 v202, 31, v201
	v_ashrrev_i32_e32 v204, 31, v203
	v_lshlrev_b64 v[199:200], 4, v[199:200]
	v_ashrrev_i32_e32 v206, 31, v205
	v_add_nc_u32_e32 v56, s3, v54
	v_lshlrev_b64 v[201:202], 4, v[201:202]
	v_ashrrev_i32_e32 v208, 31, v207
	v_ashrrev_i32_e32 v210, 31, v209
	;; [unrolled: 1-line block ×3, first 2 shown]
	v_add_nc_u32_e32 v58, s3, v56
	v_ashrrev_i32_e32 v214, 31, v213
	v_ashrrev_i32_e32 v249, 31, v248
	v_ashrrev_i32_e32 v251, 31, v250
	v_ashrrev_i32_e32 v45, 31, v44
	v_add_nc_u32_e32 v92, s3, v58
	v_ashrrev_i32_e32 v47, 31, v46
	v_ashrrev_i32_e32 v49, 31, v48
	v_ashrrev_i32_e32 v51, 31, v50
	v_lshlrev_b64 v[44:45], 4, v[44:45]
	v_ashrrev_i32_e32 v93, 31, v92
	v_lshlrev_b64 v[46:47], 4, v[46:47]
	v_ashrrev_i32_e32 v53, 31, v52
	v_ashrrev_i32_e32 v55, 31, v54
	;; [unrolled: 1-line block ×3, first 2 shown]
	v_lshlrev_b64 v[1:2], 4, v[92:93]
	v_ashrrev_i32_e32 v59, 31, v58
	s_movk_i32 s2, 0x50
	s_movk_i32 s3, 0x60
	;; [unrolled: 1-line block ×4, first 2 shown]
	v_add_co_u32 v92, vcc_lo, s4, v1
	v_add_co_ci_u32_e32 v93, vcc_lo, s5, v2, vcc_lo
	v_add_co_u32 v100, vcc_lo, s4, v11
	v_add_co_ci_u32_e32 v101, vcc_lo, s5, v12, vcc_lo
	global_load_b128 v[216:219], v[92:93], off
	v_lshlrev_b64 v[11:12], 4, v[104:105]
	s_movk_i32 s18, 0xd0
	s_movk_i32 s19, 0xe0
	;; [unrolled: 1-line block ×15, first 2 shown]
	s_waitcnt vmcnt(28)
	scratch_store_b128 off, v[3:6], off
	global_load_b128 v[1:4], v[100:101], off
	v_lshlrev_b64 v[5:6], 4, v[102:103]
	s_movk_i32 s51, 0x2d0
	s_movk_i32 s52, 0x2e0
	;; [unrolled: 1-line block ×5, first 2 shown]
	v_add_co_u32 v102, vcc_lo, s4, v5
	v_add_co_ci_u32_e32 v103, vcc_lo, s5, v6, vcc_lo
	v_add_co_u32 v104, vcc_lo, s4, v11
	v_add_co_ci_u32_e32 v105, vcc_lo, s5, v12, vcc_lo
	;; [unrolled: 2-line block ×5, first 2 shown]
	s_waitcnt vmcnt(27)
	scratch_store_b128 off, v[7:10], off offset:16
	s_waitcnt vmcnt(25)
	scratch_store_b128 off, v[14:17], off offset:32
	v_add_co_u32 v112, vcc_lo, s4, v112
	s_clause 0x1
	global_load_b128 v[5:8], v[102:103], off
	global_load_b128 v[9:12], v[104:105], off
	v_add_co_ci_u32_e32 v113, vcc_lo, s5, v113, vcc_lo
	s_clause 0x1
	scratch_store_b128 off, v[18:21], off offset:48
	scratch_store_b128 off, v[22:25], off offset:64
	s_clause 0x1
	global_load_b128 v[14:17], v[106:107], off
	global_load_b128 v[18:21], v[108:109], off
	s_waitcnt vmcnt(28)
	scratch_store_b128 off, v[26:29], off offset:80
	s_waitcnt vmcnt(26)
	scratch_store_b128 off, v[30:33], off offset:96
	s_clause 0x1
	global_load_b128 v[22:25], v[110:111], off
	global_load_b128 v[26:29], v[112:113], off
	v_add_co_u32 v114, vcc_lo, s4, v114
	v_add_co_ci_u32_e32 v115, vcc_lo, s5, v115, vcc_lo
	v_add_co_u32 v116, vcc_lo, s4, v116
	v_add_co_ci_u32_e32 v117, vcc_lo, s5, v117, vcc_lo
	;; [unrolled: 2-line block ×3, first 2 shown]
	v_add_co_u32 v120, vcc_lo, s4, v120
	scratch_store_b128 off, v[34:37], off offset:112
	s_waitcnt vmcnt(27)
	scratch_store_b128 off, v[38:41], off offset:128
	v_add_co_ci_u32_e32 v121, vcc_lo, s5, v121, vcc_lo
	s_clause 0x1
	global_load_b128 v[30:33], v[114:115], off
	global_load_b128 v[34:37], v[116:117], off
	s_waitcnt vmcnt(28)
	scratch_store_b128 off, v[122:125], off offset:144
	s_waitcnt vmcnt(27)
	scratch_store_b128 off, v[126:129], off offset:160
	v_add_co_u32 v122, vcc_lo, s4, v199
	v_lshlrev_b64 v[126:127], 4, v[203:204]
	v_add_co_ci_u32_e32 v123, vcc_lo, s5, v200, vcc_lo
	v_add_co_u32 v124, vcc_lo, s4, v201
	v_lshlrev_b64 v[128:129], 4, v[205:206]
	v_add_co_ci_u32_e32 v125, vcc_lo, s5, v202, vcc_lo
	s_clause 0x1
	global_load_b128 v[38:41], v[118:119], off
	global_load_b128 v[220:223], v[120:121], off
	s_waitcnt vmcnt(28)
	scratch_store_b128 off, v[130:133], off offset:176
	s_waitcnt vmcnt(27)
	scratch_store_b128 off, v[134:137], off offset:192
	v_add_co_u32 v126, vcc_lo, s4, v126
	v_lshlrev_b64 v[130:131], 4, v[207:208]
	v_add_co_ci_u32_e32 v127, vcc_lo, s5, v127, vcc_lo
	v_add_co_u32 v128, vcc_lo, s4, v128
	v_lshlrev_b64 v[132:133], 4, v[209:210]
	v_add_co_ci_u32_e32 v129, vcc_lo, s5, v129, vcc_lo
	;; [unrolled: 3-line block ×4, first 2 shown]
	s_clause 0x1
	global_load_b128 v[224:227], v[122:123], off
	global_load_b128 v[228:231], v[124:125], off
	s_waitcnt vmcnt(28)
	scratch_store_b128 off, v[138:141], off offset:208
	s_waitcnt vmcnt(27)
	scratch_store_b128 off, v[142:145], off offset:224
	v_add_co_u32 v134, vcc_lo, s4, v134
	v_lshlrev_b64 v[138:139], 4, v[248:249]
	v_add_co_ci_u32_e32 v135, vcc_lo, s5, v135, vcc_lo
	v_add_co_u32 v136, vcc_lo, s4, v136
	v_lshlrev_b64 v[140:141], 4, v[250:251]
	v_add_co_ci_u32_e32 v137, vcc_lo, s5, v137, vcc_lo
	v_add_co_u32 v138, vcc_lo, s4, v138
	v_add_co_ci_u32_e32 v139, vcc_lo, s5, v139, vcc_lo
	s_delay_alu instid0(VALU_DEP_4)
	v_add_co_u32 v140, vcc_lo, s4, v140
	v_add_co_ci_u32_e32 v141, vcc_lo, s5, v141, vcc_lo
	v_add_co_u32 v142, vcc_lo, s4, v44
	v_add_co_ci_u32_e32 v143, vcc_lo, s5, v45, vcc_lo
	v_lshlrev_b64 v[44:45], 4, v[48:49]
	v_add_co_u32 v144, vcc_lo, s4, v46
	v_add_co_ci_u32_e32 v145, vcc_lo, s5, v47, vcc_lo
	v_lshlrev_b64 v[46:47], 4, v[50:51]
	s_clause 0x1
	global_load_b128 v[232:235], v[126:127], off
	global_load_b128 v[236:239], v[128:129], off
	s_waitcnt vmcnt(28)
	scratch_store_b128 off, v[146:149], off offset:240
	s_waitcnt vmcnt(27)
	scratch_store_b128 off, v[150:153], off offset:256
	v_add_co_u32 v146, vcc_lo, s4, v44
	v_add_co_ci_u32_e32 v147, vcc_lo, s5, v45, vcc_lo
	v_lshlrev_b64 v[44:45], 4, v[52:53]
	v_add_co_u32 v148, vcc_lo, s4, v46
	v_add_co_ci_u32_e32 v149, vcc_lo, s5, v47, vcc_lo
	v_lshlrev_b64 v[46:47], 4, v[54:55]
	s_delay_alu instid0(VALU_DEP_4) | instskip(SKIP_2) | instid1(VALU_DEP_4)
	v_add_co_u32 v150, vcc_lo, s4, v44
	v_add_co_ci_u32_e32 v151, vcc_lo, s5, v45, vcc_lo
	v_lshlrev_b64 v[44:45], 4, v[56:57]
	v_add_co_u32 v152, vcc_lo, s4, v46
	v_add_co_ci_u32_e32 v153, vcc_lo, s5, v47, vcc_lo
	s_clause 0x1
	global_load_b128 v[240:243], v[130:131], off
	global_load_b128 v[244:247], v[132:133], off
	s_waitcnt vmcnt(28)
	scratch_store_b128 off, v[154:157], off offset:272
	s_waitcnt vmcnt(27)
	scratch_store_b128 off, v[159:162], off offset:288
	v_add_co_u32 v154, vcc_lo, s4, v44
	v_add_co_ci_u32_e32 v155, vcc_lo, s5, v45, vcc_lo
	v_lshlrev_b64 v[44:45], 4, v[58:59]
	s_clause 0x1
	global_load_b128 v[248:251], v[134:135], off
	global_load_b128 v[252:255], v[136:137], off
	s_waitcnt vmcnt(28)
	scratch_store_b128 off, v[163:166], off offset:304
	s_waitcnt vmcnt(27)
	scratch_store_b128 off, v[167:170], off offset:320
	s_clause 0x1
	global_load_b128 v[162:165], v[138:139], off
	global_load_b128 v[166:169], v[140:141], off
	s_waitcnt vmcnt(28)
	scratch_store_b128 off, v[171:174], off offset:336
	s_waitcnt vmcnt(27)
	scratch_store_b128 off, v[175:178], off offset:352
	;; [unrolled: 7-line block ×3, first 2 shown]
	v_add_co_u32 v156, vcc_lo, s4, v44
	s_clause 0x1
	global_load_b128 v[178:181], v[146:147], off
	global_load_b128 v[182:185], v[148:149], off
	s_waitcnt vmcnt(28)
	scratch_store_b128 off, v[187:190], off offset:400
	s_waitcnt vmcnt(27)
	scratch_store_b128 off, v[191:194], off offset:416
	;; [unrolled: 2-line block ×3, first 2 shown]
	s_clause 0x2
	global_load_b128 v[186:189], v[150:151], off
	global_load_b128 v[190:193], v[152:153], off
	;; [unrolled: 1-line block ×3, first 2 shown]
	v_add_co_ci_u32_e32 v157, vcc_lo, s5, v45, vcc_lo
	s_movk_i32 s4, 0x70
	s_movk_i32 s5, 0x80
	;; [unrolled: 1-line block ×10, first 2 shown]
	v_add_nc_u32_e64 v215, 0, 16
	v_add_nc_u32_e64 v214, 0, 32
	;; [unrolled: 1-line block ×21, first 2 shown]
	s_mov_b32 s3, -1
	s_bitcmp0_b32 s15, 0
	s_waitcnt vmcnt(27)
	scratch_store_b128 off, v[1:4], off offset:448
	global_load_b128 v[1:4], v[156:157], off
	s_waitcnt vmcnt(27)
	scratch_store_b128 off, v[5:8], off offset:464
	v_add_nc_u32_e64 v5, s23, 0
	s_waitcnt vmcnt(26)
	scratch_store_b128 off, v[9:12], off offset:480
	s_waitcnt vmcnt(25)
	scratch_store_b128 off, v[14:17], off offset:496
	s_waitcnt vmcnt(24)
	s_clause 0x1
	scratch_store_b128 off, v[18:21], off offset:512
	scratch_store_b32 off, v5, off offset:992
	s_waitcnt vmcnt(23)
	scratch_store_b128 off, v[22:25], off offset:528
	v_add_nc_u32_e64 v5, s27, 0
	scratch_store_b32 off, v5, off offset:988 ; 4-byte Folded Spill
	s_waitcnt vmcnt(22)
	scratch_store_b128 off, v[26:29], off offset:544
	v_add_nc_u32_e64 v5, s29, 0
	scratch_store_b32 off, v5, off offset:984 ; 4-byte Folded Spill
	v_add_nc_u32_e64 v5, s30, 0
	scratch_store_b32 off, v5, off offset:980 ; 4-byte Folded Spill
	v_add_nc_u32_e64 v5, s31, 0
	scratch_store_b32 off, v5, off offset:972 ; 4-byte Folded Spill
	s_waitcnt vmcnt(21)
	scratch_store_b128 off, v[30:33], off offset:560
	v_add_nc_u32_e64 v5, s33, 0
	scratch_store_b32 off, v5, off offset:976 ; 4-byte Folded Spill
	v_add_nc_u32_e64 v5, s34, 0
	scratch_store_b32 off, v5, off offset:968 ; 4-byte Folded Spill
	v_add_nc_u32_e64 v5, s35, 0
	scratch_store_b32 off, v5, off offset:964 ; 4-byte Folded Spill
	v_add_nc_u32_e64 v5, s36, 0
	scratch_store_b32 off, v5, off offset:956 ; 4-byte Folded Spill
	s_waitcnt vmcnt(20)
	scratch_store_b128 off, v[34:37], off offset:576
	v_add_nc_u32_e64 v5, s37, 0
	scratch_store_b32 off, v5, off offset:960 ; 4-byte Folded Spill
	v_add_nc_u32_e64 v5, s38, 0
	scratch_store_b32 off, v5, off offset:952 ; 4-byte Folded Spill
	v_add_nc_u32_e64 v5, s39, 0
	scratch_store_b32 off, v5, off offset:948 ; 4-byte Folded Spill
	v_add_nc_u32_e64 v5, s40, 0
	scratch_store_b32 off, v5, off offset:940 ; 4-byte Folded Spill
	s_waitcnt vmcnt(19)
	scratch_store_b128 off, v[38:41], off offset:592
	v_add_nc_u32_e64 v5, s41, 0
	scratch_store_b32 off, v5, off offset:944 ; 4-byte Folded Spill
	v_add_nc_u32_e64 v5, s42, 0
	scratch_store_b32 off, v5, off offset:936 ; 4-byte Folded Spill
	v_add_nc_u32_e64 v5, s43, 0
	scratch_store_b32 off, v5, off offset:932 ; 4-byte Folded Spill
	;; [unrolled: 2-line block ×3, first 2 shown]
	s_waitcnt vmcnt(18)
	scratch_store_b128 off, v[220:223], off offset:608
	v_add_nc_u32_e64 v221, s45, 0
	v_add_nc_u32_e64 v223, s46, 0
	;; [unrolled: 1-line block ×4, first 2 shown]
	s_waitcnt vmcnt(17)
	scratch_store_b128 off, v[224:227], off offset:624
	s_waitcnt vmcnt(16)
	scratch_store_b128 off, v[228:231], off offset:640
	v_add_nc_u32_e64 v225, s49, 0
	v_add_nc_u32_e64 v227, s50, 0
	;; [unrolled: 1-line block ×8, first 2 shown]
	s_waitcnt vmcnt(15)
	scratch_store_b128 off, v[232:235], off offset:656
	s_waitcnt vmcnt(14)
	scratch_store_b128 off, v[236:239], off offset:672
	;; [unrolled: 2-line block ×15, first 2 shown]
	v_add_nc_u32_e64 v170, s57, 0
	v_add_nc_u32_e64 v169, s58, 0
	;; [unrolled: 1-line block ×7, first 2 shown]
	s_waitcnt vmcnt(0)
	s_clause 0x1
	scratch_store_b128 off, v[1:4], off offset:896
	scratch_store_b128 off, v[216:219], off offset:912
	s_cbranch_scc1 .LBB121_244
; %bb.4:
	v_cmp_eq_u32_e64 s2, 0, v158
	s_delay_alu instid0(VALU_DEP_1)
	s_and_saveexec_b32 s3, s2
	s_cbranch_execz .LBB121_6
; %bb.5:
	v_mov_b32_e32 v1, 0
	ds_store_b32 v1, v1 offset:1856
.LBB121_6:
	s_or_b32 exec_lo, exec_lo, s3
	s_waitcnt lgkmcnt(0)
	s_waitcnt_vscnt null, 0x0
	s_barrier
	buffer_gl0_inv
	scratch_load_b128 v[1:4], v13, off
	s_waitcnt vmcnt(0)
	v_cmp_eq_f64_e32 vcc_lo, 0, v[1:2]
	v_cmp_eq_f64_e64 s3, 0, v[3:4]
	s_delay_alu instid0(VALU_DEP_1) | instskip(NEXT) | instid1(SALU_CYCLE_1)
	s_and_b32 s3, vcc_lo, s3
	s_and_saveexec_b32 s4, s3
	s_cbranch_execz .LBB121_10
; %bb.7:
	v_mov_b32_e32 v1, 0
	s_mov_b32 s5, 0
	ds_load_b32 v2, v1 offset:1856
	s_waitcnt lgkmcnt(0)
	v_readfirstlane_b32 s3, v2
	v_add_nc_u32_e32 v2, 1, v158
	s_delay_alu instid0(VALU_DEP_2) | instskip(NEXT) | instid1(VALU_DEP_1)
	s_cmp_eq_u32 s3, 0
	v_cmp_gt_i32_e32 vcc_lo, s3, v2
	s_cselect_b32 s12, -1, 0
	s_delay_alu instid0(SALU_CYCLE_1) | instskip(NEXT) | instid1(SALU_CYCLE_1)
	s_or_b32 s12, s12, vcc_lo
	s_and_b32 exec_lo, exec_lo, s12
	s_cbranch_execz .LBB121_10
; %bb.8:
	v_mov_b32_e32 v3, s3
.LBB121_9:                              ; =>This Inner Loop Header: Depth=1
	ds_cmpstore_rtn_b32 v3, v1, v2, v3 offset:1856
	s_waitcnt lgkmcnt(0)
	v_cmp_ne_u32_e32 vcc_lo, 0, v3
	v_cmp_le_i32_e64 s3, v3, v2
	s_delay_alu instid0(VALU_DEP_1) | instskip(NEXT) | instid1(SALU_CYCLE_1)
	s_and_b32 s3, vcc_lo, s3
	s_and_b32 s3, exec_lo, s3
	s_delay_alu instid0(SALU_CYCLE_1) | instskip(NEXT) | instid1(SALU_CYCLE_1)
	s_or_b32 s5, s3, s5
	s_and_not1_b32 exec_lo, exec_lo, s5
	s_cbranch_execnz .LBB121_9
.LBB121_10:
	s_or_b32 exec_lo, exec_lo, s4
	v_mov_b32_e32 v1, 0
	s_barrier
	buffer_gl0_inv
	ds_load_b32 v2, v1 offset:1856
	s_and_saveexec_b32 s3, s2
	s_cbranch_execz .LBB121_12
; %bb.11:
	s_lshl_b64 s[4:5], s[10:11], 2
	s_delay_alu instid0(SALU_CYCLE_1)
	s_add_u32 s4, s6, s4
	s_addc_u32 s5, s7, s5
	s_waitcnt lgkmcnt(0)
	global_store_b32 v1, v2, s[4:5]
.LBB121_12:
	s_or_b32 exec_lo, exec_lo, s3
	s_waitcnt lgkmcnt(0)
	v_cmp_ne_u32_e32 vcc_lo, 0, v2
	s_mov_b32 s3, 0
	s_cbranch_vccnz .LBB121_244
; %bb.13:
	v_add_nc_u32_e32 v14, 0, v13
                                        ; implicit-def: $vgpr9_vgpr10
	scratch_load_b128 v[1:4], v14, off
	s_waitcnt vmcnt(0)
	v_mov_b32_e32 v5, v1
	v_cmp_gt_f64_e32 vcc_lo, 0, v[1:2]
	v_xor_b32_e32 v6, 0x80000000, v2
	v_xor_b32_e32 v7, 0x80000000, v4
	s_delay_alu instid0(VALU_DEP_2) | instskip(SKIP_1) | instid1(VALU_DEP_3)
	v_cndmask_b32_e32 v6, v2, v6, vcc_lo
	v_cmp_gt_f64_e32 vcc_lo, 0, v[3:4]
	v_dual_cndmask_b32 v8, v4, v7 :: v_dual_mov_b32 v7, v3
	s_delay_alu instid0(VALU_DEP_1) | instskip(SKIP_1) | instid1(SALU_CYCLE_1)
	v_cmp_ngt_f64_e32 vcc_lo, v[5:6], v[7:8]
                                        ; implicit-def: $vgpr5_vgpr6
	s_and_saveexec_b32 s3, vcc_lo
	s_xor_b32 s3, exec_lo, s3
	s_cbranch_execz .LBB121_15
; %bb.14:
	v_div_scale_f64 v[5:6], null, v[3:4], v[3:4], v[1:2]
	v_div_scale_f64 v[11:12], vcc_lo, v[1:2], v[3:4], v[1:2]
	s_delay_alu instid0(VALU_DEP_2) | instskip(SKIP_2) | instid1(VALU_DEP_1)
	v_rcp_f64_e32 v[7:8], v[5:6]
	s_waitcnt_depctr 0xfff
	v_fma_f64 v[9:10], -v[5:6], v[7:8], 1.0
	v_fma_f64 v[7:8], v[7:8], v[9:10], v[7:8]
	s_delay_alu instid0(VALU_DEP_1) | instskip(NEXT) | instid1(VALU_DEP_1)
	v_fma_f64 v[9:10], -v[5:6], v[7:8], 1.0
	v_fma_f64 v[7:8], v[7:8], v[9:10], v[7:8]
	s_delay_alu instid0(VALU_DEP_1) | instskip(NEXT) | instid1(VALU_DEP_1)
	v_mul_f64 v[9:10], v[11:12], v[7:8]
	v_fma_f64 v[5:6], -v[5:6], v[9:10], v[11:12]
	s_delay_alu instid0(VALU_DEP_1) | instskip(NEXT) | instid1(VALU_DEP_1)
	v_div_fmas_f64 v[5:6], v[5:6], v[7:8], v[9:10]
	v_div_fixup_f64 v[5:6], v[5:6], v[3:4], v[1:2]
	s_delay_alu instid0(VALU_DEP_1) | instskip(NEXT) | instid1(VALU_DEP_1)
	v_fma_f64 v[1:2], v[1:2], v[5:6], v[3:4]
	v_div_scale_f64 v[3:4], null, v[1:2], v[1:2], 1.0
	v_div_scale_f64 v[11:12], vcc_lo, 1.0, v[1:2], 1.0
	s_delay_alu instid0(VALU_DEP_2) | instskip(SKIP_2) | instid1(VALU_DEP_1)
	v_rcp_f64_e32 v[7:8], v[3:4]
	s_waitcnt_depctr 0xfff
	v_fma_f64 v[9:10], -v[3:4], v[7:8], 1.0
	v_fma_f64 v[7:8], v[7:8], v[9:10], v[7:8]
	s_delay_alu instid0(VALU_DEP_1) | instskip(NEXT) | instid1(VALU_DEP_1)
	v_fma_f64 v[9:10], -v[3:4], v[7:8], 1.0
	v_fma_f64 v[7:8], v[7:8], v[9:10], v[7:8]
	s_delay_alu instid0(VALU_DEP_1) | instskip(NEXT) | instid1(VALU_DEP_1)
	v_mul_f64 v[9:10], v[11:12], v[7:8]
	v_fma_f64 v[3:4], -v[3:4], v[9:10], v[11:12]
	s_delay_alu instid0(VALU_DEP_1) | instskip(NEXT) | instid1(VALU_DEP_1)
	v_div_fmas_f64 v[3:4], v[3:4], v[7:8], v[9:10]
	v_div_fixup_f64 v[7:8], v[3:4], v[1:2], 1.0
                                        ; implicit-def: $vgpr1_vgpr2
	s_delay_alu instid0(VALU_DEP_1) | instskip(SKIP_1) | instid1(VALU_DEP_2)
	v_mul_f64 v[5:6], v[5:6], v[7:8]
	v_xor_b32_e32 v8, 0x80000000, v8
	v_xor_b32_e32 v10, 0x80000000, v6
	s_delay_alu instid0(VALU_DEP_3)
	v_mov_b32_e32 v9, v5
.LBB121_15:
	s_and_not1_saveexec_b32 s3, s3
	s_cbranch_execz .LBB121_17
; %bb.16:
	v_div_scale_f64 v[5:6], null, v[1:2], v[1:2], v[3:4]
	v_div_scale_f64 v[11:12], vcc_lo, v[3:4], v[1:2], v[3:4]
	s_delay_alu instid0(VALU_DEP_2) | instskip(SKIP_2) | instid1(VALU_DEP_1)
	v_rcp_f64_e32 v[7:8], v[5:6]
	s_waitcnt_depctr 0xfff
	v_fma_f64 v[9:10], -v[5:6], v[7:8], 1.0
	v_fma_f64 v[7:8], v[7:8], v[9:10], v[7:8]
	s_delay_alu instid0(VALU_DEP_1) | instskip(NEXT) | instid1(VALU_DEP_1)
	v_fma_f64 v[9:10], -v[5:6], v[7:8], 1.0
	v_fma_f64 v[7:8], v[7:8], v[9:10], v[7:8]
	s_delay_alu instid0(VALU_DEP_1) | instskip(NEXT) | instid1(VALU_DEP_1)
	v_mul_f64 v[9:10], v[11:12], v[7:8]
	v_fma_f64 v[5:6], -v[5:6], v[9:10], v[11:12]
	s_delay_alu instid0(VALU_DEP_1) | instskip(NEXT) | instid1(VALU_DEP_1)
	v_div_fmas_f64 v[5:6], v[5:6], v[7:8], v[9:10]
	v_div_fixup_f64 v[7:8], v[5:6], v[1:2], v[3:4]
	s_delay_alu instid0(VALU_DEP_1) | instskip(NEXT) | instid1(VALU_DEP_1)
	v_fma_f64 v[1:2], v[3:4], v[7:8], v[1:2]
	v_div_scale_f64 v[3:4], null, v[1:2], v[1:2], 1.0
	s_delay_alu instid0(VALU_DEP_1) | instskip(SKIP_2) | instid1(VALU_DEP_1)
	v_rcp_f64_e32 v[5:6], v[3:4]
	s_waitcnt_depctr 0xfff
	v_fma_f64 v[9:10], -v[3:4], v[5:6], 1.0
	v_fma_f64 v[5:6], v[5:6], v[9:10], v[5:6]
	s_delay_alu instid0(VALU_DEP_1) | instskip(NEXT) | instid1(VALU_DEP_1)
	v_fma_f64 v[9:10], -v[3:4], v[5:6], 1.0
	v_fma_f64 v[5:6], v[5:6], v[9:10], v[5:6]
	v_div_scale_f64 v[9:10], vcc_lo, 1.0, v[1:2], 1.0
	s_delay_alu instid0(VALU_DEP_1) | instskip(NEXT) | instid1(VALU_DEP_1)
	v_mul_f64 v[11:12], v[9:10], v[5:6]
	v_fma_f64 v[3:4], -v[3:4], v[11:12], v[9:10]
	s_delay_alu instid0(VALU_DEP_1) | instskip(NEXT) | instid1(VALU_DEP_1)
	v_div_fmas_f64 v[3:4], v[3:4], v[5:6], v[11:12]
	v_div_fixup_f64 v[5:6], v[3:4], v[1:2], 1.0
	s_delay_alu instid0(VALU_DEP_1)
	v_mul_f64 v[7:8], v[7:8], -v[5:6]
	v_xor_b32_e32 v10, 0x80000000, v6
	v_mov_b32_e32 v9, v5
.LBB121_17:
	s_or_b32 exec_lo, exec_lo, s3
	scratch_store_b128 v14, v[5:8], off
	scratch_load_b128 v[1:4], v215, off
	v_xor_b32_e32 v12, 0x80000000, v8
	v_mov_b32_e32 v11, v7
	v_add_nc_u32_e32 v5, 0x3a0, v13
	ds_store_b128 v13, v[9:12]
	s_waitcnt vmcnt(0)
	ds_store_b128 v13, v[1:4] offset:928
	s_waitcnt lgkmcnt(0)
	s_waitcnt_vscnt null, 0x0
	s_barrier
	buffer_gl0_inv
	s_and_saveexec_b32 s3, s2
	s_cbranch_execz .LBB121_19
; %bb.18:
	scratch_load_b128 v[1:4], v14, off
	ds_load_b128 v[6:9], v5
	v_mov_b32_e32 v10, 0
	ds_load_b128 v[15:18], v10 offset:16
	s_waitcnt vmcnt(0) lgkmcnt(1)
	v_mul_f64 v[10:11], v[6:7], v[3:4]
	v_mul_f64 v[3:4], v[8:9], v[3:4]
	s_delay_alu instid0(VALU_DEP_2) | instskip(NEXT) | instid1(VALU_DEP_2)
	v_fma_f64 v[8:9], v[8:9], v[1:2], v[10:11]
	v_fma_f64 v[1:2], v[6:7], v[1:2], -v[3:4]
	s_delay_alu instid0(VALU_DEP_2) | instskip(NEXT) | instid1(VALU_DEP_2)
	v_add_f64 v[3:4], v[8:9], 0
	v_add_f64 v[1:2], v[1:2], 0
	s_waitcnt lgkmcnt(0)
	s_delay_alu instid0(VALU_DEP_2) | instskip(NEXT) | instid1(VALU_DEP_2)
	v_mul_f64 v[6:7], v[3:4], v[17:18]
	v_mul_f64 v[8:9], v[1:2], v[17:18]
	s_delay_alu instid0(VALU_DEP_2) | instskip(NEXT) | instid1(VALU_DEP_2)
	v_fma_f64 v[1:2], v[1:2], v[15:16], -v[6:7]
	v_fma_f64 v[3:4], v[3:4], v[15:16], v[8:9]
	scratch_store_b128 off, v[1:4], off offset:16
.LBB121_19:
	s_or_b32 exec_lo, exec_lo, s3
	s_waitcnt_vscnt null, 0x0
	s_barrier
	buffer_gl0_inv
	scratch_load_b128 v[1:4], v214, off
	s_mov_b32 s3, exec_lo
	s_waitcnt vmcnt(0)
	ds_store_b128 v5, v[1:4]
	s_waitcnt lgkmcnt(0)
	s_barrier
	buffer_gl0_inv
	v_cmpx_gt_u32_e32 2, v158
	s_cbranch_execz .LBB121_23
; %bb.20:
	scratch_load_b128 v[1:4], v14, off
	ds_load_b128 v[6:9], v5
	s_waitcnt vmcnt(0) lgkmcnt(0)
	v_mul_f64 v[10:11], v[8:9], v[3:4]
	v_mul_f64 v[3:4], v[6:7], v[3:4]
	s_delay_alu instid0(VALU_DEP_2) | instskip(NEXT) | instid1(VALU_DEP_2)
	v_fma_f64 v[6:7], v[6:7], v[1:2], -v[10:11]
	v_fma_f64 v[3:4], v[8:9], v[1:2], v[3:4]
	s_delay_alu instid0(VALU_DEP_2) | instskip(NEXT) | instid1(VALU_DEP_2)
	v_add_f64 v[1:2], v[6:7], 0
	v_add_f64 v[3:4], v[3:4], 0
	s_and_saveexec_b32 s4, s2
	s_cbranch_execz .LBB121_22
; %bb.21:
	scratch_load_b128 v[6:9], off, off offset:16
	v_mov_b32_e32 v10, 0
	ds_load_b128 v[15:18], v10 offset:944
	s_waitcnt vmcnt(0) lgkmcnt(0)
	v_mul_f64 v[10:11], v[15:16], v[8:9]
	v_mul_f64 v[8:9], v[17:18], v[8:9]
	s_delay_alu instid0(VALU_DEP_2) | instskip(NEXT) | instid1(VALU_DEP_2)
	v_fma_f64 v[10:11], v[17:18], v[6:7], v[10:11]
	v_fma_f64 v[6:7], v[15:16], v[6:7], -v[8:9]
	s_delay_alu instid0(VALU_DEP_2) | instskip(NEXT) | instid1(VALU_DEP_2)
	v_add_f64 v[3:4], v[3:4], v[10:11]
	v_add_f64 v[1:2], v[1:2], v[6:7]
.LBB121_22:
	s_or_b32 exec_lo, exec_lo, s4
	v_mov_b32_e32 v6, 0
	ds_load_b128 v[6:9], v6 offset:32
	s_waitcnt lgkmcnt(0)
	v_mul_f64 v[10:11], v[3:4], v[8:9]
	v_mul_f64 v[8:9], v[1:2], v[8:9]
	s_delay_alu instid0(VALU_DEP_2) | instskip(NEXT) | instid1(VALU_DEP_2)
	v_fma_f64 v[1:2], v[1:2], v[6:7], -v[10:11]
	v_fma_f64 v[3:4], v[3:4], v[6:7], v[8:9]
	scratch_store_b128 off, v[1:4], off offset:32
.LBB121_23:
	s_or_b32 exec_lo, exec_lo, s3
	s_waitcnt_vscnt null, 0x0
	s_barrier
	buffer_gl0_inv
	scratch_load_b128 v[1:4], v213, off
	v_add_nc_u32_e32 v6, -1, v158
	s_mov_b32 s2, exec_lo
	s_waitcnt vmcnt(0)
	ds_store_b128 v5, v[1:4]
	s_waitcnt lgkmcnt(0)
	s_barrier
	buffer_gl0_inv
	v_cmpx_gt_u32_e32 3, v158
	s_cbranch_execz .LBB121_27
; %bb.24:
	v_dual_mov_b32 v1, 0 :: v_dual_add_nc_u32 v8, 0x3a0, v13
	v_dual_mov_b32 v2, 0 :: v_dual_add_nc_u32 v7, -1, v158
	v_or_b32_e32 v9, 8, v14
	s_mov_b32 s3, 0
	s_delay_alu instid0(VALU_DEP_2)
	v_dual_mov_b32 v4, v2 :: v_dual_mov_b32 v3, v1
	.p2align	6
.LBB121_25:                             ; =>This Inner Loop Header: Depth=1
	scratch_load_b128 v[15:18], v9, off offset:-8
	ds_load_b128 v[19:22], v8
	v_add_nc_u32_e32 v7, 1, v7
	v_add_nc_u32_e32 v8, 16, v8
	;; [unrolled: 1-line block ×3, first 2 shown]
	s_delay_alu instid0(VALU_DEP_3) | instskip(SKIP_4) | instid1(VALU_DEP_2)
	v_cmp_lt_u32_e32 vcc_lo, 1, v7
	s_or_b32 s3, vcc_lo, s3
	s_waitcnt vmcnt(0) lgkmcnt(0)
	v_mul_f64 v[10:11], v[21:22], v[17:18]
	v_mul_f64 v[17:18], v[19:20], v[17:18]
	v_fma_f64 v[10:11], v[19:20], v[15:16], -v[10:11]
	s_delay_alu instid0(VALU_DEP_2) | instskip(NEXT) | instid1(VALU_DEP_2)
	v_fma_f64 v[15:16], v[21:22], v[15:16], v[17:18]
	v_add_f64 v[3:4], v[3:4], v[10:11]
	s_delay_alu instid0(VALU_DEP_2)
	v_add_f64 v[1:2], v[1:2], v[15:16]
	s_and_not1_b32 exec_lo, exec_lo, s3
	s_cbranch_execnz .LBB121_25
; %bb.26:
	s_or_b32 exec_lo, exec_lo, s3
	v_mov_b32_e32 v7, 0
	ds_load_b128 v[7:10], v7 offset:48
	s_waitcnt lgkmcnt(0)
	v_mul_f64 v[11:12], v[1:2], v[9:10]
	v_mul_f64 v[15:16], v[3:4], v[9:10]
	s_delay_alu instid0(VALU_DEP_2) | instskip(NEXT) | instid1(VALU_DEP_2)
	v_fma_f64 v[9:10], v[3:4], v[7:8], -v[11:12]
	v_fma_f64 v[11:12], v[1:2], v[7:8], v[15:16]
	scratch_store_b128 off, v[9:12], off offset:48
.LBB121_27:
	s_or_b32 exec_lo, exec_lo, s2
	s_waitcnt_vscnt null, 0x0
	s_barrier
	buffer_gl0_inv
	scratch_load_b128 v[1:4], v212, off
	s_mov_b32 s2, exec_lo
	s_waitcnt vmcnt(0)
	ds_store_b128 v5, v[1:4]
	s_waitcnt lgkmcnt(0)
	s_barrier
	buffer_gl0_inv
	v_cmpx_gt_u32_e32 4, v158
	s_cbranch_execz .LBB121_31
; %bb.28:
	v_dual_mov_b32 v1, 0 :: v_dual_add_nc_u32 v8, 0x3a0, v13
	v_dual_mov_b32 v2, 0 :: v_dual_add_nc_u32 v7, -1, v158
	v_or_b32_e32 v9, 8, v14
	s_mov_b32 s3, 0
	s_delay_alu instid0(VALU_DEP_2)
	v_dual_mov_b32 v4, v2 :: v_dual_mov_b32 v3, v1
	.p2align	6
.LBB121_29:                             ; =>This Inner Loop Header: Depth=1
	scratch_load_b128 v[15:18], v9, off offset:-8
	ds_load_b128 v[19:22], v8
	v_add_nc_u32_e32 v7, 1, v7
	v_add_nc_u32_e32 v8, 16, v8
	;; [unrolled: 1-line block ×3, first 2 shown]
	s_delay_alu instid0(VALU_DEP_3) | instskip(SKIP_4) | instid1(VALU_DEP_2)
	v_cmp_lt_u32_e32 vcc_lo, 2, v7
	s_or_b32 s3, vcc_lo, s3
	s_waitcnt vmcnt(0) lgkmcnt(0)
	v_mul_f64 v[10:11], v[21:22], v[17:18]
	v_mul_f64 v[17:18], v[19:20], v[17:18]
	v_fma_f64 v[10:11], v[19:20], v[15:16], -v[10:11]
	s_delay_alu instid0(VALU_DEP_2) | instskip(NEXT) | instid1(VALU_DEP_2)
	v_fma_f64 v[15:16], v[21:22], v[15:16], v[17:18]
	v_add_f64 v[3:4], v[3:4], v[10:11]
	s_delay_alu instid0(VALU_DEP_2)
	v_add_f64 v[1:2], v[1:2], v[15:16]
	s_and_not1_b32 exec_lo, exec_lo, s3
	s_cbranch_execnz .LBB121_29
; %bb.30:
	s_or_b32 exec_lo, exec_lo, s3
	v_mov_b32_e32 v7, 0
	ds_load_b128 v[7:10], v7 offset:64
	s_waitcnt lgkmcnt(0)
	v_mul_f64 v[11:12], v[1:2], v[9:10]
	v_mul_f64 v[15:16], v[3:4], v[9:10]
	s_delay_alu instid0(VALU_DEP_2) | instskip(NEXT) | instid1(VALU_DEP_2)
	v_fma_f64 v[9:10], v[3:4], v[7:8], -v[11:12]
	v_fma_f64 v[11:12], v[1:2], v[7:8], v[15:16]
	scratch_store_b128 off, v[9:12], off offset:64
.LBB121_31:
	s_or_b32 exec_lo, exec_lo, s2
	s_waitcnt_vscnt null, 0x0
	s_barrier
	buffer_gl0_inv
	scratch_load_b128 v[1:4], v211, off
	s_mov_b32 s2, exec_lo
	s_waitcnt vmcnt(0)
	ds_store_b128 v5, v[1:4]
	s_waitcnt lgkmcnt(0)
	s_barrier
	buffer_gl0_inv
	v_cmpx_gt_u32_e32 5, v158
	s_cbranch_execz .LBB121_35
; %bb.32:
	v_dual_mov_b32 v1, 0 :: v_dual_add_nc_u32 v8, 0x3a0, v13
	v_dual_mov_b32 v2, 0 :: v_dual_add_nc_u32 v7, -1, v158
	v_or_b32_e32 v9, 8, v14
	s_mov_b32 s3, 0
	s_delay_alu instid0(VALU_DEP_2)
	v_dual_mov_b32 v4, v2 :: v_dual_mov_b32 v3, v1
	.p2align	6
.LBB121_33:                             ; =>This Inner Loop Header: Depth=1
	scratch_load_b128 v[15:18], v9, off offset:-8
	ds_load_b128 v[19:22], v8
	v_add_nc_u32_e32 v7, 1, v7
	v_add_nc_u32_e32 v8, 16, v8
	;; [unrolled: 1-line block ×3, first 2 shown]
	s_delay_alu instid0(VALU_DEP_3) | instskip(SKIP_4) | instid1(VALU_DEP_2)
	v_cmp_lt_u32_e32 vcc_lo, 3, v7
	s_or_b32 s3, vcc_lo, s3
	s_waitcnt vmcnt(0) lgkmcnt(0)
	v_mul_f64 v[10:11], v[21:22], v[17:18]
	v_mul_f64 v[17:18], v[19:20], v[17:18]
	v_fma_f64 v[10:11], v[19:20], v[15:16], -v[10:11]
	s_delay_alu instid0(VALU_DEP_2) | instskip(NEXT) | instid1(VALU_DEP_2)
	v_fma_f64 v[15:16], v[21:22], v[15:16], v[17:18]
	v_add_f64 v[3:4], v[3:4], v[10:11]
	s_delay_alu instid0(VALU_DEP_2)
	v_add_f64 v[1:2], v[1:2], v[15:16]
	s_and_not1_b32 exec_lo, exec_lo, s3
	s_cbranch_execnz .LBB121_33
; %bb.34:
	s_or_b32 exec_lo, exec_lo, s3
	v_mov_b32_e32 v7, 0
	ds_load_b128 v[7:10], v7 offset:80
	s_waitcnt lgkmcnt(0)
	v_mul_f64 v[11:12], v[1:2], v[9:10]
	v_mul_f64 v[15:16], v[3:4], v[9:10]
	s_delay_alu instid0(VALU_DEP_2) | instskip(NEXT) | instid1(VALU_DEP_2)
	v_fma_f64 v[9:10], v[3:4], v[7:8], -v[11:12]
	v_fma_f64 v[11:12], v[1:2], v[7:8], v[15:16]
	scratch_store_b128 off, v[9:12], off offset:80
.LBB121_35:
	s_or_b32 exec_lo, exec_lo, s2
	s_waitcnt_vscnt null, 0x0
	s_barrier
	buffer_gl0_inv
	scratch_load_b128 v[1:4], v210, off
	s_mov_b32 s2, exec_lo
	s_waitcnt vmcnt(0)
	ds_store_b128 v5, v[1:4]
	s_waitcnt lgkmcnt(0)
	s_barrier
	buffer_gl0_inv
	v_cmpx_gt_u32_e32 6, v158
	s_cbranch_execz .LBB121_39
; %bb.36:
	v_dual_mov_b32 v1, 0 :: v_dual_add_nc_u32 v8, 0x3a0, v13
	v_dual_mov_b32 v2, 0 :: v_dual_add_nc_u32 v7, -1, v158
	v_or_b32_e32 v9, 8, v14
	s_mov_b32 s3, 0
	s_delay_alu instid0(VALU_DEP_2)
	v_dual_mov_b32 v4, v2 :: v_dual_mov_b32 v3, v1
	.p2align	6
.LBB121_37:                             ; =>This Inner Loop Header: Depth=1
	scratch_load_b128 v[15:18], v9, off offset:-8
	ds_load_b128 v[19:22], v8
	v_add_nc_u32_e32 v7, 1, v7
	v_add_nc_u32_e32 v8, 16, v8
	;; [unrolled: 1-line block ×3, first 2 shown]
	s_delay_alu instid0(VALU_DEP_3) | instskip(SKIP_4) | instid1(VALU_DEP_2)
	v_cmp_lt_u32_e32 vcc_lo, 4, v7
	s_or_b32 s3, vcc_lo, s3
	s_waitcnt vmcnt(0) lgkmcnt(0)
	v_mul_f64 v[10:11], v[21:22], v[17:18]
	v_mul_f64 v[17:18], v[19:20], v[17:18]
	v_fma_f64 v[10:11], v[19:20], v[15:16], -v[10:11]
	s_delay_alu instid0(VALU_DEP_2) | instskip(NEXT) | instid1(VALU_DEP_2)
	v_fma_f64 v[15:16], v[21:22], v[15:16], v[17:18]
	v_add_f64 v[3:4], v[3:4], v[10:11]
	s_delay_alu instid0(VALU_DEP_2)
	v_add_f64 v[1:2], v[1:2], v[15:16]
	s_and_not1_b32 exec_lo, exec_lo, s3
	s_cbranch_execnz .LBB121_37
; %bb.38:
	s_or_b32 exec_lo, exec_lo, s3
	v_mov_b32_e32 v7, 0
	ds_load_b128 v[7:10], v7 offset:96
	s_waitcnt lgkmcnt(0)
	v_mul_f64 v[11:12], v[1:2], v[9:10]
	v_mul_f64 v[15:16], v[3:4], v[9:10]
	s_delay_alu instid0(VALU_DEP_2) | instskip(NEXT) | instid1(VALU_DEP_2)
	v_fma_f64 v[9:10], v[3:4], v[7:8], -v[11:12]
	v_fma_f64 v[11:12], v[1:2], v[7:8], v[15:16]
	scratch_store_b128 off, v[9:12], off offset:96
.LBB121_39:
	s_or_b32 exec_lo, exec_lo, s2
	s_waitcnt_vscnt null, 0x0
	s_barrier
	buffer_gl0_inv
	scratch_load_b128 v[1:4], v209, off
	s_mov_b32 s2, exec_lo
	s_waitcnt vmcnt(0)
	ds_store_b128 v5, v[1:4]
	s_waitcnt lgkmcnt(0)
	s_barrier
	buffer_gl0_inv
	v_cmpx_gt_u32_e32 7, v158
	s_cbranch_execz .LBB121_43
; %bb.40:
	v_dual_mov_b32 v1, 0 :: v_dual_add_nc_u32 v8, 0x3a0, v13
	v_dual_mov_b32 v2, 0 :: v_dual_add_nc_u32 v7, -1, v158
	v_or_b32_e32 v9, 8, v14
	s_mov_b32 s3, 0
	s_delay_alu instid0(VALU_DEP_2)
	v_dual_mov_b32 v4, v2 :: v_dual_mov_b32 v3, v1
	.p2align	6
.LBB121_41:                             ; =>This Inner Loop Header: Depth=1
	scratch_load_b128 v[15:18], v9, off offset:-8
	ds_load_b128 v[19:22], v8
	v_add_nc_u32_e32 v7, 1, v7
	v_add_nc_u32_e32 v8, 16, v8
	;; [unrolled: 1-line block ×3, first 2 shown]
	s_delay_alu instid0(VALU_DEP_3) | instskip(SKIP_4) | instid1(VALU_DEP_2)
	v_cmp_lt_u32_e32 vcc_lo, 5, v7
	s_or_b32 s3, vcc_lo, s3
	s_waitcnt vmcnt(0) lgkmcnt(0)
	v_mul_f64 v[10:11], v[21:22], v[17:18]
	v_mul_f64 v[17:18], v[19:20], v[17:18]
	v_fma_f64 v[10:11], v[19:20], v[15:16], -v[10:11]
	s_delay_alu instid0(VALU_DEP_2) | instskip(NEXT) | instid1(VALU_DEP_2)
	v_fma_f64 v[15:16], v[21:22], v[15:16], v[17:18]
	v_add_f64 v[3:4], v[3:4], v[10:11]
	s_delay_alu instid0(VALU_DEP_2)
	v_add_f64 v[1:2], v[1:2], v[15:16]
	s_and_not1_b32 exec_lo, exec_lo, s3
	s_cbranch_execnz .LBB121_41
; %bb.42:
	s_or_b32 exec_lo, exec_lo, s3
	v_mov_b32_e32 v7, 0
	ds_load_b128 v[7:10], v7 offset:112
	s_waitcnt lgkmcnt(0)
	v_mul_f64 v[11:12], v[1:2], v[9:10]
	v_mul_f64 v[15:16], v[3:4], v[9:10]
	s_delay_alu instid0(VALU_DEP_2) | instskip(NEXT) | instid1(VALU_DEP_2)
	v_fma_f64 v[9:10], v[3:4], v[7:8], -v[11:12]
	v_fma_f64 v[11:12], v[1:2], v[7:8], v[15:16]
	scratch_store_b128 off, v[9:12], off offset:112
.LBB121_43:
	s_or_b32 exec_lo, exec_lo, s2
	s_waitcnt_vscnt null, 0x0
	s_barrier
	buffer_gl0_inv
	scratch_load_b128 v[1:4], v208, off
	s_mov_b32 s2, exec_lo
	s_waitcnt vmcnt(0)
	ds_store_b128 v5, v[1:4]
	s_waitcnt lgkmcnt(0)
	s_barrier
	buffer_gl0_inv
	v_cmpx_gt_u32_e32 8, v158
	s_cbranch_execz .LBB121_47
; %bb.44:
	v_dual_mov_b32 v1, 0 :: v_dual_add_nc_u32 v8, 0x3a0, v13
	v_dual_mov_b32 v2, 0 :: v_dual_add_nc_u32 v7, -1, v158
	v_or_b32_e32 v9, 8, v14
	s_mov_b32 s3, 0
	s_delay_alu instid0(VALU_DEP_2)
	v_dual_mov_b32 v4, v2 :: v_dual_mov_b32 v3, v1
	.p2align	6
.LBB121_45:                             ; =>This Inner Loop Header: Depth=1
	scratch_load_b128 v[15:18], v9, off offset:-8
	ds_load_b128 v[19:22], v8
	v_add_nc_u32_e32 v7, 1, v7
	v_add_nc_u32_e32 v8, 16, v8
	;; [unrolled: 1-line block ×3, first 2 shown]
	s_delay_alu instid0(VALU_DEP_3) | instskip(SKIP_4) | instid1(VALU_DEP_2)
	v_cmp_lt_u32_e32 vcc_lo, 6, v7
	s_or_b32 s3, vcc_lo, s3
	s_waitcnt vmcnt(0) lgkmcnt(0)
	v_mul_f64 v[10:11], v[21:22], v[17:18]
	v_mul_f64 v[17:18], v[19:20], v[17:18]
	v_fma_f64 v[10:11], v[19:20], v[15:16], -v[10:11]
	s_delay_alu instid0(VALU_DEP_2) | instskip(NEXT) | instid1(VALU_DEP_2)
	v_fma_f64 v[15:16], v[21:22], v[15:16], v[17:18]
	v_add_f64 v[3:4], v[3:4], v[10:11]
	s_delay_alu instid0(VALU_DEP_2)
	v_add_f64 v[1:2], v[1:2], v[15:16]
	s_and_not1_b32 exec_lo, exec_lo, s3
	s_cbranch_execnz .LBB121_45
; %bb.46:
	s_or_b32 exec_lo, exec_lo, s3
	v_mov_b32_e32 v7, 0
	ds_load_b128 v[7:10], v7 offset:128
	s_waitcnt lgkmcnt(0)
	v_mul_f64 v[11:12], v[1:2], v[9:10]
	v_mul_f64 v[15:16], v[3:4], v[9:10]
	s_delay_alu instid0(VALU_DEP_2) | instskip(NEXT) | instid1(VALU_DEP_2)
	v_fma_f64 v[9:10], v[3:4], v[7:8], -v[11:12]
	v_fma_f64 v[11:12], v[1:2], v[7:8], v[15:16]
	scratch_store_b128 off, v[9:12], off offset:128
.LBB121_47:
	s_or_b32 exec_lo, exec_lo, s2
	s_waitcnt_vscnt null, 0x0
	s_barrier
	buffer_gl0_inv
	scratch_load_b128 v[1:4], v207, off
	s_mov_b32 s2, exec_lo
	s_waitcnt vmcnt(0)
	ds_store_b128 v5, v[1:4]
	s_waitcnt lgkmcnt(0)
	s_barrier
	buffer_gl0_inv
	v_cmpx_gt_u32_e32 9, v158
	s_cbranch_execz .LBB121_51
; %bb.48:
	v_dual_mov_b32 v1, 0 :: v_dual_add_nc_u32 v8, 0x3a0, v13
	v_dual_mov_b32 v2, 0 :: v_dual_add_nc_u32 v7, -1, v158
	v_or_b32_e32 v9, 8, v14
	s_mov_b32 s3, 0
	s_delay_alu instid0(VALU_DEP_2)
	v_dual_mov_b32 v4, v2 :: v_dual_mov_b32 v3, v1
	.p2align	6
.LBB121_49:                             ; =>This Inner Loop Header: Depth=1
	scratch_load_b128 v[15:18], v9, off offset:-8
	ds_load_b128 v[19:22], v8
	v_add_nc_u32_e32 v7, 1, v7
	v_add_nc_u32_e32 v8, 16, v8
	;; [unrolled: 1-line block ×3, first 2 shown]
	s_delay_alu instid0(VALU_DEP_3) | instskip(SKIP_4) | instid1(VALU_DEP_2)
	v_cmp_lt_u32_e32 vcc_lo, 7, v7
	s_or_b32 s3, vcc_lo, s3
	s_waitcnt vmcnt(0) lgkmcnt(0)
	v_mul_f64 v[10:11], v[21:22], v[17:18]
	v_mul_f64 v[17:18], v[19:20], v[17:18]
	v_fma_f64 v[10:11], v[19:20], v[15:16], -v[10:11]
	s_delay_alu instid0(VALU_DEP_2) | instskip(NEXT) | instid1(VALU_DEP_2)
	v_fma_f64 v[15:16], v[21:22], v[15:16], v[17:18]
	v_add_f64 v[3:4], v[3:4], v[10:11]
	s_delay_alu instid0(VALU_DEP_2)
	v_add_f64 v[1:2], v[1:2], v[15:16]
	s_and_not1_b32 exec_lo, exec_lo, s3
	s_cbranch_execnz .LBB121_49
; %bb.50:
	s_or_b32 exec_lo, exec_lo, s3
	v_mov_b32_e32 v7, 0
	ds_load_b128 v[7:10], v7 offset:144
	s_waitcnt lgkmcnt(0)
	v_mul_f64 v[11:12], v[1:2], v[9:10]
	v_mul_f64 v[15:16], v[3:4], v[9:10]
	s_delay_alu instid0(VALU_DEP_2) | instskip(NEXT) | instid1(VALU_DEP_2)
	v_fma_f64 v[9:10], v[3:4], v[7:8], -v[11:12]
	v_fma_f64 v[11:12], v[1:2], v[7:8], v[15:16]
	scratch_store_b128 off, v[9:12], off offset:144
.LBB121_51:
	s_or_b32 exec_lo, exec_lo, s2
	s_waitcnt_vscnt null, 0x0
	s_barrier
	buffer_gl0_inv
	scratch_load_b128 v[1:4], v206, off
	s_mov_b32 s2, exec_lo
	s_waitcnt vmcnt(0)
	ds_store_b128 v5, v[1:4]
	s_waitcnt lgkmcnt(0)
	s_barrier
	buffer_gl0_inv
	v_cmpx_gt_u32_e32 10, v158
	s_cbranch_execz .LBB121_55
; %bb.52:
	v_dual_mov_b32 v1, 0 :: v_dual_add_nc_u32 v8, 0x3a0, v13
	v_dual_mov_b32 v2, 0 :: v_dual_add_nc_u32 v7, -1, v158
	v_or_b32_e32 v9, 8, v14
	s_mov_b32 s3, 0
	s_delay_alu instid0(VALU_DEP_2)
	v_dual_mov_b32 v4, v2 :: v_dual_mov_b32 v3, v1
	.p2align	6
.LBB121_53:                             ; =>This Inner Loop Header: Depth=1
	scratch_load_b128 v[15:18], v9, off offset:-8
	ds_load_b128 v[19:22], v8
	v_add_nc_u32_e32 v7, 1, v7
	v_add_nc_u32_e32 v8, 16, v8
	;; [unrolled: 1-line block ×3, first 2 shown]
	s_delay_alu instid0(VALU_DEP_3) | instskip(SKIP_4) | instid1(VALU_DEP_2)
	v_cmp_lt_u32_e32 vcc_lo, 8, v7
	s_or_b32 s3, vcc_lo, s3
	s_waitcnt vmcnt(0) lgkmcnt(0)
	v_mul_f64 v[10:11], v[21:22], v[17:18]
	v_mul_f64 v[17:18], v[19:20], v[17:18]
	v_fma_f64 v[10:11], v[19:20], v[15:16], -v[10:11]
	s_delay_alu instid0(VALU_DEP_2) | instskip(NEXT) | instid1(VALU_DEP_2)
	v_fma_f64 v[15:16], v[21:22], v[15:16], v[17:18]
	v_add_f64 v[3:4], v[3:4], v[10:11]
	s_delay_alu instid0(VALU_DEP_2)
	v_add_f64 v[1:2], v[1:2], v[15:16]
	s_and_not1_b32 exec_lo, exec_lo, s3
	s_cbranch_execnz .LBB121_53
; %bb.54:
	s_or_b32 exec_lo, exec_lo, s3
	v_mov_b32_e32 v7, 0
	ds_load_b128 v[7:10], v7 offset:160
	s_waitcnt lgkmcnt(0)
	v_mul_f64 v[11:12], v[1:2], v[9:10]
	v_mul_f64 v[15:16], v[3:4], v[9:10]
	s_delay_alu instid0(VALU_DEP_2) | instskip(NEXT) | instid1(VALU_DEP_2)
	v_fma_f64 v[9:10], v[3:4], v[7:8], -v[11:12]
	v_fma_f64 v[11:12], v[1:2], v[7:8], v[15:16]
	scratch_store_b128 off, v[9:12], off offset:160
.LBB121_55:
	s_or_b32 exec_lo, exec_lo, s2
	s_waitcnt_vscnt null, 0x0
	s_barrier
	buffer_gl0_inv
	scratch_load_b128 v[1:4], v205, off
	s_mov_b32 s2, exec_lo
	s_waitcnt vmcnt(0)
	ds_store_b128 v5, v[1:4]
	s_waitcnt lgkmcnt(0)
	s_barrier
	buffer_gl0_inv
	v_cmpx_gt_u32_e32 11, v158
	s_cbranch_execz .LBB121_59
; %bb.56:
	v_dual_mov_b32 v1, 0 :: v_dual_add_nc_u32 v8, 0x3a0, v13
	v_dual_mov_b32 v2, 0 :: v_dual_add_nc_u32 v7, -1, v158
	v_or_b32_e32 v9, 8, v14
	s_mov_b32 s3, 0
	s_delay_alu instid0(VALU_DEP_2)
	v_dual_mov_b32 v4, v2 :: v_dual_mov_b32 v3, v1
	.p2align	6
.LBB121_57:                             ; =>This Inner Loop Header: Depth=1
	scratch_load_b128 v[15:18], v9, off offset:-8
	ds_load_b128 v[19:22], v8
	v_add_nc_u32_e32 v7, 1, v7
	v_add_nc_u32_e32 v8, 16, v8
	;; [unrolled: 1-line block ×3, first 2 shown]
	s_delay_alu instid0(VALU_DEP_3) | instskip(SKIP_4) | instid1(VALU_DEP_2)
	v_cmp_lt_u32_e32 vcc_lo, 9, v7
	s_or_b32 s3, vcc_lo, s3
	s_waitcnt vmcnt(0) lgkmcnt(0)
	v_mul_f64 v[10:11], v[21:22], v[17:18]
	v_mul_f64 v[17:18], v[19:20], v[17:18]
	v_fma_f64 v[10:11], v[19:20], v[15:16], -v[10:11]
	s_delay_alu instid0(VALU_DEP_2) | instskip(NEXT) | instid1(VALU_DEP_2)
	v_fma_f64 v[15:16], v[21:22], v[15:16], v[17:18]
	v_add_f64 v[3:4], v[3:4], v[10:11]
	s_delay_alu instid0(VALU_DEP_2)
	v_add_f64 v[1:2], v[1:2], v[15:16]
	s_and_not1_b32 exec_lo, exec_lo, s3
	s_cbranch_execnz .LBB121_57
; %bb.58:
	s_or_b32 exec_lo, exec_lo, s3
	v_mov_b32_e32 v7, 0
	ds_load_b128 v[7:10], v7 offset:176
	s_waitcnt lgkmcnt(0)
	v_mul_f64 v[11:12], v[1:2], v[9:10]
	v_mul_f64 v[15:16], v[3:4], v[9:10]
	s_delay_alu instid0(VALU_DEP_2) | instskip(NEXT) | instid1(VALU_DEP_2)
	v_fma_f64 v[9:10], v[3:4], v[7:8], -v[11:12]
	v_fma_f64 v[11:12], v[1:2], v[7:8], v[15:16]
	scratch_store_b128 off, v[9:12], off offset:176
.LBB121_59:
	s_or_b32 exec_lo, exec_lo, s2
	s_waitcnt_vscnt null, 0x0
	s_barrier
	buffer_gl0_inv
	scratch_load_b128 v[1:4], v204, off
	s_mov_b32 s2, exec_lo
	s_waitcnt vmcnt(0)
	ds_store_b128 v5, v[1:4]
	s_waitcnt lgkmcnt(0)
	s_barrier
	buffer_gl0_inv
	v_cmpx_gt_u32_e32 12, v158
	s_cbranch_execz .LBB121_63
; %bb.60:
	v_dual_mov_b32 v1, 0 :: v_dual_add_nc_u32 v8, 0x3a0, v13
	v_dual_mov_b32 v2, 0 :: v_dual_add_nc_u32 v7, -1, v158
	v_or_b32_e32 v9, 8, v14
	s_mov_b32 s3, 0
	s_delay_alu instid0(VALU_DEP_2)
	v_dual_mov_b32 v4, v2 :: v_dual_mov_b32 v3, v1
	.p2align	6
.LBB121_61:                             ; =>This Inner Loop Header: Depth=1
	scratch_load_b128 v[15:18], v9, off offset:-8
	ds_load_b128 v[19:22], v8
	v_add_nc_u32_e32 v7, 1, v7
	v_add_nc_u32_e32 v8, 16, v8
	;; [unrolled: 1-line block ×3, first 2 shown]
	s_delay_alu instid0(VALU_DEP_3) | instskip(SKIP_4) | instid1(VALU_DEP_2)
	v_cmp_lt_u32_e32 vcc_lo, 10, v7
	s_or_b32 s3, vcc_lo, s3
	s_waitcnt vmcnt(0) lgkmcnt(0)
	v_mul_f64 v[10:11], v[21:22], v[17:18]
	v_mul_f64 v[17:18], v[19:20], v[17:18]
	v_fma_f64 v[10:11], v[19:20], v[15:16], -v[10:11]
	s_delay_alu instid0(VALU_DEP_2) | instskip(NEXT) | instid1(VALU_DEP_2)
	v_fma_f64 v[15:16], v[21:22], v[15:16], v[17:18]
	v_add_f64 v[3:4], v[3:4], v[10:11]
	s_delay_alu instid0(VALU_DEP_2)
	v_add_f64 v[1:2], v[1:2], v[15:16]
	s_and_not1_b32 exec_lo, exec_lo, s3
	s_cbranch_execnz .LBB121_61
; %bb.62:
	s_or_b32 exec_lo, exec_lo, s3
	v_mov_b32_e32 v7, 0
	ds_load_b128 v[7:10], v7 offset:192
	s_waitcnt lgkmcnt(0)
	v_mul_f64 v[11:12], v[1:2], v[9:10]
	v_mul_f64 v[15:16], v[3:4], v[9:10]
	s_delay_alu instid0(VALU_DEP_2) | instskip(NEXT) | instid1(VALU_DEP_2)
	v_fma_f64 v[9:10], v[3:4], v[7:8], -v[11:12]
	v_fma_f64 v[11:12], v[1:2], v[7:8], v[15:16]
	scratch_store_b128 off, v[9:12], off offset:192
.LBB121_63:
	s_or_b32 exec_lo, exec_lo, s2
	s_waitcnt_vscnt null, 0x0
	s_barrier
	buffer_gl0_inv
	scratch_load_b128 v[1:4], v203, off
	s_mov_b32 s2, exec_lo
	s_waitcnt vmcnt(0)
	ds_store_b128 v5, v[1:4]
	s_waitcnt lgkmcnt(0)
	s_barrier
	buffer_gl0_inv
	v_cmpx_gt_u32_e32 13, v158
	s_cbranch_execz .LBB121_67
; %bb.64:
	v_dual_mov_b32 v1, 0 :: v_dual_add_nc_u32 v8, 0x3a0, v13
	v_dual_mov_b32 v2, 0 :: v_dual_add_nc_u32 v7, -1, v158
	v_or_b32_e32 v9, 8, v14
	s_mov_b32 s3, 0
	s_delay_alu instid0(VALU_DEP_2)
	v_dual_mov_b32 v4, v2 :: v_dual_mov_b32 v3, v1
	.p2align	6
.LBB121_65:                             ; =>This Inner Loop Header: Depth=1
	scratch_load_b128 v[15:18], v9, off offset:-8
	ds_load_b128 v[19:22], v8
	v_add_nc_u32_e32 v7, 1, v7
	v_add_nc_u32_e32 v8, 16, v8
	;; [unrolled: 1-line block ×3, first 2 shown]
	s_delay_alu instid0(VALU_DEP_3) | instskip(SKIP_4) | instid1(VALU_DEP_2)
	v_cmp_lt_u32_e32 vcc_lo, 11, v7
	s_or_b32 s3, vcc_lo, s3
	s_waitcnt vmcnt(0) lgkmcnt(0)
	v_mul_f64 v[10:11], v[21:22], v[17:18]
	v_mul_f64 v[17:18], v[19:20], v[17:18]
	v_fma_f64 v[10:11], v[19:20], v[15:16], -v[10:11]
	s_delay_alu instid0(VALU_DEP_2) | instskip(NEXT) | instid1(VALU_DEP_2)
	v_fma_f64 v[15:16], v[21:22], v[15:16], v[17:18]
	v_add_f64 v[3:4], v[3:4], v[10:11]
	s_delay_alu instid0(VALU_DEP_2)
	v_add_f64 v[1:2], v[1:2], v[15:16]
	s_and_not1_b32 exec_lo, exec_lo, s3
	s_cbranch_execnz .LBB121_65
; %bb.66:
	s_or_b32 exec_lo, exec_lo, s3
	v_mov_b32_e32 v7, 0
	ds_load_b128 v[7:10], v7 offset:208
	s_waitcnt lgkmcnt(0)
	v_mul_f64 v[11:12], v[1:2], v[9:10]
	v_mul_f64 v[15:16], v[3:4], v[9:10]
	s_delay_alu instid0(VALU_DEP_2) | instskip(NEXT) | instid1(VALU_DEP_2)
	v_fma_f64 v[9:10], v[3:4], v[7:8], -v[11:12]
	v_fma_f64 v[11:12], v[1:2], v[7:8], v[15:16]
	scratch_store_b128 off, v[9:12], off offset:208
.LBB121_67:
	s_or_b32 exec_lo, exec_lo, s2
	s_waitcnt_vscnt null, 0x0
	s_barrier
	buffer_gl0_inv
	scratch_load_b128 v[1:4], v202, off
	s_mov_b32 s2, exec_lo
	s_waitcnt vmcnt(0)
	ds_store_b128 v5, v[1:4]
	s_waitcnt lgkmcnt(0)
	s_barrier
	buffer_gl0_inv
	v_cmpx_gt_u32_e32 14, v158
	s_cbranch_execz .LBB121_71
; %bb.68:
	v_dual_mov_b32 v1, 0 :: v_dual_add_nc_u32 v8, 0x3a0, v13
	v_dual_mov_b32 v2, 0 :: v_dual_add_nc_u32 v7, -1, v158
	v_or_b32_e32 v9, 8, v14
	s_mov_b32 s3, 0
	s_delay_alu instid0(VALU_DEP_2)
	v_dual_mov_b32 v4, v2 :: v_dual_mov_b32 v3, v1
	.p2align	6
.LBB121_69:                             ; =>This Inner Loop Header: Depth=1
	scratch_load_b128 v[15:18], v9, off offset:-8
	ds_load_b128 v[19:22], v8
	v_add_nc_u32_e32 v7, 1, v7
	v_add_nc_u32_e32 v8, 16, v8
	;; [unrolled: 1-line block ×3, first 2 shown]
	s_delay_alu instid0(VALU_DEP_3) | instskip(SKIP_4) | instid1(VALU_DEP_2)
	v_cmp_lt_u32_e32 vcc_lo, 12, v7
	s_or_b32 s3, vcc_lo, s3
	s_waitcnt vmcnt(0) lgkmcnt(0)
	v_mul_f64 v[10:11], v[21:22], v[17:18]
	v_mul_f64 v[17:18], v[19:20], v[17:18]
	v_fma_f64 v[10:11], v[19:20], v[15:16], -v[10:11]
	s_delay_alu instid0(VALU_DEP_2) | instskip(NEXT) | instid1(VALU_DEP_2)
	v_fma_f64 v[15:16], v[21:22], v[15:16], v[17:18]
	v_add_f64 v[3:4], v[3:4], v[10:11]
	s_delay_alu instid0(VALU_DEP_2)
	v_add_f64 v[1:2], v[1:2], v[15:16]
	s_and_not1_b32 exec_lo, exec_lo, s3
	s_cbranch_execnz .LBB121_69
; %bb.70:
	s_or_b32 exec_lo, exec_lo, s3
	v_mov_b32_e32 v7, 0
	ds_load_b128 v[7:10], v7 offset:224
	s_waitcnt lgkmcnt(0)
	v_mul_f64 v[11:12], v[1:2], v[9:10]
	v_mul_f64 v[15:16], v[3:4], v[9:10]
	s_delay_alu instid0(VALU_DEP_2) | instskip(NEXT) | instid1(VALU_DEP_2)
	v_fma_f64 v[9:10], v[3:4], v[7:8], -v[11:12]
	v_fma_f64 v[11:12], v[1:2], v[7:8], v[15:16]
	scratch_store_b128 off, v[9:12], off offset:224
.LBB121_71:
	s_or_b32 exec_lo, exec_lo, s2
	s_waitcnt_vscnt null, 0x0
	s_barrier
	buffer_gl0_inv
	scratch_load_b128 v[1:4], v201, off
	s_mov_b32 s2, exec_lo
	s_waitcnt vmcnt(0)
	ds_store_b128 v5, v[1:4]
	s_waitcnt lgkmcnt(0)
	s_barrier
	buffer_gl0_inv
	v_cmpx_gt_u32_e32 15, v158
	s_cbranch_execz .LBB121_75
; %bb.72:
	v_dual_mov_b32 v1, 0 :: v_dual_add_nc_u32 v8, 0x3a0, v13
	v_dual_mov_b32 v2, 0 :: v_dual_add_nc_u32 v7, -1, v158
	v_or_b32_e32 v9, 8, v14
	s_mov_b32 s3, 0
	s_delay_alu instid0(VALU_DEP_2)
	v_dual_mov_b32 v4, v2 :: v_dual_mov_b32 v3, v1
	.p2align	6
.LBB121_73:                             ; =>This Inner Loop Header: Depth=1
	scratch_load_b128 v[15:18], v9, off offset:-8
	ds_load_b128 v[19:22], v8
	v_add_nc_u32_e32 v7, 1, v7
	v_add_nc_u32_e32 v8, 16, v8
	;; [unrolled: 1-line block ×3, first 2 shown]
	s_delay_alu instid0(VALU_DEP_3) | instskip(SKIP_4) | instid1(VALU_DEP_2)
	v_cmp_lt_u32_e32 vcc_lo, 13, v7
	s_or_b32 s3, vcc_lo, s3
	s_waitcnt vmcnt(0) lgkmcnt(0)
	v_mul_f64 v[10:11], v[21:22], v[17:18]
	v_mul_f64 v[17:18], v[19:20], v[17:18]
	v_fma_f64 v[10:11], v[19:20], v[15:16], -v[10:11]
	s_delay_alu instid0(VALU_DEP_2) | instskip(NEXT) | instid1(VALU_DEP_2)
	v_fma_f64 v[15:16], v[21:22], v[15:16], v[17:18]
	v_add_f64 v[3:4], v[3:4], v[10:11]
	s_delay_alu instid0(VALU_DEP_2)
	v_add_f64 v[1:2], v[1:2], v[15:16]
	s_and_not1_b32 exec_lo, exec_lo, s3
	s_cbranch_execnz .LBB121_73
; %bb.74:
	s_or_b32 exec_lo, exec_lo, s3
	v_mov_b32_e32 v7, 0
	ds_load_b128 v[7:10], v7 offset:240
	s_waitcnt lgkmcnt(0)
	v_mul_f64 v[11:12], v[1:2], v[9:10]
	v_mul_f64 v[15:16], v[3:4], v[9:10]
	s_delay_alu instid0(VALU_DEP_2) | instskip(NEXT) | instid1(VALU_DEP_2)
	v_fma_f64 v[9:10], v[3:4], v[7:8], -v[11:12]
	v_fma_f64 v[11:12], v[1:2], v[7:8], v[15:16]
	scratch_store_b128 off, v[9:12], off offset:240
.LBB121_75:
	s_or_b32 exec_lo, exec_lo, s2
	s_waitcnt_vscnt null, 0x0
	s_barrier
	buffer_gl0_inv
	scratch_load_b128 v[1:4], v200, off
	s_mov_b32 s2, exec_lo
	s_waitcnt vmcnt(0)
	ds_store_b128 v5, v[1:4]
	s_waitcnt lgkmcnt(0)
	s_barrier
	buffer_gl0_inv
	v_cmpx_gt_u32_e32 16, v158
	s_cbranch_execz .LBB121_79
; %bb.76:
	v_dual_mov_b32 v1, 0 :: v_dual_add_nc_u32 v8, 0x3a0, v13
	v_dual_mov_b32 v2, 0 :: v_dual_add_nc_u32 v7, -1, v158
	v_or_b32_e32 v9, 8, v14
	s_mov_b32 s3, 0
	s_delay_alu instid0(VALU_DEP_2)
	v_dual_mov_b32 v4, v2 :: v_dual_mov_b32 v3, v1
	.p2align	6
.LBB121_77:                             ; =>This Inner Loop Header: Depth=1
	scratch_load_b128 v[15:18], v9, off offset:-8
	ds_load_b128 v[19:22], v8
	v_add_nc_u32_e32 v7, 1, v7
	v_add_nc_u32_e32 v8, 16, v8
	;; [unrolled: 1-line block ×3, first 2 shown]
	s_delay_alu instid0(VALU_DEP_3) | instskip(SKIP_4) | instid1(VALU_DEP_2)
	v_cmp_lt_u32_e32 vcc_lo, 14, v7
	s_or_b32 s3, vcc_lo, s3
	s_waitcnt vmcnt(0) lgkmcnt(0)
	v_mul_f64 v[10:11], v[21:22], v[17:18]
	v_mul_f64 v[17:18], v[19:20], v[17:18]
	v_fma_f64 v[10:11], v[19:20], v[15:16], -v[10:11]
	s_delay_alu instid0(VALU_DEP_2) | instskip(NEXT) | instid1(VALU_DEP_2)
	v_fma_f64 v[15:16], v[21:22], v[15:16], v[17:18]
	v_add_f64 v[3:4], v[3:4], v[10:11]
	s_delay_alu instid0(VALU_DEP_2)
	v_add_f64 v[1:2], v[1:2], v[15:16]
	s_and_not1_b32 exec_lo, exec_lo, s3
	s_cbranch_execnz .LBB121_77
; %bb.78:
	s_or_b32 exec_lo, exec_lo, s3
	v_mov_b32_e32 v7, 0
	ds_load_b128 v[7:10], v7 offset:256
	s_waitcnt lgkmcnt(0)
	v_mul_f64 v[11:12], v[1:2], v[9:10]
	v_mul_f64 v[15:16], v[3:4], v[9:10]
	s_delay_alu instid0(VALU_DEP_2) | instskip(NEXT) | instid1(VALU_DEP_2)
	v_fma_f64 v[9:10], v[3:4], v[7:8], -v[11:12]
	v_fma_f64 v[11:12], v[1:2], v[7:8], v[15:16]
	scratch_store_b128 off, v[9:12], off offset:256
.LBB121_79:
	s_or_b32 exec_lo, exec_lo, s2
	s_waitcnt_vscnt null, 0x0
	s_barrier
	buffer_gl0_inv
	scratch_load_b128 v[1:4], v199, off
	s_mov_b32 s2, exec_lo
	s_waitcnt vmcnt(0)
	ds_store_b128 v5, v[1:4]
	s_waitcnt lgkmcnt(0)
	s_barrier
	buffer_gl0_inv
	v_cmpx_gt_u32_e32 17, v158
	s_cbranch_execz .LBB121_83
; %bb.80:
	v_dual_mov_b32 v1, 0 :: v_dual_add_nc_u32 v8, 0x3a0, v13
	v_dual_mov_b32 v2, 0 :: v_dual_add_nc_u32 v7, -1, v158
	v_or_b32_e32 v9, 8, v14
	s_mov_b32 s3, 0
	s_delay_alu instid0(VALU_DEP_2)
	v_dual_mov_b32 v4, v2 :: v_dual_mov_b32 v3, v1
	.p2align	6
.LBB121_81:                             ; =>This Inner Loop Header: Depth=1
	scratch_load_b128 v[15:18], v9, off offset:-8
	ds_load_b128 v[19:22], v8
	v_add_nc_u32_e32 v7, 1, v7
	v_add_nc_u32_e32 v8, 16, v8
	;; [unrolled: 1-line block ×3, first 2 shown]
	s_delay_alu instid0(VALU_DEP_3) | instskip(SKIP_4) | instid1(VALU_DEP_2)
	v_cmp_lt_u32_e32 vcc_lo, 15, v7
	s_or_b32 s3, vcc_lo, s3
	s_waitcnt vmcnt(0) lgkmcnt(0)
	v_mul_f64 v[10:11], v[21:22], v[17:18]
	v_mul_f64 v[17:18], v[19:20], v[17:18]
	v_fma_f64 v[10:11], v[19:20], v[15:16], -v[10:11]
	s_delay_alu instid0(VALU_DEP_2) | instskip(NEXT) | instid1(VALU_DEP_2)
	v_fma_f64 v[15:16], v[21:22], v[15:16], v[17:18]
	v_add_f64 v[3:4], v[3:4], v[10:11]
	s_delay_alu instid0(VALU_DEP_2)
	v_add_f64 v[1:2], v[1:2], v[15:16]
	s_and_not1_b32 exec_lo, exec_lo, s3
	s_cbranch_execnz .LBB121_81
; %bb.82:
	s_or_b32 exec_lo, exec_lo, s3
	v_mov_b32_e32 v7, 0
	ds_load_b128 v[7:10], v7 offset:272
	s_waitcnt lgkmcnt(0)
	v_mul_f64 v[11:12], v[1:2], v[9:10]
	v_mul_f64 v[15:16], v[3:4], v[9:10]
	s_delay_alu instid0(VALU_DEP_2) | instskip(NEXT) | instid1(VALU_DEP_2)
	v_fma_f64 v[9:10], v[3:4], v[7:8], -v[11:12]
	v_fma_f64 v[11:12], v[1:2], v[7:8], v[15:16]
	scratch_store_b128 off, v[9:12], off offset:272
.LBB121_83:
	s_or_b32 exec_lo, exec_lo, s2
	s_waitcnt_vscnt null, 0x0
	s_barrier
	buffer_gl0_inv
	scratch_load_b32 v1, off, off offset:992 ; 4-byte Folded Reload
	s_mov_b32 s2, exec_lo
	s_waitcnt vmcnt(0)
	scratch_load_b128 v[1:4], v1, off
	s_waitcnt vmcnt(0)
	ds_store_b128 v5, v[1:4]
	s_waitcnt lgkmcnt(0)
	s_barrier
	buffer_gl0_inv
	v_cmpx_gt_u32_e32 18, v158
	s_cbranch_execz .LBB121_87
; %bb.84:
	v_dual_mov_b32 v1, 0 :: v_dual_add_nc_u32 v8, 0x3a0, v13
	v_dual_mov_b32 v2, 0 :: v_dual_add_nc_u32 v7, -1, v158
	v_or_b32_e32 v9, 8, v14
	s_mov_b32 s3, 0
	s_delay_alu instid0(VALU_DEP_2)
	v_dual_mov_b32 v4, v2 :: v_dual_mov_b32 v3, v1
	.p2align	6
.LBB121_85:                             ; =>This Inner Loop Header: Depth=1
	scratch_load_b128 v[15:18], v9, off offset:-8
	ds_load_b128 v[19:22], v8
	v_add_nc_u32_e32 v7, 1, v7
	v_add_nc_u32_e32 v8, 16, v8
	;; [unrolled: 1-line block ×3, first 2 shown]
	s_delay_alu instid0(VALU_DEP_3) | instskip(SKIP_4) | instid1(VALU_DEP_2)
	v_cmp_lt_u32_e32 vcc_lo, 16, v7
	s_or_b32 s3, vcc_lo, s3
	s_waitcnt vmcnt(0) lgkmcnt(0)
	v_mul_f64 v[10:11], v[21:22], v[17:18]
	v_mul_f64 v[17:18], v[19:20], v[17:18]
	v_fma_f64 v[10:11], v[19:20], v[15:16], -v[10:11]
	s_delay_alu instid0(VALU_DEP_2) | instskip(NEXT) | instid1(VALU_DEP_2)
	v_fma_f64 v[15:16], v[21:22], v[15:16], v[17:18]
	v_add_f64 v[3:4], v[3:4], v[10:11]
	s_delay_alu instid0(VALU_DEP_2)
	v_add_f64 v[1:2], v[1:2], v[15:16]
	s_and_not1_b32 exec_lo, exec_lo, s3
	s_cbranch_execnz .LBB121_85
; %bb.86:
	s_or_b32 exec_lo, exec_lo, s3
	v_mov_b32_e32 v7, 0
	ds_load_b128 v[7:10], v7 offset:288
	s_waitcnt lgkmcnt(0)
	v_mul_f64 v[11:12], v[1:2], v[9:10]
	v_mul_f64 v[15:16], v[3:4], v[9:10]
	s_delay_alu instid0(VALU_DEP_2) | instskip(NEXT) | instid1(VALU_DEP_2)
	v_fma_f64 v[9:10], v[3:4], v[7:8], -v[11:12]
	v_fma_f64 v[11:12], v[1:2], v[7:8], v[15:16]
	scratch_store_b128 off, v[9:12], off offset:288
.LBB121_87:
	s_or_b32 exec_lo, exec_lo, s2
	s_waitcnt_vscnt null, 0x0
	s_barrier
	buffer_gl0_inv
	scratch_load_b128 v[1:4], v198, off
	s_mov_b32 s2, exec_lo
	s_waitcnt vmcnt(0)
	ds_store_b128 v5, v[1:4]
	s_waitcnt lgkmcnt(0)
	s_barrier
	buffer_gl0_inv
	v_cmpx_gt_u32_e32 19, v158
	s_cbranch_execz .LBB121_91
; %bb.88:
	v_dual_mov_b32 v1, 0 :: v_dual_add_nc_u32 v8, 0x3a0, v13
	v_dual_mov_b32 v2, 0 :: v_dual_add_nc_u32 v7, -1, v158
	v_or_b32_e32 v9, 8, v14
	s_mov_b32 s3, 0
	s_delay_alu instid0(VALU_DEP_2)
	v_dual_mov_b32 v4, v2 :: v_dual_mov_b32 v3, v1
	.p2align	6
.LBB121_89:                             ; =>This Inner Loop Header: Depth=1
	scratch_load_b128 v[15:18], v9, off offset:-8
	ds_load_b128 v[19:22], v8
	v_add_nc_u32_e32 v7, 1, v7
	v_add_nc_u32_e32 v8, 16, v8
	;; [unrolled: 1-line block ×3, first 2 shown]
	s_delay_alu instid0(VALU_DEP_3) | instskip(SKIP_4) | instid1(VALU_DEP_2)
	v_cmp_lt_u32_e32 vcc_lo, 17, v7
	s_or_b32 s3, vcc_lo, s3
	s_waitcnt vmcnt(0) lgkmcnt(0)
	v_mul_f64 v[10:11], v[21:22], v[17:18]
	v_mul_f64 v[17:18], v[19:20], v[17:18]
	v_fma_f64 v[10:11], v[19:20], v[15:16], -v[10:11]
	s_delay_alu instid0(VALU_DEP_2) | instskip(NEXT) | instid1(VALU_DEP_2)
	v_fma_f64 v[15:16], v[21:22], v[15:16], v[17:18]
	v_add_f64 v[3:4], v[3:4], v[10:11]
	s_delay_alu instid0(VALU_DEP_2)
	v_add_f64 v[1:2], v[1:2], v[15:16]
	s_and_not1_b32 exec_lo, exec_lo, s3
	s_cbranch_execnz .LBB121_89
; %bb.90:
	s_or_b32 exec_lo, exec_lo, s3
	v_mov_b32_e32 v7, 0
	ds_load_b128 v[7:10], v7 offset:304
	s_waitcnt lgkmcnt(0)
	v_mul_f64 v[11:12], v[1:2], v[9:10]
	v_mul_f64 v[15:16], v[3:4], v[9:10]
	s_delay_alu instid0(VALU_DEP_2) | instskip(NEXT) | instid1(VALU_DEP_2)
	v_fma_f64 v[9:10], v[3:4], v[7:8], -v[11:12]
	v_fma_f64 v[11:12], v[1:2], v[7:8], v[15:16]
	scratch_store_b128 off, v[9:12], off offset:304
.LBB121_91:
	s_or_b32 exec_lo, exec_lo, s2
	s_waitcnt_vscnt null, 0x0
	s_barrier
	buffer_gl0_inv
	scratch_load_b128 v[1:4], v161, off
	s_mov_b32 s2, exec_lo
	s_waitcnt vmcnt(0)
	ds_store_b128 v5, v[1:4]
	s_waitcnt lgkmcnt(0)
	s_barrier
	buffer_gl0_inv
	v_cmpx_gt_u32_e32 20, v158
	s_cbranch_execz .LBB121_95
; %bb.92:
	v_dual_mov_b32 v1, 0 :: v_dual_add_nc_u32 v8, 0x3a0, v13
	v_dual_mov_b32 v2, 0 :: v_dual_add_nc_u32 v7, -1, v158
	v_or_b32_e32 v9, 8, v14
	s_mov_b32 s3, 0
	s_delay_alu instid0(VALU_DEP_2)
	v_dual_mov_b32 v4, v2 :: v_dual_mov_b32 v3, v1
	.p2align	6
.LBB121_93:                             ; =>This Inner Loop Header: Depth=1
	scratch_load_b128 v[15:18], v9, off offset:-8
	ds_load_b128 v[19:22], v8
	v_add_nc_u32_e32 v7, 1, v7
	v_add_nc_u32_e32 v8, 16, v8
	;; [unrolled: 1-line block ×3, first 2 shown]
	s_delay_alu instid0(VALU_DEP_3) | instskip(SKIP_4) | instid1(VALU_DEP_2)
	v_cmp_lt_u32_e32 vcc_lo, 18, v7
	s_or_b32 s3, vcc_lo, s3
	s_waitcnt vmcnt(0) lgkmcnt(0)
	v_mul_f64 v[10:11], v[21:22], v[17:18]
	v_mul_f64 v[17:18], v[19:20], v[17:18]
	v_fma_f64 v[10:11], v[19:20], v[15:16], -v[10:11]
	s_delay_alu instid0(VALU_DEP_2) | instskip(NEXT) | instid1(VALU_DEP_2)
	v_fma_f64 v[15:16], v[21:22], v[15:16], v[17:18]
	v_add_f64 v[3:4], v[3:4], v[10:11]
	s_delay_alu instid0(VALU_DEP_2)
	v_add_f64 v[1:2], v[1:2], v[15:16]
	s_and_not1_b32 exec_lo, exec_lo, s3
	s_cbranch_execnz .LBB121_93
; %bb.94:
	s_or_b32 exec_lo, exec_lo, s3
	v_mov_b32_e32 v7, 0
	ds_load_b128 v[7:10], v7 offset:320
	s_waitcnt lgkmcnt(0)
	v_mul_f64 v[11:12], v[1:2], v[9:10]
	v_mul_f64 v[15:16], v[3:4], v[9:10]
	s_delay_alu instid0(VALU_DEP_2) | instskip(NEXT) | instid1(VALU_DEP_2)
	v_fma_f64 v[9:10], v[3:4], v[7:8], -v[11:12]
	v_fma_f64 v[11:12], v[1:2], v[7:8], v[15:16]
	scratch_store_b128 off, v[9:12], off offset:320
.LBB121_95:
	s_or_b32 exec_lo, exec_lo, s2
	s_waitcnt_vscnt null, 0x0
	s_barrier
	buffer_gl0_inv
	scratch_load_b128 v[1:4], v159, off
	s_mov_b32 s2, exec_lo
	s_waitcnt vmcnt(0)
	ds_store_b128 v5, v[1:4]
	s_waitcnt lgkmcnt(0)
	s_barrier
	buffer_gl0_inv
	v_cmpx_gt_u32_e32 21, v158
	s_cbranch_execz .LBB121_99
; %bb.96:
	v_dual_mov_b32 v1, 0 :: v_dual_add_nc_u32 v8, 0x3a0, v13
	v_dual_mov_b32 v2, 0 :: v_dual_add_nc_u32 v7, -1, v158
	v_or_b32_e32 v9, 8, v14
	s_mov_b32 s3, 0
	s_delay_alu instid0(VALU_DEP_2)
	v_dual_mov_b32 v4, v2 :: v_dual_mov_b32 v3, v1
	.p2align	6
.LBB121_97:                             ; =>This Inner Loop Header: Depth=1
	scratch_load_b128 v[15:18], v9, off offset:-8
	ds_load_b128 v[19:22], v8
	v_add_nc_u32_e32 v7, 1, v7
	v_add_nc_u32_e32 v8, 16, v8
	;; [unrolled: 1-line block ×3, first 2 shown]
	s_delay_alu instid0(VALU_DEP_3) | instskip(SKIP_4) | instid1(VALU_DEP_2)
	v_cmp_lt_u32_e32 vcc_lo, 19, v7
	s_or_b32 s3, vcc_lo, s3
	s_waitcnt vmcnt(0) lgkmcnt(0)
	v_mul_f64 v[10:11], v[21:22], v[17:18]
	v_mul_f64 v[17:18], v[19:20], v[17:18]
	v_fma_f64 v[10:11], v[19:20], v[15:16], -v[10:11]
	s_delay_alu instid0(VALU_DEP_2) | instskip(NEXT) | instid1(VALU_DEP_2)
	v_fma_f64 v[15:16], v[21:22], v[15:16], v[17:18]
	v_add_f64 v[3:4], v[3:4], v[10:11]
	s_delay_alu instid0(VALU_DEP_2)
	v_add_f64 v[1:2], v[1:2], v[15:16]
	s_and_not1_b32 exec_lo, exec_lo, s3
	s_cbranch_execnz .LBB121_97
; %bb.98:
	s_or_b32 exec_lo, exec_lo, s3
	v_mov_b32_e32 v7, 0
	ds_load_b128 v[7:10], v7 offset:336
	s_waitcnt lgkmcnt(0)
	v_mul_f64 v[11:12], v[1:2], v[9:10]
	v_mul_f64 v[15:16], v[3:4], v[9:10]
	s_delay_alu instid0(VALU_DEP_2) | instskip(NEXT) | instid1(VALU_DEP_2)
	v_fma_f64 v[9:10], v[3:4], v[7:8], -v[11:12]
	v_fma_f64 v[11:12], v[1:2], v[7:8], v[15:16]
	scratch_store_b128 off, v[9:12], off offset:336
.LBB121_99:
	s_or_b32 exec_lo, exec_lo, s2
	s_waitcnt_vscnt null, 0x0
	s_barrier
	buffer_gl0_inv
	scratch_load_b32 v1, off, off offset:988 ; 4-byte Folded Reload
	s_mov_b32 s2, exec_lo
	s_waitcnt vmcnt(0)
	scratch_load_b128 v[1:4], v1, off
	s_waitcnt vmcnt(0)
	ds_store_b128 v5, v[1:4]
	s_waitcnt lgkmcnt(0)
	s_barrier
	buffer_gl0_inv
	v_cmpx_gt_u32_e32 22, v158
	s_cbranch_execz .LBB121_103
; %bb.100:
	v_dual_mov_b32 v1, 0 :: v_dual_add_nc_u32 v8, 0x3a0, v13
	v_dual_mov_b32 v2, 0 :: v_dual_add_nc_u32 v7, -1, v158
	v_or_b32_e32 v9, 8, v14
	s_mov_b32 s3, 0
	s_delay_alu instid0(VALU_DEP_2)
	v_dual_mov_b32 v4, v2 :: v_dual_mov_b32 v3, v1
	.p2align	6
.LBB121_101:                            ; =>This Inner Loop Header: Depth=1
	scratch_load_b128 v[15:18], v9, off offset:-8
	ds_load_b128 v[19:22], v8
	v_add_nc_u32_e32 v7, 1, v7
	v_add_nc_u32_e32 v8, 16, v8
	;; [unrolled: 1-line block ×3, first 2 shown]
	s_delay_alu instid0(VALU_DEP_3) | instskip(SKIP_4) | instid1(VALU_DEP_2)
	v_cmp_lt_u32_e32 vcc_lo, 20, v7
	s_or_b32 s3, vcc_lo, s3
	s_waitcnt vmcnt(0) lgkmcnt(0)
	v_mul_f64 v[10:11], v[21:22], v[17:18]
	v_mul_f64 v[17:18], v[19:20], v[17:18]
	v_fma_f64 v[10:11], v[19:20], v[15:16], -v[10:11]
	s_delay_alu instid0(VALU_DEP_2) | instskip(NEXT) | instid1(VALU_DEP_2)
	v_fma_f64 v[15:16], v[21:22], v[15:16], v[17:18]
	v_add_f64 v[3:4], v[3:4], v[10:11]
	s_delay_alu instid0(VALU_DEP_2)
	v_add_f64 v[1:2], v[1:2], v[15:16]
	s_and_not1_b32 exec_lo, exec_lo, s3
	s_cbranch_execnz .LBB121_101
; %bb.102:
	s_or_b32 exec_lo, exec_lo, s3
	v_mov_b32_e32 v7, 0
	ds_load_b128 v[7:10], v7 offset:352
	s_waitcnt lgkmcnt(0)
	v_mul_f64 v[11:12], v[1:2], v[9:10]
	v_mul_f64 v[15:16], v[3:4], v[9:10]
	s_delay_alu instid0(VALU_DEP_2) | instskip(NEXT) | instid1(VALU_DEP_2)
	v_fma_f64 v[9:10], v[3:4], v[7:8], -v[11:12]
	v_fma_f64 v[11:12], v[1:2], v[7:8], v[15:16]
	scratch_store_b128 off, v[9:12], off offset:352
.LBB121_103:
	s_or_b32 exec_lo, exec_lo, s2
	s_waitcnt_vscnt null, 0x0
	s_barrier
	buffer_gl0_inv
	scratch_load_b128 v[1:4], v160, off
	s_mov_b32 s2, exec_lo
	s_waitcnt vmcnt(0)
	ds_store_b128 v5, v[1:4]
	s_waitcnt lgkmcnt(0)
	s_barrier
	buffer_gl0_inv
	v_cmpx_gt_u32_e32 23, v158
	s_cbranch_execz .LBB121_107
; %bb.104:
	v_dual_mov_b32 v1, 0 :: v_dual_add_nc_u32 v8, 0x3a0, v13
	v_dual_mov_b32 v2, 0 :: v_dual_add_nc_u32 v7, -1, v158
	v_or_b32_e32 v9, 8, v14
	s_mov_b32 s3, 0
	s_delay_alu instid0(VALU_DEP_2)
	v_dual_mov_b32 v4, v2 :: v_dual_mov_b32 v3, v1
	.p2align	6
.LBB121_105:                            ; =>This Inner Loop Header: Depth=1
	scratch_load_b128 v[15:18], v9, off offset:-8
	ds_load_b128 v[19:22], v8
	v_add_nc_u32_e32 v7, 1, v7
	v_add_nc_u32_e32 v8, 16, v8
	;; [unrolled: 1-line block ×3, first 2 shown]
	s_delay_alu instid0(VALU_DEP_3) | instskip(SKIP_4) | instid1(VALU_DEP_2)
	v_cmp_lt_u32_e32 vcc_lo, 21, v7
	s_or_b32 s3, vcc_lo, s3
	s_waitcnt vmcnt(0) lgkmcnt(0)
	v_mul_f64 v[10:11], v[21:22], v[17:18]
	v_mul_f64 v[17:18], v[19:20], v[17:18]
	v_fma_f64 v[10:11], v[19:20], v[15:16], -v[10:11]
	s_delay_alu instid0(VALU_DEP_2) | instskip(NEXT) | instid1(VALU_DEP_2)
	v_fma_f64 v[15:16], v[21:22], v[15:16], v[17:18]
	v_add_f64 v[3:4], v[3:4], v[10:11]
	s_delay_alu instid0(VALU_DEP_2)
	v_add_f64 v[1:2], v[1:2], v[15:16]
	s_and_not1_b32 exec_lo, exec_lo, s3
	s_cbranch_execnz .LBB121_105
; %bb.106:
	s_or_b32 exec_lo, exec_lo, s3
	v_mov_b32_e32 v7, 0
	ds_load_b128 v[7:10], v7 offset:368
	s_waitcnt lgkmcnt(0)
	v_mul_f64 v[11:12], v[1:2], v[9:10]
	v_mul_f64 v[15:16], v[3:4], v[9:10]
	s_delay_alu instid0(VALU_DEP_2) | instskip(NEXT) | instid1(VALU_DEP_2)
	v_fma_f64 v[9:10], v[3:4], v[7:8], -v[11:12]
	v_fma_f64 v[11:12], v[1:2], v[7:8], v[15:16]
	scratch_store_b128 off, v[9:12], off offset:368
.LBB121_107:
	s_or_b32 exec_lo, exec_lo, s2
	s_waitcnt_vscnt null, 0x0
	s_barrier
	buffer_gl0_inv
	scratch_load_b32 v1, off, off offset:984 ; 4-byte Folded Reload
	s_mov_b32 s2, exec_lo
	s_waitcnt vmcnt(0)
	scratch_load_b128 v[1:4], v1, off
	s_waitcnt vmcnt(0)
	ds_store_b128 v5, v[1:4]
	s_waitcnt lgkmcnt(0)
	s_barrier
	buffer_gl0_inv
	v_cmpx_gt_u32_e32 24, v158
	s_cbranch_execz .LBB121_111
; %bb.108:
	v_dual_mov_b32 v1, 0 :: v_dual_add_nc_u32 v8, 0x3a0, v13
	v_dual_mov_b32 v2, 0 :: v_dual_add_nc_u32 v7, -1, v158
	v_or_b32_e32 v9, 8, v14
	s_mov_b32 s3, 0
	s_delay_alu instid0(VALU_DEP_2)
	v_dual_mov_b32 v4, v2 :: v_dual_mov_b32 v3, v1
	.p2align	6
.LBB121_109:                            ; =>This Inner Loop Header: Depth=1
	scratch_load_b128 v[15:18], v9, off offset:-8
	ds_load_b128 v[19:22], v8
	v_add_nc_u32_e32 v7, 1, v7
	v_add_nc_u32_e32 v8, 16, v8
	;; [unrolled: 1-line block ×3, first 2 shown]
	s_delay_alu instid0(VALU_DEP_3) | instskip(SKIP_4) | instid1(VALU_DEP_2)
	v_cmp_lt_u32_e32 vcc_lo, 22, v7
	s_or_b32 s3, vcc_lo, s3
	s_waitcnt vmcnt(0) lgkmcnt(0)
	v_mul_f64 v[10:11], v[21:22], v[17:18]
	v_mul_f64 v[17:18], v[19:20], v[17:18]
	v_fma_f64 v[10:11], v[19:20], v[15:16], -v[10:11]
	s_delay_alu instid0(VALU_DEP_2) | instskip(NEXT) | instid1(VALU_DEP_2)
	v_fma_f64 v[15:16], v[21:22], v[15:16], v[17:18]
	v_add_f64 v[3:4], v[3:4], v[10:11]
	s_delay_alu instid0(VALU_DEP_2)
	v_add_f64 v[1:2], v[1:2], v[15:16]
	s_and_not1_b32 exec_lo, exec_lo, s3
	s_cbranch_execnz .LBB121_109
; %bb.110:
	s_or_b32 exec_lo, exec_lo, s3
	v_mov_b32_e32 v7, 0
	ds_load_b128 v[7:10], v7 offset:384
	s_waitcnt lgkmcnt(0)
	v_mul_f64 v[11:12], v[1:2], v[9:10]
	v_mul_f64 v[15:16], v[3:4], v[9:10]
	s_delay_alu instid0(VALU_DEP_2) | instskip(NEXT) | instid1(VALU_DEP_2)
	v_fma_f64 v[9:10], v[3:4], v[7:8], -v[11:12]
	v_fma_f64 v[11:12], v[1:2], v[7:8], v[15:16]
	scratch_store_b128 off, v[9:12], off offset:384
.LBB121_111:
	s_or_b32 exec_lo, exec_lo, s2
	s_waitcnt_vscnt null, 0x0
	s_barrier
	buffer_gl0_inv
	scratch_load_b32 v1, off, off offset:980 ; 4-byte Folded Reload
	s_mov_b32 s2, exec_lo
	s_waitcnt vmcnt(0)
	scratch_load_b128 v[1:4], v1, off
	s_waitcnt vmcnt(0)
	ds_store_b128 v5, v[1:4]
	s_waitcnt lgkmcnt(0)
	s_barrier
	buffer_gl0_inv
	v_cmpx_gt_u32_e32 25, v158
	s_cbranch_execz .LBB121_115
; %bb.112:
	v_dual_mov_b32 v1, 0 :: v_dual_add_nc_u32 v8, 0x3a0, v13
	v_dual_mov_b32 v2, 0 :: v_dual_add_nc_u32 v7, -1, v158
	v_or_b32_e32 v9, 8, v14
	s_mov_b32 s3, 0
	s_delay_alu instid0(VALU_DEP_2)
	v_dual_mov_b32 v4, v2 :: v_dual_mov_b32 v3, v1
	.p2align	6
.LBB121_113:                            ; =>This Inner Loop Header: Depth=1
	scratch_load_b128 v[15:18], v9, off offset:-8
	ds_load_b128 v[19:22], v8
	v_add_nc_u32_e32 v7, 1, v7
	v_add_nc_u32_e32 v8, 16, v8
	;; [unrolled: 1-line block ×3, first 2 shown]
	s_delay_alu instid0(VALU_DEP_3) | instskip(SKIP_4) | instid1(VALU_DEP_2)
	v_cmp_lt_u32_e32 vcc_lo, 23, v7
	s_or_b32 s3, vcc_lo, s3
	s_waitcnt vmcnt(0) lgkmcnt(0)
	v_mul_f64 v[10:11], v[21:22], v[17:18]
	v_mul_f64 v[17:18], v[19:20], v[17:18]
	v_fma_f64 v[10:11], v[19:20], v[15:16], -v[10:11]
	s_delay_alu instid0(VALU_DEP_2) | instskip(NEXT) | instid1(VALU_DEP_2)
	v_fma_f64 v[15:16], v[21:22], v[15:16], v[17:18]
	v_add_f64 v[3:4], v[3:4], v[10:11]
	s_delay_alu instid0(VALU_DEP_2)
	v_add_f64 v[1:2], v[1:2], v[15:16]
	s_and_not1_b32 exec_lo, exec_lo, s3
	s_cbranch_execnz .LBB121_113
; %bb.114:
	s_or_b32 exec_lo, exec_lo, s3
	v_mov_b32_e32 v7, 0
	ds_load_b128 v[7:10], v7 offset:400
	s_waitcnt lgkmcnt(0)
	v_mul_f64 v[11:12], v[1:2], v[9:10]
	v_mul_f64 v[15:16], v[3:4], v[9:10]
	s_delay_alu instid0(VALU_DEP_2) | instskip(NEXT) | instid1(VALU_DEP_2)
	v_fma_f64 v[9:10], v[3:4], v[7:8], -v[11:12]
	v_fma_f64 v[11:12], v[1:2], v[7:8], v[15:16]
	scratch_store_b128 off, v[9:12], off offset:400
.LBB121_115:
	s_or_b32 exec_lo, exec_lo, s2
	s_waitcnt_vscnt null, 0x0
	s_barrier
	buffer_gl0_inv
	scratch_load_b32 v1, off, off offset:972 ; 4-byte Folded Reload
	s_mov_b32 s2, exec_lo
	s_waitcnt vmcnt(0)
	scratch_load_b128 v[1:4], v1, off
	s_waitcnt vmcnt(0)
	ds_store_b128 v5, v[1:4]
	s_waitcnt lgkmcnt(0)
	s_barrier
	buffer_gl0_inv
	v_cmpx_gt_u32_e32 26, v158
	s_cbranch_execz .LBB121_119
; %bb.116:
	v_dual_mov_b32 v1, 0 :: v_dual_add_nc_u32 v8, 0x3a0, v13
	v_dual_mov_b32 v2, 0 :: v_dual_add_nc_u32 v7, -1, v158
	v_or_b32_e32 v9, 8, v14
	s_mov_b32 s3, 0
	s_delay_alu instid0(VALU_DEP_2)
	v_dual_mov_b32 v4, v2 :: v_dual_mov_b32 v3, v1
	.p2align	6
.LBB121_117:                            ; =>This Inner Loop Header: Depth=1
	scratch_load_b128 v[15:18], v9, off offset:-8
	ds_load_b128 v[19:22], v8
	v_add_nc_u32_e32 v7, 1, v7
	v_add_nc_u32_e32 v8, 16, v8
	;; [unrolled: 1-line block ×3, first 2 shown]
	s_delay_alu instid0(VALU_DEP_3) | instskip(SKIP_4) | instid1(VALU_DEP_2)
	v_cmp_lt_u32_e32 vcc_lo, 24, v7
	s_or_b32 s3, vcc_lo, s3
	s_waitcnt vmcnt(0) lgkmcnt(0)
	v_mul_f64 v[10:11], v[21:22], v[17:18]
	v_mul_f64 v[17:18], v[19:20], v[17:18]
	v_fma_f64 v[10:11], v[19:20], v[15:16], -v[10:11]
	s_delay_alu instid0(VALU_DEP_2) | instskip(NEXT) | instid1(VALU_DEP_2)
	v_fma_f64 v[15:16], v[21:22], v[15:16], v[17:18]
	v_add_f64 v[3:4], v[3:4], v[10:11]
	s_delay_alu instid0(VALU_DEP_2)
	v_add_f64 v[1:2], v[1:2], v[15:16]
	s_and_not1_b32 exec_lo, exec_lo, s3
	s_cbranch_execnz .LBB121_117
; %bb.118:
	s_or_b32 exec_lo, exec_lo, s3
	v_mov_b32_e32 v7, 0
	ds_load_b128 v[7:10], v7 offset:416
	s_waitcnt lgkmcnt(0)
	v_mul_f64 v[11:12], v[1:2], v[9:10]
	v_mul_f64 v[15:16], v[3:4], v[9:10]
	s_delay_alu instid0(VALU_DEP_2) | instskip(NEXT) | instid1(VALU_DEP_2)
	v_fma_f64 v[9:10], v[3:4], v[7:8], -v[11:12]
	v_fma_f64 v[11:12], v[1:2], v[7:8], v[15:16]
	scratch_store_b128 off, v[9:12], off offset:416
.LBB121_119:
	s_or_b32 exec_lo, exec_lo, s2
	s_waitcnt_vscnt null, 0x0
	s_barrier
	buffer_gl0_inv
	scratch_load_b32 v1, off, off offset:976 ; 4-byte Folded Reload
	s_mov_b32 s2, exec_lo
	s_waitcnt vmcnt(0)
	scratch_load_b128 v[1:4], v1, off
	s_waitcnt vmcnt(0)
	ds_store_b128 v5, v[1:4]
	s_waitcnt lgkmcnt(0)
	s_barrier
	buffer_gl0_inv
	v_cmpx_gt_u32_e32 27, v158
	s_cbranch_execz .LBB121_123
; %bb.120:
	v_dual_mov_b32 v1, 0 :: v_dual_add_nc_u32 v8, 0x3a0, v13
	v_dual_mov_b32 v2, 0 :: v_dual_add_nc_u32 v7, -1, v158
	v_or_b32_e32 v9, 8, v14
	s_mov_b32 s3, 0
	s_delay_alu instid0(VALU_DEP_2)
	v_dual_mov_b32 v4, v2 :: v_dual_mov_b32 v3, v1
	.p2align	6
.LBB121_121:                            ; =>This Inner Loop Header: Depth=1
	scratch_load_b128 v[15:18], v9, off offset:-8
	ds_load_b128 v[19:22], v8
	v_add_nc_u32_e32 v7, 1, v7
	v_add_nc_u32_e32 v8, 16, v8
	;; [unrolled: 1-line block ×3, first 2 shown]
	s_delay_alu instid0(VALU_DEP_3) | instskip(SKIP_4) | instid1(VALU_DEP_2)
	v_cmp_lt_u32_e32 vcc_lo, 25, v7
	s_or_b32 s3, vcc_lo, s3
	s_waitcnt vmcnt(0) lgkmcnt(0)
	v_mul_f64 v[10:11], v[21:22], v[17:18]
	v_mul_f64 v[17:18], v[19:20], v[17:18]
	v_fma_f64 v[10:11], v[19:20], v[15:16], -v[10:11]
	s_delay_alu instid0(VALU_DEP_2) | instskip(NEXT) | instid1(VALU_DEP_2)
	v_fma_f64 v[15:16], v[21:22], v[15:16], v[17:18]
	v_add_f64 v[3:4], v[3:4], v[10:11]
	s_delay_alu instid0(VALU_DEP_2)
	v_add_f64 v[1:2], v[1:2], v[15:16]
	s_and_not1_b32 exec_lo, exec_lo, s3
	s_cbranch_execnz .LBB121_121
; %bb.122:
	s_or_b32 exec_lo, exec_lo, s3
	v_mov_b32_e32 v7, 0
	ds_load_b128 v[7:10], v7 offset:432
	s_waitcnt lgkmcnt(0)
	v_mul_f64 v[11:12], v[1:2], v[9:10]
	v_mul_f64 v[15:16], v[3:4], v[9:10]
	s_delay_alu instid0(VALU_DEP_2) | instskip(NEXT) | instid1(VALU_DEP_2)
	v_fma_f64 v[9:10], v[3:4], v[7:8], -v[11:12]
	v_fma_f64 v[11:12], v[1:2], v[7:8], v[15:16]
	scratch_store_b128 off, v[9:12], off offset:432
.LBB121_123:
	s_or_b32 exec_lo, exec_lo, s2
	s_waitcnt_vscnt null, 0x0
	s_barrier
	buffer_gl0_inv
	scratch_load_b32 v1, off, off offset:968 ; 4-byte Folded Reload
	s_mov_b32 s2, exec_lo
	s_waitcnt vmcnt(0)
	scratch_load_b128 v[1:4], v1, off
	s_waitcnt vmcnt(0)
	ds_store_b128 v5, v[1:4]
	s_waitcnt lgkmcnt(0)
	s_barrier
	buffer_gl0_inv
	v_cmpx_gt_u32_e32 28, v158
	s_cbranch_execz .LBB121_127
; %bb.124:
	v_dual_mov_b32 v1, 0 :: v_dual_add_nc_u32 v8, 0x3a0, v13
	v_dual_mov_b32 v2, 0 :: v_dual_add_nc_u32 v7, -1, v158
	v_or_b32_e32 v9, 8, v14
	s_mov_b32 s3, 0
	s_delay_alu instid0(VALU_DEP_2)
	v_dual_mov_b32 v4, v2 :: v_dual_mov_b32 v3, v1
	.p2align	6
.LBB121_125:                            ; =>This Inner Loop Header: Depth=1
	scratch_load_b128 v[15:18], v9, off offset:-8
	ds_load_b128 v[19:22], v8
	v_add_nc_u32_e32 v7, 1, v7
	v_add_nc_u32_e32 v8, 16, v8
	;; [unrolled: 1-line block ×3, first 2 shown]
	s_delay_alu instid0(VALU_DEP_3) | instskip(SKIP_4) | instid1(VALU_DEP_2)
	v_cmp_lt_u32_e32 vcc_lo, 26, v7
	s_or_b32 s3, vcc_lo, s3
	s_waitcnt vmcnt(0) lgkmcnt(0)
	v_mul_f64 v[10:11], v[21:22], v[17:18]
	v_mul_f64 v[17:18], v[19:20], v[17:18]
	v_fma_f64 v[10:11], v[19:20], v[15:16], -v[10:11]
	s_delay_alu instid0(VALU_DEP_2) | instskip(NEXT) | instid1(VALU_DEP_2)
	v_fma_f64 v[15:16], v[21:22], v[15:16], v[17:18]
	v_add_f64 v[3:4], v[3:4], v[10:11]
	s_delay_alu instid0(VALU_DEP_2)
	v_add_f64 v[1:2], v[1:2], v[15:16]
	s_and_not1_b32 exec_lo, exec_lo, s3
	s_cbranch_execnz .LBB121_125
; %bb.126:
	s_or_b32 exec_lo, exec_lo, s3
	v_mov_b32_e32 v7, 0
	ds_load_b128 v[7:10], v7 offset:448
	s_waitcnt lgkmcnt(0)
	v_mul_f64 v[11:12], v[1:2], v[9:10]
	v_mul_f64 v[15:16], v[3:4], v[9:10]
	s_delay_alu instid0(VALU_DEP_2) | instskip(NEXT) | instid1(VALU_DEP_2)
	v_fma_f64 v[9:10], v[3:4], v[7:8], -v[11:12]
	v_fma_f64 v[11:12], v[1:2], v[7:8], v[15:16]
	scratch_store_b128 off, v[9:12], off offset:448
.LBB121_127:
	s_or_b32 exec_lo, exec_lo, s2
	s_waitcnt_vscnt null, 0x0
	s_barrier
	buffer_gl0_inv
	scratch_load_b32 v1, off, off offset:964 ; 4-byte Folded Reload
	s_mov_b32 s2, exec_lo
	s_waitcnt vmcnt(0)
	scratch_load_b128 v[1:4], v1, off
	s_waitcnt vmcnt(0)
	ds_store_b128 v5, v[1:4]
	s_waitcnt lgkmcnt(0)
	s_barrier
	buffer_gl0_inv
	v_cmpx_gt_u32_e32 29, v158
	s_cbranch_execz .LBB121_131
; %bb.128:
	v_dual_mov_b32 v1, 0 :: v_dual_add_nc_u32 v8, 0x3a0, v13
	v_dual_mov_b32 v2, 0 :: v_dual_add_nc_u32 v7, -1, v158
	v_or_b32_e32 v9, 8, v14
	s_mov_b32 s3, 0
	s_delay_alu instid0(VALU_DEP_2)
	v_dual_mov_b32 v4, v2 :: v_dual_mov_b32 v3, v1
	.p2align	6
.LBB121_129:                            ; =>This Inner Loop Header: Depth=1
	scratch_load_b128 v[15:18], v9, off offset:-8
	ds_load_b128 v[19:22], v8
	v_add_nc_u32_e32 v7, 1, v7
	v_add_nc_u32_e32 v8, 16, v8
	;; [unrolled: 1-line block ×3, first 2 shown]
	s_delay_alu instid0(VALU_DEP_3) | instskip(SKIP_4) | instid1(VALU_DEP_2)
	v_cmp_lt_u32_e32 vcc_lo, 27, v7
	s_or_b32 s3, vcc_lo, s3
	s_waitcnt vmcnt(0) lgkmcnt(0)
	v_mul_f64 v[10:11], v[21:22], v[17:18]
	v_mul_f64 v[17:18], v[19:20], v[17:18]
	v_fma_f64 v[10:11], v[19:20], v[15:16], -v[10:11]
	s_delay_alu instid0(VALU_DEP_2) | instskip(NEXT) | instid1(VALU_DEP_2)
	v_fma_f64 v[15:16], v[21:22], v[15:16], v[17:18]
	v_add_f64 v[3:4], v[3:4], v[10:11]
	s_delay_alu instid0(VALU_DEP_2)
	v_add_f64 v[1:2], v[1:2], v[15:16]
	s_and_not1_b32 exec_lo, exec_lo, s3
	s_cbranch_execnz .LBB121_129
; %bb.130:
	s_or_b32 exec_lo, exec_lo, s3
	v_mov_b32_e32 v7, 0
	ds_load_b128 v[7:10], v7 offset:464
	s_waitcnt lgkmcnt(0)
	v_mul_f64 v[11:12], v[1:2], v[9:10]
	v_mul_f64 v[15:16], v[3:4], v[9:10]
	s_delay_alu instid0(VALU_DEP_2) | instskip(NEXT) | instid1(VALU_DEP_2)
	v_fma_f64 v[9:10], v[3:4], v[7:8], -v[11:12]
	v_fma_f64 v[11:12], v[1:2], v[7:8], v[15:16]
	scratch_store_b128 off, v[9:12], off offset:464
.LBB121_131:
	s_or_b32 exec_lo, exec_lo, s2
	s_waitcnt_vscnt null, 0x0
	s_barrier
	buffer_gl0_inv
	scratch_load_b32 v1, off, off offset:956 ; 4-byte Folded Reload
	s_mov_b32 s2, exec_lo
	s_waitcnt vmcnt(0)
	scratch_load_b128 v[1:4], v1, off
	s_waitcnt vmcnt(0)
	ds_store_b128 v5, v[1:4]
	s_waitcnt lgkmcnt(0)
	s_barrier
	buffer_gl0_inv
	v_cmpx_gt_u32_e32 30, v158
	s_cbranch_execz .LBB121_135
; %bb.132:
	v_dual_mov_b32 v1, 0 :: v_dual_add_nc_u32 v8, 0x3a0, v13
	v_dual_mov_b32 v2, 0 :: v_dual_add_nc_u32 v7, -1, v158
	v_or_b32_e32 v9, 8, v14
	s_mov_b32 s3, 0
	s_delay_alu instid0(VALU_DEP_2)
	v_dual_mov_b32 v4, v2 :: v_dual_mov_b32 v3, v1
	.p2align	6
.LBB121_133:                            ; =>This Inner Loop Header: Depth=1
	scratch_load_b128 v[15:18], v9, off offset:-8
	ds_load_b128 v[19:22], v8
	v_add_nc_u32_e32 v7, 1, v7
	v_add_nc_u32_e32 v8, 16, v8
	;; [unrolled: 1-line block ×3, first 2 shown]
	s_delay_alu instid0(VALU_DEP_3) | instskip(SKIP_4) | instid1(VALU_DEP_2)
	v_cmp_lt_u32_e32 vcc_lo, 28, v7
	s_or_b32 s3, vcc_lo, s3
	s_waitcnt vmcnt(0) lgkmcnt(0)
	v_mul_f64 v[10:11], v[21:22], v[17:18]
	v_mul_f64 v[17:18], v[19:20], v[17:18]
	v_fma_f64 v[10:11], v[19:20], v[15:16], -v[10:11]
	s_delay_alu instid0(VALU_DEP_2) | instskip(NEXT) | instid1(VALU_DEP_2)
	v_fma_f64 v[15:16], v[21:22], v[15:16], v[17:18]
	v_add_f64 v[3:4], v[3:4], v[10:11]
	s_delay_alu instid0(VALU_DEP_2)
	v_add_f64 v[1:2], v[1:2], v[15:16]
	s_and_not1_b32 exec_lo, exec_lo, s3
	s_cbranch_execnz .LBB121_133
; %bb.134:
	s_or_b32 exec_lo, exec_lo, s3
	v_mov_b32_e32 v7, 0
	ds_load_b128 v[7:10], v7 offset:480
	s_waitcnt lgkmcnt(0)
	v_mul_f64 v[11:12], v[1:2], v[9:10]
	v_mul_f64 v[15:16], v[3:4], v[9:10]
	s_delay_alu instid0(VALU_DEP_2) | instskip(NEXT) | instid1(VALU_DEP_2)
	v_fma_f64 v[9:10], v[3:4], v[7:8], -v[11:12]
	v_fma_f64 v[11:12], v[1:2], v[7:8], v[15:16]
	scratch_store_b128 off, v[9:12], off offset:480
.LBB121_135:
	s_or_b32 exec_lo, exec_lo, s2
	s_waitcnt_vscnt null, 0x0
	s_barrier
	buffer_gl0_inv
	scratch_load_b32 v1, off, off offset:960 ; 4-byte Folded Reload
	s_mov_b32 s2, exec_lo
	s_waitcnt vmcnt(0)
	scratch_load_b128 v[1:4], v1, off
	s_waitcnt vmcnt(0)
	ds_store_b128 v5, v[1:4]
	s_waitcnt lgkmcnt(0)
	s_barrier
	buffer_gl0_inv
	v_cmpx_gt_u32_e32 31, v158
	s_cbranch_execz .LBB121_139
; %bb.136:
	v_dual_mov_b32 v1, 0 :: v_dual_add_nc_u32 v8, 0x3a0, v13
	v_dual_mov_b32 v2, 0 :: v_dual_add_nc_u32 v7, -1, v158
	v_or_b32_e32 v9, 8, v14
	s_mov_b32 s3, 0
	s_delay_alu instid0(VALU_DEP_2)
	v_dual_mov_b32 v4, v2 :: v_dual_mov_b32 v3, v1
	.p2align	6
.LBB121_137:                            ; =>This Inner Loop Header: Depth=1
	scratch_load_b128 v[15:18], v9, off offset:-8
	ds_load_b128 v[19:22], v8
	v_add_nc_u32_e32 v7, 1, v7
	v_add_nc_u32_e32 v8, 16, v8
	;; [unrolled: 1-line block ×3, first 2 shown]
	s_delay_alu instid0(VALU_DEP_3) | instskip(SKIP_4) | instid1(VALU_DEP_2)
	v_cmp_lt_u32_e32 vcc_lo, 29, v7
	s_or_b32 s3, vcc_lo, s3
	s_waitcnt vmcnt(0) lgkmcnt(0)
	v_mul_f64 v[10:11], v[21:22], v[17:18]
	v_mul_f64 v[17:18], v[19:20], v[17:18]
	v_fma_f64 v[10:11], v[19:20], v[15:16], -v[10:11]
	s_delay_alu instid0(VALU_DEP_2) | instskip(NEXT) | instid1(VALU_DEP_2)
	v_fma_f64 v[15:16], v[21:22], v[15:16], v[17:18]
	v_add_f64 v[3:4], v[3:4], v[10:11]
	s_delay_alu instid0(VALU_DEP_2)
	v_add_f64 v[1:2], v[1:2], v[15:16]
	s_and_not1_b32 exec_lo, exec_lo, s3
	s_cbranch_execnz .LBB121_137
; %bb.138:
	s_or_b32 exec_lo, exec_lo, s3
	v_mov_b32_e32 v7, 0
	ds_load_b128 v[7:10], v7 offset:496
	s_waitcnt lgkmcnt(0)
	v_mul_f64 v[11:12], v[1:2], v[9:10]
	v_mul_f64 v[15:16], v[3:4], v[9:10]
	s_delay_alu instid0(VALU_DEP_2) | instskip(NEXT) | instid1(VALU_DEP_2)
	v_fma_f64 v[9:10], v[3:4], v[7:8], -v[11:12]
	v_fma_f64 v[11:12], v[1:2], v[7:8], v[15:16]
	scratch_store_b128 off, v[9:12], off offset:496
.LBB121_139:
	s_or_b32 exec_lo, exec_lo, s2
	s_waitcnt_vscnt null, 0x0
	s_barrier
	buffer_gl0_inv
	scratch_load_b32 v1, off, off offset:952 ; 4-byte Folded Reload
	s_mov_b32 s2, exec_lo
	s_waitcnt vmcnt(0)
	scratch_load_b128 v[1:4], v1, off
	s_waitcnt vmcnt(0)
	ds_store_b128 v5, v[1:4]
	s_waitcnt lgkmcnt(0)
	s_barrier
	buffer_gl0_inv
	v_cmpx_gt_u32_e32 32, v158
	s_cbranch_execz .LBB121_143
; %bb.140:
	v_dual_mov_b32 v1, 0 :: v_dual_add_nc_u32 v8, 0x3a0, v13
	v_dual_mov_b32 v2, 0 :: v_dual_add_nc_u32 v7, -1, v158
	v_or_b32_e32 v9, 8, v14
	s_mov_b32 s3, 0
	s_delay_alu instid0(VALU_DEP_2)
	v_dual_mov_b32 v4, v2 :: v_dual_mov_b32 v3, v1
	.p2align	6
.LBB121_141:                            ; =>This Inner Loop Header: Depth=1
	scratch_load_b128 v[15:18], v9, off offset:-8
	ds_load_b128 v[19:22], v8
	v_add_nc_u32_e32 v7, 1, v7
	v_add_nc_u32_e32 v8, 16, v8
	;; [unrolled: 1-line block ×3, first 2 shown]
	s_delay_alu instid0(VALU_DEP_3) | instskip(SKIP_4) | instid1(VALU_DEP_2)
	v_cmp_lt_u32_e32 vcc_lo, 30, v7
	s_or_b32 s3, vcc_lo, s3
	s_waitcnt vmcnt(0) lgkmcnt(0)
	v_mul_f64 v[10:11], v[21:22], v[17:18]
	v_mul_f64 v[17:18], v[19:20], v[17:18]
	v_fma_f64 v[10:11], v[19:20], v[15:16], -v[10:11]
	s_delay_alu instid0(VALU_DEP_2) | instskip(NEXT) | instid1(VALU_DEP_2)
	v_fma_f64 v[15:16], v[21:22], v[15:16], v[17:18]
	v_add_f64 v[3:4], v[3:4], v[10:11]
	s_delay_alu instid0(VALU_DEP_2)
	v_add_f64 v[1:2], v[1:2], v[15:16]
	s_and_not1_b32 exec_lo, exec_lo, s3
	s_cbranch_execnz .LBB121_141
; %bb.142:
	s_or_b32 exec_lo, exec_lo, s3
	v_mov_b32_e32 v7, 0
	ds_load_b128 v[7:10], v7 offset:512
	s_waitcnt lgkmcnt(0)
	v_mul_f64 v[11:12], v[1:2], v[9:10]
	v_mul_f64 v[15:16], v[3:4], v[9:10]
	s_delay_alu instid0(VALU_DEP_2) | instskip(NEXT) | instid1(VALU_DEP_2)
	v_fma_f64 v[9:10], v[3:4], v[7:8], -v[11:12]
	v_fma_f64 v[11:12], v[1:2], v[7:8], v[15:16]
	scratch_store_b128 off, v[9:12], off offset:512
.LBB121_143:
	s_or_b32 exec_lo, exec_lo, s2
	s_waitcnt_vscnt null, 0x0
	s_barrier
	buffer_gl0_inv
	scratch_load_b32 v1, off, off offset:948 ; 4-byte Folded Reload
	s_mov_b32 s2, exec_lo
	s_waitcnt vmcnt(0)
	scratch_load_b128 v[1:4], v1, off
	s_waitcnt vmcnt(0)
	ds_store_b128 v5, v[1:4]
	s_waitcnt lgkmcnt(0)
	s_barrier
	buffer_gl0_inv
	v_cmpx_gt_u32_e32 33, v158
	s_cbranch_execz .LBB121_147
; %bb.144:
	v_dual_mov_b32 v1, 0 :: v_dual_add_nc_u32 v8, 0x3a0, v13
	v_dual_mov_b32 v2, 0 :: v_dual_add_nc_u32 v7, -1, v158
	v_or_b32_e32 v9, 8, v14
	s_mov_b32 s3, 0
	s_delay_alu instid0(VALU_DEP_2)
	v_dual_mov_b32 v4, v2 :: v_dual_mov_b32 v3, v1
	.p2align	6
.LBB121_145:                            ; =>This Inner Loop Header: Depth=1
	scratch_load_b128 v[15:18], v9, off offset:-8
	ds_load_b128 v[19:22], v8
	v_add_nc_u32_e32 v7, 1, v7
	v_add_nc_u32_e32 v8, 16, v8
	;; [unrolled: 1-line block ×3, first 2 shown]
	s_delay_alu instid0(VALU_DEP_3) | instskip(SKIP_4) | instid1(VALU_DEP_2)
	v_cmp_lt_u32_e32 vcc_lo, 31, v7
	s_or_b32 s3, vcc_lo, s3
	s_waitcnt vmcnt(0) lgkmcnt(0)
	v_mul_f64 v[10:11], v[21:22], v[17:18]
	v_mul_f64 v[17:18], v[19:20], v[17:18]
	v_fma_f64 v[10:11], v[19:20], v[15:16], -v[10:11]
	s_delay_alu instid0(VALU_DEP_2) | instskip(NEXT) | instid1(VALU_DEP_2)
	v_fma_f64 v[15:16], v[21:22], v[15:16], v[17:18]
	v_add_f64 v[3:4], v[3:4], v[10:11]
	s_delay_alu instid0(VALU_DEP_2)
	v_add_f64 v[1:2], v[1:2], v[15:16]
	s_and_not1_b32 exec_lo, exec_lo, s3
	s_cbranch_execnz .LBB121_145
; %bb.146:
	s_or_b32 exec_lo, exec_lo, s3
	v_mov_b32_e32 v7, 0
	ds_load_b128 v[7:10], v7 offset:528
	s_waitcnt lgkmcnt(0)
	v_mul_f64 v[11:12], v[1:2], v[9:10]
	v_mul_f64 v[15:16], v[3:4], v[9:10]
	s_delay_alu instid0(VALU_DEP_2) | instskip(NEXT) | instid1(VALU_DEP_2)
	v_fma_f64 v[9:10], v[3:4], v[7:8], -v[11:12]
	v_fma_f64 v[11:12], v[1:2], v[7:8], v[15:16]
	scratch_store_b128 off, v[9:12], off offset:528
.LBB121_147:
	s_or_b32 exec_lo, exec_lo, s2
	s_waitcnt_vscnt null, 0x0
	s_barrier
	buffer_gl0_inv
	scratch_load_b32 v1, off, off offset:940 ; 4-byte Folded Reload
	s_mov_b32 s2, exec_lo
	s_waitcnt vmcnt(0)
	scratch_load_b128 v[1:4], v1, off
	s_waitcnt vmcnt(0)
	ds_store_b128 v5, v[1:4]
	s_waitcnt lgkmcnt(0)
	s_barrier
	buffer_gl0_inv
	v_cmpx_gt_u32_e32 34, v158
	s_cbranch_execz .LBB121_151
; %bb.148:
	v_dual_mov_b32 v1, 0 :: v_dual_add_nc_u32 v8, 0x3a0, v13
	v_dual_mov_b32 v2, 0 :: v_dual_add_nc_u32 v7, -1, v158
	v_or_b32_e32 v9, 8, v14
	s_mov_b32 s3, 0
	s_delay_alu instid0(VALU_DEP_2)
	v_dual_mov_b32 v4, v2 :: v_dual_mov_b32 v3, v1
	.p2align	6
.LBB121_149:                            ; =>This Inner Loop Header: Depth=1
	scratch_load_b128 v[15:18], v9, off offset:-8
	ds_load_b128 v[19:22], v8
	v_add_nc_u32_e32 v7, 1, v7
	v_add_nc_u32_e32 v8, 16, v8
	;; [unrolled: 1-line block ×3, first 2 shown]
	s_delay_alu instid0(VALU_DEP_3) | instskip(SKIP_4) | instid1(VALU_DEP_2)
	v_cmp_lt_u32_e32 vcc_lo, 32, v7
	s_or_b32 s3, vcc_lo, s3
	s_waitcnt vmcnt(0) lgkmcnt(0)
	v_mul_f64 v[10:11], v[21:22], v[17:18]
	v_mul_f64 v[17:18], v[19:20], v[17:18]
	v_fma_f64 v[10:11], v[19:20], v[15:16], -v[10:11]
	s_delay_alu instid0(VALU_DEP_2) | instskip(NEXT) | instid1(VALU_DEP_2)
	v_fma_f64 v[15:16], v[21:22], v[15:16], v[17:18]
	v_add_f64 v[3:4], v[3:4], v[10:11]
	s_delay_alu instid0(VALU_DEP_2)
	v_add_f64 v[1:2], v[1:2], v[15:16]
	s_and_not1_b32 exec_lo, exec_lo, s3
	s_cbranch_execnz .LBB121_149
; %bb.150:
	s_or_b32 exec_lo, exec_lo, s3
	v_mov_b32_e32 v7, 0
	ds_load_b128 v[7:10], v7 offset:544
	s_waitcnt lgkmcnt(0)
	v_mul_f64 v[11:12], v[1:2], v[9:10]
	v_mul_f64 v[15:16], v[3:4], v[9:10]
	s_delay_alu instid0(VALU_DEP_2) | instskip(NEXT) | instid1(VALU_DEP_2)
	v_fma_f64 v[9:10], v[3:4], v[7:8], -v[11:12]
	v_fma_f64 v[11:12], v[1:2], v[7:8], v[15:16]
	scratch_store_b128 off, v[9:12], off offset:544
.LBB121_151:
	s_or_b32 exec_lo, exec_lo, s2
	s_waitcnt_vscnt null, 0x0
	s_barrier
	buffer_gl0_inv
	scratch_load_b32 v1, off, off offset:944 ; 4-byte Folded Reload
	s_mov_b32 s2, exec_lo
	s_waitcnt vmcnt(0)
	scratch_load_b128 v[1:4], v1, off
	s_waitcnt vmcnt(0)
	ds_store_b128 v5, v[1:4]
	s_waitcnt lgkmcnt(0)
	s_barrier
	buffer_gl0_inv
	v_cmpx_gt_u32_e32 35, v158
	s_cbranch_execz .LBB121_155
; %bb.152:
	v_dual_mov_b32 v1, 0 :: v_dual_add_nc_u32 v8, 0x3a0, v13
	v_dual_mov_b32 v2, 0 :: v_dual_add_nc_u32 v7, -1, v158
	v_or_b32_e32 v9, 8, v14
	s_mov_b32 s3, 0
	s_delay_alu instid0(VALU_DEP_2)
	v_dual_mov_b32 v4, v2 :: v_dual_mov_b32 v3, v1
	.p2align	6
.LBB121_153:                            ; =>This Inner Loop Header: Depth=1
	scratch_load_b128 v[15:18], v9, off offset:-8
	ds_load_b128 v[19:22], v8
	v_add_nc_u32_e32 v7, 1, v7
	v_add_nc_u32_e32 v8, 16, v8
	;; [unrolled: 1-line block ×3, first 2 shown]
	s_delay_alu instid0(VALU_DEP_3) | instskip(SKIP_4) | instid1(VALU_DEP_2)
	v_cmp_lt_u32_e32 vcc_lo, 33, v7
	s_or_b32 s3, vcc_lo, s3
	s_waitcnt vmcnt(0) lgkmcnt(0)
	v_mul_f64 v[10:11], v[21:22], v[17:18]
	v_mul_f64 v[17:18], v[19:20], v[17:18]
	v_fma_f64 v[10:11], v[19:20], v[15:16], -v[10:11]
	s_delay_alu instid0(VALU_DEP_2) | instskip(NEXT) | instid1(VALU_DEP_2)
	v_fma_f64 v[15:16], v[21:22], v[15:16], v[17:18]
	v_add_f64 v[3:4], v[3:4], v[10:11]
	s_delay_alu instid0(VALU_DEP_2)
	v_add_f64 v[1:2], v[1:2], v[15:16]
	s_and_not1_b32 exec_lo, exec_lo, s3
	s_cbranch_execnz .LBB121_153
; %bb.154:
	s_or_b32 exec_lo, exec_lo, s3
	v_mov_b32_e32 v7, 0
	ds_load_b128 v[7:10], v7 offset:560
	s_waitcnt lgkmcnt(0)
	v_mul_f64 v[11:12], v[1:2], v[9:10]
	v_mul_f64 v[15:16], v[3:4], v[9:10]
	s_delay_alu instid0(VALU_DEP_2) | instskip(NEXT) | instid1(VALU_DEP_2)
	v_fma_f64 v[9:10], v[3:4], v[7:8], -v[11:12]
	v_fma_f64 v[11:12], v[1:2], v[7:8], v[15:16]
	scratch_store_b128 off, v[9:12], off offset:560
.LBB121_155:
	s_or_b32 exec_lo, exec_lo, s2
	s_waitcnt_vscnt null, 0x0
	s_barrier
	buffer_gl0_inv
	scratch_load_b32 v1, off, off offset:936 ; 4-byte Folded Reload
	s_mov_b32 s2, exec_lo
	s_waitcnt vmcnt(0)
	scratch_load_b128 v[1:4], v1, off
	s_waitcnt vmcnt(0)
	ds_store_b128 v5, v[1:4]
	s_waitcnt lgkmcnt(0)
	s_barrier
	buffer_gl0_inv
	v_cmpx_gt_u32_e32 36, v158
	s_cbranch_execz .LBB121_159
; %bb.156:
	v_dual_mov_b32 v1, 0 :: v_dual_add_nc_u32 v8, 0x3a0, v13
	v_dual_mov_b32 v2, 0 :: v_dual_add_nc_u32 v7, -1, v158
	v_or_b32_e32 v9, 8, v14
	s_mov_b32 s3, 0
	s_delay_alu instid0(VALU_DEP_2)
	v_dual_mov_b32 v4, v2 :: v_dual_mov_b32 v3, v1
	.p2align	6
.LBB121_157:                            ; =>This Inner Loop Header: Depth=1
	scratch_load_b128 v[15:18], v9, off offset:-8
	ds_load_b128 v[19:22], v8
	v_add_nc_u32_e32 v7, 1, v7
	v_add_nc_u32_e32 v8, 16, v8
	;; [unrolled: 1-line block ×3, first 2 shown]
	s_delay_alu instid0(VALU_DEP_3) | instskip(SKIP_4) | instid1(VALU_DEP_2)
	v_cmp_lt_u32_e32 vcc_lo, 34, v7
	s_or_b32 s3, vcc_lo, s3
	s_waitcnt vmcnt(0) lgkmcnt(0)
	v_mul_f64 v[10:11], v[21:22], v[17:18]
	v_mul_f64 v[17:18], v[19:20], v[17:18]
	v_fma_f64 v[10:11], v[19:20], v[15:16], -v[10:11]
	s_delay_alu instid0(VALU_DEP_2) | instskip(NEXT) | instid1(VALU_DEP_2)
	v_fma_f64 v[15:16], v[21:22], v[15:16], v[17:18]
	v_add_f64 v[3:4], v[3:4], v[10:11]
	s_delay_alu instid0(VALU_DEP_2)
	v_add_f64 v[1:2], v[1:2], v[15:16]
	s_and_not1_b32 exec_lo, exec_lo, s3
	s_cbranch_execnz .LBB121_157
; %bb.158:
	s_or_b32 exec_lo, exec_lo, s3
	v_mov_b32_e32 v7, 0
	ds_load_b128 v[7:10], v7 offset:576
	s_waitcnt lgkmcnt(0)
	v_mul_f64 v[11:12], v[1:2], v[9:10]
	v_mul_f64 v[15:16], v[3:4], v[9:10]
	s_delay_alu instid0(VALU_DEP_2) | instskip(NEXT) | instid1(VALU_DEP_2)
	v_fma_f64 v[9:10], v[3:4], v[7:8], -v[11:12]
	v_fma_f64 v[11:12], v[1:2], v[7:8], v[15:16]
	scratch_store_b128 off, v[9:12], off offset:576
.LBB121_159:
	s_or_b32 exec_lo, exec_lo, s2
	s_waitcnt_vscnt null, 0x0
	s_barrier
	buffer_gl0_inv
	scratch_load_b32 v1, off, off offset:932 ; 4-byte Folded Reload
	s_mov_b32 s2, exec_lo
	s_waitcnt vmcnt(0)
	scratch_load_b128 v[1:4], v1, off
	s_waitcnt vmcnt(0)
	ds_store_b128 v5, v[1:4]
	s_waitcnt lgkmcnt(0)
	s_barrier
	buffer_gl0_inv
	v_cmpx_gt_u32_e32 37, v158
	s_cbranch_execz .LBB121_163
; %bb.160:
	v_dual_mov_b32 v1, 0 :: v_dual_add_nc_u32 v8, 0x3a0, v13
	v_dual_mov_b32 v2, 0 :: v_dual_add_nc_u32 v7, -1, v158
	v_or_b32_e32 v9, 8, v14
	s_mov_b32 s3, 0
	s_delay_alu instid0(VALU_DEP_2)
	v_dual_mov_b32 v4, v2 :: v_dual_mov_b32 v3, v1
	.p2align	6
.LBB121_161:                            ; =>This Inner Loop Header: Depth=1
	scratch_load_b128 v[15:18], v9, off offset:-8
	ds_load_b128 v[19:22], v8
	v_add_nc_u32_e32 v7, 1, v7
	v_add_nc_u32_e32 v8, 16, v8
	;; [unrolled: 1-line block ×3, first 2 shown]
	s_delay_alu instid0(VALU_DEP_3) | instskip(SKIP_4) | instid1(VALU_DEP_2)
	v_cmp_lt_u32_e32 vcc_lo, 35, v7
	s_or_b32 s3, vcc_lo, s3
	s_waitcnt vmcnt(0) lgkmcnt(0)
	v_mul_f64 v[10:11], v[21:22], v[17:18]
	v_mul_f64 v[17:18], v[19:20], v[17:18]
	v_fma_f64 v[10:11], v[19:20], v[15:16], -v[10:11]
	s_delay_alu instid0(VALU_DEP_2) | instskip(NEXT) | instid1(VALU_DEP_2)
	v_fma_f64 v[15:16], v[21:22], v[15:16], v[17:18]
	v_add_f64 v[3:4], v[3:4], v[10:11]
	s_delay_alu instid0(VALU_DEP_2)
	v_add_f64 v[1:2], v[1:2], v[15:16]
	s_and_not1_b32 exec_lo, exec_lo, s3
	s_cbranch_execnz .LBB121_161
; %bb.162:
	s_or_b32 exec_lo, exec_lo, s3
	v_mov_b32_e32 v7, 0
	ds_load_b128 v[7:10], v7 offset:592
	s_waitcnt lgkmcnt(0)
	v_mul_f64 v[11:12], v[1:2], v[9:10]
	v_mul_f64 v[15:16], v[3:4], v[9:10]
	s_delay_alu instid0(VALU_DEP_2) | instskip(NEXT) | instid1(VALU_DEP_2)
	v_fma_f64 v[9:10], v[3:4], v[7:8], -v[11:12]
	v_fma_f64 v[11:12], v[1:2], v[7:8], v[15:16]
	scratch_store_b128 off, v[9:12], off offset:592
.LBB121_163:
	s_or_b32 exec_lo, exec_lo, s2
	s_waitcnt_vscnt null, 0x0
	s_barrier
	buffer_gl0_inv
	scratch_load_b32 v1, off, off offset:928 ; 4-byte Folded Reload
	s_mov_b32 s2, exec_lo
	s_waitcnt vmcnt(0)
	scratch_load_b128 v[1:4], v1, off
	s_waitcnt vmcnt(0)
	ds_store_b128 v5, v[1:4]
	s_waitcnt lgkmcnt(0)
	s_barrier
	buffer_gl0_inv
	v_cmpx_gt_u32_e32 38, v158
	s_cbranch_execz .LBB121_167
; %bb.164:
	v_dual_mov_b32 v1, 0 :: v_dual_add_nc_u32 v8, 0x3a0, v13
	v_dual_mov_b32 v2, 0 :: v_dual_add_nc_u32 v7, -1, v158
	v_or_b32_e32 v9, 8, v14
	s_mov_b32 s3, 0
	s_delay_alu instid0(VALU_DEP_2)
	v_dual_mov_b32 v4, v2 :: v_dual_mov_b32 v3, v1
	.p2align	6
.LBB121_165:                            ; =>This Inner Loop Header: Depth=1
	scratch_load_b128 v[15:18], v9, off offset:-8
	ds_load_b128 v[19:22], v8
	v_add_nc_u32_e32 v7, 1, v7
	v_add_nc_u32_e32 v8, 16, v8
	v_add_nc_u32_e32 v9, 16, v9
	s_delay_alu instid0(VALU_DEP_3) | instskip(SKIP_4) | instid1(VALU_DEP_2)
	v_cmp_lt_u32_e32 vcc_lo, 36, v7
	s_or_b32 s3, vcc_lo, s3
	s_waitcnt vmcnt(0) lgkmcnt(0)
	v_mul_f64 v[10:11], v[21:22], v[17:18]
	v_mul_f64 v[17:18], v[19:20], v[17:18]
	v_fma_f64 v[10:11], v[19:20], v[15:16], -v[10:11]
	s_delay_alu instid0(VALU_DEP_2) | instskip(NEXT) | instid1(VALU_DEP_2)
	v_fma_f64 v[15:16], v[21:22], v[15:16], v[17:18]
	v_add_f64 v[3:4], v[3:4], v[10:11]
	s_delay_alu instid0(VALU_DEP_2)
	v_add_f64 v[1:2], v[1:2], v[15:16]
	s_and_not1_b32 exec_lo, exec_lo, s3
	s_cbranch_execnz .LBB121_165
; %bb.166:
	s_or_b32 exec_lo, exec_lo, s3
	v_mov_b32_e32 v7, 0
	ds_load_b128 v[7:10], v7 offset:608
	s_waitcnt lgkmcnt(0)
	v_mul_f64 v[11:12], v[1:2], v[9:10]
	v_mul_f64 v[15:16], v[3:4], v[9:10]
	s_delay_alu instid0(VALU_DEP_2) | instskip(NEXT) | instid1(VALU_DEP_2)
	v_fma_f64 v[9:10], v[3:4], v[7:8], -v[11:12]
	v_fma_f64 v[11:12], v[1:2], v[7:8], v[15:16]
	scratch_store_b128 off, v[9:12], off offset:608
.LBB121_167:
	s_or_b32 exec_lo, exec_lo, s2
	s_waitcnt_vscnt null, 0x0
	s_barrier
	buffer_gl0_inv
	scratch_load_b128 v[1:4], v221, off
	s_mov_b32 s2, exec_lo
	s_waitcnt vmcnt(0)
	ds_store_b128 v5, v[1:4]
	s_waitcnt lgkmcnt(0)
	s_barrier
	buffer_gl0_inv
	v_cmpx_gt_u32_e32 39, v158
	s_cbranch_execz .LBB121_171
; %bb.168:
	v_dual_mov_b32 v1, 0 :: v_dual_add_nc_u32 v8, 0x3a0, v13
	v_dual_mov_b32 v2, 0 :: v_dual_add_nc_u32 v7, -1, v158
	v_or_b32_e32 v9, 8, v14
	s_mov_b32 s3, 0
	s_delay_alu instid0(VALU_DEP_2)
	v_dual_mov_b32 v4, v2 :: v_dual_mov_b32 v3, v1
	.p2align	6
.LBB121_169:                            ; =>This Inner Loop Header: Depth=1
	scratch_load_b128 v[15:18], v9, off offset:-8
	ds_load_b128 v[19:22], v8
	v_add_nc_u32_e32 v7, 1, v7
	v_add_nc_u32_e32 v8, 16, v8
	;; [unrolled: 1-line block ×3, first 2 shown]
	s_delay_alu instid0(VALU_DEP_3) | instskip(SKIP_4) | instid1(VALU_DEP_2)
	v_cmp_lt_u32_e32 vcc_lo, 37, v7
	s_or_b32 s3, vcc_lo, s3
	s_waitcnt vmcnt(0) lgkmcnt(0)
	v_mul_f64 v[10:11], v[21:22], v[17:18]
	v_mul_f64 v[17:18], v[19:20], v[17:18]
	v_fma_f64 v[10:11], v[19:20], v[15:16], -v[10:11]
	s_delay_alu instid0(VALU_DEP_2) | instskip(NEXT) | instid1(VALU_DEP_2)
	v_fma_f64 v[15:16], v[21:22], v[15:16], v[17:18]
	v_add_f64 v[3:4], v[3:4], v[10:11]
	s_delay_alu instid0(VALU_DEP_2)
	v_add_f64 v[1:2], v[1:2], v[15:16]
	s_and_not1_b32 exec_lo, exec_lo, s3
	s_cbranch_execnz .LBB121_169
; %bb.170:
	s_or_b32 exec_lo, exec_lo, s3
	v_mov_b32_e32 v7, 0
	ds_load_b128 v[7:10], v7 offset:624
	s_waitcnt lgkmcnt(0)
	v_mul_f64 v[11:12], v[1:2], v[9:10]
	v_mul_f64 v[15:16], v[3:4], v[9:10]
	s_delay_alu instid0(VALU_DEP_2) | instskip(NEXT) | instid1(VALU_DEP_2)
	v_fma_f64 v[9:10], v[3:4], v[7:8], -v[11:12]
	v_fma_f64 v[11:12], v[1:2], v[7:8], v[15:16]
	scratch_store_b128 off, v[9:12], off offset:624
.LBB121_171:
	s_or_b32 exec_lo, exec_lo, s2
	s_waitcnt_vscnt null, 0x0
	s_barrier
	buffer_gl0_inv
	scratch_load_b128 v[1:4], v223, off
	s_mov_b32 s2, exec_lo
	s_waitcnt vmcnt(0)
	ds_store_b128 v5, v[1:4]
	s_waitcnt lgkmcnt(0)
	s_barrier
	buffer_gl0_inv
	v_cmpx_gt_u32_e32 40, v158
	s_cbranch_execz .LBB121_175
; %bb.172:
	v_dual_mov_b32 v1, 0 :: v_dual_add_nc_u32 v8, 0x3a0, v13
	v_dual_mov_b32 v2, 0 :: v_dual_add_nc_u32 v7, -1, v158
	v_or_b32_e32 v9, 8, v14
	s_mov_b32 s3, 0
	s_delay_alu instid0(VALU_DEP_2)
	v_dual_mov_b32 v4, v2 :: v_dual_mov_b32 v3, v1
	.p2align	6
.LBB121_173:                            ; =>This Inner Loop Header: Depth=1
	scratch_load_b128 v[15:18], v9, off offset:-8
	ds_load_b128 v[19:22], v8
	v_add_nc_u32_e32 v7, 1, v7
	v_add_nc_u32_e32 v8, 16, v8
	;; [unrolled: 1-line block ×3, first 2 shown]
	s_delay_alu instid0(VALU_DEP_3) | instskip(SKIP_4) | instid1(VALU_DEP_2)
	v_cmp_lt_u32_e32 vcc_lo, 38, v7
	s_or_b32 s3, vcc_lo, s3
	s_waitcnt vmcnt(0) lgkmcnt(0)
	v_mul_f64 v[10:11], v[21:22], v[17:18]
	v_mul_f64 v[17:18], v[19:20], v[17:18]
	v_fma_f64 v[10:11], v[19:20], v[15:16], -v[10:11]
	s_delay_alu instid0(VALU_DEP_2) | instskip(NEXT) | instid1(VALU_DEP_2)
	v_fma_f64 v[15:16], v[21:22], v[15:16], v[17:18]
	v_add_f64 v[3:4], v[3:4], v[10:11]
	s_delay_alu instid0(VALU_DEP_2)
	v_add_f64 v[1:2], v[1:2], v[15:16]
	s_and_not1_b32 exec_lo, exec_lo, s3
	s_cbranch_execnz .LBB121_173
; %bb.174:
	s_or_b32 exec_lo, exec_lo, s3
	v_mov_b32_e32 v7, 0
	ds_load_b128 v[7:10], v7 offset:640
	s_waitcnt lgkmcnt(0)
	v_mul_f64 v[11:12], v[1:2], v[9:10]
	v_mul_f64 v[15:16], v[3:4], v[9:10]
	s_delay_alu instid0(VALU_DEP_2) | instskip(NEXT) | instid1(VALU_DEP_2)
	v_fma_f64 v[9:10], v[3:4], v[7:8], -v[11:12]
	v_fma_f64 v[11:12], v[1:2], v[7:8], v[15:16]
	scratch_store_b128 off, v[9:12], off offset:640
.LBB121_175:
	s_or_b32 exec_lo, exec_lo, s2
	s_waitcnt_vscnt null, 0x0
	s_barrier
	buffer_gl0_inv
	scratch_load_b128 v[1:4], v222, off
	s_mov_b32 s2, exec_lo
	s_waitcnt vmcnt(0)
	ds_store_b128 v5, v[1:4]
	s_waitcnt lgkmcnt(0)
	s_barrier
	buffer_gl0_inv
	v_cmpx_gt_u32_e32 41, v158
	s_cbranch_execz .LBB121_179
; %bb.176:
	v_dual_mov_b32 v1, 0 :: v_dual_add_nc_u32 v8, 0x3a0, v13
	v_dual_mov_b32 v2, 0 :: v_dual_add_nc_u32 v7, -1, v158
	v_or_b32_e32 v9, 8, v14
	s_mov_b32 s3, 0
	s_delay_alu instid0(VALU_DEP_2)
	v_dual_mov_b32 v4, v2 :: v_dual_mov_b32 v3, v1
	.p2align	6
.LBB121_177:                            ; =>This Inner Loop Header: Depth=1
	scratch_load_b128 v[15:18], v9, off offset:-8
	ds_load_b128 v[19:22], v8
	v_add_nc_u32_e32 v7, 1, v7
	v_add_nc_u32_e32 v8, 16, v8
	;; [unrolled: 1-line block ×3, first 2 shown]
	s_delay_alu instid0(VALU_DEP_3) | instskip(SKIP_4) | instid1(VALU_DEP_2)
	v_cmp_lt_u32_e32 vcc_lo, 39, v7
	s_or_b32 s3, vcc_lo, s3
	s_waitcnt vmcnt(0) lgkmcnt(0)
	v_mul_f64 v[10:11], v[21:22], v[17:18]
	v_mul_f64 v[17:18], v[19:20], v[17:18]
	v_fma_f64 v[10:11], v[19:20], v[15:16], -v[10:11]
	s_delay_alu instid0(VALU_DEP_2) | instskip(NEXT) | instid1(VALU_DEP_2)
	v_fma_f64 v[15:16], v[21:22], v[15:16], v[17:18]
	v_add_f64 v[3:4], v[3:4], v[10:11]
	s_delay_alu instid0(VALU_DEP_2)
	v_add_f64 v[1:2], v[1:2], v[15:16]
	s_and_not1_b32 exec_lo, exec_lo, s3
	s_cbranch_execnz .LBB121_177
; %bb.178:
	s_or_b32 exec_lo, exec_lo, s3
	v_mov_b32_e32 v7, 0
	ds_load_b128 v[7:10], v7 offset:656
	s_waitcnt lgkmcnt(0)
	v_mul_f64 v[11:12], v[1:2], v[9:10]
	v_mul_f64 v[15:16], v[3:4], v[9:10]
	s_delay_alu instid0(VALU_DEP_2) | instskip(NEXT) | instid1(VALU_DEP_2)
	v_fma_f64 v[9:10], v[3:4], v[7:8], -v[11:12]
	v_fma_f64 v[11:12], v[1:2], v[7:8], v[15:16]
	scratch_store_b128 off, v[9:12], off offset:656
.LBB121_179:
	s_or_b32 exec_lo, exec_lo, s2
	s_waitcnt_vscnt null, 0x0
	s_barrier
	buffer_gl0_inv
	scratch_load_b128 v[1:4], v220, off
	s_mov_b32 s2, exec_lo
	s_waitcnt vmcnt(0)
	ds_store_b128 v5, v[1:4]
	s_waitcnt lgkmcnt(0)
	s_barrier
	buffer_gl0_inv
	v_cmpx_gt_u32_e32 42, v158
	s_cbranch_execz .LBB121_183
; %bb.180:
	v_dual_mov_b32 v1, 0 :: v_dual_add_nc_u32 v8, 0x3a0, v13
	v_dual_mov_b32 v2, 0 :: v_dual_add_nc_u32 v7, -1, v158
	v_or_b32_e32 v9, 8, v14
	s_mov_b32 s3, 0
	s_delay_alu instid0(VALU_DEP_2)
	v_dual_mov_b32 v4, v2 :: v_dual_mov_b32 v3, v1
	.p2align	6
.LBB121_181:                            ; =>This Inner Loop Header: Depth=1
	scratch_load_b128 v[15:18], v9, off offset:-8
	ds_load_b128 v[19:22], v8
	v_add_nc_u32_e32 v7, 1, v7
	v_add_nc_u32_e32 v8, 16, v8
	;; [unrolled: 1-line block ×3, first 2 shown]
	s_delay_alu instid0(VALU_DEP_3) | instskip(SKIP_4) | instid1(VALU_DEP_2)
	v_cmp_lt_u32_e32 vcc_lo, 40, v7
	s_or_b32 s3, vcc_lo, s3
	s_waitcnt vmcnt(0) lgkmcnt(0)
	v_mul_f64 v[10:11], v[21:22], v[17:18]
	v_mul_f64 v[17:18], v[19:20], v[17:18]
	v_fma_f64 v[10:11], v[19:20], v[15:16], -v[10:11]
	s_delay_alu instid0(VALU_DEP_2) | instskip(NEXT) | instid1(VALU_DEP_2)
	v_fma_f64 v[15:16], v[21:22], v[15:16], v[17:18]
	v_add_f64 v[3:4], v[3:4], v[10:11]
	s_delay_alu instid0(VALU_DEP_2)
	v_add_f64 v[1:2], v[1:2], v[15:16]
	s_and_not1_b32 exec_lo, exec_lo, s3
	s_cbranch_execnz .LBB121_181
; %bb.182:
	s_or_b32 exec_lo, exec_lo, s3
	v_mov_b32_e32 v7, 0
	ds_load_b128 v[7:10], v7 offset:672
	s_waitcnt lgkmcnt(0)
	v_mul_f64 v[11:12], v[1:2], v[9:10]
	v_mul_f64 v[15:16], v[3:4], v[9:10]
	s_delay_alu instid0(VALU_DEP_2) | instskip(NEXT) | instid1(VALU_DEP_2)
	v_fma_f64 v[9:10], v[3:4], v[7:8], -v[11:12]
	v_fma_f64 v[11:12], v[1:2], v[7:8], v[15:16]
	scratch_store_b128 off, v[9:12], off offset:672
.LBB121_183:
	s_or_b32 exec_lo, exec_lo, s2
	s_waitcnt_vscnt null, 0x0
	s_barrier
	buffer_gl0_inv
	scratch_load_b128 v[1:4], v225, off
	s_mov_b32 s2, exec_lo
	s_waitcnt vmcnt(0)
	ds_store_b128 v5, v[1:4]
	s_waitcnt lgkmcnt(0)
	s_barrier
	buffer_gl0_inv
	v_cmpx_gt_u32_e32 43, v158
	s_cbranch_execz .LBB121_187
; %bb.184:
	v_dual_mov_b32 v1, 0 :: v_dual_add_nc_u32 v8, 0x3a0, v13
	v_dual_mov_b32 v2, 0 :: v_dual_add_nc_u32 v7, -1, v158
	v_or_b32_e32 v9, 8, v14
	s_mov_b32 s3, 0
	s_delay_alu instid0(VALU_DEP_2)
	v_dual_mov_b32 v4, v2 :: v_dual_mov_b32 v3, v1
	.p2align	6
.LBB121_185:                            ; =>This Inner Loop Header: Depth=1
	scratch_load_b128 v[15:18], v9, off offset:-8
	ds_load_b128 v[19:22], v8
	v_add_nc_u32_e32 v7, 1, v7
	v_add_nc_u32_e32 v8, 16, v8
	;; [unrolled: 1-line block ×3, first 2 shown]
	s_delay_alu instid0(VALU_DEP_3) | instskip(SKIP_4) | instid1(VALU_DEP_2)
	v_cmp_lt_u32_e32 vcc_lo, 41, v7
	s_or_b32 s3, vcc_lo, s3
	s_waitcnt vmcnt(0) lgkmcnt(0)
	v_mul_f64 v[10:11], v[21:22], v[17:18]
	v_mul_f64 v[17:18], v[19:20], v[17:18]
	v_fma_f64 v[10:11], v[19:20], v[15:16], -v[10:11]
	s_delay_alu instid0(VALU_DEP_2) | instskip(NEXT) | instid1(VALU_DEP_2)
	v_fma_f64 v[15:16], v[21:22], v[15:16], v[17:18]
	v_add_f64 v[3:4], v[3:4], v[10:11]
	s_delay_alu instid0(VALU_DEP_2)
	v_add_f64 v[1:2], v[1:2], v[15:16]
	s_and_not1_b32 exec_lo, exec_lo, s3
	s_cbranch_execnz .LBB121_185
; %bb.186:
	s_or_b32 exec_lo, exec_lo, s3
	v_mov_b32_e32 v7, 0
	ds_load_b128 v[7:10], v7 offset:688
	s_waitcnt lgkmcnt(0)
	v_mul_f64 v[11:12], v[1:2], v[9:10]
	v_mul_f64 v[15:16], v[3:4], v[9:10]
	s_delay_alu instid0(VALU_DEP_2) | instskip(NEXT) | instid1(VALU_DEP_2)
	v_fma_f64 v[9:10], v[3:4], v[7:8], -v[11:12]
	v_fma_f64 v[11:12], v[1:2], v[7:8], v[15:16]
	scratch_store_b128 off, v[9:12], off offset:688
.LBB121_187:
	s_or_b32 exec_lo, exec_lo, s2
	s_waitcnt_vscnt null, 0x0
	s_barrier
	buffer_gl0_inv
	scratch_load_b128 v[1:4], v227, off
	s_mov_b32 s2, exec_lo
	s_waitcnt vmcnt(0)
	ds_store_b128 v5, v[1:4]
	s_waitcnt lgkmcnt(0)
	s_barrier
	buffer_gl0_inv
	v_cmpx_gt_u32_e32 44, v158
	s_cbranch_execz .LBB121_191
; %bb.188:
	v_dual_mov_b32 v1, 0 :: v_dual_add_nc_u32 v8, 0x3a0, v13
	v_dual_mov_b32 v2, 0 :: v_dual_add_nc_u32 v7, -1, v158
	v_or_b32_e32 v9, 8, v14
	s_mov_b32 s3, 0
	s_delay_alu instid0(VALU_DEP_2)
	v_dual_mov_b32 v4, v2 :: v_dual_mov_b32 v3, v1
	.p2align	6
.LBB121_189:                            ; =>This Inner Loop Header: Depth=1
	scratch_load_b128 v[15:18], v9, off offset:-8
	ds_load_b128 v[19:22], v8
	v_add_nc_u32_e32 v7, 1, v7
	v_add_nc_u32_e32 v8, 16, v8
	;; [unrolled: 1-line block ×3, first 2 shown]
	s_delay_alu instid0(VALU_DEP_3) | instskip(SKIP_4) | instid1(VALU_DEP_2)
	v_cmp_lt_u32_e32 vcc_lo, 42, v7
	s_or_b32 s3, vcc_lo, s3
	s_waitcnt vmcnt(0) lgkmcnt(0)
	v_mul_f64 v[10:11], v[21:22], v[17:18]
	v_mul_f64 v[17:18], v[19:20], v[17:18]
	v_fma_f64 v[10:11], v[19:20], v[15:16], -v[10:11]
	s_delay_alu instid0(VALU_DEP_2) | instskip(NEXT) | instid1(VALU_DEP_2)
	v_fma_f64 v[15:16], v[21:22], v[15:16], v[17:18]
	v_add_f64 v[3:4], v[3:4], v[10:11]
	s_delay_alu instid0(VALU_DEP_2)
	v_add_f64 v[1:2], v[1:2], v[15:16]
	s_and_not1_b32 exec_lo, exec_lo, s3
	s_cbranch_execnz .LBB121_189
; %bb.190:
	s_or_b32 exec_lo, exec_lo, s3
	v_mov_b32_e32 v7, 0
	ds_load_b128 v[7:10], v7 offset:704
	s_waitcnt lgkmcnt(0)
	v_mul_f64 v[11:12], v[1:2], v[9:10]
	v_mul_f64 v[15:16], v[3:4], v[9:10]
	s_delay_alu instid0(VALU_DEP_2) | instskip(NEXT) | instid1(VALU_DEP_2)
	v_fma_f64 v[9:10], v[3:4], v[7:8], -v[11:12]
	v_fma_f64 v[11:12], v[1:2], v[7:8], v[15:16]
	scratch_store_b128 off, v[9:12], off offset:704
.LBB121_191:
	s_or_b32 exec_lo, exec_lo, s2
	s_waitcnt_vscnt null, 0x0
	s_barrier
	buffer_gl0_inv
	scratch_load_b128 v[1:4], v226, off
	s_mov_b32 s2, exec_lo
	s_waitcnt vmcnt(0)
	ds_store_b128 v5, v[1:4]
	s_waitcnt lgkmcnt(0)
	s_barrier
	buffer_gl0_inv
	v_cmpx_gt_u32_e32 45, v158
	s_cbranch_execz .LBB121_195
; %bb.192:
	v_dual_mov_b32 v1, 0 :: v_dual_add_nc_u32 v8, 0x3a0, v13
	v_dual_mov_b32 v2, 0 :: v_dual_add_nc_u32 v7, -1, v158
	v_or_b32_e32 v9, 8, v14
	s_mov_b32 s3, 0
	s_delay_alu instid0(VALU_DEP_2)
	v_dual_mov_b32 v4, v2 :: v_dual_mov_b32 v3, v1
	.p2align	6
.LBB121_193:                            ; =>This Inner Loop Header: Depth=1
	scratch_load_b128 v[15:18], v9, off offset:-8
	ds_load_b128 v[19:22], v8
	v_add_nc_u32_e32 v7, 1, v7
	v_add_nc_u32_e32 v8, 16, v8
	v_add_nc_u32_e32 v9, 16, v9
	s_delay_alu instid0(VALU_DEP_3) | instskip(SKIP_4) | instid1(VALU_DEP_2)
	v_cmp_lt_u32_e32 vcc_lo, 43, v7
	s_or_b32 s3, vcc_lo, s3
	s_waitcnt vmcnt(0) lgkmcnt(0)
	v_mul_f64 v[10:11], v[21:22], v[17:18]
	v_mul_f64 v[17:18], v[19:20], v[17:18]
	v_fma_f64 v[10:11], v[19:20], v[15:16], -v[10:11]
	s_delay_alu instid0(VALU_DEP_2) | instskip(NEXT) | instid1(VALU_DEP_2)
	v_fma_f64 v[15:16], v[21:22], v[15:16], v[17:18]
	v_add_f64 v[3:4], v[3:4], v[10:11]
	s_delay_alu instid0(VALU_DEP_2)
	v_add_f64 v[1:2], v[1:2], v[15:16]
	s_and_not1_b32 exec_lo, exec_lo, s3
	s_cbranch_execnz .LBB121_193
; %bb.194:
	s_or_b32 exec_lo, exec_lo, s3
	v_mov_b32_e32 v7, 0
	ds_load_b128 v[7:10], v7 offset:720
	s_waitcnt lgkmcnt(0)
	v_mul_f64 v[11:12], v[1:2], v[9:10]
	v_mul_f64 v[15:16], v[3:4], v[9:10]
	s_delay_alu instid0(VALU_DEP_2) | instskip(NEXT) | instid1(VALU_DEP_2)
	v_fma_f64 v[9:10], v[3:4], v[7:8], -v[11:12]
	v_fma_f64 v[11:12], v[1:2], v[7:8], v[15:16]
	scratch_store_b128 off, v[9:12], off offset:720
.LBB121_195:
	s_or_b32 exec_lo, exec_lo, s2
	s_waitcnt_vscnt null, 0x0
	s_barrier
	buffer_gl0_inv
	scratch_load_b128 v[1:4], v224, off
	s_mov_b32 s2, exec_lo
	s_waitcnt vmcnt(0)
	ds_store_b128 v5, v[1:4]
	s_waitcnt lgkmcnt(0)
	s_barrier
	buffer_gl0_inv
	v_cmpx_gt_u32_e32 46, v158
	s_cbranch_execz .LBB121_199
; %bb.196:
	v_dual_mov_b32 v1, 0 :: v_dual_add_nc_u32 v8, 0x3a0, v13
	v_dual_mov_b32 v2, 0 :: v_dual_add_nc_u32 v7, -1, v158
	v_or_b32_e32 v9, 8, v14
	s_mov_b32 s3, 0
	s_delay_alu instid0(VALU_DEP_2)
	v_dual_mov_b32 v4, v2 :: v_dual_mov_b32 v3, v1
	.p2align	6
.LBB121_197:                            ; =>This Inner Loop Header: Depth=1
	scratch_load_b128 v[15:18], v9, off offset:-8
	ds_load_b128 v[19:22], v8
	v_add_nc_u32_e32 v7, 1, v7
	v_add_nc_u32_e32 v8, 16, v8
	;; [unrolled: 1-line block ×3, first 2 shown]
	s_delay_alu instid0(VALU_DEP_3) | instskip(SKIP_4) | instid1(VALU_DEP_2)
	v_cmp_lt_u32_e32 vcc_lo, 44, v7
	s_or_b32 s3, vcc_lo, s3
	s_waitcnt vmcnt(0) lgkmcnt(0)
	v_mul_f64 v[10:11], v[21:22], v[17:18]
	v_mul_f64 v[17:18], v[19:20], v[17:18]
	v_fma_f64 v[10:11], v[19:20], v[15:16], -v[10:11]
	s_delay_alu instid0(VALU_DEP_2) | instskip(NEXT) | instid1(VALU_DEP_2)
	v_fma_f64 v[15:16], v[21:22], v[15:16], v[17:18]
	v_add_f64 v[3:4], v[3:4], v[10:11]
	s_delay_alu instid0(VALU_DEP_2)
	v_add_f64 v[1:2], v[1:2], v[15:16]
	s_and_not1_b32 exec_lo, exec_lo, s3
	s_cbranch_execnz .LBB121_197
; %bb.198:
	s_or_b32 exec_lo, exec_lo, s3
	v_mov_b32_e32 v7, 0
	ds_load_b128 v[7:10], v7 offset:736
	s_waitcnt lgkmcnt(0)
	v_mul_f64 v[11:12], v[1:2], v[9:10]
	v_mul_f64 v[15:16], v[3:4], v[9:10]
	s_delay_alu instid0(VALU_DEP_2) | instskip(NEXT) | instid1(VALU_DEP_2)
	v_fma_f64 v[9:10], v[3:4], v[7:8], -v[11:12]
	v_fma_f64 v[11:12], v[1:2], v[7:8], v[15:16]
	scratch_store_b128 off, v[9:12], off offset:736
.LBB121_199:
	s_or_b32 exec_lo, exec_lo, s2
	s_waitcnt_vscnt null, 0x0
	s_barrier
	buffer_gl0_inv
	scratch_load_b128 v[1:4], v229, off
	s_mov_b32 s2, exec_lo
	s_waitcnt vmcnt(0)
	ds_store_b128 v5, v[1:4]
	s_waitcnt lgkmcnt(0)
	s_barrier
	buffer_gl0_inv
	v_cmpx_gt_u32_e32 47, v158
	s_cbranch_execz .LBB121_203
; %bb.200:
	v_dual_mov_b32 v1, 0 :: v_dual_add_nc_u32 v8, 0x3a0, v13
	v_dual_mov_b32 v2, 0 :: v_dual_add_nc_u32 v7, -1, v158
	v_or_b32_e32 v9, 8, v14
	s_mov_b32 s3, 0
	s_delay_alu instid0(VALU_DEP_2)
	v_dual_mov_b32 v4, v2 :: v_dual_mov_b32 v3, v1
	.p2align	6
.LBB121_201:                            ; =>This Inner Loop Header: Depth=1
	scratch_load_b128 v[15:18], v9, off offset:-8
	ds_load_b128 v[19:22], v8
	v_add_nc_u32_e32 v7, 1, v7
	v_add_nc_u32_e32 v8, 16, v8
	;; [unrolled: 1-line block ×3, first 2 shown]
	s_delay_alu instid0(VALU_DEP_3) | instskip(SKIP_4) | instid1(VALU_DEP_2)
	v_cmp_lt_u32_e32 vcc_lo, 45, v7
	s_or_b32 s3, vcc_lo, s3
	s_waitcnt vmcnt(0) lgkmcnt(0)
	v_mul_f64 v[10:11], v[21:22], v[17:18]
	v_mul_f64 v[17:18], v[19:20], v[17:18]
	v_fma_f64 v[10:11], v[19:20], v[15:16], -v[10:11]
	s_delay_alu instid0(VALU_DEP_2) | instskip(NEXT) | instid1(VALU_DEP_2)
	v_fma_f64 v[15:16], v[21:22], v[15:16], v[17:18]
	v_add_f64 v[3:4], v[3:4], v[10:11]
	s_delay_alu instid0(VALU_DEP_2)
	v_add_f64 v[1:2], v[1:2], v[15:16]
	s_and_not1_b32 exec_lo, exec_lo, s3
	s_cbranch_execnz .LBB121_201
; %bb.202:
	s_or_b32 exec_lo, exec_lo, s3
	v_mov_b32_e32 v7, 0
	ds_load_b128 v[7:10], v7 offset:752
	s_waitcnt lgkmcnt(0)
	v_mul_f64 v[11:12], v[1:2], v[9:10]
	v_mul_f64 v[15:16], v[3:4], v[9:10]
	s_delay_alu instid0(VALU_DEP_2) | instskip(NEXT) | instid1(VALU_DEP_2)
	v_fma_f64 v[9:10], v[3:4], v[7:8], -v[11:12]
	v_fma_f64 v[11:12], v[1:2], v[7:8], v[15:16]
	scratch_store_b128 off, v[9:12], off offset:752
.LBB121_203:
	s_or_b32 exec_lo, exec_lo, s2
	s_waitcnt_vscnt null, 0x0
	s_barrier
	buffer_gl0_inv
	scratch_load_b128 v[1:4], v231, off
	s_mov_b32 s2, exec_lo
	s_waitcnt vmcnt(0)
	ds_store_b128 v5, v[1:4]
	s_waitcnt lgkmcnt(0)
	s_barrier
	buffer_gl0_inv
	v_cmpx_gt_u32_e32 48, v158
	s_cbranch_execz .LBB121_207
; %bb.204:
	v_dual_mov_b32 v1, 0 :: v_dual_add_nc_u32 v8, 0x3a0, v13
	v_dual_mov_b32 v2, 0 :: v_dual_add_nc_u32 v7, -1, v158
	v_or_b32_e32 v9, 8, v14
	s_mov_b32 s3, 0
	s_delay_alu instid0(VALU_DEP_2)
	v_dual_mov_b32 v4, v2 :: v_dual_mov_b32 v3, v1
	.p2align	6
.LBB121_205:                            ; =>This Inner Loop Header: Depth=1
	scratch_load_b128 v[15:18], v9, off offset:-8
	ds_load_b128 v[19:22], v8
	v_add_nc_u32_e32 v7, 1, v7
	v_add_nc_u32_e32 v8, 16, v8
	;; [unrolled: 1-line block ×3, first 2 shown]
	s_delay_alu instid0(VALU_DEP_3) | instskip(SKIP_4) | instid1(VALU_DEP_2)
	v_cmp_lt_u32_e32 vcc_lo, 46, v7
	s_or_b32 s3, vcc_lo, s3
	s_waitcnt vmcnt(0) lgkmcnt(0)
	v_mul_f64 v[10:11], v[21:22], v[17:18]
	v_mul_f64 v[17:18], v[19:20], v[17:18]
	v_fma_f64 v[10:11], v[19:20], v[15:16], -v[10:11]
	s_delay_alu instid0(VALU_DEP_2) | instskip(NEXT) | instid1(VALU_DEP_2)
	v_fma_f64 v[15:16], v[21:22], v[15:16], v[17:18]
	v_add_f64 v[3:4], v[3:4], v[10:11]
	s_delay_alu instid0(VALU_DEP_2)
	v_add_f64 v[1:2], v[1:2], v[15:16]
	s_and_not1_b32 exec_lo, exec_lo, s3
	s_cbranch_execnz .LBB121_205
; %bb.206:
	s_or_b32 exec_lo, exec_lo, s3
	v_mov_b32_e32 v7, 0
	ds_load_b128 v[7:10], v7 offset:768
	s_waitcnt lgkmcnt(0)
	v_mul_f64 v[11:12], v[1:2], v[9:10]
	v_mul_f64 v[15:16], v[3:4], v[9:10]
	s_delay_alu instid0(VALU_DEP_2) | instskip(NEXT) | instid1(VALU_DEP_2)
	v_fma_f64 v[9:10], v[3:4], v[7:8], -v[11:12]
	v_fma_f64 v[11:12], v[1:2], v[7:8], v[15:16]
	scratch_store_b128 off, v[9:12], off offset:768
.LBB121_207:
	s_or_b32 exec_lo, exec_lo, s2
	s_waitcnt_vscnt null, 0x0
	s_barrier
	buffer_gl0_inv
	scratch_load_b128 v[1:4], v230, off
	s_mov_b32 s2, exec_lo
	s_waitcnt vmcnt(0)
	ds_store_b128 v5, v[1:4]
	s_waitcnt lgkmcnt(0)
	s_barrier
	buffer_gl0_inv
	v_cmpx_gt_u32_e32 49, v158
	s_cbranch_execz .LBB121_211
; %bb.208:
	v_dual_mov_b32 v1, 0 :: v_dual_add_nc_u32 v8, 0x3a0, v13
	v_dual_mov_b32 v2, 0 :: v_dual_add_nc_u32 v7, -1, v158
	v_or_b32_e32 v9, 8, v14
	s_mov_b32 s3, 0
	s_delay_alu instid0(VALU_DEP_2)
	v_dual_mov_b32 v4, v2 :: v_dual_mov_b32 v3, v1
	.p2align	6
.LBB121_209:                            ; =>This Inner Loop Header: Depth=1
	scratch_load_b128 v[15:18], v9, off offset:-8
	ds_load_b128 v[19:22], v8
	v_add_nc_u32_e32 v7, 1, v7
	v_add_nc_u32_e32 v8, 16, v8
	;; [unrolled: 1-line block ×3, first 2 shown]
	s_delay_alu instid0(VALU_DEP_3) | instskip(SKIP_4) | instid1(VALU_DEP_2)
	v_cmp_lt_u32_e32 vcc_lo, 47, v7
	s_or_b32 s3, vcc_lo, s3
	s_waitcnt vmcnt(0) lgkmcnt(0)
	v_mul_f64 v[10:11], v[21:22], v[17:18]
	v_mul_f64 v[17:18], v[19:20], v[17:18]
	v_fma_f64 v[10:11], v[19:20], v[15:16], -v[10:11]
	s_delay_alu instid0(VALU_DEP_2) | instskip(NEXT) | instid1(VALU_DEP_2)
	v_fma_f64 v[15:16], v[21:22], v[15:16], v[17:18]
	v_add_f64 v[3:4], v[3:4], v[10:11]
	s_delay_alu instid0(VALU_DEP_2)
	v_add_f64 v[1:2], v[1:2], v[15:16]
	s_and_not1_b32 exec_lo, exec_lo, s3
	s_cbranch_execnz .LBB121_209
; %bb.210:
	s_or_b32 exec_lo, exec_lo, s3
	v_mov_b32_e32 v7, 0
	ds_load_b128 v[7:10], v7 offset:784
	s_waitcnt lgkmcnt(0)
	v_mul_f64 v[11:12], v[1:2], v[9:10]
	v_mul_f64 v[15:16], v[3:4], v[9:10]
	s_delay_alu instid0(VALU_DEP_2) | instskip(NEXT) | instid1(VALU_DEP_2)
	v_fma_f64 v[9:10], v[3:4], v[7:8], -v[11:12]
	v_fma_f64 v[11:12], v[1:2], v[7:8], v[15:16]
	scratch_store_b128 off, v[9:12], off offset:784
.LBB121_211:
	s_or_b32 exec_lo, exec_lo, s2
	s_waitcnt_vscnt null, 0x0
	s_barrier
	buffer_gl0_inv
	scratch_load_b128 v[1:4], v228, off
	s_mov_b32 s2, exec_lo
	s_waitcnt vmcnt(0)
	ds_store_b128 v5, v[1:4]
	s_waitcnt lgkmcnt(0)
	s_barrier
	buffer_gl0_inv
	v_cmpx_gt_u32_e32 50, v158
	s_cbranch_execz .LBB121_215
; %bb.212:
	v_dual_mov_b32 v1, 0 :: v_dual_add_nc_u32 v8, 0x3a0, v13
	v_dual_mov_b32 v2, 0 :: v_dual_add_nc_u32 v7, -1, v158
	v_or_b32_e32 v9, 8, v14
	s_mov_b32 s3, 0
	s_delay_alu instid0(VALU_DEP_2)
	v_dual_mov_b32 v4, v2 :: v_dual_mov_b32 v3, v1
	.p2align	6
.LBB121_213:                            ; =>This Inner Loop Header: Depth=1
	scratch_load_b128 v[15:18], v9, off offset:-8
	ds_load_b128 v[19:22], v8
	v_add_nc_u32_e32 v7, 1, v7
	v_add_nc_u32_e32 v8, 16, v8
	;; [unrolled: 1-line block ×3, first 2 shown]
	s_delay_alu instid0(VALU_DEP_3) | instskip(SKIP_4) | instid1(VALU_DEP_2)
	v_cmp_lt_u32_e32 vcc_lo, 48, v7
	s_or_b32 s3, vcc_lo, s3
	s_waitcnt vmcnt(0) lgkmcnt(0)
	v_mul_f64 v[10:11], v[21:22], v[17:18]
	v_mul_f64 v[17:18], v[19:20], v[17:18]
	v_fma_f64 v[10:11], v[19:20], v[15:16], -v[10:11]
	s_delay_alu instid0(VALU_DEP_2) | instskip(NEXT) | instid1(VALU_DEP_2)
	v_fma_f64 v[15:16], v[21:22], v[15:16], v[17:18]
	v_add_f64 v[3:4], v[3:4], v[10:11]
	s_delay_alu instid0(VALU_DEP_2)
	v_add_f64 v[1:2], v[1:2], v[15:16]
	s_and_not1_b32 exec_lo, exec_lo, s3
	s_cbranch_execnz .LBB121_213
; %bb.214:
	s_or_b32 exec_lo, exec_lo, s3
	v_mov_b32_e32 v7, 0
	ds_load_b128 v[7:10], v7 offset:800
	s_waitcnt lgkmcnt(0)
	v_mul_f64 v[11:12], v[1:2], v[9:10]
	v_mul_f64 v[15:16], v[3:4], v[9:10]
	s_delay_alu instid0(VALU_DEP_2) | instskip(NEXT) | instid1(VALU_DEP_2)
	v_fma_f64 v[9:10], v[3:4], v[7:8], -v[11:12]
	v_fma_f64 v[11:12], v[1:2], v[7:8], v[15:16]
	scratch_store_b128 off, v[9:12], off offset:800
.LBB121_215:
	s_or_b32 exec_lo, exec_lo, s2
	s_waitcnt_vscnt null, 0x0
	s_barrier
	buffer_gl0_inv
	scratch_load_b128 v[1:4], v170, off
	s_mov_b32 s2, exec_lo
	s_waitcnt vmcnt(0)
	ds_store_b128 v5, v[1:4]
	s_waitcnt lgkmcnt(0)
	s_barrier
	buffer_gl0_inv
	v_cmpx_gt_u32_e32 51, v158
	s_cbranch_execz .LBB121_219
; %bb.216:
	v_dual_mov_b32 v1, 0 :: v_dual_add_nc_u32 v8, 0x3a0, v13
	v_dual_mov_b32 v2, 0 :: v_dual_add_nc_u32 v7, -1, v158
	v_or_b32_e32 v9, 8, v14
	s_mov_b32 s3, 0
	s_delay_alu instid0(VALU_DEP_2)
	v_dual_mov_b32 v4, v2 :: v_dual_mov_b32 v3, v1
	.p2align	6
.LBB121_217:                            ; =>This Inner Loop Header: Depth=1
	scratch_load_b128 v[15:18], v9, off offset:-8
	ds_load_b128 v[19:22], v8
	v_add_nc_u32_e32 v7, 1, v7
	v_add_nc_u32_e32 v8, 16, v8
	;; [unrolled: 1-line block ×3, first 2 shown]
	s_delay_alu instid0(VALU_DEP_3) | instskip(SKIP_4) | instid1(VALU_DEP_2)
	v_cmp_lt_u32_e32 vcc_lo, 49, v7
	s_or_b32 s3, vcc_lo, s3
	s_waitcnt vmcnt(0) lgkmcnt(0)
	v_mul_f64 v[10:11], v[21:22], v[17:18]
	v_mul_f64 v[17:18], v[19:20], v[17:18]
	v_fma_f64 v[10:11], v[19:20], v[15:16], -v[10:11]
	s_delay_alu instid0(VALU_DEP_2) | instskip(NEXT) | instid1(VALU_DEP_2)
	v_fma_f64 v[15:16], v[21:22], v[15:16], v[17:18]
	v_add_f64 v[3:4], v[3:4], v[10:11]
	s_delay_alu instid0(VALU_DEP_2)
	v_add_f64 v[1:2], v[1:2], v[15:16]
	s_and_not1_b32 exec_lo, exec_lo, s3
	s_cbranch_execnz .LBB121_217
; %bb.218:
	s_or_b32 exec_lo, exec_lo, s3
	v_mov_b32_e32 v7, 0
	ds_load_b128 v[7:10], v7 offset:816
	s_waitcnt lgkmcnt(0)
	v_mul_f64 v[11:12], v[1:2], v[9:10]
	v_mul_f64 v[15:16], v[3:4], v[9:10]
	s_delay_alu instid0(VALU_DEP_2) | instskip(NEXT) | instid1(VALU_DEP_2)
	v_fma_f64 v[9:10], v[3:4], v[7:8], -v[11:12]
	v_fma_f64 v[11:12], v[1:2], v[7:8], v[15:16]
	scratch_store_b128 off, v[9:12], off offset:816
.LBB121_219:
	s_or_b32 exec_lo, exec_lo, s2
	s_waitcnt_vscnt null, 0x0
	s_barrier
	buffer_gl0_inv
	scratch_load_b128 v[1:4], v169, off
	s_mov_b32 s2, exec_lo
	s_waitcnt vmcnt(0)
	ds_store_b128 v5, v[1:4]
	s_waitcnt lgkmcnt(0)
	s_barrier
	buffer_gl0_inv
	v_cmpx_gt_u32_e32 52, v158
	s_cbranch_execz .LBB121_223
; %bb.220:
	v_dual_mov_b32 v1, 0 :: v_dual_add_nc_u32 v8, 0x3a0, v13
	v_dual_mov_b32 v2, 0 :: v_dual_add_nc_u32 v7, -1, v158
	v_or_b32_e32 v9, 8, v14
	s_mov_b32 s3, 0
	s_delay_alu instid0(VALU_DEP_2)
	v_dual_mov_b32 v4, v2 :: v_dual_mov_b32 v3, v1
	.p2align	6
.LBB121_221:                            ; =>This Inner Loop Header: Depth=1
	scratch_load_b128 v[15:18], v9, off offset:-8
	ds_load_b128 v[19:22], v8
	v_add_nc_u32_e32 v7, 1, v7
	v_add_nc_u32_e32 v8, 16, v8
	;; [unrolled: 1-line block ×3, first 2 shown]
	s_delay_alu instid0(VALU_DEP_3) | instskip(SKIP_4) | instid1(VALU_DEP_2)
	v_cmp_lt_u32_e32 vcc_lo, 50, v7
	s_or_b32 s3, vcc_lo, s3
	s_waitcnt vmcnt(0) lgkmcnt(0)
	v_mul_f64 v[10:11], v[21:22], v[17:18]
	v_mul_f64 v[17:18], v[19:20], v[17:18]
	v_fma_f64 v[10:11], v[19:20], v[15:16], -v[10:11]
	s_delay_alu instid0(VALU_DEP_2) | instskip(NEXT) | instid1(VALU_DEP_2)
	v_fma_f64 v[15:16], v[21:22], v[15:16], v[17:18]
	v_add_f64 v[3:4], v[3:4], v[10:11]
	s_delay_alu instid0(VALU_DEP_2)
	v_add_f64 v[1:2], v[1:2], v[15:16]
	s_and_not1_b32 exec_lo, exec_lo, s3
	s_cbranch_execnz .LBB121_221
; %bb.222:
	s_or_b32 exec_lo, exec_lo, s3
	v_mov_b32_e32 v7, 0
	ds_load_b128 v[7:10], v7 offset:832
	s_waitcnt lgkmcnt(0)
	v_mul_f64 v[11:12], v[1:2], v[9:10]
	v_mul_f64 v[15:16], v[3:4], v[9:10]
	s_delay_alu instid0(VALU_DEP_2) | instskip(NEXT) | instid1(VALU_DEP_2)
	v_fma_f64 v[9:10], v[3:4], v[7:8], -v[11:12]
	v_fma_f64 v[11:12], v[1:2], v[7:8], v[15:16]
	scratch_store_b128 off, v[9:12], off offset:832
.LBB121_223:
	s_or_b32 exec_lo, exec_lo, s2
	s_waitcnt_vscnt null, 0x0
	s_barrier
	buffer_gl0_inv
	scratch_load_b128 v[1:4], v168, off
	s_mov_b32 s2, exec_lo
	s_waitcnt vmcnt(0)
	ds_store_b128 v5, v[1:4]
	s_waitcnt lgkmcnt(0)
	s_barrier
	buffer_gl0_inv
	v_cmpx_gt_u32_e32 53, v158
	s_cbranch_execz .LBB121_227
; %bb.224:
	v_dual_mov_b32 v1, 0 :: v_dual_add_nc_u32 v8, 0x3a0, v13
	v_dual_mov_b32 v2, 0 :: v_dual_add_nc_u32 v7, -1, v158
	v_or_b32_e32 v9, 8, v14
	s_mov_b32 s3, 0
	s_delay_alu instid0(VALU_DEP_2)
	v_dual_mov_b32 v4, v2 :: v_dual_mov_b32 v3, v1
	.p2align	6
.LBB121_225:                            ; =>This Inner Loop Header: Depth=1
	scratch_load_b128 v[15:18], v9, off offset:-8
	ds_load_b128 v[19:22], v8
	v_add_nc_u32_e32 v7, 1, v7
	v_add_nc_u32_e32 v8, 16, v8
	;; [unrolled: 1-line block ×3, first 2 shown]
	s_delay_alu instid0(VALU_DEP_3) | instskip(SKIP_4) | instid1(VALU_DEP_2)
	v_cmp_lt_u32_e32 vcc_lo, 51, v7
	s_or_b32 s3, vcc_lo, s3
	s_waitcnt vmcnt(0) lgkmcnt(0)
	v_mul_f64 v[10:11], v[21:22], v[17:18]
	v_mul_f64 v[17:18], v[19:20], v[17:18]
	v_fma_f64 v[10:11], v[19:20], v[15:16], -v[10:11]
	s_delay_alu instid0(VALU_DEP_2) | instskip(NEXT) | instid1(VALU_DEP_2)
	v_fma_f64 v[15:16], v[21:22], v[15:16], v[17:18]
	v_add_f64 v[3:4], v[3:4], v[10:11]
	s_delay_alu instid0(VALU_DEP_2)
	v_add_f64 v[1:2], v[1:2], v[15:16]
	s_and_not1_b32 exec_lo, exec_lo, s3
	s_cbranch_execnz .LBB121_225
; %bb.226:
	s_or_b32 exec_lo, exec_lo, s3
	v_mov_b32_e32 v7, 0
	ds_load_b128 v[7:10], v7 offset:848
	s_waitcnt lgkmcnt(0)
	v_mul_f64 v[11:12], v[1:2], v[9:10]
	v_mul_f64 v[15:16], v[3:4], v[9:10]
	s_delay_alu instid0(VALU_DEP_2) | instskip(NEXT) | instid1(VALU_DEP_2)
	v_fma_f64 v[9:10], v[3:4], v[7:8], -v[11:12]
	v_fma_f64 v[11:12], v[1:2], v[7:8], v[15:16]
	scratch_store_b128 off, v[9:12], off offset:848
.LBB121_227:
	s_or_b32 exec_lo, exec_lo, s2
	s_waitcnt_vscnt null, 0x0
	s_barrier
	buffer_gl0_inv
	scratch_load_b128 v[1:4], v165, off
	s_mov_b32 s2, exec_lo
	s_waitcnt vmcnt(0)
	ds_store_b128 v5, v[1:4]
	s_waitcnt lgkmcnt(0)
	s_barrier
	buffer_gl0_inv
	v_cmpx_gt_u32_e32 54, v158
	s_cbranch_execz .LBB121_231
; %bb.228:
	v_dual_mov_b32 v1, 0 :: v_dual_add_nc_u32 v8, 0x3a0, v13
	v_dual_mov_b32 v2, 0 :: v_dual_add_nc_u32 v7, -1, v158
	v_or_b32_e32 v9, 8, v14
	s_mov_b32 s3, 0
	s_delay_alu instid0(VALU_DEP_2)
	v_dual_mov_b32 v4, v2 :: v_dual_mov_b32 v3, v1
	.p2align	6
.LBB121_229:                            ; =>This Inner Loop Header: Depth=1
	scratch_load_b128 v[15:18], v9, off offset:-8
	ds_load_b128 v[19:22], v8
	v_add_nc_u32_e32 v7, 1, v7
	v_add_nc_u32_e32 v8, 16, v8
	;; [unrolled: 1-line block ×3, first 2 shown]
	s_delay_alu instid0(VALU_DEP_3) | instskip(SKIP_4) | instid1(VALU_DEP_2)
	v_cmp_lt_u32_e32 vcc_lo, 52, v7
	s_or_b32 s3, vcc_lo, s3
	s_waitcnt vmcnt(0) lgkmcnt(0)
	v_mul_f64 v[10:11], v[21:22], v[17:18]
	v_mul_f64 v[17:18], v[19:20], v[17:18]
	v_fma_f64 v[10:11], v[19:20], v[15:16], -v[10:11]
	s_delay_alu instid0(VALU_DEP_2) | instskip(NEXT) | instid1(VALU_DEP_2)
	v_fma_f64 v[15:16], v[21:22], v[15:16], v[17:18]
	v_add_f64 v[3:4], v[3:4], v[10:11]
	s_delay_alu instid0(VALU_DEP_2)
	v_add_f64 v[1:2], v[1:2], v[15:16]
	s_and_not1_b32 exec_lo, exec_lo, s3
	s_cbranch_execnz .LBB121_229
; %bb.230:
	s_or_b32 exec_lo, exec_lo, s3
	v_mov_b32_e32 v7, 0
	ds_load_b128 v[7:10], v7 offset:864
	s_waitcnt lgkmcnt(0)
	v_mul_f64 v[11:12], v[1:2], v[9:10]
	v_mul_f64 v[15:16], v[3:4], v[9:10]
	s_delay_alu instid0(VALU_DEP_2) | instskip(NEXT) | instid1(VALU_DEP_2)
	v_fma_f64 v[9:10], v[3:4], v[7:8], -v[11:12]
	v_fma_f64 v[11:12], v[1:2], v[7:8], v[15:16]
	scratch_store_b128 off, v[9:12], off offset:864
.LBB121_231:
	s_or_b32 exec_lo, exec_lo, s2
	s_waitcnt_vscnt null, 0x0
	s_barrier
	buffer_gl0_inv
	scratch_load_b128 v[1:4], v164, off
	s_mov_b32 s2, exec_lo
	s_waitcnt vmcnt(0)
	ds_store_b128 v5, v[1:4]
	s_waitcnt lgkmcnt(0)
	s_barrier
	buffer_gl0_inv
	v_cmpx_gt_u32_e32 55, v158
	s_cbranch_execz .LBB121_235
; %bb.232:
	v_dual_mov_b32 v1, 0 :: v_dual_add_nc_u32 v8, 0x3a0, v13
	v_dual_mov_b32 v2, 0 :: v_dual_add_nc_u32 v7, -1, v158
	v_or_b32_e32 v9, 8, v14
	s_mov_b32 s3, 0
	s_delay_alu instid0(VALU_DEP_2)
	v_dual_mov_b32 v4, v2 :: v_dual_mov_b32 v3, v1
	.p2align	6
.LBB121_233:                            ; =>This Inner Loop Header: Depth=1
	scratch_load_b128 v[15:18], v9, off offset:-8
	ds_load_b128 v[19:22], v8
	v_add_nc_u32_e32 v7, 1, v7
	v_add_nc_u32_e32 v8, 16, v8
	v_add_nc_u32_e32 v9, 16, v9
	s_delay_alu instid0(VALU_DEP_3) | instskip(SKIP_4) | instid1(VALU_DEP_2)
	v_cmp_lt_u32_e32 vcc_lo, 53, v7
	s_or_b32 s3, vcc_lo, s3
	s_waitcnt vmcnt(0) lgkmcnt(0)
	v_mul_f64 v[10:11], v[21:22], v[17:18]
	v_mul_f64 v[17:18], v[19:20], v[17:18]
	v_fma_f64 v[10:11], v[19:20], v[15:16], -v[10:11]
	s_delay_alu instid0(VALU_DEP_2) | instskip(NEXT) | instid1(VALU_DEP_2)
	v_fma_f64 v[15:16], v[21:22], v[15:16], v[17:18]
	v_add_f64 v[3:4], v[3:4], v[10:11]
	s_delay_alu instid0(VALU_DEP_2)
	v_add_f64 v[1:2], v[1:2], v[15:16]
	s_and_not1_b32 exec_lo, exec_lo, s3
	s_cbranch_execnz .LBB121_233
; %bb.234:
	s_or_b32 exec_lo, exec_lo, s3
	v_mov_b32_e32 v7, 0
	ds_load_b128 v[7:10], v7 offset:880
	s_waitcnt lgkmcnt(0)
	v_mul_f64 v[11:12], v[1:2], v[9:10]
	v_mul_f64 v[15:16], v[3:4], v[9:10]
	s_delay_alu instid0(VALU_DEP_2) | instskip(NEXT) | instid1(VALU_DEP_2)
	v_fma_f64 v[9:10], v[3:4], v[7:8], -v[11:12]
	v_fma_f64 v[11:12], v[1:2], v[7:8], v[15:16]
	scratch_store_b128 off, v[9:12], off offset:880
.LBB121_235:
	s_or_b32 exec_lo, exec_lo, s2
	s_waitcnt_vscnt null, 0x0
	s_barrier
	buffer_gl0_inv
	scratch_load_b128 v[1:4], v163, off
	s_mov_b32 s2, exec_lo
	s_waitcnt vmcnt(0)
	ds_store_b128 v5, v[1:4]
	s_waitcnt lgkmcnt(0)
	s_barrier
	buffer_gl0_inv
	v_cmpx_gt_u32_e32 56, v158
	s_cbranch_execz .LBB121_239
; %bb.236:
	v_dual_mov_b32 v1, 0 :: v_dual_add_nc_u32 v8, 0x3a0, v13
	v_dual_mov_b32 v2, 0 :: v_dual_add_nc_u32 v7, -1, v158
	v_or_b32_e32 v9, 8, v14
	s_mov_b32 s3, 0
	s_delay_alu instid0(VALU_DEP_2)
	v_dual_mov_b32 v4, v2 :: v_dual_mov_b32 v3, v1
	.p2align	6
.LBB121_237:                            ; =>This Inner Loop Header: Depth=1
	scratch_load_b128 v[10:13], v9, off offset:-8
	ds_load_b128 v[15:18], v8
	v_add_nc_u32_e32 v7, 1, v7
	v_add_nc_u32_e32 v8, 16, v8
	v_add_nc_u32_e32 v9, 16, v9
	s_delay_alu instid0(VALU_DEP_3) | instskip(SKIP_4) | instid1(VALU_DEP_2)
	v_cmp_lt_u32_e32 vcc_lo, 54, v7
	s_or_b32 s3, vcc_lo, s3
	s_waitcnt vmcnt(0) lgkmcnt(0)
	v_mul_f64 v[19:20], v[17:18], v[12:13]
	v_mul_f64 v[12:13], v[15:16], v[12:13]
	v_fma_f64 v[15:16], v[15:16], v[10:11], -v[19:20]
	s_delay_alu instid0(VALU_DEP_2) | instskip(NEXT) | instid1(VALU_DEP_2)
	v_fma_f64 v[10:11], v[17:18], v[10:11], v[12:13]
	v_add_f64 v[3:4], v[3:4], v[15:16]
	s_delay_alu instid0(VALU_DEP_2)
	v_add_f64 v[1:2], v[1:2], v[10:11]
	s_and_not1_b32 exec_lo, exec_lo, s3
	s_cbranch_execnz .LBB121_237
; %bb.238:
	s_or_b32 exec_lo, exec_lo, s3
	v_mov_b32_e32 v7, 0
	ds_load_b128 v[7:10], v7 offset:896
	s_waitcnt lgkmcnt(0)
	v_mul_f64 v[11:12], v[1:2], v[9:10]
	v_mul_f64 v[15:16], v[3:4], v[9:10]
	s_delay_alu instid0(VALU_DEP_2) | instskip(NEXT) | instid1(VALU_DEP_2)
	v_fma_f64 v[9:10], v[3:4], v[7:8], -v[11:12]
	v_fma_f64 v[11:12], v[1:2], v[7:8], v[15:16]
	scratch_store_b128 off, v[9:12], off offset:896
.LBB121_239:
	s_or_b32 exec_lo, exec_lo, s2
	s_waitcnt_vscnt null, 0x0
	s_barrier
	buffer_gl0_inv
	scratch_load_b128 v[1:4], v162, off
	s_mov_b32 s2, exec_lo
	s_waitcnt vmcnt(0)
	ds_store_b128 v5, v[1:4]
	s_waitcnt lgkmcnt(0)
	s_barrier
	buffer_gl0_inv
	v_cmpx_ne_u32_e32 57, v158
	s_cbranch_execz .LBB121_243
; %bb.240:
	v_mov_b32_e32 v1, 0
	v_mov_b32_e32 v2, 0
	v_or_b32_e32 v7, 8, v14
	s_mov_b32 s3, 0
	s_delay_alu instid0(VALU_DEP_2)
	v_dual_mov_b32 v4, v2 :: v_dual_mov_b32 v3, v1
	.p2align	6
.LBB121_241:                            ; =>This Inner Loop Header: Depth=1
	scratch_load_b128 v[8:11], v7, off offset:-8
	ds_load_b128 v[12:15], v5
	v_add_nc_u32_e32 v6, 1, v6
	v_add_nc_u32_e32 v5, 16, v5
	;; [unrolled: 1-line block ×3, first 2 shown]
	s_delay_alu instid0(VALU_DEP_3) | instskip(SKIP_4) | instid1(VALU_DEP_2)
	v_cmp_lt_u32_e32 vcc_lo, 55, v6
	s_or_b32 s3, vcc_lo, s3
	s_waitcnt vmcnt(0) lgkmcnt(0)
	v_mul_f64 v[16:17], v[14:15], v[10:11]
	v_mul_f64 v[10:11], v[12:13], v[10:11]
	v_fma_f64 v[12:13], v[12:13], v[8:9], -v[16:17]
	s_delay_alu instid0(VALU_DEP_2) | instskip(NEXT) | instid1(VALU_DEP_2)
	v_fma_f64 v[8:9], v[14:15], v[8:9], v[10:11]
	v_add_f64 v[3:4], v[3:4], v[12:13]
	s_delay_alu instid0(VALU_DEP_2)
	v_add_f64 v[1:2], v[1:2], v[8:9]
	s_and_not1_b32 exec_lo, exec_lo, s3
	s_cbranch_execnz .LBB121_241
; %bb.242:
	s_or_b32 exec_lo, exec_lo, s3
	v_mov_b32_e32 v5, 0
	ds_load_b128 v[5:8], v5 offset:912
	s_waitcnt lgkmcnt(0)
	v_mul_f64 v[9:10], v[1:2], v[7:8]
	v_mul_f64 v[7:8], v[3:4], v[7:8]
	s_delay_alu instid0(VALU_DEP_2) | instskip(NEXT) | instid1(VALU_DEP_2)
	v_fma_f64 v[3:4], v[3:4], v[5:6], -v[9:10]
	v_fma_f64 v[5:6], v[1:2], v[5:6], v[7:8]
	scratch_store_b128 off, v[3:6], off offset:912
.LBB121_243:
	s_or_b32 exec_lo, exec_lo, s2
	s_mov_b32 s3, -1
	s_waitcnt_vscnt null, 0x0
	s_barrier
	buffer_gl0_inv
.LBB121_244:
	s_and_b32 vcc_lo, exec_lo, s3
	s_cbranch_vccz .LBB121_246
; %bb.245:
	s_lshl_b64 s[2:3], s[10:11], 2
	v_mov_b32_e32 v1, 0
	s_add_u32 s2, s6, s2
	s_addc_u32 s3, s7, s3
	global_load_b32 v1, v1, s[2:3]
	s_waitcnt vmcnt(0)
	v_cmp_ne_u32_e32 vcc_lo, 0, v1
	s_cbranch_vccz .LBB121_247
.LBB121_246:
	s_endpgm
.LBB121_247:
	v_lshl_add_u32 v216, v158, 4, 0x3a0
	s_mov_b32 s2, exec_lo
	v_cmpx_eq_u32_e32 57, v158
	s_cbranch_execz .LBB121_249
; %bb.248:
	scratch_load_b128 v[1:4], v163, off
	v_mov_b32_e32 v5, 0
	s_delay_alu instid0(VALU_DEP_1)
	v_mov_b32_e32 v6, v5
	v_mov_b32_e32 v7, v5
	;; [unrolled: 1-line block ×3, first 2 shown]
	scratch_store_b128 off, v[5:8], off offset:896
	s_waitcnt vmcnt(0)
	ds_store_b128 v216, v[1:4]
.LBB121_249:
	s_or_b32 exec_lo, exec_lo, s2
	s_waitcnt lgkmcnt(0)
	s_waitcnt_vscnt null, 0x0
	s_barrier
	buffer_gl0_inv
	s_clause 0x1
	scratch_load_b128 v[2:5], off, off offset:912
	scratch_load_b128 v[6:9], off, off offset:896
	v_mov_b32_e32 v1, 0
	s_mov_b32 s2, exec_lo
	ds_load_b128 v[10:13], v1 offset:1840
	s_waitcnt vmcnt(1) lgkmcnt(0)
	v_mul_f64 v[14:15], v[12:13], v[4:5]
	v_mul_f64 v[4:5], v[10:11], v[4:5]
	s_delay_alu instid0(VALU_DEP_2) | instskip(NEXT) | instid1(VALU_DEP_2)
	v_fma_f64 v[10:11], v[10:11], v[2:3], -v[14:15]
	v_fma_f64 v[2:3], v[12:13], v[2:3], v[4:5]
	s_delay_alu instid0(VALU_DEP_2) | instskip(NEXT) | instid1(VALU_DEP_2)
	v_add_f64 v[4:5], v[10:11], 0
	v_add_f64 v[10:11], v[2:3], 0
	s_waitcnt vmcnt(0)
	s_delay_alu instid0(VALU_DEP_2) | instskip(NEXT) | instid1(VALU_DEP_2)
	v_add_f64 v[2:3], v[6:7], -v[4:5]
	v_add_f64 v[4:5], v[8:9], -v[10:11]
	scratch_store_b128 off, v[2:5], off offset:896
	v_cmpx_lt_u32_e32 55, v158
	s_cbranch_execz .LBB121_251
; %bb.250:
	scratch_load_b128 v[5:8], v164, off
	v_mov_b32_e32 v2, v1
	v_mov_b32_e32 v3, v1
	;; [unrolled: 1-line block ×3, first 2 shown]
	scratch_store_b128 off, v[1:4], off offset:880
	s_waitcnt vmcnt(0)
	ds_store_b128 v216, v[5:8]
.LBB121_251:
	s_or_b32 exec_lo, exec_lo, s2
	s_waitcnt lgkmcnt(0)
	s_waitcnt_vscnt null, 0x0
	s_barrier
	buffer_gl0_inv
	s_clause 0x2
	scratch_load_b128 v[2:5], off, off offset:896
	scratch_load_b128 v[6:9], off, off offset:912
	;; [unrolled: 1-line block ×3, first 2 shown]
	ds_load_b128 v[14:17], v1 offset:1824
	ds_load_b128 v[18:21], v1 offset:1840
	s_mov_b32 s2, exec_lo
	s_waitcnt vmcnt(2) lgkmcnt(1)
	v_mul_f64 v[22:23], v[16:17], v[4:5]
	v_mul_f64 v[4:5], v[14:15], v[4:5]
	s_waitcnt vmcnt(1) lgkmcnt(0)
	v_mul_f64 v[24:25], v[18:19], v[8:9]
	v_mul_f64 v[8:9], v[20:21], v[8:9]
	s_delay_alu instid0(VALU_DEP_4) | instskip(NEXT) | instid1(VALU_DEP_4)
	v_fma_f64 v[14:15], v[14:15], v[2:3], -v[22:23]
	v_fma_f64 v[1:2], v[16:17], v[2:3], v[4:5]
	s_delay_alu instid0(VALU_DEP_4) | instskip(NEXT) | instid1(VALU_DEP_4)
	v_fma_f64 v[3:4], v[20:21], v[6:7], v[24:25]
	v_fma_f64 v[5:6], v[18:19], v[6:7], -v[8:9]
	s_delay_alu instid0(VALU_DEP_4) | instskip(NEXT) | instid1(VALU_DEP_4)
	v_add_f64 v[7:8], v[14:15], 0
	v_add_f64 v[1:2], v[1:2], 0
	s_delay_alu instid0(VALU_DEP_2) | instskip(NEXT) | instid1(VALU_DEP_2)
	v_add_f64 v[5:6], v[7:8], v[5:6]
	v_add_f64 v[3:4], v[1:2], v[3:4]
	s_waitcnt vmcnt(0)
	s_delay_alu instid0(VALU_DEP_2) | instskip(NEXT) | instid1(VALU_DEP_2)
	v_add_f64 v[1:2], v[10:11], -v[5:6]
	v_add_f64 v[3:4], v[12:13], -v[3:4]
	scratch_store_b128 off, v[1:4], off offset:880
	v_cmpx_lt_u32_e32 54, v158
	s_cbranch_execz .LBB121_253
; %bb.252:
	scratch_load_b128 v[1:4], v165, off
	v_mov_b32_e32 v5, 0
	s_delay_alu instid0(VALU_DEP_1)
	v_mov_b32_e32 v6, v5
	v_mov_b32_e32 v7, v5
	;; [unrolled: 1-line block ×3, first 2 shown]
	scratch_store_b128 off, v[5:8], off offset:864
	s_waitcnt vmcnt(0)
	ds_store_b128 v216, v[1:4]
.LBB121_253:
	s_or_b32 exec_lo, exec_lo, s2
	s_waitcnt lgkmcnt(0)
	s_waitcnt_vscnt null, 0x0
	s_barrier
	buffer_gl0_inv
	s_clause 0x3
	scratch_load_b128 v[2:5], off, off offset:880
	scratch_load_b128 v[6:9], off, off offset:896
	;; [unrolled: 1-line block ×4, first 2 shown]
	v_mov_b32_e32 v1, 0
	ds_load_b128 v[18:21], v1 offset:1808
	ds_load_b128 v[22:25], v1 offset:1824
	s_mov_b32 s2, exec_lo
	s_waitcnt vmcnt(3) lgkmcnt(1)
	v_mul_f64 v[26:27], v[20:21], v[4:5]
	v_mul_f64 v[4:5], v[18:19], v[4:5]
	s_waitcnt vmcnt(2) lgkmcnt(0)
	v_mul_f64 v[28:29], v[22:23], v[8:9]
	v_mul_f64 v[8:9], v[24:25], v[8:9]
	s_delay_alu instid0(VALU_DEP_4) | instskip(NEXT) | instid1(VALU_DEP_4)
	v_fma_f64 v[18:19], v[18:19], v[2:3], -v[26:27]
	v_fma_f64 v[20:21], v[20:21], v[2:3], v[4:5]
	ds_load_b128 v[2:5], v1 offset:1840
	v_fma_f64 v[24:25], v[24:25], v[6:7], v[28:29]
	v_fma_f64 v[6:7], v[22:23], v[6:7], -v[8:9]
	s_waitcnt vmcnt(1) lgkmcnt(0)
	v_mul_f64 v[26:27], v[2:3], v[12:13]
	v_mul_f64 v[12:13], v[4:5], v[12:13]
	v_add_f64 v[8:9], v[18:19], 0
	v_add_f64 v[18:19], v[20:21], 0
	s_delay_alu instid0(VALU_DEP_4) | instskip(NEXT) | instid1(VALU_DEP_4)
	v_fma_f64 v[4:5], v[4:5], v[10:11], v[26:27]
	v_fma_f64 v[2:3], v[2:3], v[10:11], -v[12:13]
	s_delay_alu instid0(VALU_DEP_4) | instskip(NEXT) | instid1(VALU_DEP_4)
	v_add_f64 v[6:7], v[8:9], v[6:7]
	v_add_f64 v[8:9], v[18:19], v[24:25]
	s_delay_alu instid0(VALU_DEP_2) | instskip(NEXT) | instid1(VALU_DEP_2)
	v_add_f64 v[2:3], v[6:7], v[2:3]
	v_add_f64 v[4:5], v[8:9], v[4:5]
	s_waitcnt vmcnt(0)
	s_delay_alu instid0(VALU_DEP_2) | instskip(NEXT) | instid1(VALU_DEP_2)
	v_add_f64 v[2:3], v[14:15], -v[2:3]
	v_add_f64 v[4:5], v[16:17], -v[4:5]
	scratch_store_b128 off, v[2:5], off offset:864
	v_cmpx_lt_u32_e32 53, v158
	s_cbranch_execz .LBB121_255
; %bb.254:
	scratch_load_b128 v[5:8], v168, off
	v_mov_b32_e32 v2, v1
	v_mov_b32_e32 v3, v1
	;; [unrolled: 1-line block ×3, first 2 shown]
	scratch_store_b128 off, v[1:4], off offset:848
	s_waitcnt vmcnt(0)
	ds_store_b128 v216, v[5:8]
.LBB121_255:
	s_or_b32 exec_lo, exec_lo, s2
	s_waitcnt lgkmcnt(0)
	s_waitcnt_vscnt null, 0x0
	s_barrier
	buffer_gl0_inv
	s_clause 0x4
	scratch_load_b128 v[2:5], off, off offset:864
	scratch_load_b128 v[6:9], off, off offset:880
	;; [unrolled: 1-line block ×5, first 2 shown]
	ds_load_b128 v[22:25], v1 offset:1792
	ds_load_b128 v[26:29], v1 offset:1808
	s_mov_b32 s2, exec_lo
	s_waitcnt vmcnt(4) lgkmcnt(1)
	v_mul_f64 v[30:31], v[24:25], v[4:5]
	v_mul_f64 v[4:5], v[22:23], v[4:5]
	s_waitcnt vmcnt(3) lgkmcnt(0)
	v_mul_f64 v[32:33], v[26:27], v[8:9]
	v_mul_f64 v[8:9], v[28:29], v[8:9]
	s_delay_alu instid0(VALU_DEP_4) | instskip(NEXT) | instid1(VALU_DEP_4)
	v_fma_f64 v[30:31], v[22:23], v[2:3], -v[30:31]
	v_fma_f64 v[34:35], v[24:25], v[2:3], v[4:5]
	ds_load_b128 v[2:5], v1 offset:1824
	ds_load_b128 v[22:25], v1 offset:1840
	v_fma_f64 v[28:29], v[28:29], v[6:7], v[32:33]
	v_fma_f64 v[6:7], v[26:27], v[6:7], -v[8:9]
	s_waitcnt vmcnt(2) lgkmcnt(1)
	v_mul_f64 v[36:37], v[2:3], v[12:13]
	v_mul_f64 v[12:13], v[4:5], v[12:13]
	v_add_f64 v[8:9], v[30:31], 0
	v_add_f64 v[26:27], v[34:35], 0
	s_waitcnt vmcnt(1) lgkmcnt(0)
	v_mul_f64 v[30:31], v[22:23], v[16:17]
	v_mul_f64 v[16:17], v[24:25], v[16:17]
	v_fma_f64 v[4:5], v[4:5], v[10:11], v[36:37]
	v_fma_f64 v[1:2], v[2:3], v[10:11], -v[12:13]
	v_add_f64 v[6:7], v[8:9], v[6:7]
	v_add_f64 v[8:9], v[26:27], v[28:29]
	v_fma_f64 v[10:11], v[24:25], v[14:15], v[30:31]
	v_fma_f64 v[12:13], v[22:23], v[14:15], -v[16:17]
	s_delay_alu instid0(VALU_DEP_4) | instskip(NEXT) | instid1(VALU_DEP_4)
	v_add_f64 v[1:2], v[6:7], v[1:2]
	v_add_f64 v[3:4], v[8:9], v[4:5]
	s_delay_alu instid0(VALU_DEP_2) | instskip(NEXT) | instid1(VALU_DEP_2)
	v_add_f64 v[1:2], v[1:2], v[12:13]
	v_add_f64 v[3:4], v[3:4], v[10:11]
	s_waitcnt vmcnt(0)
	s_delay_alu instid0(VALU_DEP_2) | instskip(NEXT) | instid1(VALU_DEP_2)
	v_add_f64 v[1:2], v[18:19], -v[1:2]
	v_add_f64 v[3:4], v[20:21], -v[3:4]
	scratch_store_b128 off, v[1:4], off offset:848
	v_cmpx_lt_u32_e32 52, v158
	s_cbranch_execz .LBB121_257
; %bb.256:
	scratch_load_b128 v[1:4], v169, off
	v_mov_b32_e32 v5, 0
	s_delay_alu instid0(VALU_DEP_1)
	v_mov_b32_e32 v6, v5
	v_mov_b32_e32 v7, v5
	;; [unrolled: 1-line block ×3, first 2 shown]
	scratch_store_b128 off, v[5:8], off offset:832
	s_waitcnt vmcnt(0)
	ds_store_b128 v216, v[1:4]
.LBB121_257:
	s_or_b32 exec_lo, exec_lo, s2
	s_waitcnt lgkmcnt(0)
	s_waitcnt_vscnt null, 0x0
	s_barrier
	buffer_gl0_inv
	s_clause 0x5
	scratch_load_b128 v[2:5], off, off offset:848
	scratch_load_b128 v[6:9], off, off offset:864
	;; [unrolled: 1-line block ×6, first 2 shown]
	v_mov_b32_e32 v1, 0
	ds_load_b128 v[26:29], v1 offset:1776
	ds_load_b128 v[30:33], v1 offset:1792
	s_mov_b32 s2, exec_lo
	s_waitcnt vmcnt(5) lgkmcnt(1)
	v_mul_f64 v[34:35], v[28:29], v[4:5]
	v_mul_f64 v[4:5], v[26:27], v[4:5]
	s_waitcnt vmcnt(4) lgkmcnt(0)
	v_mul_f64 v[36:37], v[30:31], v[8:9]
	v_mul_f64 v[8:9], v[32:33], v[8:9]
	s_delay_alu instid0(VALU_DEP_4) | instskip(NEXT) | instid1(VALU_DEP_4)
	v_fma_f64 v[34:35], v[26:27], v[2:3], -v[34:35]
	v_fma_f64 v[38:39], v[28:29], v[2:3], v[4:5]
	ds_load_b128 v[2:5], v1 offset:1808
	ds_load_b128 v[26:29], v1 offset:1824
	v_fma_f64 v[32:33], v[32:33], v[6:7], v[36:37]
	v_fma_f64 v[6:7], v[30:31], v[6:7], -v[8:9]
	s_waitcnt vmcnt(3) lgkmcnt(1)
	v_mul_f64 v[40:41], v[2:3], v[12:13]
	v_mul_f64 v[12:13], v[4:5], v[12:13]
	v_add_f64 v[8:9], v[34:35], 0
	v_add_f64 v[30:31], v[38:39], 0
	s_waitcnt vmcnt(2) lgkmcnt(0)
	v_mul_f64 v[34:35], v[26:27], v[16:17]
	v_mul_f64 v[16:17], v[28:29], v[16:17]
	v_fma_f64 v[36:37], v[4:5], v[10:11], v[40:41]
	v_fma_f64 v[10:11], v[2:3], v[10:11], -v[12:13]
	ds_load_b128 v[2:5], v1 offset:1840
	v_add_f64 v[6:7], v[8:9], v[6:7]
	v_add_f64 v[8:9], v[30:31], v[32:33]
	v_fma_f64 v[28:29], v[28:29], v[14:15], v[34:35]
	v_fma_f64 v[14:15], v[26:27], v[14:15], -v[16:17]
	s_waitcnt vmcnt(1) lgkmcnt(0)
	v_mul_f64 v[12:13], v[2:3], v[20:21]
	v_mul_f64 v[20:21], v[4:5], v[20:21]
	v_add_f64 v[6:7], v[6:7], v[10:11]
	v_add_f64 v[8:9], v[8:9], v[36:37]
	s_delay_alu instid0(VALU_DEP_4) | instskip(NEXT) | instid1(VALU_DEP_4)
	v_fma_f64 v[4:5], v[4:5], v[18:19], v[12:13]
	v_fma_f64 v[2:3], v[2:3], v[18:19], -v[20:21]
	s_delay_alu instid0(VALU_DEP_4) | instskip(NEXT) | instid1(VALU_DEP_4)
	v_add_f64 v[6:7], v[6:7], v[14:15]
	v_add_f64 v[8:9], v[8:9], v[28:29]
	s_delay_alu instid0(VALU_DEP_2) | instskip(NEXT) | instid1(VALU_DEP_2)
	v_add_f64 v[2:3], v[6:7], v[2:3]
	v_add_f64 v[4:5], v[8:9], v[4:5]
	s_waitcnt vmcnt(0)
	s_delay_alu instid0(VALU_DEP_2) | instskip(NEXT) | instid1(VALU_DEP_2)
	v_add_f64 v[2:3], v[22:23], -v[2:3]
	v_add_f64 v[4:5], v[24:25], -v[4:5]
	scratch_store_b128 off, v[2:5], off offset:832
	v_cmpx_lt_u32_e32 51, v158
	s_cbranch_execz .LBB121_259
; %bb.258:
	scratch_load_b128 v[5:8], v170, off
	v_mov_b32_e32 v2, v1
	v_mov_b32_e32 v3, v1
	;; [unrolled: 1-line block ×3, first 2 shown]
	scratch_store_b128 off, v[1:4], off offset:816
	s_waitcnt vmcnt(0)
	ds_store_b128 v216, v[5:8]
.LBB121_259:
	s_or_b32 exec_lo, exec_lo, s2
	s_waitcnt lgkmcnt(0)
	s_waitcnt_vscnt null, 0x0
	s_barrier
	buffer_gl0_inv
	s_clause 0x5
	scratch_load_b128 v[2:5], off, off offset:832
	scratch_load_b128 v[6:9], off, off offset:848
	;; [unrolled: 1-line block ×6, first 2 shown]
	ds_load_b128 v[26:29], v1 offset:1760
	ds_load_b128 v[34:37], v1 offset:1776
	scratch_load_b128 v[30:33], off, off offset:816
	s_mov_b32 s2, exec_lo
	s_waitcnt vmcnt(6) lgkmcnt(1)
	v_mul_f64 v[38:39], v[28:29], v[4:5]
	v_mul_f64 v[4:5], v[26:27], v[4:5]
	s_waitcnt vmcnt(5) lgkmcnt(0)
	v_mul_f64 v[40:41], v[34:35], v[8:9]
	v_mul_f64 v[8:9], v[36:37], v[8:9]
	s_delay_alu instid0(VALU_DEP_4) | instskip(NEXT) | instid1(VALU_DEP_4)
	v_fma_f64 v[38:39], v[26:27], v[2:3], -v[38:39]
	v_fma_f64 v[44:45], v[28:29], v[2:3], v[4:5]
	ds_load_b128 v[2:5], v1 offset:1792
	ds_load_b128 v[26:29], v1 offset:1808
	v_fma_f64 v[36:37], v[36:37], v[6:7], v[40:41]
	v_fma_f64 v[6:7], v[34:35], v[6:7], -v[8:9]
	s_waitcnt vmcnt(4) lgkmcnt(1)
	v_mul_f64 v[46:47], v[2:3], v[12:13]
	v_mul_f64 v[12:13], v[4:5], v[12:13]
	v_add_f64 v[8:9], v[38:39], 0
	v_add_f64 v[34:35], v[44:45], 0
	s_waitcnt vmcnt(3) lgkmcnt(0)
	v_mul_f64 v[38:39], v[26:27], v[16:17]
	v_mul_f64 v[16:17], v[28:29], v[16:17]
	v_fma_f64 v[40:41], v[4:5], v[10:11], v[46:47]
	v_fma_f64 v[10:11], v[2:3], v[10:11], -v[12:13]
	v_add_f64 v[12:13], v[8:9], v[6:7]
	v_add_f64 v[34:35], v[34:35], v[36:37]
	ds_load_b128 v[2:5], v1 offset:1824
	ds_load_b128 v[6:9], v1 offset:1840
	v_fma_f64 v[28:29], v[28:29], v[14:15], v[38:39]
	v_fma_f64 v[14:15], v[26:27], v[14:15], -v[16:17]
	s_waitcnt vmcnt(2) lgkmcnt(1)
	v_mul_f64 v[36:37], v[2:3], v[20:21]
	v_mul_f64 v[20:21], v[4:5], v[20:21]
	s_waitcnt vmcnt(1) lgkmcnt(0)
	v_mul_f64 v[16:17], v[6:7], v[24:25]
	v_mul_f64 v[24:25], v[8:9], v[24:25]
	v_add_f64 v[10:11], v[12:13], v[10:11]
	v_add_f64 v[12:13], v[34:35], v[40:41]
	v_fma_f64 v[4:5], v[4:5], v[18:19], v[36:37]
	v_fma_f64 v[1:2], v[2:3], v[18:19], -v[20:21]
	v_fma_f64 v[8:9], v[8:9], v[22:23], v[16:17]
	v_fma_f64 v[6:7], v[6:7], v[22:23], -v[24:25]
	v_add_f64 v[10:11], v[10:11], v[14:15]
	v_add_f64 v[12:13], v[12:13], v[28:29]
	s_delay_alu instid0(VALU_DEP_2) | instskip(NEXT) | instid1(VALU_DEP_2)
	v_add_f64 v[1:2], v[10:11], v[1:2]
	v_add_f64 v[3:4], v[12:13], v[4:5]
	s_delay_alu instid0(VALU_DEP_2) | instskip(NEXT) | instid1(VALU_DEP_2)
	v_add_f64 v[1:2], v[1:2], v[6:7]
	v_add_f64 v[3:4], v[3:4], v[8:9]
	s_waitcnt vmcnt(0)
	s_delay_alu instid0(VALU_DEP_2) | instskip(NEXT) | instid1(VALU_DEP_2)
	v_add_f64 v[1:2], v[30:31], -v[1:2]
	v_add_f64 v[3:4], v[32:33], -v[3:4]
	scratch_store_b128 off, v[1:4], off offset:816
	v_cmpx_lt_u32_e32 50, v158
	s_cbranch_execz .LBB121_261
; %bb.260:
	scratch_load_b128 v[1:4], v228, off
	v_mov_b32_e32 v5, 0
	s_delay_alu instid0(VALU_DEP_1)
	v_mov_b32_e32 v6, v5
	v_mov_b32_e32 v7, v5
	;; [unrolled: 1-line block ×3, first 2 shown]
	scratch_store_b128 off, v[5:8], off offset:800
	s_waitcnt vmcnt(0)
	ds_store_b128 v216, v[1:4]
.LBB121_261:
	s_or_b32 exec_lo, exec_lo, s2
	s_waitcnt lgkmcnt(0)
	s_waitcnt_vscnt null, 0x0
	s_barrier
	buffer_gl0_inv
	s_clause 0x6
	scratch_load_b128 v[2:5], off, off offset:816
	scratch_load_b128 v[6:9], off, off offset:832
	;; [unrolled: 1-line block ×7, first 2 shown]
	v_mov_b32_e32 v1, 0
	scratch_load_b128 v[34:37], off, off offset:800
	s_mov_b32 s2, exec_lo
	ds_load_b128 v[30:33], v1 offset:1744
	ds_load_b128 v[38:41], v1 offset:1760
	s_waitcnt vmcnt(7) lgkmcnt(1)
	v_mul_f64 v[44:45], v[32:33], v[4:5]
	v_mul_f64 v[4:5], v[30:31], v[4:5]
	s_waitcnt vmcnt(6) lgkmcnt(0)
	v_mul_f64 v[46:47], v[38:39], v[8:9]
	v_mul_f64 v[8:9], v[40:41], v[8:9]
	s_delay_alu instid0(VALU_DEP_4) | instskip(NEXT) | instid1(VALU_DEP_4)
	v_fma_f64 v[44:45], v[30:31], v[2:3], -v[44:45]
	v_fma_f64 v[48:49], v[32:33], v[2:3], v[4:5]
	ds_load_b128 v[2:5], v1 offset:1776
	ds_load_b128 v[30:33], v1 offset:1792
	v_fma_f64 v[40:41], v[40:41], v[6:7], v[46:47]
	v_fma_f64 v[6:7], v[38:39], v[6:7], -v[8:9]
	s_waitcnt vmcnt(5) lgkmcnt(1)
	v_mul_f64 v[50:51], v[2:3], v[12:13]
	v_mul_f64 v[12:13], v[4:5], v[12:13]
	v_add_f64 v[8:9], v[44:45], 0
	v_add_f64 v[38:39], v[48:49], 0
	s_waitcnt vmcnt(4) lgkmcnt(0)
	v_mul_f64 v[44:45], v[30:31], v[16:17]
	v_mul_f64 v[16:17], v[32:33], v[16:17]
	v_fma_f64 v[46:47], v[4:5], v[10:11], v[50:51]
	v_fma_f64 v[10:11], v[2:3], v[10:11], -v[12:13]
	v_add_f64 v[12:13], v[8:9], v[6:7]
	v_add_f64 v[38:39], v[38:39], v[40:41]
	ds_load_b128 v[2:5], v1 offset:1808
	ds_load_b128 v[6:9], v1 offset:1824
	v_fma_f64 v[32:33], v[32:33], v[14:15], v[44:45]
	v_fma_f64 v[14:15], v[30:31], v[14:15], -v[16:17]
	s_waitcnt vmcnt(3) lgkmcnt(1)
	v_mul_f64 v[40:41], v[2:3], v[20:21]
	v_mul_f64 v[20:21], v[4:5], v[20:21]
	s_waitcnt vmcnt(2) lgkmcnt(0)
	v_mul_f64 v[16:17], v[6:7], v[24:25]
	v_mul_f64 v[24:25], v[8:9], v[24:25]
	v_add_f64 v[10:11], v[12:13], v[10:11]
	v_add_f64 v[12:13], v[38:39], v[46:47]
	v_fma_f64 v[30:31], v[4:5], v[18:19], v[40:41]
	v_fma_f64 v[18:19], v[2:3], v[18:19], -v[20:21]
	ds_load_b128 v[2:5], v1 offset:1840
	v_fma_f64 v[8:9], v[8:9], v[22:23], v[16:17]
	v_fma_f64 v[6:7], v[6:7], v[22:23], -v[24:25]
	v_add_f64 v[10:11], v[10:11], v[14:15]
	v_add_f64 v[12:13], v[12:13], v[32:33]
	s_waitcnt vmcnt(1) lgkmcnt(0)
	v_mul_f64 v[14:15], v[2:3], v[28:29]
	v_mul_f64 v[20:21], v[4:5], v[28:29]
	s_delay_alu instid0(VALU_DEP_4) | instskip(NEXT) | instid1(VALU_DEP_4)
	v_add_f64 v[10:11], v[10:11], v[18:19]
	v_add_f64 v[12:13], v[12:13], v[30:31]
	s_delay_alu instid0(VALU_DEP_4) | instskip(NEXT) | instid1(VALU_DEP_4)
	v_fma_f64 v[4:5], v[4:5], v[26:27], v[14:15]
	v_fma_f64 v[2:3], v[2:3], v[26:27], -v[20:21]
	s_delay_alu instid0(VALU_DEP_4) | instskip(NEXT) | instid1(VALU_DEP_4)
	v_add_f64 v[6:7], v[10:11], v[6:7]
	v_add_f64 v[8:9], v[12:13], v[8:9]
	s_delay_alu instid0(VALU_DEP_2) | instskip(NEXT) | instid1(VALU_DEP_2)
	v_add_f64 v[2:3], v[6:7], v[2:3]
	v_add_f64 v[4:5], v[8:9], v[4:5]
	s_waitcnt vmcnt(0)
	s_delay_alu instid0(VALU_DEP_2) | instskip(NEXT) | instid1(VALU_DEP_2)
	v_add_f64 v[2:3], v[34:35], -v[2:3]
	v_add_f64 v[4:5], v[36:37], -v[4:5]
	scratch_store_b128 off, v[2:5], off offset:800
	v_cmpx_lt_u32_e32 49, v158
	s_cbranch_execz .LBB121_263
; %bb.262:
	scratch_load_b128 v[5:8], v230, off
	v_mov_b32_e32 v2, v1
	v_mov_b32_e32 v3, v1
	v_mov_b32_e32 v4, v1
	scratch_store_b128 off, v[1:4], off offset:784
	s_waitcnt vmcnt(0)
	ds_store_b128 v216, v[5:8]
.LBB121_263:
	s_or_b32 exec_lo, exec_lo, s2
	s_waitcnt lgkmcnt(0)
	s_waitcnt_vscnt null, 0x0
	s_barrier
	buffer_gl0_inv
	s_clause 0x7
	scratch_load_b128 v[2:5], off, off offset:800
	scratch_load_b128 v[6:9], off, off offset:816
	;; [unrolled: 1-line block ×8, first 2 shown]
	ds_load_b128 v[34:37], v1 offset:1728
	ds_load_b128 v[38:41], v1 offset:1744
	scratch_load_b128 v[171:174], off, off offset:784
	s_mov_b32 s2, exec_lo
	s_waitcnt vmcnt(8) lgkmcnt(1)
	v_mul_f64 v[44:45], v[36:37], v[4:5]
	v_mul_f64 v[4:5], v[34:35], v[4:5]
	s_waitcnt vmcnt(7) lgkmcnt(0)
	v_mul_f64 v[46:47], v[38:39], v[8:9]
	v_mul_f64 v[8:9], v[40:41], v[8:9]
	s_delay_alu instid0(VALU_DEP_4) | instskip(NEXT) | instid1(VALU_DEP_4)
	v_fma_f64 v[44:45], v[34:35], v[2:3], -v[44:45]
	v_fma_f64 v[48:49], v[36:37], v[2:3], v[4:5]
	ds_load_b128 v[2:5], v1 offset:1760
	ds_load_b128 v[34:37], v1 offset:1776
	v_fma_f64 v[40:41], v[40:41], v[6:7], v[46:47]
	v_fma_f64 v[6:7], v[38:39], v[6:7], -v[8:9]
	s_waitcnt vmcnt(6) lgkmcnt(1)
	v_mul_f64 v[50:51], v[2:3], v[12:13]
	v_mul_f64 v[12:13], v[4:5], v[12:13]
	v_add_f64 v[8:9], v[44:45], 0
	v_add_f64 v[38:39], v[48:49], 0
	s_waitcnt vmcnt(5) lgkmcnt(0)
	v_mul_f64 v[44:45], v[34:35], v[16:17]
	v_mul_f64 v[16:17], v[36:37], v[16:17]
	v_fma_f64 v[46:47], v[4:5], v[10:11], v[50:51]
	v_fma_f64 v[10:11], v[2:3], v[10:11], -v[12:13]
	v_add_f64 v[12:13], v[8:9], v[6:7]
	v_add_f64 v[38:39], v[38:39], v[40:41]
	ds_load_b128 v[2:5], v1 offset:1792
	ds_load_b128 v[6:9], v1 offset:1808
	v_fma_f64 v[36:37], v[36:37], v[14:15], v[44:45]
	v_fma_f64 v[14:15], v[34:35], v[14:15], -v[16:17]
	s_waitcnt vmcnt(4) lgkmcnt(1)
	v_mul_f64 v[40:41], v[2:3], v[20:21]
	v_mul_f64 v[20:21], v[4:5], v[20:21]
	s_waitcnt vmcnt(3) lgkmcnt(0)
	v_mul_f64 v[16:17], v[6:7], v[24:25]
	v_mul_f64 v[24:25], v[8:9], v[24:25]
	v_add_f64 v[10:11], v[12:13], v[10:11]
	v_add_f64 v[12:13], v[38:39], v[46:47]
	v_fma_f64 v[34:35], v[4:5], v[18:19], v[40:41]
	v_fma_f64 v[18:19], v[2:3], v[18:19], -v[20:21]
	v_fma_f64 v[8:9], v[8:9], v[22:23], v[16:17]
	v_fma_f64 v[6:7], v[6:7], v[22:23], -v[24:25]
	v_add_f64 v[14:15], v[10:11], v[14:15]
	v_add_f64 v[20:21], v[12:13], v[36:37]
	ds_load_b128 v[2:5], v1 offset:1824
	ds_load_b128 v[10:13], v1 offset:1840
	s_waitcnt vmcnt(2) lgkmcnt(1)
	v_mul_f64 v[36:37], v[2:3], v[28:29]
	v_mul_f64 v[28:29], v[4:5], v[28:29]
	v_add_f64 v[14:15], v[14:15], v[18:19]
	v_add_f64 v[16:17], v[20:21], v[34:35]
	s_waitcnt vmcnt(1) lgkmcnt(0)
	v_mul_f64 v[18:19], v[10:11], v[32:33]
	v_mul_f64 v[20:21], v[12:13], v[32:33]
	v_fma_f64 v[4:5], v[4:5], v[26:27], v[36:37]
	v_fma_f64 v[1:2], v[2:3], v[26:27], -v[28:29]
	v_add_f64 v[6:7], v[14:15], v[6:7]
	v_add_f64 v[8:9], v[16:17], v[8:9]
	v_fma_f64 v[12:13], v[12:13], v[30:31], v[18:19]
	v_fma_f64 v[10:11], v[10:11], v[30:31], -v[20:21]
	s_delay_alu instid0(VALU_DEP_4) | instskip(NEXT) | instid1(VALU_DEP_4)
	v_add_f64 v[1:2], v[6:7], v[1:2]
	v_add_f64 v[3:4], v[8:9], v[4:5]
	s_delay_alu instid0(VALU_DEP_2) | instskip(NEXT) | instid1(VALU_DEP_2)
	v_add_f64 v[1:2], v[1:2], v[10:11]
	v_add_f64 v[3:4], v[3:4], v[12:13]
	s_waitcnt vmcnt(0)
	s_delay_alu instid0(VALU_DEP_2) | instskip(NEXT) | instid1(VALU_DEP_2)
	v_add_f64 v[1:2], v[171:172], -v[1:2]
	v_add_f64 v[3:4], v[173:174], -v[3:4]
	scratch_store_b128 off, v[1:4], off offset:784
	v_cmpx_lt_u32_e32 48, v158
	s_cbranch_execz .LBB121_265
; %bb.264:
	scratch_load_b128 v[1:4], v231, off
	v_mov_b32_e32 v5, 0
	s_delay_alu instid0(VALU_DEP_1)
	v_mov_b32_e32 v6, v5
	v_mov_b32_e32 v7, v5
	;; [unrolled: 1-line block ×3, first 2 shown]
	scratch_store_b128 off, v[5:8], off offset:768
	s_waitcnt vmcnt(0)
	ds_store_b128 v216, v[1:4]
.LBB121_265:
	s_or_b32 exec_lo, exec_lo, s2
	s_waitcnt lgkmcnt(0)
	s_waitcnt_vscnt null, 0x0
	s_barrier
	buffer_gl0_inv
	s_clause 0x7
	scratch_load_b128 v[2:5], off, off offset:784
	scratch_load_b128 v[6:9], off, off offset:800
	;; [unrolled: 1-line block ×8, first 2 shown]
	v_mov_b32_e32 v1, 0
	s_mov_b32 s2, exec_lo
	ds_load_b128 v[34:37], v1 offset:1712
	s_clause 0x1
	scratch_load_b128 v[38:41], off, off offset:912
	scratch_load_b128 v[171:174], off, off offset:768
	ds_load_b128 v[175:178], v1 offset:1728
	s_waitcnt vmcnt(9) lgkmcnt(1)
	v_mul_f64 v[44:45], v[36:37], v[4:5]
	v_mul_f64 v[4:5], v[34:35], v[4:5]
	s_waitcnt vmcnt(8) lgkmcnt(0)
	v_mul_f64 v[46:47], v[175:176], v[8:9]
	v_mul_f64 v[8:9], v[177:178], v[8:9]
	s_delay_alu instid0(VALU_DEP_4) | instskip(NEXT) | instid1(VALU_DEP_4)
	v_fma_f64 v[44:45], v[34:35], v[2:3], -v[44:45]
	v_fma_f64 v[48:49], v[36:37], v[2:3], v[4:5]
	ds_load_b128 v[2:5], v1 offset:1744
	ds_load_b128 v[34:37], v1 offset:1760
	v_fma_f64 v[46:47], v[177:178], v[6:7], v[46:47]
	v_fma_f64 v[6:7], v[175:176], v[6:7], -v[8:9]
	s_waitcnt vmcnt(7) lgkmcnt(1)
	v_mul_f64 v[50:51], v[2:3], v[12:13]
	v_mul_f64 v[12:13], v[4:5], v[12:13]
	v_add_f64 v[8:9], v[44:45], 0
	v_add_f64 v[44:45], v[48:49], 0
	s_waitcnt vmcnt(6) lgkmcnt(0)
	v_mul_f64 v[48:49], v[34:35], v[16:17]
	v_mul_f64 v[16:17], v[36:37], v[16:17]
	v_fma_f64 v[50:51], v[4:5], v[10:11], v[50:51]
	v_fma_f64 v[10:11], v[2:3], v[10:11], -v[12:13]
	v_add_f64 v[12:13], v[8:9], v[6:7]
	v_add_f64 v[44:45], v[44:45], v[46:47]
	ds_load_b128 v[2:5], v1 offset:1776
	ds_load_b128 v[6:9], v1 offset:1792
	v_fma_f64 v[36:37], v[36:37], v[14:15], v[48:49]
	v_fma_f64 v[14:15], v[34:35], v[14:15], -v[16:17]
	s_waitcnt vmcnt(5) lgkmcnt(1)
	v_mul_f64 v[46:47], v[2:3], v[20:21]
	v_mul_f64 v[20:21], v[4:5], v[20:21]
	s_waitcnt vmcnt(4) lgkmcnt(0)
	v_mul_f64 v[16:17], v[6:7], v[24:25]
	v_mul_f64 v[24:25], v[8:9], v[24:25]
	v_add_f64 v[10:11], v[12:13], v[10:11]
	v_add_f64 v[12:13], v[44:45], v[50:51]
	v_fma_f64 v[34:35], v[4:5], v[18:19], v[46:47]
	v_fma_f64 v[18:19], v[2:3], v[18:19], -v[20:21]
	v_fma_f64 v[8:9], v[8:9], v[22:23], v[16:17]
	v_fma_f64 v[6:7], v[6:7], v[22:23], -v[24:25]
	v_add_f64 v[14:15], v[10:11], v[14:15]
	v_add_f64 v[20:21], v[12:13], v[36:37]
	ds_load_b128 v[2:5], v1 offset:1808
	ds_load_b128 v[10:13], v1 offset:1824
	s_waitcnt vmcnt(3) lgkmcnt(1)
	v_mul_f64 v[36:37], v[2:3], v[28:29]
	v_mul_f64 v[28:29], v[4:5], v[28:29]
	v_add_f64 v[14:15], v[14:15], v[18:19]
	v_add_f64 v[16:17], v[20:21], v[34:35]
	s_waitcnt vmcnt(2) lgkmcnt(0)
	v_mul_f64 v[18:19], v[10:11], v[32:33]
	v_mul_f64 v[20:21], v[12:13], v[32:33]
	v_fma_f64 v[22:23], v[4:5], v[26:27], v[36:37]
	v_fma_f64 v[24:25], v[2:3], v[26:27], -v[28:29]
	ds_load_b128 v[2:5], v1 offset:1840
	v_add_f64 v[6:7], v[14:15], v[6:7]
	v_add_f64 v[8:9], v[16:17], v[8:9]
	v_fma_f64 v[12:13], v[12:13], v[30:31], v[18:19]
	v_fma_f64 v[10:11], v[10:11], v[30:31], -v[20:21]
	s_waitcnt vmcnt(1) lgkmcnt(0)
	v_mul_f64 v[14:15], v[2:3], v[40:41]
	v_mul_f64 v[16:17], v[4:5], v[40:41]
	v_add_f64 v[6:7], v[6:7], v[24:25]
	v_add_f64 v[8:9], v[8:9], v[22:23]
	s_delay_alu instid0(VALU_DEP_4) | instskip(NEXT) | instid1(VALU_DEP_4)
	v_fma_f64 v[4:5], v[4:5], v[38:39], v[14:15]
	v_fma_f64 v[2:3], v[2:3], v[38:39], -v[16:17]
	s_delay_alu instid0(VALU_DEP_4) | instskip(NEXT) | instid1(VALU_DEP_4)
	v_add_f64 v[6:7], v[6:7], v[10:11]
	v_add_f64 v[8:9], v[8:9], v[12:13]
	s_delay_alu instid0(VALU_DEP_2) | instskip(NEXT) | instid1(VALU_DEP_2)
	v_add_f64 v[2:3], v[6:7], v[2:3]
	v_add_f64 v[4:5], v[8:9], v[4:5]
	s_waitcnt vmcnt(0)
	s_delay_alu instid0(VALU_DEP_2) | instskip(NEXT) | instid1(VALU_DEP_2)
	v_add_f64 v[2:3], v[171:172], -v[2:3]
	v_add_f64 v[4:5], v[173:174], -v[4:5]
	scratch_store_b128 off, v[2:5], off offset:768
	v_cmpx_lt_u32_e32 47, v158
	s_cbranch_execz .LBB121_267
; %bb.266:
	scratch_load_b128 v[5:8], v229, off
	v_mov_b32_e32 v2, v1
	v_mov_b32_e32 v3, v1
	;; [unrolled: 1-line block ×3, first 2 shown]
	scratch_store_b128 off, v[1:4], off offset:752
	s_waitcnt vmcnt(0)
	ds_store_b128 v216, v[5:8]
.LBB121_267:
	s_or_b32 exec_lo, exec_lo, s2
	s_waitcnt lgkmcnt(0)
	s_waitcnt_vscnt null, 0x0
	s_barrier
	buffer_gl0_inv
	s_clause 0x8
	scratch_load_b128 v[2:5], off, off offset:768
	scratch_load_b128 v[6:9], off, off offset:784
	;; [unrolled: 1-line block ×9, first 2 shown]
	ds_load_b128 v[38:41], v1 offset:1696
	ds_load_b128 v[171:174], v1 offset:1712
	s_clause 0x1
	scratch_load_b128 v[175:178], off, off offset:752
	scratch_load_b128 v[179:182], off, off offset:912
	s_mov_b32 s2, exec_lo
	s_waitcnt vmcnt(10) lgkmcnt(1)
	v_mul_f64 v[44:45], v[40:41], v[4:5]
	v_mul_f64 v[4:5], v[38:39], v[4:5]
	s_waitcnt vmcnt(9) lgkmcnt(0)
	v_mul_f64 v[46:47], v[171:172], v[8:9]
	v_mul_f64 v[8:9], v[173:174], v[8:9]
	s_delay_alu instid0(VALU_DEP_4) | instskip(NEXT) | instid1(VALU_DEP_4)
	v_fma_f64 v[44:45], v[38:39], v[2:3], -v[44:45]
	v_fma_f64 v[48:49], v[40:41], v[2:3], v[4:5]
	ds_load_b128 v[2:5], v1 offset:1728
	ds_load_b128 v[38:41], v1 offset:1744
	v_fma_f64 v[46:47], v[173:174], v[6:7], v[46:47]
	v_fma_f64 v[6:7], v[171:172], v[6:7], -v[8:9]
	s_waitcnt vmcnt(8) lgkmcnt(1)
	v_mul_f64 v[50:51], v[2:3], v[12:13]
	v_mul_f64 v[12:13], v[4:5], v[12:13]
	v_add_f64 v[8:9], v[44:45], 0
	v_add_f64 v[44:45], v[48:49], 0
	s_waitcnt vmcnt(7) lgkmcnt(0)
	v_mul_f64 v[48:49], v[38:39], v[16:17]
	v_mul_f64 v[16:17], v[40:41], v[16:17]
	v_fma_f64 v[50:51], v[4:5], v[10:11], v[50:51]
	v_fma_f64 v[10:11], v[2:3], v[10:11], -v[12:13]
	v_add_f64 v[12:13], v[8:9], v[6:7]
	v_add_f64 v[44:45], v[44:45], v[46:47]
	ds_load_b128 v[2:5], v1 offset:1760
	ds_load_b128 v[6:9], v1 offset:1776
	v_fma_f64 v[40:41], v[40:41], v[14:15], v[48:49]
	v_fma_f64 v[14:15], v[38:39], v[14:15], -v[16:17]
	s_waitcnt vmcnt(6) lgkmcnt(1)
	v_mul_f64 v[46:47], v[2:3], v[20:21]
	v_mul_f64 v[20:21], v[4:5], v[20:21]
	s_waitcnt vmcnt(5) lgkmcnt(0)
	v_mul_f64 v[16:17], v[6:7], v[24:25]
	v_mul_f64 v[24:25], v[8:9], v[24:25]
	v_add_f64 v[10:11], v[12:13], v[10:11]
	v_add_f64 v[12:13], v[44:45], v[50:51]
	v_fma_f64 v[38:39], v[4:5], v[18:19], v[46:47]
	v_fma_f64 v[18:19], v[2:3], v[18:19], -v[20:21]
	v_fma_f64 v[8:9], v[8:9], v[22:23], v[16:17]
	v_fma_f64 v[6:7], v[6:7], v[22:23], -v[24:25]
	v_add_f64 v[14:15], v[10:11], v[14:15]
	v_add_f64 v[20:21], v[12:13], v[40:41]
	ds_load_b128 v[2:5], v1 offset:1792
	ds_load_b128 v[10:13], v1 offset:1808
	s_waitcnt vmcnt(4) lgkmcnt(1)
	v_mul_f64 v[40:41], v[2:3], v[28:29]
	v_mul_f64 v[28:29], v[4:5], v[28:29]
	v_add_f64 v[14:15], v[14:15], v[18:19]
	v_add_f64 v[16:17], v[20:21], v[38:39]
	s_waitcnt vmcnt(3) lgkmcnt(0)
	v_mul_f64 v[18:19], v[10:11], v[32:33]
	v_mul_f64 v[20:21], v[12:13], v[32:33]
	v_fma_f64 v[22:23], v[4:5], v[26:27], v[40:41]
	v_fma_f64 v[24:25], v[2:3], v[26:27], -v[28:29]
	v_add_f64 v[14:15], v[14:15], v[6:7]
	v_add_f64 v[16:17], v[16:17], v[8:9]
	ds_load_b128 v[2:5], v1 offset:1824
	ds_load_b128 v[6:9], v1 offset:1840
	v_fma_f64 v[12:13], v[12:13], v[30:31], v[18:19]
	v_fma_f64 v[10:11], v[10:11], v[30:31], -v[20:21]
	s_waitcnt vmcnt(2) lgkmcnt(1)
	v_mul_f64 v[26:27], v[2:3], v[36:37]
	v_mul_f64 v[28:29], v[4:5], v[36:37]
	s_waitcnt vmcnt(0) lgkmcnt(0)
	v_mul_f64 v[18:19], v[6:7], v[181:182]
	v_mul_f64 v[20:21], v[8:9], v[181:182]
	v_add_f64 v[14:15], v[14:15], v[24:25]
	v_add_f64 v[16:17], v[16:17], v[22:23]
	v_fma_f64 v[4:5], v[4:5], v[34:35], v[26:27]
	v_fma_f64 v[1:2], v[2:3], v[34:35], -v[28:29]
	v_fma_f64 v[8:9], v[8:9], v[179:180], v[18:19]
	v_fma_f64 v[6:7], v[6:7], v[179:180], -v[20:21]
	v_add_f64 v[10:11], v[14:15], v[10:11]
	v_add_f64 v[12:13], v[16:17], v[12:13]
	s_delay_alu instid0(VALU_DEP_2) | instskip(NEXT) | instid1(VALU_DEP_2)
	v_add_f64 v[1:2], v[10:11], v[1:2]
	v_add_f64 v[3:4], v[12:13], v[4:5]
	s_delay_alu instid0(VALU_DEP_2) | instskip(NEXT) | instid1(VALU_DEP_2)
	;; [unrolled: 3-line block ×3, first 2 shown]
	v_add_f64 v[1:2], v[175:176], -v[1:2]
	v_add_f64 v[3:4], v[177:178], -v[3:4]
	scratch_store_b128 off, v[1:4], off offset:752
	v_cmpx_lt_u32_e32 46, v158
	s_cbranch_execz .LBB121_269
; %bb.268:
	scratch_load_b128 v[1:4], v224, off
	v_mov_b32_e32 v5, 0
	s_delay_alu instid0(VALU_DEP_1)
	v_mov_b32_e32 v6, v5
	v_mov_b32_e32 v7, v5
	;; [unrolled: 1-line block ×3, first 2 shown]
	scratch_store_b128 off, v[5:8], off offset:736
	s_waitcnt vmcnt(0)
	ds_store_b128 v216, v[1:4]
.LBB121_269:
	s_or_b32 exec_lo, exec_lo, s2
	s_waitcnt lgkmcnt(0)
	s_waitcnt_vscnt null, 0x0
	s_barrier
	buffer_gl0_inv
	s_clause 0x7
	scratch_load_b128 v[2:5], off, off offset:752
	scratch_load_b128 v[6:9], off, off offset:768
	;; [unrolled: 1-line block ×8, first 2 shown]
	v_mov_b32_e32 v1, 0
	s_clause 0x1
	scratch_load_b128 v[38:41], off, off offset:880
	scratch_load_b128 v[175:178], off, off offset:896
	s_mov_b32 s2, exec_lo
	ds_load_b128 v[34:37], v1 offset:1680
	ds_load_b128 v[171:174], v1 offset:1696
	s_waitcnt vmcnt(9) lgkmcnt(1)
	v_mul_f64 v[44:45], v[36:37], v[4:5]
	v_mul_f64 v[4:5], v[34:35], v[4:5]
	s_waitcnt vmcnt(8) lgkmcnt(0)
	v_mul_f64 v[46:47], v[171:172], v[8:9]
	v_mul_f64 v[8:9], v[173:174], v[8:9]
	s_delay_alu instid0(VALU_DEP_4) | instskip(NEXT) | instid1(VALU_DEP_4)
	v_fma_f64 v[44:45], v[34:35], v[2:3], -v[44:45]
	v_fma_f64 v[48:49], v[36:37], v[2:3], v[4:5]
	ds_load_b128 v[2:5], v1 offset:1712
	scratch_load_b128 v[34:37], off, off offset:912
	v_fma_f64 v[46:47], v[173:174], v[6:7], v[46:47]
	v_fma_f64 v[52:53], v[171:172], v[6:7], -v[8:9]
	ds_load_b128 v[6:9], v1 offset:1728
	s_waitcnt vmcnt(8) lgkmcnt(1)
	v_mul_f64 v[50:51], v[2:3], v[12:13]
	v_mul_f64 v[12:13], v[4:5], v[12:13]
	s_waitcnt vmcnt(7) lgkmcnt(0)
	v_mul_f64 v[54:55], v[6:7], v[16:17]
	v_mul_f64 v[16:17], v[8:9], v[16:17]
	v_add_f64 v[44:45], v[44:45], 0
	v_add_f64 v[48:49], v[48:49], 0
	v_fma_f64 v[50:51], v[4:5], v[10:11], v[50:51]
	v_fma_f64 v[10:11], v[2:3], v[10:11], -v[12:13]
	ds_load_b128 v[2:5], v1 offset:1744
	v_add_f64 v[12:13], v[44:45], v[52:53]
	v_add_f64 v[44:45], v[48:49], v[46:47]
	v_fma_f64 v[48:49], v[8:9], v[14:15], v[54:55]
	v_fma_f64 v[14:15], v[6:7], v[14:15], -v[16:17]
	ds_load_b128 v[6:9], v1 offset:1760
	s_waitcnt vmcnt(6) lgkmcnt(1)
	v_mul_f64 v[46:47], v[2:3], v[20:21]
	v_mul_f64 v[20:21], v[4:5], v[20:21]
	v_add_f64 v[16:17], v[12:13], v[10:11]
	v_add_f64 v[44:45], v[44:45], v[50:51]
	scratch_load_b128 v[10:13], off, off offset:736
	s_waitcnt vmcnt(6) lgkmcnt(0)
	v_mul_f64 v[50:51], v[6:7], v[24:25]
	v_mul_f64 v[24:25], v[8:9], v[24:25]
	v_fma_f64 v[46:47], v[4:5], v[18:19], v[46:47]
	v_fma_f64 v[18:19], v[2:3], v[18:19], -v[20:21]
	ds_load_b128 v[2:5], v1 offset:1776
	v_add_f64 v[14:15], v[16:17], v[14:15]
	v_add_f64 v[16:17], v[44:45], v[48:49]
	v_fma_f64 v[44:45], v[8:9], v[22:23], v[50:51]
	v_fma_f64 v[22:23], v[6:7], v[22:23], -v[24:25]
	ds_load_b128 v[6:9], v1 offset:1792
	s_waitcnt vmcnt(5) lgkmcnt(1)
	v_mul_f64 v[20:21], v[2:3], v[28:29]
	v_mul_f64 v[28:29], v[4:5], v[28:29]
	s_waitcnt vmcnt(4) lgkmcnt(0)
	v_mul_f64 v[24:25], v[8:9], v[32:33]
	v_add_f64 v[14:15], v[14:15], v[18:19]
	v_add_f64 v[16:17], v[16:17], v[46:47]
	v_mul_f64 v[18:19], v[6:7], v[32:33]
	v_fma_f64 v[20:21], v[4:5], v[26:27], v[20:21]
	v_fma_f64 v[26:27], v[2:3], v[26:27], -v[28:29]
	ds_load_b128 v[2:5], v1 offset:1808
	v_fma_f64 v[24:25], v[6:7], v[30:31], -v[24:25]
	v_add_f64 v[14:15], v[14:15], v[22:23]
	v_add_f64 v[16:17], v[16:17], v[44:45]
	v_fma_f64 v[18:19], v[8:9], v[30:31], v[18:19]
	ds_load_b128 v[6:9], v1 offset:1824
	s_waitcnt vmcnt(3) lgkmcnt(1)
	v_mul_f64 v[22:23], v[2:3], v[40:41]
	v_mul_f64 v[28:29], v[4:5], v[40:41]
	v_add_f64 v[14:15], v[14:15], v[26:27]
	v_add_f64 v[16:17], v[16:17], v[20:21]
	s_waitcnt vmcnt(2) lgkmcnt(0)
	v_mul_f64 v[20:21], v[6:7], v[177:178]
	v_mul_f64 v[26:27], v[8:9], v[177:178]
	v_fma_f64 v[22:23], v[4:5], v[38:39], v[22:23]
	v_fma_f64 v[28:29], v[2:3], v[38:39], -v[28:29]
	ds_load_b128 v[2:5], v1 offset:1840
	v_add_f64 v[14:15], v[14:15], v[24:25]
	v_add_f64 v[16:17], v[16:17], v[18:19]
	v_fma_f64 v[8:9], v[8:9], v[175:176], v[20:21]
	v_fma_f64 v[6:7], v[6:7], v[175:176], -v[26:27]
	s_waitcnt vmcnt(1) lgkmcnt(0)
	v_mul_f64 v[18:19], v[2:3], v[36:37]
	v_mul_f64 v[24:25], v[4:5], v[36:37]
	v_add_f64 v[14:15], v[14:15], v[28:29]
	v_add_f64 v[16:17], v[16:17], v[22:23]
	s_delay_alu instid0(VALU_DEP_4) | instskip(NEXT) | instid1(VALU_DEP_4)
	v_fma_f64 v[4:5], v[4:5], v[34:35], v[18:19]
	v_fma_f64 v[2:3], v[2:3], v[34:35], -v[24:25]
	s_delay_alu instid0(VALU_DEP_4) | instskip(NEXT) | instid1(VALU_DEP_4)
	v_add_f64 v[6:7], v[14:15], v[6:7]
	v_add_f64 v[8:9], v[16:17], v[8:9]
	s_delay_alu instid0(VALU_DEP_2) | instskip(NEXT) | instid1(VALU_DEP_2)
	v_add_f64 v[2:3], v[6:7], v[2:3]
	v_add_f64 v[4:5], v[8:9], v[4:5]
	s_waitcnt vmcnt(0)
	s_delay_alu instid0(VALU_DEP_2) | instskip(NEXT) | instid1(VALU_DEP_2)
	v_add_f64 v[2:3], v[10:11], -v[2:3]
	v_add_f64 v[4:5], v[12:13], -v[4:5]
	scratch_store_b128 off, v[2:5], off offset:736
	v_cmpx_lt_u32_e32 45, v158
	s_cbranch_execz .LBB121_271
; %bb.270:
	scratch_load_b128 v[5:8], v226, off
	v_mov_b32_e32 v2, v1
	v_mov_b32_e32 v3, v1
	;; [unrolled: 1-line block ×3, first 2 shown]
	scratch_store_b128 off, v[1:4], off offset:720
	s_waitcnt vmcnt(0)
	ds_store_b128 v216, v[5:8]
.LBB121_271:
	s_or_b32 exec_lo, exec_lo, s2
	s_waitcnt lgkmcnt(0)
	s_waitcnt_vscnt null, 0x0
	s_barrier
	buffer_gl0_inv
	s_clause 0x7
	scratch_load_b128 v[2:5], off, off offset:736
	scratch_load_b128 v[6:9], off, off offset:752
	;; [unrolled: 1-line block ×8, first 2 shown]
	ds_load_b128 v[34:37], v1 offset:1664
	ds_load_b128 v[171:174], v1 offset:1680
	s_clause 0x1
	scratch_load_b128 v[38:41], off, off offset:864
	scratch_load_b128 v[175:178], off, off offset:880
	s_mov_b32 s2, exec_lo
	s_waitcnt vmcnt(9) lgkmcnt(1)
	v_mul_f64 v[44:45], v[36:37], v[4:5]
	v_mul_f64 v[4:5], v[34:35], v[4:5]
	s_waitcnt vmcnt(8) lgkmcnt(0)
	v_mul_f64 v[46:47], v[171:172], v[8:9]
	v_mul_f64 v[8:9], v[173:174], v[8:9]
	s_delay_alu instid0(VALU_DEP_4) | instskip(NEXT) | instid1(VALU_DEP_4)
	v_fma_f64 v[44:45], v[34:35], v[2:3], -v[44:45]
	v_fma_f64 v[48:49], v[36:37], v[2:3], v[4:5]
	scratch_load_b128 v[34:37], off, off offset:896
	ds_load_b128 v[2:5], v1 offset:1696
	v_fma_f64 v[46:47], v[173:174], v[6:7], v[46:47]
	v_fma_f64 v[52:53], v[171:172], v[6:7], -v[8:9]
	ds_load_b128 v[6:9], v1 offset:1712
	scratch_load_b128 v[171:174], off, off offset:912
	s_waitcnt vmcnt(9) lgkmcnt(1)
	v_mul_f64 v[50:51], v[2:3], v[12:13]
	v_mul_f64 v[12:13], v[4:5], v[12:13]
	s_waitcnt vmcnt(8) lgkmcnt(0)
	v_mul_f64 v[54:55], v[6:7], v[16:17]
	v_mul_f64 v[16:17], v[8:9], v[16:17]
	v_add_f64 v[44:45], v[44:45], 0
	v_add_f64 v[48:49], v[48:49], 0
	v_fma_f64 v[50:51], v[4:5], v[10:11], v[50:51]
	v_fma_f64 v[10:11], v[2:3], v[10:11], -v[12:13]
	ds_load_b128 v[2:5], v1 offset:1728
	v_add_f64 v[12:13], v[44:45], v[52:53]
	v_add_f64 v[44:45], v[48:49], v[46:47]
	v_fma_f64 v[48:49], v[8:9], v[14:15], v[54:55]
	v_fma_f64 v[14:15], v[6:7], v[14:15], -v[16:17]
	ds_load_b128 v[6:9], v1 offset:1744
	s_waitcnt vmcnt(7) lgkmcnt(1)
	v_mul_f64 v[46:47], v[2:3], v[20:21]
	v_mul_f64 v[20:21], v[4:5], v[20:21]
	s_waitcnt vmcnt(6) lgkmcnt(0)
	v_mul_f64 v[16:17], v[6:7], v[24:25]
	v_mul_f64 v[24:25], v[8:9], v[24:25]
	v_add_f64 v[10:11], v[12:13], v[10:11]
	v_add_f64 v[12:13], v[44:45], v[50:51]
	v_fma_f64 v[44:45], v[4:5], v[18:19], v[46:47]
	v_fma_f64 v[18:19], v[2:3], v[18:19], -v[20:21]
	ds_load_b128 v[2:5], v1 offset:1760
	v_fma_f64 v[16:17], v[8:9], v[22:23], v[16:17]
	v_fma_f64 v[22:23], v[6:7], v[22:23], -v[24:25]
	ds_load_b128 v[6:9], v1 offset:1776
	s_waitcnt vmcnt(5) lgkmcnt(1)
	v_mul_f64 v[46:47], v[2:3], v[28:29]
	v_mul_f64 v[28:29], v[4:5], v[28:29]
	v_add_f64 v[14:15], v[10:11], v[14:15]
	v_add_f64 v[20:21], v[12:13], v[48:49]
	scratch_load_b128 v[10:13], off, off offset:720
	s_waitcnt vmcnt(5) lgkmcnt(0)
	v_mul_f64 v[24:25], v[8:9], v[32:33]
	v_add_f64 v[14:15], v[14:15], v[18:19]
	v_add_f64 v[18:19], v[20:21], v[44:45]
	v_mul_f64 v[20:21], v[6:7], v[32:33]
	v_fma_f64 v[32:33], v[4:5], v[26:27], v[46:47]
	v_fma_f64 v[26:27], v[2:3], v[26:27], -v[28:29]
	ds_load_b128 v[2:5], v1 offset:1792
	v_fma_f64 v[24:25], v[6:7], v[30:31], -v[24:25]
	v_add_f64 v[14:15], v[14:15], v[22:23]
	v_add_f64 v[16:17], v[18:19], v[16:17]
	v_fma_f64 v[20:21], v[8:9], v[30:31], v[20:21]
	ds_load_b128 v[6:9], v1 offset:1808
	s_waitcnt vmcnt(4) lgkmcnt(1)
	v_mul_f64 v[18:19], v[2:3], v[40:41]
	v_mul_f64 v[22:23], v[4:5], v[40:41]
	s_waitcnt vmcnt(3) lgkmcnt(0)
	v_mul_f64 v[28:29], v[8:9], v[177:178]
	v_add_f64 v[14:15], v[14:15], v[26:27]
	v_add_f64 v[16:17], v[16:17], v[32:33]
	v_mul_f64 v[26:27], v[6:7], v[177:178]
	v_fma_f64 v[18:19], v[4:5], v[38:39], v[18:19]
	v_fma_f64 v[22:23], v[2:3], v[38:39], -v[22:23]
	ds_load_b128 v[2:5], v1 offset:1824
	v_fma_f64 v[28:29], v[6:7], v[175:176], -v[28:29]
	v_add_f64 v[14:15], v[14:15], v[24:25]
	v_add_f64 v[16:17], v[16:17], v[20:21]
	v_fma_f64 v[26:27], v[8:9], v[175:176], v[26:27]
	ds_load_b128 v[6:9], v1 offset:1840
	s_waitcnt vmcnt(2) lgkmcnt(1)
	v_mul_f64 v[20:21], v[2:3], v[36:37]
	v_mul_f64 v[24:25], v[4:5], v[36:37]
	v_add_f64 v[14:15], v[14:15], v[22:23]
	v_add_f64 v[16:17], v[16:17], v[18:19]
	s_waitcnt vmcnt(1) lgkmcnt(0)
	v_mul_f64 v[18:19], v[6:7], v[173:174]
	v_mul_f64 v[22:23], v[8:9], v[173:174]
	v_fma_f64 v[4:5], v[4:5], v[34:35], v[20:21]
	v_fma_f64 v[1:2], v[2:3], v[34:35], -v[24:25]
	v_add_f64 v[14:15], v[14:15], v[28:29]
	v_add_f64 v[16:17], v[16:17], v[26:27]
	v_fma_f64 v[8:9], v[8:9], v[171:172], v[18:19]
	v_fma_f64 v[6:7], v[6:7], v[171:172], -v[22:23]
	s_delay_alu instid0(VALU_DEP_4) | instskip(NEXT) | instid1(VALU_DEP_4)
	v_add_f64 v[1:2], v[14:15], v[1:2]
	v_add_f64 v[3:4], v[16:17], v[4:5]
	s_delay_alu instid0(VALU_DEP_2) | instskip(NEXT) | instid1(VALU_DEP_2)
	v_add_f64 v[1:2], v[1:2], v[6:7]
	v_add_f64 v[3:4], v[3:4], v[8:9]
	s_waitcnt vmcnt(0)
	s_delay_alu instid0(VALU_DEP_2) | instskip(NEXT) | instid1(VALU_DEP_2)
	v_add_f64 v[1:2], v[10:11], -v[1:2]
	v_add_f64 v[3:4], v[12:13], -v[3:4]
	scratch_store_b128 off, v[1:4], off offset:720
	v_cmpx_lt_u32_e32 44, v158
	s_cbranch_execz .LBB121_273
; %bb.272:
	scratch_load_b128 v[1:4], v227, off
	v_mov_b32_e32 v5, 0
	s_delay_alu instid0(VALU_DEP_1)
	v_mov_b32_e32 v6, v5
	v_mov_b32_e32 v7, v5
	;; [unrolled: 1-line block ×3, first 2 shown]
	scratch_store_b128 off, v[5:8], off offset:704
	s_waitcnt vmcnt(0)
	ds_store_b128 v216, v[1:4]
.LBB121_273:
	s_or_b32 exec_lo, exec_lo, s2
	s_waitcnt lgkmcnt(0)
	s_waitcnt_vscnt null, 0x0
	s_barrier
	buffer_gl0_inv
	s_clause 0x7
	scratch_load_b128 v[2:5], off, off offset:720
	scratch_load_b128 v[6:9], off, off offset:736
	;; [unrolled: 1-line block ×8, first 2 shown]
	v_mov_b32_e32 v1, 0
	s_clause 0x1
	scratch_load_b128 v[38:41], off, off offset:848
	scratch_load_b128 v[175:178], off, off offset:864
	s_mov_b32 s2, exec_lo
	ds_load_b128 v[34:37], v1 offset:1648
	ds_load_b128 v[171:174], v1 offset:1664
	s_waitcnt vmcnt(9) lgkmcnt(1)
	v_mul_f64 v[44:45], v[36:37], v[4:5]
	v_mul_f64 v[4:5], v[34:35], v[4:5]
	s_waitcnt vmcnt(8) lgkmcnt(0)
	v_mul_f64 v[46:47], v[171:172], v[8:9]
	v_mul_f64 v[8:9], v[173:174], v[8:9]
	s_delay_alu instid0(VALU_DEP_4) | instskip(NEXT) | instid1(VALU_DEP_4)
	v_fma_f64 v[44:45], v[34:35], v[2:3], -v[44:45]
	v_fma_f64 v[48:49], v[36:37], v[2:3], v[4:5]
	ds_load_b128 v[2:5], v1 offset:1680
	scratch_load_b128 v[34:37], off, off offset:880
	v_fma_f64 v[46:47], v[173:174], v[6:7], v[46:47]
	v_fma_f64 v[52:53], v[171:172], v[6:7], -v[8:9]
	ds_load_b128 v[6:9], v1 offset:1696
	scratch_load_b128 v[171:174], off, off offset:896
	s_waitcnt vmcnt(9) lgkmcnt(1)
	v_mul_f64 v[50:51], v[2:3], v[12:13]
	v_mul_f64 v[12:13], v[4:5], v[12:13]
	s_waitcnt vmcnt(8) lgkmcnt(0)
	v_mul_f64 v[54:55], v[6:7], v[16:17]
	v_mul_f64 v[16:17], v[8:9], v[16:17]
	v_add_f64 v[44:45], v[44:45], 0
	v_add_f64 v[48:49], v[48:49], 0
	v_fma_f64 v[50:51], v[4:5], v[10:11], v[50:51]
	v_fma_f64 v[56:57], v[2:3], v[10:11], -v[12:13]
	scratch_load_b128 v[10:13], off, off offset:912
	ds_load_b128 v[2:5], v1 offset:1712
	v_add_f64 v[44:45], v[44:45], v[52:53]
	v_add_f64 v[46:47], v[48:49], v[46:47]
	v_fma_f64 v[52:53], v[8:9], v[14:15], v[54:55]
	v_fma_f64 v[14:15], v[6:7], v[14:15], -v[16:17]
	ds_load_b128 v[6:9], v1 offset:1728
	s_waitcnt vmcnt(8) lgkmcnt(1)
	v_mul_f64 v[48:49], v[2:3], v[20:21]
	v_mul_f64 v[20:21], v[4:5], v[20:21]
	v_add_f64 v[16:17], v[44:45], v[56:57]
	v_add_f64 v[44:45], v[46:47], v[50:51]
	s_waitcnt vmcnt(7) lgkmcnt(0)
	v_mul_f64 v[46:47], v[6:7], v[24:25]
	v_mul_f64 v[24:25], v[8:9], v[24:25]
	v_fma_f64 v[48:49], v[4:5], v[18:19], v[48:49]
	v_fma_f64 v[18:19], v[2:3], v[18:19], -v[20:21]
	ds_load_b128 v[2:5], v1 offset:1744
	v_add_f64 v[14:15], v[16:17], v[14:15]
	v_add_f64 v[16:17], v[44:45], v[52:53]
	v_fma_f64 v[44:45], v[8:9], v[22:23], v[46:47]
	v_fma_f64 v[22:23], v[6:7], v[22:23], -v[24:25]
	ds_load_b128 v[6:9], v1 offset:1760
	s_waitcnt vmcnt(6) lgkmcnt(1)
	v_mul_f64 v[20:21], v[2:3], v[28:29]
	v_mul_f64 v[28:29], v[4:5], v[28:29]
	s_waitcnt vmcnt(5) lgkmcnt(0)
	v_mul_f64 v[46:47], v[6:7], v[32:33]
	v_mul_f64 v[32:33], v[8:9], v[32:33]
	v_add_f64 v[18:19], v[14:15], v[18:19]
	v_add_f64 v[24:25], v[16:17], v[48:49]
	scratch_load_b128 v[14:17], off, off offset:704
	v_fma_f64 v[20:21], v[4:5], v[26:27], v[20:21]
	v_fma_f64 v[26:27], v[2:3], v[26:27], -v[28:29]
	ds_load_b128 v[2:5], v1 offset:1776
	s_waitcnt vmcnt(5) lgkmcnt(0)
	v_mul_f64 v[28:29], v[4:5], v[40:41]
	v_add_f64 v[18:19], v[18:19], v[22:23]
	v_add_f64 v[22:23], v[24:25], v[44:45]
	v_mul_f64 v[24:25], v[2:3], v[40:41]
	v_fma_f64 v[40:41], v[8:9], v[30:31], v[46:47]
	v_fma_f64 v[30:31], v[6:7], v[30:31], -v[32:33]
	ds_load_b128 v[6:9], v1 offset:1792
	v_fma_f64 v[28:29], v[2:3], v[38:39], -v[28:29]
	v_add_f64 v[18:19], v[18:19], v[26:27]
	v_add_f64 v[20:21], v[22:23], v[20:21]
	v_fma_f64 v[24:25], v[4:5], v[38:39], v[24:25]
	ds_load_b128 v[2:5], v1 offset:1808
	s_waitcnt vmcnt(4) lgkmcnt(1)
	v_mul_f64 v[22:23], v[6:7], v[177:178]
	v_mul_f64 v[26:27], v[8:9], v[177:178]
	v_add_f64 v[18:19], v[18:19], v[30:31]
	v_add_f64 v[20:21], v[20:21], v[40:41]
	s_delay_alu instid0(VALU_DEP_4) | instskip(NEXT) | instid1(VALU_DEP_4)
	v_fma_f64 v[22:23], v[8:9], v[175:176], v[22:23]
	v_fma_f64 v[26:27], v[6:7], v[175:176], -v[26:27]
	ds_load_b128 v[6:9], v1 offset:1824
	s_waitcnt vmcnt(3) lgkmcnt(1)
	v_mul_f64 v[30:31], v[2:3], v[36:37]
	v_mul_f64 v[32:33], v[4:5], v[36:37]
	v_add_f64 v[18:19], v[18:19], v[28:29]
	v_add_f64 v[20:21], v[20:21], v[24:25]
	s_delay_alu instid0(VALU_DEP_4) | instskip(NEXT) | instid1(VALU_DEP_4)
	v_fma_f64 v[30:31], v[4:5], v[34:35], v[30:31]
	v_fma_f64 v[32:33], v[2:3], v[34:35], -v[32:33]
	ds_load_b128 v[2:5], v1 offset:1840
	s_waitcnt vmcnt(2) lgkmcnt(1)
	v_mul_f64 v[24:25], v[6:7], v[173:174]
	v_mul_f64 v[28:29], v[8:9], v[173:174]
	v_add_f64 v[18:19], v[18:19], v[26:27]
	v_add_f64 v[20:21], v[20:21], v[22:23]
	s_waitcnt vmcnt(1) lgkmcnt(0)
	v_mul_f64 v[22:23], v[2:3], v[12:13]
	v_mul_f64 v[12:13], v[4:5], v[12:13]
	v_fma_f64 v[8:9], v[8:9], v[171:172], v[24:25]
	v_fma_f64 v[6:7], v[6:7], v[171:172], -v[28:29]
	v_add_f64 v[18:19], v[18:19], v[32:33]
	v_add_f64 v[20:21], v[20:21], v[30:31]
	v_fma_f64 v[4:5], v[4:5], v[10:11], v[22:23]
	v_fma_f64 v[2:3], v[2:3], v[10:11], -v[12:13]
	s_delay_alu instid0(VALU_DEP_4) | instskip(NEXT) | instid1(VALU_DEP_4)
	v_add_f64 v[6:7], v[18:19], v[6:7]
	v_add_f64 v[8:9], v[20:21], v[8:9]
	s_delay_alu instid0(VALU_DEP_2) | instskip(NEXT) | instid1(VALU_DEP_2)
	v_add_f64 v[2:3], v[6:7], v[2:3]
	v_add_f64 v[4:5], v[8:9], v[4:5]
	s_waitcnt vmcnt(0)
	s_delay_alu instid0(VALU_DEP_2) | instskip(NEXT) | instid1(VALU_DEP_2)
	v_add_f64 v[2:3], v[14:15], -v[2:3]
	v_add_f64 v[4:5], v[16:17], -v[4:5]
	scratch_store_b128 off, v[2:5], off offset:704
	v_cmpx_lt_u32_e32 43, v158
	s_cbranch_execz .LBB121_275
; %bb.274:
	scratch_load_b128 v[5:8], v225, off
	v_mov_b32_e32 v2, v1
	v_mov_b32_e32 v3, v1
	;; [unrolled: 1-line block ×3, first 2 shown]
	scratch_store_b128 off, v[1:4], off offset:688
	s_waitcnt vmcnt(0)
	ds_store_b128 v216, v[5:8]
.LBB121_275:
	s_or_b32 exec_lo, exec_lo, s2
	s_waitcnt lgkmcnt(0)
	s_waitcnt_vscnt null, 0x0
	s_barrier
	buffer_gl0_inv
	s_clause 0x7
	scratch_load_b128 v[2:5], off, off offset:704
	scratch_load_b128 v[6:9], off, off offset:720
	;; [unrolled: 1-line block ×8, first 2 shown]
	ds_load_b128 v[34:37], v1 offset:1632
	ds_load_b128 v[171:174], v1 offset:1648
	s_clause 0x1
	scratch_load_b128 v[38:41], off, off offset:832
	scratch_load_b128 v[175:178], off, off offset:848
	s_mov_b32 s2, exec_lo
	s_waitcnt vmcnt(9) lgkmcnt(1)
	v_mul_f64 v[44:45], v[36:37], v[4:5]
	v_mul_f64 v[4:5], v[34:35], v[4:5]
	s_waitcnt vmcnt(8) lgkmcnt(0)
	v_mul_f64 v[46:47], v[171:172], v[8:9]
	v_mul_f64 v[8:9], v[173:174], v[8:9]
	s_delay_alu instid0(VALU_DEP_4) | instskip(NEXT) | instid1(VALU_DEP_4)
	v_fma_f64 v[44:45], v[34:35], v[2:3], -v[44:45]
	v_fma_f64 v[48:49], v[36:37], v[2:3], v[4:5]
	scratch_load_b128 v[34:37], off, off offset:864
	ds_load_b128 v[2:5], v1 offset:1664
	v_fma_f64 v[46:47], v[173:174], v[6:7], v[46:47]
	v_fma_f64 v[52:53], v[171:172], v[6:7], -v[8:9]
	ds_load_b128 v[6:9], v1 offset:1680
	scratch_load_b128 v[171:174], off, off offset:880
	s_waitcnt vmcnt(9) lgkmcnt(1)
	v_mul_f64 v[50:51], v[2:3], v[12:13]
	v_mul_f64 v[12:13], v[4:5], v[12:13]
	s_waitcnt vmcnt(8) lgkmcnt(0)
	v_mul_f64 v[54:55], v[6:7], v[16:17]
	v_mul_f64 v[16:17], v[8:9], v[16:17]
	v_add_f64 v[44:45], v[44:45], 0
	v_add_f64 v[48:49], v[48:49], 0
	v_fma_f64 v[50:51], v[4:5], v[10:11], v[50:51]
	v_fma_f64 v[56:57], v[2:3], v[10:11], -v[12:13]
	scratch_load_b128 v[10:13], off, off offset:896
	ds_load_b128 v[2:5], v1 offset:1696
	v_add_f64 v[44:45], v[44:45], v[52:53]
	v_add_f64 v[46:47], v[48:49], v[46:47]
	v_fma_f64 v[52:53], v[8:9], v[14:15], v[54:55]
	v_fma_f64 v[54:55], v[6:7], v[14:15], -v[16:17]
	ds_load_b128 v[6:9], v1 offset:1712
	scratch_load_b128 v[14:17], off, off offset:912
	s_waitcnt vmcnt(9) lgkmcnt(1)
	v_mul_f64 v[48:49], v[2:3], v[20:21]
	v_mul_f64 v[20:21], v[4:5], v[20:21]
	v_add_f64 v[44:45], v[44:45], v[56:57]
	v_add_f64 v[46:47], v[46:47], v[50:51]
	s_waitcnt vmcnt(8) lgkmcnt(0)
	v_mul_f64 v[50:51], v[6:7], v[24:25]
	v_mul_f64 v[24:25], v[8:9], v[24:25]
	v_fma_f64 v[48:49], v[4:5], v[18:19], v[48:49]
	v_fma_f64 v[18:19], v[2:3], v[18:19], -v[20:21]
	ds_load_b128 v[2:5], v1 offset:1728
	v_add_f64 v[20:21], v[44:45], v[54:55]
	v_add_f64 v[44:45], v[46:47], v[52:53]
	v_fma_f64 v[50:51], v[8:9], v[22:23], v[50:51]
	v_fma_f64 v[22:23], v[6:7], v[22:23], -v[24:25]
	ds_load_b128 v[6:9], v1 offset:1744
	s_waitcnt vmcnt(7) lgkmcnt(1)
	v_mul_f64 v[46:47], v[2:3], v[28:29]
	v_mul_f64 v[28:29], v[4:5], v[28:29]
	s_waitcnt vmcnt(6) lgkmcnt(0)
	v_mul_f64 v[24:25], v[6:7], v[32:33]
	v_mul_f64 v[32:33], v[8:9], v[32:33]
	v_add_f64 v[18:19], v[20:21], v[18:19]
	v_add_f64 v[20:21], v[44:45], v[48:49]
	v_fma_f64 v[44:45], v[4:5], v[26:27], v[46:47]
	v_fma_f64 v[26:27], v[2:3], v[26:27], -v[28:29]
	ds_load_b128 v[2:5], v1 offset:1760
	v_fma_f64 v[24:25], v[8:9], v[30:31], v[24:25]
	v_fma_f64 v[30:31], v[6:7], v[30:31], -v[32:33]
	ds_load_b128 v[6:9], v1 offset:1776
	v_add_f64 v[22:23], v[18:19], v[22:23]
	v_add_f64 v[28:29], v[20:21], v[50:51]
	scratch_load_b128 v[18:21], off, off offset:688
	s_waitcnt vmcnt(6) lgkmcnt(1)
	v_mul_f64 v[46:47], v[2:3], v[40:41]
	v_mul_f64 v[40:41], v[4:5], v[40:41]
	s_waitcnt vmcnt(5) lgkmcnt(0)
	v_mul_f64 v[32:33], v[8:9], v[177:178]
	v_add_f64 v[22:23], v[22:23], v[26:27]
	v_add_f64 v[26:27], v[28:29], v[44:45]
	v_mul_f64 v[28:29], v[6:7], v[177:178]
	v_fma_f64 v[44:45], v[4:5], v[38:39], v[46:47]
	v_fma_f64 v[38:39], v[2:3], v[38:39], -v[40:41]
	ds_load_b128 v[2:5], v1 offset:1792
	v_fma_f64 v[32:33], v[6:7], v[175:176], -v[32:33]
	v_add_f64 v[22:23], v[22:23], v[30:31]
	v_add_f64 v[24:25], v[26:27], v[24:25]
	v_fma_f64 v[28:29], v[8:9], v[175:176], v[28:29]
	ds_load_b128 v[6:9], v1 offset:1808
	s_waitcnt vmcnt(4) lgkmcnt(1)
	v_mul_f64 v[26:27], v[2:3], v[36:37]
	v_mul_f64 v[30:31], v[4:5], v[36:37]
	s_waitcnt vmcnt(3) lgkmcnt(0)
	v_mul_f64 v[36:37], v[6:7], v[173:174]
	v_add_f64 v[22:23], v[22:23], v[38:39]
	v_add_f64 v[24:25], v[24:25], v[44:45]
	v_mul_f64 v[38:39], v[8:9], v[173:174]
	v_fma_f64 v[26:27], v[4:5], v[34:35], v[26:27]
	v_fma_f64 v[30:31], v[2:3], v[34:35], -v[30:31]
	ds_load_b128 v[2:5], v1 offset:1824
	v_add_f64 v[22:23], v[22:23], v[32:33]
	v_add_f64 v[24:25], v[24:25], v[28:29]
	v_fma_f64 v[32:33], v[8:9], v[171:172], v[36:37]
	v_fma_f64 v[34:35], v[6:7], v[171:172], -v[38:39]
	ds_load_b128 v[6:9], v1 offset:1840
	s_waitcnt vmcnt(2) lgkmcnt(1)
	v_mul_f64 v[28:29], v[2:3], v[12:13]
	v_mul_f64 v[12:13], v[4:5], v[12:13]
	v_add_f64 v[22:23], v[22:23], v[30:31]
	v_add_f64 v[24:25], v[24:25], v[26:27]
	s_waitcnt vmcnt(1) lgkmcnt(0)
	v_mul_f64 v[26:27], v[6:7], v[16:17]
	v_mul_f64 v[16:17], v[8:9], v[16:17]
	v_fma_f64 v[4:5], v[4:5], v[10:11], v[28:29]
	v_fma_f64 v[1:2], v[2:3], v[10:11], -v[12:13]
	v_add_f64 v[10:11], v[22:23], v[34:35]
	v_add_f64 v[12:13], v[24:25], v[32:33]
	v_fma_f64 v[8:9], v[8:9], v[14:15], v[26:27]
	v_fma_f64 v[6:7], v[6:7], v[14:15], -v[16:17]
	s_delay_alu instid0(VALU_DEP_4) | instskip(NEXT) | instid1(VALU_DEP_4)
	v_add_f64 v[1:2], v[10:11], v[1:2]
	v_add_f64 v[3:4], v[12:13], v[4:5]
	s_delay_alu instid0(VALU_DEP_2) | instskip(NEXT) | instid1(VALU_DEP_2)
	v_add_f64 v[1:2], v[1:2], v[6:7]
	v_add_f64 v[3:4], v[3:4], v[8:9]
	s_waitcnt vmcnt(0)
	s_delay_alu instid0(VALU_DEP_2) | instskip(NEXT) | instid1(VALU_DEP_2)
	v_add_f64 v[1:2], v[18:19], -v[1:2]
	v_add_f64 v[3:4], v[20:21], -v[3:4]
	scratch_store_b128 off, v[1:4], off offset:688
	v_cmpx_lt_u32_e32 42, v158
	s_cbranch_execz .LBB121_277
; %bb.276:
	scratch_load_b128 v[1:4], v220, off
	v_mov_b32_e32 v5, 0
	s_delay_alu instid0(VALU_DEP_1)
	v_mov_b32_e32 v6, v5
	v_mov_b32_e32 v7, v5
	;; [unrolled: 1-line block ×3, first 2 shown]
	scratch_store_b128 off, v[5:8], off offset:672
	s_waitcnt vmcnt(0)
	ds_store_b128 v216, v[1:4]
.LBB121_277:
	s_or_b32 exec_lo, exec_lo, s2
	s_waitcnt lgkmcnt(0)
	s_waitcnt_vscnt null, 0x0
	s_barrier
	buffer_gl0_inv
	s_clause 0x7
	scratch_load_b128 v[2:5], off, off offset:688
	scratch_load_b128 v[6:9], off, off offset:704
	scratch_load_b128 v[10:13], off, off offset:720
	scratch_load_b128 v[14:17], off, off offset:736
	scratch_load_b128 v[18:21], off, off offset:752
	scratch_load_b128 v[22:25], off, off offset:768
	scratch_load_b128 v[26:29], off, off offset:784
	scratch_load_b128 v[30:33], off, off offset:800
	v_mov_b32_e32 v1, 0
	s_clause 0x1
	scratch_load_b128 v[38:41], off, off offset:816
	scratch_load_b128 v[175:178], off, off offset:832
	s_mov_b32 s2, exec_lo
	ds_load_b128 v[34:37], v1 offset:1616
	ds_load_b128 v[171:174], v1 offset:1632
	s_waitcnt vmcnt(9) lgkmcnt(1)
	v_mul_f64 v[44:45], v[36:37], v[4:5]
	v_mul_f64 v[4:5], v[34:35], v[4:5]
	s_waitcnt vmcnt(8) lgkmcnt(0)
	v_mul_f64 v[46:47], v[171:172], v[8:9]
	v_mul_f64 v[8:9], v[173:174], v[8:9]
	s_delay_alu instid0(VALU_DEP_4) | instskip(NEXT) | instid1(VALU_DEP_4)
	v_fma_f64 v[44:45], v[34:35], v[2:3], -v[44:45]
	v_fma_f64 v[48:49], v[36:37], v[2:3], v[4:5]
	ds_load_b128 v[2:5], v1 offset:1648
	scratch_load_b128 v[34:37], off, off offset:848
	v_fma_f64 v[46:47], v[173:174], v[6:7], v[46:47]
	v_fma_f64 v[52:53], v[171:172], v[6:7], -v[8:9]
	ds_load_b128 v[6:9], v1 offset:1664
	scratch_load_b128 v[171:174], off, off offset:864
	s_waitcnt vmcnt(9) lgkmcnt(1)
	v_mul_f64 v[50:51], v[2:3], v[12:13]
	v_mul_f64 v[12:13], v[4:5], v[12:13]
	s_waitcnt vmcnt(8) lgkmcnt(0)
	v_mul_f64 v[54:55], v[6:7], v[16:17]
	v_mul_f64 v[16:17], v[8:9], v[16:17]
	v_add_f64 v[44:45], v[44:45], 0
	v_add_f64 v[48:49], v[48:49], 0
	v_fma_f64 v[50:51], v[4:5], v[10:11], v[50:51]
	v_fma_f64 v[56:57], v[2:3], v[10:11], -v[12:13]
	scratch_load_b128 v[10:13], off, off offset:880
	ds_load_b128 v[2:5], v1 offset:1680
	v_add_f64 v[44:45], v[44:45], v[52:53]
	v_add_f64 v[46:47], v[48:49], v[46:47]
	v_fma_f64 v[52:53], v[8:9], v[14:15], v[54:55]
	v_fma_f64 v[54:55], v[6:7], v[14:15], -v[16:17]
	ds_load_b128 v[6:9], v1 offset:1696
	scratch_load_b128 v[14:17], off, off offset:896
	s_waitcnt vmcnt(9) lgkmcnt(1)
	v_mul_f64 v[48:49], v[2:3], v[20:21]
	v_mul_f64 v[20:21], v[4:5], v[20:21]
	v_add_f64 v[44:45], v[44:45], v[56:57]
	v_add_f64 v[46:47], v[46:47], v[50:51]
	s_waitcnt vmcnt(8) lgkmcnt(0)
	v_mul_f64 v[50:51], v[6:7], v[24:25]
	v_mul_f64 v[24:25], v[8:9], v[24:25]
	v_fma_f64 v[48:49], v[4:5], v[18:19], v[48:49]
	v_fma_f64 v[56:57], v[2:3], v[18:19], -v[20:21]
	scratch_load_b128 v[18:21], off, off offset:912
	ds_load_b128 v[2:5], v1 offset:1712
	v_add_f64 v[44:45], v[44:45], v[54:55]
	v_add_f64 v[46:47], v[46:47], v[52:53]
	v_fma_f64 v[50:51], v[8:9], v[22:23], v[50:51]
	v_fma_f64 v[22:23], v[6:7], v[22:23], -v[24:25]
	ds_load_b128 v[6:9], v1 offset:1728
	s_waitcnt vmcnt(8) lgkmcnt(1)
	v_mul_f64 v[52:53], v[2:3], v[28:29]
	v_mul_f64 v[28:29], v[4:5], v[28:29]
	v_add_f64 v[24:25], v[44:45], v[56:57]
	v_add_f64 v[44:45], v[46:47], v[48:49]
	s_waitcnt vmcnt(7) lgkmcnt(0)
	v_mul_f64 v[46:47], v[6:7], v[32:33]
	v_mul_f64 v[32:33], v[8:9], v[32:33]
	v_fma_f64 v[48:49], v[4:5], v[26:27], v[52:53]
	v_fma_f64 v[26:27], v[2:3], v[26:27], -v[28:29]
	ds_load_b128 v[2:5], v1 offset:1744
	v_add_f64 v[22:23], v[24:25], v[22:23]
	v_add_f64 v[24:25], v[44:45], v[50:51]
	v_fma_f64 v[44:45], v[8:9], v[30:31], v[46:47]
	v_fma_f64 v[30:31], v[6:7], v[30:31], -v[32:33]
	ds_load_b128 v[6:9], v1 offset:1760
	s_waitcnt vmcnt(5) lgkmcnt(0)
	v_mul_f64 v[46:47], v[6:7], v[177:178]
	v_add_f64 v[26:27], v[22:23], v[26:27]
	v_add_f64 v[32:33], v[24:25], v[48:49]
	scratch_load_b128 v[22:25], off, off offset:672
	v_mul_f64 v[28:29], v[2:3], v[40:41]
	v_mul_f64 v[40:41], v[4:5], v[40:41]
	;; [unrolled: 1-line block ×3, first 2 shown]
	v_add_f64 v[26:27], v[26:27], v[30:31]
	v_add_f64 v[30:31], v[32:33], v[44:45]
	v_fma_f64 v[28:29], v[4:5], v[38:39], v[28:29]
	v_fma_f64 v[38:39], v[2:3], v[38:39], -v[40:41]
	ds_load_b128 v[2:5], v1 offset:1776
	v_fma_f64 v[40:41], v[8:9], v[175:176], v[46:47]
	v_fma_f64 v[44:45], v[6:7], v[175:176], -v[48:49]
	ds_load_b128 v[6:9], v1 offset:1792
	s_waitcnt vmcnt(5) lgkmcnt(1)
	v_mul_f64 v[32:33], v[2:3], v[36:37]
	v_mul_f64 v[36:37], v[4:5], v[36:37]
	v_add_f64 v[28:29], v[30:31], v[28:29]
	v_add_f64 v[26:27], v[26:27], v[38:39]
	s_waitcnt vmcnt(4) lgkmcnt(0)
	v_mul_f64 v[30:31], v[6:7], v[173:174]
	v_mul_f64 v[38:39], v[8:9], v[173:174]
	v_fma_f64 v[32:33], v[4:5], v[34:35], v[32:33]
	v_fma_f64 v[34:35], v[2:3], v[34:35], -v[36:37]
	ds_load_b128 v[2:5], v1 offset:1808
	v_add_f64 v[28:29], v[28:29], v[40:41]
	v_add_f64 v[26:27], v[26:27], v[44:45]
	v_fma_f64 v[30:31], v[8:9], v[171:172], v[30:31]
	v_fma_f64 v[38:39], v[6:7], v[171:172], -v[38:39]
	ds_load_b128 v[6:9], v1 offset:1824
	s_waitcnt vmcnt(3) lgkmcnt(1)
	v_mul_f64 v[36:37], v[2:3], v[12:13]
	v_mul_f64 v[12:13], v[4:5], v[12:13]
	v_add_f64 v[28:29], v[28:29], v[32:33]
	v_add_f64 v[26:27], v[26:27], v[34:35]
	s_waitcnt vmcnt(2) lgkmcnt(0)
	v_mul_f64 v[32:33], v[6:7], v[16:17]
	v_mul_f64 v[16:17], v[8:9], v[16:17]
	v_fma_f64 v[34:35], v[4:5], v[10:11], v[36:37]
	v_fma_f64 v[10:11], v[2:3], v[10:11], -v[12:13]
	ds_load_b128 v[2:5], v1 offset:1840
	v_add_f64 v[12:13], v[26:27], v[38:39]
	v_add_f64 v[26:27], v[28:29], v[30:31]
	s_waitcnt vmcnt(1) lgkmcnt(0)
	v_mul_f64 v[28:29], v[2:3], v[20:21]
	v_mul_f64 v[20:21], v[4:5], v[20:21]
	v_fma_f64 v[8:9], v[8:9], v[14:15], v[32:33]
	v_fma_f64 v[6:7], v[6:7], v[14:15], -v[16:17]
	v_add_f64 v[10:11], v[12:13], v[10:11]
	v_add_f64 v[12:13], v[26:27], v[34:35]
	v_fma_f64 v[4:5], v[4:5], v[18:19], v[28:29]
	v_fma_f64 v[2:3], v[2:3], v[18:19], -v[20:21]
	s_delay_alu instid0(VALU_DEP_4) | instskip(NEXT) | instid1(VALU_DEP_4)
	v_add_f64 v[6:7], v[10:11], v[6:7]
	v_add_f64 v[8:9], v[12:13], v[8:9]
	s_delay_alu instid0(VALU_DEP_2) | instskip(NEXT) | instid1(VALU_DEP_2)
	v_add_f64 v[2:3], v[6:7], v[2:3]
	v_add_f64 v[4:5], v[8:9], v[4:5]
	s_waitcnt vmcnt(0)
	s_delay_alu instid0(VALU_DEP_2) | instskip(NEXT) | instid1(VALU_DEP_2)
	v_add_f64 v[2:3], v[22:23], -v[2:3]
	v_add_f64 v[4:5], v[24:25], -v[4:5]
	scratch_store_b128 off, v[2:5], off offset:672
	v_cmpx_lt_u32_e32 41, v158
	s_cbranch_execz .LBB121_279
; %bb.278:
	scratch_load_b128 v[5:8], v222, off
	v_mov_b32_e32 v2, v1
	v_mov_b32_e32 v3, v1
	;; [unrolled: 1-line block ×3, first 2 shown]
	scratch_store_b128 off, v[1:4], off offset:656
	s_waitcnt vmcnt(0)
	ds_store_b128 v216, v[5:8]
.LBB121_279:
	s_or_b32 exec_lo, exec_lo, s2
	s_waitcnt lgkmcnt(0)
	s_waitcnt_vscnt null, 0x0
	s_barrier
	buffer_gl0_inv
	s_clause 0x7
	scratch_load_b128 v[2:5], off, off offset:672
	scratch_load_b128 v[6:9], off, off offset:688
	;; [unrolled: 1-line block ×8, first 2 shown]
	ds_load_b128 v[34:37], v1 offset:1600
	ds_load_b128 v[171:174], v1 offset:1616
	s_clause 0x1
	scratch_load_b128 v[38:41], off, off offset:800
	scratch_load_b128 v[175:178], off, off offset:816
	s_mov_b32 s2, exec_lo
	s_waitcnt vmcnt(9) lgkmcnt(1)
	v_mul_f64 v[44:45], v[36:37], v[4:5]
	v_mul_f64 v[4:5], v[34:35], v[4:5]
	s_waitcnt vmcnt(8) lgkmcnt(0)
	v_mul_f64 v[46:47], v[171:172], v[8:9]
	v_mul_f64 v[8:9], v[173:174], v[8:9]
	s_delay_alu instid0(VALU_DEP_4) | instskip(NEXT) | instid1(VALU_DEP_4)
	v_fma_f64 v[44:45], v[34:35], v[2:3], -v[44:45]
	v_fma_f64 v[48:49], v[36:37], v[2:3], v[4:5]
	ds_load_b128 v[2:5], v1 offset:1632
	scratch_load_b128 v[34:37], off, off offset:832
	v_fma_f64 v[46:47], v[173:174], v[6:7], v[46:47]
	v_fma_f64 v[52:53], v[171:172], v[6:7], -v[8:9]
	ds_load_b128 v[6:9], v1 offset:1648
	scratch_load_b128 v[171:174], off, off offset:848
	s_waitcnt vmcnt(9) lgkmcnt(1)
	v_mul_f64 v[50:51], v[2:3], v[12:13]
	v_mul_f64 v[12:13], v[4:5], v[12:13]
	s_waitcnt vmcnt(8) lgkmcnt(0)
	v_mul_f64 v[54:55], v[6:7], v[16:17]
	v_mul_f64 v[16:17], v[8:9], v[16:17]
	v_add_f64 v[44:45], v[44:45], 0
	v_add_f64 v[48:49], v[48:49], 0
	v_fma_f64 v[50:51], v[4:5], v[10:11], v[50:51]
	v_fma_f64 v[56:57], v[2:3], v[10:11], -v[12:13]
	scratch_load_b128 v[10:13], off, off offset:864
	ds_load_b128 v[2:5], v1 offset:1664
	v_add_f64 v[44:45], v[44:45], v[52:53]
	v_add_f64 v[46:47], v[48:49], v[46:47]
	v_fma_f64 v[52:53], v[8:9], v[14:15], v[54:55]
	v_fma_f64 v[54:55], v[6:7], v[14:15], -v[16:17]
	ds_load_b128 v[6:9], v1 offset:1680
	scratch_load_b128 v[14:17], off, off offset:880
	s_waitcnt vmcnt(9) lgkmcnt(1)
	v_mul_f64 v[48:49], v[2:3], v[20:21]
	v_mul_f64 v[20:21], v[4:5], v[20:21]
	v_add_f64 v[44:45], v[44:45], v[56:57]
	v_add_f64 v[46:47], v[46:47], v[50:51]
	s_waitcnt vmcnt(8) lgkmcnt(0)
	v_mul_f64 v[50:51], v[6:7], v[24:25]
	v_mul_f64 v[24:25], v[8:9], v[24:25]
	v_fma_f64 v[48:49], v[4:5], v[18:19], v[48:49]
	v_fma_f64 v[56:57], v[2:3], v[18:19], -v[20:21]
	scratch_load_b128 v[18:21], off, off offset:896
	ds_load_b128 v[2:5], v1 offset:1696
	v_add_f64 v[44:45], v[44:45], v[54:55]
	v_add_f64 v[46:47], v[46:47], v[52:53]
	v_fma_f64 v[50:51], v[8:9], v[22:23], v[50:51]
	v_fma_f64 v[54:55], v[6:7], v[22:23], -v[24:25]
	ds_load_b128 v[6:9], v1 offset:1712
	s_waitcnt vmcnt(8) lgkmcnt(1)
	v_mul_f64 v[52:53], v[2:3], v[28:29]
	v_mul_f64 v[28:29], v[4:5], v[28:29]
	scratch_load_b128 v[22:25], off, off offset:912
	v_add_f64 v[44:45], v[44:45], v[56:57]
	v_add_f64 v[46:47], v[46:47], v[48:49]
	s_waitcnt vmcnt(8) lgkmcnt(0)
	v_mul_f64 v[48:49], v[6:7], v[32:33]
	v_mul_f64 v[32:33], v[8:9], v[32:33]
	v_fma_f64 v[52:53], v[4:5], v[26:27], v[52:53]
	v_fma_f64 v[26:27], v[2:3], v[26:27], -v[28:29]
	ds_load_b128 v[2:5], v1 offset:1728
	v_add_f64 v[28:29], v[44:45], v[54:55]
	v_add_f64 v[44:45], v[46:47], v[50:51]
	v_fma_f64 v[48:49], v[8:9], v[30:31], v[48:49]
	v_fma_f64 v[30:31], v[6:7], v[30:31], -v[32:33]
	ds_load_b128 v[6:9], v1 offset:1744
	s_waitcnt vmcnt(7) lgkmcnt(1)
	v_mul_f64 v[46:47], v[2:3], v[40:41]
	v_mul_f64 v[40:41], v[4:5], v[40:41]
	v_add_f64 v[26:27], v[28:29], v[26:27]
	v_add_f64 v[28:29], v[44:45], v[52:53]
	s_delay_alu instid0(VALU_DEP_4) | instskip(NEXT) | instid1(VALU_DEP_4)
	v_fma_f64 v[46:47], v[4:5], v[38:39], v[46:47]
	v_fma_f64 v[38:39], v[2:3], v[38:39], -v[40:41]
	ds_load_b128 v[2:5], v1 offset:1760
	v_add_f64 v[30:31], v[26:27], v[30:31]
	v_add_f64 v[40:41], v[28:29], v[48:49]
	scratch_load_b128 v[26:29], off, off offset:656
	s_waitcnt vmcnt(7) lgkmcnt(1)
	v_mul_f64 v[32:33], v[6:7], v[177:178]
	v_mul_f64 v[44:45], v[8:9], v[177:178]
	v_add_f64 v[30:31], v[30:31], v[38:39]
	v_add_f64 v[38:39], v[40:41], v[46:47]
	s_delay_alu instid0(VALU_DEP_4) | instskip(NEXT) | instid1(VALU_DEP_4)
	v_fma_f64 v[32:33], v[8:9], v[175:176], v[32:33]
	v_fma_f64 v[44:45], v[6:7], v[175:176], -v[44:45]
	ds_load_b128 v[6:9], v1 offset:1776
	s_waitcnt vmcnt(6) lgkmcnt(1)
	v_mul_f64 v[48:49], v[2:3], v[36:37]
	v_mul_f64 v[36:37], v[4:5], v[36:37]
	s_waitcnt vmcnt(5) lgkmcnt(0)
	v_mul_f64 v[40:41], v[6:7], v[173:174]
	v_mul_f64 v[46:47], v[8:9], v[173:174]
	v_add_f64 v[32:33], v[38:39], v[32:33]
	v_add_f64 v[30:31], v[30:31], v[44:45]
	v_fma_f64 v[48:49], v[4:5], v[34:35], v[48:49]
	v_fma_f64 v[34:35], v[2:3], v[34:35], -v[36:37]
	ds_load_b128 v[2:5], v1 offset:1792
	v_fma_f64 v[38:39], v[8:9], v[171:172], v[40:41]
	v_fma_f64 v[40:41], v[6:7], v[171:172], -v[46:47]
	ds_load_b128 v[6:9], v1 offset:1808
	s_waitcnt vmcnt(4) lgkmcnt(1)
	v_mul_f64 v[36:37], v[2:3], v[12:13]
	v_mul_f64 v[12:13], v[4:5], v[12:13]
	v_add_f64 v[32:33], v[32:33], v[48:49]
	v_add_f64 v[30:31], v[30:31], v[34:35]
	s_waitcnt vmcnt(3) lgkmcnt(0)
	v_mul_f64 v[34:35], v[6:7], v[16:17]
	v_mul_f64 v[16:17], v[8:9], v[16:17]
	v_fma_f64 v[36:37], v[4:5], v[10:11], v[36:37]
	v_fma_f64 v[10:11], v[2:3], v[10:11], -v[12:13]
	ds_load_b128 v[2:5], v1 offset:1824
	v_add_f64 v[12:13], v[30:31], v[40:41]
	v_add_f64 v[30:31], v[32:33], v[38:39]
	v_fma_f64 v[34:35], v[8:9], v[14:15], v[34:35]
	v_fma_f64 v[14:15], v[6:7], v[14:15], -v[16:17]
	ds_load_b128 v[6:9], v1 offset:1840
	s_waitcnt vmcnt(2) lgkmcnt(1)
	v_mul_f64 v[32:33], v[2:3], v[20:21]
	v_mul_f64 v[20:21], v[4:5], v[20:21]
	s_waitcnt vmcnt(1) lgkmcnt(0)
	v_mul_f64 v[16:17], v[6:7], v[24:25]
	v_mul_f64 v[24:25], v[8:9], v[24:25]
	v_add_f64 v[10:11], v[12:13], v[10:11]
	v_add_f64 v[12:13], v[30:31], v[36:37]
	v_fma_f64 v[4:5], v[4:5], v[18:19], v[32:33]
	v_fma_f64 v[1:2], v[2:3], v[18:19], -v[20:21]
	v_fma_f64 v[8:9], v[8:9], v[22:23], v[16:17]
	v_fma_f64 v[6:7], v[6:7], v[22:23], -v[24:25]
	v_add_f64 v[10:11], v[10:11], v[14:15]
	v_add_f64 v[12:13], v[12:13], v[34:35]
	s_delay_alu instid0(VALU_DEP_2) | instskip(NEXT) | instid1(VALU_DEP_2)
	v_add_f64 v[1:2], v[10:11], v[1:2]
	v_add_f64 v[3:4], v[12:13], v[4:5]
	s_delay_alu instid0(VALU_DEP_2) | instskip(NEXT) | instid1(VALU_DEP_2)
	v_add_f64 v[1:2], v[1:2], v[6:7]
	v_add_f64 v[3:4], v[3:4], v[8:9]
	s_waitcnt vmcnt(0)
	s_delay_alu instid0(VALU_DEP_2) | instskip(NEXT) | instid1(VALU_DEP_2)
	v_add_f64 v[1:2], v[26:27], -v[1:2]
	v_add_f64 v[3:4], v[28:29], -v[3:4]
	scratch_store_b128 off, v[1:4], off offset:656
	v_cmpx_lt_u32_e32 40, v158
	s_cbranch_execz .LBB121_281
; %bb.280:
	scratch_load_b128 v[1:4], v223, off
	v_mov_b32_e32 v5, 0
	s_delay_alu instid0(VALU_DEP_1)
	v_mov_b32_e32 v6, v5
	v_mov_b32_e32 v7, v5
	;; [unrolled: 1-line block ×3, first 2 shown]
	scratch_store_b128 off, v[5:8], off offset:640
	s_waitcnt vmcnt(0)
	ds_store_b128 v216, v[1:4]
.LBB121_281:
	s_or_b32 exec_lo, exec_lo, s2
	s_waitcnt lgkmcnt(0)
	s_waitcnt_vscnt null, 0x0
	s_barrier
	buffer_gl0_inv
	s_clause 0x7
	scratch_load_b128 v[2:5], off, off offset:656
	scratch_load_b128 v[6:9], off, off offset:672
	;; [unrolled: 1-line block ×8, first 2 shown]
	v_mov_b32_e32 v1, 0
	s_clause 0x1
	scratch_load_b128 v[38:41], off, off offset:784
	scratch_load_b128 v[175:178], off, off offset:800
	s_mov_b32 s2, exec_lo
	ds_load_b128 v[34:37], v1 offset:1584
	ds_load_b128 v[171:174], v1 offset:1600
	s_waitcnt vmcnt(9) lgkmcnt(1)
	v_mul_f64 v[44:45], v[36:37], v[4:5]
	v_mul_f64 v[4:5], v[34:35], v[4:5]
	s_waitcnt vmcnt(8) lgkmcnt(0)
	v_mul_f64 v[46:47], v[171:172], v[8:9]
	v_mul_f64 v[8:9], v[173:174], v[8:9]
	s_delay_alu instid0(VALU_DEP_4) | instskip(NEXT) | instid1(VALU_DEP_4)
	v_fma_f64 v[44:45], v[34:35], v[2:3], -v[44:45]
	v_fma_f64 v[48:49], v[36:37], v[2:3], v[4:5]
	ds_load_b128 v[2:5], v1 offset:1616
	v_fma_f64 v[46:47], v[173:174], v[6:7], v[46:47]
	v_fma_f64 v[52:53], v[171:172], v[6:7], -v[8:9]
	ds_load_b128 v[6:9], v1 offset:1632
	s_clause 0x1
	scratch_load_b128 v[34:37], off, off offset:816
	scratch_load_b128 v[171:174], off, off offset:832
	s_waitcnt vmcnt(9) lgkmcnt(1)
	v_mul_f64 v[50:51], v[2:3], v[12:13]
	v_mul_f64 v[12:13], v[4:5], v[12:13]
	s_waitcnt vmcnt(8) lgkmcnt(0)
	v_mul_f64 v[54:55], v[6:7], v[16:17]
	v_mul_f64 v[16:17], v[8:9], v[16:17]
	v_add_f64 v[44:45], v[44:45], 0
	v_add_f64 v[48:49], v[48:49], 0
	v_fma_f64 v[50:51], v[4:5], v[10:11], v[50:51]
	v_fma_f64 v[56:57], v[2:3], v[10:11], -v[12:13]
	scratch_load_b128 v[10:13], off, off offset:848
	ds_load_b128 v[2:5], v1 offset:1648
	v_add_f64 v[44:45], v[44:45], v[52:53]
	v_add_f64 v[46:47], v[48:49], v[46:47]
	v_fma_f64 v[52:53], v[8:9], v[14:15], v[54:55]
	v_fma_f64 v[54:55], v[6:7], v[14:15], -v[16:17]
	ds_load_b128 v[6:9], v1 offset:1664
	scratch_load_b128 v[14:17], off, off offset:864
	s_waitcnt vmcnt(9) lgkmcnt(1)
	v_mul_f64 v[48:49], v[2:3], v[20:21]
	v_mul_f64 v[20:21], v[4:5], v[20:21]
	v_add_f64 v[44:45], v[44:45], v[56:57]
	v_add_f64 v[46:47], v[46:47], v[50:51]
	s_waitcnt vmcnt(8) lgkmcnt(0)
	v_mul_f64 v[50:51], v[6:7], v[24:25]
	v_mul_f64 v[24:25], v[8:9], v[24:25]
	v_fma_f64 v[48:49], v[4:5], v[18:19], v[48:49]
	v_fma_f64 v[56:57], v[2:3], v[18:19], -v[20:21]
	scratch_load_b128 v[18:21], off, off offset:880
	ds_load_b128 v[2:5], v1 offset:1680
	v_add_f64 v[44:45], v[44:45], v[54:55]
	v_add_f64 v[46:47], v[46:47], v[52:53]
	v_fma_f64 v[50:51], v[8:9], v[22:23], v[50:51]
	v_fma_f64 v[54:55], v[6:7], v[22:23], -v[24:25]
	ds_load_b128 v[6:9], v1 offset:1696
	s_waitcnt vmcnt(8) lgkmcnt(1)
	v_mul_f64 v[52:53], v[2:3], v[28:29]
	v_mul_f64 v[28:29], v[4:5], v[28:29]
	scratch_load_b128 v[22:25], off, off offset:896
	v_add_f64 v[44:45], v[44:45], v[56:57]
	v_add_f64 v[46:47], v[46:47], v[48:49]
	s_waitcnt vmcnt(8) lgkmcnt(0)
	v_mul_f64 v[48:49], v[6:7], v[32:33]
	v_mul_f64 v[32:33], v[8:9], v[32:33]
	v_fma_f64 v[52:53], v[4:5], v[26:27], v[52:53]
	v_fma_f64 v[56:57], v[2:3], v[26:27], -v[28:29]
	scratch_load_b128 v[26:29], off, off offset:912
	ds_load_b128 v[2:5], v1 offset:1712
	v_add_f64 v[44:45], v[44:45], v[54:55]
	v_add_f64 v[46:47], v[46:47], v[50:51]
	v_fma_f64 v[48:49], v[8:9], v[30:31], v[48:49]
	v_fma_f64 v[30:31], v[6:7], v[30:31], -v[32:33]
	ds_load_b128 v[6:9], v1 offset:1728
	s_waitcnt vmcnt(8) lgkmcnt(1)
	v_mul_f64 v[50:51], v[2:3], v[40:41]
	v_mul_f64 v[40:41], v[4:5], v[40:41]
	v_add_f64 v[32:33], v[44:45], v[56:57]
	v_add_f64 v[44:45], v[46:47], v[52:53]
	s_delay_alu instid0(VALU_DEP_4) | instskip(NEXT) | instid1(VALU_DEP_4)
	v_fma_f64 v[50:51], v[4:5], v[38:39], v[50:51]
	v_fma_f64 v[38:39], v[2:3], v[38:39], -v[40:41]
	ds_load_b128 v[2:5], v1 offset:1744
	v_add_f64 v[30:31], v[32:33], v[30:31]
	v_add_f64 v[32:33], v[44:45], v[48:49]
	s_delay_alu instid0(VALU_DEP_2) | instskip(NEXT) | instid1(VALU_DEP_2)
	v_add_f64 v[38:39], v[30:31], v[38:39]
	v_add_f64 v[48:49], v[32:33], v[50:51]
	scratch_load_b128 v[30:33], off, off offset:640
	s_waitcnt vmcnt(8) lgkmcnt(1)
	v_mul_f64 v[46:47], v[6:7], v[177:178]
	v_mul_f64 v[52:53], v[8:9], v[177:178]
	s_delay_alu instid0(VALU_DEP_2) | instskip(NEXT) | instid1(VALU_DEP_2)
	v_fma_f64 v[44:45], v[8:9], v[175:176], v[46:47]
	v_fma_f64 v[46:47], v[6:7], v[175:176], -v[52:53]
	ds_load_b128 v[6:9], v1 offset:1760
	s_waitcnt vmcnt(7) lgkmcnt(1)
	v_mul_f64 v[40:41], v[2:3], v[36:37]
	v_mul_f64 v[36:37], v[4:5], v[36:37]
	s_waitcnt vmcnt(6) lgkmcnt(0)
	v_mul_f64 v[50:51], v[6:7], v[173:174]
	v_mul_f64 v[52:53], v[8:9], v[173:174]
	s_delay_alu instid0(VALU_DEP_4) | instskip(NEXT) | instid1(VALU_DEP_4)
	v_fma_f64 v[40:41], v[4:5], v[34:35], v[40:41]
	v_fma_f64 v[34:35], v[2:3], v[34:35], -v[36:37]
	v_add_f64 v[36:37], v[38:39], v[46:47]
	v_add_f64 v[38:39], v[48:49], v[44:45]
	ds_load_b128 v[2:5], v1 offset:1776
	v_fma_f64 v[46:47], v[8:9], v[171:172], v[50:51]
	v_fma_f64 v[48:49], v[6:7], v[171:172], -v[52:53]
	ds_load_b128 v[6:9], v1 offset:1792
	s_waitcnt vmcnt(5) lgkmcnt(1)
	v_mul_f64 v[44:45], v[2:3], v[12:13]
	v_mul_f64 v[12:13], v[4:5], v[12:13]
	v_add_f64 v[34:35], v[36:37], v[34:35]
	v_add_f64 v[36:37], v[38:39], v[40:41]
	s_waitcnt vmcnt(4) lgkmcnt(0)
	v_mul_f64 v[38:39], v[6:7], v[16:17]
	v_mul_f64 v[16:17], v[8:9], v[16:17]
	v_fma_f64 v[40:41], v[4:5], v[10:11], v[44:45]
	v_fma_f64 v[10:11], v[2:3], v[10:11], -v[12:13]
	ds_load_b128 v[2:5], v1 offset:1808
	v_add_f64 v[12:13], v[34:35], v[48:49]
	v_add_f64 v[34:35], v[36:37], v[46:47]
	v_fma_f64 v[38:39], v[8:9], v[14:15], v[38:39]
	v_fma_f64 v[14:15], v[6:7], v[14:15], -v[16:17]
	ds_load_b128 v[6:9], v1 offset:1824
	s_waitcnt vmcnt(3) lgkmcnt(1)
	v_mul_f64 v[36:37], v[2:3], v[20:21]
	v_mul_f64 v[20:21], v[4:5], v[20:21]
	s_waitcnt vmcnt(2) lgkmcnt(0)
	v_mul_f64 v[16:17], v[6:7], v[24:25]
	v_mul_f64 v[24:25], v[8:9], v[24:25]
	v_add_f64 v[10:11], v[12:13], v[10:11]
	v_add_f64 v[12:13], v[34:35], v[40:41]
	v_fma_f64 v[34:35], v[4:5], v[18:19], v[36:37]
	v_fma_f64 v[18:19], v[2:3], v[18:19], -v[20:21]
	ds_load_b128 v[2:5], v1 offset:1840
	v_fma_f64 v[8:9], v[8:9], v[22:23], v[16:17]
	v_fma_f64 v[6:7], v[6:7], v[22:23], -v[24:25]
	s_waitcnt vmcnt(1) lgkmcnt(0)
	v_mul_f64 v[20:21], v[4:5], v[28:29]
	v_add_f64 v[10:11], v[10:11], v[14:15]
	v_add_f64 v[12:13], v[12:13], v[38:39]
	v_mul_f64 v[14:15], v[2:3], v[28:29]
	s_delay_alu instid0(VALU_DEP_4) | instskip(NEXT) | instid1(VALU_DEP_4)
	v_fma_f64 v[2:3], v[2:3], v[26:27], -v[20:21]
	v_add_f64 v[10:11], v[10:11], v[18:19]
	s_delay_alu instid0(VALU_DEP_4) | instskip(NEXT) | instid1(VALU_DEP_4)
	v_add_f64 v[12:13], v[12:13], v[34:35]
	v_fma_f64 v[4:5], v[4:5], v[26:27], v[14:15]
	s_delay_alu instid0(VALU_DEP_3) | instskip(NEXT) | instid1(VALU_DEP_3)
	v_add_f64 v[6:7], v[10:11], v[6:7]
	v_add_f64 v[8:9], v[12:13], v[8:9]
	s_delay_alu instid0(VALU_DEP_2) | instskip(NEXT) | instid1(VALU_DEP_2)
	v_add_f64 v[2:3], v[6:7], v[2:3]
	v_add_f64 v[4:5], v[8:9], v[4:5]
	s_waitcnt vmcnt(0)
	s_delay_alu instid0(VALU_DEP_2) | instskip(NEXT) | instid1(VALU_DEP_2)
	v_add_f64 v[2:3], v[30:31], -v[2:3]
	v_add_f64 v[4:5], v[32:33], -v[4:5]
	scratch_store_b128 off, v[2:5], off offset:640
	v_cmpx_lt_u32_e32 39, v158
	s_cbranch_execz .LBB121_283
; %bb.282:
	scratch_load_b128 v[5:8], v221, off
	v_mov_b32_e32 v2, v1
	v_mov_b32_e32 v3, v1
	;; [unrolled: 1-line block ×3, first 2 shown]
	scratch_store_b128 off, v[1:4], off offset:624
	s_waitcnt vmcnt(0)
	ds_store_b128 v216, v[5:8]
.LBB121_283:
	s_or_b32 exec_lo, exec_lo, s2
	s_waitcnt lgkmcnt(0)
	s_waitcnt_vscnt null, 0x0
	s_barrier
	buffer_gl0_inv
	s_clause 0x7
	scratch_load_b128 v[2:5], off, off offset:640
	scratch_load_b128 v[6:9], off, off offset:656
	;; [unrolled: 1-line block ×8, first 2 shown]
	ds_load_b128 v[34:37], v1 offset:1568
	ds_load_b128 v[171:174], v1 offset:1584
	s_clause 0x1
	scratch_load_b128 v[38:41], off, off offset:768
	scratch_load_b128 v[175:178], off, off offset:784
	s_mov_b32 s2, exec_lo
	s_waitcnt vmcnt(9) lgkmcnt(1)
	v_mul_f64 v[44:45], v[36:37], v[4:5]
	v_mul_f64 v[4:5], v[34:35], v[4:5]
	s_waitcnt vmcnt(8) lgkmcnt(0)
	v_mul_f64 v[46:47], v[171:172], v[8:9]
	v_mul_f64 v[8:9], v[173:174], v[8:9]
	s_delay_alu instid0(VALU_DEP_4) | instskip(NEXT) | instid1(VALU_DEP_4)
	v_fma_f64 v[44:45], v[34:35], v[2:3], -v[44:45]
	v_fma_f64 v[48:49], v[36:37], v[2:3], v[4:5]
	scratch_load_b128 v[34:37], off, off offset:800
	ds_load_b128 v[2:5], v1 offset:1600
	v_fma_f64 v[46:47], v[173:174], v[6:7], v[46:47]
	v_fma_f64 v[52:53], v[171:172], v[6:7], -v[8:9]
	ds_load_b128 v[6:9], v1 offset:1616
	scratch_load_b128 v[171:174], off, off offset:816
	s_waitcnt vmcnt(9) lgkmcnt(1)
	v_mul_f64 v[50:51], v[2:3], v[12:13]
	v_mul_f64 v[12:13], v[4:5], v[12:13]
	s_waitcnt vmcnt(8) lgkmcnt(0)
	v_mul_f64 v[54:55], v[6:7], v[16:17]
	v_mul_f64 v[16:17], v[8:9], v[16:17]
	v_add_f64 v[44:45], v[44:45], 0
	v_add_f64 v[48:49], v[48:49], 0
	v_fma_f64 v[50:51], v[4:5], v[10:11], v[50:51]
	v_fma_f64 v[56:57], v[2:3], v[10:11], -v[12:13]
	scratch_load_b128 v[10:13], off, off offset:832
	ds_load_b128 v[2:5], v1 offset:1632
	v_add_f64 v[44:45], v[44:45], v[52:53]
	v_add_f64 v[46:47], v[48:49], v[46:47]
	v_fma_f64 v[52:53], v[8:9], v[14:15], v[54:55]
	v_fma_f64 v[54:55], v[6:7], v[14:15], -v[16:17]
	ds_load_b128 v[6:9], v1 offset:1648
	scratch_load_b128 v[14:17], off, off offset:848
	s_waitcnt vmcnt(9) lgkmcnt(1)
	v_mul_f64 v[48:49], v[2:3], v[20:21]
	v_mul_f64 v[20:21], v[4:5], v[20:21]
	v_add_f64 v[44:45], v[44:45], v[56:57]
	v_add_f64 v[46:47], v[46:47], v[50:51]
	s_waitcnt vmcnt(8) lgkmcnt(0)
	v_mul_f64 v[50:51], v[6:7], v[24:25]
	v_mul_f64 v[24:25], v[8:9], v[24:25]
	v_fma_f64 v[48:49], v[4:5], v[18:19], v[48:49]
	v_fma_f64 v[56:57], v[2:3], v[18:19], -v[20:21]
	scratch_load_b128 v[18:21], off, off offset:864
	ds_load_b128 v[2:5], v1 offset:1664
	v_add_f64 v[44:45], v[44:45], v[54:55]
	v_add_f64 v[46:47], v[46:47], v[52:53]
	v_fma_f64 v[50:51], v[8:9], v[22:23], v[50:51]
	v_fma_f64 v[54:55], v[6:7], v[22:23], -v[24:25]
	ds_load_b128 v[6:9], v1 offset:1680
	s_waitcnt vmcnt(8) lgkmcnt(1)
	v_mul_f64 v[52:53], v[2:3], v[28:29]
	v_mul_f64 v[28:29], v[4:5], v[28:29]
	scratch_load_b128 v[22:25], off, off offset:880
	v_add_f64 v[44:45], v[44:45], v[56:57]
	v_add_f64 v[46:47], v[46:47], v[48:49]
	s_waitcnt vmcnt(8) lgkmcnt(0)
	v_mul_f64 v[48:49], v[6:7], v[32:33]
	v_mul_f64 v[32:33], v[8:9], v[32:33]
	v_fma_f64 v[52:53], v[4:5], v[26:27], v[52:53]
	v_fma_f64 v[56:57], v[2:3], v[26:27], -v[28:29]
	scratch_load_b128 v[26:29], off, off offset:896
	ds_load_b128 v[2:5], v1 offset:1696
	v_add_f64 v[44:45], v[44:45], v[54:55]
	v_add_f64 v[46:47], v[46:47], v[50:51]
	v_fma_f64 v[48:49], v[8:9], v[30:31], v[48:49]
	v_fma_f64 v[54:55], v[6:7], v[30:31], -v[32:33]
	ds_load_b128 v[6:9], v1 offset:1712
	s_waitcnt vmcnt(8) lgkmcnt(1)
	v_mul_f64 v[50:51], v[2:3], v[40:41]
	v_mul_f64 v[40:41], v[4:5], v[40:41]
	scratch_load_b128 v[30:33], off, off offset:912
	v_add_f64 v[44:45], v[44:45], v[56:57]
	v_add_f64 v[46:47], v[46:47], v[52:53]
	v_fma_f64 v[50:51], v[4:5], v[38:39], v[50:51]
	v_fma_f64 v[38:39], v[2:3], v[38:39], -v[40:41]
	ds_load_b128 v[2:5], v1 offset:1728
	v_add_f64 v[40:41], v[44:45], v[54:55]
	v_add_f64 v[44:45], v[46:47], v[48:49]
	s_waitcnt vmcnt(7) lgkmcnt(0)
	v_mul_f64 v[46:47], v[2:3], v[36:37]
	v_mul_f64 v[36:37], v[4:5], v[36:37]
	s_delay_alu instid0(VALU_DEP_4) | instskip(NEXT) | instid1(VALU_DEP_4)
	v_add_f64 v[38:39], v[40:41], v[38:39]
	v_add_f64 v[40:41], v[44:45], v[50:51]
	s_delay_alu instid0(VALU_DEP_4) | instskip(NEXT) | instid1(VALU_DEP_4)
	v_fma_f64 v[46:47], v[4:5], v[34:35], v[46:47]
	v_fma_f64 v[54:55], v[2:3], v[34:35], -v[36:37]
	scratch_load_b128 v[34:37], off, off offset:624
	v_mul_f64 v[52:53], v[6:7], v[177:178]
	v_mul_f64 v[56:57], v[8:9], v[177:178]
	ds_load_b128 v[2:5], v1 offset:1760
	v_fma_f64 v[48:49], v[8:9], v[175:176], v[52:53]
	v_fma_f64 v[52:53], v[6:7], v[175:176], -v[56:57]
	ds_load_b128 v[6:9], v1 offset:1744
	s_waitcnt vmcnt(7) lgkmcnt(0)
	v_mul_f64 v[44:45], v[6:7], v[173:174]
	v_mul_f64 v[50:51], v[8:9], v[173:174]
	v_add_f64 v[40:41], v[40:41], v[48:49]
	v_add_f64 v[38:39], v[38:39], v[52:53]
	s_waitcnt vmcnt(6)
	v_mul_f64 v[48:49], v[2:3], v[12:13]
	v_mul_f64 v[12:13], v[4:5], v[12:13]
	v_fma_f64 v[44:45], v[8:9], v[171:172], v[44:45]
	v_fma_f64 v[50:51], v[6:7], v[171:172], -v[50:51]
	ds_load_b128 v[6:9], v1 offset:1776
	v_add_f64 v[40:41], v[40:41], v[46:47]
	v_add_f64 v[38:39], v[38:39], v[54:55]
	v_fma_f64 v[48:49], v[4:5], v[10:11], v[48:49]
	v_fma_f64 v[10:11], v[2:3], v[10:11], -v[12:13]
	ds_load_b128 v[2:5], v1 offset:1792
	s_waitcnt vmcnt(5) lgkmcnt(1)
	v_mul_f64 v[46:47], v[6:7], v[16:17]
	v_mul_f64 v[16:17], v[8:9], v[16:17]
	v_add_f64 v[12:13], v[38:39], v[50:51]
	v_add_f64 v[38:39], v[40:41], v[44:45]
	s_waitcnt vmcnt(4) lgkmcnt(0)
	v_mul_f64 v[40:41], v[2:3], v[20:21]
	v_mul_f64 v[20:21], v[4:5], v[20:21]
	v_fma_f64 v[44:45], v[8:9], v[14:15], v[46:47]
	v_fma_f64 v[14:15], v[6:7], v[14:15], -v[16:17]
	ds_load_b128 v[6:9], v1 offset:1808
	v_add_f64 v[10:11], v[12:13], v[10:11]
	v_add_f64 v[12:13], v[38:39], v[48:49]
	v_fma_f64 v[38:39], v[4:5], v[18:19], v[40:41]
	v_fma_f64 v[18:19], v[2:3], v[18:19], -v[20:21]
	ds_load_b128 v[2:5], v1 offset:1824
	s_waitcnt vmcnt(3) lgkmcnt(1)
	v_mul_f64 v[16:17], v[6:7], v[24:25]
	v_mul_f64 v[24:25], v[8:9], v[24:25]
	s_waitcnt vmcnt(2) lgkmcnt(0)
	v_mul_f64 v[20:21], v[4:5], v[28:29]
	v_add_f64 v[10:11], v[10:11], v[14:15]
	v_add_f64 v[12:13], v[12:13], v[44:45]
	v_mul_f64 v[14:15], v[2:3], v[28:29]
	v_fma_f64 v[16:17], v[8:9], v[22:23], v[16:17]
	v_fma_f64 v[22:23], v[6:7], v[22:23], -v[24:25]
	ds_load_b128 v[6:9], v1 offset:1840
	v_fma_f64 v[1:2], v[2:3], v[26:27], -v[20:21]
	s_waitcnt vmcnt(1) lgkmcnt(0)
	v_mul_f64 v[24:25], v[8:9], v[32:33]
	v_add_f64 v[10:11], v[10:11], v[18:19]
	v_add_f64 v[12:13], v[12:13], v[38:39]
	v_mul_f64 v[18:19], v[6:7], v[32:33]
	v_fma_f64 v[4:5], v[4:5], v[26:27], v[14:15]
	v_fma_f64 v[6:7], v[6:7], v[30:31], -v[24:25]
	v_add_f64 v[10:11], v[10:11], v[22:23]
	v_add_f64 v[12:13], v[12:13], v[16:17]
	v_fma_f64 v[8:9], v[8:9], v[30:31], v[18:19]
	s_delay_alu instid0(VALU_DEP_3) | instskip(NEXT) | instid1(VALU_DEP_3)
	v_add_f64 v[1:2], v[10:11], v[1:2]
	v_add_f64 v[3:4], v[12:13], v[4:5]
	s_delay_alu instid0(VALU_DEP_2) | instskip(NEXT) | instid1(VALU_DEP_2)
	v_add_f64 v[1:2], v[1:2], v[6:7]
	v_add_f64 v[3:4], v[3:4], v[8:9]
	s_waitcnt vmcnt(0)
	s_delay_alu instid0(VALU_DEP_2) | instskip(NEXT) | instid1(VALU_DEP_2)
	v_add_f64 v[1:2], v[34:35], -v[1:2]
	v_add_f64 v[3:4], v[36:37], -v[3:4]
	scratch_store_b128 off, v[1:4], off offset:624
	v_cmpx_lt_u32_e32 38, v158
	s_cbranch_execz .LBB121_285
; %bb.284:
	scratch_load_b32 v1, off, off offset:928 ; 4-byte Folded Reload
	v_mov_b32_e32 v5, 0
	s_delay_alu instid0(VALU_DEP_1)
	v_mov_b32_e32 v6, v5
	v_mov_b32_e32 v7, v5
	;; [unrolled: 1-line block ×3, first 2 shown]
	s_waitcnt vmcnt(0)
	scratch_load_b128 v[1:4], v1, off
	scratch_store_b128 off, v[5:8], off offset:608
	s_waitcnt vmcnt(0)
	ds_store_b128 v216, v[1:4]
.LBB121_285:
	s_or_b32 exec_lo, exec_lo, s2
	s_waitcnt lgkmcnt(0)
	s_waitcnt_vscnt null, 0x0
	s_barrier
	buffer_gl0_inv
	s_clause 0x7
	scratch_load_b128 v[2:5], off, off offset:624
	scratch_load_b128 v[6:9], off, off offset:640
	;; [unrolled: 1-line block ×8, first 2 shown]
	v_mov_b32_e32 v1, 0
	s_clause 0x1
	scratch_load_b128 v[38:41], off, off offset:752
	scratch_load_b128 v[175:178], off, off offset:768
	s_mov_b32 s2, exec_lo
	ds_load_b128 v[34:37], v1 offset:1552
	ds_load_b128 v[171:174], v1 offset:1568
	s_waitcnt vmcnt(9) lgkmcnt(1)
	v_mul_f64 v[44:45], v[36:37], v[4:5]
	v_mul_f64 v[4:5], v[34:35], v[4:5]
	s_waitcnt vmcnt(8) lgkmcnt(0)
	v_mul_f64 v[46:47], v[171:172], v[8:9]
	v_mul_f64 v[8:9], v[173:174], v[8:9]
	s_delay_alu instid0(VALU_DEP_4) | instskip(NEXT) | instid1(VALU_DEP_4)
	v_fma_f64 v[44:45], v[34:35], v[2:3], -v[44:45]
	v_fma_f64 v[48:49], v[36:37], v[2:3], v[4:5]
	ds_load_b128 v[2:5], v1 offset:1584
	scratch_load_b128 v[34:37], off, off offset:784
	v_fma_f64 v[46:47], v[173:174], v[6:7], v[46:47]
	v_fma_f64 v[52:53], v[171:172], v[6:7], -v[8:9]
	ds_load_b128 v[6:9], v1 offset:1600
	scratch_load_b128 v[171:174], off, off offset:800
	s_waitcnt vmcnt(9) lgkmcnt(1)
	v_mul_f64 v[50:51], v[2:3], v[12:13]
	v_mul_f64 v[12:13], v[4:5], v[12:13]
	s_waitcnt vmcnt(8) lgkmcnt(0)
	v_mul_f64 v[54:55], v[6:7], v[16:17]
	v_mul_f64 v[16:17], v[8:9], v[16:17]
	v_add_f64 v[44:45], v[44:45], 0
	v_add_f64 v[48:49], v[48:49], 0
	v_fma_f64 v[50:51], v[4:5], v[10:11], v[50:51]
	v_fma_f64 v[56:57], v[2:3], v[10:11], -v[12:13]
	ds_load_b128 v[2:5], v1 offset:1616
	scratch_load_b128 v[10:13], off, off offset:816
	v_add_f64 v[44:45], v[44:45], v[52:53]
	v_add_f64 v[46:47], v[48:49], v[46:47]
	v_fma_f64 v[52:53], v[8:9], v[14:15], v[54:55]
	v_fma_f64 v[54:55], v[6:7], v[14:15], -v[16:17]
	ds_load_b128 v[6:9], v1 offset:1632
	scratch_load_b128 v[14:17], off, off offset:832
	s_waitcnt vmcnt(9) lgkmcnt(1)
	v_mul_f64 v[48:49], v[2:3], v[20:21]
	v_mul_f64 v[20:21], v[4:5], v[20:21]
	v_add_f64 v[44:45], v[44:45], v[56:57]
	v_add_f64 v[46:47], v[46:47], v[50:51]
	s_waitcnt vmcnt(8) lgkmcnt(0)
	v_mul_f64 v[50:51], v[6:7], v[24:25]
	v_mul_f64 v[24:25], v[8:9], v[24:25]
	v_fma_f64 v[48:49], v[4:5], v[18:19], v[48:49]
	v_fma_f64 v[56:57], v[2:3], v[18:19], -v[20:21]
	scratch_load_b128 v[18:21], off, off offset:848
	ds_load_b128 v[2:5], v1 offset:1648
	v_add_f64 v[44:45], v[44:45], v[54:55]
	v_add_f64 v[46:47], v[46:47], v[52:53]
	v_fma_f64 v[50:51], v[8:9], v[22:23], v[50:51]
	v_fma_f64 v[54:55], v[6:7], v[22:23], -v[24:25]
	ds_load_b128 v[6:9], v1 offset:1664
	s_waitcnt vmcnt(8) lgkmcnt(1)
	v_mul_f64 v[52:53], v[2:3], v[28:29]
	v_mul_f64 v[28:29], v[4:5], v[28:29]
	scratch_load_b128 v[22:25], off, off offset:864
	v_add_f64 v[44:45], v[44:45], v[56:57]
	v_add_f64 v[46:47], v[46:47], v[48:49]
	s_waitcnt vmcnt(8) lgkmcnt(0)
	v_mul_f64 v[48:49], v[6:7], v[32:33]
	v_mul_f64 v[32:33], v[8:9], v[32:33]
	v_fma_f64 v[52:53], v[4:5], v[26:27], v[52:53]
	v_fma_f64 v[56:57], v[2:3], v[26:27], -v[28:29]
	scratch_load_b128 v[26:29], off, off offset:880
	ds_load_b128 v[2:5], v1 offset:1680
	v_add_f64 v[44:45], v[44:45], v[54:55]
	v_add_f64 v[46:47], v[46:47], v[50:51]
	v_fma_f64 v[48:49], v[8:9], v[30:31], v[48:49]
	v_fma_f64 v[54:55], v[6:7], v[30:31], -v[32:33]
	ds_load_b128 v[6:9], v1 offset:1696
	s_waitcnt vmcnt(8) lgkmcnt(1)
	v_mul_f64 v[50:51], v[2:3], v[40:41]
	v_mul_f64 v[40:41], v[4:5], v[40:41]
	scratch_load_b128 v[30:33], off, off offset:896
	v_add_f64 v[44:45], v[44:45], v[56:57]
	v_add_f64 v[46:47], v[46:47], v[52:53]
	s_waitcnt vmcnt(8) lgkmcnt(0)
	v_mul_f64 v[52:53], v[6:7], v[177:178]
	v_mul_f64 v[56:57], v[8:9], v[177:178]
	v_fma_f64 v[50:51], v[4:5], v[38:39], v[50:51]
	v_fma_f64 v[58:59], v[2:3], v[38:39], -v[40:41]
	scratch_load_b128 v[38:41], off, off offset:912
	ds_load_b128 v[2:5], v1 offset:1712
	v_add_f64 v[44:45], v[44:45], v[54:55]
	v_add_f64 v[46:47], v[46:47], v[48:49]
	v_fma_f64 v[52:53], v[8:9], v[175:176], v[52:53]
	v_fma_f64 v[54:55], v[6:7], v[175:176], -v[56:57]
	ds_load_b128 v[6:9], v1 offset:1728
	s_waitcnt vmcnt(8) lgkmcnt(1)
	v_mul_f64 v[48:49], v[2:3], v[36:37]
	v_mul_f64 v[36:37], v[4:5], v[36:37]
	v_add_f64 v[44:45], v[44:45], v[58:59]
	v_add_f64 v[46:47], v[46:47], v[50:51]
	s_delay_alu instid0(VALU_DEP_4) | instskip(NEXT) | instid1(VALU_DEP_4)
	v_fma_f64 v[48:49], v[4:5], v[34:35], v[48:49]
	v_fma_f64 v[34:35], v[2:3], v[34:35], -v[36:37]
	ds_load_b128 v[2:5], v1 offset:1744
	v_add_f64 v[36:37], v[44:45], v[54:55]
	v_add_f64 v[44:45], v[46:47], v[52:53]
	s_delay_alu instid0(VALU_DEP_2)
	v_add_f64 v[54:55], v[36:37], v[34:35]
	scratch_load_b128 v[34:37], off, off offset:608
	s_waitcnt vmcnt(8) lgkmcnt(1)
	v_mul_f64 v[50:51], v[6:7], v[173:174]
	v_mul_f64 v[56:57], v[8:9], v[173:174]
	v_add_f64 v[44:45], v[44:45], v[48:49]
	s_delay_alu instid0(VALU_DEP_3) | instskip(NEXT) | instid1(VALU_DEP_3)
	v_fma_f64 v[50:51], v[8:9], v[171:172], v[50:51]
	v_fma_f64 v[52:53], v[6:7], v[171:172], -v[56:57]
	ds_load_b128 v[6:9], v1 offset:1760
	s_waitcnt vmcnt(7) lgkmcnt(1)
	v_mul_f64 v[46:47], v[2:3], v[12:13]
	v_mul_f64 v[12:13], v[4:5], v[12:13]
	s_waitcnt vmcnt(6) lgkmcnt(0)
	v_mul_f64 v[48:49], v[6:7], v[16:17]
	v_mul_f64 v[16:17], v[8:9], v[16:17]
	v_add_f64 v[44:45], v[44:45], v[50:51]
	v_fma_f64 v[46:47], v[4:5], v[10:11], v[46:47]
	v_fma_f64 v[10:11], v[2:3], v[10:11], -v[12:13]
	v_add_f64 v[12:13], v[54:55], v[52:53]
	ds_load_b128 v[2:5], v1 offset:1776
	v_fma_f64 v[48:49], v[8:9], v[14:15], v[48:49]
	v_fma_f64 v[14:15], v[6:7], v[14:15], -v[16:17]
	ds_load_b128 v[6:9], v1 offset:1792
	s_waitcnt vmcnt(5) lgkmcnt(1)
	v_mul_f64 v[50:51], v[2:3], v[20:21]
	v_mul_f64 v[20:21], v[4:5], v[20:21]
	v_add_f64 v[10:11], v[12:13], v[10:11]
	v_add_f64 v[12:13], v[44:45], v[46:47]
	s_waitcnt vmcnt(4) lgkmcnt(0)
	v_mul_f64 v[16:17], v[6:7], v[24:25]
	v_mul_f64 v[24:25], v[8:9], v[24:25]
	v_fma_f64 v[44:45], v[4:5], v[18:19], v[50:51]
	v_fma_f64 v[18:19], v[2:3], v[18:19], -v[20:21]
	ds_load_b128 v[2:5], v1 offset:1808
	v_add_f64 v[10:11], v[10:11], v[14:15]
	v_add_f64 v[12:13], v[12:13], v[48:49]
	v_fma_f64 v[16:17], v[8:9], v[22:23], v[16:17]
	v_fma_f64 v[22:23], v[6:7], v[22:23], -v[24:25]
	ds_load_b128 v[6:9], v1 offset:1824
	s_waitcnt vmcnt(3) lgkmcnt(1)
	v_mul_f64 v[14:15], v[2:3], v[28:29]
	v_mul_f64 v[20:21], v[4:5], v[28:29]
	s_waitcnt vmcnt(2) lgkmcnt(0)
	v_mul_f64 v[24:25], v[8:9], v[32:33]
	v_add_f64 v[10:11], v[10:11], v[18:19]
	v_add_f64 v[12:13], v[12:13], v[44:45]
	v_mul_f64 v[18:19], v[6:7], v[32:33]
	v_fma_f64 v[14:15], v[4:5], v[26:27], v[14:15]
	v_fma_f64 v[20:21], v[2:3], v[26:27], -v[20:21]
	ds_load_b128 v[2:5], v1 offset:1840
	v_fma_f64 v[6:7], v[6:7], v[30:31], -v[24:25]
	v_add_f64 v[10:11], v[10:11], v[22:23]
	v_add_f64 v[12:13], v[12:13], v[16:17]
	s_waitcnt vmcnt(1) lgkmcnt(0)
	v_mul_f64 v[16:17], v[2:3], v[40:41]
	v_mul_f64 v[22:23], v[4:5], v[40:41]
	v_fma_f64 v[8:9], v[8:9], v[30:31], v[18:19]
	v_add_f64 v[10:11], v[10:11], v[20:21]
	v_add_f64 v[12:13], v[12:13], v[14:15]
	v_fma_f64 v[4:5], v[4:5], v[38:39], v[16:17]
	v_fma_f64 v[2:3], v[2:3], v[38:39], -v[22:23]
	s_delay_alu instid0(VALU_DEP_4) | instskip(NEXT) | instid1(VALU_DEP_4)
	v_add_f64 v[6:7], v[10:11], v[6:7]
	v_add_f64 v[8:9], v[12:13], v[8:9]
	s_delay_alu instid0(VALU_DEP_2) | instskip(NEXT) | instid1(VALU_DEP_2)
	v_add_f64 v[2:3], v[6:7], v[2:3]
	v_add_f64 v[4:5], v[8:9], v[4:5]
	s_waitcnt vmcnt(0)
	s_delay_alu instid0(VALU_DEP_2) | instskip(NEXT) | instid1(VALU_DEP_2)
	v_add_f64 v[2:3], v[34:35], -v[2:3]
	v_add_f64 v[4:5], v[36:37], -v[4:5]
	scratch_store_b128 off, v[2:5], off offset:608
	v_cmpx_lt_u32_e32 37, v158
	s_cbranch_execz .LBB121_287
; %bb.286:
	scratch_load_b32 v2, off, off offset:932 ; 4-byte Folded Reload
	v_mov_b32_e32 v3, v1
	v_mov_b32_e32 v4, v1
	s_waitcnt vmcnt(0)
	scratch_load_b128 v[5:8], v2, off
	v_mov_b32_e32 v2, v1
	scratch_store_b128 off, v[1:4], off offset:592
	s_waitcnt vmcnt(0)
	ds_store_b128 v216, v[5:8]
.LBB121_287:
	s_or_b32 exec_lo, exec_lo, s2
	s_waitcnt lgkmcnt(0)
	s_waitcnt_vscnt null, 0x0
	s_barrier
	buffer_gl0_inv
	s_clause 0x7
	scratch_load_b128 v[2:5], off, off offset:608
	scratch_load_b128 v[6:9], off, off offset:624
	;; [unrolled: 1-line block ×8, first 2 shown]
	ds_load_b128 v[34:37], v1 offset:1536
	ds_load_b128 v[171:174], v1 offset:1552
	s_clause 0x1
	scratch_load_b128 v[38:41], off, off offset:736
	scratch_load_b128 v[175:178], off, off offset:752
	s_mov_b32 s2, exec_lo
	s_waitcnt vmcnt(9) lgkmcnt(1)
	v_mul_f64 v[44:45], v[36:37], v[4:5]
	v_mul_f64 v[4:5], v[34:35], v[4:5]
	s_waitcnt vmcnt(8) lgkmcnt(0)
	v_mul_f64 v[46:47], v[171:172], v[8:9]
	v_mul_f64 v[8:9], v[173:174], v[8:9]
	s_delay_alu instid0(VALU_DEP_4) | instskip(NEXT) | instid1(VALU_DEP_4)
	v_fma_f64 v[44:45], v[34:35], v[2:3], -v[44:45]
	v_fma_f64 v[48:49], v[36:37], v[2:3], v[4:5]
	ds_load_b128 v[2:5], v1 offset:1568
	scratch_load_b128 v[34:37], off, off offset:768
	v_fma_f64 v[46:47], v[173:174], v[6:7], v[46:47]
	v_fma_f64 v[52:53], v[171:172], v[6:7], -v[8:9]
	ds_load_b128 v[6:9], v1 offset:1584
	scratch_load_b128 v[171:174], off, off offset:784
	s_waitcnt vmcnt(9) lgkmcnt(1)
	v_mul_f64 v[50:51], v[2:3], v[12:13]
	v_mul_f64 v[12:13], v[4:5], v[12:13]
	s_waitcnt vmcnt(8) lgkmcnt(0)
	v_mul_f64 v[54:55], v[6:7], v[16:17]
	v_mul_f64 v[16:17], v[8:9], v[16:17]
	v_add_f64 v[44:45], v[44:45], 0
	v_add_f64 v[48:49], v[48:49], 0
	v_fma_f64 v[50:51], v[4:5], v[10:11], v[50:51]
	v_fma_f64 v[56:57], v[2:3], v[10:11], -v[12:13]
	scratch_load_b128 v[10:13], off, off offset:800
	ds_load_b128 v[2:5], v1 offset:1600
	v_add_f64 v[44:45], v[44:45], v[52:53]
	v_add_f64 v[46:47], v[48:49], v[46:47]
	v_fma_f64 v[52:53], v[8:9], v[14:15], v[54:55]
	v_fma_f64 v[54:55], v[6:7], v[14:15], -v[16:17]
	ds_load_b128 v[6:9], v1 offset:1616
	scratch_load_b128 v[14:17], off, off offset:816
	s_waitcnt vmcnt(9) lgkmcnt(1)
	v_mul_f64 v[48:49], v[2:3], v[20:21]
	v_mul_f64 v[20:21], v[4:5], v[20:21]
	v_add_f64 v[44:45], v[44:45], v[56:57]
	v_add_f64 v[46:47], v[46:47], v[50:51]
	s_waitcnt vmcnt(8) lgkmcnt(0)
	v_mul_f64 v[50:51], v[6:7], v[24:25]
	v_mul_f64 v[24:25], v[8:9], v[24:25]
	v_fma_f64 v[48:49], v[4:5], v[18:19], v[48:49]
	v_fma_f64 v[56:57], v[2:3], v[18:19], -v[20:21]
	scratch_load_b128 v[18:21], off, off offset:832
	ds_load_b128 v[2:5], v1 offset:1632
	v_add_f64 v[44:45], v[44:45], v[54:55]
	v_add_f64 v[46:47], v[46:47], v[52:53]
	v_fma_f64 v[50:51], v[8:9], v[22:23], v[50:51]
	v_fma_f64 v[54:55], v[6:7], v[22:23], -v[24:25]
	ds_load_b128 v[6:9], v1 offset:1648
	s_waitcnt vmcnt(8) lgkmcnt(1)
	v_mul_f64 v[52:53], v[2:3], v[28:29]
	v_mul_f64 v[28:29], v[4:5], v[28:29]
	scratch_load_b128 v[22:25], off, off offset:848
	v_add_f64 v[44:45], v[44:45], v[56:57]
	v_add_f64 v[46:47], v[46:47], v[48:49]
	s_waitcnt vmcnt(8) lgkmcnt(0)
	v_mul_f64 v[48:49], v[6:7], v[32:33]
	v_mul_f64 v[32:33], v[8:9], v[32:33]
	v_fma_f64 v[52:53], v[4:5], v[26:27], v[52:53]
	v_fma_f64 v[56:57], v[2:3], v[26:27], -v[28:29]
	scratch_load_b128 v[26:29], off, off offset:864
	ds_load_b128 v[2:5], v1 offset:1664
	v_add_f64 v[44:45], v[44:45], v[54:55]
	v_add_f64 v[46:47], v[46:47], v[50:51]
	v_fma_f64 v[48:49], v[8:9], v[30:31], v[48:49]
	v_fma_f64 v[54:55], v[6:7], v[30:31], -v[32:33]
	ds_load_b128 v[6:9], v1 offset:1680
	s_waitcnt vmcnt(8) lgkmcnt(1)
	v_mul_f64 v[50:51], v[2:3], v[40:41]
	v_mul_f64 v[40:41], v[4:5], v[40:41]
	scratch_load_b128 v[30:33], off, off offset:880
	v_add_f64 v[44:45], v[44:45], v[56:57]
	v_add_f64 v[46:47], v[46:47], v[52:53]
	s_waitcnt vmcnt(8) lgkmcnt(0)
	v_mul_f64 v[52:53], v[6:7], v[177:178]
	v_mul_f64 v[56:57], v[8:9], v[177:178]
	v_fma_f64 v[50:51], v[4:5], v[38:39], v[50:51]
	v_fma_f64 v[58:59], v[2:3], v[38:39], -v[40:41]
	scratch_load_b128 v[38:41], off, off offset:896
	ds_load_b128 v[2:5], v1 offset:1696
	v_add_f64 v[44:45], v[44:45], v[54:55]
	v_add_f64 v[46:47], v[46:47], v[48:49]
	v_fma_f64 v[52:53], v[8:9], v[175:176], v[52:53]
	v_fma_f64 v[54:55], v[6:7], v[175:176], -v[56:57]
	ds_load_b128 v[6:9], v1 offset:1712
	scratch_load_b128 v[175:178], off, off offset:912
	s_waitcnt vmcnt(9) lgkmcnt(1)
	v_mul_f64 v[48:49], v[2:3], v[36:37]
	v_mul_f64 v[36:37], v[4:5], v[36:37]
	v_add_f64 v[44:45], v[44:45], v[58:59]
	v_add_f64 v[46:47], v[46:47], v[50:51]
	s_delay_alu instid0(VALU_DEP_4) | instskip(NEXT) | instid1(VALU_DEP_4)
	v_fma_f64 v[48:49], v[4:5], v[34:35], v[48:49]
	v_fma_f64 v[34:35], v[2:3], v[34:35], -v[36:37]
	ds_load_b128 v[2:5], v1 offset:1728
	v_add_f64 v[36:37], v[44:45], v[54:55]
	v_add_f64 v[44:45], v[46:47], v[52:53]
	s_waitcnt vmcnt(7) lgkmcnt(0)
	v_mul_f64 v[46:47], v[2:3], v[12:13]
	v_mul_f64 v[12:13], v[4:5], v[12:13]
	s_delay_alu instid0(VALU_DEP_4) | instskip(NEXT) | instid1(VALU_DEP_4)
	v_add_f64 v[34:35], v[36:37], v[34:35]
	v_add_f64 v[36:37], v[44:45], v[48:49]
	s_delay_alu instid0(VALU_DEP_4) | instskip(NEXT) | instid1(VALU_DEP_4)
	v_fma_f64 v[46:47], v[4:5], v[10:11], v[46:47]
	v_fma_f64 v[48:49], v[2:3], v[10:11], -v[12:13]
	scratch_load_b128 v[10:13], off, off offset:592
	v_mul_f64 v[50:51], v[6:7], v[173:174]
	v_mul_f64 v[56:57], v[8:9], v[173:174]
	ds_load_b128 v[2:5], v1 offset:1760
	v_fma_f64 v[50:51], v[8:9], v[171:172], v[50:51]
	v_fma_f64 v[52:53], v[6:7], v[171:172], -v[56:57]
	ds_load_b128 v[6:9], v1 offset:1744
	s_waitcnt vmcnt(7) lgkmcnt(0)
	v_mul_f64 v[44:45], v[6:7], v[16:17]
	v_mul_f64 v[16:17], v[8:9], v[16:17]
	v_add_f64 v[36:37], v[36:37], v[50:51]
	v_add_f64 v[34:35], v[34:35], v[52:53]
	s_waitcnt vmcnt(6)
	v_mul_f64 v[50:51], v[2:3], v[20:21]
	v_mul_f64 v[20:21], v[4:5], v[20:21]
	v_fma_f64 v[44:45], v[8:9], v[14:15], v[44:45]
	v_fma_f64 v[14:15], v[6:7], v[14:15], -v[16:17]
	ds_load_b128 v[6:9], v1 offset:1776
	v_add_f64 v[16:17], v[34:35], v[48:49]
	v_add_f64 v[34:35], v[36:37], v[46:47]
	v_fma_f64 v[46:47], v[4:5], v[18:19], v[50:51]
	v_fma_f64 v[18:19], v[2:3], v[18:19], -v[20:21]
	ds_load_b128 v[2:5], v1 offset:1792
	s_waitcnt vmcnt(5) lgkmcnt(1)
	v_mul_f64 v[36:37], v[6:7], v[24:25]
	v_mul_f64 v[24:25], v[8:9], v[24:25]
	s_waitcnt vmcnt(4) lgkmcnt(0)
	v_mul_f64 v[20:21], v[2:3], v[28:29]
	v_mul_f64 v[28:29], v[4:5], v[28:29]
	v_add_f64 v[14:15], v[16:17], v[14:15]
	v_add_f64 v[16:17], v[34:35], v[44:45]
	v_fma_f64 v[34:35], v[8:9], v[22:23], v[36:37]
	v_fma_f64 v[22:23], v[6:7], v[22:23], -v[24:25]
	ds_load_b128 v[6:9], v1 offset:1808
	v_fma_f64 v[20:21], v[4:5], v[26:27], v[20:21]
	v_fma_f64 v[26:27], v[2:3], v[26:27], -v[28:29]
	ds_load_b128 v[2:5], v1 offset:1824
	s_waitcnt vmcnt(3) lgkmcnt(1)
	v_mul_f64 v[24:25], v[8:9], v[32:33]
	v_add_f64 v[14:15], v[14:15], v[18:19]
	v_add_f64 v[16:17], v[16:17], v[46:47]
	v_mul_f64 v[18:19], v[6:7], v[32:33]
	s_waitcnt vmcnt(2) lgkmcnt(0)
	v_mul_f64 v[28:29], v[4:5], v[40:41]
	v_fma_f64 v[24:25], v[6:7], v[30:31], -v[24:25]
	v_add_f64 v[14:15], v[14:15], v[22:23]
	v_add_f64 v[16:17], v[16:17], v[34:35]
	v_mul_f64 v[22:23], v[2:3], v[40:41]
	v_fma_f64 v[18:19], v[8:9], v[30:31], v[18:19]
	ds_load_b128 v[6:9], v1 offset:1840
	v_fma_f64 v[1:2], v[2:3], v[38:39], -v[28:29]
	v_add_f64 v[14:15], v[14:15], v[26:27]
	v_add_f64 v[16:17], v[16:17], v[20:21]
	s_waitcnt vmcnt(1) lgkmcnt(0)
	v_mul_f64 v[20:21], v[6:7], v[177:178]
	v_mul_f64 v[26:27], v[8:9], v[177:178]
	v_fma_f64 v[4:5], v[4:5], v[38:39], v[22:23]
	v_add_f64 v[14:15], v[14:15], v[24:25]
	v_add_f64 v[16:17], v[16:17], v[18:19]
	v_fma_f64 v[8:9], v[8:9], v[175:176], v[20:21]
	v_fma_f64 v[6:7], v[6:7], v[175:176], -v[26:27]
	s_delay_alu instid0(VALU_DEP_4) | instskip(NEXT) | instid1(VALU_DEP_4)
	v_add_f64 v[1:2], v[14:15], v[1:2]
	v_add_f64 v[3:4], v[16:17], v[4:5]
	s_delay_alu instid0(VALU_DEP_2) | instskip(NEXT) | instid1(VALU_DEP_2)
	v_add_f64 v[1:2], v[1:2], v[6:7]
	v_add_f64 v[3:4], v[3:4], v[8:9]
	s_waitcnt vmcnt(0)
	s_delay_alu instid0(VALU_DEP_2) | instskip(NEXT) | instid1(VALU_DEP_2)
	v_add_f64 v[1:2], v[10:11], -v[1:2]
	v_add_f64 v[3:4], v[12:13], -v[3:4]
	scratch_store_b128 off, v[1:4], off offset:592
	v_cmpx_lt_u32_e32 36, v158
	s_cbranch_execz .LBB121_289
; %bb.288:
	scratch_load_b32 v1, off, off offset:936 ; 4-byte Folded Reload
	v_mov_b32_e32 v5, 0
	s_delay_alu instid0(VALU_DEP_1)
	v_mov_b32_e32 v6, v5
	v_mov_b32_e32 v7, v5
	;; [unrolled: 1-line block ×3, first 2 shown]
	s_waitcnt vmcnt(0)
	scratch_load_b128 v[1:4], v1, off
	scratch_store_b128 off, v[5:8], off offset:576
	s_waitcnt vmcnt(0)
	ds_store_b128 v216, v[1:4]
.LBB121_289:
	s_or_b32 exec_lo, exec_lo, s2
	s_waitcnt lgkmcnt(0)
	s_waitcnt_vscnt null, 0x0
	s_barrier
	buffer_gl0_inv
	s_clause 0x7
	scratch_load_b128 v[2:5], off, off offset:592
	scratch_load_b128 v[6:9], off, off offset:608
	;; [unrolled: 1-line block ×8, first 2 shown]
	v_mov_b32_e32 v1, 0
	s_clause 0x1
	scratch_load_b128 v[38:41], off, off offset:720
	scratch_load_b128 v[175:178], off, off offset:736
	s_mov_b32 s2, exec_lo
	ds_load_b128 v[34:37], v1 offset:1520
	ds_load_b128 v[171:174], v1 offset:1536
	s_waitcnt vmcnt(9) lgkmcnt(1)
	v_mul_f64 v[44:45], v[36:37], v[4:5]
	v_mul_f64 v[4:5], v[34:35], v[4:5]
	s_waitcnt vmcnt(8) lgkmcnt(0)
	v_mul_f64 v[46:47], v[171:172], v[8:9]
	v_mul_f64 v[8:9], v[173:174], v[8:9]
	s_delay_alu instid0(VALU_DEP_4) | instskip(NEXT) | instid1(VALU_DEP_4)
	v_fma_f64 v[44:45], v[34:35], v[2:3], -v[44:45]
	v_fma_f64 v[48:49], v[36:37], v[2:3], v[4:5]
	ds_load_b128 v[2:5], v1 offset:1552
	scratch_load_b128 v[34:37], off, off offset:752
	v_fma_f64 v[46:47], v[173:174], v[6:7], v[46:47]
	v_fma_f64 v[52:53], v[171:172], v[6:7], -v[8:9]
	scratch_load_b128 v[171:174], off, off offset:768
	ds_load_b128 v[6:9], v1 offset:1568
	s_waitcnt vmcnt(9) lgkmcnt(1)
	v_mul_f64 v[50:51], v[2:3], v[12:13]
	v_mul_f64 v[12:13], v[4:5], v[12:13]
	s_waitcnt vmcnt(8) lgkmcnt(0)
	v_mul_f64 v[54:55], v[6:7], v[16:17]
	v_mul_f64 v[16:17], v[8:9], v[16:17]
	v_add_f64 v[44:45], v[44:45], 0
	v_add_f64 v[48:49], v[48:49], 0
	v_fma_f64 v[50:51], v[4:5], v[10:11], v[50:51]
	v_fma_f64 v[56:57], v[2:3], v[10:11], -v[12:13]
	ds_load_b128 v[2:5], v1 offset:1584
	scratch_load_b128 v[10:13], off, off offset:784
	v_add_f64 v[44:45], v[44:45], v[52:53]
	v_add_f64 v[46:47], v[48:49], v[46:47]
	v_fma_f64 v[52:53], v[8:9], v[14:15], v[54:55]
	v_fma_f64 v[54:55], v[6:7], v[14:15], -v[16:17]
	scratch_load_b128 v[14:17], off, off offset:800
	ds_load_b128 v[6:9], v1 offset:1600
	s_waitcnt vmcnt(9) lgkmcnt(1)
	v_mul_f64 v[48:49], v[2:3], v[20:21]
	v_mul_f64 v[20:21], v[4:5], v[20:21]
	v_add_f64 v[44:45], v[44:45], v[56:57]
	v_add_f64 v[46:47], v[46:47], v[50:51]
	s_waitcnt vmcnt(8) lgkmcnt(0)
	v_mul_f64 v[50:51], v[6:7], v[24:25]
	v_mul_f64 v[24:25], v[8:9], v[24:25]
	v_fma_f64 v[48:49], v[4:5], v[18:19], v[48:49]
	v_fma_f64 v[56:57], v[2:3], v[18:19], -v[20:21]
	ds_load_b128 v[2:5], v1 offset:1616
	scratch_load_b128 v[18:21], off, off offset:816
	v_add_f64 v[44:45], v[44:45], v[54:55]
	v_add_f64 v[46:47], v[46:47], v[52:53]
	v_fma_f64 v[50:51], v[8:9], v[22:23], v[50:51]
	v_fma_f64 v[54:55], v[6:7], v[22:23], -v[24:25]
	ds_load_b128 v[6:9], v1 offset:1632
	s_waitcnt vmcnt(8) lgkmcnt(1)
	v_mul_f64 v[52:53], v[2:3], v[28:29]
	v_mul_f64 v[28:29], v[4:5], v[28:29]
	scratch_load_b128 v[22:25], off, off offset:832
	v_add_f64 v[44:45], v[44:45], v[56:57]
	v_add_f64 v[46:47], v[46:47], v[48:49]
	s_waitcnt vmcnt(8) lgkmcnt(0)
	v_mul_f64 v[48:49], v[6:7], v[32:33]
	v_mul_f64 v[32:33], v[8:9], v[32:33]
	v_fma_f64 v[52:53], v[4:5], v[26:27], v[52:53]
	v_fma_f64 v[56:57], v[2:3], v[26:27], -v[28:29]
	scratch_load_b128 v[26:29], off, off offset:848
	ds_load_b128 v[2:5], v1 offset:1648
	v_add_f64 v[44:45], v[44:45], v[54:55]
	v_add_f64 v[46:47], v[46:47], v[50:51]
	v_fma_f64 v[48:49], v[8:9], v[30:31], v[48:49]
	v_fma_f64 v[54:55], v[6:7], v[30:31], -v[32:33]
	ds_load_b128 v[6:9], v1 offset:1664
	s_waitcnt vmcnt(8) lgkmcnt(1)
	v_mul_f64 v[50:51], v[2:3], v[40:41]
	v_mul_f64 v[40:41], v[4:5], v[40:41]
	scratch_load_b128 v[30:33], off, off offset:864
	v_add_f64 v[44:45], v[44:45], v[56:57]
	v_add_f64 v[46:47], v[46:47], v[52:53]
	s_waitcnt vmcnt(8) lgkmcnt(0)
	v_mul_f64 v[52:53], v[6:7], v[177:178]
	v_mul_f64 v[56:57], v[8:9], v[177:178]
	v_fma_f64 v[50:51], v[4:5], v[38:39], v[50:51]
	v_fma_f64 v[58:59], v[2:3], v[38:39], -v[40:41]
	scratch_load_b128 v[38:41], off, off offset:880
	ds_load_b128 v[2:5], v1 offset:1680
	v_add_f64 v[44:45], v[44:45], v[54:55]
	v_add_f64 v[46:47], v[46:47], v[48:49]
	v_fma_f64 v[52:53], v[8:9], v[175:176], v[52:53]
	v_fma_f64 v[54:55], v[6:7], v[175:176], -v[56:57]
	ds_load_b128 v[6:9], v1 offset:1696
	scratch_load_b128 v[175:178], off, off offset:896
	s_waitcnt vmcnt(9) lgkmcnt(1)
	v_mul_f64 v[48:49], v[2:3], v[36:37]
	v_mul_f64 v[36:37], v[4:5], v[36:37]
	s_waitcnt vmcnt(8) lgkmcnt(0)
	v_mul_f64 v[56:57], v[8:9], v[173:174]
	v_add_f64 v[44:45], v[44:45], v[58:59]
	v_add_f64 v[46:47], v[46:47], v[50:51]
	v_mul_f64 v[50:51], v[6:7], v[173:174]
	v_fma_f64 v[48:49], v[4:5], v[34:35], v[48:49]
	v_fma_f64 v[58:59], v[2:3], v[34:35], -v[36:37]
	scratch_load_b128 v[34:37], off, off offset:912
	ds_load_b128 v[2:5], v1 offset:1712
	v_add_f64 v[44:45], v[44:45], v[54:55]
	v_add_f64 v[46:47], v[46:47], v[52:53]
	v_fma_f64 v[50:51], v[8:9], v[171:172], v[50:51]
	v_fma_f64 v[54:55], v[6:7], v[171:172], -v[56:57]
	ds_load_b128 v[6:9], v1 offset:1728
	s_waitcnt vmcnt(8) lgkmcnt(1)
	v_mul_f64 v[52:53], v[2:3], v[12:13]
	v_mul_f64 v[12:13], v[4:5], v[12:13]
	v_add_f64 v[44:45], v[44:45], v[58:59]
	v_add_f64 v[46:47], v[46:47], v[48:49]
	s_waitcnt vmcnt(7) lgkmcnt(0)
	v_mul_f64 v[48:49], v[6:7], v[16:17]
	v_mul_f64 v[16:17], v[8:9], v[16:17]
	v_fma_f64 v[52:53], v[4:5], v[10:11], v[52:53]
	v_fma_f64 v[10:11], v[2:3], v[10:11], -v[12:13]
	ds_load_b128 v[2:5], v1 offset:1744
	v_add_f64 v[12:13], v[44:45], v[54:55]
	v_add_f64 v[44:45], v[46:47], v[50:51]
	v_fma_f64 v[48:49], v[8:9], v[14:15], v[48:49]
	v_fma_f64 v[14:15], v[6:7], v[14:15], -v[16:17]
	ds_load_b128 v[6:9], v1 offset:1760
	s_waitcnt vmcnt(5) lgkmcnt(0)
	v_mul_f64 v[50:51], v[6:7], v[24:25]
	v_mul_f64 v[24:25], v[8:9], v[24:25]
	v_add_f64 v[16:17], v[12:13], v[10:11]
	v_add_f64 v[44:45], v[44:45], v[52:53]
	scratch_load_b128 v[10:13], off, off offset:576
	v_mul_f64 v[46:47], v[2:3], v[20:21]
	v_mul_f64 v[20:21], v[4:5], v[20:21]
	v_add_f64 v[14:15], v[16:17], v[14:15]
	v_add_f64 v[16:17], v[44:45], v[48:49]
	v_fma_f64 v[44:45], v[8:9], v[22:23], v[50:51]
	v_fma_f64 v[46:47], v[4:5], v[18:19], v[46:47]
	v_fma_f64 v[18:19], v[2:3], v[18:19], -v[20:21]
	ds_load_b128 v[2:5], v1 offset:1776
	v_fma_f64 v[22:23], v[6:7], v[22:23], -v[24:25]
	ds_load_b128 v[6:9], v1 offset:1792
	s_waitcnt vmcnt(5) lgkmcnt(1)
	v_mul_f64 v[20:21], v[2:3], v[28:29]
	v_mul_f64 v[28:29], v[4:5], v[28:29]
	s_waitcnt vmcnt(4) lgkmcnt(0)
	v_mul_f64 v[24:25], v[8:9], v[32:33]
	v_add_f64 v[16:17], v[16:17], v[46:47]
	v_add_f64 v[14:15], v[14:15], v[18:19]
	v_mul_f64 v[18:19], v[6:7], v[32:33]
	v_fma_f64 v[20:21], v[4:5], v[26:27], v[20:21]
	v_fma_f64 v[26:27], v[2:3], v[26:27], -v[28:29]
	ds_load_b128 v[2:5], v1 offset:1808
	v_fma_f64 v[24:25], v[6:7], v[30:31], -v[24:25]
	v_add_f64 v[16:17], v[16:17], v[44:45]
	v_add_f64 v[14:15], v[14:15], v[22:23]
	v_fma_f64 v[18:19], v[8:9], v[30:31], v[18:19]
	ds_load_b128 v[6:9], v1 offset:1824
	s_waitcnt vmcnt(3) lgkmcnt(1)
	v_mul_f64 v[22:23], v[2:3], v[40:41]
	v_mul_f64 v[28:29], v[4:5], v[40:41]
	v_add_f64 v[16:17], v[16:17], v[20:21]
	v_add_f64 v[14:15], v[14:15], v[26:27]
	s_waitcnt vmcnt(2) lgkmcnt(0)
	v_mul_f64 v[20:21], v[6:7], v[177:178]
	v_mul_f64 v[26:27], v[8:9], v[177:178]
	v_fma_f64 v[22:23], v[4:5], v[38:39], v[22:23]
	v_fma_f64 v[28:29], v[2:3], v[38:39], -v[28:29]
	ds_load_b128 v[2:5], v1 offset:1840
	v_add_f64 v[16:17], v[16:17], v[18:19]
	v_add_f64 v[14:15], v[14:15], v[24:25]
	s_waitcnt vmcnt(1) lgkmcnt(0)
	v_mul_f64 v[18:19], v[2:3], v[36:37]
	v_mul_f64 v[24:25], v[4:5], v[36:37]
	v_fma_f64 v[8:9], v[8:9], v[175:176], v[20:21]
	v_fma_f64 v[6:7], v[6:7], v[175:176], -v[26:27]
	v_add_f64 v[16:17], v[16:17], v[22:23]
	v_add_f64 v[14:15], v[14:15], v[28:29]
	v_fma_f64 v[4:5], v[4:5], v[34:35], v[18:19]
	v_fma_f64 v[2:3], v[2:3], v[34:35], -v[24:25]
	s_delay_alu instid0(VALU_DEP_4) | instskip(NEXT) | instid1(VALU_DEP_4)
	v_add_f64 v[8:9], v[16:17], v[8:9]
	v_add_f64 v[6:7], v[14:15], v[6:7]
	s_delay_alu instid0(VALU_DEP_2) | instskip(NEXT) | instid1(VALU_DEP_2)
	v_add_f64 v[4:5], v[8:9], v[4:5]
	v_add_f64 v[2:3], v[6:7], v[2:3]
	s_waitcnt vmcnt(0)
	s_delay_alu instid0(VALU_DEP_2) | instskip(NEXT) | instid1(VALU_DEP_2)
	v_add_f64 v[4:5], v[12:13], -v[4:5]
	v_add_f64 v[2:3], v[10:11], -v[2:3]
	scratch_store_b128 off, v[2:5], off offset:576
	v_cmpx_lt_u32_e32 35, v158
	s_cbranch_execz .LBB121_291
; %bb.290:
	scratch_load_b32 v2, off, off offset:944 ; 4-byte Folded Reload
	v_mov_b32_e32 v3, v1
	v_mov_b32_e32 v4, v1
	s_waitcnt vmcnt(0)
	scratch_load_b128 v[5:8], v2, off
	v_mov_b32_e32 v2, v1
	scratch_store_b128 off, v[1:4], off offset:560
	s_waitcnt vmcnt(0)
	ds_store_b128 v216, v[5:8]
.LBB121_291:
	s_or_b32 exec_lo, exec_lo, s2
	s_waitcnt lgkmcnt(0)
	s_waitcnt_vscnt null, 0x0
	s_barrier
	buffer_gl0_inv
	s_clause 0x7
	scratch_load_b128 v[2:5], off, off offset:576
	scratch_load_b128 v[6:9], off, off offset:592
	;; [unrolled: 1-line block ×8, first 2 shown]
	ds_load_b128 v[34:37], v1 offset:1504
	ds_load_b128 v[171:174], v1 offset:1520
	s_clause 0x1
	scratch_load_b128 v[38:41], off, off offset:704
	scratch_load_b128 v[175:178], off, off offset:720
	s_mov_b32 s2, exec_lo
	s_waitcnt vmcnt(9) lgkmcnt(1)
	v_mul_f64 v[44:45], v[36:37], v[4:5]
	v_mul_f64 v[4:5], v[34:35], v[4:5]
	s_waitcnt vmcnt(8) lgkmcnt(0)
	v_mul_f64 v[46:47], v[171:172], v[8:9]
	v_mul_f64 v[8:9], v[173:174], v[8:9]
	s_delay_alu instid0(VALU_DEP_4) | instskip(NEXT) | instid1(VALU_DEP_4)
	v_fma_f64 v[44:45], v[34:35], v[2:3], -v[44:45]
	v_fma_f64 v[48:49], v[36:37], v[2:3], v[4:5]
	ds_load_b128 v[2:5], v1 offset:1536
	scratch_load_b128 v[34:37], off, off offset:736
	v_fma_f64 v[46:47], v[173:174], v[6:7], v[46:47]
	v_fma_f64 v[52:53], v[171:172], v[6:7], -v[8:9]
	scratch_load_b128 v[171:174], off, off offset:752
	ds_load_b128 v[6:9], v1 offset:1552
	s_waitcnt vmcnt(9) lgkmcnt(1)
	v_mul_f64 v[50:51], v[2:3], v[12:13]
	v_mul_f64 v[12:13], v[4:5], v[12:13]
	s_waitcnt vmcnt(8) lgkmcnt(0)
	v_mul_f64 v[54:55], v[6:7], v[16:17]
	v_mul_f64 v[16:17], v[8:9], v[16:17]
	v_add_f64 v[44:45], v[44:45], 0
	v_add_f64 v[48:49], v[48:49], 0
	v_fma_f64 v[50:51], v[4:5], v[10:11], v[50:51]
	v_fma_f64 v[56:57], v[2:3], v[10:11], -v[12:13]
	ds_load_b128 v[2:5], v1 offset:1568
	scratch_load_b128 v[10:13], off, off offset:768
	v_add_f64 v[44:45], v[44:45], v[52:53]
	v_add_f64 v[46:47], v[48:49], v[46:47]
	v_fma_f64 v[52:53], v[8:9], v[14:15], v[54:55]
	v_fma_f64 v[54:55], v[6:7], v[14:15], -v[16:17]
	scratch_load_b128 v[14:17], off, off offset:784
	ds_load_b128 v[6:9], v1 offset:1584
	s_waitcnt vmcnt(9) lgkmcnt(1)
	v_mul_f64 v[48:49], v[2:3], v[20:21]
	v_mul_f64 v[20:21], v[4:5], v[20:21]
	v_add_f64 v[44:45], v[44:45], v[56:57]
	v_add_f64 v[46:47], v[46:47], v[50:51]
	s_waitcnt vmcnt(8) lgkmcnt(0)
	v_mul_f64 v[50:51], v[6:7], v[24:25]
	v_mul_f64 v[24:25], v[8:9], v[24:25]
	v_fma_f64 v[48:49], v[4:5], v[18:19], v[48:49]
	v_fma_f64 v[56:57], v[2:3], v[18:19], -v[20:21]
	ds_load_b128 v[2:5], v1 offset:1600
	scratch_load_b128 v[18:21], off, off offset:800
	v_add_f64 v[44:45], v[44:45], v[54:55]
	v_add_f64 v[46:47], v[46:47], v[52:53]
	v_fma_f64 v[50:51], v[8:9], v[22:23], v[50:51]
	v_fma_f64 v[54:55], v[6:7], v[22:23], -v[24:25]
	ds_load_b128 v[6:9], v1 offset:1616
	s_waitcnt vmcnt(8) lgkmcnt(1)
	v_mul_f64 v[52:53], v[2:3], v[28:29]
	v_mul_f64 v[28:29], v[4:5], v[28:29]
	scratch_load_b128 v[22:25], off, off offset:816
	v_add_f64 v[44:45], v[44:45], v[56:57]
	v_add_f64 v[46:47], v[46:47], v[48:49]
	s_waitcnt vmcnt(8) lgkmcnt(0)
	v_mul_f64 v[48:49], v[6:7], v[32:33]
	v_mul_f64 v[32:33], v[8:9], v[32:33]
	v_fma_f64 v[52:53], v[4:5], v[26:27], v[52:53]
	v_fma_f64 v[56:57], v[2:3], v[26:27], -v[28:29]
	ds_load_b128 v[2:5], v1 offset:1632
	scratch_load_b128 v[26:29], off, off offset:832
	v_add_f64 v[44:45], v[44:45], v[54:55]
	v_add_f64 v[46:47], v[46:47], v[50:51]
	v_fma_f64 v[48:49], v[8:9], v[30:31], v[48:49]
	v_fma_f64 v[54:55], v[6:7], v[30:31], -v[32:33]
	ds_load_b128 v[6:9], v1 offset:1648
	s_waitcnt vmcnt(8) lgkmcnt(1)
	v_mul_f64 v[50:51], v[2:3], v[40:41]
	v_mul_f64 v[40:41], v[4:5], v[40:41]
	scratch_load_b128 v[30:33], off, off offset:848
	v_add_f64 v[44:45], v[44:45], v[56:57]
	v_add_f64 v[46:47], v[46:47], v[52:53]
	s_waitcnt vmcnt(8) lgkmcnt(0)
	v_mul_f64 v[52:53], v[6:7], v[177:178]
	v_mul_f64 v[56:57], v[8:9], v[177:178]
	v_fma_f64 v[50:51], v[4:5], v[38:39], v[50:51]
	v_fma_f64 v[58:59], v[2:3], v[38:39], -v[40:41]
	scratch_load_b128 v[38:41], off, off offset:864
	ds_load_b128 v[2:5], v1 offset:1664
	v_add_f64 v[44:45], v[44:45], v[54:55]
	v_add_f64 v[46:47], v[46:47], v[48:49]
	v_fma_f64 v[52:53], v[8:9], v[175:176], v[52:53]
	v_fma_f64 v[54:55], v[6:7], v[175:176], -v[56:57]
	ds_load_b128 v[6:9], v1 offset:1680
	scratch_load_b128 v[175:178], off, off offset:880
	s_waitcnt vmcnt(9) lgkmcnt(1)
	v_mul_f64 v[48:49], v[2:3], v[36:37]
	v_mul_f64 v[36:37], v[4:5], v[36:37]
	s_waitcnt vmcnt(8) lgkmcnt(0)
	v_mul_f64 v[56:57], v[8:9], v[173:174]
	v_add_f64 v[44:45], v[44:45], v[58:59]
	v_add_f64 v[46:47], v[46:47], v[50:51]
	v_mul_f64 v[50:51], v[6:7], v[173:174]
	v_fma_f64 v[48:49], v[4:5], v[34:35], v[48:49]
	v_fma_f64 v[58:59], v[2:3], v[34:35], -v[36:37]
	scratch_load_b128 v[34:37], off, off offset:896
	ds_load_b128 v[2:5], v1 offset:1696
	v_add_f64 v[44:45], v[44:45], v[54:55]
	v_add_f64 v[46:47], v[46:47], v[52:53]
	v_fma_f64 v[50:51], v[8:9], v[171:172], v[50:51]
	v_fma_f64 v[54:55], v[6:7], v[171:172], -v[56:57]
	ds_load_b128 v[6:9], v1 offset:1712
	s_waitcnt vmcnt(8) lgkmcnt(1)
	v_mul_f64 v[52:53], v[2:3], v[12:13]
	v_mul_f64 v[12:13], v[4:5], v[12:13]
	scratch_load_b128 v[171:174], off, off offset:912
	v_add_f64 v[44:45], v[44:45], v[58:59]
	v_add_f64 v[46:47], v[46:47], v[48:49]
	s_waitcnt vmcnt(8) lgkmcnt(0)
	v_mul_f64 v[48:49], v[6:7], v[16:17]
	v_mul_f64 v[16:17], v[8:9], v[16:17]
	v_fma_f64 v[52:53], v[4:5], v[10:11], v[52:53]
	v_fma_f64 v[10:11], v[2:3], v[10:11], -v[12:13]
	ds_load_b128 v[2:5], v1 offset:1728
	v_add_f64 v[12:13], v[44:45], v[54:55]
	v_add_f64 v[44:45], v[46:47], v[50:51]
	v_fma_f64 v[48:49], v[8:9], v[14:15], v[48:49]
	v_fma_f64 v[14:15], v[6:7], v[14:15], -v[16:17]
	ds_load_b128 v[6:9], v1 offset:1744
	s_waitcnt vmcnt(7) lgkmcnt(1)
	v_mul_f64 v[46:47], v[2:3], v[20:21]
	v_mul_f64 v[20:21], v[4:5], v[20:21]
	v_add_f64 v[10:11], v[12:13], v[10:11]
	v_add_f64 v[12:13], v[44:45], v[52:53]
	s_delay_alu instid0(VALU_DEP_4) | instskip(NEXT) | instid1(VALU_DEP_4)
	v_fma_f64 v[44:45], v[4:5], v[18:19], v[46:47]
	v_fma_f64 v[18:19], v[2:3], v[18:19], -v[20:21]
	ds_load_b128 v[2:5], v1 offset:1760
	v_add_f64 v[14:15], v[10:11], v[14:15]
	v_add_f64 v[20:21], v[12:13], v[48:49]
	scratch_load_b128 v[10:13], off, off offset:560
	s_waitcnt vmcnt(7) lgkmcnt(1)
	v_mul_f64 v[16:17], v[6:7], v[24:25]
	v_mul_f64 v[24:25], v[8:9], v[24:25]
	v_add_f64 v[14:15], v[14:15], v[18:19]
	v_add_f64 v[18:19], v[20:21], v[44:45]
	s_delay_alu instid0(VALU_DEP_4) | instskip(NEXT) | instid1(VALU_DEP_4)
	v_fma_f64 v[16:17], v[8:9], v[22:23], v[16:17]
	v_fma_f64 v[22:23], v[6:7], v[22:23], -v[24:25]
	ds_load_b128 v[6:9], v1 offset:1776
	s_waitcnt vmcnt(6) lgkmcnt(1)
	v_mul_f64 v[46:47], v[2:3], v[28:29]
	v_mul_f64 v[28:29], v[4:5], v[28:29]
	s_waitcnt vmcnt(5) lgkmcnt(0)
	v_mul_f64 v[20:21], v[6:7], v[32:33]
	v_mul_f64 v[24:25], v[8:9], v[32:33]
	v_add_f64 v[16:17], v[18:19], v[16:17]
	v_add_f64 v[14:15], v[14:15], v[22:23]
	v_fma_f64 v[32:33], v[4:5], v[26:27], v[46:47]
	v_fma_f64 v[26:27], v[2:3], v[26:27], -v[28:29]
	ds_load_b128 v[2:5], v1 offset:1792
	v_fma_f64 v[20:21], v[8:9], v[30:31], v[20:21]
	v_fma_f64 v[24:25], v[6:7], v[30:31], -v[24:25]
	ds_load_b128 v[6:9], v1 offset:1808
	s_waitcnt vmcnt(4) lgkmcnt(1)
	v_mul_f64 v[18:19], v[2:3], v[40:41]
	v_mul_f64 v[22:23], v[4:5], v[40:41]
	v_add_f64 v[16:17], v[16:17], v[32:33]
	v_add_f64 v[14:15], v[14:15], v[26:27]
	s_waitcnt vmcnt(3) lgkmcnt(0)
	v_mul_f64 v[26:27], v[6:7], v[177:178]
	v_mul_f64 v[28:29], v[8:9], v[177:178]
	v_fma_f64 v[18:19], v[4:5], v[38:39], v[18:19]
	v_fma_f64 v[22:23], v[2:3], v[38:39], -v[22:23]
	ds_load_b128 v[2:5], v1 offset:1824
	v_add_f64 v[16:17], v[16:17], v[20:21]
	v_add_f64 v[14:15], v[14:15], v[24:25]
	v_fma_f64 v[26:27], v[8:9], v[175:176], v[26:27]
	v_fma_f64 v[28:29], v[6:7], v[175:176], -v[28:29]
	ds_load_b128 v[6:9], v1 offset:1840
	s_waitcnt vmcnt(2) lgkmcnt(1)
	v_mul_f64 v[20:21], v[2:3], v[36:37]
	v_mul_f64 v[24:25], v[4:5], v[36:37]
	v_add_f64 v[16:17], v[16:17], v[18:19]
	v_add_f64 v[14:15], v[14:15], v[22:23]
	s_waitcnt vmcnt(1) lgkmcnt(0)
	v_mul_f64 v[18:19], v[6:7], v[173:174]
	v_mul_f64 v[22:23], v[8:9], v[173:174]
	v_fma_f64 v[4:5], v[4:5], v[34:35], v[20:21]
	v_fma_f64 v[1:2], v[2:3], v[34:35], -v[24:25]
	v_add_f64 v[16:17], v[16:17], v[26:27]
	v_add_f64 v[14:15], v[14:15], v[28:29]
	v_fma_f64 v[8:9], v[8:9], v[171:172], v[18:19]
	v_fma_f64 v[6:7], v[6:7], v[171:172], -v[22:23]
	s_delay_alu instid0(VALU_DEP_4) | instskip(NEXT) | instid1(VALU_DEP_4)
	v_add_f64 v[3:4], v[16:17], v[4:5]
	v_add_f64 v[1:2], v[14:15], v[1:2]
	s_delay_alu instid0(VALU_DEP_2) | instskip(NEXT) | instid1(VALU_DEP_2)
	v_add_f64 v[3:4], v[3:4], v[8:9]
	v_add_f64 v[1:2], v[1:2], v[6:7]
	s_waitcnt vmcnt(0)
	s_delay_alu instid0(VALU_DEP_2) | instskip(NEXT) | instid1(VALU_DEP_2)
	v_add_f64 v[3:4], v[12:13], -v[3:4]
	v_add_f64 v[1:2], v[10:11], -v[1:2]
	scratch_store_b128 off, v[1:4], off offset:560
	v_cmpx_lt_u32_e32 34, v158
	s_cbranch_execz .LBB121_293
; %bb.292:
	scratch_load_b32 v1, off, off offset:940 ; 4-byte Folded Reload
	v_mov_b32_e32 v5, 0
	s_delay_alu instid0(VALU_DEP_1)
	v_mov_b32_e32 v6, v5
	v_mov_b32_e32 v7, v5
	;; [unrolled: 1-line block ×3, first 2 shown]
	s_waitcnt vmcnt(0)
	scratch_load_b128 v[1:4], v1, off
	scratch_store_b128 off, v[5:8], off offset:544
	s_waitcnt vmcnt(0)
	ds_store_b128 v216, v[1:4]
.LBB121_293:
	s_or_b32 exec_lo, exec_lo, s2
	s_waitcnt lgkmcnt(0)
	s_waitcnt_vscnt null, 0x0
	s_barrier
	buffer_gl0_inv
	s_clause 0x7
	scratch_load_b128 v[2:5], off, off offset:560
	scratch_load_b128 v[6:9], off, off offset:576
	;; [unrolled: 1-line block ×8, first 2 shown]
	v_mov_b32_e32 v1, 0
	s_clause 0x1
	scratch_load_b128 v[38:41], off, off offset:688
	scratch_load_b128 v[175:178], off, off offset:704
	s_mov_b32 s2, exec_lo
	ds_load_b128 v[34:37], v1 offset:1488
	ds_load_b128 v[171:174], v1 offset:1504
	s_waitcnt vmcnt(9) lgkmcnt(1)
	v_mul_f64 v[44:45], v[36:37], v[4:5]
	v_mul_f64 v[4:5], v[34:35], v[4:5]
	s_waitcnt vmcnt(8) lgkmcnt(0)
	v_mul_f64 v[46:47], v[171:172], v[8:9]
	v_mul_f64 v[8:9], v[173:174], v[8:9]
	s_delay_alu instid0(VALU_DEP_4) | instskip(NEXT) | instid1(VALU_DEP_4)
	v_fma_f64 v[44:45], v[34:35], v[2:3], -v[44:45]
	v_fma_f64 v[48:49], v[36:37], v[2:3], v[4:5]
	ds_load_b128 v[2:5], v1 offset:1520
	scratch_load_b128 v[34:37], off, off offset:720
	v_fma_f64 v[46:47], v[173:174], v[6:7], v[46:47]
	v_fma_f64 v[52:53], v[171:172], v[6:7], -v[8:9]
	scratch_load_b128 v[171:174], off, off offset:736
	ds_load_b128 v[6:9], v1 offset:1536
	s_waitcnt vmcnt(9) lgkmcnt(1)
	v_mul_f64 v[50:51], v[2:3], v[12:13]
	v_mul_f64 v[12:13], v[4:5], v[12:13]
	s_waitcnt vmcnt(8) lgkmcnt(0)
	v_mul_f64 v[54:55], v[6:7], v[16:17]
	v_mul_f64 v[16:17], v[8:9], v[16:17]
	v_add_f64 v[44:45], v[44:45], 0
	v_add_f64 v[48:49], v[48:49], 0
	v_fma_f64 v[50:51], v[4:5], v[10:11], v[50:51]
	v_fma_f64 v[56:57], v[2:3], v[10:11], -v[12:13]
	ds_load_b128 v[2:5], v1 offset:1552
	scratch_load_b128 v[10:13], off, off offset:752
	v_add_f64 v[44:45], v[44:45], v[52:53]
	v_add_f64 v[46:47], v[48:49], v[46:47]
	v_fma_f64 v[52:53], v[8:9], v[14:15], v[54:55]
	v_fma_f64 v[54:55], v[6:7], v[14:15], -v[16:17]
	scratch_load_b128 v[14:17], off, off offset:768
	ds_load_b128 v[6:9], v1 offset:1568
	s_waitcnt vmcnt(9) lgkmcnt(1)
	v_mul_f64 v[48:49], v[2:3], v[20:21]
	v_mul_f64 v[20:21], v[4:5], v[20:21]
	v_add_f64 v[44:45], v[44:45], v[56:57]
	v_add_f64 v[46:47], v[46:47], v[50:51]
	s_waitcnt vmcnt(8) lgkmcnt(0)
	v_mul_f64 v[50:51], v[6:7], v[24:25]
	v_mul_f64 v[24:25], v[8:9], v[24:25]
	v_fma_f64 v[48:49], v[4:5], v[18:19], v[48:49]
	v_fma_f64 v[56:57], v[2:3], v[18:19], -v[20:21]
	ds_load_b128 v[2:5], v1 offset:1584
	scratch_load_b128 v[18:21], off, off offset:784
	v_add_f64 v[44:45], v[44:45], v[54:55]
	v_add_f64 v[46:47], v[46:47], v[52:53]
	v_fma_f64 v[50:51], v[8:9], v[22:23], v[50:51]
	v_fma_f64 v[54:55], v[6:7], v[22:23], -v[24:25]
	scratch_load_b128 v[22:25], off, off offset:800
	ds_load_b128 v[6:9], v1 offset:1600
	s_waitcnt vmcnt(9) lgkmcnt(1)
	v_mul_f64 v[52:53], v[2:3], v[28:29]
	v_mul_f64 v[28:29], v[4:5], v[28:29]
	v_add_f64 v[44:45], v[44:45], v[56:57]
	v_add_f64 v[46:47], v[46:47], v[48:49]
	s_waitcnt vmcnt(8) lgkmcnt(0)
	v_mul_f64 v[48:49], v[6:7], v[32:33]
	v_mul_f64 v[32:33], v[8:9], v[32:33]
	v_fma_f64 v[52:53], v[4:5], v[26:27], v[52:53]
	v_fma_f64 v[56:57], v[2:3], v[26:27], -v[28:29]
	ds_load_b128 v[2:5], v1 offset:1616
	scratch_load_b128 v[26:29], off, off offset:816
	v_add_f64 v[44:45], v[44:45], v[54:55]
	v_add_f64 v[46:47], v[46:47], v[50:51]
	v_fma_f64 v[48:49], v[8:9], v[30:31], v[48:49]
	v_fma_f64 v[54:55], v[6:7], v[30:31], -v[32:33]
	ds_load_b128 v[6:9], v1 offset:1632
	s_waitcnt vmcnt(8) lgkmcnt(1)
	v_mul_f64 v[50:51], v[2:3], v[40:41]
	v_mul_f64 v[40:41], v[4:5], v[40:41]
	scratch_load_b128 v[30:33], off, off offset:832
	v_add_f64 v[44:45], v[44:45], v[56:57]
	v_add_f64 v[46:47], v[46:47], v[52:53]
	s_waitcnt vmcnt(8) lgkmcnt(0)
	v_mul_f64 v[52:53], v[6:7], v[177:178]
	v_mul_f64 v[56:57], v[8:9], v[177:178]
	v_fma_f64 v[50:51], v[4:5], v[38:39], v[50:51]
	v_fma_f64 v[58:59], v[2:3], v[38:39], -v[40:41]
	scratch_load_b128 v[38:41], off, off offset:848
	ds_load_b128 v[2:5], v1 offset:1648
	v_add_f64 v[44:45], v[44:45], v[54:55]
	v_add_f64 v[46:47], v[46:47], v[48:49]
	v_fma_f64 v[52:53], v[8:9], v[175:176], v[52:53]
	v_fma_f64 v[54:55], v[6:7], v[175:176], -v[56:57]
	ds_load_b128 v[6:9], v1 offset:1664
	scratch_load_b128 v[175:178], off, off offset:864
	s_waitcnt vmcnt(9) lgkmcnt(1)
	v_mul_f64 v[48:49], v[2:3], v[36:37]
	v_mul_f64 v[36:37], v[4:5], v[36:37]
	s_waitcnt vmcnt(8) lgkmcnt(0)
	v_mul_f64 v[56:57], v[8:9], v[173:174]
	v_add_f64 v[44:45], v[44:45], v[58:59]
	v_add_f64 v[46:47], v[46:47], v[50:51]
	v_mul_f64 v[50:51], v[6:7], v[173:174]
	v_fma_f64 v[48:49], v[4:5], v[34:35], v[48:49]
	v_fma_f64 v[58:59], v[2:3], v[34:35], -v[36:37]
	scratch_load_b128 v[34:37], off, off offset:880
	ds_load_b128 v[2:5], v1 offset:1680
	v_add_f64 v[44:45], v[44:45], v[54:55]
	v_add_f64 v[46:47], v[46:47], v[52:53]
	v_fma_f64 v[50:51], v[8:9], v[171:172], v[50:51]
	v_fma_f64 v[54:55], v[6:7], v[171:172], -v[56:57]
	ds_load_b128 v[6:9], v1 offset:1696
	s_waitcnt vmcnt(8) lgkmcnt(1)
	v_mul_f64 v[52:53], v[2:3], v[12:13]
	v_mul_f64 v[12:13], v[4:5], v[12:13]
	scratch_load_b128 v[171:174], off, off offset:896
	v_add_f64 v[44:45], v[44:45], v[58:59]
	v_add_f64 v[46:47], v[46:47], v[48:49]
	s_waitcnt vmcnt(8) lgkmcnt(0)
	v_mul_f64 v[48:49], v[6:7], v[16:17]
	v_mul_f64 v[16:17], v[8:9], v[16:17]
	v_fma_f64 v[52:53], v[4:5], v[10:11], v[52:53]
	v_fma_f64 v[56:57], v[2:3], v[10:11], -v[12:13]
	scratch_load_b128 v[10:13], off, off offset:912
	ds_load_b128 v[2:5], v1 offset:1712
	v_add_f64 v[44:45], v[44:45], v[54:55]
	v_add_f64 v[46:47], v[46:47], v[50:51]
	v_fma_f64 v[48:49], v[8:9], v[14:15], v[48:49]
	v_fma_f64 v[14:15], v[6:7], v[14:15], -v[16:17]
	ds_load_b128 v[6:9], v1 offset:1728
	s_waitcnt vmcnt(8) lgkmcnt(1)
	v_mul_f64 v[50:51], v[2:3], v[20:21]
	v_mul_f64 v[20:21], v[4:5], v[20:21]
	v_add_f64 v[16:17], v[44:45], v[56:57]
	v_add_f64 v[44:45], v[46:47], v[52:53]
	s_waitcnt vmcnt(7) lgkmcnt(0)
	v_mul_f64 v[46:47], v[6:7], v[24:25]
	v_mul_f64 v[24:25], v[8:9], v[24:25]
	v_fma_f64 v[50:51], v[4:5], v[18:19], v[50:51]
	v_fma_f64 v[18:19], v[2:3], v[18:19], -v[20:21]
	ds_load_b128 v[2:5], v1 offset:1744
	v_add_f64 v[14:15], v[16:17], v[14:15]
	v_add_f64 v[16:17], v[44:45], v[48:49]
	v_fma_f64 v[44:45], v[8:9], v[22:23], v[46:47]
	v_fma_f64 v[22:23], v[6:7], v[22:23], -v[24:25]
	ds_load_b128 v[6:9], v1 offset:1760
	s_waitcnt vmcnt(5) lgkmcnt(0)
	v_mul_f64 v[46:47], v[6:7], v[32:33]
	v_mul_f64 v[32:33], v[8:9], v[32:33]
	v_add_f64 v[18:19], v[14:15], v[18:19]
	v_add_f64 v[24:25], v[16:17], v[50:51]
	scratch_load_b128 v[14:17], off, off offset:544
	v_mul_f64 v[20:21], v[2:3], v[28:29]
	v_mul_f64 v[28:29], v[4:5], v[28:29]
	v_add_f64 v[18:19], v[18:19], v[22:23]
	v_add_f64 v[22:23], v[24:25], v[44:45]
	s_delay_alu instid0(VALU_DEP_4) | instskip(NEXT) | instid1(VALU_DEP_4)
	v_fma_f64 v[20:21], v[4:5], v[26:27], v[20:21]
	v_fma_f64 v[26:27], v[2:3], v[26:27], -v[28:29]
	ds_load_b128 v[2:5], v1 offset:1776
	s_waitcnt vmcnt(5) lgkmcnt(0)
	v_mul_f64 v[24:25], v[2:3], v[40:41]
	v_mul_f64 v[28:29], v[4:5], v[40:41]
	v_fma_f64 v[40:41], v[8:9], v[30:31], v[46:47]
	v_fma_f64 v[30:31], v[6:7], v[30:31], -v[32:33]
	ds_load_b128 v[6:9], v1 offset:1792
	v_add_f64 v[20:21], v[22:23], v[20:21]
	v_add_f64 v[18:19], v[18:19], v[26:27]
	v_fma_f64 v[24:25], v[4:5], v[38:39], v[24:25]
	v_fma_f64 v[28:29], v[2:3], v[38:39], -v[28:29]
	ds_load_b128 v[2:5], v1 offset:1808
	s_waitcnt vmcnt(4) lgkmcnt(1)
	v_mul_f64 v[22:23], v[6:7], v[177:178]
	v_mul_f64 v[26:27], v[8:9], v[177:178]
	v_add_f64 v[20:21], v[20:21], v[40:41]
	v_add_f64 v[18:19], v[18:19], v[30:31]
	s_waitcnt vmcnt(3) lgkmcnt(0)
	v_mul_f64 v[30:31], v[2:3], v[36:37]
	v_mul_f64 v[32:33], v[4:5], v[36:37]
	v_fma_f64 v[22:23], v[8:9], v[175:176], v[22:23]
	v_fma_f64 v[26:27], v[6:7], v[175:176], -v[26:27]
	ds_load_b128 v[6:9], v1 offset:1824
	v_add_f64 v[20:21], v[20:21], v[24:25]
	v_add_f64 v[18:19], v[18:19], v[28:29]
	v_fma_f64 v[30:31], v[4:5], v[34:35], v[30:31]
	v_fma_f64 v[32:33], v[2:3], v[34:35], -v[32:33]
	ds_load_b128 v[2:5], v1 offset:1840
	s_waitcnt vmcnt(2) lgkmcnt(1)
	v_mul_f64 v[24:25], v[6:7], v[173:174]
	v_mul_f64 v[28:29], v[8:9], v[173:174]
	v_add_f64 v[20:21], v[20:21], v[22:23]
	v_add_f64 v[18:19], v[18:19], v[26:27]
	s_waitcnt vmcnt(1) lgkmcnt(0)
	v_mul_f64 v[22:23], v[2:3], v[12:13]
	v_mul_f64 v[12:13], v[4:5], v[12:13]
	v_fma_f64 v[8:9], v[8:9], v[171:172], v[24:25]
	v_fma_f64 v[6:7], v[6:7], v[171:172], -v[28:29]
	v_add_f64 v[20:21], v[20:21], v[30:31]
	v_add_f64 v[18:19], v[18:19], v[32:33]
	v_fma_f64 v[4:5], v[4:5], v[10:11], v[22:23]
	v_fma_f64 v[2:3], v[2:3], v[10:11], -v[12:13]
	s_delay_alu instid0(VALU_DEP_4) | instskip(NEXT) | instid1(VALU_DEP_4)
	v_add_f64 v[8:9], v[20:21], v[8:9]
	v_add_f64 v[6:7], v[18:19], v[6:7]
	s_delay_alu instid0(VALU_DEP_2) | instskip(NEXT) | instid1(VALU_DEP_2)
	v_add_f64 v[4:5], v[8:9], v[4:5]
	v_add_f64 v[2:3], v[6:7], v[2:3]
	s_waitcnt vmcnt(0)
	s_delay_alu instid0(VALU_DEP_2) | instskip(NEXT) | instid1(VALU_DEP_2)
	v_add_f64 v[4:5], v[16:17], -v[4:5]
	v_add_f64 v[2:3], v[14:15], -v[2:3]
	scratch_store_b128 off, v[2:5], off offset:544
	v_cmpx_lt_u32_e32 33, v158
	s_cbranch_execz .LBB121_295
; %bb.294:
	scratch_load_b32 v2, off, off offset:948 ; 4-byte Folded Reload
	v_mov_b32_e32 v3, v1
	v_mov_b32_e32 v4, v1
	s_waitcnt vmcnt(0)
	scratch_load_b128 v[5:8], v2, off
	v_mov_b32_e32 v2, v1
	scratch_store_b128 off, v[1:4], off offset:528
	s_waitcnt vmcnt(0)
	ds_store_b128 v216, v[5:8]
.LBB121_295:
	s_or_b32 exec_lo, exec_lo, s2
	s_waitcnt lgkmcnt(0)
	s_waitcnt_vscnt null, 0x0
	s_barrier
	buffer_gl0_inv
	s_clause 0x7
	scratch_load_b128 v[2:5], off, off offset:544
	scratch_load_b128 v[6:9], off, off offset:560
	scratch_load_b128 v[10:13], off, off offset:576
	scratch_load_b128 v[14:17], off, off offset:592
	scratch_load_b128 v[18:21], off, off offset:608
	scratch_load_b128 v[22:25], off, off offset:624
	scratch_load_b128 v[26:29], off, off offset:640
	scratch_load_b128 v[30:33], off, off offset:656
	ds_load_b128 v[34:37], v1 offset:1472
	ds_load_b128 v[171:174], v1 offset:1488
	s_clause 0x1
	scratch_load_b128 v[38:41], off, off offset:672
	scratch_load_b128 v[175:178], off, off offset:688
	s_mov_b32 s2, exec_lo
	s_waitcnt vmcnt(9) lgkmcnt(1)
	v_mul_f64 v[44:45], v[36:37], v[4:5]
	v_mul_f64 v[4:5], v[34:35], v[4:5]
	s_waitcnt vmcnt(8) lgkmcnt(0)
	v_mul_f64 v[46:47], v[171:172], v[8:9]
	v_mul_f64 v[8:9], v[173:174], v[8:9]
	s_delay_alu instid0(VALU_DEP_4) | instskip(NEXT) | instid1(VALU_DEP_4)
	v_fma_f64 v[44:45], v[34:35], v[2:3], -v[44:45]
	v_fma_f64 v[48:49], v[36:37], v[2:3], v[4:5]
	ds_load_b128 v[2:5], v1 offset:1504
	scratch_load_b128 v[34:37], off, off offset:704
	v_fma_f64 v[46:47], v[173:174], v[6:7], v[46:47]
	v_fma_f64 v[52:53], v[171:172], v[6:7], -v[8:9]
	scratch_load_b128 v[171:174], off, off offset:720
	ds_load_b128 v[6:9], v1 offset:1520
	s_waitcnt vmcnt(9) lgkmcnt(1)
	v_mul_f64 v[50:51], v[2:3], v[12:13]
	v_mul_f64 v[12:13], v[4:5], v[12:13]
	s_waitcnt vmcnt(8) lgkmcnt(0)
	v_mul_f64 v[54:55], v[6:7], v[16:17]
	v_mul_f64 v[16:17], v[8:9], v[16:17]
	v_add_f64 v[44:45], v[44:45], 0
	v_add_f64 v[48:49], v[48:49], 0
	v_fma_f64 v[50:51], v[4:5], v[10:11], v[50:51]
	v_fma_f64 v[56:57], v[2:3], v[10:11], -v[12:13]
	ds_load_b128 v[2:5], v1 offset:1536
	scratch_load_b128 v[10:13], off, off offset:736
	v_add_f64 v[44:45], v[44:45], v[52:53]
	v_add_f64 v[46:47], v[48:49], v[46:47]
	v_fma_f64 v[52:53], v[8:9], v[14:15], v[54:55]
	v_fma_f64 v[54:55], v[6:7], v[14:15], -v[16:17]
	scratch_load_b128 v[14:17], off, off offset:752
	ds_load_b128 v[6:9], v1 offset:1552
	s_waitcnt vmcnt(9) lgkmcnt(1)
	v_mul_f64 v[48:49], v[2:3], v[20:21]
	v_mul_f64 v[20:21], v[4:5], v[20:21]
	v_add_f64 v[44:45], v[44:45], v[56:57]
	v_add_f64 v[46:47], v[46:47], v[50:51]
	s_waitcnt vmcnt(8) lgkmcnt(0)
	v_mul_f64 v[50:51], v[6:7], v[24:25]
	v_mul_f64 v[24:25], v[8:9], v[24:25]
	v_fma_f64 v[48:49], v[4:5], v[18:19], v[48:49]
	v_fma_f64 v[56:57], v[2:3], v[18:19], -v[20:21]
	ds_load_b128 v[2:5], v1 offset:1568
	scratch_load_b128 v[18:21], off, off offset:768
	v_add_f64 v[44:45], v[44:45], v[54:55]
	v_add_f64 v[46:47], v[46:47], v[52:53]
	v_fma_f64 v[50:51], v[8:9], v[22:23], v[50:51]
	v_fma_f64 v[54:55], v[6:7], v[22:23], -v[24:25]
	scratch_load_b128 v[22:25], off, off offset:784
	ds_load_b128 v[6:9], v1 offset:1584
	s_waitcnt vmcnt(9) lgkmcnt(1)
	v_mul_f64 v[52:53], v[2:3], v[28:29]
	v_mul_f64 v[28:29], v[4:5], v[28:29]
	v_add_f64 v[44:45], v[44:45], v[56:57]
	v_add_f64 v[46:47], v[46:47], v[48:49]
	s_waitcnt vmcnt(8) lgkmcnt(0)
	v_mul_f64 v[48:49], v[6:7], v[32:33]
	v_mul_f64 v[32:33], v[8:9], v[32:33]
	v_fma_f64 v[52:53], v[4:5], v[26:27], v[52:53]
	v_fma_f64 v[56:57], v[2:3], v[26:27], -v[28:29]
	ds_load_b128 v[2:5], v1 offset:1600
	scratch_load_b128 v[26:29], off, off offset:800
	v_add_f64 v[44:45], v[44:45], v[54:55]
	v_add_f64 v[46:47], v[46:47], v[50:51]
	v_fma_f64 v[48:49], v[8:9], v[30:31], v[48:49]
	v_fma_f64 v[54:55], v[6:7], v[30:31], -v[32:33]
	ds_load_b128 v[6:9], v1 offset:1616
	s_waitcnt vmcnt(8) lgkmcnt(1)
	v_mul_f64 v[50:51], v[2:3], v[40:41]
	v_mul_f64 v[40:41], v[4:5], v[40:41]
	scratch_load_b128 v[30:33], off, off offset:816
	v_add_f64 v[44:45], v[44:45], v[56:57]
	v_add_f64 v[46:47], v[46:47], v[52:53]
	s_waitcnt vmcnt(8) lgkmcnt(0)
	v_mul_f64 v[52:53], v[6:7], v[177:178]
	v_mul_f64 v[56:57], v[8:9], v[177:178]
	v_fma_f64 v[50:51], v[4:5], v[38:39], v[50:51]
	v_fma_f64 v[58:59], v[2:3], v[38:39], -v[40:41]
	ds_load_b128 v[2:5], v1 offset:1632
	scratch_load_b128 v[38:41], off, off offset:832
	v_add_f64 v[44:45], v[44:45], v[54:55]
	v_add_f64 v[46:47], v[46:47], v[48:49]
	v_fma_f64 v[52:53], v[8:9], v[175:176], v[52:53]
	v_fma_f64 v[54:55], v[6:7], v[175:176], -v[56:57]
	ds_load_b128 v[6:9], v1 offset:1648
	scratch_load_b128 v[175:178], off, off offset:848
	s_waitcnt vmcnt(9) lgkmcnt(1)
	v_mul_f64 v[48:49], v[2:3], v[36:37]
	v_mul_f64 v[36:37], v[4:5], v[36:37]
	s_waitcnt vmcnt(8) lgkmcnt(0)
	v_mul_f64 v[56:57], v[8:9], v[173:174]
	v_add_f64 v[44:45], v[44:45], v[58:59]
	v_add_f64 v[46:47], v[46:47], v[50:51]
	v_mul_f64 v[50:51], v[6:7], v[173:174]
	v_fma_f64 v[48:49], v[4:5], v[34:35], v[48:49]
	v_fma_f64 v[58:59], v[2:3], v[34:35], -v[36:37]
	scratch_load_b128 v[34:37], off, off offset:864
	ds_load_b128 v[2:5], v1 offset:1664
	v_add_f64 v[44:45], v[44:45], v[54:55]
	v_add_f64 v[46:47], v[46:47], v[52:53]
	v_fma_f64 v[50:51], v[8:9], v[171:172], v[50:51]
	v_fma_f64 v[54:55], v[6:7], v[171:172], -v[56:57]
	ds_load_b128 v[6:9], v1 offset:1680
	s_waitcnt vmcnt(8) lgkmcnt(1)
	v_mul_f64 v[52:53], v[2:3], v[12:13]
	v_mul_f64 v[12:13], v[4:5], v[12:13]
	scratch_load_b128 v[171:174], off, off offset:880
	v_add_f64 v[44:45], v[44:45], v[58:59]
	v_add_f64 v[46:47], v[46:47], v[48:49]
	s_waitcnt vmcnt(8) lgkmcnt(0)
	v_mul_f64 v[48:49], v[6:7], v[16:17]
	v_mul_f64 v[16:17], v[8:9], v[16:17]
	v_fma_f64 v[52:53], v[4:5], v[10:11], v[52:53]
	v_fma_f64 v[56:57], v[2:3], v[10:11], -v[12:13]
	scratch_load_b128 v[10:13], off, off offset:896
	ds_load_b128 v[2:5], v1 offset:1696
	v_add_f64 v[44:45], v[44:45], v[54:55]
	v_add_f64 v[46:47], v[46:47], v[50:51]
	v_fma_f64 v[48:49], v[8:9], v[14:15], v[48:49]
	v_fma_f64 v[54:55], v[6:7], v[14:15], -v[16:17]
	ds_load_b128 v[6:9], v1 offset:1712
	s_waitcnt vmcnt(8) lgkmcnt(1)
	v_mul_f64 v[50:51], v[2:3], v[20:21]
	v_mul_f64 v[20:21], v[4:5], v[20:21]
	scratch_load_b128 v[14:17], off, off offset:912
	v_add_f64 v[44:45], v[44:45], v[56:57]
	v_add_f64 v[46:47], v[46:47], v[52:53]
	s_waitcnt vmcnt(8) lgkmcnt(0)
	v_mul_f64 v[52:53], v[6:7], v[24:25]
	v_mul_f64 v[24:25], v[8:9], v[24:25]
	v_fma_f64 v[50:51], v[4:5], v[18:19], v[50:51]
	v_fma_f64 v[18:19], v[2:3], v[18:19], -v[20:21]
	ds_load_b128 v[2:5], v1 offset:1728
	v_add_f64 v[20:21], v[44:45], v[54:55]
	v_add_f64 v[44:45], v[46:47], v[48:49]
	v_fma_f64 v[48:49], v[8:9], v[22:23], v[52:53]
	v_fma_f64 v[22:23], v[6:7], v[22:23], -v[24:25]
	ds_load_b128 v[6:9], v1 offset:1744
	s_waitcnt vmcnt(7) lgkmcnt(1)
	v_mul_f64 v[46:47], v[2:3], v[28:29]
	v_mul_f64 v[28:29], v[4:5], v[28:29]
	v_add_f64 v[18:19], v[20:21], v[18:19]
	v_add_f64 v[20:21], v[44:45], v[50:51]
	s_delay_alu instid0(VALU_DEP_4) | instskip(NEXT) | instid1(VALU_DEP_4)
	v_fma_f64 v[44:45], v[4:5], v[26:27], v[46:47]
	v_fma_f64 v[26:27], v[2:3], v[26:27], -v[28:29]
	ds_load_b128 v[2:5], v1 offset:1760
	v_add_f64 v[22:23], v[18:19], v[22:23]
	v_add_f64 v[28:29], v[20:21], v[48:49]
	scratch_load_b128 v[18:21], off, off offset:528
	s_waitcnt vmcnt(7) lgkmcnt(1)
	v_mul_f64 v[24:25], v[6:7], v[32:33]
	v_mul_f64 v[32:33], v[8:9], v[32:33]
	v_add_f64 v[22:23], v[22:23], v[26:27]
	v_add_f64 v[26:27], v[28:29], v[44:45]
	s_delay_alu instid0(VALU_DEP_4) | instskip(NEXT) | instid1(VALU_DEP_4)
	v_fma_f64 v[24:25], v[8:9], v[30:31], v[24:25]
	v_fma_f64 v[30:31], v[6:7], v[30:31], -v[32:33]
	ds_load_b128 v[6:9], v1 offset:1776
	s_waitcnt vmcnt(6) lgkmcnt(1)
	v_mul_f64 v[46:47], v[2:3], v[40:41]
	v_mul_f64 v[40:41], v[4:5], v[40:41]
	s_waitcnt vmcnt(5) lgkmcnt(0)
	v_mul_f64 v[28:29], v[6:7], v[177:178]
	v_mul_f64 v[32:33], v[8:9], v[177:178]
	v_add_f64 v[24:25], v[26:27], v[24:25]
	v_add_f64 v[22:23], v[22:23], v[30:31]
	v_fma_f64 v[44:45], v[4:5], v[38:39], v[46:47]
	v_fma_f64 v[38:39], v[2:3], v[38:39], -v[40:41]
	ds_load_b128 v[2:5], v1 offset:1792
	v_fma_f64 v[28:29], v[8:9], v[175:176], v[28:29]
	v_fma_f64 v[32:33], v[6:7], v[175:176], -v[32:33]
	ds_load_b128 v[6:9], v1 offset:1808
	s_waitcnt vmcnt(4) lgkmcnt(1)
	v_mul_f64 v[26:27], v[2:3], v[36:37]
	v_mul_f64 v[30:31], v[4:5], v[36:37]
	v_add_f64 v[24:25], v[24:25], v[44:45]
	v_add_f64 v[22:23], v[22:23], v[38:39]
	s_waitcnt vmcnt(3) lgkmcnt(0)
	v_mul_f64 v[36:37], v[6:7], v[173:174]
	v_mul_f64 v[38:39], v[8:9], v[173:174]
	v_fma_f64 v[26:27], v[4:5], v[34:35], v[26:27]
	v_fma_f64 v[30:31], v[2:3], v[34:35], -v[30:31]
	ds_load_b128 v[2:5], v1 offset:1824
	v_add_f64 v[24:25], v[24:25], v[28:29]
	v_add_f64 v[22:23], v[22:23], v[32:33]
	v_fma_f64 v[32:33], v[8:9], v[171:172], v[36:37]
	v_fma_f64 v[34:35], v[6:7], v[171:172], -v[38:39]
	ds_load_b128 v[6:9], v1 offset:1840
	s_waitcnt vmcnt(2) lgkmcnt(1)
	v_mul_f64 v[28:29], v[2:3], v[12:13]
	v_mul_f64 v[12:13], v[4:5], v[12:13]
	v_add_f64 v[24:25], v[24:25], v[26:27]
	v_add_f64 v[22:23], v[22:23], v[30:31]
	s_waitcnt vmcnt(1) lgkmcnt(0)
	v_mul_f64 v[26:27], v[6:7], v[16:17]
	v_mul_f64 v[16:17], v[8:9], v[16:17]
	v_fma_f64 v[4:5], v[4:5], v[10:11], v[28:29]
	v_fma_f64 v[1:2], v[2:3], v[10:11], -v[12:13]
	v_add_f64 v[12:13], v[24:25], v[32:33]
	v_add_f64 v[10:11], v[22:23], v[34:35]
	v_fma_f64 v[8:9], v[8:9], v[14:15], v[26:27]
	v_fma_f64 v[6:7], v[6:7], v[14:15], -v[16:17]
	s_delay_alu instid0(VALU_DEP_4) | instskip(NEXT) | instid1(VALU_DEP_4)
	v_add_f64 v[3:4], v[12:13], v[4:5]
	v_add_f64 v[1:2], v[10:11], v[1:2]
	s_delay_alu instid0(VALU_DEP_2) | instskip(NEXT) | instid1(VALU_DEP_2)
	v_add_f64 v[3:4], v[3:4], v[8:9]
	v_add_f64 v[1:2], v[1:2], v[6:7]
	s_waitcnt vmcnt(0)
	s_delay_alu instid0(VALU_DEP_2) | instskip(NEXT) | instid1(VALU_DEP_2)
	v_add_f64 v[3:4], v[20:21], -v[3:4]
	v_add_f64 v[1:2], v[18:19], -v[1:2]
	scratch_store_b128 off, v[1:4], off offset:528
	v_cmpx_lt_u32_e32 32, v158
	s_cbranch_execz .LBB121_297
; %bb.296:
	scratch_load_b32 v1, off, off offset:952 ; 4-byte Folded Reload
	v_mov_b32_e32 v5, 0
	s_delay_alu instid0(VALU_DEP_1)
	v_mov_b32_e32 v6, v5
	v_mov_b32_e32 v7, v5
	;; [unrolled: 1-line block ×3, first 2 shown]
	s_waitcnt vmcnt(0)
	scratch_load_b128 v[1:4], v1, off
	scratch_store_b128 off, v[5:8], off offset:512
	s_waitcnt vmcnt(0)
	ds_store_b128 v216, v[1:4]
.LBB121_297:
	s_or_b32 exec_lo, exec_lo, s2
	s_waitcnt lgkmcnt(0)
	s_waitcnt_vscnt null, 0x0
	s_barrier
	buffer_gl0_inv
	s_clause 0x7
	scratch_load_b128 v[2:5], off, off offset:528
	scratch_load_b128 v[6:9], off, off offset:544
	scratch_load_b128 v[10:13], off, off offset:560
	scratch_load_b128 v[14:17], off, off offset:576
	scratch_load_b128 v[18:21], off, off offset:592
	scratch_load_b128 v[22:25], off, off offset:608
	scratch_load_b128 v[26:29], off, off offset:624
	scratch_load_b128 v[30:33], off, off offset:640
	v_mov_b32_e32 v1, 0
	s_clause 0x1
	scratch_load_b128 v[38:41], off, off offset:656
	scratch_load_b128 v[175:178], off, off offset:672
	s_mov_b32 s2, exec_lo
	ds_load_b128 v[34:37], v1 offset:1456
	ds_load_b128 v[171:174], v1 offset:1472
	s_waitcnt vmcnt(9) lgkmcnt(1)
	v_mul_f64 v[44:45], v[36:37], v[4:5]
	v_mul_f64 v[4:5], v[34:35], v[4:5]
	s_waitcnt vmcnt(8) lgkmcnt(0)
	v_mul_f64 v[46:47], v[171:172], v[8:9]
	v_mul_f64 v[8:9], v[173:174], v[8:9]
	s_delay_alu instid0(VALU_DEP_4) | instskip(NEXT) | instid1(VALU_DEP_4)
	v_fma_f64 v[44:45], v[34:35], v[2:3], -v[44:45]
	v_fma_f64 v[48:49], v[36:37], v[2:3], v[4:5]
	ds_load_b128 v[2:5], v1 offset:1488
	scratch_load_b128 v[34:37], off, off offset:688
	v_fma_f64 v[46:47], v[173:174], v[6:7], v[46:47]
	v_fma_f64 v[52:53], v[171:172], v[6:7], -v[8:9]
	scratch_load_b128 v[171:174], off, off offset:704
	ds_load_b128 v[6:9], v1 offset:1504
	s_waitcnt vmcnt(9) lgkmcnt(1)
	v_mul_f64 v[50:51], v[2:3], v[12:13]
	v_mul_f64 v[12:13], v[4:5], v[12:13]
	s_waitcnt vmcnt(8) lgkmcnt(0)
	v_mul_f64 v[54:55], v[6:7], v[16:17]
	v_mul_f64 v[16:17], v[8:9], v[16:17]
	v_add_f64 v[44:45], v[44:45], 0
	v_add_f64 v[48:49], v[48:49], 0
	v_fma_f64 v[50:51], v[4:5], v[10:11], v[50:51]
	v_fma_f64 v[56:57], v[2:3], v[10:11], -v[12:13]
	ds_load_b128 v[2:5], v1 offset:1520
	scratch_load_b128 v[10:13], off, off offset:720
	v_add_f64 v[44:45], v[44:45], v[52:53]
	v_add_f64 v[46:47], v[48:49], v[46:47]
	v_fma_f64 v[52:53], v[8:9], v[14:15], v[54:55]
	v_fma_f64 v[54:55], v[6:7], v[14:15], -v[16:17]
	scratch_load_b128 v[14:17], off, off offset:736
	ds_load_b128 v[6:9], v1 offset:1536
	s_waitcnt vmcnt(9) lgkmcnt(1)
	v_mul_f64 v[48:49], v[2:3], v[20:21]
	v_mul_f64 v[20:21], v[4:5], v[20:21]
	v_add_f64 v[44:45], v[44:45], v[56:57]
	v_add_f64 v[46:47], v[46:47], v[50:51]
	s_waitcnt vmcnt(8) lgkmcnt(0)
	v_mul_f64 v[50:51], v[6:7], v[24:25]
	v_mul_f64 v[24:25], v[8:9], v[24:25]
	v_fma_f64 v[48:49], v[4:5], v[18:19], v[48:49]
	v_fma_f64 v[56:57], v[2:3], v[18:19], -v[20:21]
	ds_load_b128 v[2:5], v1 offset:1552
	scratch_load_b128 v[18:21], off, off offset:752
	v_add_f64 v[44:45], v[44:45], v[54:55]
	v_add_f64 v[46:47], v[46:47], v[52:53]
	v_fma_f64 v[50:51], v[8:9], v[22:23], v[50:51]
	v_fma_f64 v[54:55], v[6:7], v[22:23], -v[24:25]
	scratch_load_b128 v[22:25], off, off offset:768
	ds_load_b128 v[6:9], v1 offset:1568
	s_waitcnt vmcnt(9) lgkmcnt(1)
	v_mul_f64 v[52:53], v[2:3], v[28:29]
	v_mul_f64 v[28:29], v[4:5], v[28:29]
	v_add_f64 v[44:45], v[44:45], v[56:57]
	v_add_f64 v[46:47], v[46:47], v[48:49]
	s_waitcnt vmcnt(8) lgkmcnt(0)
	v_mul_f64 v[48:49], v[6:7], v[32:33]
	v_mul_f64 v[32:33], v[8:9], v[32:33]
	;; [unrolled: 18-line block ×3, first 2 shown]
	v_fma_f64 v[50:51], v[4:5], v[38:39], v[50:51]
	v_fma_f64 v[58:59], v[2:3], v[38:39], -v[40:41]
	ds_load_b128 v[2:5], v1 offset:1616
	scratch_load_b128 v[38:41], off, off offset:816
	v_add_f64 v[44:45], v[44:45], v[54:55]
	v_add_f64 v[46:47], v[46:47], v[48:49]
	v_fma_f64 v[52:53], v[8:9], v[175:176], v[52:53]
	v_fma_f64 v[54:55], v[6:7], v[175:176], -v[56:57]
	ds_load_b128 v[6:9], v1 offset:1632
	scratch_load_b128 v[175:178], off, off offset:832
	s_waitcnt vmcnt(9) lgkmcnt(1)
	v_mul_f64 v[48:49], v[2:3], v[36:37]
	v_mul_f64 v[36:37], v[4:5], v[36:37]
	s_waitcnt vmcnt(8) lgkmcnt(0)
	v_mul_f64 v[56:57], v[8:9], v[173:174]
	v_add_f64 v[44:45], v[44:45], v[58:59]
	v_add_f64 v[46:47], v[46:47], v[50:51]
	v_mul_f64 v[50:51], v[6:7], v[173:174]
	v_fma_f64 v[48:49], v[4:5], v[34:35], v[48:49]
	v_fma_f64 v[58:59], v[2:3], v[34:35], -v[36:37]
	scratch_load_b128 v[34:37], off, off offset:848
	ds_load_b128 v[2:5], v1 offset:1648
	v_add_f64 v[44:45], v[44:45], v[54:55]
	v_add_f64 v[46:47], v[46:47], v[52:53]
	v_fma_f64 v[50:51], v[8:9], v[171:172], v[50:51]
	v_fma_f64 v[54:55], v[6:7], v[171:172], -v[56:57]
	ds_load_b128 v[6:9], v1 offset:1664
	s_waitcnt vmcnt(8) lgkmcnt(1)
	v_mul_f64 v[52:53], v[2:3], v[12:13]
	v_mul_f64 v[12:13], v[4:5], v[12:13]
	scratch_load_b128 v[171:174], off, off offset:864
	v_add_f64 v[44:45], v[44:45], v[58:59]
	v_add_f64 v[46:47], v[46:47], v[48:49]
	s_waitcnt vmcnt(8) lgkmcnt(0)
	v_mul_f64 v[48:49], v[6:7], v[16:17]
	v_mul_f64 v[16:17], v[8:9], v[16:17]
	v_fma_f64 v[52:53], v[4:5], v[10:11], v[52:53]
	v_fma_f64 v[56:57], v[2:3], v[10:11], -v[12:13]
	scratch_load_b128 v[10:13], off, off offset:880
	ds_load_b128 v[2:5], v1 offset:1680
	v_add_f64 v[44:45], v[44:45], v[54:55]
	v_add_f64 v[46:47], v[46:47], v[50:51]
	v_fma_f64 v[48:49], v[8:9], v[14:15], v[48:49]
	v_fma_f64 v[54:55], v[6:7], v[14:15], -v[16:17]
	ds_load_b128 v[6:9], v1 offset:1696
	s_waitcnt vmcnt(8) lgkmcnt(1)
	v_mul_f64 v[50:51], v[2:3], v[20:21]
	v_mul_f64 v[20:21], v[4:5], v[20:21]
	scratch_load_b128 v[14:17], off, off offset:896
	v_add_f64 v[44:45], v[44:45], v[56:57]
	v_add_f64 v[46:47], v[46:47], v[52:53]
	s_waitcnt vmcnt(8) lgkmcnt(0)
	v_mul_f64 v[52:53], v[6:7], v[24:25]
	v_mul_f64 v[24:25], v[8:9], v[24:25]
	v_fma_f64 v[50:51], v[4:5], v[18:19], v[50:51]
	v_fma_f64 v[56:57], v[2:3], v[18:19], -v[20:21]
	scratch_load_b128 v[18:21], off, off offset:912
	ds_load_b128 v[2:5], v1 offset:1712
	v_add_f64 v[44:45], v[44:45], v[54:55]
	v_add_f64 v[46:47], v[46:47], v[48:49]
	v_fma_f64 v[52:53], v[8:9], v[22:23], v[52:53]
	v_fma_f64 v[22:23], v[6:7], v[22:23], -v[24:25]
	ds_load_b128 v[6:9], v1 offset:1728
	s_waitcnt vmcnt(8) lgkmcnt(1)
	v_mul_f64 v[48:49], v[2:3], v[28:29]
	v_mul_f64 v[28:29], v[4:5], v[28:29]
	v_add_f64 v[24:25], v[44:45], v[56:57]
	v_add_f64 v[44:45], v[46:47], v[50:51]
	s_waitcnt vmcnt(7) lgkmcnt(0)
	v_mul_f64 v[46:47], v[6:7], v[32:33]
	v_mul_f64 v[32:33], v[8:9], v[32:33]
	v_fma_f64 v[48:49], v[4:5], v[26:27], v[48:49]
	v_fma_f64 v[26:27], v[2:3], v[26:27], -v[28:29]
	ds_load_b128 v[2:5], v1 offset:1744
	v_add_f64 v[22:23], v[24:25], v[22:23]
	v_add_f64 v[24:25], v[44:45], v[52:53]
	v_fma_f64 v[44:45], v[8:9], v[30:31], v[46:47]
	v_fma_f64 v[30:31], v[6:7], v[30:31], -v[32:33]
	ds_load_b128 v[6:9], v1 offset:1760
	s_waitcnt vmcnt(5) lgkmcnt(0)
	v_mul_f64 v[46:47], v[6:7], v[177:178]
	v_add_f64 v[26:27], v[22:23], v[26:27]
	v_add_f64 v[32:33], v[24:25], v[48:49]
	scratch_load_b128 v[22:25], off, off offset:512
	v_mul_f64 v[28:29], v[2:3], v[40:41]
	v_mul_f64 v[40:41], v[4:5], v[40:41]
	;; [unrolled: 1-line block ×3, first 2 shown]
	v_add_f64 v[26:27], v[26:27], v[30:31]
	v_add_f64 v[30:31], v[32:33], v[44:45]
	v_fma_f64 v[28:29], v[4:5], v[38:39], v[28:29]
	v_fma_f64 v[38:39], v[2:3], v[38:39], -v[40:41]
	ds_load_b128 v[2:5], v1 offset:1776
	v_fma_f64 v[40:41], v[8:9], v[175:176], v[46:47]
	v_fma_f64 v[44:45], v[6:7], v[175:176], -v[48:49]
	ds_load_b128 v[6:9], v1 offset:1792
	s_waitcnt vmcnt(5) lgkmcnt(1)
	v_mul_f64 v[32:33], v[2:3], v[36:37]
	v_mul_f64 v[36:37], v[4:5], v[36:37]
	v_add_f64 v[28:29], v[30:31], v[28:29]
	v_add_f64 v[26:27], v[26:27], v[38:39]
	s_waitcnt vmcnt(4) lgkmcnt(0)
	v_mul_f64 v[30:31], v[6:7], v[173:174]
	v_mul_f64 v[38:39], v[8:9], v[173:174]
	v_fma_f64 v[32:33], v[4:5], v[34:35], v[32:33]
	v_fma_f64 v[34:35], v[2:3], v[34:35], -v[36:37]
	ds_load_b128 v[2:5], v1 offset:1808
	v_add_f64 v[28:29], v[28:29], v[40:41]
	v_add_f64 v[26:27], v[26:27], v[44:45]
	v_fma_f64 v[30:31], v[8:9], v[171:172], v[30:31]
	v_fma_f64 v[38:39], v[6:7], v[171:172], -v[38:39]
	ds_load_b128 v[6:9], v1 offset:1824
	s_waitcnt vmcnt(3) lgkmcnt(1)
	v_mul_f64 v[36:37], v[2:3], v[12:13]
	v_mul_f64 v[12:13], v[4:5], v[12:13]
	v_add_f64 v[28:29], v[28:29], v[32:33]
	v_add_f64 v[26:27], v[26:27], v[34:35]
	s_waitcnt vmcnt(2) lgkmcnt(0)
	v_mul_f64 v[32:33], v[6:7], v[16:17]
	v_mul_f64 v[16:17], v[8:9], v[16:17]
	v_fma_f64 v[34:35], v[4:5], v[10:11], v[36:37]
	v_fma_f64 v[10:11], v[2:3], v[10:11], -v[12:13]
	ds_load_b128 v[2:5], v1 offset:1840
	v_add_f64 v[12:13], v[26:27], v[38:39]
	v_add_f64 v[26:27], v[28:29], v[30:31]
	s_waitcnt vmcnt(1) lgkmcnt(0)
	v_mul_f64 v[28:29], v[2:3], v[20:21]
	v_mul_f64 v[20:21], v[4:5], v[20:21]
	v_fma_f64 v[8:9], v[8:9], v[14:15], v[32:33]
	v_fma_f64 v[6:7], v[6:7], v[14:15], -v[16:17]
	v_add_f64 v[10:11], v[12:13], v[10:11]
	v_add_f64 v[12:13], v[26:27], v[34:35]
	v_fma_f64 v[4:5], v[4:5], v[18:19], v[28:29]
	v_fma_f64 v[2:3], v[2:3], v[18:19], -v[20:21]
	s_delay_alu instid0(VALU_DEP_4) | instskip(NEXT) | instid1(VALU_DEP_4)
	v_add_f64 v[6:7], v[10:11], v[6:7]
	v_add_f64 v[8:9], v[12:13], v[8:9]
	s_delay_alu instid0(VALU_DEP_2) | instskip(NEXT) | instid1(VALU_DEP_2)
	v_add_f64 v[2:3], v[6:7], v[2:3]
	v_add_f64 v[4:5], v[8:9], v[4:5]
	s_waitcnt vmcnt(0)
	s_delay_alu instid0(VALU_DEP_2) | instskip(NEXT) | instid1(VALU_DEP_2)
	v_add_f64 v[2:3], v[22:23], -v[2:3]
	v_add_f64 v[4:5], v[24:25], -v[4:5]
	scratch_store_b128 off, v[2:5], off offset:512
	v_cmpx_lt_u32_e32 31, v158
	s_cbranch_execz .LBB121_299
; %bb.298:
	scratch_load_b32 v2, off, off offset:960 ; 4-byte Folded Reload
	v_mov_b32_e32 v3, v1
	v_mov_b32_e32 v4, v1
	s_waitcnt vmcnt(0)
	scratch_load_b128 v[5:8], v2, off
	v_mov_b32_e32 v2, v1
	scratch_store_b128 off, v[1:4], off offset:496
	s_waitcnt vmcnt(0)
	ds_store_b128 v216, v[5:8]
.LBB121_299:
	s_or_b32 exec_lo, exec_lo, s2
	s_waitcnt lgkmcnt(0)
	s_waitcnt_vscnt null, 0x0
	s_barrier
	buffer_gl0_inv
	s_clause 0x7
	scratch_load_b128 v[2:5], off, off offset:512
	scratch_load_b128 v[6:9], off, off offset:528
	;; [unrolled: 1-line block ×8, first 2 shown]
	ds_load_b128 v[38:41], v1 offset:1440
	ds_load_b128 v[171:174], v1 offset:1456
	s_clause 0x1
	scratch_load_b128 v[34:37], off, off offset:640
	scratch_load_b128 v[175:178], off, off offset:656
	s_mov_b32 s2, exec_lo
	s_waitcnt vmcnt(9) lgkmcnt(1)
	v_mul_f64 v[44:45], v[40:41], v[4:5]
	v_mul_f64 v[4:5], v[38:39], v[4:5]
	s_waitcnt vmcnt(8) lgkmcnt(0)
	v_mul_f64 v[46:47], v[171:172], v[8:9]
	v_mul_f64 v[8:9], v[173:174], v[8:9]
	s_delay_alu instid0(VALU_DEP_4) | instskip(NEXT) | instid1(VALU_DEP_4)
	v_fma_f64 v[44:45], v[38:39], v[2:3], -v[44:45]
	v_fma_f64 v[48:49], v[40:41], v[2:3], v[4:5]
	ds_load_b128 v[2:5], v1 offset:1472
	scratch_load_b128 v[38:41], off, off offset:672
	v_fma_f64 v[46:47], v[173:174], v[6:7], v[46:47]
	v_fma_f64 v[52:53], v[171:172], v[6:7], -v[8:9]
	scratch_load_b128 v[171:174], off, off offset:688
	ds_load_b128 v[6:9], v1 offset:1488
	s_waitcnt vmcnt(9) lgkmcnt(1)
	v_mul_f64 v[50:51], v[2:3], v[12:13]
	v_mul_f64 v[12:13], v[4:5], v[12:13]
	s_waitcnt vmcnt(8) lgkmcnt(0)
	v_mul_f64 v[54:55], v[6:7], v[16:17]
	v_mul_f64 v[16:17], v[8:9], v[16:17]
	v_add_f64 v[44:45], v[44:45], 0
	v_add_f64 v[48:49], v[48:49], 0
	v_fma_f64 v[50:51], v[4:5], v[10:11], v[50:51]
	v_fma_f64 v[56:57], v[2:3], v[10:11], -v[12:13]
	ds_load_b128 v[2:5], v1 offset:1504
	scratch_load_b128 v[10:13], off, off offset:704
	v_add_f64 v[44:45], v[44:45], v[52:53]
	v_add_f64 v[46:47], v[48:49], v[46:47]
	v_fma_f64 v[52:53], v[8:9], v[14:15], v[54:55]
	v_fma_f64 v[54:55], v[6:7], v[14:15], -v[16:17]
	scratch_load_b128 v[14:17], off, off offset:720
	ds_load_b128 v[6:9], v1 offset:1520
	s_waitcnt vmcnt(9) lgkmcnt(1)
	v_mul_f64 v[48:49], v[2:3], v[20:21]
	v_mul_f64 v[20:21], v[4:5], v[20:21]
	v_add_f64 v[44:45], v[44:45], v[56:57]
	v_add_f64 v[46:47], v[46:47], v[50:51]
	s_waitcnt vmcnt(8) lgkmcnt(0)
	v_mul_f64 v[50:51], v[6:7], v[24:25]
	v_mul_f64 v[24:25], v[8:9], v[24:25]
	v_fma_f64 v[48:49], v[4:5], v[18:19], v[48:49]
	v_fma_f64 v[56:57], v[2:3], v[18:19], -v[20:21]
	ds_load_b128 v[2:5], v1 offset:1536
	scratch_load_b128 v[18:21], off, off offset:736
	v_add_f64 v[44:45], v[44:45], v[54:55]
	v_add_f64 v[46:47], v[46:47], v[52:53]
	v_fma_f64 v[50:51], v[8:9], v[22:23], v[50:51]
	v_fma_f64 v[54:55], v[6:7], v[22:23], -v[24:25]
	scratch_load_b128 v[22:25], off, off offset:752
	ds_load_b128 v[6:9], v1 offset:1552
	s_waitcnt vmcnt(9) lgkmcnt(1)
	v_mul_f64 v[52:53], v[2:3], v[28:29]
	v_mul_f64 v[28:29], v[4:5], v[28:29]
	v_add_f64 v[44:45], v[44:45], v[56:57]
	v_add_f64 v[46:47], v[46:47], v[48:49]
	s_waitcnt vmcnt(8) lgkmcnt(0)
	v_mul_f64 v[48:49], v[6:7], v[32:33]
	v_mul_f64 v[32:33], v[8:9], v[32:33]
	;; [unrolled: 18-line block ×3, first 2 shown]
	v_fma_f64 v[50:51], v[4:5], v[34:35], v[50:51]
	v_fma_f64 v[58:59], v[2:3], v[34:35], -v[36:37]
	ds_load_b128 v[2:5], v1 offset:1600
	scratch_load_b128 v[34:37], off, off offset:800
	v_add_f64 v[44:45], v[44:45], v[54:55]
	v_add_f64 v[46:47], v[46:47], v[48:49]
	v_fma_f64 v[52:53], v[8:9], v[175:176], v[52:53]
	v_fma_f64 v[54:55], v[6:7], v[175:176], -v[56:57]
	ds_load_b128 v[6:9], v1 offset:1616
	scratch_load_b128 v[175:178], off, off offset:816
	s_waitcnt vmcnt(9) lgkmcnt(1)
	v_mul_f64 v[48:49], v[2:3], v[40:41]
	v_mul_f64 v[40:41], v[4:5], v[40:41]
	s_waitcnt vmcnt(8) lgkmcnt(0)
	v_mul_f64 v[56:57], v[8:9], v[173:174]
	v_add_f64 v[44:45], v[44:45], v[58:59]
	v_add_f64 v[46:47], v[46:47], v[50:51]
	v_mul_f64 v[50:51], v[6:7], v[173:174]
	v_fma_f64 v[48:49], v[4:5], v[38:39], v[48:49]
	v_fma_f64 v[58:59], v[2:3], v[38:39], -v[40:41]
	ds_load_b128 v[2:5], v1 offset:1632
	scratch_load_b128 v[38:41], off, off offset:832
	v_add_f64 v[44:45], v[44:45], v[54:55]
	v_add_f64 v[46:47], v[46:47], v[52:53]
	v_fma_f64 v[50:51], v[8:9], v[171:172], v[50:51]
	v_fma_f64 v[54:55], v[6:7], v[171:172], -v[56:57]
	ds_load_b128 v[6:9], v1 offset:1648
	s_waitcnt vmcnt(8) lgkmcnt(1)
	v_mul_f64 v[52:53], v[2:3], v[12:13]
	v_mul_f64 v[12:13], v[4:5], v[12:13]
	scratch_load_b128 v[171:174], off, off offset:848
	v_add_f64 v[44:45], v[44:45], v[58:59]
	v_add_f64 v[46:47], v[46:47], v[48:49]
	s_waitcnt vmcnt(8) lgkmcnt(0)
	v_mul_f64 v[48:49], v[6:7], v[16:17]
	v_mul_f64 v[16:17], v[8:9], v[16:17]
	v_fma_f64 v[52:53], v[4:5], v[10:11], v[52:53]
	v_fma_f64 v[56:57], v[2:3], v[10:11], -v[12:13]
	scratch_load_b128 v[10:13], off, off offset:864
	ds_load_b128 v[2:5], v1 offset:1664
	v_add_f64 v[44:45], v[44:45], v[54:55]
	v_add_f64 v[46:47], v[46:47], v[50:51]
	v_fma_f64 v[48:49], v[8:9], v[14:15], v[48:49]
	v_fma_f64 v[54:55], v[6:7], v[14:15], -v[16:17]
	ds_load_b128 v[6:9], v1 offset:1680
	s_waitcnt vmcnt(8) lgkmcnt(1)
	v_mul_f64 v[50:51], v[2:3], v[20:21]
	v_mul_f64 v[20:21], v[4:5], v[20:21]
	scratch_load_b128 v[14:17], off, off offset:880
	v_add_f64 v[44:45], v[44:45], v[56:57]
	v_add_f64 v[46:47], v[46:47], v[52:53]
	s_waitcnt vmcnt(8) lgkmcnt(0)
	v_mul_f64 v[52:53], v[6:7], v[24:25]
	v_mul_f64 v[24:25], v[8:9], v[24:25]
	v_fma_f64 v[50:51], v[4:5], v[18:19], v[50:51]
	v_fma_f64 v[56:57], v[2:3], v[18:19], -v[20:21]
	scratch_load_b128 v[18:21], off, off offset:896
	ds_load_b128 v[2:5], v1 offset:1696
	v_add_f64 v[44:45], v[44:45], v[54:55]
	v_add_f64 v[46:47], v[46:47], v[48:49]
	v_fma_f64 v[52:53], v[8:9], v[22:23], v[52:53]
	v_fma_f64 v[54:55], v[6:7], v[22:23], -v[24:25]
	ds_load_b128 v[6:9], v1 offset:1712
	s_waitcnt vmcnt(8) lgkmcnt(1)
	v_mul_f64 v[48:49], v[2:3], v[28:29]
	v_mul_f64 v[28:29], v[4:5], v[28:29]
	scratch_load_b128 v[22:25], off, off offset:912
	v_add_f64 v[44:45], v[44:45], v[56:57]
	v_add_f64 v[46:47], v[46:47], v[50:51]
	s_waitcnt vmcnt(8) lgkmcnt(0)
	v_mul_f64 v[50:51], v[6:7], v[32:33]
	v_mul_f64 v[32:33], v[8:9], v[32:33]
	v_fma_f64 v[48:49], v[4:5], v[26:27], v[48:49]
	v_fma_f64 v[26:27], v[2:3], v[26:27], -v[28:29]
	ds_load_b128 v[2:5], v1 offset:1728
	v_add_f64 v[28:29], v[44:45], v[54:55]
	v_add_f64 v[44:45], v[46:47], v[52:53]
	v_fma_f64 v[50:51], v[8:9], v[30:31], v[50:51]
	v_fma_f64 v[30:31], v[6:7], v[30:31], -v[32:33]
	ds_load_b128 v[6:9], v1 offset:1744
	s_waitcnt vmcnt(7) lgkmcnt(1)
	v_mul_f64 v[46:47], v[2:3], v[36:37]
	v_mul_f64 v[36:37], v[4:5], v[36:37]
	v_add_f64 v[26:27], v[28:29], v[26:27]
	v_add_f64 v[28:29], v[44:45], v[48:49]
	s_delay_alu instid0(VALU_DEP_4) | instskip(NEXT) | instid1(VALU_DEP_4)
	v_fma_f64 v[46:47], v[4:5], v[34:35], v[46:47]
	v_fma_f64 v[34:35], v[2:3], v[34:35], -v[36:37]
	ds_load_b128 v[2:5], v1 offset:1760
	v_add_f64 v[30:31], v[26:27], v[30:31]
	v_add_f64 v[36:37], v[28:29], v[50:51]
	scratch_load_b128 v[26:29], off, off offset:496
	s_waitcnt vmcnt(7) lgkmcnt(1)
	v_mul_f64 v[32:33], v[6:7], v[177:178]
	v_mul_f64 v[44:45], v[8:9], v[177:178]
	v_add_f64 v[30:31], v[30:31], v[34:35]
	v_add_f64 v[34:35], v[36:37], v[46:47]
	s_delay_alu instid0(VALU_DEP_4) | instskip(NEXT) | instid1(VALU_DEP_4)
	v_fma_f64 v[32:33], v[8:9], v[175:176], v[32:33]
	v_fma_f64 v[44:45], v[6:7], v[175:176], -v[44:45]
	ds_load_b128 v[6:9], v1 offset:1776
	s_waitcnt vmcnt(6) lgkmcnt(1)
	v_mul_f64 v[48:49], v[2:3], v[40:41]
	v_mul_f64 v[40:41], v[4:5], v[40:41]
	s_waitcnt vmcnt(5) lgkmcnt(0)
	v_mul_f64 v[36:37], v[6:7], v[173:174]
	v_mul_f64 v[46:47], v[8:9], v[173:174]
	v_add_f64 v[32:33], v[34:35], v[32:33]
	v_add_f64 v[30:31], v[30:31], v[44:45]
	v_fma_f64 v[48:49], v[4:5], v[38:39], v[48:49]
	v_fma_f64 v[38:39], v[2:3], v[38:39], -v[40:41]
	ds_load_b128 v[2:5], v1 offset:1792
	v_fma_f64 v[36:37], v[8:9], v[171:172], v[36:37]
	v_fma_f64 v[40:41], v[6:7], v[171:172], -v[46:47]
	ds_load_b128 v[6:9], v1 offset:1808
	s_waitcnt vmcnt(4) lgkmcnt(1)
	v_mul_f64 v[34:35], v[2:3], v[12:13]
	v_mul_f64 v[12:13], v[4:5], v[12:13]
	v_add_f64 v[32:33], v[32:33], v[48:49]
	v_add_f64 v[30:31], v[30:31], v[38:39]
	s_waitcnt vmcnt(3) lgkmcnt(0)
	v_mul_f64 v[38:39], v[6:7], v[16:17]
	v_mul_f64 v[16:17], v[8:9], v[16:17]
	v_fma_f64 v[34:35], v[4:5], v[10:11], v[34:35]
	v_fma_f64 v[10:11], v[2:3], v[10:11], -v[12:13]
	ds_load_b128 v[2:5], v1 offset:1824
	v_add_f64 v[12:13], v[30:31], v[40:41]
	v_add_f64 v[30:31], v[32:33], v[36:37]
	v_fma_f64 v[36:37], v[8:9], v[14:15], v[38:39]
	v_fma_f64 v[14:15], v[6:7], v[14:15], -v[16:17]
	ds_load_b128 v[6:9], v1 offset:1840
	s_waitcnt vmcnt(2) lgkmcnt(1)
	v_mul_f64 v[32:33], v[2:3], v[20:21]
	v_mul_f64 v[20:21], v[4:5], v[20:21]
	s_waitcnt vmcnt(1) lgkmcnt(0)
	v_mul_f64 v[16:17], v[6:7], v[24:25]
	v_mul_f64 v[24:25], v[8:9], v[24:25]
	v_add_f64 v[10:11], v[12:13], v[10:11]
	v_add_f64 v[12:13], v[30:31], v[34:35]
	v_fma_f64 v[4:5], v[4:5], v[18:19], v[32:33]
	v_fma_f64 v[1:2], v[2:3], v[18:19], -v[20:21]
	v_fma_f64 v[8:9], v[8:9], v[22:23], v[16:17]
	v_fma_f64 v[6:7], v[6:7], v[22:23], -v[24:25]
	v_add_f64 v[10:11], v[10:11], v[14:15]
	v_add_f64 v[12:13], v[12:13], v[36:37]
	s_delay_alu instid0(VALU_DEP_2) | instskip(NEXT) | instid1(VALU_DEP_2)
	v_add_f64 v[1:2], v[10:11], v[1:2]
	v_add_f64 v[3:4], v[12:13], v[4:5]
	s_delay_alu instid0(VALU_DEP_2) | instskip(NEXT) | instid1(VALU_DEP_2)
	v_add_f64 v[1:2], v[1:2], v[6:7]
	v_add_f64 v[3:4], v[3:4], v[8:9]
	s_waitcnt vmcnt(0)
	s_delay_alu instid0(VALU_DEP_2) | instskip(NEXT) | instid1(VALU_DEP_2)
	v_add_f64 v[1:2], v[26:27], -v[1:2]
	v_add_f64 v[3:4], v[28:29], -v[3:4]
	scratch_store_b128 off, v[1:4], off offset:496
	v_cmpx_lt_u32_e32 30, v158
	s_cbranch_execz .LBB121_301
; %bb.300:
	scratch_load_b32 v1, off, off offset:956 ; 4-byte Folded Reload
	v_mov_b32_e32 v5, 0
	s_delay_alu instid0(VALU_DEP_1)
	v_mov_b32_e32 v6, v5
	v_mov_b32_e32 v7, v5
	v_mov_b32_e32 v8, v5
	s_waitcnt vmcnt(0)
	scratch_load_b128 v[1:4], v1, off
	scratch_store_b128 off, v[5:8], off offset:480
	s_waitcnt vmcnt(0)
	ds_store_b128 v216, v[1:4]
.LBB121_301:
	s_or_b32 exec_lo, exec_lo, s2
	s_waitcnt lgkmcnt(0)
	s_waitcnt_vscnt null, 0x0
	s_barrier
	buffer_gl0_inv
	s_clause 0x7
	scratch_load_b128 v[2:5], off, off offset:496
	scratch_load_b128 v[6:9], off, off offset:512
	;; [unrolled: 1-line block ×8, first 2 shown]
	v_mov_b32_e32 v1, 0
	s_clause 0x1
	scratch_load_b128 v[34:37], off, off offset:624
	scratch_load_b128 v[175:178], off, off offset:640
	s_mov_b32 s2, exec_lo
	ds_load_b128 v[38:41], v1 offset:1424
	ds_load_b128 v[171:174], v1 offset:1440
	s_waitcnt vmcnt(9) lgkmcnt(1)
	v_mul_f64 v[44:45], v[40:41], v[4:5]
	v_mul_f64 v[4:5], v[38:39], v[4:5]
	s_waitcnt vmcnt(8) lgkmcnt(0)
	v_mul_f64 v[46:47], v[171:172], v[8:9]
	v_mul_f64 v[8:9], v[173:174], v[8:9]
	s_delay_alu instid0(VALU_DEP_4) | instskip(NEXT) | instid1(VALU_DEP_4)
	v_fma_f64 v[44:45], v[38:39], v[2:3], -v[44:45]
	v_fma_f64 v[48:49], v[40:41], v[2:3], v[4:5]
	ds_load_b128 v[2:5], v1 offset:1456
	scratch_load_b128 v[38:41], off, off offset:656
	v_fma_f64 v[46:47], v[173:174], v[6:7], v[46:47]
	v_fma_f64 v[52:53], v[171:172], v[6:7], -v[8:9]
	scratch_load_b128 v[171:174], off, off offset:672
	ds_load_b128 v[6:9], v1 offset:1472
	s_waitcnt vmcnt(9) lgkmcnt(1)
	v_mul_f64 v[50:51], v[2:3], v[12:13]
	v_mul_f64 v[12:13], v[4:5], v[12:13]
	s_waitcnt vmcnt(8) lgkmcnt(0)
	v_mul_f64 v[54:55], v[6:7], v[16:17]
	v_mul_f64 v[16:17], v[8:9], v[16:17]
	v_add_f64 v[44:45], v[44:45], 0
	v_add_f64 v[48:49], v[48:49], 0
	v_fma_f64 v[50:51], v[4:5], v[10:11], v[50:51]
	v_fma_f64 v[56:57], v[2:3], v[10:11], -v[12:13]
	ds_load_b128 v[2:5], v1 offset:1488
	scratch_load_b128 v[10:13], off, off offset:688
	v_add_f64 v[44:45], v[44:45], v[52:53]
	v_add_f64 v[46:47], v[48:49], v[46:47]
	v_fma_f64 v[52:53], v[8:9], v[14:15], v[54:55]
	v_fma_f64 v[54:55], v[6:7], v[14:15], -v[16:17]
	scratch_load_b128 v[14:17], off, off offset:704
	ds_load_b128 v[6:9], v1 offset:1504
	s_waitcnt vmcnt(9) lgkmcnt(1)
	v_mul_f64 v[48:49], v[2:3], v[20:21]
	v_mul_f64 v[20:21], v[4:5], v[20:21]
	v_add_f64 v[44:45], v[44:45], v[56:57]
	v_add_f64 v[46:47], v[46:47], v[50:51]
	s_waitcnt vmcnt(8) lgkmcnt(0)
	v_mul_f64 v[50:51], v[6:7], v[24:25]
	v_mul_f64 v[24:25], v[8:9], v[24:25]
	v_fma_f64 v[48:49], v[4:5], v[18:19], v[48:49]
	v_fma_f64 v[56:57], v[2:3], v[18:19], -v[20:21]
	ds_load_b128 v[2:5], v1 offset:1520
	scratch_load_b128 v[18:21], off, off offset:720
	v_add_f64 v[44:45], v[44:45], v[54:55]
	v_add_f64 v[46:47], v[46:47], v[52:53]
	v_fma_f64 v[50:51], v[8:9], v[22:23], v[50:51]
	v_fma_f64 v[54:55], v[6:7], v[22:23], -v[24:25]
	scratch_load_b128 v[22:25], off, off offset:736
	ds_load_b128 v[6:9], v1 offset:1536
	s_waitcnt vmcnt(9) lgkmcnt(1)
	v_mul_f64 v[52:53], v[2:3], v[28:29]
	v_mul_f64 v[28:29], v[4:5], v[28:29]
	v_add_f64 v[44:45], v[44:45], v[56:57]
	v_add_f64 v[46:47], v[46:47], v[48:49]
	s_waitcnt vmcnt(8) lgkmcnt(0)
	v_mul_f64 v[48:49], v[6:7], v[32:33]
	v_mul_f64 v[32:33], v[8:9], v[32:33]
	;; [unrolled: 18-line block ×3, first 2 shown]
	v_fma_f64 v[50:51], v[4:5], v[34:35], v[50:51]
	v_fma_f64 v[58:59], v[2:3], v[34:35], -v[36:37]
	ds_load_b128 v[2:5], v1 offset:1584
	scratch_load_b128 v[34:37], off, off offset:784
	v_add_f64 v[44:45], v[44:45], v[54:55]
	v_add_f64 v[46:47], v[46:47], v[48:49]
	v_fma_f64 v[52:53], v[8:9], v[175:176], v[52:53]
	v_fma_f64 v[54:55], v[6:7], v[175:176], -v[56:57]
	scratch_load_b128 v[175:178], off, off offset:800
	ds_load_b128 v[6:9], v1 offset:1600
	s_waitcnt vmcnt(9) lgkmcnt(1)
	v_mul_f64 v[48:49], v[2:3], v[40:41]
	v_mul_f64 v[40:41], v[4:5], v[40:41]
	s_waitcnt vmcnt(8) lgkmcnt(0)
	v_mul_f64 v[56:57], v[8:9], v[173:174]
	v_add_f64 v[44:45], v[44:45], v[58:59]
	v_add_f64 v[46:47], v[46:47], v[50:51]
	v_mul_f64 v[50:51], v[6:7], v[173:174]
	v_fma_f64 v[48:49], v[4:5], v[38:39], v[48:49]
	v_fma_f64 v[58:59], v[2:3], v[38:39], -v[40:41]
	ds_load_b128 v[2:5], v1 offset:1616
	scratch_load_b128 v[38:41], off, off offset:816
	v_add_f64 v[44:45], v[44:45], v[54:55]
	v_add_f64 v[46:47], v[46:47], v[52:53]
	v_fma_f64 v[50:51], v[8:9], v[171:172], v[50:51]
	v_fma_f64 v[54:55], v[6:7], v[171:172], -v[56:57]
	ds_load_b128 v[6:9], v1 offset:1632
	s_waitcnt vmcnt(8) lgkmcnt(1)
	v_mul_f64 v[52:53], v[2:3], v[12:13]
	v_mul_f64 v[12:13], v[4:5], v[12:13]
	scratch_load_b128 v[171:174], off, off offset:832
	v_add_f64 v[44:45], v[44:45], v[58:59]
	v_add_f64 v[46:47], v[46:47], v[48:49]
	s_waitcnt vmcnt(8) lgkmcnt(0)
	v_mul_f64 v[48:49], v[6:7], v[16:17]
	v_mul_f64 v[16:17], v[8:9], v[16:17]
	v_fma_f64 v[52:53], v[4:5], v[10:11], v[52:53]
	v_fma_f64 v[56:57], v[2:3], v[10:11], -v[12:13]
	scratch_load_b128 v[10:13], off, off offset:848
	ds_load_b128 v[2:5], v1 offset:1648
	v_add_f64 v[44:45], v[44:45], v[54:55]
	v_add_f64 v[46:47], v[46:47], v[50:51]
	v_fma_f64 v[48:49], v[8:9], v[14:15], v[48:49]
	v_fma_f64 v[54:55], v[6:7], v[14:15], -v[16:17]
	ds_load_b128 v[6:9], v1 offset:1664
	s_waitcnt vmcnt(8) lgkmcnt(1)
	v_mul_f64 v[50:51], v[2:3], v[20:21]
	v_mul_f64 v[20:21], v[4:5], v[20:21]
	scratch_load_b128 v[14:17], off, off offset:864
	v_add_f64 v[44:45], v[44:45], v[56:57]
	v_add_f64 v[46:47], v[46:47], v[52:53]
	s_waitcnt vmcnt(8) lgkmcnt(0)
	v_mul_f64 v[52:53], v[6:7], v[24:25]
	v_mul_f64 v[24:25], v[8:9], v[24:25]
	v_fma_f64 v[50:51], v[4:5], v[18:19], v[50:51]
	v_fma_f64 v[56:57], v[2:3], v[18:19], -v[20:21]
	scratch_load_b128 v[18:21], off, off offset:880
	ds_load_b128 v[2:5], v1 offset:1680
	;; [unrolled: 18-line block ×3, first 2 shown]
	v_add_f64 v[44:45], v[44:45], v[54:55]
	v_add_f64 v[46:47], v[46:47], v[52:53]
	v_fma_f64 v[50:51], v[8:9], v[30:31], v[50:51]
	v_fma_f64 v[30:31], v[6:7], v[30:31], -v[32:33]
	ds_load_b128 v[6:9], v1 offset:1728
	s_waitcnt vmcnt(8) lgkmcnt(1)
	v_mul_f64 v[52:53], v[2:3], v[36:37]
	v_mul_f64 v[36:37], v[4:5], v[36:37]
	v_add_f64 v[32:33], v[44:45], v[56:57]
	v_add_f64 v[44:45], v[46:47], v[48:49]
	s_waitcnt vmcnt(7) lgkmcnt(0)
	v_mul_f64 v[46:47], v[6:7], v[177:178]
	v_mul_f64 v[48:49], v[8:9], v[177:178]
	v_fma_f64 v[52:53], v[4:5], v[34:35], v[52:53]
	v_fma_f64 v[34:35], v[2:3], v[34:35], -v[36:37]
	ds_load_b128 v[2:5], v1 offset:1744
	v_add_f64 v[30:31], v[32:33], v[30:31]
	v_add_f64 v[32:33], v[44:45], v[50:51]
	v_fma_f64 v[44:45], v[8:9], v[175:176], v[46:47]
	v_fma_f64 v[46:47], v[6:7], v[175:176], -v[48:49]
	ds_load_b128 v[6:9], v1 offset:1760
	s_waitcnt vmcnt(5) lgkmcnt(0)
	v_mul_f64 v[50:51], v[6:7], v[173:174]
	v_add_f64 v[34:35], v[30:31], v[34:35]
	v_add_f64 v[48:49], v[32:33], v[52:53]
	scratch_load_b128 v[30:33], off, off offset:480
	v_mul_f64 v[36:37], v[2:3], v[40:41]
	v_mul_f64 v[40:41], v[4:5], v[40:41]
	;; [unrolled: 1-line block ×3, first 2 shown]
	v_add_f64 v[34:35], v[34:35], v[46:47]
	v_fma_f64 v[46:47], v[8:9], v[171:172], v[50:51]
	v_fma_f64 v[36:37], v[4:5], v[38:39], v[36:37]
	v_fma_f64 v[38:39], v[2:3], v[38:39], -v[40:41]
	v_add_f64 v[40:41], v[48:49], v[44:45]
	ds_load_b128 v[2:5], v1 offset:1776
	v_fma_f64 v[48:49], v[6:7], v[171:172], -v[52:53]
	ds_load_b128 v[6:9], v1 offset:1792
	s_waitcnt vmcnt(5) lgkmcnt(1)
	v_mul_f64 v[44:45], v[2:3], v[12:13]
	v_mul_f64 v[12:13], v[4:5], v[12:13]
	v_add_f64 v[34:35], v[34:35], v[38:39]
	v_add_f64 v[36:37], v[40:41], v[36:37]
	s_waitcnt vmcnt(4) lgkmcnt(0)
	v_mul_f64 v[38:39], v[6:7], v[16:17]
	v_mul_f64 v[16:17], v[8:9], v[16:17]
	v_fma_f64 v[40:41], v[4:5], v[10:11], v[44:45]
	v_fma_f64 v[10:11], v[2:3], v[10:11], -v[12:13]
	ds_load_b128 v[2:5], v1 offset:1808
	v_add_f64 v[12:13], v[34:35], v[48:49]
	v_add_f64 v[34:35], v[36:37], v[46:47]
	v_fma_f64 v[38:39], v[8:9], v[14:15], v[38:39]
	v_fma_f64 v[14:15], v[6:7], v[14:15], -v[16:17]
	ds_load_b128 v[6:9], v1 offset:1824
	s_waitcnt vmcnt(3) lgkmcnt(1)
	v_mul_f64 v[36:37], v[2:3], v[20:21]
	v_mul_f64 v[20:21], v[4:5], v[20:21]
	s_waitcnt vmcnt(2) lgkmcnt(0)
	v_mul_f64 v[16:17], v[6:7], v[24:25]
	v_mul_f64 v[24:25], v[8:9], v[24:25]
	v_add_f64 v[10:11], v[12:13], v[10:11]
	v_add_f64 v[12:13], v[34:35], v[40:41]
	v_fma_f64 v[34:35], v[4:5], v[18:19], v[36:37]
	v_fma_f64 v[18:19], v[2:3], v[18:19], -v[20:21]
	ds_load_b128 v[2:5], v1 offset:1840
	v_fma_f64 v[8:9], v[8:9], v[22:23], v[16:17]
	v_fma_f64 v[6:7], v[6:7], v[22:23], -v[24:25]
	s_waitcnt vmcnt(1) lgkmcnt(0)
	v_mul_f64 v[20:21], v[4:5], v[28:29]
	v_add_f64 v[10:11], v[10:11], v[14:15]
	v_add_f64 v[12:13], v[12:13], v[38:39]
	v_mul_f64 v[14:15], v[2:3], v[28:29]
	s_delay_alu instid0(VALU_DEP_4) | instskip(NEXT) | instid1(VALU_DEP_4)
	v_fma_f64 v[2:3], v[2:3], v[26:27], -v[20:21]
	v_add_f64 v[10:11], v[10:11], v[18:19]
	s_delay_alu instid0(VALU_DEP_4) | instskip(NEXT) | instid1(VALU_DEP_4)
	v_add_f64 v[12:13], v[12:13], v[34:35]
	v_fma_f64 v[4:5], v[4:5], v[26:27], v[14:15]
	s_delay_alu instid0(VALU_DEP_3) | instskip(NEXT) | instid1(VALU_DEP_3)
	v_add_f64 v[6:7], v[10:11], v[6:7]
	v_add_f64 v[8:9], v[12:13], v[8:9]
	s_delay_alu instid0(VALU_DEP_2) | instskip(NEXT) | instid1(VALU_DEP_2)
	v_add_f64 v[2:3], v[6:7], v[2:3]
	v_add_f64 v[4:5], v[8:9], v[4:5]
	s_waitcnt vmcnt(0)
	s_delay_alu instid0(VALU_DEP_2) | instskip(NEXT) | instid1(VALU_DEP_2)
	v_add_f64 v[2:3], v[30:31], -v[2:3]
	v_add_f64 v[4:5], v[32:33], -v[4:5]
	scratch_store_b128 off, v[2:5], off offset:480
	v_cmpx_lt_u32_e32 29, v158
	s_cbranch_execz .LBB121_303
; %bb.302:
	scratch_load_b32 v2, off, off offset:964 ; 4-byte Folded Reload
	v_mov_b32_e32 v3, v1
	v_mov_b32_e32 v4, v1
	s_waitcnt vmcnt(0)
	scratch_load_b128 v[5:8], v2, off
	v_mov_b32_e32 v2, v1
	scratch_store_b128 off, v[1:4], off offset:464
	s_waitcnt vmcnt(0)
	ds_store_b128 v216, v[5:8]
.LBB121_303:
	s_or_b32 exec_lo, exec_lo, s2
	s_waitcnt lgkmcnt(0)
	s_waitcnt_vscnt null, 0x0
	s_barrier
	buffer_gl0_inv
	s_clause 0x7
	scratch_load_b128 v[2:5], off, off offset:480
	scratch_load_b128 v[6:9], off, off offset:496
	;; [unrolled: 1-line block ×8, first 2 shown]
	ds_load_b128 v[38:41], v1 offset:1408
	ds_load_b128 v[171:174], v1 offset:1424
	s_clause 0x1
	scratch_load_b128 v[34:37], off, off offset:608
	scratch_load_b128 v[175:178], off, off offset:624
	s_mov_b32 s2, exec_lo
	s_waitcnt vmcnt(9) lgkmcnt(1)
	v_mul_f64 v[44:45], v[40:41], v[4:5]
	v_mul_f64 v[4:5], v[38:39], v[4:5]
	s_waitcnt vmcnt(8) lgkmcnt(0)
	v_mul_f64 v[46:47], v[171:172], v[8:9]
	v_mul_f64 v[8:9], v[173:174], v[8:9]
	s_delay_alu instid0(VALU_DEP_4) | instskip(NEXT) | instid1(VALU_DEP_4)
	v_fma_f64 v[44:45], v[38:39], v[2:3], -v[44:45]
	v_fma_f64 v[48:49], v[40:41], v[2:3], v[4:5]
	ds_load_b128 v[2:5], v1 offset:1440
	scratch_load_b128 v[38:41], off, off offset:640
	v_fma_f64 v[46:47], v[173:174], v[6:7], v[46:47]
	v_fma_f64 v[52:53], v[171:172], v[6:7], -v[8:9]
	scratch_load_b128 v[171:174], off, off offset:656
	ds_load_b128 v[6:9], v1 offset:1456
	s_waitcnt vmcnt(9) lgkmcnt(1)
	v_mul_f64 v[50:51], v[2:3], v[12:13]
	v_mul_f64 v[12:13], v[4:5], v[12:13]
	s_waitcnt vmcnt(8) lgkmcnt(0)
	v_mul_f64 v[54:55], v[6:7], v[16:17]
	v_mul_f64 v[16:17], v[8:9], v[16:17]
	v_add_f64 v[44:45], v[44:45], 0
	v_add_f64 v[48:49], v[48:49], 0
	v_fma_f64 v[50:51], v[4:5], v[10:11], v[50:51]
	v_fma_f64 v[56:57], v[2:3], v[10:11], -v[12:13]
	ds_load_b128 v[2:5], v1 offset:1472
	scratch_load_b128 v[10:13], off, off offset:672
	v_add_f64 v[44:45], v[44:45], v[52:53]
	v_add_f64 v[46:47], v[48:49], v[46:47]
	v_fma_f64 v[52:53], v[8:9], v[14:15], v[54:55]
	v_fma_f64 v[54:55], v[6:7], v[14:15], -v[16:17]
	scratch_load_b128 v[14:17], off, off offset:688
	ds_load_b128 v[6:9], v1 offset:1488
	s_waitcnt vmcnt(9) lgkmcnt(1)
	v_mul_f64 v[48:49], v[2:3], v[20:21]
	v_mul_f64 v[20:21], v[4:5], v[20:21]
	v_add_f64 v[44:45], v[44:45], v[56:57]
	v_add_f64 v[46:47], v[46:47], v[50:51]
	s_waitcnt vmcnt(8) lgkmcnt(0)
	v_mul_f64 v[50:51], v[6:7], v[24:25]
	v_mul_f64 v[24:25], v[8:9], v[24:25]
	v_fma_f64 v[48:49], v[4:5], v[18:19], v[48:49]
	v_fma_f64 v[56:57], v[2:3], v[18:19], -v[20:21]
	ds_load_b128 v[2:5], v1 offset:1504
	scratch_load_b128 v[18:21], off, off offset:704
	v_add_f64 v[44:45], v[44:45], v[54:55]
	v_add_f64 v[46:47], v[46:47], v[52:53]
	v_fma_f64 v[50:51], v[8:9], v[22:23], v[50:51]
	v_fma_f64 v[54:55], v[6:7], v[22:23], -v[24:25]
	scratch_load_b128 v[22:25], off, off offset:720
	ds_load_b128 v[6:9], v1 offset:1520
	s_waitcnt vmcnt(9) lgkmcnt(1)
	v_mul_f64 v[52:53], v[2:3], v[28:29]
	v_mul_f64 v[28:29], v[4:5], v[28:29]
	v_add_f64 v[44:45], v[44:45], v[56:57]
	v_add_f64 v[46:47], v[46:47], v[48:49]
	s_waitcnt vmcnt(8) lgkmcnt(0)
	v_mul_f64 v[48:49], v[6:7], v[32:33]
	v_mul_f64 v[32:33], v[8:9], v[32:33]
	;; [unrolled: 18-line block ×3, first 2 shown]
	v_fma_f64 v[50:51], v[4:5], v[34:35], v[50:51]
	v_fma_f64 v[58:59], v[2:3], v[34:35], -v[36:37]
	ds_load_b128 v[2:5], v1 offset:1568
	scratch_load_b128 v[34:37], off, off offset:768
	v_add_f64 v[44:45], v[44:45], v[54:55]
	v_add_f64 v[46:47], v[46:47], v[48:49]
	v_fma_f64 v[52:53], v[8:9], v[175:176], v[52:53]
	v_fma_f64 v[54:55], v[6:7], v[175:176], -v[56:57]
	scratch_load_b128 v[175:178], off, off offset:784
	ds_load_b128 v[6:9], v1 offset:1584
	s_waitcnt vmcnt(9) lgkmcnt(1)
	v_mul_f64 v[48:49], v[2:3], v[40:41]
	v_mul_f64 v[40:41], v[4:5], v[40:41]
	s_waitcnt vmcnt(8) lgkmcnt(0)
	v_mul_f64 v[56:57], v[8:9], v[173:174]
	v_add_f64 v[44:45], v[44:45], v[58:59]
	v_add_f64 v[46:47], v[46:47], v[50:51]
	v_mul_f64 v[50:51], v[6:7], v[173:174]
	v_fma_f64 v[48:49], v[4:5], v[38:39], v[48:49]
	v_fma_f64 v[58:59], v[2:3], v[38:39], -v[40:41]
	ds_load_b128 v[2:5], v1 offset:1600
	scratch_load_b128 v[38:41], off, off offset:800
	v_add_f64 v[44:45], v[44:45], v[54:55]
	v_add_f64 v[46:47], v[46:47], v[52:53]
	v_fma_f64 v[50:51], v[8:9], v[171:172], v[50:51]
	v_fma_f64 v[54:55], v[6:7], v[171:172], -v[56:57]
	ds_load_b128 v[6:9], v1 offset:1616
	s_waitcnt vmcnt(8) lgkmcnt(1)
	v_mul_f64 v[52:53], v[2:3], v[12:13]
	v_mul_f64 v[12:13], v[4:5], v[12:13]
	scratch_load_b128 v[171:174], off, off offset:816
	v_add_f64 v[44:45], v[44:45], v[58:59]
	v_add_f64 v[46:47], v[46:47], v[48:49]
	s_waitcnt vmcnt(8) lgkmcnt(0)
	v_mul_f64 v[48:49], v[6:7], v[16:17]
	v_mul_f64 v[16:17], v[8:9], v[16:17]
	v_fma_f64 v[52:53], v[4:5], v[10:11], v[52:53]
	v_fma_f64 v[56:57], v[2:3], v[10:11], -v[12:13]
	ds_load_b128 v[2:5], v1 offset:1632
	scratch_load_b128 v[10:13], off, off offset:832
	v_add_f64 v[44:45], v[44:45], v[54:55]
	v_add_f64 v[46:47], v[46:47], v[50:51]
	v_fma_f64 v[48:49], v[8:9], v[14:15], v[48:49]
	v_fma_f64 v[54:55], v[6:7], v[14:15], -v[16:17]
	ds_load_b128 v[6:9], v1 offset:1648
	s_waitcnt vmcnt(8) lgkmcnt(1)
	v_mul_f64 v[50:51], v[2:3], v[20:21]
	v_mul_f64 v[20:21], v[4:5], v[20:21]
	scratch_load_b128 v[14:17], off, off offset:848
	v_add_f64 v[44:45], v[44:45], v[56:57]
	v_add_f64 v[46:47], v[46:47], v[52:53]
	s_waitcnt vmcnt(8) lgkmcnt(0)
	v_mul_f64 v[52:53], v[6:7], v[24:25]
	v_mul_f64 v[24:25], v[8:9], v[24:25]
	v_fma_f64 v[50:51], v[4:5], v[18:19], v[50:51]
	v_fma_f64 v[56:57], v[2:3], v[18:19], -v[20:21]
	scratch_load_b128 v[18:21], off, off offset:864
	ds_load_b128 v[2:5], v1 offset:1664
	v_add_f64 v[44:45], v[44:45], v[54:55]
	v_add_f64 v[46:47], v[46:47], v[48:49]
	v_fma_f64 v[52:53], v[8:9], v[22:23], v[52:53]
	v_fma_f64 v[54:55], v[6:7], v[22:23], -v[24:25]
	ds_load_b128 v[6:9], v1 offset:1680
	s_waitcnt vmcnt(8) lgkmcnt(1)
	v_mul_f64 v[48:49], v[2:3], v[28:29]
	v_mul_f64 v[28:29], v[4:5], v[28:29]
	scratch_load_b128 v[22:25], off, off offset:880
	v_add_f64 v[44:45], v[44:45], v[56:57]
	v_add_f64 v[46:47], v[46:47], v[50:51]
	s_waitcnt vmcnt(8) lgkmcnt(0)
	v_mul_f64 v[50:51], v[6:7], v[32:33]
	v_mul_f64 v[32:33], v[8:9], v[32:33]
	v_fma_f64 v[48:49], v[4:5], v[26:27], v[48:49]
	v_fma_f64 v[56:57], v[2:3], v[26:27], -v[28:29]
	scratch_load_b128 v[26:29], off, off offset:896
	ds_load_b128 v[2:5], v1 offset:1696
	v_add_f64 v[44:45], v[44:45], v[54:55]
	v_add_f64 v[46:47], v[46:47], v[52:53]
	v_fma_f64 v[50:51], v[8:9], v[30:31], v[50:51]
	v_fma_f64 v[54:55], v[6:7], v[30:31], -v[32:33]
	ds_load_b128 v[6:9], v1 offset:1712
	s_waitcnt vmcnt(8) lgkmcnt(1)
	v_mul_f64 v[52:53], v[2:3], v[36:37]
	v_mul_f64 v[36:37], v[4:5], v[36:37]
	scratch_load_b128 v[30:33], off, off offset:912
	v_add_f64 v[44:45], v[44:45], v[56:57]
	v_add_f64 v[46:47], v[46:47], v[48:49]
	s_waitcnt vmcnt(8) lgkmcnt(0)
	v_mul_f64 v[48:49], v[6:7], v[177:178]
	v_mul_f64 v[56:57], v[8:9], v[177:178]
	v_fma_f64 v[52:53], v[4:5], v[34:35], v[52:53]
	v_fma_f64 v[34:35], v[2:3], v[34:35], -v[36:37]
	ds_load_b128 v[2:5], v1 offset:1728
	v_add_f64 v[36:37], v[44:45], v[54:55]
	v_add_f64 v[44:45], v[46:47], v[50:51]
	v_fma_f64 v[48:49], v[8:9], v[175:176], v[48:49]
	v_fma_f64 v[50:51], v[6:7], v[175:176], -v[56:57]
	ds_load_b128 v[6:9], v1 offset:1744
	s_waitcnt vmcnt(7) lgkmcnt(1)
	v_mul_f64 v[46:47], v[2:3], v[40:41]
	v_mul_f64 v[40:41], v[4:5], v[40:41]
	v_add_f64 v[34:35], v[36:37], v[34:35]
	v_add_f64 v[36:37], v[44:45], v[52:53]
	s_delay_alu instid0(VALU_DEP_4) | instskip(NEXT) | instid1(VALU_DEP_4)
	v_fma_f64 v[46:47], v[4:5], v[38:39], v[46:47]
	v_fma_f64 v[38:39], v[2:3], v[38:39], -v[40:41]
	ds_load_b128 v[2:5], v1 offset:1760
	v_add_f64 v[40:41], v[34:35], v[50:51]
	v_add_f64 v[48:49], v[36:37], v[48:49]
	scratch_load_b128 v[34:37], off, off offset:464
	s_waitcnt vmcnt(7) lgkmcnt(1)
	v_mul_f64 v[44:45], v[6:7], v[173:174]
	v_mul_f64 v[52:53], v[8:9], v[173:174]
	v_add_f64 v[38:39], v[40:41], v[38:39]
	v_add_f64 v[40:41], v[48:49], v[46:47]
	s_delay_alu instid0(VALU_DEP_4) | instskip(NEXT) | instid1(VALU_DEP_4)
	v_fma_f64 v[44:45], v[8:9], v[171:172], v[44:45]
	v_fma_f64 v[52:53], v[6:7], v[171:172], -v[52:53]
	ds_load_b128 v[6:9], v1 offset:1776
	s_waitcnt vmcnt(6) lgkmcnt(1)
	v_mul_f64 v[50:51], v[2:3], v[12:13]
	v_mul_f64 v[12:13], v[4:5], v[12:13]
	s_waitcnt vmcnt(5) lgkmcnt(0)
	v_mul_f64 v[46:47], v[6:7], v[16:17]
	v_mul_f64 v[16:17], v[8:9], v[16:17]
	s_delay_alu instid0(VALU_DEP_4) | instskip(NEXT) | instid1(VALU_DEP_4)
	v_fma_f64 v[48:49], v[4:5], v[10:11], v[50:51]
	v_fma_f64 v[10:11], v[2:3], v[10:11], -v[12:13]
	v_add_f64 v[12:13], v[38:39], v[52:53]
	v_add_f64 v[38:39], v[40:41], v[44:45]
	ds_load_b128 v[2:5], v1 offset:1792
	v_fma_f64 v[44:45], v[8:9], v[14:15], v[46:47]
	v_fma_f64 v[14:15], v[6:7], v[14:15], -v[16:17]
	ds_load_b128 v[6:9], v1 offset:1808
	s_waitcnt vmcnt(4) lgkmcnt(1)
	v_mul_f64 v[40:41], v[2:3], v[20:21]
	v_mul_f64 v[20:21], v[4:5], v[20:21]
	v_add_f64 v[10:11], v[12:13], v[10:11]
	v_add_f64 v[12:13], v[38:39], v[48:49]
	s_waitcnt vmcnt(3) lgkmcnt(0)
	v_mul_f64 v[16:17], v[6:7], v[24:25]
	v_mul_f64 v[24:25], v[8:9], v[24:25]
	v_fma_f64 v[38:39], v[4:5], v[18:19], v[40:41]
	v_fma_f64 v[18:19], v[2:3], v[18:19], -v[20:21]
	ds_load_b128 v[2:5], v1 offset:1824
	v_add_f64 v[10:11], v[10:11], v[14:15]
	v_add_f64 v[12:13], v[12:13], v[44:45]
	v_fma_f64 v[16:17], v[8:9], v[22:23], v[16:17]
	v_fma_f64 v[22:23], v[6:7], v[22:23], -v[24:25]
	ds_load_b128 v[6:9], v1 offset:1840
	s_waitcnt vmcnt(2) lgkmcnt(1)
	v_mul_f64 v[14:15], v[2:3], v[28:29]
	v_mul_f64 v[20:21], v[4:5], v[28:29]
	s_waitcnt vmcnt(1) lgkmcnt(0)
	v_mul_f64 v[24:25], v[8:9], v[32:33]
	v_add_f64 v[10:11], v[10:11], v[18:19]
	v_add_f64 v[12:13], v[12:13], v[38:39]
	v_mul_f64 v[18:19], v[6:7], v[32:33]
	v_fma_f64 v[4:5], v[4:5], v[26:27], v[14:15]
	v_fma_f64 v[1:2], v[2:3], v[26:27], -v[20:21]
	v_fma_f64 v[6:7], v[6:7], v[30:31], -v[24:25]
	v_add_f64 v[10:11], v[10:11], v[22:23]
	v_add_f64 v[12:13], v[12:13], v[16:17]
	v_fma_f64 v[8:9], v[8:9], v[30:31], v[18:19]
	s_delay_alu instid0(VALU_DEP_3) | instskip(NEXT) | instid1(VALU_DEP_3)
	v_add_f64 v[1:2], v[10:11], v[1:2]
	v_add_f64 v[3:4], v[12:13], v[4:5]
	s_delay_alu instid0(VALU_DEP_2) | instskip(NEXT) | instid1(VALU_DEP_2)
	v_add_f64 v[1:2], v[1:2], v[6:7]
	v_add_f64 v[3:4], v[3:4], v[8:9]
	s_waitcnt vmcnt(0)
	s_delay_alu instid0(VALU_DEP_2) | instskip(NEXT) | instid1(VALU_DEP_2)
	v_add_f64 v[1:2], v[34:35], -v[1:2]
	v_add_f64 v[3:4], v[36:37], -v[3:4]
	scratch_store_b128 off, v[1:4], off offset:464
	v_cmpx_lt_u32_e32 28, v158
	s_cbranch_execz .LBB121_305
; %bb.304:
	scratch_load_b32 v1, off, off offset:968 ; 4-byte Folded Reload
	v_mov_b32_e32 v5, 0
	s_delay_alu instid0(VALU_DEP_1)
	v_mov_b32_e32 v6, v5
	v_mov_b32_e32 v7, v5
	;; [unrolled: 1-line block ×3, first 2 shown]
	s_waitcnt vmcnt(0)
	scratch_load_b128 v[1:4], v1, off
	scratch_store_b128 off, v[5:8], off offset:448
	s_waitcnt vmcnt(0)
	ds_store_b128 v216, v[1:4]
.LBB121_305:
	s_or_b32 exec_lo, exec_lo, s2
	s_waitcnt lgkmcnt(0)
	s_waitcnt_vscnt null, 0x0
	s_barrier
	buffer_gl0_inv
	s_clause 0x7
	scratch_load_b128 v[2:5], off, off offset:464
	scratch_load_b128 v[6:9], off, off offset:480
	scratch_load_b128 v[10:13], off, off offset:496
	scratch_load_b128 v[14:17], off, off offset:512
	scratch_load_b128 v[18:21], off, off offset:528
	scratch_load_b128 v[22:25], off, off offset:544
	scratch_load_b128 v[26:29], off, off offset:560
	scratch_load_b128 v[30:33], off, off offset:576
	v_mov_b32_e32 v1, 0
	s_clause 0x1
	scratch_load_b128 v[34:37], off, off offset:592
	scratch_load_b128 v[175:178], off, off offset:608
	s_mov_b32 s2, exec_lo
	ds_load_b128 v[38:41], v1 offset:1392
	ds_load_b128 v[171:174], v1 offset:1408
	s_waitcnt vmcnt(9) lgkmcnt(1)
	v_mul_f64 v[44:45], v[40:41], v[4:5]
	v_mul_f64 v[4:5], v[38:39], v[4:5]
	s_waitcnt vmcnt(8) lgkmcnt(0)
	v_mul_f64 v[46:47], v[171:172], v[8:9]
	v_mul_f64 v[8:9], v[173:174], v[8:9]
	s_delay_alu instid0(VALU_DEP_4) | instskip(NEXT) | instid1(VALU_DEP_4)
	v_fma_f64 v[44:45], v[38:39], v[2:3], -v[44:45]
	v_fma_f64 v[48:49], v[40:41], v[2:3], v[4:5]
	ds_load_b128 v[2:5], v1 offset:1424
	scratch_load_b128 v[38:41], off, off offset:624
	v_fma_f64 v[46:47], v[173:174], v[6:7], v[46:47]
	v_fma_f64 v[52:53], v[171:172], v[6:7], -v[8:9]
	scratch_load_b128 v[171:174], off, off offset:640
	ds_load_b128 v[6:9], v1 offset:1440
	s_waitcnt vmcnt(9) lgkmcnt(1)
	v_mul_f64 v[50:51], v[2:3], v[12:13]
	v_mul_f64 v[12:13], v[4:5], v[12:13]
	s_waitcnt vmcnt(8) lgkmcnt(0)
	v_mul_f64 v[54:55], v[6:7], v[16:17]
	v_mul_f64 v[16:17], v[8:9], v[16:17]
	v_add_f64 v[44:45], v[44:45], 0
	v_add_f64 v[48:49], v[48:49], 0
	v_fma_f64 v[50:51], v[4:5], v[10:11], v[50:51]
	v_fma_f64 v[56:57], v[2:3], v[10:11], -v[12:13]
	ds_load_b128 v[2:5], v1 offset:1456
	scratch_load_b128 v[10:13], off, off offset:656
	v_add_f64 v[44:45], v[44:45], v[52:53]
	v_add_f64 v[46:47], v[48:49], v[46:47]
	v_fma_f64 v[52:53], v[8:9], v[14:15], v[54:55]
	v_fma_f64 v[54:55], v[6:7], v[14:15], -v[16:17]
	scratch_load_b128 v[14:17], off, off offset:672
	ds_load_b128 v[6:9], v1 offset:1472
	s_waitcnt vmcnt(9) lgkmcnt(1)
	v_mul_f64 v[48:49], v[2:3], v[20:21]
	v_mul_f64 v[20:21], v[4:5], v[20:21]
	v_add_f64 v[44:45], v[44:45], v[56:57]
	v_add_f64 v[46:47], v[46:47], v[50:51]
	s_waitcnt vmcnt(8) lgkmcnt(0)
	v_mul_f64 v[50:51], v[6:7], v[24:25]
	v_mul_f64 v[24:25], v[8:9], v[24:25]
	v_fma_f64 v[48:49], v[4:5], v[18:19], v[48:49]
	v_fma_f64 v[56:57], v[2:3], v[18:19], -v[20:21]
	ds_load_b128 v[2:5], v1 offset:1488
	scratch_load_b128 v[18:21], off, off offset:688
	v_add_f64 v[44:45], v[44:45], v[54:55]
	v_add_f64 v[46:47], v[46:47], v[52:53]
	v_fma_f64 v[50:51], v[8:9], v[22:23], v[50:51]
	v_fma_f64 v[54:55], v[6:7], v[22:23], -v[24:25]
	scratch_load_b128 v[22:25], off, off offset:704
	ds_load_b128 v[6:9], v1 offset:1504
	s_waitcnt vmcnt(9) lgkmcnt(1)
	v_mul_f64 v[52:53], v[2:3], v[28:29]
	v_mul_f64 v[28:29], v[4:5], v[28:29]
	v_add_f64 v[44:45], v[44:45], v[56:57]
	v_add_f64 v[46:47], v[46:47], v[48:49]
	s_waitcnt vmcnt(8) lgkmcnt(0)
	v_mul_f64 v[48:49], v[6:7], v[32:33]
	v_mul_f64 v[32:33], v[8:9], v[32:33]
	;; [unrolled: 18-line block ×3, first 2 shown]
	v_fma_f64 v[50:51], v[4:5], v[34:35], v[50:51]
	v_fma_f64 v[58:59], v[2:3], v[34:35], -v[36:37]
	ds_load_b128 v[2:5], v1 offset:1552
	scratch_load_b128 v[34:37], off, off offset:752
	v_add_f64 v[44:45], v[44:45], v[54:55]
	v_add_f64 v[46:47], v[46:47], v[48:49]
	v_fma_f64 v[52:53], v[8:9], v[175:176], v[52:53]
	v_fma_f64 v[54:55], v[6:7], v[175:176], -v[56:57]
	scratch_load_b128 v[175:178], off, off offset:768
	ds_load_b128 v[6:9], v1 offset:1568
	s_waitcnt vmcnt(9) lgkmcnt(1)
	v_mul_f64 v[48:49], v[2:3], v[40:41]
	v_mul_f64 v[40:41], v[4:5], v[40:41]
	s_waitcnt vmcnt(8) lgkmcnt(0)
	v_mul_f64 v[56:57], v[8:9], v[173:174]
	v_add_f64 v[44:45], v[44:45], v[58:59]
	v_add_f64 v[46:47], v[46:47], v[50:51]
	v_mul_f64 v[50:51], v[6:7], v[173:174]
	v_fma_f64 v[48:49], v[4:5], v[38:39], v[48:49]
	v_fma_f64 v[58:59], v[2:3], v[38:39], -v[40:41]
	ds_load_b128 v[2:5], v1 offset:1584
	scratch_load_b128 v[38:41], off, off offset:784
	v_add_f64 v[44:45], v[44:45], v[54:55]
	v_add_f64 v[46:47], v[46:47], v[52:53]
	v_fma_f64 v[50:51], v[8:9], v[171:172], v[50:51]
	v_fma_f64 v[54:55], v[6:7], v[171:172], -v[56:57]
	ds_load_b128 v[6:9], v1 offset:1600
	s_waitcnt vmcnt(8) lgkmcnt(1)
	v_mul_f64 v[52:53], v[2:3], v[12:13]
	v_mul_f64 v[12:13], v[4:5], v[12:13]
	scratch_load_b128 v[171:174], off, off offset:800
	v_add_f64 v[44:45], v[44:45], v[58:59]
	v_add_f64 v[46:47], v[46:47], v[48:49]
	s_waitcnt vmcnt(8) lgkmcnt(0)
	v_mul_f64 v[48:49], v[6:7], v[16:17]
	v_mul_f64 v[16:17], v[8:9], v[16:17]
	v_fma_f64 v[52:53], v[4:5], v[10:11], v[52:53]
	v_fma_f64 v[56:57], v[2:3], v[10:11], -v[12:13]
	ds_load_b128 v[2:5], v1 offset:1616
	scratch_load_b128 v[10:13], off, off offset:816
	v_add_f64 v[44:45], v[44:45], v[54:55]
	v_add_f64 v[46:47], v[46:47], v[50:51]
	v_fma_f64 v[48:49], v[8:9], v[14:15], v[48:49]
	v_fma_f64 v[54:55], v[6:7], v[14:15], -v[16:17]
	ds_load_b128 v[6:9], v1 offset:1632
	s_waitcnt vmcnt(8) lgkmcnt(1)
	v_mul_f64 v[50:51], v[2:3], v[20:21]
	v_mul_f64 v[20:21], v[4:5], v[20:21]
	scratch_load_b128 v[14:17], off, off offset:832
	v_add_f64 v[44:45], v[44:45], v[56:57]
	v_add_f64 v[46:47], v[46:47], v[52:53]
	s_waitcnt vmcnt(8) lgkmcnt(0)
	v_mul_f64 v[52:53], v[6:7], v[24:25]
	v_mul_f64 v[24:25], v[8:9], v[24:25]
	v_fma_f64 v[50:51], v[4:5], v[18:19], v[50:51]
	v_fma_f64 v[56:57], v[2:3], v[18:19], -v[20:21]
	scratch_load_b128 v[18:21], off, off offset:848
	ds_load_b128 v[2:5], v1 offset:1648
	v_add_f64 v[44:45], v[44:45], v[54:55]
	v_add_f64 v[46:47], v[46:47], v[48:49]
	v_fma_f64 v[52:53], v[8:9], v[22:23], v[52:53]
	v_fma_f64 v[54:55], v[6:7], v[22:23], -v[24:25]
	ds_load_b128 v[6:9], v1 offset:1664
	s_waitcnt vmcnt(8) lgkmcnt(1)
	v_mul_f64 v[48:49], v[2:3], v[28:29]
	v_mul_f64 v[28:29], v[4:5], v[28:29]
	scratch_load_b128 v[22:25], off, off offset:864
	v_add_f64 v[44:45], v[44:45], v[56:57]
	v_add_f64 v[46:47], v[46:47], v[50:51]
	s_waitcnt vmcnt(8) lgkmcnt(0)
	v_mul_f64 v[50:51], v[6:7], v[32:33]
	v_mul_f64 v[32:33], v[8:9], v[32:33]
	v_fma_f64 v[48:49], v[4:5], v[26:27], v[48:49]
	v_fma_f64 v[56:57], v[2:3], v[26:27], -v[28:29]
	scratch_load_b128 v[26:29], off, off offset:880
	ds_load_b128 v[2:5], v1 offset:1680
	;; [unrolled: 18-line block ×3, first 2 shown]
	v_add_f64 v[44:45], v[44:45], v[54:55]
	v_add_f64 v[46:47], v[46:47], v[50:51]
	v_fma_f64 v[48:49], v[8:9], v[175:176], v[48:49]
	v_fma_f64 v[54:55], v[6:7], v[175:176], -v[56:57]
	ds_load_b128 v[6:9], v1 offset:1728
	s_waitcnt vmcnt(8) lgkmcnt(1)
	v_mul_f64 v[50:51], v[2:3], v[40:41]
	v_mul_f64 v[40:41], v[4:5], v[40:41]
	v_add_f64 v[44:45], v[44:45], v[58:59]
	v_add_f64 v[46:47], v[46:47], v[52:53]
	s_delay_alu instid0(VALU_DEP_4) | instskip(NEXT) | instid1(VALU_DEP_4)
	v_fma_f64 v[50:51], v[4:5], v[38:39], v[50:51]
	v_fma_f64 v[38:39], v[2:3], v[38:39], -v[40:41]
	ds_load_b128 v[2:5], v1 offset:1744
	v_add_f64 v[40:41], v[44:45], v[54:55]
	v_add_f64 v[44:45], v[46:47], v[48:49]
	s_delay_alu instid0(VALU_DEP_2)
	v_add_f64 v[54:55], v[40:41], v[38:39]
	scratch_load_b128 v[38:41], off, off offset:448
	s_waitcnt vmcnt(8) lgkmcnt(1)
	v_mul_f64 v[52:53], v[6:7], v[173:174]
	v_mul_f64 v[56:57], v[8:9], v[173:174]
	v_add_f64 v[44:45], v[44:45], v[50:51]
	s_delay_alu instid0(VALU_DEP_3) | instskip(NEXT) | instid1(VALU_DEP_3)
	v_fma_f64 v[48:49], v[8:9], v[171:172], v[52:53]
	v_fma_f64 v[52:53], v[6:7], v[171:172], -v[56:57]
	ds_load_b128 v[6:9], v1 offset:1760
	s_waitcnt vmcnt(7) lgkmcnt(1)
	v_mul_f64 v[46:47], v[2:3], v[12:13]
	v_mul_f64 v[12:13], v[4:5], v[12:13]
	s_waitcnt vmcnt(6) lgkmcnt(0)
	v_mul_f64 v[50:51], v[6:7], v[16:17]
	v_mul_f64 v[16:17], v[8:9], v[16:17]
	v_add_f64 v[44:45], v[44:45], v[48:49]
	v_fma_f64 v[46:47], v[4:5], v[10:11], v[46:47]
	v_fma_f64 v[10:11], v[2:3], v[10:11], -v[12:13]
	v_add_f64 v[12:13], v[54:55], v[52:53]
	ds_load_b128 v[2:5], v1 offset:1776
	v_fma_f64 v[50:51], v[8:9], v[14:15], v[50:51]
	v_fma_f64 v[14:15], v[6:7], v[14:15], -v[16:17]
	ds_load_b128 v[6:9], v1 offset:1792
	s_waitcnt vmcnt(5) lgkmcnt(1)
	v_mul_f64 v[48:49], v[2:3], v[20:21]
	v_mul_f64 v[20:21], v[4:5], v[20:21]
	v_add_f64 v[10:11], v[12:13], v[10:11]
	v_add_f64 v[12:13], v[44:45], v[46:47]
	s_waitcnt vmcnt(4) lgkmcnt(0)
	v_mul_f64 v[16:17], v[6:7], v[24:25]
	v_mul_f64 v[24:25], v[8:9], v[24:25]
	v_fma_f64 v[44:45], v[4:5], v[18:19], v[48:49]
	v_fma_f64 v[18:19], v[2:3], v[18:19], -v[20:21]
	ds_load_b128 v[2:5], v1 offset:1808
	v_add_f64 v[10:11], v[10:11], v[14:15]
	v_add_f64 v[12:13], v[12:13], v[50:51]
	v_fma_f64 v[16:17], v[8:9], v[22:23], v[16:17]
	v_fma_f64 v[22:23], v[6:7], v[22:23], -v[24:25]
	ds_load_b128 v[6:9], v1 offset:1824
	s_waitcnt vmcnt(3) lgkmcnt(1)
	v_mul_f64 v[14:15], v[2:3], v[28:29]
	v_mul_f64 v[20:21], v[4:5], v[28:29]
	s_waitcnt vmcnt(2) lgkmcnt(0)
	v_mul_f64 v[24:25], v[8:9], v[32:33]
	v_add_f64 v[10:11], v[10:11], v[18:19]
	v_add_f64 v[12:13], v[12:13], v[44:45]
	v_mul_f64 v[18:19], v[6:7], v[32:33]
	v_fma_f64 v[14:15], v[4:5], v[26:27], v[14:15]
	v_fma_f64 v[20:21], v[2:3], v[26:27], -v[20:21]
	ds_load_b128 v[2:5], v1 offset:1840
	v_fma_f64 v[6:7], v[6:7], v[30:31], -v[24:25]
	v_add_f64 v[10:11], v[10:11], v[22:23]
	v_add_f64 v[12:13], v[12:13], v[16:17]
	s_waitcnt vmcnt(1) lgkmcnt(0)
	v_mul_f64 v[16:17], v[2:3], v[36:37]
	v_mul_f64 v[22:23], v[4:5], v[36:37]
	v_fma_f64 v[8:9], v[8:9], v[30:31], v[18:19]
	v_add_f64 v[10:11], v[10:11], v[20:21]
	v_add_f64 v[12:13], v[12:13], v[14:15]
	v_fma_f64 v[4:5], v[4:5], v[34:35], v[16:17]
	v_fma_f64 v[2:3], v[2:3], v[34:35], -v[22:23]
	s_delay_alu instid0(VALU_DEP_4) | instskip(NEXT) | instid1(VALU_DEP_4)
	v_add_f64 v[6:7], v[10:11], v[6:7]
	v_add_f64 v[8:9], v[12:13], v[8:9]
	s_delay_alu instid0(VALU_DEP_2) | instskip(NEXT) | instid1(VALU_DEP_2)
	v_add_f64 v[2:3], v[6:7], v[2:3]
	v_add_f64 v[4:5], v[8:9], v[4:5]
	s_waitcnt vmcnt(0)
	s_delay_alu instid0(VALU_DEP_2) | instskip(NEXT) | instid1(VALU_DEP_2)
	v_add_f64 v[2:3], v[38:39], -v[2:3]
	v_add_f64 v[4:5], v[40:41], -v[4:5]
	scratch_store_b128 off, v[2:5], off offset:448
	v_cmpx_lt_u32_e32 27, v158
	s_cbranch_execz .LBB121_307
; %bb.306:
	scratch_load_b32 v2, off, off offset:976 ; 4-byte Folded Reload
	v_mov_b32_e32 v3, v1
	v_mov_b32_e32 v4, v1
	s_waitcnt vmcnt(0)
	scratch_load_b128 v[5:8], v2, off
	v_mov_b32_e32 v2, v1
	scratch_store_b128 off, v[1:4], off offset:432
	s_waitcnt vmcnt(0)
	ds_store_b128 v216, v[5:8]
.LBB121_307:
	s_or_b32 exec_lo, exec_lo, s2
	s_waitcnt lgkmcnt(0)
	s_waitcnt_vscnt null, 0x0
	s_barrier
	buffer_gl0_inv
	s_clause 0x7
	scratch_load_b128 v[2:5], off, off offset:448
	scratch_load_b128 v[6:9], off, off offset:464
	;; [unrolled: 1-line block ×8, first 2 shown]
	ds_load_b128 v[38:41], v1 offset:1376
	ds_load_b128 v[171:174], v1 offset:1392
	s_clause 0x1
	scratch_load_b128 v[34:37], off, off offset:576
	scratch_load_b128 v[175:178], off, off offset:592
	s_mov_b32 s2, exec_lo
	s_waitcnt vmcnt(9) lgkmcnt(1)
	v_mul_f64 v[44:45], v[40:41], v[4:5]
	v_mul_f64 v[4:5], v[38:39], v[4:5]
	s_waitcnt vmcnt(8) lgkmcnt(0)
	v_mul_f64 v[46:47], v[171:172], v[8:9]
	v_mul_f64 v[8:9], v[173:174], v[8:9]
	s_delay_alu instid0(VALU_DEP_4) | instskip(NEXT) | instid1(VALU_DEP_4)
	v_fma_f64 v[44:45], v[38:39], v[2:3], -v[44:45]
	v_fma_f64 v[48:49], v[40:41], v[2:3], v[4:5]
	ds_load_b128 v[2:5], v1 offset:1408
	scratch_load_b128 v[38:41], off, off offset:608
	v_fma_f64 v[46:47], v[173:174], v[6:7], v[46:47]
	v_fma_f64 v[52:53], v[171:172], v[6:7], -v[8:9]
	scratch_load_b128 v[171:174], off, off offset:624
	ds_load_b128 v[6:9], v1 offset:1424
	s_waitcnt vmcnt(9) lgkmcnt(1)
	v_mul_f64 v[50:51], v[2:3], v[12:13]
	v_mul_f64 v[12:13], v[4:5], v[12:13]
	s_waitcnt vmcnt(8) lgkmcnt(0)
	v_mul_f64 v[54:55], v[6:7], v[16:17]
	v_mul_f64 v[16:17], v[8:9], v[16:17]
	v_add_f64 v[44:45], v[44:45], 0
	v_add_f64 v[48:49], v[48:49], 0
	v_fma_f64 v[50:51], v[4:5], v[10:11], v[50:51]
	v_fma_f64 v[56:57], v[2:3], v[10:11], -v[12:13]
	scratch_load_b128 v[10:13], off, off offset:640
	ds_load_b128 v[2:5], v1 offset:1440
	v_add_f64 v[44:45], v[44:45], v[52:53]
	v_add_f64 v[46:47], v[48:49], v[46:47]
	v_fma_f64 v[52:53], v[8:9], v[14:15], v[54:55]
	v_fma_f64 v[54:55], v[6:7], v[14:15], -v[16:17]
	ds_load_b128 v[6:9], v1 offset:1456
	scratch_load_b128 v[14:17], off, off offset:656
	s_waitcnt vmcnt(9) lgkmcnt(1)
	v_mul_f64 v[48:49], v[2:3], v[20:21]
	v_mul_f64 v[20:21], v[4:5], v[20:21]
	v_add_f64 v[44:45], v[44:45], v[56:57]
	v_add_f64 v[46:47], v[46:47], v[50:51]
	s_waitcnt vmcnt(8) lgkmcnt(0)
	v_mul_f64 v[50:51], v[6:7], v[24:25]
	v_mul_f64 v[24:25], v[8:9], v[24:25]
	v_fma_f64 v[48:49], v[4:5], v[18:19], v[48:49]
	v_fma_f64 v[56:57], v[2:3], v[18:19], -v[20:21]
	ds_load_b128 v[2:5], v1 offset:1472
	scratch_load_b128 v[18:21], off, off offset:672
	v_add_f64 v[44:45], v[44:45], v[54:55]
	v_add_f64 v[46:47], v[46:47], v[52:53]
	v_fma_f64 v[50:51], v[8:9], v[22:23], v[50:51]
	v_fma_f64 v[54:55], v[6:7], v[22:23], -v[24:25]
	scratch_load_b128 v[22:25], off, off offset:688
	ds_load_b128 v[6:9], v1 offset:1488
	s_waitcnt vmcnt(9) lgkmcnt(1)
	v_mul_f64 v[52:53], v[2:3], v[28:29]
	v_mul_f64 v[28:29], v[4:5], v[28:29]
	v_add_f64 v[44:45], v[44:45], v[56:57]
	v_add_f64 v[46:47], v[46:47], v[48:49]
	s_waitcnt vmcnt(8) lgkmcnt(0)
	v_mul_f64 v[48:49], v[6:7], v[32:33]
	v_mul_f64 v[32:33], v[8:9], v[32:33]
	v_fma_f64 v[52:53], v[4:5], v[26:27], v[52:53]
	v_fma_f64 v[56:57], v[2:3], v[26:27], -v[28:29]
	ds_load_b128 v[2:5], v1 offset:1504
	scratch_load_b128 v[26:29], off, off offset:704
	v_add_f64 v[44:45], v[44:45], v[54:55]
	v_add_f64 v[46:47], v[46:47], v[50:51]
	v_fma_f64 v[48:49], v[8:9], v[30:31], v[48:49]
	v_fma_f64 v[54:55], v[6:7], v[30:31], -v[32:33]
	scratch_load_b128 v[30:33], off, off offset:720
	ds_load_b128 v[6:9], v1 offset:1520
	;; [unrolled: 18-line block ×3, first 2 shown]
	s_waitcnt vmcnt(9) lgkmcnt(1)
	v_mul_f64 v[48:49], v[2:3], v[40:41]
	v_mul_f64 v[40:41], v[4:5], v[40:41]
	s_waitcnt vmcnt(8) lgkmcnt(0)
	v_mul_f64 v[56:57], v[8:9], v[173:174]
	v_add_f64 v[44:45], v[44:45], v[58:59]
	v_add_f64 v[46:47], v[46:47], v[50:51]
	v_mul_f64 v[50:51], v[6:7], v[173:174]
	v_fma_f64 v[48:49], v[4:5], v[38:39], v[48:49]
	v_fma_f64 v[58:59], v[2:3], v[38:39], -v[40:41]
	ds_load_b128 v[2:5], v1 offset:1568
	scratch_load_b128 v[38:41], off, off offset:768
	v_add_f64 v[44:45], v[44:45], v[54:55]
	v_add_f64 v[46:47], v[46:47], v[52:53]
	v_fma_f64 v[50:51], v[8:9], v[171:172], v[50:51]
	v_fma_f64 v[54:55], v[6:7], v[171:172], -v[56:57]
	ds_load_b128 v[6:9], v1 offset:1584
	s_waitcnt vmcnt(8) lgkmcnt(1)
	v_mul_f64 v[52:53], v[2:3], v[12:13]
	v_mul_f64 v[12:13], v[4:5], v[12:13]
	scratch_load_b128 v[171:174], off, off offset:784
	v_add_f64 v[44:45], v[44:45], v[58:59]
	v_add_f64 v[46:47], v[46:47], v[48:49]
	s_waitcnt vmcnt(8) lgkmcnt(0)
	v_mul_f64 v[48:49], v[6:7], v[16:17]
	v_mul_f64 v[16:17], v[8:9], v[16:17]
	v_fma_f64 v[52:53], v[4:5], v[10:11], v[52:53]
	v_fma_f64 v[56:57], v[2:3], v[10:11], -v[12:13]
	scratch_load_b128 v[10:13], off, off offset:800
	ds_load_b128 v[2:5], v1 offset:1600
	v_add_f64 v[44:45], v[44:45], v[54:55]
	v_add_f64 v[46:47], v[46:47], v[50:51]
	v_fma_f64 v[48:49], v[8:9], v[14:15], v[48:49]
	v_fma_f64 v[54:55], v[6:7], v[14:15], -v[16:17]
	ds_load_b128 v[6:9], v1 offset:1616
	s_waitcnt vmcnt(8) lgkmcnt(1)
	v_mul_f64 v[50:51], v[2:3], v[20:21]
	v_mul_f64 v[20:21], v[4:5], v[20:21]
	scratch_load_b128 v[14:17], off, off offset:816
	v_add_f64 v[44:45], v[44:45], v[56:57]
	v_add_f64 v[46:47], v[46:47], v[52:53]
	s_waitcnt vmcnt(8) lgkmcnt(0)
	v_mul_f64 v[52:53], v[6:7], v[24:25]
	v_mul_f64 v[24:25], v[8:9], v[24:25]
	v_fma_f64 v[50:51], v[4:5], v[18:19], v[50:51]
	v_fma_f64 v[56:57], v[2:3], v[18:19], -v[20:21]
	scratch_load_b128 v[18:21], off, off offset:832
	ds_load_b128 v[2:5], v1 offset:1632
	;; [unrolled: 18-line block ×4, first 2 shown]
	v_add_f64 v[44:45], v[44:45], v[54:55]
	v_add_f64 v[46:47], v[46:47], v[50:51]
	v_fma_f64 v[48:49], v[8:9], v[175:176], v[48:49]
	v_fma_f64 v[54:55], v[6:7], v[175:176], -v[56:57]
	ds_load_b128 v[6:9], v1 offset:1712
	s_waitcnt vmcnt(8) lgkmcnt(1)
	v_mul_f64 v[50:51], v[2:3], v[40:41]
	v_mul_f64 v[40:41], v[4:5], v[40:41]
	scratch_load_b128 v[175:178], off, off offset:912
	v_add_f64 v[44:45], v[44:45], v[58:59]
	v_add_f64 v[46:47], v[46:47], v[52:53]
	v_fma_f64 v[50:51], v[4:5], v[38:39], v[50:51]
	v_fma_f64 v[38:39], v[2:3], v[38:39], -v[40:41]
	ds_load_b128 v[2:5], v1 offset:1728
	v_add_f64 v[40:41], v[44:45], v[54:55]
	v_add_f64 v[44:45], v[46:47], v[48:49]
	s_waitcnt vmcnt(7) lgkmcnt(0)
	v_mul_f64 v[46:47], v[2:3], v[12:13]
	v_mul_f64 v[12:13], v[4:5], v[12:13]
	s_delay_alu instid0(VALU_DEP_4) | instskip(NEXT) | instid1(VALU_DEP_4)
	v_add_f64 v[38:39], v[40:41], v[38:39]
	v_add_f64 v[40:41], v[44:45], v[50:51]
	s_delay_alu instid0(VALU_DEP_4) | instskip(NEXT) | instid1(VALU_DEP_4)
	v_fma_f64 v[46:47], v[4:5], v[10:11], v[46:47]
	v_fma_f64 v[50:51], v[2:3], v[10:11], -v[12:13]
	scratch_load_b128 v[10:13], off, off offset:432
	v_mul_f64 v[52:53], v[6:7], v[173:174]
	v_mul_f64 v[56:57], v[8:9], v[173:174]
	ds_load_b128 v[2:5], v1 offset:1760
	v_fma_f64 v[48:49], v[8:9], v[171:172], v[52:53]
	v_fma_f64 v[52:53], v[6:7], v[171:172], -v[56:57]
	ds_load_b128 v[6:9], v1 offset:1744
	s_waitcnt vmcnt(7) lgkmcnt(0)
	v_mul_f64 v[44:45], v[6:7], v[16:17]
	v_mul_f64 v[16:17], v[8:9], v[16:17]
	v_add_f64 v[40:41], v[40:41], v[48:49]
	v_add_f64 v[38:39], v[38:39], v[52:53]
	s_waitcnt vmcnt(6)
	v_mul_f64 v[48:49], v[2:3], v[20:21]
	v_mul_f64 v[20:21], v[4:5], v[20:21]
	v_fma_f64 v[44:45], v[8:9], v[14:15], v[44:45]
	v_fma_f64 v[14:15], v[6:7], v[14:15], -v[16:17]
	ds_load_b128 v[6:9], v1 offset:1776
	v_add_f64 v[16:17], v[38:39], v[50:51]
	v_add_f64 v[38:39], v[40:41], v[46:47]
	v_fma_f64 v[46:47], v[4:5], v[18:19], v[48:49]
	v_fma_f64 v[18:19], v[2:3], v[18:19], -v[20:21]
	ds_load_b128 v[2:5], v1 offset:1792
	s_waitcnt vmcnt(5) lgkmcnt(1)
	v_mul_f64 v[40:41], v[6:7], v[24:25]
	v_mul_f64 v[24:25], v[8:9], v[24:25]
	s_waitcnt vmcnt(4) lgkmcnt(0)
	v_mul_f64 v[20:21], v[2:3], v[28:29]
	v_mul_f64 v[28:29], v[4:5], v[28:29]
	v_add_f64 v[14:15], v[16:17], v[14:15]
	v_add_f64 v[16:17], v[38:39], v[44:45]
	v_fma_f64 v[38:39], v[8:9], v[22:23], v[40:41]
	v_fma_f64 v[22:23], v[6:7], v[22:23], -v[24:25]
	ds_load_b128 v[6:9], v1 offset:1808
	v_fma_f64 v[20:21], v[4:5], v[26:27], v[20:21]
	v_fma_f64 v[26:27], v[2:3], v[26:27], -v[28:29]
	ds_load_b128 v[2:5], v1 offset:1824
	s_waitcnt vmcnt(3) lgkmcnt(1)
	v_mul_f64 v[24:25], v[8:9], v[32:33]
	v_add_f64 v[14:15], v[14:15], v[18:19]
	v_add_f64 v[16:17], v[16:17], v[46:47]
	v_mul_f64 v[18:19], v[6:7], v[32:33]
	s_waitcnt vmcnt(2) lgkmcnt(0)
	v_mul_f64 v[28:29], v[4:5], v[36:37]
	v_fma_f64 v[24:25], v[6:7], v[30:31], -v[24:25]
	v_add_f64 v[14:15], v[14:15], v[22:23]
	v_add_f64 v[16:17], v[16:17], v[38:39]
	v_mul_f64 v[22:23], v[2:3], v[36:37]
	v_fma_f64 v[18:19], v[8:9], v[30:31], v[18:19]
	ds_load_b128 v[6:9], v1 offset:1840
	v_fma_f64 v[1:2], v[2:3], v[34:35], -v[28:29]
	v_add_f64 v[14:15], v[14:15], v[26:27]
	v_add_f64 v[16:17], v[16:17], v[20:21]
	s_waitcnt vmcnt(1) lgkmcnt(0)
	v_mul_f64 v[20:21], v[6:7], v[177:178]
	v_mul_f64 v[26:27], v[8:9], v[177:178]
	v_fma_f64 v[4:5], v[4:5], v[34:35], v[22:23]
	v_add_f64 v[14:15], v[14:15], v[24:25]
	v_add_f64 v[16:17], v[16:17], v[18:19]
	v_fma_f64 v[8:9], v[8:9], v[175:176], v[20:21]
	v_fma_f64 v[6:7], v[6:7], v[175:176], -v[26:27]
	s_delay_alu instid0(VALU_DEP_4) | instskip(NEXT) | instid1(VALU_DEP_4)
	v_add_f64 v[1:2], v[14:15], v[1:2]
	v_add_f64 v[3:4], v[16:17], v[4:5]
	s_delay_alu instid0(VALU_DEP_2) | instskip(NEXT) | instid1(VALU_DEP_2)
	v_add_f64 v[1:2], v[1:2], v[6:7]
	v_add_f64 v[3:4], v[3:4], v[8:9]
	s_waitcnt vmcnt(0)
	s_delay_alu instid0(VALU_DEP_2) | instskip(NEXT) | instid1(VALU_DEP_2)
	v_add_f64 v[1:2], v[10:11], -v[1:2]
	v_add_f64 v[3:4], v[12:13], -v[3:4]
	scratch_store_b128 off, v[1:4], off offset:432
	v_cmpx_lt_u32_e32 26, v158
	s_cbranch_execz .LBB121_309
; %bb.308:
	scratch_load_b32 v1, off, off offset:972 ; 4-byte Folded Reload
	v_mov_b32_e32 v5, 0
	s_delay_alu instid0(VALU_DEP_1)
	v_mov_b32_e32 v6, v5
	v_mov_b32_e32 v7, v5
	;; [unrolled: 1-line block ×3, first 2 shown]
	s_waitcnt vmcnt(0)
	scratch_load_b128 v[1:4], v1, off
	scratch_store_b128 off, v[5:8], off offset:416
	s_waitcnt vmcnt(0)
	ds_store_b128 v216, v[1:4]
.LBB121_309:
	s_or_b32 exec_lo, exec_lo, s2
	s_waitcnt lgkmcnt(0)
	s_waitcnt_vscnt null, 0x0
	s_barrier
	buffer_gl0_inv
	s_clause 0x7
	scratch_load_b128 v[2:5], off, off offset:432
	scratch_load_b128 v[6:9], off, off offset:448
	;; [unrolled: 1-line block ×8, first 2 shown]
	v_mov_b32_e32 v1, 0
	s_clause 0x1
	scratch_load_b128 v[34:37], off, off offset:560
	scratch_load_b128 v[175:178], off, off offset:576
	s_mov_b32 s2, exec_lo
	ds_load_b128 v[38:41], v1 offset:1360
	ds_load_b128 v[171:174], v1 offset:1376
	s_waitcnt vmcnt(9) lgkmcnt(1)
	v_mul_f64 v[44:45], v[40:41], v[4:5]
	v_mul_f64 v[4:5], v[38:39], v[4:5]
	s_waitcnt vmcnt(8) lgkmcnt(0)
	v_mul_f64 v[46:47], v[171:172], v[8:9]
	v_mul_f64 v[8:9], v[173:174], v[8:9]
	s_delay_alu instid0(VALU_DEP_4) | instskip(NEXT) | instid1(VALU_DEP_4)
	v_fma_f64 v[44:45], v[38:39], v[2:3], -v[44:45]
	v_fma_f64 v[48:49], v[40:41], v[2:3], v[4:5]
	ds_load_b128 v[2:5], v1 offset:1392
	scratch_load_b128 v[38:41], off, off offset:592
	v_fma_f64 v[46:47], v[173:174], v[6:7], v[46:47]
	v_fma_f64 v[52:53], v[171:172], v[6:7], -v[8:9]
	scratch_load_b128 v[171:174], off, off offset:608
	ds_load_b128 v[6:9], v1 offset:1408
	s_waitcnt vmcnt(9) lgkmcnt(1)
	v_mul_f64 v[50:51], v[2:3], v[12:13]
	v_mul_f64 v[12:13], v[4:5], v[12:13]
	s_waitcnt vmcnt(8) lgkmcnt(0)
	v_mul_f64 v[54:55], v[6:7], v[16:17]
	v_mul_f64 v[16:17], v[8:9], v[16:17]
	v_add_f64 v[44:45], v[44:45], 0
	v_add_f64 v[48:49], v[48:49], 0
	v_fma_f64 v[50:51], v[4:5], v[10:11], v[50:51]
	v_fma_f64 v[56:57], v[2:3], v[10:11], -v[12:13]
	ds_load_b128 v[2:5], v1 offset:1424
	scratch_load_b128 v[10:13], off, off offset:624
	v_add_f64 v[44:45], v[44:45], v[52:53]
	v_add_f64 v[46:47], v[48:49], v[46:47]
	v_fma_f64 v[52:53], v[8:9], v[14:15], v[54:55]
	v_fma_f64 v[54:55], v[6:7], v[14:15], -v[16:17]
	scratch_load_b128 v[14:17], off, off offset:640
	ds_load_b128 v[6:9], v1 offset:1440
	s_waitcnt vmcnt(9) lgkmcnt(1)
	v_mul_f64 v[48:49], v[2:3], v[20:21]
	v_mul_f64 v[20:21], v[4:5], v[20:21]
	v_add_f64 v[44:45], v[44:45], v[56:57]
	v_add_f64 v[46:47], v[46:47], v[50:51]
	s_waitcnt vmcnt(8) lgkmcnt(0)
	v_mul_f64 v[50:51], v[6:7], v[24:25]
	v_mul_f64 v[24:25], v[8:9], v[24:25]
	v_fma_f64 v[48:49], v[4:5], v[18:19], v[48:49]
	v_fma_f64 v[56:57], v[2:3], v[18:19], -v[20:21]
	ds_load_b128 v[2:5], v1 offset:1456
	scratch_load_b128 v[18:21], off, off offset:656
	v_add_f64 v[44:45], v[44:45], v[54:55]
	v_add_f64 v[46:47], v[46:47], v[52:53]
	v_fma_f64 v[50:51], v[8:9], v[22:23], v[50:51]
	v_fma_f64 v[54:55], v[6:7], v[22:23], -v[24:25]
	scratch_load_b128 v[22:25], off, off offset:672
	ds_load_b128 v[6:9], v1 offset:1472
	s_waitcnt vmcnt(9) lgkmcnt(1)
	v_mul_f64 v[52:53], v[2:3], v[28:29]
	v_mul_f64 v[28:29], v[4:5], v[28:29]
	v_add_f64 v[44:45], v[44:45], v[56:57]
	v_add_f64 v[46:47], v[46:47], v[48:49]
	s_waitcnt vmcnt(8) lgkmcnt(0)
	v_mul_f64 v[48:49], v[6:7], v[32:33]
	v_mul_f64 v[32:33], v[8:9], v[32:33]
	;; [unrolled: 18-line block ×3, first 2 shown]
	v_fma_f64 v[50:51], v[4:5], v[34:35], v[50:51]
	v_fma_f64 v[58:59], v[2:3], v[34:35], -v[36:37]
	ds_load_b128 v[2:5], v1 offset:1520
	scratch_load_b128 v[34:37], off, off offset:720
	v_add_f64 v[44:45], v[44:45], v[54:55]
	v_add_f64 v[46:47], v[46:47], v[48:49]
	v_fma_f64 v[52:53], v[8:9], v[175:176], v[52:53]
	v_fma_f64 v[54:55], v[6:7], v[175:176], -v[56:57]
	scratch_load_b128 v[175:178], off, off offset:736
	ds_load_b128 v[6:9], v1 offset:1536
	s_waitcnt vmcnt(9) lgkmcnt(1)
	v_mul_f64 v[48:49], v[2:3], v[40:41]
	v_mul_f64 v[40:41], v[4:5], v[40:41]
	s_waitcnt vmcnt(8) lgkmcnt(0)
	v_mul_f64 v[56:57], v[8:9], v[173:174]
	v_add_f64 v[44:45], v[44:45], v[58:59]
	v_add_f64 v[46:47], v[46:47], v[50:51]
	v_mul_f64 v[50:51], v[6:7], v[173:174]
	v_fma_f64 v[48:49], v[4:5], v[38:39], v[48:49]
	v_fma_f64 v[58:59], v[2:3], v[38:39], -v[40:41]
	ds_load_b128 v[2:5], v1 offset:1552
	scratch_load_b128 v[38:41], off, off offset:752
	v_add_f64 v[44:45], v[44:45], v[54:55]
	v_add_f64 v[46:47], v[46:47], v[52:53]
	v_fma_f64 v[50:51], v[8:9], v[171:172], v[50:51]
	v_fma_f64 v[54:55], v[6:7], v[171:172], -v[56:57]
	scratch_load_b128 v[171:174], off, off offset:768
	ds_load_b128 v[6:9], v1 offset:1568
	s_waitcnt vmcnt(9) lgkmcnt(1)
	v_mul_f64 v[52:53], v[2:3], v[12:13]
	v_mul_f64 v[12:13], v[4:5], v[12:13]
	v_add_f64 v[44:45], v[44:45], v[58:59]
	v_add_f64 v[46:47], v[46:47], v[48:49]
	s_waitcnt vmcnt(8) lgkmcnt(0)
	v_mul_f64 v[48:49], v[6:7], v[16:17]
	v_mul_f64 v[16:17], v[8:9], v[16:17]
	v_fma_f64 v[52:53], v[4:5], v[10:11], v[52:53]
	v_fma_f64 v[56:57], v[2:3], v[10:11], -v[12:13]
	ds_load_b128 v[2:5], v1 offset:1584
	scratch_load_b128 v[10:13], off, off offset:784
	v_add_f64 v[44:45], v[44:45], v[54:55]
	v_add_f64 v[46:47], v[46:47], v[50:51]
	v_fma_f64 v[48:49], v[8:9], v[14:15], v[48:49]
	v_fma_f64 v[54:55], v[6:7], v[14:15], -v[16:17]
	scratch_load_b128 v[14:17], off, off offset:800
	ds_load_b128 v[6:9], v1 offset:1600
	s_waitcnt vmcnt(9) lgkmcnt(1)
	v_mul_f64 v[50:51], v[2:3], v[20:21]
	v_mul_f64 v[20:21], v[4:5], v[20:21]
	v_add_f64 v[44:45], v[44:45], v[56:57]
	v_add_f64 v[46:47], v[46:47], v[52:53]
	s_waitcnt vmcnt(8) lgkmcnt(0)
	v_mul_f64 v[52:53], v[6:7], v[24:25]
	v_mul_f64 v[24:25], v[8:9], v[24:25]
	v_fma_f64 v[50:51], v[4:5], v[18:19], v[50:51]
	v_fma_f64 v[56:57], v[2:3], v[18:19], -v[20:21]
	ds_load_b128 v[2:5], v1 offset:1616
	scratch_load_b128 v[18:21], off, off offset:816
	v_add_f64 v[44:45], v[44:45], v[54:55]
	v_add_f64 v[46:47], v[46:47], v[48:49]
	v_fma_f64 v[52:53], v[8:9], v[22:23], v[52:53]
	v_fma_f64 v[54:55], v[6:7], v[22:23], -v[24:25]
	ds_load_b128 v[6:9], v1 offset:1632
	s_waitcnt vmcnt(8) lgkmcnt(1)
	v_mul_f64 v[48:49], v[2:3], v[28:29]
	v_mul_f64 v[28:29], v[4:5], v[28:29]
	scratch_load_b128 v[22:25], off, off offset:832
	v_add_f64 v[44:45], v[44:45], v[56:57]
	v_add_f64 v[46:47], v[46:47], v[50:51]
	s_waitcnt vmcnt(8) lgkmcnt(0)
	v_mul_f64 v[50:51], v[6:7], v[32:33]
	v_mul_f64 v[32:33], v[8:9], v[32:33]
	v_fma_f64 v[48:49], v[4:5], v[26:27], v[48:49]
	v_fma_f64 v[56:57], v[2:3], v[26:27], -v[28:29]
	scratch_load_b128 v[26:29], off, off offset:848
	ds_load_b128 v[2:5], v1 offset:1648
	v_add_f64 v[44:45], v[44:45], v[54:55]
	v_add_f64 v[46:47], v[46:47], v[52:53]
	v_fma_f64 v[50:51], v[8:9], v[30:31], v[50:51]
	v_fma_f64 v[54:55], v[6:7], v[30:31], -v[32:33]
	ds_load_b128 v[6:9], v1 offset:1664
	s_waitcnt vmcnt(8) lgkmcnt(1)
	v_mul_f64 v[52:53], v[2:3], v[36:37]
	v_mul_f64 v[36:37], v[4:5], v[36:37]
	scratch_load_b128 v[30:33], off, off offset:864
	v_add_f64 v[44:45], v[44:45], v[56:57]
	v_add_f64 v[46:47], v[46:47], v[48:49]
	s_waitcnt vmcnt(8) lgkmcnt(0)
	v_mul_f64 v[48:49], v[6:7], v[177:178]
	v_mul_f64 v[56:57], v[8:9], v[177:178]
	v_fma_f64 v[52:53], v[4:5], v[34:35], v[52:53]
	v_fma_f64 v[58:59], v[2:3], v[34:35], -v[36:37]
	scratch_load_b128 v[34:37], off, off offset:880
	ds_load_b128 v[2:5], v1 offset:1680
	v_add_f64 v[44:45], v[44:45], v[54:55]
	v_add_f64 v[46:47], v[46:47], v[50:51]
	v_fma_f64 v[48:49], v[8:9], v[175:176], v[48:49]
	v_fma_f64 v[54:55], v[6:7], v[175:176], -v[56:57]
	ds_load_b128 v[6:9], v1 offset:1696
	s_waitcnt vmcnt(8) lgkmcnt(1)
	v_mul_f64 v[50:51], v[2:3], v[40:41]
	v_mul_f64 v[40:41], v[4:5], v[40:41]
	scratch_load_b128 v[175:178], off, off offset:896
	s_waitcnt vmcnt(8) lgkmcnt(0)
	v_mul_f64 v[56:57], v[8:9], v[173:174]
	v_add_f64 v[44:45], v[44:45], v[58:59]
	v_add_f64 v[46:47], v[46:47], v[52:53]
	v_mul_f64 v[52:53], v[6:7], v[173:174]
	v_fma_f64 v[50:51], v[4:5], v[38:39], v[50:51]
	v_fma_f64 v[58:59], v[2:3], v[38:39], -v[40:41]
	scratch_load_b128 v[38:41], off, off offset:912
	ds_load_b128 v[2:5], v1 offset:1712
	v_add_f64 v[44:45], v[44:45], v[54:55]
	v_add_f64 v[46:47], v[46:47], v[48:49]
	v_fma_f64 v[52:53], v[8:9], v[171:172], v[52:53]
	v_fma_f64 v[54:55], v[6:7], v[171:172], -v[56:57]
	ds_load_b128 v[6:9], v1 offset:1728
	s_waitcnt vmcnt(8) lgkmcnt(1)
	v_mul_f64 v[48:49], v[2:3], v[12:13]
	v_mul_f64 v[12:13], v[4:5], v[12:13]
	v_add_f64 v[44:45], v[44:45], v[58:59]
	v_add_f64 v[46:47], v[46:47], v[50:51]
	s_waitcnt vmcnt(7) lgkmcnt(0)
	v_mul_f64 v[50:51], v[6:7], v[16:17]
	v_mul_f64 v[16:17], v[8:9], v[16:17]
	v_fma_f64 v[48:49], v[4:5], v[10:11], v[48:49]
	v_fma_f64 v[10:11], v[2:3], v[10:11], -v[12:13]
	ds_load_b128 v[2:5], v1 offset:1744
	v_add_f64 v[12:13], v[44:45], v[54:55]
	v_add_f64 v[44:45], v[46:47], v[52:53]
	v_fma_f64 v[50:51], v[8:9], v[14:15], v[50:51]
	v_fma_f64 v[14:15], v[6:7], v[14:15], -v[16:17]
	ds_load_b128 v[6:9], v1 offset:1760
	v_add_f64 v[16:17], v[12:13], v[10:11]
	v_add_f64 v[44:45], v[44:45], v[48:49]
	scratch_load_b128 v[10:13], off, off offset:416
	s_waitcnt vmcnt(7) lgkmcnt(1)
	v_mul_f64 v[46:47], v[2:3], v[20:21]
	v_mul_f64 v[20:21], v[4:5], v[20:21]
	s_waitcnt vmcnt(6) lgkmcnt(0)
	v_mul_f64 v[48:49], v[6:7], v[24:25]
	v_mul_f64 v[24:25], v[8:9], v[24:25]
	v_add_f64 v[14:15], v[16:17], v[14:15]
	v_add_f64 v[16:17], v[44:45], v[50:51]
	v_fma_f64 v[46:47], v[4:5], v[18:19], v[46:47]
	v_fma_f64 v[18:19], v[2:3], v[18:19], -v[20:21]
	ds_load_b128 v[2:5], v1 offset:1776
	v_fma_f64 v[44:45], v[8:9], v[22:23], v[48:49]
	v_fma_f64 v[22:23], v[6:7], v[22:23], -v[24:25]
	ds_load_b128 v[6:9], v1 offset:1792
	s_waitcnt vmcnt(5) lgkmcnt(1)
	v_mul_f64 v[20:21], v[2:3], v[28:29]
	v_mul_f64 v[28:29], v[4:5], v[28:29]
	s_waitcnt vmcnt(4) lgkmcnt(0)
	v_mul_f64 v[24:25], v[8:9], v[32:33]
	v_add_f64 v[16:17], v[16:17], v[46:47]
	v_add_f64 v[14:15], v[14:15], v[18:19]
	v_mul_f64 v[18:19], v[6:7], v[32:33]
	v_fma_f64 v[20:21], v[4:5], v[26:27], v[20:21]
	v_fma_f64 v[26:27], v[2:3], v[26:27], -v[28:29]
	ds_load_b128 v[2:5], v1 offset:1808
	v_fma_f64 v[24:25], v[6:7], v[30:31], -v[24:25]
	v_add_f64 v[16:17], v[16:17], v[44:45]
	v_add_f64 v[14:15], v[14:15], v[22:23]
	v_fma_f64 v[18:19], v[8:9], v[30:31], v[18:19]
	ds_load_b128 v[6:9], v1 offset:1824
	s_waitcnt vmcnt(3) lgkmcnt(1)
	v_mul_f64 v[22:23], v[2:3], v[36:37]
	v_mul_f64 v[28:29], v[4:5], v[36:37]
	v_add_f64 v[16:17], v[16:17], v[20:21]
	v_add_f64 v[14:15], v[14:15], v[26:27]
	s_waitcnt vmcnt(2) lgkmcnt(0)
	v_mul_f64 v[20:21], v[6:7], v[177:178]
	v_mul_f64 v[26:27], v[8:9], v[177:178]
	v_fma_f64 v[22:23], v[4:5], v[34:35], v[22:23]
	v_fma_f64 v[28:29], v[2:3], v[34:35], -v[28:29]
	ds_load_b128 v[2:5], v1 offset:1840
	v_add_f64 v[16:17], v[16:17], v[18:19]
	v_add_f64 v[14:15], v[14:15], v[24:25]
	s_waitcnt vmcnt(1) lgkmcnt(0)
	v_mul_f64 v[18:19], v[2:3], v[40:41]
	v_mul_f64 v[24:25], v[4:5], v[40:41]
	v_fma_f64 v[8:9], v[8:9], v[175:176], v[20:21]
	v_fma_f64 v[6:7], v[6:7], v[175:176], -v[26:27]
	v_add_f64 v[16:17], v[16:17], v[22:23]
	v_add_f64 v[14:15], v[14:15], v[28:29]
	v_fma_f64 v[4:5], v[4:5], v[38:39], v[18:19]
	v_fma_f64 v[2:3], v[2:3], v[38:39], -v[24:25]
	s_delay_alu instid0(VALU_DEP_4) | instskip(NEXT) | instid1(VALU_DEP_4)
	v_add_f64 v[8:9], v[16:17], v[8:9]
	v_add_f64 v[6:7], v[14:15], v[6:7]
	s_delay_alu instid0(VALU_DEP_2) | instskip(NEXT) | instid1(VALU_DEP_2)
	v_add_f64 v[4:5], v[8:9], v[4:5]
	v_add_f64 v[2:3], v[6:7], v[2:3]
	s_waitcnt vmcnt(0)
	s_delay_alu instid0(VALU_DEP_2) | instskip(NEXT) | instid1(VALU_DEP_2)
	v_add_f64 v[4:5], v[12:13], -v[4:5]
	v_add_f64 v[2:3], v[10:11], -v[2:3]
	scratch_store_b128 off, v[2:5], off offset:416
	v_cmpx_lt_u32_e32 25, v158
	s_cbranch_execz .LBB121_311
; %bb.310:
	scratch_load_b32 v2, off, off offset:980 ; 4-byte Folded Reload
	v_mov_b32_e32 v3, v1
	v_mov_b32_e32 v4, v1
	s_waitcnt vmcnt(0)
	scratch_load_b128 v[5:8], v2, off
	v_mov_b32_e32 v2, v1
	scratch_store_b128 off, v[1:4], off offset:400
	s_waitcnt vmcnt(0)
	ds_store_b128 v216, v[5:8]
.LBB121_311:
	s_or_b32 exec_lo, exec_lo, s2
	s_waitcnt lgkmcnt(0)
	s_waitcnt_vscnt null, 0x0
	s_barrier
	buffer_gl0_inv
	s_clause 0x7
	scratch_load_b128 v[2:5], off, off offset:416
	scratch_load_b128 v[6:9], off, off offset:432
	scratch_load_b128 v[10:13], off, off offset:448
	scratch_load_b128 v[14:17], off, off offset:464
	scratch_load_b128 v[18:21], off, off offset:480
	scratch_load_b128 v[22:25], off, off offset:496
	scratch_load_b128 v[26:29], off, off offset:512
	scratch_load_b128 v[30:33], off, off offset:528
	ds_load_b128 v[38:41], v1 offset:1344
	ds_load_b128 v[171:174], v1 offset:1360
	s_clause 0x1
	scratch_load_b128 v[34:37], off, off offset:544
	scratch_load_b128 v[175:178], off, off offset:560
	s_mov_b32 s2, exec_lo
	s_waitcnt vmcnt(9) lgkmcnt(1)
	v_mul_f64 v[44:45], v[40:41], v[4:5]
	v_mul_f64 v[4:5], v[38:39], v[4:5]
	s_waitcnt vmcnt(8) lgkmcnt(0)
	v_mul_f64 v[46:47], v[171:172], v[8:9]
	v_mul_f64 v[8:9], v[173:174], v[8:9]
	s_delay_alu instid0(VALU_DEP_4) | instskip(NEXT) | instid1(VALU_DEP_4)
	v_fma_f64 v[44:45], v[38:39], v[2:3], -v[44:45]
	v_fma_f64 v[48:49], v[40:41], v[2:3], v[4:5]
	ds_load_b128 v[2:5], v1 offset:1376
	scratch_load_b128 v[38:41], off, off offset:576
	v_fma_f64 v[46:47], v[173:174], v[6:7], v[46:47]
	v_fma_f64 v[52:53], v[171:172], v[6:7], -v[8:9]
	scratch_load_b128 v[171:174], off, off offset:592
	ds_load_b128 v[6:9], v1 offset:1392
	s_waitcnt vmcnt(9) lgkmcnt(1)
	v_mul_f64 v[50:51], v[2:3], v[12:13]
	v_mul_f64 v[12:13], v[4:5], v[12:13]
	s_waitcnt vmcnt(8) lgkmcnt(0)
	v_mul_f64 v[54:55], v[6:7], v[16:17]
	v_mul_f64 v[16:17], v[8:9], v[16:17]
	v_add_f64 v[44:45], v[44:45], 0
	v_add_f64 v[48:49], v[48:49], 0
	v_fma_f64 v[50:51], v[4:5], v[10:11], v[50:51]
	v_fma_f64 v[56:57], v[2:3], v[10:11], -v[12:13]
	ds_load_b128 v[2:5], v1 offset:1408
	scratch_load_b128 v[10:13], off, off offset:608
	v_add_f64 v[44:45], v[44:45], v[52:53]
	v_add_f64 v[46:47], v[48:49], v[46:47]
	v_fma_f64 v[52:53], v[8:9], v[14:15], v[54:55]
	v_fma_f64 v[54:55], v[6:7], v[14:15], -v[16:17]
	scratch_load_b128 v[14:17], off, off offset:624
	ds_load_b128 v[6:9], v1 offset:1424
	s_waitcnt vmcnt(9) lgkmcnt(1)
	v_mul_f64 v[48:49], v[2:3], v[20:21]
	v_mul_f64 v[20:21], v[4:5], v[20:21]
	v_add_f64 v[44:45], v[44:45], v[56:57]
	v_add_f64 v[46:47], v[46:47], v[50:51]
	s_waitcnt vmcnt(8) lgkmcnt(0)
	v_mul_f64 v[50:51], v[6:7], v[24:25]
	v_mul_f64 v[24:25], v[8:9], v[24:25]
	v_fma_f64 v[48:49], v[4:5], v[18:19], v[48:49]
	v_fma_f64 v[56:57], v[2:3], v[18:19], -v[20:21]
	ds_load_b128 v[2:5], v1 offset:1440
	scratch_load_b128 v[18:21], off, off offset:640
	v_add_f64 v[44:45], v[44:45], v[54:55]
	v_add_f64 v[46:47], v[46:47], v[52:53]
	v_fma_f64 v[50:51], v[8:9], v[22:23], v[50:51]
	v_fma_f64 v[54:55], v[6:7], v[22:23], -v[24:25]
	scratch_load_b128 v[22:25], off, off offset:656
	ds_load_b128 v[6:9], v1 offset:1456
	s_waitcnt vmcnt(9) lgkmcnt(1)
	v_mul_f64 v[52:53], v[2:3], v[28:29]
	v_mul_f64 v[28:29], v[4:5], v[28:29]
	v_add_f64 v[44:45], v[44:45], v[56:57]
	v_add_f64 v[46:47], v[46:47], v[48:49]
	s_waitcnt vmcnt(8) lgkmcnt(0)
	v_mul_f64 v[48:49], v[6:7], v[32:33]
	v_mul_f64 v[32:33], v[8:9], v[32:33]
	;; [unrolled: 18-line block ×3, first 2 shown]
	v_fma_f64 v[50:51], v[4:5], v[34:35], v[50:51]
	v_fma_f64 v[58:59], v[2:3], v[34:35], -v[36:37]
	ds_load_b128 v[2:5], v1 offset:1504
	scratch_load_b128 v[34:37], off, off offset:704
	v_add_f64 v[44:45], v[44:45], v[54:55]
	v_add_f64 v[46:47], v[46:47], v[48:49]
	v_fma_f64 v[52:53], v[8:9], v[175:176], v[52:53]
	v_fma_f64 v[54:55], v[6:7], v[175:176], -v[56:57]
	scratch_load_b128 v[175:178], off, off offset:720
	ds_load_b128 v[6:9], v1 offset:1520
	s_waitcnt vmcnt(9) lgkmcnt(1)
	v_mul_f64 v[48:49], v[2:3], v[40:41]
	v_mul_f64 v[40:41], v[4:5], v[40:41]
	s_waitcnt vmcnt(8) lgkmcnt(0)
	v_mul_f64 v[56:57], v[8:9], v[173:174]
	v_add_f64 v[44:45], v[44:45], v[58:59]
	v_add_f64 v[46:47], v[46:47], v[50:51]
	v_mul_f64 v[50:51], v[6:7], v[173:174]
	v_fma_f64 v[48:49], v[4:5], v[38:39], v[48:49]
	v_fma_f64 v[58:59], v[2:3], v[38:39], -v[40:41]
	ds_load_b128 v[2:5], v1 offset:1536
	scratch_load_b128 v[38:41], off, off offset:736
	v_add_f64 v[44:45], v[44:45], v[54:55]
	v_add_f64 v[46:47], v[46:47], v[52:53]
	v_fma_f64 v[50:51], v[8:9], v[171:172], v[50:51]
	v_fma_f64 v[54:55], v[6:7], v[171:172], -v[56:57]
	scratch_load_b128 v[171:174], off, off offset:752
	ds_load_b128 v[6:9], v1 offset:1552
	s_waitcnt vmcnt(9) lgkmcnt(1)
	v_mul_f64 v[52:53], v[2:3], v[12:13]
	v_mul_f64 v[12:13], v[4:5], v[12:13]
	v_add_f64 v[44:45], v[44:45], v[58:59]
	v_add_f64 v[46:47], v[46:47], v[48:49]
	s_waitcnt vmcnt(8) lgkmcnt(0)
	v_mul_f64 v[48:49], v[6:7], v[16:17]
	v_mul_f64 v[16:17], v[8:9], v[16:17]
	v_fma_f64 v[52:53], v[4:5], v[10:11], v[52:53]
	v_fma_f64 v[56:57], v[2:3], v[10:11], -v[12:13]
	ds_load_b128 v[2:5], v1 offset:1568
	scratch_load_b128 v[10:13], off, off offset:768
	v_add_f64 v[44:45], v[44:45], v[54:55]
	v_add_f64 v[46:47], v[46:47], v[50:51]
	v_fma_f64 v[48:49], v[8:9], v[14:15], v[48:49]
	v_fma_f64 v[54:55], v[6:7], v[14:15], -v[16:17]
	scratch_load_b128 v[14:17], off, off offset:784
	ds_load_b128 v[6:9], v1 offset:1584
	s_waitcnt vmcnt(9) lgkmcnt(1)
	v_mul_f64 v[50:51], v[2:3], v[20:21]
	v_mul_f64 v[20:21], v[4:5], v[20:21]
	v_add_f64 v[44:45], v[44:45], v[56:57]
	v_add_f64 v[46:47], v[46:47], v[52:53]
	s_waitcnt vmcnt(8) lgkmcnt(0)
	v_mul_f64 v[52:53], v[6:7], v[24:25]
	v_mul_f64 v[24:25], v[8:9], v[24:25]
	v_fma_f64 v[50:51], v[4:5], v[18:19], v[50:51]
	v_fma_f64 v[56:57], v[2:3], v[18:19], -v[20:21]
	ds_load_b128 v[2:5], v1 offset:1600
	scratch_load_b128 v[18:21], off, off offset:800
	v_add_f64 v[44:45], v[44:45], v[54:55]
	v_add_f64 v[46:47], v[46:47], v[48:49]
	v_fma_f64 v[52:53], v[8:9], v[22:23], v[52:53]
	v_fma_f64 v[54:55], v[6:7], v[22:23], -v[24:25]
	ds_load_b128 v[6:9], v1 offset:1616
	s_waitcnt vmcnt(8) lgkmcnt(1)
	v_mul_f64 v[48:49], v[2:3], v[28:29]
	v_mul_f64 v[28:29], v[4:5], v[28:29]
	scratch_load_b128 v[22:25], off, off offset:816
	v_add_f64 v[44:45], v[44:45], v[56:57]
	v_add_f64 v[46:47], v[46:47], v[50:51]
	s_waitcnt vmcnt(8) lgkmcnt(0)
	v_mul_f64 v[50:51], v[6:7], v[32:33]
	v_mul_f64 v[32:33], v[8:9], v[32:33]
	v_fma_f64 v[48:49], v[4:5], v[26:27], v[48:49]
	v_fma_f64 v[56:57], v[2:3], v[26:27], -v[28:29]
	ds_load_b128 v[2:5], v1 offset:1632
	scratch_load_b128 v[26:29], off, off offset:832
	v_add_f64 v[44:45], v[44:45], v[54:55]
	v_add_f64 v[46:47], v[46:47], v[52:53]
	v_fma_f64 v[50:51], v[8:9], v[30:31], v[50:51]
	v_fma_f64 v[54:55], v[6:7], v[30:31], -v[32:33]
	ds_load_b128 v[6:9], v1 offset:1648
	s_waitcnt vmcnt(8) lgkmcnt(1)
	v_mul_f64 v[52:53], v[2:3], v[36:37]
	v_mul_f64 v[36:37], v[4:5], v[36:37]
	scratch_load_b128 v[30:33], off, off offset:848
	v_add_f64 v[44:45], v[44:45], v[56:57]
	v_add_f64 v[46:47], v[46:47], v[48:49]
	s_waitcnt vmcnt(8) lgkmcnt(0)
	v_mul_f64 v[48:49], v[6:7], v[177:178]
	v_mul_f64 v[56:57], v[8:9], v[177:178]
	v_fma_f64 v[52:53], v[4:5], v[34:35], v[52:53]
	v_fma_f64 v[58:59], v[2:3], v[34:35], -v[36:37]
	scratch_load_b128 v[34:37], off, off offset:864
	ds_load_b128 v[2:5], v1 offset:1664
	v_add_f64 v[44:45], v[44:45], v[54:55]
	v_add_f64 v[46:47], v[46:47], v[50:51]
	v_fma_f64 v[48:49], v[8:9], v[175:176], v[48:49]
	v_fma_f64 v[54:55], v[6:7], v[175:176], -v[56:57]
	ds_load_b128 v[6:9], v1 offset:1680
	s_waitcnt vmcnt(8) lgkmcnt(1)
	v_mul_f64 v[50:51], v[2:3], v[40:41]
	v_mul_f64 v[40:41], v[4:5], v[40:41]
	scratch_load_b128 v[175:178], off, off offset:880
	s_waitcnt vmcnt(8) lgkmcnt(0)
	v_mul_f64 v[56:57], v[8:9], v[173:174]
	v_add_f64 v[44:45], v[44:45], v[58:59]
	v_add_f64 v[46:47], v[46:47], v[52:53]
	v_mul_f64 v[52:53], v[6:7], v[173:174]
	v_fma_f64 v[50:51], v[4:5], v[38:39], v[50:51]
	v_fma_f64 v[58:59], v[2:3], v[38:39], -v[40:41]
	scratch_load_b128 v[38:41], off, off offset:896
	ds_load_b128 v[2:5], v1 offset:1696
	v_add_f64 v[44:45], v[44:45], v[54:55]
	v_add_f64 v[46:47], v[46:47], v[48:49]
	v_fma_f64 v[52:53], v[8:9], v[171:172], v[52:53]
	v_fma_f64 v[54:55], v[6:7], v[171:172], -v[56:57]
	ds_load_b128 v[6:9], v1 offset:1712
	s_waitcnt vmcnt(8) lgkmcnt(1)
	v_mul_f64 v[48:49], v[2:3], v[12:13]
	v_mul_f64 v[12:13], v[4:5], v[12:13]
	scratch_load_b128 v[171:174], off, off offset:912
	v_add_f64 v[44:45], v[44:45], v[58:59]
	v_add_f64 v[46:47], v[46:47], v[50:51]
	s_waitcnt vmcnt(8) lgkmcnt(0)
	v_mul_f64 v[50:51], v[6:7], v[16:17]
	v_mul_f64 v[16:17], v[8:9], v[16:17]
	v_fma_f64 v[48:49], v[4:5], v[10:11], v[48:49]
	v_fma_f64 v[10:11], v[2:3], v[10:11], -v[12:13]
	ds_load_b128 v[2:5], v1 offset:1728
	v_add_f64 v[12:13], v[44:45], v[54:55]
	v_add_f64 v[44:45], v[46:47], v[52:53]
	v_fma_f64 v[50:51], v[8:9], v[14:15], v[50:51]
	v_fma_f64 v[14:15], v[6:7], v[14:15], -v[16:17]
	ds_load_b128 v[6:9], v1 offset:1744
	s_waitcnt vmcnt(7) lgkmcnt(1)
	v_mul_f64 v[46:47], v[2:3], v[20:21]
	v_mul_f64 v[20:21], v[4:5], v[20:21]
	v_add_f64 v[10:11], v[12:13], v[10:11]
	v_add_f64 v[12:13], v[44:45], v[48:49]
	s_delay_alu instid0(VALU_DEP_4) | instskip(NEXT) | instid1(VALU_DEP_4)
	v_fma_f64 v[44:45], v[4:5], v[18:19], v[46:47]
	v_fma_f64 v[18:19], v[2:3], v[18:19], -v[20:21]
	ds_load_b128 v[2:5], v1 offset:1760
	v_add_f64 v[14:15], v[10:11], v[14:15]
	v_add_f64 v[20:21], v[12:13], v[50:51]
	scratch_load_b128 v[10:13], off, off offset:400
	s_waitcnt vmcnt(7) lgkmcnt(1)
	v_mul_f64 v[16:17], v[6:7], v[24:25]
	v_mul_f64 v[24:25], v[8:9], v[24:25]
	v_add_f64 v[14:15], v[14:15], v[18:19]
	v_add_f64 v[18:19], v[20:21], v[44:45]
	s_delay_alu instid0(VALU_DEP_4) | instskip(NEXT) | instid1(VALU_DEP_4)
	v_fma_f64 v[16:17], v[8:9], v[22:23], v[16:17]
	v_fma_f64 v[22:23], v[6:7], v[22:23], -v[24:25]
	ds_load_b128 v[6:9], v1 offset:1776
	s_waitcnt vmcnt(6) lgkmcnt(1)
	v_mul_f64 v[46:47], v[2:3], v[28:29]
	v_mul_f64 v[28:29], v[4:5], v[28:29]
	s_waitcnt vmcnt(5) lgkmcnt(0)
	v_mul_f64 v[20:21], v[6:7], v[32:33]
	v_mul_f64 v[24:25], v[8:9], v[32:33]
	v_add_f64 v[16:17], v[18:19], v[16:17]
	v_add_f64 v[14:15], v[14:15], v[22:23]
	v_fma_f64 v[32:33], v[4:5], v[26:27], v[46:47]
	v_fma_f64 v[26:27], v[2:3], v[26:27], -v[28:29]
	ds_load_b128 v[2:5], v1 offset:1792
	v_fma_f64 v[20:21], v[8:9], v[30:31], v[20:21]
	v_fma_f64 v[24:25], v[6:7], v[30:31], -v[24:25]
	ds_load_b128 v[6:9], v1 offset:1808
	s_waitcnt vmcnt(4) lgkmcnt(1)
	v_mul_f64 v[18:19], v[2:3], v[36:37]
	v_mul_f64 v[22:23], v[4:5], v[36:37]
	v_add_f64 v[16:17], v[16:17], v[32:33]
	v_add_f64 v[14:15], v[14:15], v[26:27]
	s_waitcnt vmcnt(3) lgkmcnt(0)
	v_mul_f64 v[26:27], v[6:7], v[177:178]
	v_mul_f64 v[28:29], v[8:9], v[177:178]
	v_fma_f64 v[18:19], v[4:5], v[34:35], v[18:19]
	v_fma_f64 v[22:23], v[2:3], v[34:35], -v[22:23]
	ds_load_b128 v[2:5], v1 offset:1824
	v_add_f64 v[16:17], v[16:17], v[20:21]
	v_add_f64 v[14:15], v[14:15], v[24:25]
	v_fma_f64 v[26:27], v[8:9], v[175:176], v[26:27]
	v_fma_f64 v[28:29], v[6:7], v[175:176], -v[28:29]
	ds_load_b128 v[6:9], v1 offset:1840
	s_waitcnt vmcnt(2) lgkmcnt(1)
	v_mul_f64 v[20:21], v[2:3], v[40:41]
	v_mul_f64 v[24:25], v[4:5], v[40:41]
	v_add_f64 v[16:17], v[16:17], v[18:19]
	v_add_f64 v[14:15], v[14:15], v[22:23]
	s_waitcnt vmcnt(1) lgkmcnt(0)
	v_mul_f64 v[18:19], v[6:7], v[173:174]
	v_mul_f64 v[22:23], v[8:9], v[173:174]
	v_fma_f64 v[4:5], v[4:5], v[38:39], v[20:21]
	v_fma_f64 v[1:2], v[2:3], v[38:39], -v[24:25]
	v_add_f64 v[16:17], v[16:17], v[26:27]
	v_add_f64 v[14:15], v[14:15], v[28:29]
	v_fma_f64 v[8:9], v[8:9], v[171:172], v[18:19]
	v_fma_f64 v[6:7], v[6:7], v[171:172], -v[22:23]
	s_delay_alu instid0(VALU_DEP_4) | instskip(NEXT) | instid1(VALU_DEP_4)
	v_add_f64 v[3:4], v[16:17], v[4:5]
	v_add_f64 v[1:2], v[14:15], v[1:2]
	s_delay_alu instid0(VALU_DEP_2) | instskip(NEXT) | instid1(VALU_DEP_2)
	v_add_f64 v[3:4], v[3:4], v[8:9]
	v_add_f64 v[1:2], v[1:2], v[6:7]
	s_waitcnt vmcnt(0)
	s_delay_alu instid0(VALU_DEP_2) | instskip(NEXT) | instid1(VALU_DEP_2)
	v_add_f64 v[3:4], v[12:13], -v[3:4]
	v_add_f64 v[1:2], v[10:11], -v[1:2]
	scratch_store_b128 off, v[1:4], off offset:400
	v_cmpx_lt_u32_e32 24, v158
	s_cbranch_execz .LBB121_313
; %bb.312:
	scratch_load_b32 v1, off, off offset:984 ; 4-byte Folded Reload
	v_mov_b32_e32 v5, 0
	s_delay_alu instid0(VALU_DEP_1)
	v_mov_b32_e32 v6, v5
	v_mov_b32_e32 v7, v5
	;; [unrolled: 1-line block ×3, first 2 shown]
	s_waitcnt vmcnt(0)
	scratch_load_b128 v[1:4], v1, off
	scratch_store_b128 off, v[5:8], off offset:384
	s_waitcnt vmcnt(0)
	ds_store_b128 v216, v[1:4]
.LBB121_313:
	s_or_b32 exec_lo, exec_lo, s2
	s_waitcnt lgkmcnt(0)
	s_waitcnt_vscnt null, 0x0
	s_barrier
	buffer_gl0_inv
	s_clause 0x7
	scratch_load_b128 v[2:5], off, off offset:400
	scratch_load_b128 v[6:9], off, off offset:416
	scratch_load_b128 v[10:13], off, off offset:432
	scratch_load_b128 v[14:17], off, off offset:448
	scratch_load_b128 v[18:21], off, off offset:464
	scratch_load_b128 v[22:25], off, off offset:480
	scratch_load_b128 v[26:29], off, off offset:496
	scratch_load_b128 v[30:33], off, off offset:512
	v_mov_b32_e32 v1, 0
	s_clause 0x1
	scratch_load_b128 v[34:37], off, off offset:528
	scratch_load_b128 v[175:178], off, off offset:544
	s_mov_b32 s2, exec_lo
	ds_load_b128 v[38:41], v1 offset:1328
	ds_load_b128 v[171:174], v1 offset:1344
	s_waitcnt vmcnt(9) lgkmcnt(1)
	v_mul_f64 v[44:45], v[40:41], v[4:5]
	v_mul_f64 v[4:5], v[38:39], v[4:5]
	s_waitcnt vmcnt(8) lgkmcnt(0)
	v_mul_f64 v[46:47], v[171:172], v[8:9]
	v_mul_f64 v[8:9], v[173:174], v[8:9]
	s_delay_alu instid0(VALU_DEP_4) | instskip(NEXT) | instid1(VALU_DEP_4)
	v_fma_f64 v[44:45], v[38:39], v[2:3], -v[44:45]
	v_fma_f64 v[48:49], v[40:41], v[2:3], v[4:5]
	ds_load_b128 v[2:5], v1 offset:1360
	scratch_load_b128 v[38:41], off, off offset:560
	v_fma_f64 v[46:47], v[173:174], v[6:7], v[46:47]
	v_fma_f64 v[52:53], v[171:172], v[6:7], -v[8:9]
	scratch_load_b128 v[171:174], off, off offset:576
	ds_load_b128 v[6:9], v1 offset:1376
	s_waitcnt vmcnt(9) lgkmcnt(1)
	v_mul_f64 v[50:51], v[2:3], v[12:13]
	v_mul_f64 v[12:13], v[4:5], v[12:13]
	s_waitcnt vmcnt(8) lgkmcnt(0)
	v_mul_f64 v[54:55], v[6:7], v[16:17]
	v_mul_f64 v[16:17], v[8:9], v[16:17]
	v_add_f64 v[44:45], v[44:45], 0
	v_add_f64 v[48:49], v[48:49], 0
	v_fma_f64 v[50:51], v[4:5], v[10:11], v[50:51]
	v_fma_f64 v[56:57], v[2:3], v[10:11], -v[12:13]
	ds_load_b128 v[2:5], v1 offset:1392
	scratch_load_b128 v[10:13], off, off offset:592
	v_add_f64 v[44:45], v[44:45], v[52:53]
	v_add_f64 v[46:47], v[48:49], v[46:47]
	v_fma_f64 v[52:53], v[8:9], v[14:15], v[54:55]
	v_fma_f64 v[54:55], v[6:7], v[14:15], -v[16:17]
	scratch_load_b128 v[14:17], off, off offset:608
	ds_load_b128 v[6:9], v1 offset:1408
	s_waitcnt vmcnt(9) lgkmcnt(1)
	v_mul_f64 v[48:49], v[2:3], v[20:21]
	v_mul_f64 v[20:21], v[4:5], v[20:21]
	v_add_f64 v[44:45], v[44:45], v[56:57]
	v_add_f64 v[46:47], v[46:47], v[50:51]
	s_waitcnt vmcnt(8) lgkmcnt(0)
	v_mul_f64 v[50:51], v[6:7], v[24:25]
	v_mul_f64 v[24:25], v[8:9], v[24:25]
	v_fma_f64 v[48:49], v[4:5], v[18:19], v[48:49]
	v_fma_f64 v[56:57], v[2:3], v[18:19], -v[20:21]
	ds_load_b128 v[2:5], v1 offset:1424
	scratch_load_b128 v[18:21], off, off offset:624
	v_add_f64 v[44:45], v[44:45], v[54:55]
	v_add_f64 v[46:47], v[46:47], v[52:53]
	v_fma_f64 v[50:51], v[8:9], v[22:23], v[50:51]
	v_fma_f64 v[54:55], v[6:7], v[22:23], -v[24:25]
	scratch_load_b128 v[22:25], off, off offset:640
	ds_load_b128 v[6:9], v1 offset:1440
	s_waitcnt vmcnt(9) lgkmcnt(1)
	v_mul_f64 v[52:53], v[2:3], v[28:29]
	v_mul_f64 v[28:29], v[4:5], v[28:29]
	v_add_f64 v[44:45], v[44:45], v[56:57]
	v_add_f64 v[46:47], v[46:47], v[48:49]
	s_waitcnt vmcnt(8) lgkmcnt(0)
	v_mul_f64 v[48:49], v[6:7], v[32:33]
	v_mul_f64 v[32:33], v[8:9], v[32:33]
	;; [unrolled: 18-line block ×3, first 2 shown]
	v_fma_f64 v[50:51], v[4:5], v[34:35], v[50:51]
	v_fma_f64 v[58:59], v[2:3], v[34:35], -v[36:37]
	ds_load_b128 v[2:5], v1 offset:1488
	scratch_load_b128 v[34:37], off, off offset:688
	v_add_f64 v[44:45], v[44:45], v[54:55]
	v_add_f64 v[46:47], v[46:47], v[48:49]
	v_fma_f64 v[52:53], v[8:9], v[175:176], v[52:53]
	v_fma_f64 v[54:55], v[6:7], v[175:176], -v[56:57]
	scratch_load_b128 v[175:178], off, off offset:704
	ds_load_b128 v[6:9], v1 offset:1504
	s_waitcnt vmcnt(9) lgkmcnt(1)
	v_mul_f64 v[48:49], v[2:3], v[40:41]
	v_mul_f64 v[40:41], v[4:5], v[40:41]
	s_waitcnt vmcnt(8) lgkmcnt(0)
	v_mul_f64 v[56:57], v[8:9], v[173:174]
	v_add_f64 v[44:45], v[44:45], v[58:59]
	v_add_f64 v[46:47], v[46:47], v[50:51]
	v_mul_f64 v[50:51], v[6:7], v[173:174]
	v_fma_f64 v[48:49], v[4:5], v[38:39], v[48:49]
	v_fma_f64 v[58:59], v[2:3], v[38:39], -v[40:41]
	ds_load_b128 v[2:5], v1 offset:1520
	scratch_load_b128 v[38:41], off, off offset:720
	v_add_f64 v[44:45], v[44:45], v[54:55]
	v_add_f64 v[46:47], v[46:47], v[52:53]
	v_fma_f64 v[50:51], v[8:9], v[171:172], v[50:51]
	v_fma_f64 v[54:55], v[6:7], v[171:172], -v[56:57]
	scratch_load_b128 v[171:174], off, off offset:736
	ds_load_b128 v[6:9], v1 offset:1536
	s_waitcnt vmcnt(9) lgkmcnt(1)
	v_mul_f64 v[52:53], v[2:3], v[12:13]
	v_mul_f64 v[12:13], v[4:5], v[12:13]
	v_add_f64 v[44:45], v[44:45], v[58:59]
	v_add_f64 v[46:47], v[46:47], v[48:49]
	s_waitcnt vmcnt(8) lgkmcnt(0)
	v_mul_f64 v[48:49], v[6:7], v[16:17]
	v_mul_f64 v[16:17], v[8:9], v[16:17]
	v_fma_f64 v[52:53], v[4:5], v[10:11], v[52:53]
	v_fma_f64 v[56:57], v[2:3], v[10:11], -v[12:13]
	ds_load_b128 v[2:5], v1 offset:1552
	scratch_load_b128 v[10:13], off, off offset:752
	v_add_f64 v[44:45], v[44:45], v[54:55]
	v_add_f64 v[46:47], v[46:47], v[50:51]
	v_fma_f64 v[48:49], v[8:9], v[14:15], v[48:49]
	v_fma_f64 v[54:55], v[6:7], v[14:15], -v[16:17]
	scratch_load_b128 v[14:17], off, off offset:768
	ds_load_b128 v[6:9], v1 offset:1568
	s_waitcnt vmcnt(9) lgkmcnt(1)
	v_mul_f64 v[50:51], v[2:3], v[20:21]
	v_mul_f64 v[20:21], v[4:5], v[20:21]
	v_add_f64 v[44:45], v[44:45], v[56:57]
	v_add_f64 v[46:47], v[46:47], v[52:53]
	s_waitcnt vmcnt(8) lgkmcnt(0)
	v_mul_f64 v[52:53], v[6:7], v[24:25]
	;; [unrolled: 18-line block ×3, first 2 shown]
	v_mul_f64 v[32:33], v[8:9], v[32:33]
	v_fma_f64 v[48:49], v[4:5], v[26:27], v[48:49]
	v_fma_f64 v[56:57], v[2:3], v[26:27], -v[28:29]
	ds_load_b128 v[2:5], v1 offset:1616
	scratch_load_b128 v[26:29], off, off offset:816
	v_add_f64 v[44:45], v[44:45], v[54:55]
	v_add_f64 v[46:47], v[46:47], v[52:53]
	v_fma_f64 v[50:51], v[8:9], v[30:31], v[50:51]
	v_fma_f64 v[54:55], v[6:7], v[30:31], -v[32:33]
	ds_load_b128 v[6:9], v1 offset:1632
	s_waitcnt vmcnt(8) lgkmcnt(1)
	v_mul_f64 v[52:53], v[2:3], v[36:37]
	v_mul_f64 v[36:37], v[4:5], v[36:37]
	scratch_load_b128 v[30:33], off, off offset:832
	v_add_f64 v[44:45], v[44:45], v[56:57]
	v_add_f64 v[46:47], v[46:47], v[48:49]
	s_waitcnt vmcnt(8) lgkmcnt(0)
	v_mul_f64 v[48:49], v[6:7], v[177:178]
	v_mul_f64 v[56:57], v[8:9], v[177:178]
	v_fma_f64 v[52:53], v[4:5], v[34:35], v[52:53]
	v_fma_f64 v[58:59], v[2:3], v[34:35], -v[36:37]
	scratch_load_b128 v[34:37], off, off offset:848
	ds_load_b128 v[2:5], v1 offset:1648
	v_add_f64 v[44:45], v[44:45], v[54:55]
	v_add_f64 v[46:47], v[46:47], v[50:51]
	v_fma_f64 v[48:49], v[8:9], v[175:176], v[48:49]
	v_fma_f64 v[54:55], v[6:7], v[175:176], -v[56:57]
	ds_load_b128 v[6:9], v1 offset:1664
	s_waitcnt vmcnt(8) lgkmcnt(1)
	v_mul_f64 v[50:51], v[2:3], v[40:41]
	v_mul_f64 v[40:41], v[4:5], v[40:41]
	scratch_load_b128 v[175:178], off, off offset:864
	s_waitcnt vmcnt(8) lgkmcnt(0)
	v_mul_f64 v[56:57], v[8:9], v[173:174]
	v_add_f64 v[44:45], v[44:45], v[58:59]
	v_add_f64 v[46:47], v[46:47], v[52:53]
	v_mul_f64 v[52:53], v[6:7], v[173:174]
	v_fma_f64 v[50:51], v[4:5], v[38:39], v[50:51]
	v_fma_f64 v[58:59], v[2:3], v[38:39], -v[40:41]
	scratch_load_b128 v[38:41], off, off offset:880
	ds_load_b128 v[2:5], v1 offset:1680
	v_add_f64 v[44:45], v[44:45], v[54:55]
	v_add_f64 v[46:47], v[46:47], v[48:49]
	v_fma_f64 v[52:53], v[8:9], v[171:172], v[52:53]
	v_fma_f64 v[54:55], v[6:7], v[171:172], -v[56:57]
	ds_load_b128 v[6:9], v1 offset:1696
	s_waitcnt vmcnt(8) lgkmcnt(1)
	v_mul_f64 v[48:49], v[2:3], v[12:13]
	v_mul_f64 v[12:13], v[4:5], v[12:13]
	scratch_load_b128 v[171:174], off, off offset:896
	v_add_f64 v[44:45], v[44:45], v[58:59]
	v_add_f64 v[46:47], v[46:47], v[50:51]
	s_waitcnt vmcnt(8) lgkmcnt(0)
	v_mul_f64 v[50:51], v[6:7], v[16:17]
	v_mul_f64 v[16:17], v[8:9], v[16:17]
	v_fma_f64 v[48:49], v[4:5], v[10:11], v[48:49]
	v_fma_f64 v[56:57], v[2:3], v[10:11], -v[12:13]
	scratch_load_b128 v[10:13], off, off offset:912
	ds_load_b128 v[2:5], v1 offset:1712
	v_add_f64 v[44:45], v[44:45], v[54:55]
	v_add_f64 v[46:47], v[46:47], v[52:53]
	v_fma_f64 v[50:51], v[8:9], v[14:15], v[50:51]
	v_fma_f64 v[14:15], v[6:7], v[14:15], -v[16:17]
	ds_load_b128 v[6:9], v1 offset:1728
	s_waitcnt vmcnt(8) lgkmcnt(1)
	v_mul_f64 v[52:53], v[2:3], v[20:21]
	v_mul_f64 v[20:21], v[4:5], v[20:21]
	v_add_f64 v[16:17], v[44:45], v[56:57]
	v_add_f64 v[44:45], v[46:47], v[48:49]
	s_waitcnt vmcnt(7) lgkmcnt(0)
	v_mul_f64 v[46:47], v[6:7], v[24:25]
	v_mul_f64 v[24:25], v[8:9], v[24:25]
	v_fma_f64 v[48:49], v[4:5], v[18:19], v[52:53]
	v_fma_f64 v[18:19], v[2:3], v[18:19], -v[20:21]
	ds_load_b128 v[2:5], v1 offset:1744
	v_add_f64 v[14:15], v[16:17], v[14:15]
	v_add_f64 v[16:17], v[44:45], v[50:51]
	v_fma_f64 v[44:45], v[8:9], v[22:23], v[46:47]
	v_fma_f64 v[22:23], v[6:7], v[22:23], -v[24:25]
	ds_load_b128 v[6:9], v1 offset:1760
	s_waitcnt vmcnt(5) lgkmcnt(0)
	v_mul_f64 v[46:47], v[6:7], v[32:33]
	v_mul_f64 v[32:33], v[8:9], v[32:33]
	v_add_f64 v[18:19], v[14:15], v[18:19]
	v_add_f64 v[24:25], v[16:17], v[48:49]
	scratch_load_b128 v[14:17], off, off offset:384
	v_mul_f64 v[20:21], v[2:3], v[28:29]
	v_mul_f64 v[28:29], v[4:5], v[28:29]
	v_add_f64 v[18:19], v[18:19], v[22:23]
	v_add_f64 v[22:23], v[24:25], v[44:45]
	s_delay_alu instid0(VALU_DEP_4) | instskip(NEXT) | instid1(VALU_DEP_4)
	v_fma_f64 v[20:21], v[4:5], v[26:27], v[20:21]
	v_fma_f64 v[26:27], v[2:3], v[26:27], -v[28:29]
	ds_load_b128 v[2:5], v1 offset:1776
	s_waitcnt vmcnt(5) lgkmcnt(0)
	v_mul_f64 v[24:25], v[2:3], v[36:37]
	v_mul_f64 v[28:29], v[4:5], v[36:37]
	v_fma_f64 v[36:37], v[8:9], v[30:31], v[46:47]
	v_fma_f64 v[30:31], v[6:7], v[30:31], -v[32:33]
	ds_load_b128 v[6:9], v1 offset:1792
	v_add_f64 v[20:21], v[22:23], v[20:21]
	v_add_f64 v[18:19], v[18:19], v[26:27]
	v_fma_f64 v[24:25], v[4:5], v[34:35], v[24:25]
	v_fma_f64 v[28:29], v[2:3], v[34:35], -v[28:29]
	ds_load_b128 v[2:5], v1 offset:1808
	s_waitcnt vmcnt(4) lgkmcnt(1)
	v_mul_f64 v[22:23], v[6:7], v[177:178]
	v_mul_f64 v[26:27], v[8:9], v[177:178]
	v_add_f64 v[20:21], v[20:21], v[36:37]
	v_add_f64 v[18:19], v[18:19], v[30:31]
	s_waitcnt vmcnt(3) lgkmcnt(0)
	v_mul_f64 v[30:31], v[2:3], v[40:41]
	v_mul_f64 v[32:33], v[4:5], v[40:41]
	v_fma_f64 v[22:23], v[8:9], v[175:176], v[22:23]
	v_fma_f64 v[26:27], v[6:7], v[175:176], -v[26:27]
	ds_load_b128 v[6:9], v1 offset:1824
	v_add_f64 v[20:21], v[20:21], v[24:25]
	v_add_f64 v[18:19], v[18:19], v[28:29]
	v_fma_f64 v[30:31], v[4:5], v[38:39], v[30:31]
	v_fma_f64 v[32:33], v[2:3], v[38:39], -v[32:33]
	ds_load_b128 v[2:5], v1 offset:1840
	s_waitcnt vmcnt(2) lgkmcnt(1)
	v_mul_f64 v[24:25], v[6:7], v[173:174]
	v_mul_f64 v[28:29], v[8:9], v[173:174]
	v_add_f64 v[20:21], v[20:21], v[22:23]
	v_add_f64 v[18:19], v[18:19], v[26:27]
	s_waitcnt vmcnt(1) lgkmcnt(0)
	v_mul_f64 v[22:23], v[2:3], v[12:13]
	v_mul_f64 v[12:13], v[4:5], v[12:13]
	v_fma_f64 v[8:9], v[8:9], v[171:172], v[24:25]
	v_fma_f64 v[6:7], v[6:7], v[171:172], -v[28:29]
	v_add_f64 v[20:21], v[20:21], v[30:31]
	v_add_f64 v[18:19], v[18:19], v[32:33]
	v_fma_f64 v[4:5], v[4:5], v[10:11], v[22:23]
	v_fma_f64 v[2:3], v[2:3], v[10:11], -v[12:13]
	s_delay_alu instid0(VALU_DEP_4) | instskip(NEXT) | instid1(VALU_DEP_4)
	v_add_f64 v[8:9], v[20:21], v[8:9]
	v_add_f64 v[6:7], v[18:19], v[6:7]
	s_delay_alu instid0(VALU_DEP_2) | instskip(NEXT) | instid1(VALU_DEP_2)
	v_add_f64 v[4:5], v[8:9], v[4:5]
	v_add_f64 v[2:3], v[6:7], v[2:3]
	s_waitcnt vmcnt(0)
	s_delay_alu instid0(VALU_DEP_2) | instskip(NEXT) | instid1(VALU_DEP_2)
	v_add_f64 v[4:5], v[16:17], -v[4:5]
	v_add_f64 v[2:3], v[14:15], -v[2:3]
	scratch_store_b128 off, v[2:5], off offset:384
	v_cmpx_lt_u32_e32 23, v158
	s_cbranch_execz .LBB121_315
; %bb.314:
	scratch_load_b128 v[5:8], v160, off
	v_mov_b32_e32 v2, v1
	v_mov_b32_e32 v3, v1
	;; [unrolled: 1-line block ×3, first 2 shown]
	scratch_store_b128 off, v[1:4], off offset:368
	s_waitcnt vmcnt(0)
	ds_store_b128 v216, v[5:8]
.LBB121_315:
	s_or_b32 exec_lo, exec_lo, s2
	s_waitcnt lgkmcnt(0)
	s_waitcnt_vscnt null, 0x0
	s_barrier
	buffer_gl0_inv
	s_clause 0x7
	scratch_load_b128 v[2:5], off, off offset:384
	scratch_load_b128 v[6:9], off, off offset:400
	;; [unrolled: 1-line block ×8, first 2 shown]
	ds_load_b128 v[38:41], v1 offset:1312
	ds_load_b128 v[171:174], v1 offset:1328
	s_clause 0x1
	scratch_load_b128 v[34:37], off, off offset:512
	scratch_load_b128 v[175:178], off, off offset:528
	s_mov_b32 s2, exec_lo
	s_waitcnt vmcnt(9) lgkmcnt(1)
	v_mul_f64 v[44:45], v[40:41], v[4:5]
	v_mul_f64 v[4:5], v[38:39], v[4:5]
	s_waitcnt vmcnt(8) lgkmcnt(0)
	v_mul_f64 v[46:47], v[171:172], v[8:9]
	v_mul_f64 v[8:9], v[173:174], v[8:9]
	s_delay_alu instid0(VALU_DEP_4) | instskip(NEXT) | instid1(VALU_DEP_4)
	v_fma_f64 v[44:45], v[38:39], v[2:3], -v[44:45]
	v_fma_f64 v[48:49], v[40:41], v[2:3], v[4:5]
	ds_load_b128 v[2:5], v1 offset:1344
	scratch_load_b128 v[38:41], off, off offset:544
	v_fma_f64 v[46:47], v[173:174], v[6:7], v[46:47]
	v_fma_f64 v[52:53], v[171:172], v[6:7], -v[8:9]
	scratch_load_b128 v[171:174], off, off offset:560
	ds_load_b128 v[6:9], v1 offset:1360
	s_waitcnt vmcnt(9) lgkmcnt(1)
	v_mul_f64 v[50:51], v[2:3], v[12:13]
	v_mul_f64 v[12:13], v[4:5], v[12:13]
	s_waitcnt vmcnt(8) lgkmcnt(0)
	v_mul_f64 v[54:55], v[6:7], v[16:17]
	v_mul_f64 v[16:17], v[8:9], v[16:17]
	v_add_f64 v[44:45], v[44:45], 0
	v_add_f64 v[48:49], v[48:49], 0
	v_fma_f64 v[50:51], v[4:5], v[10:11], v[50:51]
	v_fma_f64 v[56:57], v[2:3], v[10:11], -v[12:13]
	ds_load_b128 v[2:5], v1 offset:1376
	scratch_load_b128 v[10:13], off, off offset:576
	v_add_f64 v[44:45], v[44:45], v[52:53]
	v_add_f64 v[46:47], v[48:49], v[46:47]
	v_fma_f64 v[52:53], v[8:9], v[14:15], v[54:55]
	v_fma_f64 v[54:55], v[6:7], v[14:15], -v[16:17]
	scratch_load_b128 v[14:17], off, off offset:592
	ds_load_b128 v[6:9], v1 offset:1392
	s_waitcnt vmcnt(9) lgkmcnt(1)
	v_mul_f64 v[48:49], v[2:3], v[20:21]
	v_mul_f64 v[20:21], v[4:5], v[20:21]
	v_add_f64 v[44:45], v[44:45], v[56:57]
	v_add_f64 v[46:47], v[46:47], v[50:51]
	s_waitcnt vmcnt(8) lgkmcnt(0)
	v_mul_f64 v[50:51], v[6:7], v[24:25]
	v_mul_f64 v[24:25], v[8:9], v[24:25]
	v_fma_f64 v[48:49], v[4:5], v[18:19], v[48:49]
	v_fma_f64 v[56:57], v[2:3], v[18:19], -v[20:21]
	ds_load_b128 v[2:5], v1 offset:1408
	scratch_load_b128 v[18:21], off, off offset:608
	v_add_f64 v[44:45], v[44:45], v[54:55]
	v_add_f64 v[46:47], v[46:47], v[52:53]
	v_fma_f64 v[50:51], v[8:9], v[22:23], v[50:51]
	v_fma_f64 v[54:55], v[6:7], v[22:23], -v[24:25]
	scratch_load_b128 v[22:25], off, off offset:624
	ds_load_b128 v[6:9], v1 offset:1424
	s_waitcnt vmcnt(9) lgkmcnt(1)
	v_mul_f64 v[52:53], v[2:3], v[28:29]
	v_mul_f64 v[28:29], v[4:5], v[28:29]
	v_add_f64 v[44:45], v[44:45], v[56:57]
	v_add_f64 v[46:47], v[46:47], v[48:49]
	s_waitcnt vmcnt(8) lgkmcnt(0)
	v_mul_f64 v[48:49], v[6:7], v[32:33]
	v_mul_f64 v[32:33], v[8:9], v[32:33]
	;; [unrolled: 18-line block ×3, first 2 shown]
	v_fma_f64 v[50:51], v[4:5], v[34:35], v[50:51]
	v_fma_f64 v[58:59], v[2:3], v[34:35], -v[36:37]
	ds_load_b128 v[2:5], v1 offset:1472
	scratch_load_b128 v[34:37], off, off offset:672
	v_add_f64 v[44:45], v[44:45], v[54:55]
	v_add_f64 v[46:47], v[46:47], v[48:49]
	v_fma_f64 v[52:53], v[8:9], v[175:176], v[52:53]
	v_fma_f64 v[54:55], v[6:7], v[175:176], -v[56:57]
	scratch_load_b128 v[175:178], off, off offset:688
	ds_load_b128 v[6:9], v1 offset:1488
	s_waitcnt vmcnt(9) lgkmcnt(1)
	v_mul_f64 v[48:49], v[2:3], v[40:41]
	v_mul_f64 v[40:41], v[4:5], v[40:41]
	s_waitcnt vmcnt(8) lgkmcnt(0)
	v_mul_f64 v[56:57], v[8:9], v[173:174]
	v_add_f64 v[44:45], v[44:45], v[58:59]
	v_add_f64 v[46:47], v[46:47], v[50:51]
	v_mul_f64 v[50:51], v[6:7], v[173:174]
	v_fma_f64 v[48:49], v[4:5], v[38:39], v[48:49]
	v_fma_f64 v[58:59], v[2:3], v[38:39], -v[40:41]
	ds_load_b128 v[2:5], v1 offset:1504
	scratch_load_b128 v[38:41], off, off offset:704
	v_add_f64 v[44:45], v[44:45], v[54:55]
	v_add_f64 v[46:47], v[46:47], v[52:53]
	v_fma_f64 v[50:51], v[8:9], v[171:172], v[50:51]
	v_fma_f64 v[54:55], v[6:7], v[171:172], -v[56:57]
	scratch_load_b128 v[171:174], off, off offset:720
	ds_load_b128 v[6:9], v1 offset:1520
	s_waitcnt vmcnt(9) lgkmcnt(1)
	v_mul_f64 v[52:53], v[2:3], v[12:13]
	v_mul_f64 v[12:13], v[4:5], v[12:13]
	v_add_f64 v[44:45], v[44:45], v[58:59]
	v_add_f64 v[46:47], v[46:47], v[48:49]
	s_waitcnt vmcnt(8) lgkmcnt(0)
	v_mul_f64 v[48:49], v[6:7], v[16:17]
	v_mul_f64 v[16:17], v[8:9], v[16:17]
	v_fma_f64 v[52:53], v[4:5], v[10:11], v[52:53]
	v_fma_f64 v[56:57], v[2:3], v[10:11], -v[12:13]
	ds_load_b128 v[2:5], v1 offset:1536
	scratch_load_b128 v[10:13], off, off offset:736
	v_add_f64 v[44:45], v[44:45], v[54:55]
	v_add_f64 v[46:47], v[46:47], v[50:51]
	v_fma_f64 v[48:49], v[8:9], v[14:15], v[48:49]
	v_fma_f64 v[54:55], v[6:7], v[14:15], -v[16:17]
	scratch_load_b128 v[14:17], off, off offset:752
	ds_load_b128 v[6:9], v1 offset:1552
	s_waitcnt vmcnt(9) lgkmcnt(1)
	v_mul_f64 v[50:51], v[2:3], v[20:21]
	v_mul_f64 v[20:21], v[4:5], v[20:21]
	v_add_f64 v[44:45], v[44:45], v[56:57]
	v_add_f64 v[46:47], v[46:47], v[52:53]
	s_waitcnt vmcnt(8) lgkmcnt(0)
	v_mul_f64 v[52:53], v[6:7], v[24:25]
	;; [unrolled: 18-line block ×3, first 2 shown]
	v_mul_f64 v[32:33], v[8:9], v[32:33]
	v_fma_f64 v[48:49], v[4:5], v[26:27], v[48:49]
	v_fma_f64 v[56:57], v[2:3], v[26:27], -v[28:29]
	ds_load_b128 v[2:5], v1 offset:1600
	scratch_load_b128 v[26:29], off, off offset:800
	v_add_f64 v[44:45], v[44:45], v[54:55]
	v_add_f64 v[46:47], v[46:47], v[52:53]
	v_fma_f64 v[50:51], v[8:9], v[30:31], v[50:51]
	v_fma_f64 v[54:55], v[6:7], v[30:31], -v[32:33]
	ds_load_b128 v[6:9], v1 offset:1616
	s_waitcnt vmcnt(8) lgkmcnt(1)
	v_mul_f64 v[52:53], v[2:3], v[36:37]
	v_mul_f64 v[36:37], v[4:5], v[36:37]
	scratch_load_b128 v[30:33], off, off offset:816
	v_add_f64 v[44:45], v[44:45], v[56:57]
	v_add_f64 v[46:47], v[46:47], v[48:49]
	s_waitcnt vmcnt(8) lgkmcnt(0)
	v_mul_f64 v[48:49], v[6:7], v[177:178]
	v_mul_f64 v[56:57], v[8:9], v[177:178]
	v_fma_f64 v[52:53], v[4:5], v[34:35], v[52:53]
	v_fma_f64 v[58:59], v[2:3], v[34:35], -v[36:37]
	ds_load_b128 v[2:5], v1 offset:1632
	scratch_load_b128 v[34:37], off, off offset:832
	v_add_f64 v[44:45], v[44:45], v[54:55]
	v_add_f64 v[46:47], v[46:47], v[50:51]
	v_fma_f64 v[48:49], v[8:9], v[175:176], v[48:49]
	v_fma_f64 v[54:55], v[6:7], v[175:176], -v[56:57]
	ds_load_b128 v[6:9], v1 offset:1648
	s_waitcnt vmcnt(8) lgkmcnt(1)
	v_mul_f64 v[50:51], v[2:3], v[40:41]
	v_mul_f64 v[40:41], v[4:5], v[40:41]
	scratch_load_b128 v[175:178], off, off offset:848
	s_waitcnt vmcnt(8) lgkmcnt(0)
	v_mul_f64 v[56:57], v[8:9], v[173:174]
	v_add_f64 v[44:45], v[44:45], v[58:59]
	v_add_f64 v[46:47], v[46:47], v[52:53]
	v_mul_f64 v[52:53], v[6:7], v[173:174]
	v_fma_f64 v[50:51], v[4:5], v[38:39], v[50:51]
	v_fma_f64 v[58:59], v[2:3], v[38:39], -v[40:41]
	scratch_load_b128 v[38:41], off, off offset:864
	ds_load_b128 v[2:5], v1 offset:1664
	v_add_f64 v[44:45], v[44:45], v[54:55]
	v_add_f64 v[46:47], v[46:47], v[48:49]
	v_fma_f64 v[52:53], v[8:9], v[171:172], v[52:53]
	v_fma_f64 v[54:55], v[6:7], v[171:172], -v[56:57]
	ds_load_b128 v[6:9], v1 offset:1680
	s_waitcnt vmcnt(8) lgkmcnt(1)
	v_mul_f64 v[48:49], v[2:3], v[12:13]
	v_mul_f64 v[12:13], v[4:5], v[12:13]
	scratch_load_b128 v[171:174], off, off offset:880
	v_add_f64 v[44:45], v[44:45], v[58:59]
	v_add_f64 v[46:47], v[46:47], v[50:51]
	s_waitcnt vmcnt(8) lgkmcnt(0)
	v_mul_f64 v[50:51], v[6:7], v[16:17]
	v_mul_f64 v[16:17], v[8:9], v[16:17]
	v_fma_f64 v[48:49], v[4:5], v[10:11], v[48:49]
	v_fma_f64 v[56:57], v[2:3], v[10:11], -v[12:13]
	scratch_load_b128 v[10:13], off, off offset:896
	ds_load_b128 v[2:5], v1 offset:1696
	v_add_f64 v[44:45], v[44:45], v[54:55]
	v_add_f64 v[46:47], v[46:47], v[52:53]
	v_fma_f64 v[50:51], v[8:9], v[14:15], v[50:51]
	v_fma_f64 v[54:55], v[6:7], v[14:15], -v[16:17]
	ds_load_b128 v[6:9], v1 offset:1712
	s_waitcnt vmcnt(8) lgkmcnt(1)
	v_mul_f64 v[52:53], v[2:3], v[20:21]
	v_mul_f64 v[20:21], v[4:5], v[20:21]
	scratch_load_b128 v[14:17], off, off offset:912
	v_add_f64 v[44:45], v[44:45], v[56:57]
	v_add_f64 v[46:47], v[46:47], v[48:49]
	s_waitcnt vmcnt(8) lgkmcnt(0)
	v_mul_f64 v[48:49], v[6:7], v[24:25]
	v_mul_f64 v[24:25], v[8:9], v[24:25]
	v_fma_f64 v[52:53], v[4:5], v[18:19], v[52:53]
	v_fma_f64 v[18:19], v[2:3], v[18:19], -v[20:21]
	ds_load_b128 v[2:5], v1 offset:1728
	v_add_f64 v[20:21], v[44:45], v[54:55]
	v_add_f64 v[44:45], v[46:47], v[50:51]
	v_fma_f64 v[48:49], v[8:9], v[22:23], v[48:49]
	v_fma_f64 v[22:23], v[6:7], v[22:23], -v[24:25]
	ds_load_b128 v[6:9], v1 offset:1744
	s_waitcnt vmcnt(7) lgkmcnt(1)
	v_mul_f64 v[46:47], v[2:3], v[28:29]
	v_mul_f64 v[28:29], v[4:5], v[28:29]
	v_add_f64 v[18:19], v[20:21], v[18:19]
	v_add_f64 v[20:21], v[44:45], v[52:53]
	s_delay_alu instid0(VALU_DEP_4) | instskip(NEXT) | instid1(VALU_DEP_4)
	v_fma_f64 v[44:45], v[4:5], v[26:27], v[46:47]
	v_fma_f64 v[26:27], v[2:3], v[26:27], -v[28:29]
	ds_load_b128 v[2:5], v1 offset:1760
	v_add_f64 v[22:23], v[18:19], v[22:23]
	v_add_f64 v[28:29], v[20:21], v[48:49]
	scratch_load_b128 v[18:21], off, off offset:368
	s_waitcnt vmcnt(7) lgkmcnt(1)
	v_mul_f64 v[24:25], v[6:7], v[32:33]
	v_mul_f64 v[32:33], v[8:9], v[32:33]
	v_add_f64 v[22:23], v[22:23], v[26:27]
	v_add_f64 v[26:27], v[28:29], v[44:45]
	s_delay_alu instid0(VALU_DEP_4) | instskip(NEXT) | instid1(VALU_DEP_4)
	v_fma_f64 v[24:25], v[8:9], v[30:31], v[24:25]
	v_fma_f64 v[30:31], v[6:7], v[30:31], -v[32:33]
	ds_load_b128 v[6:9], v1 offset:1776
	s_waitcnt vmcnt(6) lgkmcnt(1)
	v_mul_f64 v[46:47], v[2:3], v[36:37]
	v_mul_f64 v[36:37], v[4:5], v[36:37]
	s_waitcnt vmcnt(5) lgkmcnt(0)
	v_mul_f64 v[28:29], v[6:7], v[177:178]
	v_mul_f64 v[32:33], v[8:9], v[177:178]
	v_add_f64 v[24:25], v[26:27], v[24:25]
	v_add_f64 v[22:23], v[22:23], v[30:31]
	v_fma_f64 v[44:45], v[4:5], v[34:35], v[46:47]
	v_fma_f64 v[34:35], v[2:3], v[34:35], -v[36:37]
	ds_load_b128 v[2:5], v1 offset:1792
	v_fma_f64 v[28:29], v[8:9], v[175:176], v[28:29]
	v_fma_f64 v[32:33], v[6:7], v[175:176], -v[32:33]
	ds_load_b128 v[6:9], v1 offset:1808
	s_waitcnt vmcnt(4) lgkmcnt(1)
	v_mul_f64 v[26:27], v[2:3], v[40:41]
	v_mul_f64 v[30:31], v[4:5], v[40:41]
	v_add_f64 v[24:25], v[24:25], v[44:45]
	v_add_f64 v[22:23], v[22:23], v[34:35]
	s_waitcnt vmcnt(3) lgkmcnt(0)
	v_mul_f64 v[34:35], v[6:7], v[173:174]
	v_mul_f64 v[36:37], v[8:9], v[173:174]
	v_fma_f64 v[26:27], v[4:5], v[38:39], v[26:27]
	v_fma_f64 v[30:31], v[2:3], v[38:39], -v[30:31]
	ds_load_b128 v[2:5], v1 offset:1824
	v_add_f64 v[24:25], v[24:25], v[28:29]
	v_add_f64 v[22:23], v[22:23], v[32:33]
	v_fma_f64 v[32:33], v[8:9], v[171:172], v[34:35]
	v_fma_f64 v[34:35], v[6:7], v[171:172], -v[36:37]
	ds_load_b128 v[6:9], v1 offset:1840
	s_waitcnt vmcnt(2) lgkmcnt(1)
	v_mul_f64 v[28:29], v[2:3], v[12:13]
	v_mul_f64 v[12:13], v[4:5], v[12:13]
	v_add_f64 v[24:25], v[24:25], v[26:27]
	v_add_f64 v[22:23], v[22:23], v[30:31]
	s_waitcnt vmcnt(1) lgkmcnt(0)
	v_mul_f64 v[26:27], v[6:7], v[16:17]
	v_mul_f64 v[16:17], v[8:9], v[16:17]
	v_fma_f64 v[4:5], v[4:5], v[10:11], v[28:29]
	v_fma_f64 v[1:2], v[2:3], v[10:11], -v[12:13]
	v_add_f64 v[12:13], v[24:25], v[32:33]
	v_add_f64 v[10:11], v[22:23], v[34:35]
	v_fma_f64 v[8:9], v[8:9], v[14:15], v[26:27]
	v_fma_f64 v[6:7], v[6:7], v[14:15], -v[16:17]
	s_delay_alu instid0(VALU_DEP_4) | instskip(NEXT) | instid1(VALU_DEP_4)
	v_add_f64 v[3:4], v[12:13], v[4:5]
	v_add_f64 v[1:2], v[10:11], v[1:2]
	s_delay_alu instid0(VALU_DEP_2) | instskip(NEXT) | instid1(VALU_DEP_2)
	v_add_f64 v[3:4], v[3:4], v[8:9]
	v_add_f64 v[1:2], v[1:2], v[6:7]
	s_waitcnt vmcnt(0)
	s_delay_alu instid0(VALU_DEP_2) | instskip(NEXT) | instid1(VALU_DEP_2)
	v_add_f64 v[3:4], v[20:21], -v[3:4]
	v_add_f64 v[1:2], v[18:19], -v[1:2]
	scratch_store_b128 off, v[1:4], off offset:368
	v_cmpx_lt_u32_e32 22, v158
	s_cbranch_execz .LBB121_317
; %bb.316:
	scratch_load_b32 v1, off, off offset:988 ; 4-byte Folded Reload
	v_mov_b32_e32 v5, 0
	s_delay_alu instid0(VALU_DEP_1)
	v_mov_b32_e32 v6, v5
	v_mov_b32_e32 v7, v5
	;; [unrolled: 1-line block ×3, first 2 shown]
	s_waitcnt vmcnt(0)
	scratch_load_b128 v[1:4], v1, off
	scratch_store_b128 off, v[5:8], off offset:352
	s_waitcnt vmcnt(0)
	ds_store_b128 v216, v[1:4]
.LBB121_317:
	s_or_b32 exec_lo, exec_lo, s2
	s_waitcnt lgkmcnt(0)
	s_waitcnt_vscnt null, 0x0
	s_barrier
	buffer_gl0_inv
	s_clause 0x7
	scratch_load_b128 v[2:5], off, off offset:368
	scratch_load_b128 v[6:9], off, off offset:384
	;; [unrolled: 1-line block ×8, first 2 shown]
	v_mov_b32_e32 v1, 0
	s_clause 0x1
	scratch_load_b128 v[34:37], off, off offset:496
	scratch_load_b128 v[175:178], off, off offset:512
	s_mov_b32 s2, exec_lo
	ds_load_b128 v[38:41], v1 offset:1296
	ds_load_b128 v[171:174], v1 offset:1312
	s_waitcnt vmcnt(9) lgkmcnt(1)
	v_mul_f64 v[44:45], v[40:41], v[4:5]
	v_mul_f64 v[4:5], v[38:39], v[4:5]
	s_waitcnt vmcnt(8) lgkmcnt(0)
	v_mul_f64 v[46:47], v[171:172], v[8:9]
	v_mul_f64 v[8:9], v[173:174], v[8:9]
	s_delay_alu instid0(VALU_DEP_4) | instskip(NEXT) | instid1(VALU_DEP_4)
	v_fma_f64 v[44:45], v[38:39], v[2:3], -v[44:45]
	v_fma_f64 v[48:49], v[40:41], v[2:3], v[4:5]
	ds_load_b128 v[2:5], v1 offset:1328
	scratch_load_b128 v[38:41], off, off offset:528
	v_fma_f64 v[46:47], v[173:174], v[6:7], v[46:47]
	v_fma_f64 v[52:53], v[171:172], v[6:7], -v[8:9]
	scratch_load_b128 v[171:174], off, off offset:544
	ds_load_b128 v[6:9], v1 offset:1344
	s_waitcnt vmcnt(9) lgkmcnt(1)
	v_mul_f64 v[50:51], v[2:3], v[12:13]
	v_mul_f64 v[12:13], v[4:5], v[12:13]
	s_waitcnt vmcnt(8) lgkmcnt(0)
	v_mul_f64 v[54:55], v[6:7], v[16:17]
	v_mul_f64 v[16:17], v[8:9], v[16:17]
	v_add_f64 v[44:45], v[44:45], 0
	v_add_f64 v[48:49], v[48:49], 0
	v_fma_f64 v[50:51], v[4:5], v[10:11], v[50:51]
	v_fma_f64 v[56:57], v[2:3], v[10:11], -v[12:13]
	ds_load_b128 v[2:5], v1 offset:1360
	scratch_load_b128 v[10:13], off, off offset:560
	v_add_f64 v[44:45], v[44:45], v[52:53]
	v_add_f64 v[46:47], v[48:49], v[46:47]
	v_fma_f64 v[52:53], v[8:9], v[14:15], v[54:55]
	v_fma_f64 v[54:55], v[6:7], v[14:15], -v[16:17]
	scratch_load_b128 v[14:17], off, off offset:576
	ds_load_b128 v[6:9], v1 offset:1376
	s_waitcnt vmcnt(9) lgkmcnt(1)
	v_mul_f64 v[48:49], v[2:3], v[20:21]
	v_mul_f64 v[20:21], v[4:5], v[20:21]
	v_add_f64 v[44:45], v[44:45], v[56:57]
	v_add_f64 v[46:47], v[46:47], v[50:51]
	s_waitcnt vmcnt(8) lgkmcnt(0)
	v_mul_f64 v[50:51], v[6:7], v[24:25]
	v_mul_f64 v[24:25], v[8:9], v[24:25]
	v_fma_f64 v[48:49], v[4:5], v[18:19], v[48:49]
	v_fma_f64 v[56:57], v[2:3], v[18:19], -v[20:21]
	ds_load_b128 v[2:5], v1 offset:1392
	scratch_load_b128 v[18:21], off, off offset:592
	v_add_f64 v[44:45], v[44:45], v[54:55]
	v_add_f64 v[46:47], v[46:47], v[52:53]
	v_fma_f64 v[50:51], v[8:9], v[22:23], v[50:51]
	v_fma_f64 v[54:55], v[6:7], v[22:23], -v[24:25]
	scratch_load_b128 v[22:25], off, off offset:608
	ds_load_b128 v[6:9], v1 offset:1408
	s_waitcnt vmcnt(9) lgkmcnt(1)
	v_mul_f64 v[52:53], v[2:3], v[28:29]
	v_mul_f64 v[28:29], v[4:5], v[28:29]
	v_add_f64 v[44:45], v[44:45], v[56:57]
	v_add_f64 v[46:47], v[46:47], v[48:49]
	s_waitcnt vmcnt(8) lgkmcnt(0)
	v_mul_f64 v[48:49], v[6:7], v[32:33]
	v_mul_f64 v[32:33], v[8:9], v[32:33]
	;; [unrolled: 18-line block ×3, first 2 shown]
	v_fma_f64 v[50:51], v[4:5], v[34:35], v[50:51]
	v_fma_f64 v[58:59], v[2:3], v[34:35], -v[36:37]
	ds_load_b128 v[2:5], v1 offset:1456
	scratch_load_b128 v[34:37], off, off offset:656
	v_add_f64 v[44:45], v[44:45], v[54:55]
	v_add_f64 v[46:47], v[46:47], v[48:49]
	v_fma_f64 v[52:53], v[8:9], v[175:176], v[52:53]
	v_fma_f64 v[54:55], v[6:7], v[175:176], -v[56:57]
	scratch_load_b128 v[175:178], off, off offset:672
	ds_load_b128 v[6:9], v1 offset:1472
	s_waitcnt vmcnt(9) lgkmcnt(1)
	v_mul_f64 v[48:49], v[2:3], v[40:41]
	v_mul_f64 v[40:41], v[4:5], v[40:41]
	s_waitcnt vmcnt(8) lgkmcnt(0)
	v_mul_f64 v[56:57], v[8:9], v[173:174]
	v_add_f64 v[44:45], v[44:45], v[58:59]
	v_add_f64 v[46:47], v[46:47], v[50:51]
	v_mul_f64 v[50:51], v[6:7], v[173:174]
	v_fma_f64 v[48:49], v[4:5], v[38:39], v[48:49]
	v_fma_f64 v[58:59], v[2:3], v[38:39], -v[40:41]
	ds_load_b128 v[2:5], v1 offset:1488
	scratch_load_b128 v[38:41], off, off offset:688
	v_add_f64 v[44:45], v[44:45], v[54:55]
	v_add_f64 v[46:47], v[46:47], v[52:53]
	v_fma_f64 v[50:51], v[8:9], v[171:172], v[50:51]
	v_fma_f64 v[54:55], v[6:7], v[171:172], -v[56:57]
	scratch_load_b128 v[171:174], off, off offset:704
	ds_load_b128 v[6:9], v1 offset:1504
	s_waitcnt vmcnt(9) lgkmcnt(1)
	v_mul_f64 v[52:53], v[2:3], v[12:13]
	v_mul_f64 v[12:13], v[4:5], v[12:13]
	v_add_f64 v[44:45], v[44:45], v[58:59]
	v_add_f64 v[46:47], v[46:47], v[48:49]
	s_waitcnt vmcnt(8) lgkmcnt(0)
	v_mul_f64 v[48:49], v[6:7], v[16:17]
	v_mul_f64 v[16:17], v[8:9], v[16:17]
	v_fma_f64 v[52:53], v[4:5], v[10:11], v[52:53]
	v_fma_f64 v[56:57], v[2:3], v[10:11], -v[12:13]
	ds_load_b128 v[2:5], v1 offset:1520
	scratch_load_b128 v[10:13], off, off offset:720
	v_add_f64 v[44:45], v[44:45], v[54:55]
	v_add_f64 v[46:47], v[46:47], v[50:51]
	v_fma_f64 v[48:49], v[8:9], v[14:15], v[48:49]
	v_fma_f64 v[54:55], v[6:7], v[14:15], -v[16:17]
	scratch_load_b128 v[14:17], off, off offset:736
	ds_load_b128 v[6:9], v1 offset:1536
	s_waitcnt vmcnt(9) lgkmcnt(1)
	v_mul_f64 v[50:51], v[2:3], v[20:21]
	v_mul_f64 v[20:21], v[4:5], v[20:21]
	v_add_f64 v[44:45], v[44:45], v[56:57]
	v_add_f64 v[46:47], v[46:47], v[52:53]
	s_waitcnt vmcnt(8) lgkmcnt(0)
	v_mul_f64 v[52:53], v[6:7], v[24:25]
	;; [unrolled: 18-line block ×4, first 2 shown]
	v_mul_f64 v[56:57], v[8:9], v[177:178]
	v_fma_f64 v[52:53], v[4:5], v[34:35], v[52:53]
	v_fma_f64 v[58:59], v[2:3], v[34:35], -v[36:37]
	ds_load_b128 v[2:5], v1 offset:1616
	scratch_load_b128 v[34:37], off, off offset:816
	v_add_f64 v[44:45], v[44:45], v[54:55]
	v_add_f64 v[46:47], v[46:47], v[50:51]
	v_fma_f64 v[48:49], v[8:9], v[175:176], v[48:49]
	v_fma_f64 v[54:55], v[6:7], v[175:176], -v[56:57]
	ds_load_b128 v[6:9], v1 offset:1632
	s_waitcnt vmcnt(8) lgkmcnt(1)
	v_mul_f64 v[50:51], v[2:3], v[40:41]
	v_mul_f64 v[40:41], v[4:5], v[40:41]
	scratch_load_b128 v[175:178], off, off offset:832
	s_waitcnt vmcnt(8) lgkmcnt(0)
	v_mul_f64 v[56:57], v[8:9], v[173:174]
	v_add_f64 v[44:45], v[44:45], v[58:59]
	v_add_f64 v[46:47], v[46:47], v[52:53]
	v_mul_f64 v[52:53], v[6:7], v[173:174]
	v_fma_f64 v[50:51], v[4:5], v[38:39], v[50:51]
	v_fma_f64 v[58:59], v[2:3], v[38:39], -v[40:41]
	scratch_load_b128 v[38:41], off, off offset:848
	ds_load_b128 v[2:5], v1 offset:1648
	v_add_f64 v[44:45], v[44:45], v[54:55]
	v_add_f64 v[46:47], v[46:47], v[48:49]
	v_fma_f64 v[52:53], v[8:9], v[171:172], v[52:53]
	v_fma_f64 v[54:55], v[6:7], v[171:172], -v[56:57]
	ds_load_b128 v[6:9], v1 offset:1664
	s_waitcnt vmcnt(8) lgkmcnt(1)
	v_mul_f64 v[48:49], v[2:3], v[12:13]
	v_mul_f64 v[12:13], v[4:5], v[12:13]
	scratch_load_b128 v[171:174], off, off offset:864
	v_add_f64 v[44:45], v[44:45], v[58:59]
	v_add_f64 v[46:47], v[46:47], v[50:51]
	s_waitcnt vmcnt(8) lgkmcnt(0)
	v_mul_f64 v[50:51], v[6:7], v[16:17]
	v_mul_f64 v[16:17], v[8:9], v[16:17]
	v_fma_f64 v[48:49], v[4:5], v[10:11], v[48:49]
	v_fma_f64 v[56:57], v[2:3], v[10:11], -v[12:13]
	scratch_load_b128 v[10:13], off, off offset:880
	ds_load_b128 v[2:5], v1 offset:1680
	v_add_f64 v[44:45], v[44:45], v[54:55]
	v_add_f64 v[46:47], v[46:47], v[52:53]
	v_fma_f64 v[50:51], v[8:9], v[14:15], v[50:51]
	v_fma_f64 v[54:55], v[6:7], v[14:15], -v[16:17]
	ds_load_b128 v[6:9], v1 offset:1696
	s_waitcnt vmcnt(8) lgkmcnt(1)
	v_mul_f64 v[52:53], v[2:3], v[20:21]
	v_mul_f64 v[20:21], v[4:5], v[20:21]
	scratch_load_b128 v[14:17], off, off offset:896
	v_add_f64 v[44:45], v[44:45], v[56:57]
	v_add_f64 v[46:47], v[46:47], v[48:49]
	s_waitcnt vmcnt(8) lgkmcnt(0)
	v_mul_f64 v[48:49], v[6:7], v[24:25]
	v_mul_f64 v[24:25], v[8:9], v[24:25]
	v_fma_f64 v[52:53], v[4:5], v[18:19], v[52:53]
	v_fma_f64 v[56:57], v[2:3], v[18:19], -v[20:21]
	scratch_load_b128 v[18:21], off, off offset:912
	ds_load_b128 v[2:5], v1 offset:1712
	v_add_f64 v[44:45], v[44:45], v[54:55]
	v_add_f64 v[46:47], v[46:47], v[50:51]
	v_fma_f64 v[48:49], v[8:9], v[22:23], v[48:49]
	v_fma_f64 v[22:23], v[6:7], v[22:23], -v[24:25]
	ds_load_b128 v[6:9], v1 offset:1728
	s_waitcnt vmcnt(8) lgkmcnt(1)
	v_mul_f64 v[50:51], v[2:3], v[28:29]
	v_mul_f64 v[28:29], v[4:5], v[28:29]
	v_add_f64 v[24:25], v[44:45], v[56:57]
	v_add_f64 v[44:45], v[46:47], v[52:53]
	s_waitcnt vmcnt(7) lgkmcnt(0)
	v_mul_f64 v[46:47], v[6:7], v[32:33]
	v_mul_f64 v[32:33], v[8:9], v[32:33]
	v_fma_f64 v[50:51], v[4:5], v[26:27], v[50:51]
	v_fma_f64 v[26:27], v[2:3], v[26:27], -v[28:29]
	ds_load_b128 v[2:5], v1 offset:1744
	v_add_f64 v[22:23], v[24:25], v[22:23]
	v_add_f64 v[24:25], v[44:45], v[48:49]
	v_fma_f64 v[44:45], v[8:9], v[30:31], v[46:47]
	v_fma_f64 v[30:31], v[6:7], v[30:31], -v[32:33]
	ds_load_b128 v[6:9], v1 offset:1760
	s_waitcnt vmcnt(5) lgkmcnt(0)
	v_mul_f64 v[46:47], v[6:7], v[177:178]
	v_mul_f64 v[48:49], v[8:9], v[177:178]
	v_add_f64 v[26:27], v[22:23], v[26:27]
	v_add_f64 v[32:33], v[24:25], v[50:51]
	scratch_load_b128 v[22:25], off, off offset:352
	v_mul_f64 v[28:29], v[2:3], v[36:37]
	v_mul_f64 v[36:37], v[4:5], v[36:37]
	v_add_f64 v[26:27], v[26:27], v[30:31]
	v_add_f64 v[30:31], v[32:33], v[44:45]
	v_fma_f64 v[44:45], v[6:7], v[175:176], -v[48:49]
	v_fma_f64 v[28:29], v[4:5], v[34:35], v[28:29]
	v_fma_f64 v[34:35], v[2:3], v[34:35], -v[36:37]
	ds_load_b128 v[2:5], v1 offset:1776
	s_waitcnt vmcnt(5) lgkmcnt(0)
	v_mul_f64 v[32:33], v[2:3], v[40:41]
	v_mul_f64 v[36:37], v[4:5], v[40:41]
	v_fma_f64 v[40:41], v[8:9], v[175:176], v[46:47]
	ds_load_b128 v[6:9], v1 offset:1792
	v_add_f64 v[28:29], v[30:31], v[28:29]
	v_add_f64 v[26:27], v[26:27], v[34:35]
	v_fma_f64 v[32:33], v[4:5], v[38:39], v[32:33]
	v_fma_f64 v[36:37], v[2:3], v[38:39], -v[36:37]
	ds_load_b128 v[2:5], v1 offset:1808
	s_waitcnt vmcnt(4) lgkmcnt(1)
	v_mul_f64 v[30:31], v[6:7], v[173:174]
	v_mul_f64 v[34:35], v[8:9], v[173:174]
	v_add_f64 v[28:29], v[28:29], v[40:41]
	v_add_f64 v[26:27], v[26:27], v[44:45]
	s_waitcnt vmcnt(3) lgkmcnt(0)
	v_mul_f64 v[38:39], v[2:3], v[12:13]
	v_mul_f64 v[12:13], v[4:5], v[12:13]
	v_fma_f64 v[30:31], v[8:9], v[171:172], v[30:31]
	v_fma_f64 v[34:35], v[6:7], v[171:172], -v[34:35]
	ds_load_b128 v[6:9], v1 offset:1824
	v_add_f64 v[28:29], v[28:29], v[32:33]
	v_add_f64 v[26:27], v[26:27], v[36:37]
	v_fma_f64 v[36:37], v[4:5], v[10:11], v[38:39]
	v_fma_f64 v[10:11], v[2:3], v[10:11], -v[12:13]
	ds_load_b128 v[2:5], v1 offset:1840
	s_waitcnt vmcnt(2) lgkmcnt(1)
	v_mul_f64 v[32:33], v[6:7], v[16:17]
	v_mul_f64 v[16:17], v[8:9], v[16:17]
	v_add_f64 v[12:13], v[26:27], v[34:35]
	v_add_f64 v[26:27], v[28:29], v[30:31]
	s_waitcnt vmcnt(1) lgkmcnt(0)
	v_mul_f64 v[28:29], v[2:3], v[20:21]
	v_mul_f64 v[20:21], v[4:5], v[20:21]
	v_fma_f64 v[8:9], v[8:9], v[14:15], v[32:33]
	v_fma_f64 v[6:7], v[6:7], v[14:15], -v[16:17]
	v_add_f64 v[10:11], v[12:13], v[10:11]
	v_add_f64 v[12:13], v[26:27], v[36:37]
	v_fma_f64 v[4:5], v[4:5], v[18:19], v[28:29]
	v_fma_f64 v[2:3], v[2:3], v[18:19], -v[20:21]
	s_delay_alu instid0(VALU_DEP_4) | instskip(NEXT) | instid1(VALU_DEP_4)
	v_add_f64 v[6:7], v[10:11], v[6:7]
	v_add_f64 v[8:9], v[12:13], v[8:9]
	s_delay_alu instid0(VALU_DEP_2) | instskip(NEXT) | instid1(VALU_DEP_2)
	v_add_f64 v[2:3], v[6:7], v[2:3]
	v_add_f64 v[4:5], v[8:9], v[4:5]
	s_waitcnt vmcnt(0)
	s_delay_alu instid0(VALU_DEP_2) | instskip(NEXT) | instid1(VALU_DEP_2)
	v_add_f64 v[2:3], v[22:23], -v[2:3]
	v_add_f64 v[4:5], v[24:25], -v[4:5]
	scratch_store_b128 off, v[2:5], off offset:352
	v_cmpx_lt_u32_e32 21, v158
	s_cbranch_execz .LBB121_319
; %bb.318:
	scratch_load_b128 v[5:8], v159, off
	v_mov_b32_e32 v2, v1
	v_mov_b32_e32 v3, v1
	;; [unrolled: 1-line block ×3, first 2 shown]
	scratch_store_b128 off, v[1:4], off offset:336
	s_waitcnt vmcnt(0)
	ds_store_b128 v216, v[5:8]
.LBB121_319:
	s_or_b32 exec_lo, exec_lo, s2
	s_waitcnt lgkmcnt(0)
	s_waitcnt_vscnt null, 0x0
	s_barrier
	buffer_gl0_inv
	s_clause 0x7
	scratch_load_b128 v[2:5], off, off offset:352
	scratch_load_b128 v[6:9], off, off offset:368
	;; [unrolled: 1-line block ×8, first 2 shown]
	ds_load_b128 v[38:41], v1 offset:1280
	ds_load_b128 v[171:174], v1 offset:1296
	s_clause 0x1
	scratch_load_b128 v[34:37], off, off offset:480
	scratch_load_b128 v[175:178], off, off offset:496
	s_mov_b32 s2, exec_lo
	s_waitcnt vmcnt(9) lgkmcnt(1)
	v_mul_f64 v[44:45], v[40:41], v[4:5]
	v_mul_f64 v[4:5], v[38:39], v[4:5]
	s_waitcnt vmcnt(8) lgkmcnt(0)
	v_mul_f64 v[46:47], v[171:172], v[8:9]
	v_mul_f64 v[8:9], v[173:174], v[8:9]
	s_delay_alu instid0(VALU_DEP_4) | instskip(NEXT) | instid1(VALU_DEP_4)
	v_fma_f64 v[44:45], v[38:39], v[2:3], -v[44:45]
	v_fma_f64 v[48:49], v[40:41], v[2:3], v[4:5]
	ds_load_b128 v[2:5], v1 offset:1312
	scratch_load_b128 v[38:41], off, off offset:512
	v_fma_f64 v[46:47], v[173:174], v[6:7], v[46:47]
	v_fma_f64 v[52:53], v[171:172], v[6:7], -v[8:9]
	scratch_load_b128 v[171:174], off, off offset:528
	ds_load_b128 v[6:9], v1 offset:1328
	s_waitcnt vmcnt(9) lgkmcnt(1)
	v_mul_f64 v[50:51], v[2:3], v[12:13]
	v_mul_f64 v[12:13], v[4:5], v[12:13]
	s_waitcnt vmcnt(8) lgkmcnt(0)
	v_mul_f64 v[54:55], v[6:7], v[16:17]
	v_mul_f64 v[16:17], v[8:9], v[16:17]
	v_add_f64 v[44:45], v[44:45], 0
	v_add_f64 v[48:49], v[48:49], 0
	v_fma_f64 v[50:51], v[4:5], v[10:11], v[50:51]
	v_fma_f64 v[56:57], v[2:3], v[10:11], -v[12:13]
	ds_load_b128 v[2:5], v1 offset:1344
	scratch_load_b128 v[10:13], off, off offset:544
	v_add_f64 v[44:45], v[44:45], v[52:53]
	v_add_f64 v[46:47], v[48:49], v[46:47]
	v_fma_f64 v[52:53], v[8:9], v[14:15], v[54:55]
	v_fma_f64 v[54:55], v[6:7], v[14:15], -v[16:17]
	scratch_load_b128 v[14:17], off, off offset:560
	ds_load_b128 v[6:9], v1 offset:1360
	s_waitcnt vmcnt(9) lgkmcnt(1)
	v_mul_f64 v[48:49], v[2:3], v[20:21]
	v_mul_f64 v[20:21], v[4:5], v[20:21]
	v_add_f64 v[44:45], v[44:45], v[56:57]
	v_add_f64 v[46:47], v[46:47], v[50:51]
	s_waitcnt vmcnt(8) lgkmcnt(0)
	v_mul_f64 v[50:51], v[6:7], v[24:25]
	v_mul_f64 v[24:25], v[8:9], v[24:25]
	v_fma_f64 v[48:49], v[4:5], v[18:19], v[48:49]
	v_fma_f64 v[56:57], v[2:3], v[18:19], -v[20:21]
	ds_load_b128 v[2:5], v1 offset:1376
	scratch_load_b128 v[18:21], off, off offset:576
	v_add_f64 v[44:45], v[44:45], v[54:55]
	v_add_f64 v[46:47], v[46:47], v[52:53]
	v_fma_f64 v[50:51], v[8:9], v[22:23], v[50:51]
	v_fma_f64 v[54:55], v[6:7], v[22:23], -v[24:25]
	scratch_load_b128 v[22:25], off, off offset:592
	ds_load_b128 v[6:9], v1 offset:1392
	s_waitcnt vmcnt(9) lgkmcnt(1)
	v_mul_f64 v[52:53], v[2:3], v[28:29]
	v_mul_f64 v[28:29], v[4:5], v[28:29]
	v_add_f64 v[44:45], v[44:45], v[56:57]
	v_add_f64 v[46:47], v[46:47], v[48:49]
	s_waitcnt vmcnt(8) lgkmcnt(0)
	v_mul_f64 v[48:49], v[6:7], v[32:33]
	v_mul_f64 v[32:33], v[8:9], v[32:33]
	;; [unrolled: 18-line block ×3, first 2 shown]
	v_fma_f64 v[50:51], v[4:5], v[34:35], v[50:51]
	v_fma_f64 v[58:59], v[2:3], v[34:35], -v[36:37]
	ds_load_b128 v[2:5], v1 offset:1440
	scratch_load_b128 v[34:37], off, off offset:640
	v_add_f64 v[44:45], v[44:45], v[54:55]
	v_add_f64 v[46:47], v[46:47], v[48:49]
	v_fma_f64 v[52:53], v[8:9], v[175:176], v[52:53]
	v_fma_f64 v[54:55], v[6:7], v[175:176], -v[56:57]
	scratch_load_b128 v[175:178], off, off offset:656
	ds_load_b128 v[6:9], v1 offset:1456
	s_waitcnt vmcnt(9) lgkmcnt(1)
	v_mul_f64 v[48:49], v[2:3], v[40:41]
	v_mul_f64 v[40:41], v[4:5], v[40:41]
	s_waitcnt vmcnt(8) lgkmcnt(0)
	v_mul_f64 v[56:57], v[8:9], v[173:174]
	v_add_f64 v[44:45], v[44:45], v[58:59]
	v_add_f64 v[46:47], v[46:47], v[50:51]
	v_mul_f64 v[50:51], v[6:7], v[173:174]
	v_fma_f64 v[48:49], v[4:5], v[38:39], v[48:49]
	v_fma_f64 v[58:59], v[2:3], v[38:39], -v[40:41]
	ds_load_b128 v[2:5], v1 offset:1472
	scratch_load_b128 v[38:41], off, off offset:672
	v_add_f64 v[44:45], v[44:45], v[54:55]
	v_add_f64 v[46:47], v[46:47], v[52:53]
	v_fma_f64 v[50:51], v[8:9], v[171:172], v[50:51]
	v_fma_f64 v[54:55], v[6:7], v[171:172], -v[56:57]
	scratch_load_b128 v[171:174], off, off offset:688
	ds_load_b128 v[6:9], v1 offset:1488
	s_waitcnt vmcnt(9) lgkmcnt(1)
	v_mul_f64 v[52:53], v[2:3], v[12:13]
	v_mul_f64 v[12:13], v[4:5], v[12:13]
	v_add_f64 v[44:45], v[44:45], v[58:59]
	v_add_f64 v[46:47], v[46:47], v[48:49]
	s_waitcnt vmcnt(8) lgkmcnt(0)
	v_mul_f64 v[48:49], v[6:7], v[16:17]
	v_mul_f64 v[16:17], v[8:9], v[16:17]
	v_fma_f64 v[52:53], v[4:5], v[10:11], v[52:53]
	v_fma_f64 v[56:57], v[2:3], v[10:11], -v[12:13]
	ds_load_b128 v[2:5], v1 offset:1504
	scratch_load_b128 v[10:13], off, off offset:704
	v_add_f64 v[44:45], v[44:45], v[54:55]
	v_add_f64 v[46:47], v[46:47], v[50:51]
	v_fma_f64 v[48:49], v[8:9], v[14:15], v[48:49]
	v_fma_f64 v[54:55], v[6:7], v[14:15], -v[16:17]
	scratch_load_b128 v[14:17], off, off offset:720
	ds_load_b128 v[6:9], v1 offset:1520
	s_waitcnt vmcnt(9) lgkmcnt(1)
	v_mul_f64 v[50:51], v[2:3], v[20:21]
	v_mul_f64 v[20:21], v[4:5], v[20:21]
	v_add_f64 v[44:45], v[44:45], v[56:57]
	v_add_f64 v[46:47], v[46:47], v[52:53]
	s_waitcnt vmcnt(8) lgkmcnt(0)
	v_mul_f64 v[52:53], v[6:7], v[24:25]
	;; [unrolled: 18-line block ×4, first 2 shown]
	v_mul_f64 v[56:57], v[8:9], v[177:178]
	v_fma_f64 v[52:53], v[4:5], v[34:35], v[52:53]
	v_fma_f64 v[58:59], v[2:3], v[34:35], -v[36:37]
	ds_load_b128 v[2:5], v1 offset:1600
	scratch_load_b128 v[34:37], off, off offset:800
	v_add_f64 v[44:45], v[44:45], v[54:55]
	v_add_f64 v[46:47], v[46:47], v[50:51]
	v_fma_f64 v[48:49], v[8:9], v[175:176], v[48:49]
	v_fma_f64 v[54:55], v[6:7], v[175:176], -v[56:57]
	ds_load_b128 v[6:9], v1 offset:1616
	s_waitcnt vmcnt(8) lgkmcnt(1)
	v_mul_f64 v[50:51], v[2:3], v[40:41]
	v_mul_f64 v[40:41], v[4:5], v[40:41]
	scratch_load_b128 v[175:178], off, off offset:816
	s_waitcnt vmcnt(8) lgkmcnt(0)
	v_mul_f64 v[56:57], v[8:9], v[173:174]
	v_add_f64 v[44:45], v[44:45], v[58:59]
	v_add_f64 v[46:47], v[46:47], v[52:53]
	v_mul_f64 v[52:53], v[6:7], v[173:174]
	v_fma_f64 v[50:51], v[4:5], v[38:39], v[50:51]
	v_fma_f64 v[58:59], v[2:3], v[38:39], -v[40:41]
	ds_load_b128 v[2:5], v1 offset:1632
	scratch_load_b128 v[38:41], off, off offset:832
	v_add_f64 v[44:45], v[44:45], v[54:55]
	v_add_f64 v[46:47], v[46:47], v[48:49]
	v_fma_f64 v[52:53], v[8:9], v[171:172], v[52:53]
	v_fma_f64 v[54:55], v[6:7], v[171:172], -v[56:57]
	ds_load_b128 v[6:9], v1 offset:1648
	s_waitcnt vmcnt(8) lgkmcnt(1)
	v_mul_f64 v[48:49], v[2:3], v[12:13]
	v_mul_f64 v[12:13], v[4:5], v[12:13]
	scratch_load_b128 v[171:174], off, off offset:848
	v_add_f64 v[44:45], v[44:45], v[58:59]
	v_add_f64 v[46:47], v[46:47], v[50:51]
	s_waitcnt vmcnt(8) lgkmcnt(0)
	v_mul_f64 v[50:51], v[6:7], v[16:17]
	v_mul_f64 v[16:17], v[8:9], v[16:17]
	v_fma_f64 v[48:49], v[4:5], v[10:11], v[48:49]
	v_fma_f64 v[56:57], v[2:3], v[10:11], -v[12:13]
	scratch_load_b128 v[10:13], off, off offset:864
	ds_load_b128 v[2:5], v1 offset:1664
	v_add_f64 v[44:45], v[44:45], v[54:55]
	v_add_f64 v[46:47], v[46:47], v[52:53]
	v_fma_f64 v[50:51], v[8:9], v[14:15], v[50:51]
	v_fma_f64 v[54:55], v[6:7], v[14:15], -v[16:17]
	ds_load_b128 v[6:9], v1 offset:1680
	s_waitcnt vmcnt(8) lgkmcnt(1)
	v_mul_f64 v[52:53], v[2:3], v[20:21]
	v_mul_f64 v[20:21], v[4:5], v[20:21]
	scratch_load_b128 v[14:17], off, off offset:880
	v_add_f64 v[44:45], v[44:45], v[56:57]
	v_add_f64 v[46:47], v[46:47], v[48:49]
	s_waitcnt vmcnt(8) lgkmcnt(0)
	v_mul_f64 v[48:49], v[6:7], v[24:25]
	v_mul_f64 v[24:25], v[8:9], v[24:25]
	v_fma_f64 v[52:53], v[4:5], v[18:19], v[52:53]
	v_fma_f64 v[56:57], v[2:3], v[18:19], -v[20:21]
	scratch_load_b128 v[18:21], off, off offset:896
	ds_load_b128 v[2:5], v1 offset:1696
	v_add_f64 v[44:45], v[44:45], v[54:55]
	v_add_f64 v[46:47], v[46:47], v[50:51]
	v_fma_f64 v[48:49], v[8:9], v[22:23], v[48:49]
	v_fma_f64 v[54:55], v[6:7], v[22:23], -v[24:25]
	ds_load_b128 v[6:9], v1 offset:1712
	s_waitcnt vmcnt(8) lgkmcnt(1)
	v_mul_f64 v[50:51], v[2:3], v[28:29]
	v_mul_f64 v[28:29], v[4:5], v[28:29]
	scratch_load_b128 v[22:25], off, off offset:912
	v_add_f64 v[44:45], v[44:45], v[56:57]
	v_add_f64 v[46:47], v[46:47], v[52:53]
	s_waitcnt vmcnt(8) lgkmcnt(0)
	v_mul_f64 v[52:53], v[6:7], v[32:33]
	v_mul_f64 v[32:33], v[8:9], v[32:33]
	v_fma_f64 v[50:51], v[4:5], v[26:27], v[50:51]
	v_fma_f64 v[26:27], v[2:3], v[26:27], -v[28:29]
	ds_load_b128 v[2:5], v1 offset:1728
	v_add_f64 v[28:29], v[44:45], v[54:55]
	v_add_f64 v[44:45], v[46:47], v[48:49]
	v_fma_f64 v[48:49], v[8:9], v[30:31], v[52:53]
	v_fma_f64 v[30:31], v[6:7], v[30:31], -v[32:33]
	ds_load_b128 v[6:9], v1 offset:1744
	s_waitcnt vmcnt(7) lgkmcnt(1)
	v_mul_f64 v[46:47], v[2:3], v[36:37]
	v_mul_f64 v[36:37], v[4:5], v[36:37]
	v_add_f64 v[26:27], v[28:29], v[26:27]
	v_add_f64 v[28:29], v[44:45], v[50:51]
	s_delay_alu instid0(VALU_DEP_4) | instskip(NEXT) | instid1(VALU_DEP_4)
	v_fma_f64 v[46:47], v[4:5], v[34:35], v[46:47]
	v_fma_f64 v[34:35], v[2:3], v[34:35], -v[36:37]
	ds_load_b128 v[2:5], v1 offset:1760
	v_add_f64 v[30:31], v[26:27], v[30:31]
	v_add_f64 v[36:37], v[28:29], v[48:49]
	scratch_load_b128 v[26:29], off, off offset:336
	s_waitcnt vmcnt(7) lgkmcnt(1)
	v_mul_f64 v[32:33], v[6:7], v[177:178]
	v_mul_f64 v[44:45], v[8:9], v[177:178]
	v_add_f64 v[30:31], v[30:31], v[34:35]
	v_add_f64 v[34:35], v[36:37], v[46:47]
	s_delay_alu instid0(VALU_DEP_4) | instskip(NEXT) | instid1(VALU_DEP_4)
	v_fma_f64 v[32:33], v[8:9], v[175:176], v[32:33]
	v_fma_f64 v[44:45], v[6:7], v[175:176], -v[44:45]
	ds_load_b128 v[6:9], v1 offset:1776
	s_waitcnt vmcnt(6) lgkmcnt(1)
	v_mul_f64 v[48:49], v[2:3], v[40:41]
	v_mul_f64 v[40:41], v[4:5], v[40:41]
	s_waitcnt vmcnt(5) lgkmcnt(0)
	v_mul_f64 v[36:37], v[6:7], v[173:174]
	v_mul_f64 v[46:47], v[8:9], v[173:174]
	v_add_f64 v[32:33], v[34:35], v[32:33]
	v_add_f64 v[30:31], v[30:31], v[44:45]
	v_fma_f64 v[48:49], v[4:5], v[38:39], v[48:49]
	v_fma_f64 v[38:39], v[2:3], v[38:39], -v[40:41]
	ds_load_b128 v[2:5], v1 offset:1792
	v_fma_f64 v[36:37], v[8:9], v[171:172], v[36:37]
	v_fma_f64 v[40:41], v[6:7], v[171:172], -v[46:47]
	ds_load_b128 v[6:9], v1 offset:1808
	s_waitcnt vmcnt(4) lgkmcnt(1)
	v_mul_f64 v[34:35], v[2:3], v[12:13]
	v_mul_f64 v[12:13], v[4:5], v[12:13]
	v_add_f64 v[32:33], v[32:33], v[48:49]
	v_add_f64 v[30:31], v[30:31], v[38:39]
	s_waitcnt vmcnt(3) lgkmcnt(0)
	v_mul_f64 v[38:39], v[6:7], v[16:17]
	v_mul_f64 v[16:17], v[8:9], v[16:17]
	v_fma_f64 v[34:35], v[4:5], v[10:11], v[34:35]
	v_fma_f64 v[10:11], v[2:3], v[10:11], -v[12:13]
	ds_load_b128 v[2:5], v1 offset:1824
	v_add_f64 v[12:13], v[30:31], v[40:41]
	v_add_f64 v[30:31], v[32:33], v[36:37]
	v_fma_f64 v[36:37], v[8:9], v[14:15], v[38:39]
	v_fma_f64 v[14:15], v[6:7], v[14:15], -v[16:17]
	ds_load_b128 v[6:9], v1 offset:1840
	s_waitcnt vmcnt(2) lgkmcnt(1)
	v_mul_f64 v[32:33], v[2:3], v[20:21]
	v_mul_f64 v[20:21], v[4:5], v[20:21]
	s_waitcnt vmcnt(1) lgkmcnt(0)
	v_mul_f64 v[16:17], v[6:7], v[24:25]
	v_mul_f64 v[24:25], v[8:9], v[24:25]
	v_add_f64 v[10:11], v[12:13], v[10:11]
	v_add_f64 v[12:13], v[30:31], v[34:35]
	v_fma_f64 v[4:5], v[4:5], v[18:19], v[32:33]
	v_fma_f64 v[1:2], v[2:3], v[18:19], -v[20:21]
	v_fma_f64 v[8:9], v[8:9], v[22:23], v[16:17]
	v_fma_f64 v[6:7], v[6:7], v[22:23], -v[24:25]
	v_add_f64 v[10:11], v[10:11], v[14:15]
	v_add_f64 v[12:13], v[12:13], v[36:37]
	s_delay_alu instid0(VALU_DEP_2) | instskip(NEXT) | instid1(VALU_DEP_2)
	v_add_f64 v[1:2], v[10:11], v[1:2]
	v_add_f64 v[3:4], v[12:13], v[4:5]
	s_delay_alu instid0(VALU_DEP_2) | instskip(NEXT) | instid1(VALU_DEP_2)
	v_add_f64 v[1:2], v[1:2], v[6:7]
	v_add_f64 v[3:4], v[3:4], v[8:9]
	s_waitcnt vmcnt(0)
	s_delay_alu instid0(VALU_DEP_2) | instskip(NEXT) | instid1(VALU_DEP_2)
	v_add_f64 v[1:2], v[26:27], -v[1:2]
	v_add_f64 v[3:4], v[28:29], -v[3:4]
	scratch_store_b128 off, v[1:4], off offset:336
	v_cmpx_lt_u32_e32 20, v158
	s_cbranch_execz .LBB121_321
; %bb.320:
	scratch_load_b128 v[1:4], v161, off
	v_mov_b32_e32 v5, 0
	s_delay_alu instid0(VALU_DEP_1)
	v_mov_b32_e32 v6, v5
	v_mov_b32_e32 v7, v5
	;; [unrolled: 1-line block ×3, first 2 shown]
	scratch_store_b128 off, v[5:8], off offset:320
	s_waitcnt vmcnt(0)
	ds_store_b128 v216, v[1:4]
.LBB121_321:
	s_or_b32 exec_lo, exec_lo, s2
	s_waitcnt lgkmcnt(0)
	s_waitcnt_vscnt null, 0x0
	s_barrier
	buffer_gl0_inv
	s_clause 0x7
	scratch_load_b128 v[2:5], off, off offset:336
	scratch_load_b128 v[6:9], off, off offset:352
	;; [unrolled: 1-line block ×8, first 2 shown]
	v_mov_b32_e32 v1, 0
	s_clause 0x1
	scratch_load_b128 v[34:37], off, off offset:464
	scratch_load_b128 v[175:178], off, off offset:480
	s_mov_b32 s2, exec_lo
	ds_load_b128 v[38:41], v1 offset:1264
	ds_load_b128 v[171:174], v1 offset:1280
	s_waitcnt vmcnt(9) lgkmcnt(1)
	v_mul_f64 v[44:45], v[40:41], v[4:5]
	v_mul_f64 v[4:5], v[38:39], v[4:5]
	s_waitcnt vmcnt(8) lgkmcnt(0)
	v_mul_f64 v[46:47], v[171:172], v[8:9]
	v_mul_f64 v[8:9], v[173:174], v[8:9]
	s_delay_alu instid0(VALU_DEP_4) | instskip(NEXT) | instid1(VALU_DEP_4)
	v_fma_f64 v[44:45], v[38:39], v[2:3], -v[44:45]
	v_fma_f64 v[48:49], v[40:41], v[2:3], v[4:5]
	ds_load_b128 v[2:5], v1 offset:1296
	scratch_load_b128 v[38:41], off, off offset:496
	v_fma_f64 v[46:47], v[173:174], v[6:7], v[46:47]
	v_fma_f64 v[52:53], v[171:172], v[6:7], -v[8:9]
	scratch_load_b128 v[171:174], off, off offset:512
	ds_load_b128 v[6:9], v1 offset:1312
	s_waitcnt vmcnt(9) lgkmcnt(1)
	v_mul_f64 v[50:51], v[2:3], v[12:13]
	v_mul_f64 v[12:13], v[4:5], v[12:13]
	s_waitcnt vmcnt(8) lgkmcnt(0)
	v_mul_f64 v[54:55], v[6:7], v[16:17]
	v_mul_f64 v[16:17], v[8:9], v[16:17]
	v_add_f64 v[44:45], v[44:45], 0
	v_add_f64 v[48:49], v[48:49], 0
	v_fma_f64 v[50:51], v[4:5], v[10:11], v[50:51]
	v_fma_f64 v[56:57], v[2:3], v[10:11], -v[12:13]
	ds_load_b128 v[2:5], v1 offset:1328
	scratch_load_b128 v[10:13], off, off offset:528
	v_add_f64 v[44:45], v[44:45], v[52:53]
	v_add_f64 v[46:47], v[48:49], v[46:47]
	v_fma_f64 v[52:53], v[8:9], v[14:15], v[54:55]
	v_fma_f64 v[54:55], v[6:7], v[14:15], -v[16:17]
	scratch_load_b128 v[14:17], off, off offset:544
	ds_load_b128 v[6:9], v1 offset:1344
	s_waitcnt vmcnt(9) lgkmcnt(1)
	v_mul_f64 v[48:49], v[2:3], v[20:21]
	v_mul_f64 v[20:21], v[4:5], v[20:21]
	v_add_f64 v[44:45], v[44:45], v[56:57]
	v_add_f64 v[46:47], v[46:47], v[50:51]
	s_waitcnt vmcnt(8) lgkmcnt(0)
	v_mul_f64 v[50:51], v[6:7], v[24:25]
	v_mul_f64 v[24:25], v[8:9], v[24:25]
	v_fma_f64 v[48:49], v[4:5], v[18:19], v[48:49]
	v_fma_f64 v[56:57], v[2:3], v[18:19], -v[20:21]
	ds_load_b128 v[2:5], v1 offset:1360
	scratch_load_b128 v[18:21], off, off offset:560
	v_add_f64 v[44:45], v[44:45], v[54:55]
	v_add_f64 v[46:47], v[46:47], v[52:53]
	v_fma_f64 v[50:51], v[8:9], v[22:23], v[50:51]
	v_fma_f64 v[54:55], v[6:7], v[22:23], -v[24:25]
	scratch_load_b128 v[22:25], off, off offset:576
	ds_load_b128 v[6:9], v1 offset:1376
	s_waitcnt vmcnt(9) lgkmcnt(1)
	v_mul_f64 v[52:53], v[2:3], v[28:29]
	v_mul_f64 v[28:29], v[4:5], v[28:29]
	v_add_f64 v[44:45], v[44:45], v[56:57]
	v_add_f64 v[46:47], v[46:47], v[48:49]
	s_waitcnt vmcnt(8) lgkmcnt(0)
	v_mul_f64 v[48:49], v[6:7], v[32:33]
	v_mul_f64 v[32:33], v[8:9], v[32:33]
	;; [unrolled: 18-line block ×3, first 2 shown]
	v_fma_f64 v[50:51], v[4:5], v[34:35], v[50:51]
	v_fma_f64 v[58:59], v[2:3], v[34:35], -v[36:37]
	ds_load_b128 v[2:5], v1 offset:1424
	scratch_load_b128 v[34:37], off, off offset:624
	v_add_f64 v[44:45], v[44:45], v[54:55]
	v_add_f64 v[46:47], v[46:47], v[48:49]
	v_fma_f64 v[52:53], v[8:9], v[175:176], v[52:53]
	v_fma_f64 v[54:55], v[6:7], v[175:176], -v[56:57]
	scratch_load_b128 v[175:178], off, off offset:640
	ds_load_b128 v[6:9], v1 offset:1440
	s_waitcnt vmcnt(9) lgkmcnt(1)
	v_mul_f64 v[48:49], v[2:3], v[40:41]
	v_mul_f64 v[40:41], v[4:5], v[40:41]
	s_waitcnt vmcnt(8) lgkmcnt(0)
	v_mul_f64 v[56:57], v[8:9], v[173:174]
	v_add_f64 v[44:45], v[44:45], v[58:59]
	v_add_f64 v[46:47], v[46:47], v[50:51]
	v_mul_f64 v[50:51], v[6:7], v[173:174]
	v_fma_f64 v[48:49], v[4:5], v[38:39], v[48:49]
	v_fma_f64 v[58:59], v[2:3], v[38:39], -v[40:41]
	ds_load_b128 v[2:5], v1 offset:1456
	scratch_load_b128 v[38:41], off, off offset:656
	v_add_f64 v[44:45], v[44:45], v[54:55]
	v_add_f64 v[46:47], v[46:47], v[52:53]
	v_fma_f64 v[50:51], v[8:9], v[171:172], v[50:51]
	v_fma_f64 v[54:55], v[6:7], v[171:172], -v[56:57]
	scratch_load_b128 v[171:174], off, off offset:672
	ds_load_b128 v[6:9], v1 offset:1472
	s_waitcnt vmcnt(9) lgkmcnt(1)
	v_mul_f64 v[52:53], v[2:3], v[12:13]
	v_mul_f64 v[12:13], v[4:5], v[12:13]
	v_add_f64 v[44:45], v[44:45], v[58:59]
	v_add_f64 v[46:47], v[46:47], v[48:49]
	s_waitcnt vmcnt(8) lgkmcnt(0)
	v_mul_f64 v[48:49], v[6:7], v[16:17]
	v_mul_f64 v[16:17], v[8:9], v[16:17]
	v_fma_f64 v[52:53], v[4:5], v[10:11], v[52:53]
	v_fma_f64 v[56:57], v[2:3], v[10:11], -v[12:13]
	ds_load_b128 v[2:5], v1 offset:1488
	scratch_load_b128 v[10:13], off, off offset:688
	v_add_f64 v[44:45], v[44:45], v[54:55]
	v_add_f64 v[46:47], v[46:47], v[50:51]
	v_fma_f64 v[48:49], v[8:9], v[14:15], v[48:49]
	v_fma_f64 v[54:55], v[6:7], v[14:15], -v[16:17]
	scratch_load_b128 v[14:17], off, off offset:704
	ds_load_b128 v[6:9], v1 offset:1504
	s_waitcnt vmcnt(9) lgkmcnt(1)
	v_mul_f64 v[50:51], v[2:3], v[20:21]
	v_mul_f64 v[20:21], v[4:5], v[20:21]
	v_add_f64 v[44:45], v[44:45], v[56:57]
	v_add_f64 v[46:47], v[46:47], v[52:53]
	s_waitcnt vmcnt(8) lgkmcnt(0)
	v_mul_f64 v[52:53], v[6:7], v[24:25]
	;; [unrolled: 18-line block ×4, first 2 shown]
	v_mul_f64 v[56:57], v[8:9], v[177:178]
	v_fma_f64 v[52:53], v[4:5], v[34:35], v[52:53]
	v_fma_f64 v[58:59], v[2:3], v[34:35], -v[36:37]
	ds_load_b128 v[2:5], v1 offset:1584
	scratch_load_b128 v[34:37], off, off offset:784
	v_add_f64 v[44:45], v[44:45], v[54:55]
	v_add_f64 v[46:47], v[46:47], v[50:51]
	v_fma_f64 v[48:49], v[8:9], v[175:176], v[48:49]
	v_fma_f64 v[54:55], v[6:7], v[175:176], -v[56:57]
	ds_load_b128 v[6:9], v1 offset:1600
	s_waitcnt vmcnt(8) lgkmcnt(1)
	v_mul_f64 v[50:51], v[2:3], v[40:41]
	v_mul_f64 v[40:41], v[4:5], v[40:41]
	scratch_load_b128 v[175:178], off, off offset:800
	s_waitcnt vmcnt(8) lgkmcnt(0)
	v_mul_f64 v[56:57], v[8:9], v[173:174]
	v_add_f64 v[44:45], v[44:45], v[58:59]
	v_add_f64 v[46:47], v[46:47], v[52:53]
	v_mul_f64 v[52:53], v[6:7], v[173:174]
	v_fma_f64 v[50:51], v[4:5], v[38:39], v[50:51]
	v_fma_f64 v[58:59], v[2:3], v[38:39], -v[40:41]
	ds_load_b128 v[2:5], v1 offset:1616
	scratch_load_b128 v[38:41], off, off offset:816
	v_add_f64 v[44:45], v[44:45], v[54:55]
	v_add_f64 v[46:47], v[46:47], v[48:49]
	v_fma_f64 v[52:53], v[8:9], v[171:172], v[52:53]
	v_fma_f64 v[54:55], v[6:7], v[171:172], -v[56:57]
	ds_load_b128 v[6:9], v1 offset:1632
	s_waitcnt vmcnt(8) lgkmcnt(1)
	v_mul_f64 v[48:49], v[2:3], v[12:13]
	v_mul_f64 v[12:13], v[4:5], v[12:13]
	scratch_load_b128 v[171:174], off, off offset:832
	v_add_f64 v[44:45], v[44:45], v[58:59]
	v_add_f64 v[46:47], v[46:47], v[50:51]
	s_waitcnt vmcnt(8) lgkmcnt(0)
	v_mul_f64 v[50:51], v[6:7], v[16:17]
	v_mul_f64 v[16:17], v[8:9], v[16:17]
	v_fma_f64 v[48:49], v[4:5], v[10:11], v[48:49]
	v_fma_f64 v[56:57], v[2:3], v[10:11], -v[12:13]
	scratch_load_b128 v[10:13], off, off offset:848
	ds_load_b128 v[2:5], v1 offset:1648
	v_add_f64 v[44:45], v[44:45], v[54:55]
	v_add_f64 v[46:47], v[46:47], v[52:53]
	v_fma_f64 v[50:51], v[8:9], v[14:15], v[50:51]
	v_fma_f64 v[54:55], v[6:7], v[14:15], -v[16:17]
	ds_load_b128 v[6:9], v1 offset:1664
	s_waitcnt vmcnt(8) lgkmcnt(1)
	v_mul_f64 v[52:53], v[2:3], v[20:21]
	v_mul_f64 v[20:21], v[4:5], v[20:21]
	scratch_load_b128 v[14:17], off, off offset:864
	v_add_f64 v[44:45], v[44:45], v[56:57]
	v_add_f64 v[46:47], v[46:47], v[48:49]
	s_waitcnt vmcnt(8) lgkmcnt(0)
	v_mul_f64 v[48:49], v[6:7], v[24:25]
	v_mul_f64 v[24:25], v[8:9], v[24:25]
	v_fma_f64 v[52:53], v[4:5], v[18:19], v[52:53]
	v_fma_f64 v[56:57], v[2:3], v[18:19], -v[20:21]
	scratch_load_b128 v[18:21], off, off offset:880
	ds_load_b128 v[2:5], v1 offset:1680
	;; [unrolled: 18-line block ×3, first 2 shown]
	v_add_f64 v[44:45], v[44:45], v[54:55]
	v_add_f64 v[46:47], v[46:47], v[48:49]
	v_fma_f64 v[52:53], v[8:9], v[30:31], v[52:53]
	v_fma_f64 v[30:31], v[6:7], v[30:31], -v[32:33]
	ds_load_b128 v[6:9], v1 offset:1728
	s_waitcnt vmcnt(8) lgkmcnt(1)
	v_mul_f64 v[48:49], v[2:3], v[36:37]
	v_mul_f64 v[36:37], v[4:5], v[36:37]
	v_add_f64 v[32:33], v[44:45], v[56:57]
	v_add_f64 v[44:45], v[46:47], v[50:51]
	s_delay_alu instid0(VALU_DEP_4) | instskip(NEXT) | instid1(VALU_DEP_4)
	v_fma_f64 v[48:49], v[4:5], v[34:35], v[48:49]
	v_fma_f64 v[34:35], v[2:3], v[34:35], -v[36:37]
	ds_load_b128 v[2:5], v1 offset:1744
	v_add_f64 v[30:31], v[32:33], v[30:31]
	v_add_f64 v[32:33], v[44:45], v[52:53]
	s_delay_alu instid0(VALU_DEP_2) | instskip(NEXT) | instid1(VALU_DEP_2)
	v_add_f64 v[34:35], v[30:31], v[34:35]
	v_add_f64 v[48:49], v[32:33], v[48:49]
	scratch_load_b128 v[30:33], off, off offset:320
	s_waitcnt vmcnt(8) lgkmcnt(1)
	v_mul_f64 v[46:47], v[6:7], v[177:178]
	v_mul_f64 v[50:51], v[8:9], v[177:178]
	s_delay_alu instid0(VALU_DEP_2) | instskip(NEXT) | instid1(VALU_DEP_2)
	v_fma_f64 v[44:45], v[8:9], v[175:176], v[46:47]
	v_fma_f64 v[46:47], v[6:7], v[175:176], -v[50:51]
	ds_load_b128 v[6:9], v1 offset:1760
	s_waitcnt vmcnt(7) lgkmcnt(1)
	v_mul_f64 v[36:37], v[2:3], v[40:41]
	v_mul_f64 v[40:41], v[4:5], v[40:41]
	s_waitcnt vmcnt(6) lgkmcnt(0)
	v_mul_f64 v[50:51], v[6:7], v[173:174]
	v_mul_f64 v[52:53], v[8:9], v[173:174]
	v_add_f64 v[34:35], v[34:35], v[46:47]
	v_fma_f64 v[36:37], v[4:5], v[38:39], v[36:37]
	v_fma_f64 v[38:39], v[2:3], v[38:39], -v[40:41]
	v_add_f64 v[40:41], v[48:49], v[44:45]
	ds_load_b128 v[2:5], v1 offset:1776
	v_fma_f64 v[46:47], v[8:9], v[171:172], v[50:51]
	v_fma_f64 v[48:49], v[6:7], v[171:172], -v[52:53]
	ds_load_b128 v[6:9], v1 offset:1792
	s_waitcnt vmcnt(5) lgkmcnt(1)
	v_mul_f64 v[44:45], v[2:3], v[12:13]
	v_mul_f64 v[12:13], v[4:5], v[12:13]
	v_add_f64 v[34:35], v[34:35], v[38:39]
	v_add_f64 v[36:37], v[40:41], v[36:37]
	s_waitcnt vmcnt(4) lgkmcnt(0)
	v_mul_f64 v[38:39], v[6:7], v[16:17]
	v_mul_f64 v[16:17], v[8:9], v[16:17]
	v_fma_f64 v[40:41], v[4:5], v[10:11], v[44:45]
	v_fma_f64 v[10:11], v[2:3], v[10:11], -v[12:13]
	ds_load_b128 v[2:5], v1 offset:1808
	v_add_f64 v[12:13], v[34:35], v[48:49]
	v_add_f64 v[34:35], v[36:37], v[46:47]
	v_fma_f64 v[38:39], v[8:9], v[14:15], v[38:39]
	v_fma_f64 v[14:15], v[6:7], v[14:15], -v[16:17]
	ds_load_b128 v[6:9], v1 offset:1824
	s_waitcnt vmcnt(3) lgkmcnt(1)
	v_mul_f64 v[36:37], v[2:3], v[20:21]
	v_mul_f64 v[20:21], v[4:5], v[20:21]
	s_waitcnt vmcnt(2) lgkmcnt(0)
	v_mul_f64 v[16:17], v[6:7], v[24:25]
	v_mul_f64 v[24:25], v[8:9], v[24:25]
	v_add_f64 v[10:11], v[12:13], v[10:11]
	v_add_f64 v[12:13], v[34:35], v[40:41]
	v_fma_f64 v[34:35], v[4:5], v[18:19], v[36:37]
	v_fma_f64 v[18:19], v[2:3], v[18:19], -v[20:21]
	ds_load_b128 v[2:5], v1 offset:1840
	v_fma_f64 v[8:9], v[8:9], v[22:23], v[16:17]
	v_fma_f64 v[6:7], v[6:7], v[22:23], -v[24:25]
	s_waitcnt vmcnt(1) lgkmcnt(0)
	v_mul_f64 v[20:21], v[4:5], v[28:29]
	v_add_f64 v[10:11], v[10:11], v[14:15]
	v_add_f64 v[12:13], v[12:13], v[38:39]
	v_mul_f64 v[14:15], v[2:3], v[28:29]
	s_delay_alu instid0(VALU_DEP_4) | instskip(NEXT) | instid1(VALU_DEP_4)
	v_fma_f64 v[2:3], v[2:3], v[26:27], -v[20:21]
	v_add_f64 v[10:11], v[10:11], v[18:19]
	s_delay_alu instid0(VALU_DEP_4) | instskip(NEXT) | instid1(VALU_DEP_4)
	v_add_f64 v[12:13], v[12:13], v[34:35]
	v_fma_f64 v[4:5], v[4:5], v[26:27], v[14:15]
	s_delay_alu instid0(VALU_DEP_3) | instskip(NEXT) | instid1(VALU_DEP_3)
	v_add_f64 v[6:7], v[10:11], v[6:7]
	v_add_f64 v[8:9], v[12:13], v[8:9]
	s_delay_alu instid0(VALU_DEP_2) | instskip(NEXT) | instid1(VALU_DEP_2)
	v_add_f64 v[2:3], v[6:7], v[2:3]
	v_add_f64 v[4:5], v[8:9], v[4:5]
	s_waitcnt vmcnt(0)
	s_delay_alu instid0(VALU_DEP_2) | instskip(NEXT) | instid1(VALU_DEP_2)
	v_add_f64 v[2:3], v[30:31], -v[2:3]
	v_add_f64 v[4:5], v[32:33], -v[4:5]
	scratch_store_b128 off, v[2:5], off offset:320
	v_cmpx_lt_u32_e32 19, v158
	s_cbranch_execz .LBB121_323
; %bb.322:
	scratch_load_b128 v[5:8], v198, off
	v_mov_b32_e32 v2, v1
	v_mov_b32_e32 v3, v1
	;; [unrolled: 1-line block ×3, first 2 shown]
	scratch_store_b128 off, v[1:4], off offset:304
	s_waitcnt vmcnt(0)
	ds_store_b128 v216, v[5:8]
.LBB121_323:
	s_or_b32 exec_lo, exec_lo, s2
	s_waitcnt lgkmcnt(0)
	s_waitcnt_vscnt null, 0x0
	s_barrier
	buffer_gl0_inv
	s_clause 0x7
	scratch_load_b128 v[2:5], off, off offset:320
	scratch_load_b128 v[6:9], off, off offset:336
	;; [unrolled: 1-line block ×8, first 2 shown]
	ds_load_b128 v[38:41], v1 offset:1248
	ds_load_b128 v[171:174], v1 offset:1264
	s_clause 0x1
	scratch_load_b128 v[34:37], off, off offset:448
	scratch_load_b128 v[175:178], off, off offset:464
	s_mov_b32 s2, exec_lo
	s_waitcnt vmcnt(9) lgkmcnt(1)
	v_mul_f64 v[44:45], v[40:41], v[4:5]
	v_mul_f64 v[4:5], v[38:39], v[4:5]
	s_waitcnt vmcnt(8) lgkmcnt(0)
	v_mul_f64 v[46:47], v[171:172], v[8:9]
	v_mul_f64 v[8:9], v[173:174], v[8:9]
	s_delay_alu instid0(VALU_DEP_4) | instskip(NEXT) | instid1(VALU_DEP_4)
	v_fma_f64 v[44:45], v[38:39], v[2:3], -v[44:45]
	v_fma_f64 v[48:49], v[40:41], v[2:3], v[4:5]
	ds_load_b128 v[2:5], v1 offset:1280
	scratch_load_b128 v[38:41], off, off offset:480
	v_fma_f64 v[46:47], v[173:174], v[6:7], v[46:47]
	v_fma_f64 v[52:53], v[171:172], v[6:7], -v[8:9]
	scratch_load_b128 v[171:174], off, off offset:496
	ds_load_b128 v[6:9], v1 offset:1296
	s_waitcnt vmcnt(9) lgkmcnt(1)
	v_mul_f64 v[50:51], v[2:3], v[12:13]
	v_mul_f64 v[12:13], v[4:5], v[12:13]
	s_waitcnt vmcnt(8) lgkmcnt(0)
	v_mul_f64 v[54:55], v[6:7], v[16:17]
	v_mul_f64 v[16:17], v[8:9], v[16:17]
	v_add_f64 v[44:45], v[44:45], 0
	v_add_f64 v[48:49], v[48:49], 0
	v_fma_f64 v[50:51], v[4:5], v[10:11], v[50:51]
	v_fma_f64 v[56:57], v[2:3], v[10:11], -v[12:13]
	ds_load_b128 v[2:5], v1 offset:1312
	scratch_load_b128 v[10:13], off, off offset:512
	v_add_f64 v[44:45], v[44:45], v[52:53]
	v_add_f64 v[46:47], v[48:49], v[46:47]
	v_fma_f64 v[52:53], v[8:9], v[14:15], v[54:55]
	v_fma_f64 v[54:55], v[6:7], v[14:15], -v[16:17]
	scratch_load_b128 v[14:17], off, off offset:528
	ds_load_b128 v[6:9], v1 offset:1328
	s_waitcnt vmcnt(9) lgkmcnt(1)
	v_mul_f64 v[48:49], v[2:3], v[20:21]
	v_mul_f64 v[20:21], v[4:5], v[20:21]
	v_add_f64 v[44:45], v[44:45], v[56:57]
	v_add_f64 v[46:47], v[46:47], v[50:51]
	s_waitcnt vmcnt(8) lgkmcnt(0)
	v_mul_f64 v[50:51], v[6:7], v[24:25]
	v_mul_f64 v[24:25], v[8:9], v[24:25]
	v_fma_f64 v[48:49], v[4:5], v[18:19], v[48:49]
	v_fma_f64 v[56:57], v[2:3], v[18:19], -v[20:21]
	ds_load_b128 v[2:5], v1 offset:1344
	scratch_load_b128 v[18:21], off, off offset:544
	v_add_f64 v[44:45], v[44:45], v[54:55]
	v_add_f64 v[46:47], v[46:47], v[52:53]
	v_fma_f64 v[50:51], v[8:9], v[22:23], v[50:51]
	v_fma_f64 v[54:55], v[6:7], v[22:23], -v[24:25]
	scratch_load_b128 v[22:25], off, off offset:560
	ds_load_b128 v[6:9], v1 offset:1360
	s_waitcnt vmcnt(9) lgkmcnt(1)
	v_mul_f64 v[52:53], v[2:3], v[28:29]
	v_mul_f64 v[28:29], v[4:5], v[28:29]
	v_add_f64 v[44:45], v[44:45], v[56:57]
	v_add_f64 v[46:47], v[46:47], v[48:49]
	s_waitcnt vmcnt(8) lgkmcnt(0)
	v_mul_f64 v[48:49], v[6:7], v[32:33]
	v_mul_f64 v[32:33], v[8:9], v[32:33]
	;; [unrolled: 18-line block ×3, first 2 shown]
	v_fma_f64 v[50:51], v[4:5], v[34:35], v[50:51]
	v_fma_f64 v[58:59], v[2:3], v[34:35], -v[36:37]
	ds_load_b128 v[2:5], v1 offset:1408
	scratch_load_b128 v[34:37], off, off offset:608
	v_add_f64 v[44:45], v[44:45], v[54:55]
	v_add_f64 v[46:47], v[46:47], v[48:49]
	v_fma_f64 v[52:53], v[8:9], v[175:176], v[52:53]
	v_fma_f64 v[54:55], v[6:7], v[175:176], -v[56:57]
	scratch_load_b128 v[175:178], off, off offset:624
	ds_load_b128 v[6:9], v1 offset:1424
	s_waitcnt vmcnt(9) lgkmcnt(1)
	v_mul_f64 v[48:49], v[2:3], v[40:41]
	v_mul_f64 v[40:41], v[4:5], v[40:41]
	s_waitcnt vmcnt(8) lgkmcnt(0)
	v_mul_f64 v[56:57], v[8:9], v[173:174]
	v_add_f64 v[44:45], v[44:45], v[58:59]
	v_add_f64 v[46:47], v[46:47], v[50:51]
	v_mul_f64 v[50:51], v[6:7], v[173:174]
	v_fma_f64 v[48:49], v[4:5], v[38:39], v[48:49]
	v_fma_f64 v[58:59], v[2:3], v[38:39], -v[40:41]
	ds_load_b128 v[2:5], v1 offset:1440
	scratch_load_b128 v[38:41], off, off offset:640
	v_add_f64 v[44:45], v[44:45], v[54:55]
	v_add_f64 v[46:47], v[46:47], v[52:53]
	v_fma_f64 v[50:51], v[8:9], v[171:172], v[50:51]
	v_fma_f64 v[54:55], v[6:7], v[171:172], -v[56:57]
	scratch_load_b128 v[171:174], off, off offset:656
	ds_load_b128 v[6:9], v1 offset:1456
	s_waitcnt vmcnt(9) lgkmcnt(1)
	v_mul_f64 v[52:53], v[2:3], v[12:13]
	v_mul_f64 v[12:13], v[4:5], v[12:13]
	v_add_f64 v[44:45], v[44:45], v[58:59]
	v_add_f64 v[46:47], v[46:47], v[48:49]
	s_waitcnt vmcnt(8) lgkmcnt(0)
	v_mul_f64 v[48:49], v[6:7], v[16:17]
	v_mul_f64 v[16:17], v[8:9], v[16:17]
	v_fma_f64 v[52:53], v[4:5], v[10:11], v[52:53]
	v_fma_f64 v[56:57], v[2:3], v[10:11], -v[12:13]
	ds_load_b128 v[2:5], v1 offset:1472
	scratch_load_b128 v[10:13], off, off offset:672
	v_add_f64 v[44:45], v[44:45], v[54:55]
	v_add_f64 v[46:47], v[46:47], v[50:51]
	v_fma_f64 v[48:49], v[8:9], v[14:15], v[48:49]
	v_fma_f64 v[54:55], v[6:7], v[14:15], -v[16:17]
	scratch_load_b128 v[14:17], off, off offset:688
	ds_load_b128 v[6:9], v1 offset:1488
	s_waitcnt vmcnt(9) lgkmcnt(1)
	v_mul_f64 v[50:51], v[2:3], v[20:21]
	v_mul_f64 v[20:21], v[4:5], v[20:21]
	v_add_f64 v[44:45], v[44:45], v[56:57]
	v_add_f64 v[46:47], v[46:47], v[52:53]
	s_waitcnt vmcnt(8) lgkmcnt(0)
	v_mul_f64 v[52:53], v[6:7], v[24:25]
	;; [unrolled: 18-line block ×4, first 2 shown]
	v_mul_f64 v[56:57], v[8:9], v[177:178]
	v_fma_f64 v[52:53], v[4:5], v[34:35], v[52:53]
	v_fma_f64 v[58:59], v[2:3], v[34:35], -v[36:37]
	ds_load_b128 v[2:5], v1 offset:1568
	scratch_load_b128 v[34:37], off, off offset:768
	v_add_f64 v[44:45], v[44:45], v[54:55]
	v_add_f64 v[46:47], v[46:47], v[50:51]
	v_fma_f64 v[48:49], v[8:9], v[175:176], v[48:49]
	v_fma_f64 v[54:55], v[6:7], v[175:176], -v[56:57]
	scratch_load_b128 v[175:178], off, off offset:784
	ds_load_b128 v[6:9], v1 offset:1584
	s_waitcnt vmcnt(9) lgkmcnt(1)
	v_mul_f64 v[50:51], v[2:3], v[40:41]
	v_mul_f64 v[40:41], v[4:5], v[40:41]
	s_waitcnt vmcnt(8) lgkmcnt(0)
	v_mul_f64 v[56:57], v[8:9], v[173:174]
	v_add_f64 v[44:45], v[44:45], v[58:59]
	v_add_f64 v[46:47], v[46:47], v[52:53]
	v_mul_f64 v[52:53], v[6:7], v[173:174]
	v_fma_f64 v[50:51], v[4:5], v[38:39], v[50:51]
	v_fma_f64 v[58:59], v[2:3], v[38:39], -v[40:41]
	ds_load_b128 v[2:5], v1 offset:1600
	scratch_load_b128 v[38:41], off, off offset:800
	v_add_f64 v[44:45], v[44:45], v[54:55]
	v_add_f64 v[46:47], v[46:47], v[48:49]
	v_fma_f64 v[52:53], v[8:9], v[171:172], v[52:53]
	v_fma_f64 v[54:55], v[6:7], v[171:172], -v[56:57]
	ds_load_b128 v[6:9], v1 offset:1616
	s_waitcnt vmcnt(8) lgkmcnt(1)
	v_mul_f64 v[48:49], v[2:3], v[12:13]
	v_mul_f64 v[12:13], v[4:5], v[12:13]
	scratch_load_b128 v[171:174], off, off offset:816
	v_add_f64 v[44:45], v[44:45], v[58:59]
	v_add_f64 v[46:47], v[46:47], v[50:51]
	s_waitcnt vmcnt(8) lgkmcnt(0)
	v_mul_f64 v[50:51], v[6:7], v[16:17]
	v_mul_f64 v[16:17], v[8:9], v[16:17]
	v_fma_f64 v[48:49], v[4:5], v[10:11], v[48:49]
	v_fma_f64 v[56:57], v[2:3], v[10:11], -v[12:13]
	ds_load_b128 v[2:5], v1 offset:1632
	scratch_load_b128 v[10:13], off, off offset:832
	v_add_f64 v[44:45], v[44:45], v[54:55]
	v_add_f64 v[46:47], v[46:47], v[52:53]
	v_fma_f64 v[50:51], v[8:9], v[14:15], v[50:51]
	v_fma_f64 v[54:55], v[6:7], v[14:15], -v[16:17]
	ds_load_b128 v[6:9], v1 offset:1648
	s_waitcnt vmcnt(8) lgkmcnt(1)
	v_mul_f64 v[52:53], v[2:3], v[20:21]
	v_mul_f64 v[20:21], v[4:5], v[20:21]
	scratch_load_b128 v[14:17], off, off offset:848
	v_add_f64 v[44:45], v[44:45], v[56:57]
	v_add_f64 v[46:47], v[46:47], v[48:49]
	s_waitcnt vmcnt(8) lgkmcnt(0)
	v_mul_f64 v[48:49], v[6:7], v[24:25]
	v_mul_f64 v[24:25], v[8:9], v[24:25]
	v_fma_f64 v[52:53], v[4:5], v[18:19], v[52:53]
	v_fma_f64 v[56:57], v[2:3], v[18:19], -v[20:21]
	scratch_load_b128 v[18:21], off, off offset:864
	ds_load_b128 v[2:5], v1 offset:1664
	v_add_f64 v[44:45], v[44:45], v[54:55]
	v_add_f64 v[46:47], v[46:47], v[50:51]
	v_fma_f64 v[48:49], v[8:9], v[22:23], v[48:49]
	v_fma_f64 v[54:55], v[6:7], v[22:23], -v[24:25]
	ds_load_b128 v[6:9], v1 offset:1680
	s_waitcnt vmcnt(8) lgkmcnt(1)
	v_mul_f64 v[50:51], v[2:3], v[28:29]
	v_mul_f64 v[28:29], v[4:5], v[28:29]
	scratch_load_b128 v[22:25], off, off offset:880
	v_add_f64 v[44:45], v[44:45], v[56:57]
	v_add_f64 v[46:47], v[46:47], v[52:53]
	s_waitcnt vmcnt(8) lgkmcnt(0)
	v_mul_f64 v[52:53], v[6:7], v[32:33]
	v_mul_f64 v[32:33], v[8:9], v[32:33]
	v_fma_f64 v[50:51], v[4:5], v[26:27], v[50:51]
	v_fma_f64 v[56:57], v[2:3], v[26:27], -v[28:29]
	scratch_load_b128 v[26:29], off, off offset:896
	ds_load_b128 v[2:5], v1 offset:1696
	v_add_f64 v[44:45], v[44:45], v[54:55]
	v_add_f64 v[46:47], v[46:47], v[48:49]
	v_fma_f64 v[52:53], v[8:9], v[30:31], v[52:53]
	v_fma_f64 v[54:55], v[6:7], v[30:31], -v[32:33]
	ds_load_b128 v[6:9], v1 offset:1712
	s_waitcnt vmcnt(8) lgkmcnt(1)
	v_mul_f64 v[48:49], v[2:3], v[36:37]
	v_mul_f64 v[36:37], v[4:5], v[36:37]
	scratch_load_b128 v[30:33], off, off offset:912
	v_add_f64 v[44:45], v[44:45], v[56:57]
	v_add_f64 v[46:47], v[46:47], v[50:51]
	s_waitcnt vmcnt(8) lgkmcnt(0)
	v_mul_f64 v[50:51], v[6:7], v[177:178]
	v_mul_f64 v[56:57], v[8:9], v[177:178]
	v_fma_f64 v[48:49], v[4:5], v[34:35], v[48:49]
	v_fma_f64 v[34:35], v[2:3], v[34:35], -v[36:37]
	ds_load_b128 v[2:5], v1 offset:1728
	v_add_f64 v[36:37], v[44:45], v[54:55]
	v_add_f64 v[44:45], v[46:47], v[52:53]
	v_fma_f64 v[50:51], v[8:9], v[175:176], v[50:51]
	v_fma_f64 v[52:53], v[6:7], v[175:176], -v[56:57]
	ds_load_b128 v[6:9], v1 offset:1744
	s_waitcnt vmcnt(7) lgkmcnt(1)
	v_mul_f64 v[46:47], v[2:3], v[40:41]
	v_mul_f64 v[40:41], v[4:5], v[40:41]
	v_add_f64 v[34:35], v[36:37], v[34:35]
	v_add_f64 v[36:37], v[44:45], v[48:49]
	s_delay_alu instid0(VALU_DEP_4) | instskip(NEXT) | instid1(VALU_DEP_4)
	v_fma_f64 v[46:47], v[4:5], v[38:39], v[46:47]
	v_fma_f64 v[38:39], v[2:3], v[38:39], -v[40:41]
	ds_load_b128 v[2:5], v1 offset:1760
	v_add_f64 v[40:41], v[34:35], v[52:53]
	v_add_f64 v[50:51], v[36:37], v[50:51]
	scratch_load_b128 v[34:37], off, off offset:304
	s_waitcnt vmcnt(7) lgkmcnt(1)
	v_mul_f64 v[44:45], v[6:7], v[173:174]
	v_mul_f64 v[48:49], v[8:9], v[173:174]
	v_add_f64 v[38:39], v[40:41], v[38:39]
	v_add_f64 v[40:41], v[50:51], v[46:47]
	s_delay_alu instid0(VALU_DEP_4) | instskip(NEXT) | instid1(VALU_DEP_4)
	v_fma_f64 v[44:45], v[8:9], v[171:172], v[44:45]
	v_fma_f64 v[48:49], v[6:7], v[171:172], -v[48:49]
	ds_load_b128 v[6:9], v1 offset:1776
	s_waitcnt vmcnt(6) lgkmcnt(1)
	v_mul_f64 v[52:53], v[2:3], v[12:13]
	v_mul_f64 v[12:13], v[4:5], v[12:13]
	s_waitcnt vmcnt(5) lgkmcnt(0)
	v_mul_f64 v[46:47], v[6:7], v[16:17]
	v_mul_f64 v[16:17], v[8:9], v[16:17]
	s_delay_alu instid0(VALU_DEP_4) | instskip(NEXT) | instid1(VALU_DEP_4)
	v_fma_f64 v[50:51], v[4:5], v[10:11], v[52:53]
	v_fma_f64 v[10:11], v[2:3], v[10:11], -v[12:13]
	v_add_f64 v[12:13], v[38:39], v[48:49]
	v_add_f64 v[38:39], v[40:41], v[44:45]
	ds_load_b128 v[2:5], v1 offset:1792
	v_fma_f64 v[44:45], v[8:9], v[14:15], v[46:47]
	v_fma_f64 v[14:15], v[6:7], v[14:15], -v[16:17]
	ds_load_b128 v[6:9], v1 offset:1808
	s_waitcnt vmcnt(4) lgkmcnt(1)
	v_mul_f64 v[40:41], v[2:3], v[20:21]
	v_mul_f64 v[20:21], v[4:5], v[20:21]
	v_add_f64 v[10:11], v[12:13], v[10:11]
	v_add_f64 v[12:13], v[38:39], v[50:51]
	s_waitcnt vmcnt(3) lgkmcnt(0)
	v_mul_f64 v[16:17], v[6:7], v[24:25]
	v_mul_f64 v[24:25], v[8:9], v[24:25]
	v_fma_f64 v[38:39], v[4:5], v[18:19], v[40:41]
	v_fma_f64 v[18:19], v[2:3], v[18:19], -v[20:21]
	ds_load_b128 v[2:5], v1 offset:1824
	v_add_f64 v[10:11], v[10:11], v[14:15]
	v_add_f64 v[12:13], v[12:13], v[44:45]
	v_fma_f64 v[16:17], v[8:9], v[22:23], v[16:17]
	v_fma_f64 v[22:23], v[6:7], v[22:23], -v[24:25]
	ds_load_b128 v[6:9], v1 offset:1840
	s_waitcnt vmcnt(2) lgkmcnt(1)
	v_mul_f64 v[14:15], v[2:3], v[28:29]
	v_mul_f64 v[20:21], v[4:5], v[28:29]
	s_waitcnt vmcnt(1) lgkmcnt(0)
	v_mul_f64 v[24:25], v[8:9], v[32:33]
	v_add_f64 v[10:11], v[10:11], v[18:19]
	v_add_f64 v[12:13], v[12:13], v[38:39]
	v_mul_f64 v[18:19], v[6:7], v[32:33]
	v_fma_f64 v[4:5], v[4:5], v[26:27], v[14:15]
	v_fma_f64 v[1:2], v[2:3], v[26:27], -v[20:21]
	v_fma_f64 v[6:7], v[6:7], v[30:31], -v[24:25]
	v_add_f64 v[10:11], v[10:11], v[22:23]
	v_add_f64 v[12:13], v[12:13], v[16:17]
	v_fma_f64 v[8:9], v[8:9], v[30:31], v[18:19]
	s_delay_alu instid0(VALU_DEP_3) | instskip(NEXT) | instid1(VALU_DEP_3)
	v_add_f64 v[1:2], v[10:11], v[1:2]
	v_add_f64 v[3:4], v[12:13], v[4:5]
	s_delay_alu instid0(VALU_DEP_2) | instskip(NEXT) | instid1(VALU_DEP_2)
	v_add_f64 v[1:2], v[1:2], v[6:7]
	v_add_f64 v[3:4], v[3:4], v[8:9]
	s_waitcnt vmcnt(0)
	s_delay_alu instid0(VALU_DEP_2) | instskip(NEXT) | instid1(VALU_DEP_2)
	v_add_f64 v[1:2], v[34:35], -v[1:2]
	v_add_f64 v[3:4], v[36:37], -v[3:4]
	scratch_store_b128 off, v[1:4], off offset:304
	v_cmpx_lt_u32_e32 18, v158
	s_cbranch_execz .LBB121_325
; %bb.324:
	scratch_load_b32 v1, off, off offset:992 ; 4-byte Folded Reload
	v_mov_b32_e32 v5, 0
	s_delay_alu instid0(VALU_DEP_1)
	v_mov_b32_e32 v6, v5
	v_mov_b32_e32 v7, v5
	;; [unrolled: 1-line block ×3, first 2 shown]
	s_waitcnt vmcnt(0)
	scratch_load_b128 v[1:4], v1, off
	scratch_store_b128 off, v[5:8], off offset:288
	s_waitcnt vmcnt(0)
	ds_store_b128 v216, v[1:4]
.LBB121_325:
	s_or_b32 exec_lo, exec_lo, s2
	s_waitcnt lgkmcnt(0)
	s_waitcnt_vscnt null, 0x0
	s_barrier
	buffer_gl0_inv
	s_clause 0x7
	scratch_load_b128 v[2:5], off, off offset:304
	scratch_load_b128 v[6:9], off, off offset:320
	;; [unrolled: 1-line block ×8, first 2 shown]
	v_mov_b32_e32 v1, 0
	s_clause 0x1
	scratch_load_b128 v[34:37], off, off offset:432
	scratch_load_b128 v[175:178], off, off offset:448
	s_mov_b32 s2, exec_lo
	ds_load_b128 v[38:41], v1 offset:1232
	ds_load_b128 v[171:174], v1 offset:1248
	s_waitcnt vmcnt(9) lgkmcnt(1)
	v_mul_f64 v[44:45], v[40:41], v[4:5]
	v_mul_f64 v[4:5], v[38:39], v[4:5]
	s_waitcnt vmcnt(8) lgkmcnt(0)
	v_mul_f64 v[46:47], v[171:172], v[8:9]
	v_mul_f64 v[8:9], v[173:174], v[8:9]
	s_delay_alu instid0(VALU_DEP_4) | instskip(NEXT) | instid1(VALU_DEP_4)
	v_fma_f64 v[44:45], v[38:39], v[2:3], -v[44:45]
	v_fma_f64 v[48:49], v[40:41], v[2:3], v[4:5]
	ds_load_b128 v[2:5], v1 offset:1264
	scratch_load_b128 v[38:41], off, off offset:464
	v_fma_f64 v[46:47], v[173:174], v[6:7], v[46:47]
	v_fma_f64 v[52:53], v[171:172], v[6:7], -v[8:9]
	scratch_load_b128 v[171:174], off, off offset:480
	ds_load_b128 v[6:9], v1 offset:1280
	s_waitcnt vmcnt(9) lgkmcnt(1)
	v_mul_f64 v[50:51], v[2:3], v[12:13]
	v_mul_f64 v[12:13], v[4:5], v[12:13]
	s_waitcnt vmcnt(8) lgkmcnt(0)
	v_mul_f64 v[54:55], v[6:7], v[16:17]
	v_mul_f64 v[16:17], v[8:9], v[16:17]
	v_add_f64 v[44:45], v[44:45], 0
	v_add_f64 v[48:49], v[48:49], 0
	v_fma_f64 v[50:51], v[4:5], v[10:11], v[50:51]
	v_fma_f64 v[56:57], v[2:3], v[10:11], -v[12:13]
	ds_load_b128 v[2:5], v1 offset:1296
	scratch_load_b128 v[10:13], off, off offset:496
	v_add_f64 v[44:45], v[44:45], v[52:53]
	v_add_f64 v[46:47], v[48:49], v[46:47]
	v_fma_f64 v[52:53], v[8:9], v[14:15], v[54:55]
	v_fma_f64 v[54:55], v[6:7], v[14:15], -v[16:17]
	scratch_load_b128 v[14:17], off, off offset:512
	ds_load_b128 v[6:9], v1 offset:1312
	s_waitcnt vmcnt(9) lgkmcnt(1)
	v_mul_f64 v[48:49], v[2:3], v[20:21]
	v_mul_f64 v[20:21], v[4:5], v[20:21]
	v_add_f64 v[44:45], v[44:45], v[56:57]
	v_add_f64 v[46:47], v[46:47], v[50:51]
	s_waitcnt vmcnt(8) lgkmcnt(0)
	v_mul_f64 v[50:51], v[6:7], v[24:25]
	v_mul_f64 v[24:25], v[8:9], v[24:25]
	v_fma_f64 v[48:49], v[4:5], v[18:19], v[48:49]
	v_fma_f64 v[56:57], v[2:3], v[18:19], -v[20:21]
	ds_load_b128 v[2:5], v1 offset:1328
	scratch_load_b128 v[18:21], off, off offset:528
	v_add_f64 v[44:45], v[44:45], v[54:55]
	v_add_f64 v[46:47], v[46:47], v[52:53]
	v_fma_f64 v[50:51], v[8:9], v[22:23], v[50:51]
	v_fma_f64 v[54:55], v[6:7], v[22:23], -v[24:25]
	scratch_load_b128 v[22:25], off, off offset:544
	ds_load_b128 v[6:9], v1 offset:1344
	s_waitcnt vmcnt(9) lgkmcnt(1)
	v_mul_f64 v[52:53], v[2:3], v[28:29]
	v_mul_f64 v[28:29], v[4:5], v[28:29]
	v_add_f64 v[44:45], v[44:45], v[56:57]
	v_add_f64 v[46:47], v[46:47], v[48:49]
	s_waitcnt vmcnt(8) lgkmcnt(0)
	v_mul_f64 v[48:49], v[6:7], v[32:33]
	v_mul_f64 v[32:33], v[8:9], v[32:33]
	;; [unrolled: 18-line block ×3, first 2 shown]
	v_fma_f64 v[50:51], v[4:5], v[34:35], v[50:51]
	v_fma_f64 v[58:59], v[2:3], v[34:35], -v[36:37]
	ds_load_b128 v[2:5], v1 offset:1392
	scratch_load_b128 v[34:37], off, off offset:592
	v_add_f64 v[44:45], v[44:45], v[54:55]
	v_add_f64 v[46:47], v[46:47], v[48:49]
	v_fma_f64 v[52:53], v[8:9], v[175:176], v[52:53]
	v_fma_f64 v[54:55], v[6:7], v[175:176], -v[56:57]
	scratch_load_b128 v[175:178], off, off offset:608
	ds_load_b128 v[6:9], v1 offset:1408
	s_waitcnt vmcnt(9) lgkmcnt(1)
	v_mul_f64 v[48:49], v[2:3], v[40:41]
	v_mul_f64 v[40:41], v[4:5], v[40:41]
	s_waitcnt vmcnt(8) lgkmcnt(0)
	v_mul_f64 v[56:57], v[8:9], v[173:174]
	v_add_f64 v[44:45], v[44:45], v[58:59]
	v_add_f64 v[46:47], v[46:47], v[50:51]
	v_mul_f64 v[50:51], v[6:7], v[173:174]
	v_fma_f64 v[48:49], v[4:5], v[38:39], v[48:49]
	v_fma_f64 v[58:59], v[2:3], v[38:39], -v[40:41]
	ds_load_b128 v[2:5], v1 offset:1424
	scratch_load_b128 v[38:41], off, off offset:624
	v_add_f64 v[44:45], v[44:45], v[54:55]
	v_add_f64 v[46:47], v[46:47], v[52:53]
	v_fma_f64 v[50:51], v[8:9], v[171:172], v[50:51]
	v_fma_f64 v[54:55], v[6:7], v[171:172], -v[56:57]
	scratch_load_b128 v[171:174], off, off offset:640
	ds_load_b128 v[6:9], v1 offset:1440
	s_waitcnt vmcnt(9) lgkmcnt(1)
	v_mul_f64 v[52:53], v[2:3], v[12:13]
	v_mul_f64 v[12:13], v[4:5], v[12:13]
	v_add_f64 v[44:45], v[44:45], v[58:59]
	v_add_f64 v[46:47], v[46:47], v[48:49]
	s_waitcnt vmcnt(8) lgkmcnt(0)
	v_mul_f64 v[48:49], v[6:7], v[16:17]
	v_mul_f64 v[16:17], v[8:9], v[16:17]
	v_fma_f64 v[52:53], v[4:5], v[10:11], v[52:53]
	v_fma_f64 v[56:57], v[2:3], v[10:11], -v[12:13]
	ds_load_b128 v[2:5], v1 offset:1456
	scratch_load_b128 v[10:13], off, off offset:656
	v_add_f64 v[44:45], v[44:45], v[54:55]
	v_add_f64 v[46:47], v[46:47], v[50:51]
	v_fma_f64 v[48:49], v[8:9], v[14:15], v[48:49]
	v_fma_f64 v[54:55], v[6:7], v[14:15], -v[16:17]
	scratch_load_b128 v[14:17], off, off offset:672
	ds_load_b128 v[6:9], v1 offset:1472
	s_waitcnt vmcnt(9) lgkmcnt(1)
	v_mul_f64 v[50:51], v[2:3], v[20:21]
	v_mul_f64 v[20:21], v[4:5], v[20:21]
	v_add_f64 v[44:45], v[44:45], v[56:57]
	v_add_f64 v[46:47], v[46:47], v[52:53]
	s_waitcnt vmcnt(8) lgkmcnt(0)
	v_mul_f64 v[52:53], v[6:7], v[24:25]
	;; [unrolled: 18-line block ×4, first 2 shown]
	v_mul_f64 v[56:57], v[8:9], v[177:178]
	v_fma_f64 v[52:53], v[4:5], v[34:35], v[52:53]
	v_fma_f64 v[58:59], v[2:3], v[34:35], -v[36:37]
	ds_load_b128 v[2:5], v1 offset:1552
	scratch_load_b128 v[34:37], off, off offset:752
	v_add_f64 v[44:45], v[44:45], v[54:55]
	v_add_f64 v[46:47], v[46:47], v[50:51]
	v_fma_f64 v[48:49], v[8:9], v[175:176], v[48:49]
	v_fma_f64 v[54:55], v[6:7], v[175:176], -v[56:57]
	scratch_load_b128 v[175:178], off, off offset:768
	ds_load_b128 v[6:9], v1 offset:1568
	s_waitcnt vmcnt(9) lgkmcnt(1)
	v_mul_f64 v[50:51], v[2:3], v[40:41]
	v_mul_f64 v[40:41], v[4:5], v[40:41]
	s_waitcnt vmcnt(8) lgkmcnt(0)
	v_mul_f64 v[56:57], v[8:9], v[173:174]
	v_add_f64 v[44:45], v[44:45], v[58:59]
	v_add_f64 v[46:47], v[46:47], v[52:53]
	v_mul_f64 v[52:53], v[6:7], v[173:174]
	v_fma_f64 v[50:51], v[4:5], v[38:39], v[50:51]
	v_fma_f64 v[58:59], v[2:3], v[38:39], -v[40:41]
	ds_load_b128 v[2:5], v1 offset:1584
	scratch_load_b128 v[38:41], off, off offset:784
	v_add_f64 v[44:45], v[44:45], v[54:55]
	v_add_f64 v[46:47], v[46:47], v[48:49]
	v_fma_f64 v[52:53], v[8:9], v[171:172], v[52:53]
	v_fma_f64 v[54:55], v[6:7], v[171:172], -v[56:57]
	ds_load_b128 v[6:9], v1 offset:1600
	s_waitcnt vmcnt(8) lgkmcnt(1)
	v_mul_f64 v[48:49], v[2:3], v[12:13]
	v_mul_f64 v[12:13], v[4:5], v[12:13]
	scratch_load_b128 v[171:174], off, off offset:800
	v_add_f64 v[44:45], v[44:45], v[58:59]
	v_add_f64 v[46:47], v[46:47], v[50:51]
	s_waitcnt vmcnt(8) lgkmcnt(0)
	v_mul_f64 v[50:51], v[6:7], v[16:17]
	v_mul_f64 v[16:17], v[8:9], v[16:17]
	v_fma_f64 v[48:49], v[4:5], v[10:11], v[48:49]
	v_fma_f64 v[56:57], v[2:3], v[10:11], -v[12:13]
	ds_load_b128 v[2:5], v1 offset:1616
	scratch_load_b128 v[10:13], off, off offset:816
	v_add_f64 v[44:45], v[44:45], v[54:55]
	v_add_f64 v[46:47], v[46:47], v[52:53]
	v_fma_f64 v[50:51], v[8:9], v[14:15], v[50:51]
	v_fma_f64 v[54:55], v[6:7], v[14:15], -v[16:17]
	ds_load_b128 v[6:9], v1 offset:1632
	s_waitcnt vmcnt(8) lgkmcnt(1)
	v_mul_f64 v[52:53], v[2:3], v[20:21]
	v_mul_f64 v[20:21], v[4:5], v[20:21]
	scratch_load_b128 v[14:17], off, off offset:832
	v_add_f64 v[44:45], v[44:45], v[56:57]
	v_add_f64 v[46:47], v[46:47], v[48:49]
	s_waitcnt vmcnt(8) lgkmcnt(0)
	v_mul_f64 v[48:49], v[6:7], v[24:25]
	v_mul_f64 v[24:25], v[8:9], v[24:25]
	v_fma_f64 v[52:53], v[4:5], v[18:19], v[52:53]
	v_fma_f64 v[56:57], v[2:3], v[18:19], -v[20:21]
	scratch_load_b128 v[18:21], off, off offset:848
	ds_load_b128 v[2:5], v1 offset:1648
	v_add_f64 v[44:45], v[44:45], v[54:55]
	v_add_f64 v[46:47], v[46:47], v[50:51]
	v_fma_f64 v[48:49], v[8:9], v[22:23], v[48:49]
	v_fma_f64 v[54:55], v[6:7], v[22:23], -v[24:25]
	ds_load_b128 v[6:9], v1 offset:1664
	s_waitcnt vmcnt(8) lgkmcnt(1)
	v_mul_f64 v[50:51], v[2:3], v[28:29]
	v_mul_f64 v[28:29], v[4:5], v[28:29]
	scratch_load_b128 v[22:25], off, off offset:864
	v_add_f64 v[44:45], v[44:45], v[56:57]
	v_add_f64 v[46:47], v[46:47], v[52:53]
	s_waitcnt vmcnt(8) lgkmcnt(0)
	v_mul_f64 v[52:53], v[6:7], v[32:33]
	v_mul_f64 v[32:33], v[8:9], v[32:33]
	v_fma_f64 v[50:51], v[4:5], v[26:27], v[50:51]
	v_fma_f64 v[56:57], v[2:3], v[26:27], -v[28:29]
	scratch_load_b128 v[26:29], off, off offset:880
	ds_load_b128 v[2:5], v1 offset:1680
	;; [unrolled: 18-line block ×3, first 2 shown]
	v_add_f64 v[44:45], v[44:45], v[54:55]
	v_add_f64 v[46:47], v[46:47], v[52:53]
	v_fma_f64 v[50:51], v[8:9], v[175:176], v[50:51]
	v_fma_f64 v[54:55], v[6:7], v[175:176], -v[56:57]
	ds_load_b128 v[6:9], v1 offset:1728
	s_waitcnt vmcnt(8) lgkmcnt(1)
	v_mul_f64 v[52:53], v[2:3], v[40:41]
	v_mul_f64 v[40:41], v[4:5], v[40:41]
	v_add_f64 v[44:45], v[44:45], v[58:59]
	v_add_f64 v[46:47], v[46:47], v[48:49]
	s_delay_alu instid0(VALU_DEP_4) | instskip(NEXT) | instid1(VALU_DEP_4)
	v_fma_f64 v[52:53], v[4:5], v[38:39], v[52:53]
	v_fma_f64 v[38:39], v[2:3], v[38:39], -v[40:41]
	ds_load_b128 v[2:5], v1 offset:1744
	v_add_f64 v[40:41], v[44:45], v[54:55]
	v_add_f64 v[44:45], v[46:47], v[50:51]
	s_delay_alu instid0(VALU_DEP_2)
	v_add_f64 v[54:55], v[40:41], v[38:39]
	scratch_load_b128 v[38:41], off, off offset:288
	s_waitcnt vmcnt(8) lgkmcnt(1)
	v_mul_f64 v[48:49], v[6:7], v[173:174]
	v_mul_f64 v[56:57], v[8:9], v[173:174]
	v_add_f64 v[44:45], v[44:45], v[52:53]
	s_delay_alu instid0(VALU_DEP_3) | instskip(NEXT) | instid1(VALU_DEP_3)
	v_fma_f64 v[48:49], v[8:9], v[171:172], v[48:49]
	v_fma_f64 v[50:51], v[6:7], v[171:172], -v[56:57]
	ds_load_b128 v[6:9], v1 offset:1760
	s_waitcnt vmcnt(7) lgkmcnt(1)
	v_mul_f64 v[46:47], v[2:3], v[12:13]
	v_mul_f64 v[12:13], v[4:5], v[12:13]
	s_waitcnt vmcnt(6) lgkmcnt(0)
	v_mul_f64 v[52:53], v[6:7], v[16:17]
	v_mul_f64 v[16:17], v[8:9], v[16:17]
	v_add_f64 v[44:45], v[44:45], v[48:49]
	v_fma_f64 v[46:47], v[4:5], v[10:11], v[46:47]
	v_fma_f64 v[10:11], v[2:3], v[10:11], -v[12:13]
	v_add_f64 v[12:13], v[54:55], v[50:51]
	ds_load_b128 v[2:5], v1 offset:1776
	v_fma_f64 v[50:51], v[8:9], v[14:15], v[52:53]
	v_fma_f64 v[14:15], v[6:7], v[14:15], -v[16:17]
	ds_load_b128 v[6:9], v1 offset:1792
	s_waitcnt vmcnt(5) lgkmcnt(1)
	v_mul_f64 v[48:49], v[2:3], v[20:21]
	v_mul_f64 v[20:21], v[4:5], v[20:21]
	v_add_f64 v[10:11], v[12:13], v[10:11]
	v_add_f64 v[12:13], v[44:45], v[46:47]
	s_waitcnt vmcnt(4) lgkmcnt(0)
	v_mul_f64 v[16:17], v[6:7], v[24:25]
	v_mul_f64 v[24:25], v[8:9], v[24:25]
	v_fma_f64 v[44:45], v[4:5], v[18:19], v[48:49]
	v_fma_f64 v[18:19], v[2:3], v[18:19], -v[20:21]
	ds_load_b128 v[2:5], v1 offset:1808
	v_add_f64 v[10:11], v[10:11], v[14:15]
	v_add_f64 v[12:13], v[12:13], v[50:51]
	v_fma_f64 v[16:17], v[8:9], v[22:23], v[16:17]
	v_fma_f64 v[22:23], v[6:7], v[22:23], -v[24:25]
	ds_load_b128 v[6:9], v1 offset:1824
	s_waitcnt vmcnt(3) lgkmcnt(1)
	v_mul_f64 v[14:15], v[2:3], v[28:29]
	v_mul_f64 v[20:21], v[4:5], v[28:29]
	s_waitcnt vmcnt(2) lgkmcnt(0)
	v_mul_f64 v[24:25], v[8:9], v[32:33]
	v_add_f64 v[10:11], v[10:11], v[18:19]
	v_add_f64 v[12:13], v[12:13], v[44:45]
	v_mul_f64 v[18:19], v[6:7], v[32:33]
	v_fma_f64 v[14:15], v[4:5], v[26:27], v[14:15]
	v_fma_f64 v[20:21], v[2:3], v[26:27], -v[20:21]
	ds_load_b128 v[2:5], v1 offset:1840
	v_fma_f64 v[6:7], v[6:7], v[30:31], -v[24:25]
	v_add_f64 v[10:11], v[10:11], v[22:23]
	v_add_f64 v[12:13], v[12:13], v[16:17]
	s_waitcnt vmcnt(1) lgkmcnt(0)
	v_mul_f64 v[16:17], v[2:3], v[36:37]
	v_mul_f64 v[22:23], v[4:5], v[36:37]
	v_fma_f64 v[8:9], v[8:9], v[30:31], v[18:19]
	v_add_f64 v[10:11], v[10:11], v[20:21]
	v_add_f64 v[12:13], v[12:13], v[14:15]
	v_fma_f64 v[4:5], v[4:5], v[34:35], v[16:17]
	v_fma_f64 v[2:3], v[2:3], v[34:35], -v[22:23]
	s_delay_alu instid0(VALU_DEP_4) | instskip(NEXT) | instid1(VALU_DEP_4)
	v_add_f64 v[6:7], v[10:11], v[6:7]
	v_add_f64 v[8:9], v[12:13], v[8:9]
	s_delay_alu instid0(VALU_DEP_2) | instskip(NEXT) | instid1(VALU_DEP_2)
	v_add_f64 v[2:3], v[6:7], v[2:3]
	v_add_f64 v[4:5], v[8:9], v[4:5]
	s_waitcnt vmcnt(0)
	s_delay_alu instid0(VALU_DEP_2) | instskip(NEXT) | instid1(VALU_DEP_2)
	v_add_f64 v[2:3], v[38:39], -v[2:3]
	v_add_f64 v[4:5], v[40:41], -v[4:5]
	scratch_store_b128 off, v[2:5], off offset:288
	v_cmpx_lt_u32_e32 17, v158
	s_cbranch_execz .LBB121_327
; %bb.326:
	scratch_load_b128 v[5:8], v199, off
	v_mov_b32_e32 v2, v1
	v_mov_b32_e32 v3, v1
	;; [unrolled: 1-line block ×3, first 2 shown]
	scratch_store_b128 off, v[1:4], off offset:272
	s_waitcnt vmcnt(0)
	ds_store_b128 v216, v[5:8]
.LBB121_327:
	s_or_b32 exec_lo, exec_lo, s2
	s_waitcnt lgkmcnt(0)
	s_waitcnt_vscnt null, 0x0
	s_barrier
	buffer_gl0_inv
	s_clause 0x7
	scratch_load_b128 v[2:5], off, off offset:288
	scratch_load_b128 v[6:9], off, off offset:304
	;; [unrolled: 1-line block ×8, first 2 shown]
	ds_load_b128 v[38:41], v1 offset:1216
	ds_load_b128 v[171:174], v1 offset:1232
	s_clause 0x1
	scratch_load_b128 v[34:37], off, off offset:416
	scratch_load_b128 v[175:178], off, off offset:432
	s_mov_b32 s2, exec_lo
	s_waitcnt vmcnt(9) lgkmcnt(1)
	v_mul_f64 v[44:45], v[40:41], v[4:5]
	v_mul_f64 v[4:5], v[38:39], v[4:5]
	s_waitcnt vmcnt(8) lgkmcnt(0)
	v_mul_f64 v[46:47], v[171:172], v[8:9]
	v_mul_f64 v[8:9], v[173:174], v[8:9]
	s_delay_alu instid0(VALU_DEP_4) | instskip(NEXT) | instid1(VALU_DEP_4)
	v_fma_f64 v[44:45], v[38:39], v[2:3], -v[44:45]
	v_fma_f64 v[48:49], v[40:41], v[2:3], v[4:5]
	ds_load_b128 v[2:5], v1 offset:1248
	scratch_load_b128 v[38:41], off, off offset:448
	v_fma_f64 v[46:47], v[173:174], v[6:7], v[46:47]
	v_fma_f64 v[52:53], v[171:172], v[6:7], -v[8:9]
	scratch_load_b128 v[171:174], off, off offset:464
	ds_load_b128 v[6:9], v1 offset:1264
	s_waitcnt vmcnt(9) lgkmcnt(1)
	v_mul_f64 v[50:51], v[2:3], v[12:13]
	v_mul_f64 v[12:13], v[4:5], v[12:13]
	s_waitcnt vmcnt(8) lgkmcnt(0)
	v_mul_f64 v[54:55], v[6:7], v[16:17]
	v_mul_f64 v[16:17], v[8:9], v[16:17]
	v_add_f64 v[44:45], v[44:45], 0
	v_add_f64 v[48:49], v[48:49], 0
	v_fma_f64 v[50:51], v[4:5], v[10:11], v[50:51]
	v_fma_f64 v[56:57], v[2:3], v[10:11], -v[12:13]
	ds_load_b128 v[2:5], v1 offset:1280
	scratch_load_b128 v[10:13], off, off offset:480
	v_add_f64 v[44:45], v[44:45], v[52:53]
	v_add_f64 v[46:47], v[48:49], v[46:47]
	v_fma_f64 v[52:53], v[8:9], v[14:15], v[54:55]
	v_fma_f64 v[54:55], v[6:7], v[14:15], -v[16:17]
	scratch_load_b128 v[14:17], off, off offset:496
	ds_load_b128 v[6:9], v1 offset:1296
	s_waitcnt vmcnt(9) lgkmcnt(1)
	v_mul_f64 v[48:49], v[2:3], v[20:21]
	v_mul_f64 v[20:21], v[4:5], v[20:21]
	v_add_f64 v[44:45], v[44:45], v[56:57]
	v_add_f64 v[46:47], v[46:47], v[50:51]
	s_waitcnt vmcnt(8) lgkmcnt(0)
	v_mul_f64 v[50:51], v[6:7], v[24:25]
	v_mul_f64 v[24:25], v[8:9], v[24:25]
	v_fma_f64 v[48:49], v[4:5], v[18:19], v[48:49]
	v_fma_f64 v[56:57], v[2:3], v[18:19], -v[20:21]
	ds_load_b128 v[2:5], v1 offset:1312
	scratch_load_b128 v[18:21], off, off offset:512
	v_add_f64 v[44:45], v[44:45], v[54:55]
	v_add_f64 v[46:47], v[46:47], v[52:53]
	v_fma_f64 v[50:51], v[8:9], v[22:23], v[50:51]
	v_fma_f64 v[54:55], v[6:7], v[22:23], -v[24:25]
	scratch_load_b128 v[22:25], off, off offset:528
	ds_load_b128 v[6:9], v1 offset:1328
	s_waitcnt vmcnt(9) lgkmcnt(1)
	v_mul_f64 v[52:53], v[2:3], v[28:29]
	v_mul_f64 v[28:29], v[4:5], v[28:29]
	v_add_f64 v[44:45], v[44:45], v[56:57]
	v_add_f64 v[46:47], v[46:47], v[48:49]
	s_waitcnt vmcnt(8) lgkmcnt(0)
	v_mul_f64 v[48:49], v[6:7], v[32:33]
	v_mul_f64 v[32:33], v[8:9], v[32:33]
	v_fma_f64 v[52:53], v[4:5], v[26:27], v[52:53]
	v_fma_f64 v[56:57], v[2:3], v[26:27], -v[28:29]
	ds_load_b128 v[2:5], v1 offset:1344
	scratch_load_b128 v[26:29], off, off offset:544
	v_add_f64 v[44:45], v[44:45], v[54:55]
	v_add_f64 v[46:47], v[46:47], v[50:51]
	v_fma_f64 v[48:49], v[8:9], v[30:31], v[48:49]
	v_fma_f64 v[54:55], v[6:7], v[30:31], -v[32:33]
	scratch_load_b128 v[30:33], off, off offset:560
	ds_load_b128 v[6:9], v1 offset:1360
	s_waitcnt vmcnt(9) lgkmcnt(1)
	v_mul_f64 v[50:51], v[2:3], v[36:37]
	v_mul_f64 v[36:37], v[4:5], v[36:37]
	v_add_f64 v[44:45], v[44:45], v[56:57]
	v_add_f64 v[46:47], v[46:47], v[52:53]
	s_waitcnt vmcnt(8) lgkmcnt(0)
	v_mul_f64 v[52:53], v[6:7], v[177:178]
	v_mul_f64 v[56:57], v[8:9], v[177:178]
	v_fma_f64 v[50:51], v[4:5], v[34:35], v[50:51]
	v_fma_f64 v[58:59], v[2:3], v[34:35], -v[36:37]
	ds_load_b128 v[2:5], v1 offset:1376
	scratch_load_b128 v[34:37], off, off offset:576
	v_add_f64 v[44:45], v[44:45], v[54:55]
	v_add_f64 v[46:47], v[46:47], v[48:49]
	v_fma_f64 v[52:53], v[8:9], v[175:176], v[52:53]
	v_fma_f64 v[54:55], v[6:7], v[175:176], -v[56:57]
	scratch_load_b128 v[175:178], off, off offset:592
	ds_load_b128 v[6:9], v1 offset:1392
	s_waitcnt vmcnt(9) lgkmcnt(1)
	v_mul_f64 v[48:49], v[2:3], v[40:41]
	v_mul_f64 v[40:41], v[4:5], v[40:41]
	s_waitcnt vmcnt(8) lgkmcnt(0)
	v_mul_f64 v[56:57], v[8:9], v[173:174]
	v_add_f64 v[44:45], v[44:45], v[58:59]
	v_add_f64 v[46:47], v[46:47], v[50:51]
	v_mul_f64 v[50:51], v[6:7], v[173:174]
	v_fma_f64 v[48:49], v[4:5], v[38:39], v[48:49]
	v_fma_f64 v[58:59], v[2:3], v[38:39], -v[40:41]
	ds_load_b128 v[2:5], v1 offset:1408
	scratch_load_b128 v[38:41], off, off offset:608
	v_add_f64 v[44:45], v[44:45], v[54:55]
	v_add_f64 v[46:47], v[46:47], v[52:53]
	v_fma_f64 v[50:51], v[8:9], v[171:172], v[50:51]
	v_fma_f64 v[54:55], v[6:7], v[171:172], -v[56:57]
	scratch_load_b128 v[171:174], off, off offset:624
	ds_load_b128 v[6:9], v1 offset:1424
	s_waitcnt vmcnt(9) lgkmcnt(1)
	v_mul_f64 v[52:53], v[2:3], v[12:13]
	v_mul_f64 v[12:13], v[4:5], v[12:13]
	v_add_f64 v[44:45], v[44:45], v[58:59]
	v_add_f64 v[46:47], v[46:47], v[48:49]
	s_waitcnt vmcnt(8) lgkmcnt(0)
	v_mul_f64 v[48:49], v[6:7], v[16:17]
	v_mul_f64 v[16:17], v[8:9], v[16:17]
	v_fma_f64 v[52:53], v[4:5], v[10:11], v[52:53]
	v_fma_f64 v[56:57], v[2:3], v[10:11], -v[12:13]
	scratch_load_b128 v[10:13], off, off offset:640
	ds_load_b128 v[2:5], v1 offset:1440
	v_add_f64 v[44:45], v[44:45], v[54:55]
	v_add_f64 v[46:47], v[46:47], v[50:51]
	v_fma_f64 v[48:49], v[8:9], v[14:15], v[48:49]
	v_fma_f64 v[54:55], v[6:7], v[14:15], -v[16:17]
	ds_load_b128 v[6:9], v1 offset:1456
	s_waitcnt vmcnt(8) lgkmcnt(1)
	v_mul_f64 v[50:51], v[2:3], v[20:21]
	v_mul_f64 v[20:21], v[4:5], v[20:21]
	scratch_load_b128 v[14:17], off, off offset:656
	v_add_f64 v[44:45], v[44:45], v[56:57]
	v_add_f64 v[46:47], v[46:47], v[52:53]
	s_waitcnt vmcnt(8) lgkmcnt(0)
	v_mul_f64 v[52:53], v[6:7], v[24:25]
	v_mul_f64 v[24:25], v[8:9], v[24:25]
	v_fma_f64 v[50:51], v[4:5], v[18:19], v[50:51]
	v_fma_f64 v[56:57], v[2:3], v[18:19], -v[20:21]
	ds_load_b128 v[2:5], v1 offset:1472
	scratch_load_b128 v[18:21], off, off offset:672
	v_add_f64 v[44:45], v[44:45], v[54:55]
	v_add_f64 v[46:47], v[46:47], v[48:49]
	v_fma_f64 v[52:53], v[8:9], v[22:23], v[52:53]
	v_fma_f64 v[54:55], v[6:7], v[22:23], -v[24:25]
	scratch_load_b128 v[22:25], off, off offset:688
	ds_load_b128 v[6:9], v1 offset:1488
	s_waitcnt vmcnt(9) lgkmcnt(1)
	v_mul_f64 v[48:49], v[2:3], v[28:29]
	v_mul_f64 v[28:29], v[4:5], v[28:29]
	v_add_f64 v[44:45], v[44:45], v[56:57]
	v_add_f64 v[46:47], v[46:47], v[50:51]
	s_waitcnt vmcnt(8) lgkmcnt(0)
	v_mul_f64 v[50:51], v[6:7], v[32:33]
	v_mul_f64 v[32:33], v[8:9], v[32:33]
	v_fma_f64 v[48:49], v[4:5], v[26:27], v[48:49]
	v_fma_f64 v[56:57], v[2:3], v[26:27], -v[28:29]
	ds_load_b128 v[2:5], v1 offset:1504
	scratch_load_b128 v[26:29], off, off offset:704
	v_add_f64 v[44:45], v[44:45], v[54:55]
	v_add_f64 v[46:47], v[46:47], v[52:53]
	v_fma_f64 v[50:51], v[8:9], v[30:31], v[50:51]
	v_fma_f64 v[54:55], v[6:7], v[30:31], -v[32:33]
	scratch_load_b128 v[30:33], off, off offset:720
	ds_load_b128 v[6:9], v1 offset:1520
	s_waitcnt vmcnt(9) lgkmcnt(1)
	v_mul_f64 v[52:53], v[2:3], v[36:37]
	v_mul_f64 v[36:37], v[4:5], v[36:37]
	;; [unrolled: 18-line block ×3, first 2 shown]
	s_waitcnt vmcnt(8) lgkmcnt(0)
	v_mul_f64 v[56:57], v[8:9], v[173:174]
	v_add_f64 v[44:45], v[44:45], v[58:59]
	v_add_f64 v[46:47], v[46:47], v[52:53]
	v_mul_f64 v[52:53], v[6:7], v[173:174]
	v_fma_f64 v[50:51], v[4:5], v[38:39], v[50:51]
	v_fma_f64 v[58:59], v[2:3], v[38:39], -v[40:41]
	ds_load_b128 v[2:5], v1 offset:1568
	scratch_load_b128 v[38:41], off, off offset:768
	v_add_f64 v[44:45], v[44:45], v[54:55]
	v_add_f64 v[46:47], v[46:47], v[48:49]
	v_fma_f64 v[52:53], v[8:9], v[171:172], v[52:53]
	v_fma_f64 v[54:55], v[6:7], v[171:172], -v[56:57]
	ds_load_b128 v[6:9], v1 offset:1584
	s_waitcnt vmcnt(8) lgkmcnt(1)
	v_mul_f64 v[48:49], v[2:3], v[12:13]
	v_mul_f64 v[12:13], v[4:5], v[12:13]
	scratch_load_b128 v[171:174], off, off offset:784
	v_add_f64 v[44:45], v[44:45], v[58:59]
	v_add_f64 v[46:47], v[46:47], v[50:51]
	s_waitcnt vmcnt(8) lgkmcnt(0)
	v_mul_f64 v[50:51], v[6:7], v[16:17]
	v_mul_f64 v[16:17], v[8:9], v[16:17]
	v_fma_f64 v[48:49], v[4:5], v[10:11], v[48:49]
	v_fma_f64 v[56:57], v[2:3], v[10:11], -v[12:13]
	scratch_load_b128 v[10:13], off, off offset:800
	ds_load_b128 v[2:5], v1 offset:1600
	v_add_f64 v[44:45], v[44:45], v[54:55]
	v_add_f64 v[46:47], v[46:47], v[52:53]
	v_fma_f64 v[50:51], v[8:9], v[14:15], v[50:51]
	v_fma_f64 v[54:55], v[6:7], v[14:15], -v[16:17]
	ds_load_b128 v[6:9], v1 offset:1616
	s_waitcnt vmcnt(8) lgkmcnt(1)
	v_mul_f64 v[52:53], v[2:3], v[20:21]
	v_mul_f64 v[20:21], v[4:5], v[20:21]
	scratch_load_b128 v[14:17], off, off offset:816
	v_add_f64 v[44:45], v[44:45], v[56:57]
	v_add_f64 v[46:47], v[46:47], v[48:49]
	s_waitcnt vmcnt(8) lgkmcnt(0)
	v_mul_f64 v[48:49], v[6:7], v[24:25]
	v_mul_f64 v[24:25], v[8:9], v[24:25]
	v_fma_f64 v[52:53], v[4:5], v[18:19], v[52:53]
	v_fma_f64 v[56:57], v[2:3], v[18:19], -v[20:21]
	scratch_load_b128 v[18:21], off, off offset:832
	ds_load_b128 v[2:5], v1 offset:1632
	;; [unrolled: 18-line block ×4, first 2 shown]
	v_add_f64 v[44:45], v[44:45], v[54:55]
	v_add_f64 v[46:47], v[46:47], v[52:53]
	v_fma_f64 v[50:51], v[8:9], v[175:176], v[50:51]
	v_fma_f64 v[54:55], v[6:7], v[175:176], -v[56:57]
	ds_load_b128 v[6:9], v1 offset:1712
	s_waitcnt vmcnt(8) lgkmcnt(1)
	v_mul_f64 v[52:53], v[2:3], v[40:41]
	v_mul_f64 v[40:41], v[4:5], v[40:41]
	scratch_load_b128 v[175:178], off, off offset:912
	v_add_f64 v[44:45], v[44:45], v[58:59]
	v_add_f64 v[46:47], v[46:47], v[48:49]
	v_fma_f64 v[52:53], v[4:5], v[38:39], v[52:53]
	v_fma_f64 v[38:39], v[2:3], v[38:39], -v[40:41]
	ds_load_b128 v[2:5], v1 offset:1728
	v_add_f64 v[40:41], v[44:45], v[54:55]
	v_add_f64 v[44:45], v[46:47], v[50:51]
	s_waitcnt vmcnt(7) lgkmcnt(0)
	v_mul_f64 v[46:47], v[2:3], v[12:13]
	v_mul_f64 v[12:13], v[4:5], v[12:13]
	s_delay_alu instid0(VALU_DEP_4) | instskip(NEXT) | instid1(VALU_DEP_4)
	v_add_f64 v[38:39], v[40:41], v[38:39]
	v_add_f64 v[40:41], v[44:45], v[52:53]
	s_delay_alu instid0(VALU_DEP_4) | instskip(NEXT) | instid1(VALU_DEP_4)
	v_fma_f64 v[46:47], v[4:5], v[10:11], v[46:47]
	v_fma_f64 v[52:53], v[2:3], v[10:11], -v[12:13]
	scratch_load_b128 v[10:13], off, off offset:272
	v_mul_f64 v[48:49], v[6:7], v[173:174]
	v_mul_f64 v[56:57], v[8:9], v[173:174]
	ds_load_b128 v[2:5], v1 offset:1760
	v_fma_f64 v[48:49], v[8:9], v[171:172], v[48:49]
	v_fma_f64 v[50:51], v[6:7], v[171:172], -v[56:57]
	ds_load_b128 v[6:9], v1 offset:1744
	s_waitcnt vmcnt(7) lgkmcnt(0)
	v_mul_f64 v[44:45], v[6:7], v[16:17]
	v_mul_f64 v[16:17], v[8:9], v[16:17]
	v_add_f64 v[40:41], v[40:41], v[48:49]
	v_add_f64 v[38:39], v[38:39], v[50:51]
	s_waitcnt vmcnt(6)
	v_mul_f64 v[48:49], v[2:3], v[20:21]
	v_mul_f64 v[20:21], v[4:5], v[20:21]
	v_fma_f64 v[44:45], v[8:9], v[14:15], v[44:45]
	v_fma_f64 v[14:15], v[6:7], v[14:15], -v[16:17]
	ds_load_b128 v[6:9], v1 offset:1776
	v_add_f64 v[16:17], v[38:39], v[52:53]
	v_add_f64 v[38:39], v[40:41], v[46:47]
	v_fma_f64 v[46:47], v[4:5], v[18:19], v[48:49]
	v_fma_f64 v[18:19], v[2:3], v[18:19], -v[20:21]
	ds_load_b128 v[2:5], v1 offset:1792
	s_waitcnt vmcnt(5) lgkmcnt(1)
	v_mul_f64 v[40:41], v[6:7], v[24:25]
	v_mul_f64 v[24:25], v[8:9], v[24:25]
	s_waitcnt vmcnt(4) lgkmcnt(0)
	v_mul_f64 v[20:21], v[2:3], v[28:29]
	v_mul_f64 v[28:29], v[4:5], v[28:29]
	v_add_f64 v[14:15], v[16:17], v[14:15]
	v_add_f64 v[16:17], v[38:39], v[44:45]
	v_fma_f64 v[38:39], v[8:9], v[22:23], v[40:41]
	v_fma_f64 v[22:23], v[6:7], v[22:23], -v[24:25]
	ds_load_b128 v[6:9], v1 offset:1808
	v_fma_f64 v[20:21], v[4:5], v[26:27], v[20:21]
	v_fma_f64 v[26:27], v[2:3], v[26:27], -v[28:29]
	ds_load_b128 v[2:5], v1 offset:1824
	s_waitcnt vmcnt(3) lgkmcnt(1)
	v_mul_f64 v[24:25], v[8:9], v[32:33]
	v_add_f64 v[14:15], v[14:15], v[18:19]
	v_add_f64 v[16:17], v[16:17], v[46:47]
	v_mul_f64 v[18:19], v[6:7], v[32:33]
	s_waitcnt vmcnt(2) lgkmcnt(0)
	v_mul_f64 v[28:29], v[4:5], v[36:37]
	v_fma_f64 v[24:25], v[6:7], v[30:31], -v[24:25]
	v_add_f64 v[14:15], v[14:15], v[22:23]
	v_add_f64 v[16:17], v[16:17], v[38:39]
	v_mul_f64 v[22:23], v[2:3], v[36:37]
	v_fma_f64 v[18:19], v[8:9], v[30:31], v[18:19]
	ds_load_b128 v[6:9], v1 offset:1840
	v_fma_f64 v[1:2], v[2:3], v[34:35], -v[28:29]
	v_add_f64 v[14:15], v[14:15], v[26:27]
	v_add_f64 v[16:17], v[16:17], v[20:21]
	s_waitcnt vmcnt(1) lgkmcnt(0)
	v_mul_f64 v[20:21], v[6:7], v[177:178]
	v_mul_f64 v[26:27], v[8:9], v[177:178]
	v_fma_f64 v[4:5], v[4:5], v[34:35], v[22:23]
	v_add_f64 v[14:15], v[14:15], v[24:25]
	v_add_f64 v[16:17], v[16:17], v[18:19]
	v_fma_f64 v[8:9], v[8:9], v[175:176], v[20:21]
	v_fma_f64 v[6:7], v[6:7], v[175:176], -v[26:27]
	s_delay_alu instid0(VALU_DEP_4) | instskip(NEXT) | instid1(VALU_DEP_4)
	v_add_f64 v[1:2], v[14:15], v[1:2]
	v_add_f64 v[3:4], v[16:17], v[4:5]
	s_delay_alu instid0(VALU_DEP_2) | instskip(NEXT) | instid1(VALU_DEP_2)
	v_add_f64 v[1:2], v[1:2], v[6:7]
	v_add_f64 v[3:4], v[3:4], v[8:9]
	s_waitcnt vmcnt(0)
	s_delay_alu instid0(VALU_DEP_2) | instskip(NEXT) | instid1(VALU_DEP_2)
	v_add_f64 v[1:2], v[10:11], -v[1:2]
	v_add_f64 v[3:4], v[12:13], -v[3:4]
	scratch_store_b128 off, v[1:4], off offset:272
	v_cmpx_lt_u32_e32 16, v158
	s_cbranch_execz .LBB121_329
; %bb.328:
	scratch_load_b128 v[1:4], v200, off
	v_mov_b32_e32 v5, 0
	s_delay_alu instid0(VALU_DEP_1)
	v_mov_b32_e32 v6, v5
	v_mov_b32_e32 v7, v5
	;; [unrolled: 1-line block ×3, first 2 shown]
	scratch_store_b128 off, v[5:8], off offset:256
	s_waitcnt vmcnt(0)
	ds_store_b128 v216, v[1:4]
.LBB121_329:
	s_or_b32 exec_lo, exec_lo, s2
	s_waitcnt lgkmcnt(0)
	s_waitcnt_vscnt null, 0x0
	s_barrier
	buffer_gl0_inv
	s_clause 0x7
	scratch_load_b128 v[2:5], off, off offset:272
	scratch_load_b128 v[6:9], off, off offset:288
	;; [unrolled: 1-line block ×8, first 2 shown]
	v_mov_b32_e32 v1, 0
	s_clause 0x1
	scratch_load_b128 v[34:37], off, off offset:400
	scratch_load_b128 v[175:178], off, off offset:416
	s_mov_b32 s2, exec_lo
	ds_load_b128 v[38:41], v1 offset:1200
	ds_load_b128 v[171:174], v1 offset:1216
	s_waitcnt vmcnt(9) lgkmcnt(1)
	v_mul_f64 v[44:45], v[40:41], v[4:5]
	v_mul_f64 v[4:5], v[38:39], v[4:5]
	s_waitcnt vmcnt(8) lgkmcnt(0)
	v_mul_f64 v[46:47], v[171:172], v[8:9]
	v_mul_f64 v[8:9], v[173:174], v[8:9]
	s_delay_alu instid0(VALU_DEP_4) | instskip(NEXT) | instid1(VALU_DEP_4)
	v_fma_f64 v[44:45], v[38:39], v[2:3], -v[44:45]
	v_fma_f64 v[48:49], v[40:41], v[2:3], v[4:5]
	ds_load_b128 v[2:5], v1 offset:1232
	scratch_load_b128 v[38:41], off, off offset:432
	v_fma_f64 v[46:47], v[173:174], v[6:7], v[46:47]
	v_fma_f64 v[52:53], v[171:172], v[6:7], -v[8:9]
	scratch_load_b128 v[171:174], off, off offset:448
	ds_load_b128 v[6:9], v1 offset:1248
	s_waitcnt vmcnt(9) lgkmcnt(1)
	v_mul_f64 v[50:51], v[2:3], v[12:13]
	v_mul_f64 v[12:13], v[4:5], v[12:13]
	s_waitcnt vmcnt(8) lgkmcnt(0)
	v_mul_f64 v[54:55], v[6:7], v[16:17]
	v_mul_f64 v[16:17], v[8:9], v[16:17]
	v_add_f64 v[44:45], v[44:45], 0
	v_add_f64 v[48:49], v[48:49], 0
	v_fma_f64 v[50:51], v[4:5], v[10:11], v[50:51]
	v_fma_f64 v[56:57], v[2:3], v[10:11], -v[12:13]
	ds_load_b128 v[2:5], v1 offset:1264
	scratch_load_b128 v[10:13], off, off offset:464
	v_add_f64 v[44:45], v[44:45], v[52:53]
	v_add_f64 v[46:47], v[48:49], v[46:47]
	v_fma_f64 v[52:53], v[8:9], v[14:15], v[54:55]
	v_fma_f64 v[54:55], v[6:7], v[14:15], -v[16:17]
	scratch_load_b128 v[14:17], off, off offset:480
	ds_load_b128 v[6:9], v1 offset:1280
	s_waitcnt vmcnt(9) lgkmcnt(1)
	v_mul_f64 v[48:49], v[2:3], v[20:21]
	v_mul_f64 v[20:21], v[4:5], v[20:21]
	v_add_f64 v[44:45], v[44:45], v[56:57]
	v_add_f64 v[46:47], v[46:47], v[50:51]
	s_waitcnt vmcnt(8) lgkmcnt(0)
	v_mul_f64 v[50:51], v[6:7], v[24:25]
	v_mul_f64 v[24:25], v[8:9], v[24:25]
	v_fma_f64 v[48:49], v[4:5], v[18:19], v[48:49]
	v_fma_f64 v[56:57], v[2:3], v[18:19], -v[20:21]
	ds_load_b128 v[2:5], v1 offset:1296
	scratch_load_b128 v[18:21], off, off offset:496
	v_add_f64 v[44:45], v[44:45], v[54:55]
	v_add_f64 v[46:47], v[46:47], v[52:53]
	v_fma_f64 v[50:51], v[8:9], v[22:23], v[50:51]
	v_fma_f64 v[54:55], v[6:7], v[22:23], -v[24:25]
	scratch_load_b128 v[22:25], off, off offset:512
	ds_load_b128 v[6:9], v1 offset:1312
	s_waitcnt vmcnt(9) lgkmcnt(1)
	v_mul_f64 v[52:53], v[2:3], v[28:29]
	v_mul_f64 v[28:29], v[4:5], v[28:29]
	v_add_f64 v[44:45], v[44:45], v[56:57]
	v_add_f64 v[46:47], v[46:47], v[48:49]
	s_waitcnt vmcnt(8) lgkmcnt(0)
	v_mul_f64 v[48:49], v[6:7], v[32:33]
	v_mul_f64 v[32:33], v[8:9], v[32:33]
	;; [unrolled: 18-line block ×3, first 2 shown]
	v_fma_f64 v[50:51], v[4:5], v[34:35], v[50:51]
	v_fma_f64 v[58:59], v[2:3], v[34:35], -v[36:37]
	ds_load_b128 v[2:5], v1 offset:1360
	scratch_load_b128 v[34:37], off, off offset:560
	v_add_f64 v[44:45], v[44:45], v[54:55]
	v_add_f64 v[46:47], v[46:47], v[48:49]
	v_fma_f64 v[52:53], v[8:9], v[175:176], v[52:53]
	v_fma_f64 v[54:55], v[6:7], v[175:176], -v[56:57]
	scratch_load_b128 v[175:178], off, off offset:576
	ds_load_b128 v[6:9], v1 offset:1376
	s_waitcnt vmcnt(9) lgkmcnt(1)
	v_mul_f64 v[48:49], v[2:3], v[40:41]
	v_mul_f64 v[40:41], v[4:5], v[40:41]
	s_waitcnt vmcnt(8) lgkmcnt(0)
	v_mul_f64 v[56:57], v[8:9], v[173:174]
	v_add_f64 v[44:45], v[44:45], v[58:59]
	v_add_f64 v[46:47], v[46:47], v[50:51]
	v_mul_f64 v[50:51], v[6:7], v[173:174]
	v_fma_f64 v[48:49], v[4:5], v[38:39], v[48:49]
	v_fma_f64 v[58:59], v[2:3], v[38:39], -v[40:41]
	ds_load_b128 v[2:5], v1 offset:1392
	scratch_load_b128 v[38:41], off, off offset:592
	v_add_f64 v[44:45], v[44:45], v[54:55]
	v_add_f64 v[46:47], v[46:47], v[52:53]
	v_fma_f64 v[50:51], v[8:9], v[171:172], v[50:51]
	v_fma_f64 v[54:55], v[6:7], v[171:172], -v[56:57]
	scratch_load_b128 v[171:174], off, off offset:608
	ds_load_b128 v[6:9], v1 offset:1408
	s_waitcnt vmcnt(9) lgkmcnt(1)
	v_mul_f64 v[52:53], v[2:3], v[12:13]
	v_mul_f64 v[12:13], v[4:5], v[12:13]
	v_add_f64 v[44:45], v[44:45], v[58:59]
	v_add_f64 v[46:47], v[46:47], v[48:49]
	s_waitcnt vmcnt(8) lgkmcnt(0)
	v_mul_f64 v[48:49], v[6:7], v[16:17]
	v_mul_f64 v[16:17], v[8:9], v[16:17]
	v_fma_f64 v[52:53], v[4:5], v[10:11], v[52:53]
	v_fma_f64 v[56:57], v[2:3], v[10:11], -v[12:13]
	ds_load_b128 v[2:5], v1 offset:1424
	scratch_load_b128 v[10:13], off, off offset:624
	v_add_f64 v[44:45], v[44:45], v[54:55]
	v_add_f64 v[46:47], v[46:47], v[50:51]
	v_fma_f64 v[48:49], v[8:9], v[14:15], v[48:49]
	v_fma_f64 v[54:55], v[6:7], v[14:15], -v[16:17]
	scratch_load_b128 v[14:17], off, off offset:640
	ds_load_b128 v[6:9], v1 offset:1440
	s_waitcnt vmcnt(9) lgkmcnt(1)
	v_mul_f64 v[50:51], v[2:3], v[20:21]
	v_mul_f64 v[20:21], v[4:5], v[20:21]
	v_add_f64 v[44:45], v[44:45], v[56:57]
	v_add_f64 v[46:47], v[46:47], v[52:53]
	s_waitcnt vmcnt(8) lgkmcnt(0)
	v_mul_f64 v[52:53], v[6:7], v[24:25]
	;; [unrolled: 18-line block ×4, first 2 shown]
	v_mul_f64 v[56:57], v[8:9], v[177:178]
	v_fma_f64 v[52:53], v[4:5], v[34:35], v[52:53]
	v_fma_f64 v[58:59], v[2:3], v[34:35], -v[36:37]
	ds_load_b128 v[2:5], v1 offset:1520
	scratch_load_b128 v[34:37], off, off offset:720
	v_add_f64 v[44:45], v[44:45], v[54:55]
	v_add_f64 v[46:47], v[46:47], v[50:51]
	v_fma_f64 v[48:49], v[8:9], v[175:176], v[48:49]
	v_fma_f64 v[54:55], v[6:7], v[175:176], -v[56:57]
	scratch_load_b128 v[175:178], off, off offset:736
	ds_load_b128 v[6:9], v1 offset:1536
	s_waitcnt vmcnt(9) lgkmcnt(1)
	v_mul_f64 v[50:51], v[2:3], v[40:41]
	v_mul_f64 v[40:41], v[4:5], v[40:41]
	s_waitcnt vmcnt(8) lgkmcnt(0)
	v_mul_f64 v[56:57], v[8:9], v[173:174]
	v_add_f64 v[44:45], v[44:45], v[58:59]
	v_add_f64 v[46:47], v[46:47], v[52:53]
	v_mul_f64 v[52:53], v[6:7], v[173:174]
	v_fma_f64 v[50:51], v[4:5], v[38:39], v[50:51]
	v_fma_f64 v[58:59], v[2:3], v[38:39], -v[40:41]
	ds_load_b128 v[2:5], v1 offset:1552
	scratch_load_b128 v[38:41], off, off offset:752
	v_add_f64 v[44:45], v[44:45], v[54:55]
	v_add_f64 v[46:47], v[46:47], v[48:49]
	v_fma_f64 v[52:53], v[8:9], v[171:172], v[52:53]
	v_fma_f64 v[54:55], v[6:7], v[171:172], -v[56:57]
	scratch_load_b128 v[171:174], off, off offset:768
	ds_load_b128 v[6:9], v1 offset:1568
	s_waitcnt vmcnt(9) lgkmcnt(1)
	v_mul_f64 v[48:49], v[2:3], v[12:13]
	v_mul_f64 v[12:13], v[4:5], v[12:13]
	v_add_f64 v[44:45], v[44:45], v[58:59]
	v_add_f64 v[46:47], v[46:47], v[50:51]
	s_waitcnt vmcnt(8) lgkmcnt(0)
	v_mul_f64 v[50:51], v[6:7], v[16:17]
	v_mul_f64 v[16:17], v[8:9], v[16:17]
	v_fma_f64 v[48:49], v[4:5], v[10:11], v[48:49]
	v_fma_f64 v[56:57], v[2:3], v[10:11], -v[12:13]
	ds_load_b128 v[2:5], v1 offset:1584
	scratch_load_b128 v[10:13], off, off offset:784
	v_add_f64 v[44:45], v[44:45], v[54:55]
	v_add_f64 v[46:47], v[46:47], v[52:53]
	v_fma_f64 v[50:51], v[8:9], v[14:15], v[50:51]
	v_fma_f64 v[54:55], v[6:7], v[14:15], -v[16:17]
	scratch_load_b128 v[14:17], off, off offset:800
	ds_load_b128 v[6:9], v1 offset:1600
	s_waitcnt vmcnt(9) lgkmcnt(1)
	v_mul_f64 v[52:53], v[2:3], v[20:21]
	v_mul_f64 v[20:21], v[4:5], v[20:21]
	v_add_f64 v[44:45], v[44:45], v[56:57]
	v_add_f64 v[46:47], v[46:47], v[48:49]
	s_waitcnt vmcnt(8) lgkmcnt(0)
	v_mul_f64 v[48:49], v[6:7], v[24:25]
	v_mul_f64 v[24:25], v[8:9], v[24:25]
	v_fma_f64 v[52:53], v[4:5], v[18:19], v[52:53]
	v_fma_f64 v[56:57], v[2:3], v[18:19], -v[20:21]
	ds_load_b128 v[2:5], v1 offset:1616
	scratch_load_b128 v[18:21], off, off offset:816
	v_add_f64 v[44:45], v[44:45], v[54:55]
	v_add_f64 v[46:47], v[46:47], v[50:51]
	v_fma_f64 v[48:49], v[8:9], v[22:23], v[48:49]
	v_fma_f64 v[54:55], v[6:7], v[22:23], -v[24:25]
	ds_load_b128 v[6:9], v1 offset:1632
	s_waitcnt vmcnt(8) lgkmcnt(1)
	v_mul_f64 v[50:51], v[2:3], v[28:29]
	v_mul_f64 v[28:29], v[4:5], v[28:29]
	scratch_load_b128 v[22:25], off, off offset:832
	v_add_f64 v[44:45], v[44:45], v[56:57]
	v_add_f64 v[46:47], v[46:47], v[52:53]
	s_waitcnt vmcnt(8) lgkmcnt(0)
	v_mul_f64 v[52:53], v[6:7], v[32:33]
	v_mul_f64 v[32:33], v[8:9], v[32:33]
	v_fma_f64 v[50:51], v[4:5], v[26:27], v[50:51]
	v_fma_f64 v[56:57], v[2:3], v[26:27], -v[28:29]
	scratch_load_b128 v[26:29], off, off offset:848
	ds_load_b128 v[2:5], v1 offset:1648
	v_add_f64 v[44:45], v[44:45], v[54:55]
	v_add_f64 v[46:47], v[46:47], v[48:49]
	v_fma_f64 v[52:53], v[8:9], v[30:31], v[52:53]
	v_fma_f64 v[54:55], v[6:7], v[30:31], -v[32:33]
	ds_load_b128 v[6:9], v1 offset:1664
	s_waitcnt vmcnt(8) lgkmcnt(1)
	v_mul_f64 v[48:49], v[2:3], v[36:37]
	v_mul_f64 v[36:37], v[4:5], v[36:37]
	scratch_load_b128 v[30:33], off, off offset:864
	v_add_f64 v[44:45], v[44:45], v[56:57]
	v_add_f64 v[46:47], v[46:47], v[50:51]
	s_waitcnt vmcnt(8) lgkmcnt(0)
	v_mul_f64 v[50:51], v[6:7], v[177:178]
	v_mul_f64 v[56:57], v[8:9], v[177:178]
	v_fma_f64 v[48:49], v[4:5], v[34:35], v[48:49]
	v_fma_f64 v[58:59], v[2:3], v[34:35], -v[36:37]
	scratch_load_b128 v[34:37], off, off offset:880
	ds_load_b128 v[2:5], v1 offset:1680
	v_add_f64 v[44:45], v[44:45], v[54:55]
	v_add_f64 v[46:47], v[46:47], v[52:53]
	v_fma_f64 v[50:51], v[8:9], v[175:176], v[50:51]
	v_fma_f64 v[54:55], v[6:7], v[175:176], -v[56:57]
	ds_load_b128 v[6:9], v1 offset:1696
	s_waitcnt vmcnt(8) lgkmcnt(1)
	v_mul_f64 v[52:53], v[2:3], v[40:41]
	v_mul_f64 v[40:41], v[4:5], v[40:41]
	scratch_load_b128 v[175:178], off, off offset:896
	s_waitcnt vmcnt(8) lgkmcnt(0)
	v_mul_f64 v[56:57], v[8:9], v[173:174]
	v_add_f64 v[44:45], v[44:45], v[58:59]
	v_add_f64 v[46:47], v[46:47], v[48:49]
	v_mul_f64 v[48:49], v[6:7], v[173:174]
	v_fma_f64 v[52:53], v[4:5], v[38:39], v[52:53]
	v_fma_f64 v[58:59], v[2:3], v[38:39], -v[40:41]
	scratch_load_b128 v[38:41], off, off offset:912
	ds_load_b128 v[2:5], v1 offset:1712
	v_add_f64 v[44:45], v[44:45], v[54:55]
	v_add_f64 v[46:47], v[46:47], v[50:51]
	v_fma_f64 v[48:49], v[8:9], v[171:172], v[48:49]
	v_fma_f64 v[54:55], v[6:7], v[171:172], -v[56:57]
	ds_load_b128 v[6:9], v1 offset:1728
	s_waitcnt vmcnt(8) lgkmcnt(1)
	v_mul_f64 v[50:51], v[2:3], v[12:13]
	v_mul_f64 v[12:13], v[4:5], v[12:13]
	v_add_f64 v[44:45], v[44:45], v[58:59]
	v_add_f64 v[46:47], v[46:47], v[52:53]
	s_waitcnt vmcnt(7) lgkmcnt(0)
	v_mul_f64 v[52:53], v[6:7], v[16:17]
	v_mul_f64 v[16:17], v[8:9], v[16:17]
	v_fma_f64 v[50:51], v[4:5], v[10:11], v[50:51]
	v_fma_f64 v[10:11], v[2:3], v[10:11], -v[12:13]
	ds_load_b128 v[2:5], v1 offset:1744
	v_add_f64 v[12:13], v[44:45], v[54:55]
	v_add_f64 v[44:45], v[46:47], v[48:49]
	v_fma_f64 v[48:49], v[8:9], v[14:15], v[52:53]
	v_fma_f64 v[14:15], v[6:7], v[14:15], -v[16:17]
	ds_load_b128 v[6:9], v1 offset:1760
	v_add_f64 v[16:17], v[12:13], v[10:11]
	v_add_f64 v[44:45], v[44:45], v[50:51]
	scratch_load_b128 v[10:13], off, off offset:256
	s_waitcnt vmcnt(7) lgkmcnt(1)
	v_mul_f64 v[46:47], v[2:3], v[20:21]
	v_mul_f64 v[20:21], v[4:5], v[20:21]
	s_waitcnt vmcnt(6) lgkmcnt(0)
	v_mul_f64 v[50:51], v[6:7], v[24:25]
	v_mul_f64 v[24:25], v[8:9], v[24:25]
	v_add_f64 v[14:15], v[16:17], v[14:15]
	v_add_f64 v[16:17], v[44:45], v[48:49]
	v_fma_f64 v[46:47], v[4:5], v[18:19], v[46:47]
	v_fma_f64 v[18:19], v[2:3], v[18:19], -v[20:21]
	ds_load_b128 v[2:5], v1 offset:1776
	v_fma_f64 v[44:45], v[8:9], v[22:23], v[50:51]
	v_fma_f64 v[22:23], v[6:7], v[22:23], -v[24:25]
	ds_load_b128 v[6:9], v1 offset:1792
	s_waitcnt vmcnt(5) lgkmcnt(1)
	v_mul_f64 v[20:21], v[2:3], v[28:29]
	v_mul_f64 v[28:29], v[4:5], v[28:29]
	s_waitcnt vmcnt(4) lgkmcnt(0)
	v_mul_f64 v[24:25], v[8:9], v[32:33]
	v_add_f64 v[16:17], v[16:17], v[46:47]
	v_add_f64 v[14:15], v[14:15], v[18:19]
	v_mul_f64 v[18:19], v[6:7], v[32:33]
	v_fma_f64 v[20:21], v[4:5], v[26:27], v[20:21]
	v_fma_f64 v[26:27], v[2:3], v[26:27], -v[28:29]
	ds_load_b128 v[2:5], v1 offset:1808
	v_fma_f64 v[24:25], v[6:7], v[30:31], -v[24:25]
	v_add_f64 v[16:17], v[16:17], v[44:45]
	v_add_f64 v[14:15], v[14:15], v[22:23]
	v_fma_f64 v[18:19], v[8:9], v[30:31], v[18:19]
	ds_load_b128 v[6:9], v1 offset:1824
	s_waitcnt vmcnt(3) lgkmcnt(1)
	v_mul_f64 v[22:23], v[2:3], v[36:37]
	v_mul_f64 v[28:29], v[4:5], v[36:37]
	v_add_f64 v[16:17], v[16:17], v[20:21]
	v_add_f64 v[14:15], v[14:15], v[26:27]
	s_waitcnt vmcnt(2) lgkmcnt(0)
	v_mul_f64 v[20:21], v[6:7], v[177:178]
	v_mul_f64 v[26:27], v[8:9], v[177:178]
	v_fma_f64 v[22:23], v[4:5], v[34:35], v[22:23]
	v_fma_f64 v[28:29], v[2:3], v[34:35], -v[28:29]
	ds_load_b128 v[2:5], v1 offset:1840
	v_add_f64 v[16:17], v[16:17], v[18:19]
	v_add_f64 v[14:15], v[14:15], v[24:25]
	s_waitcnt vmcnt(1) lgkmcnt(0)
	v_mul_f64 v[18:19], v[2:3], v[40:41]
	v_mul_f64 v[24:25], v[4:5], v[40:41]
	v_fma_f64 v[8:9], v[8:9], v[175:176], v[20:21]
	v_fma_f64 v[6:7], v[6:7], v[175:176], -v[26:27]
	v_add_f64 v[16:17], v[16:17], v[22:23]
	v_add_f64 v[14:15], v[14:15], v[28:29]
	v_fma_f64 v[4:5], v[4:5], v[38:39], v[18:19]
	v_fma_f64 v[2:3], v[2:3], v[38:39], -v[24:25]
	s_delay_alu instid0(VALU_DEP_4) | instskip(NEXT) | instid1(VALU_DEP_4)
	v_add_f64 v[8:9], v[16:17], v[8:9]
	v_add_f64 v[6:7], v[14:15], v[6:7]
	s_delay_alu instid0(VALU_DEP_2) | instskip(NEXT) | instid1(VALU_DEP_2)
	v_add_f64 v[4:5], v[8:9], v[4:5]
	v_add_f64 v[2:3], v[6:7], v[2:3]
	s_waitcnt vmcnt(0)
	s_delay_alu instid0(VALU_DEP_2) | instskip(NEXT) | instid1(VALU_DEP_2)
	v_add_f64 v[4:5], v[12:13], -v[4:5]
	v_add_f64 v[2:3], v[10:11], -v[2:3]
	scratch_store_b128 off, v[2:5], off offset:256
	v_cmpx_lt_u32_e32 15, v158
	s_cbranch_execz .LBB121_331
; %bb.330:
	scratch_load_b128 v[5:8], v201, off
	v_mov_b32_e32 v2, v1
	v_mov_b32_e32 v3, v1
	;; [unrolled: 1-line block ×3, first 2 shown]
	scratch_store_b128 off, v[1:4], off offset:240
	s_waitcnt vmcnt(0)
	ds_store_b128 v216, v[5:8]
.LBB121_331:
	s_or_b32 exec_lo, exec_lo, s2
	s_waitcnt lgkmcnt(0)
	s_waitcnt_vscnt null, 0x0
	s_barrier
	buffer_gl0_inv
	s_clause 0x7
	scratch_load_b128 v[2:5], off, off offset:256
	scratch_load_b128 v[6:9], off, off offset:272
	;; [unrolled: 1-line block ×8, first 2 shown]
	ds_load_b128 v[38:41], v1 offset:1184
	ds_load_b128 v[171:174], v1 offset:1200
	s_clause 0x1
	scratch_load_b128 v[34:37], off, off offset:384
	scratch_load_b128 v[175:178], off, off offset:400
	s_mov_b32 s2, exec_lo
	s_waitcnt vmcnt(9) lgkmcnt(1)
	v_mul_f64 v[44:45], v[40:41], v[4:5]
	v_mul_f64 v[4:5], v[38:39], v[4:5]
	s_waitcnt vmcnt(8) lgkmcnt(0)
	v_mul_f64 v[46:47], v[171:172], v[8:9]
	v_mul_f64 v[8:9], v[173:174], v[8:9]
	s_delay_alu instid0(VALU_DEP_4) | instskip(NEXT) | instid1(VALU_DEP_4)
	v_fma_f64 v[44:45], v[38:39], v[2:3], -v[44:45]
	v_fma_f64 v[48:49], v[40:41], v[2:3], v[4:5]
	ds_load_b128 v[2:5], v1 offset:1216
	scratch_load_b128 v[38:41], off, off offset:416
	v_fma_f64 v[46:47], v[173:174], v[6:7], v[46:47]
	v_fma_f64 v[52:53], v[171:172], v[6:7], -v[8:9]
	scratch_load_b128 v[171:174], off, off offset:432
	ds_load_b128 v[6:9], v1 offset:1232
	s_waitcnt vmcnt(9) lgkmcnt(1)
	v_mul_f64 v[50:51], v[2:3], v[12:13]
	v_mul_f64 v[12:13], v[4:5], v[12:13]
	s_waitcnt vmcnt(8) lgkmcnt(0)
	v_mul_f64 v[54:55], v[6:7], v[16:17]
	v_mul_f64 v[16:17], v[8:9], v[16:17]
	v_add_f64 v[44:45], v[44:45], 0
	v_add_f64 v[48:49], v[48:49], 0
	v_fma_f64 v[50:51], v[4:5], v[10:11], v[50:51]
	v_fma_f64 v[56:57], v[2:3], v[10:11], -v[12:13]
	ds_load_b128 v[2:5], v1 offset:1248
	scratch_load_b128 v[10:13], off, off offset:448
	v_add_f64 v[44:45], v[44:45], v[52:53]
	v_add_f64 v[46:47], v[48:49], v[46:47]
	v_fma_f64 v[52:53], v[8:9], v[14:15], v[54:55]
	v_fma_f64 v[54:55], v[6:7], v[14:15], -v[16:17]
	scratch_load_b128 v[14:17], off, off offset:464
	ds_load_b128 v[6:9], v1 offset:1264
	s_waitcnt vmcnt(9) lgkmcnt(1)
	v_mul_f64 v[48:49], v[2:3], v[20:21]
	v_mul_f64 v[20:21], v[4:5], v[20:21]
	v_add_f64 v[44:45], v[44:45], v[56:57]
	v_add_f64 v[46:47], v[46:47], v[50:51]
	s_waitcnt vmcnt(8) lgkmcnt(0)
	v_mul_f64 v[50:51], v[6:7], v[24:25]
	v_mul_f64 v[24:25], v[8:9], v[24:25]
	v_fma_f64 v[48:49], v[4:5], v[18:19], v[48:49]
	v_fma_f64 v[56:57], v[2:3], v[18:19], -v[20:21]
	ds_load_b128 v[2:5], v1 offset:1280
	scratch_load_b128 v[18:21], off, off offset:480
	v_add_f64 v[44:45], v[44:45], v[54:55]
	v_add_f64 v[46:47], v[46:47], v[52:53]
	v_fma_f64 v[50:51], v[8:9], v[22:23], v[50:51]
	v_fma_f64 v[54:55], v[6:7], v[22:23], -v[24:25]
	scratch_load_b128 v[22:25], off, off offset:496
	ds_load_b128 v[6:9], v1 offset:1296
	s_waitcnt vmcnt(9) lgkmcnt(1)
	v_mul_f64 v[52:53], v[2:3], v[28:29]
	v_mul_f64 v[28:29], v[4:5], v[28:29]
	v_add_f64 v[44:45], v[44:45], v[56:57]
	v_add_f64 v[46:47], v[46:47], v[48:49]
	s_waitcnt vmcnt(8) lgkmcnt(0)
	v_mul_f64 v[48:49], v[6:7], v[32:33]
	v_mul_f64 v[32:33], v[8:9], v[32:33]
	;; [unrolled: 18-line block ×3, first 2 shown]
	v_fma_f64 v[50:51], v[4:5], v[34:35], v[50:51]
	v_fma_f64 v[58:59], v[2:3], v[34:35], -v[36:37]
	ds_load_b128 v[2:5], v1 offset:1344
	scratch_load_b128 v[34:37], off, off offset:544
	v_add_f64 v[44:45], v[44:45], v[54:55]
	v_add_f64 v[46:47], v[46:47], v[48:49]
	v_fma_f64 v[52:53], v[8:9], v[175:176], v[52:53]
	v_fma_f64 v[54:55], v[6:7], v[175:176], -v[56:57]
	scratch_load_b128 v[175:178], off, off offset:560
	ds_load_b128 v[6:9], v1 offset:1360
	s_waitcnt vmcnt(9) lgkmcnt(1)
	v_mul_f64 v[48:49], v[2:3], v[40:41]
	v_mul_f64 v[40:41], v[4:5], v[40:41]
	s_waitcnt vmcnt(8) lgkmcnt(0)
	v_mul_f64 v[56:57], v[8:9], v[173:174]
	v_add_f64 v[44:45], v[44:45], v[58:59]
	v_add_f64 v[46:47], v[46:47], v[50:51]
	v_mul_f64 v[50:51], v[6:7], v[173:174]
	v_fma_f64 v[48:49], v[4:5], v[38:39], v[48:49]
	v_fma_f64 v[58:59], v[2:3], v[38:39], -v[40:41]
	ds_load_b128 v[2:5], v1 offset:1376
	scratch_load_b128 v[38:41], off, off offset:576
	v_add_f64 v[44:45], v[44:45], v[54:55]
	v_add_f64 v[46:47], v[46:47], v[52:53]
	v_fma_f64 v[50:51], v[8:9], v[171:172], v[50:51]
	v_fma_f64 v[54:55], v[6:7], v[171:172], -v[56:57]
	scratch_load_b128 v[171:174], off, off offset:592
	ds_load_b128 v[6:9], v1 offset:1392
	s_waitcnt vmcnt(9) lgkmcnt(1)
	v_mul_f64 v[52:53], v[2:3], v[12:13]
	v_mul_f64 v[12:13], v[4:5], v[12:13]
	v_add_f64 v[44:45], v[44:45], v[58:59]
	v_add_f64 v[46:47], v[46:47], v[48:49]
	s_waitcnt vmcnt(8) lgkmcnt(0)
	v_mul_f64 v[48:49], v[6:7], v[16:17]
	v_mul_f64 v[16:17], v[8:9], v[16:17]
	v_fma_f64 v[52:53], v[4:5], v[10:11], v[52:53]
	v_fma_f64 v[56:57], v[2:3], v[10:11], -v[12:13]
	ds_load_b128 v[2:5], v1 offset:1408
	scratch_load_b128 v[10:13], off, off offset:608
	v_add_f64 v[44:45], v[44:45], v[54:55]
	v_add_f64 v[46:47], v[46:47], v[50:51]
	v_fma_f64 v[48:49], v[8:9], v[14:15], v[48:49]
	v_fma_f64 v[54:55], v[6:7], v[14:15], -v[16:17]
	scratch_load_b128 v[14:17], off, off offset:624
	ds_load_b128 v[6:9], v1 offset:1424
	s_waitcnt vmcnt(9) lgkmcnt(1)
	v_mul_f64 v[50:51], v[2:3], v[20:21]
	v_mul_f64 v[20:21], v[4:5], v[20:21]
	v_add_f64 v[44:45], v[44:45], v[56:57]
	v_add_f64 v[46:47], v[46:47], v[52:53]
	s_waitcnt vmcnt(8) lgkmcnt(0)
	v_mul_f64 v[52:53], v[6:7], v[24:25]
	v_mul_f64 v[24:25], v[8:9], v[24:25]
	v_fma_f64 v[50:51], v[4:5], v[18:19], v[50:51]
	v_fma_f64 v[56:57], v[2:3], v[18:19], -v[20:21]
	ds_load_b128 v[2:5], v1 offset:1440
	scratch_load_b128 v[18:21], off, off offset:640
	v_add_f64 v[44:45], v[44:45], v[54:55]
	v_add_f64 v[46:47], v[46:47], v[48:49]
	v_fma_f64 v[52:53], v[8:9], v[22:23], v[52:53]
	v_fma_f64 v[54:55], v[6:7], v[22:23], -v[24:25]
	scratch_load_b128 v[22:25], off, off offset:656
	ds_load_b128 v[6:9], v1 offset:1456
	s_waitcnt vmcnt(9) lgkmcnt(1)
	v_mul_f64 v[48:49], v[2:3], v[28:29]
	v_mul_f64 v[28:29], v[4:5], v[28:29]
	v_add_f64 v[44:45], v[44:45], v[56:57]
	v_add_f64 v[46:47], v[46:47], v[50:51]
	s_waitcnt vmcnt(8) lgkmcnt(0)
	v_mul_f64 v[50:51], v[6:7], v[32:33]
	v_mul_f64 v[32:33], v[8:9], v[32:33]
	v_fma_f64 v[48:49], v[4:5], v[26:27], v[48:49]
	v_fma_f64 v[56:57], v[2:3], v[26:27], -v[28:29]
	ds_load_b128 v[2:5], v1 offset:1472
	scratch_load_b128 v[26:29], off, off offset:672
	v_add_f64 v[44:45], v[44:45], v[54:55]
	v_add_f64 v[46:47], v[46:47], v[52:53]
	v_fma_f64 v[50:51], v[8:9], v[30:31], v[50:51]
	v_fma_f64 v[54:55], v[6:7], v[30:31], -v[32:33]
	scratch_load_b128 v[30:33], off, off offset:688
	ds_load_b128 v[6:9], v1 offset:1488
	s_waitcnt vmcnt(9) lgkmcnt(1)
	v_mul_f64 v[52:53], v[2:3], v[36:37]
	v_mul_f64 v[36:37], v[4:5], v[36:37]
	v_add_f64 v[44:45], v[44:45], v[56:57]
	v_add_f64 v[46:47], v[46:47], v[48:49]
	s_waitcnt vmcnt(8) lgkmcnt(0)
	v_mul_f64 v[48:49], v[6:7], v[177:178]
	v_mul_f64 v[56:57], v[8:9], v[177:178]
	v_fma_f64 v[52:53], v[4:5], v[34:35], v[52:53]
	v_fma_f64 v[58:59], v[2:3], v[34:35], -v[36:37]
	ds_load_b128 v[2:5], v1 offset:1504
	scratch_load_b128 v[34:37], off, off offset:704
	v_add_f64 v[44:45], v[44:45], v[54:55]
	v_add_f64 v[46:47], v[46:47], v[50:51]
	v_fma_f64 v[48:49], v[8:9], v[175:176], v[48:49]
	v_fma_f64 v[54:55], v[6:7], v[175:176], -v[56:57]
	scratch_load_b128 v[175:178], off, off offset:720
	ds_load_b128 v[6:9], v1 offset:1520
	s_waitcnt vmcnt(9) lgkmcnt(1)
	v_mul_f64 v[50:51], v[2:3], v[40:41]
	v_mul_f64 v[40:41], v[4:5], v[40:41]
	s_waitcnt vmcnt(8) lgkmcnt(0)
	v_mul_f64 v[56:57], v[8:9], v[173:174]
	v_add_f64 v[44:45], v[44:45], v[58:59]
	v_add_f64 v[46:47], v[46:47], v[52:53]
	v_mul_f64 v[52:53], v[6:7], v[173:174]
	v_fma_f64 v[50:51], v[4:5], v[38:39], v[50:51]
	v_fma_f64 v[58:59], v[2:3], v[38:39], -v[40:41]
	ds_load_b128 v[2:5], v1 offset:1536
	scratch_load_b128 v[38:41], off, off offset:736
	v_add_f64 v[44:45], v[44:45], v[54:55]
	v_add_f64 v[46:47], v[46:47], v[48:49]
	v_fma_f64 v[52:53], v[8:9], v[171:172], v[52:53]
	v_fma_f64 v[54:55], v[6:7], v[171:172], -v[56:57]
	scratch_load_b128 v[171:174], off, off offset:752
	ds_load_b128 v[6:9], v1 offset:1552
	s_waitcnt vmcnt(9) lgkmcnt(1)
	v_mul_f64 v[48:49], v[2:3], v[12:13]
	v_mul_f64 v[12:13], v[4:5], v[12:13]
	v_add_f64 v[44:45], v[44:45], v[58:59]
	v_add_f64 v[46:47], v[46:47], v[50:51]
	s_waitcnt vmcnt(8) lgkmcnt(0)
	v_mul_f64 v[50:51], v[6:7], v[16:17]
	v_mul_f64 v[16:17], v[8:9], v[16:17]
	v_fma_f64 v[48:49], v[4:5], v[10:11], v[48:49]
	v_fma_f64 v[56:57], v[2:3], v[10:11], -v[12:13]
	ds_load_b128 v[2:5], v1 offset:1568
	scratch_load_b128 v[10:13], off, off offset:768
	v_add_f64 v[44:45], v[44:45], v[54:55]
	v_add_f64 v[46:47], v[46:47], v[52:53]
	v_fma_f64 v[50:51], v[8:9], v[14:15], v[50:51]
	v_fma_f64 v[54:55], v[6:7], v[14:15], -v[16:17]
	scratch_load_b128 v[14:17], off, off offset:784
	ds_load_b128 v[6:9], v1 offset:1584
	s_waitcnt vmcnt(9) lgkmcnt(1)
	v_mul_f64 v[52:53], v[2:3], v[20:21]
	v_mul_f64 v[20:21], v[4:5], v[20:21]
	v_add_f64 v[44:45], v[44:45], v[56:57]
	v_add_f64 v[46:47], v[46:47], v[48:49]
	s_waitcnt vmcnt(8) lgkmcnt(0)
	v_mul_f64 v[48:49], v[6:7], v[24:25]
	v_mul_f64 v[24:25], v[8:9], v[24:25]
	v_fma_f64 v[52:53], v[4:5], v[18:19], v[52:53]
	v_fma_f64 v[56:57], v[2:3], v[18:19], -v[20:21]
	ds_load_b128 v[2:5], v1 offset:1600
	scratch_load_b128 v[18:21], off, off offset:800
	v_add_f64 v[44:45], v[44:45], v[54:55]
	v_add_f64 v[46:47], v[46:47], v[50:51]
	v_fma_f64 v[48:49], v[8:9], v[22:23], v[48:49]
	v_fma_f64 v[54:55], v[6:7], v[22:23], -v[24:25]
	ds_load_b128 v[6:9], v1 offset:1616
	s_waitcnt vmcnt(8) lgkmcnt(1)
	v_mul_f64 v[50:51], v[2:3], v[28:29]
	v_mul_f64 v[28:29], v[4:5], v[28:29]
	scratch_load_b128 v[22:25], off, off offset:816
	v_add_f64 v[44:45], v[44:45], v[56:57]
	v_add_f64 v[46:47], v[46:47], v[52:53]
	s_waitcnt vmcnt(8) lgkmcnt(0)
	v_mul_f64 v[52:53], v[6:7], v[32:33]
	v_mul_f64 v[32:33], v[8:9], v[32:33]
	v_fma_f64 v[50:51], v[4:5], v[26:27], v[50:51]
	v_fma_f64 v[56:57], v[2:3], v[26:27], -v[28:29]
	ds_load_b128 v[2:5], v1 offset:1632
	scratch_load_b128 v[26:29], off, off offset:832
	v_add_f64 v[44:45], v[44:45], v[54:55]
	v_add_f64 v[46:47], v[46:47], v[48:49]
	v_fma_f64 v[52:53], v[8:9], v[30:31], v[52:53]
	v_fma_f64 v[54:55], v[6:7], v[30:31], -v[32:33]
	ds_load_b128 v[6:9], v1 offset:1648
	s_waitcnt vmcnt(8) lgkmcnt(1)
	v_mul_f64 v[48:49], v[2:3], v[36:37]
	v_mul_f64 v[36:37], v[4:5], v[36:37]
	scratch_load_b128 v[30:33], off, off offset:848
	v_add_f64 v[44:45], v[44:45], v[56:57]
	v_add_f64 v[46:47], v[46:47], v[50:51]
	s_waitcnt vmcnt(8) lgkmcnt(0)
	v_mul_f64 v[50:51], v[6:7], v[177:178]
	v_mul_f64 v[56:57], v[8:9], v[177:178]
	v_fma_f64 v[48:49], v[4:5], v[34:35], v[48:49]
	v_fma_f64 v[58:59], v[2:3], v[34:35], -v[36:37]
	scratch_load_b128 v[34:37], off, off offset:864
	ds_load_b128 v[2:5], v1 offset:1664
	v_add_f64 v[44:45], v[44:45], v[54:55]
	v_add_f64 v[46:47], v[46:47], v[52:53]
	v_fma_f64 v[50:51], v[8:9], v[175:176], v[50:51]
	v_fma_f64 v[54:55], v[6:7], v[175:176], -v[56:57]
	ds_load_b128 v[6:9], v1 offset:1680
	s_waitcnt vmcnt(8) lgkmcnt(1)
	v_mul_f64 v[52:53], v[2:3], v[40:41]
	v_mul_f64 v[40:41], v[4:5], v[40:41]
	scratch_load_b128 v[175:178], off, off offset:880
	s_waitcnt vmcnt(8) lgkmcnt(0)
	v_mul_f64 v[56:57], v[8:9], v[173:174]
	v_add_f64 v[44:45], v[44:45], v[58:59]
	v_add_f64 v[46:47], v[46:47], v[48:49]
	v_mul_f64 v[48:49], v[6:7], v[173:174]
	v_fma_f64 v[52:53], v[4:5], v[38:39], v[52:53]
	v_fma_f64 v[58:59], v[2:3], v[38:39], -v[40:41]
	scratch_load_b128 v[38:41], off, off offset:896
	ds_load_b128 v[2:5], v1 offset:1696
	v_add_f64 v[44:45], v[44:45], v[54:55]
	v_add_f64 v[46:47], v[46:47], v[50:51]
	v_fma_f64 v[48:49], v[8:9], v[171:172], v[48:49]
	v_fma_f64 v[54:55], v[6:7], v[171:172], -v[56:57]
	ds_load_b128 v[6:9], v1 offset:1712
	s_waitcnt vmcnt(8) lgkmcnt(1)
	v_mul_f64 v[50:51], v[2:3], v[12:13]
	v_mul_f64 v[12:13], v[4:5], v[12:13]
	scratch_load_b128 v[171:174], off, off offset:912
	v_add_f64 v[44:45], v[44:45], v[58:59]
	v_add_f64 v[46:47], v[46:47], v[52:53]
	s_waitcnt vmcnt(8) lgkmcnt(0)
	v_mul_f64 v[52:53], v[6:7], v[16:17]
	v_mul_f64 v[16:17], v[8:9], v[16:17]
	v_fma_f64 v[50:51], v[4:5], v[10:11], v[50:51]
	v_fma_f64 v[10:11], v[2:3], v[10:11], -v[12:13]
	ds_load_b128 v[2:5], v1 offset:1728
	v_add_f64 v[12:13], v[44:45], v[54:55]
	v_add_f64 v[44:45], v[46:47], v[48:49]
	v_fma_f64 v[48:49], v[8:9], v[14:15], v[52:53]
	v_fma_f64 v[14:15], v[6:7], v[14:15], -v[16:17]
	ds_load_b128 v[6:9], v1 offset:1744
	s_waitcnt vmcnt(7) lgkmcnt(1)
	v_mul_f64 v[46:47], v[2:3], v[20:21]
	v_mul_f64 v[20:21], v[4:5], v[20:21]
	v_add_f64 v[10:11], v[12:13], v[10:11]
	v_add_f64 v[12:13], v[44:45], v[50:51]
	s_delay_alu instid0(VALU_DEP_4) | instskip(NEXT) | instid1(VALU_DEP_4)
	v_fma_f64 v[44:45], v[4:5], v[18:19], v[46:47]
	v_fma_f64 v[18:19], v[2:3], v[18:19], -v[20:21]
	ds_load_b128 v[2:5], v1 offset:1760
	v_add_f64 v[14:15], v[10:11], v[14:15]
	v_add_f64 v[20:21], v[12:13], v[48:49]
	scratch_load_b128 v[10:13], off, off offset:240
	s_waitcnt vmcnt(7) lgkmcnt(1)
	v_mul_f64 v[16:17], v[6:7], v[24:25]
	v_mul_f64 v[24:25], v[8:9], v[24:25]
	v_add_f64 v[14:15], v[14:15], v[18:19]
	v_add_f64 v[18:19], v[20:21], v[44:45]
	s_delay_alu instid0(VALU_DEP_4) | instskip(NEXT) | instid1(VALU_DEP_4)
	v_fma_f64 v[16:17], v[8:9], v[22:23], v[16:17]
	v_fma_f64 v[22:23], v[6:7], v[22:23], -v[24:25]
	ds_load_b128 v[6:9], v1 offset:1776
	s_waitcnt vmcnt(6) lgkmcnt(1)
	v_mul_f64 v[46:47], v[2:3], v[28:29]
	v_mul_f64 v[28:29], v[4:5], v[28:29]
	s_waitcnt vmcnt(5) lgkmcnt(0)
	v_mul_f64 v[20:21], v[6:7], v[32:33]
	v_mul_f64 v[24:25], v[8:9], v[32:33]
	v_add_f64 v[16:17], v[18:19], v[16:17]
	v_add_f64 v[14:15], v[14:15], v[22:23]
	v_fma_f64 v[32:33], v[4:5], v[26:27], v[46:47]
	v_fma_f64 v[26:27], v[2:3], v[26:27], -v[28:29]
	ds_load_b128 v[2:5], v1 offset:1792
	v_fma_f64 v[20:21], v[8:9], v[30:31], v[20:21]
	v_fma_f64 v[24:25], v[6:7], v[30:31], -v[24:25]
	ds_load_b128 v[6:9], v1 offset:1808
	s_waitcnt vmcnt(4) lgkmcnt(1)
	v_mul_f64 v[18:19], v[2:3], v[36:37]
	v_mul_f64 v[22:23], v[4:5], v[36:37]
	v_add_f64 v[16:17], v[16:17], v[32:33]
	v_add_f64 v[14:15], v[14:15], v[26:27]
	s_waitcnt vmcnt(3) lgkmcnt(0)
	v_mul_f64 v[26:27], v[6:7], v[177:178]
	v_mul_f64 v[28:29], v[8:9], v[177:178]
	v_fma_f64 v[18:19], v[4:5], v[34:35], v[18:19]
	v_fma_f64 v[22:23], v[2:3], v[34:35], -v[22:23]
	ds_load_b128 v[2:5], v1 offset:1824
	v_add_f64 v[16:17], v[16:17], v[20:21]
	v_add_f64 v[14:15], v[14:15], v[24:25]
	v_fma_f64 v[26:27], v[8:9], v[175:176], v[26:27]
	v_fma_f64 v[28:29], v[6:7], v[175:176], -v[28:29]
	ds_load_b128 v[6:9], v1 offset:1840
	s_waitcnt vmcnt(2) lgkmcnt(1)
	v_mul_f64 v[20:21], v[2:3], v[40:41]
	v_mul_f64 v[24:25], v[4:5], v[40:41]
	v_add_f64 v[16:17], v[16:17], v[18:19]
	v_add_f64 v[14:15], v[14:15], v[22:23]
	s_waitcnt vmcnt(1) lgkmcnt(0)
	v_mul_f64 v[18:19], v[6:7], v[173:174]
	v_mul_f64 v[22:23], v[8:9], v[173:174]
	v_fma_f64 v[4:5], v[4:5], v[38:39], v[20:21]
	v_fma_f64 v[1:2], v[2:3], v[38:39], -v[24:25]
	v_add_f64 v[16:17], v[16:17], v[26:27]
	v_add_f64 v[14:15], v[14:15], v[28:29]
	v_fma_f64 v[8:9], v[8:9], v[171:172], v[18:19]
	v_fma_f64 v[6:7], v[6:7], v[171:172], -v[22:23]
	s_delay_alu instid0(VALU_DEP_4) | instskip(NEXT) | instid1(VALU_DEP_4)
	v_add_f64 v[3:4], v[16:17], v[4:5]
	v_add_f64 v[1:2], v[14:15], v[1:2]
	s_delay_alu instid0(VALU_DEP_2) | instskip(NEXT) | instid1(VALU_DEP_2)
	v_add_f64 v[3:4], v[3:4], v[8:9]
	v_add_f64 v[1:2], v[1:2], v[6:7]
	s_waitcnt vmcnt(0)
	s_delay_alu instid0(VALU_DEP_2) | instskip(NEXT) | instid1(VALU_DEP_2)
	v_add_f64 v[3:4], v[12:13], -v[3:4]
	v_add_f64 v[1:2], v[10:11], -v[1:2]
	scratch_store_b128 off, v[1:4], off offset:240
	v_cmpx_lt_u32_e32 14, v158
	s_cbranch_execz .LBB121_333
; %bb.332:
	scratch_load_b128 v[1:4], v202, off
	v_mov_b32_e32 v5, 0
	s_delay_alu instid0(VALU_DEP_1)
	v_mov_b32_e32 v6, v5
	v_mov_b32_e32 v7, v5
	;; [unrolled: 1-line block ×3, first 2 shown]
	scratch_store_b128 off, v[5:8], off offset:224
	s_waitcnt vmcnt(0)
	ds_store_b128 v216, v[1:4]
.LBB121_333:
	s_or_b32 exec_lo, exec_lo, s2
	s_waitcnt lgkmcnt(0)
	s_waitcnt_vscnt null, 0x0
	s_barrier
	buffer_gl0_inv
	s_clause 0x7
	scratch_load_b128 v[2:5], off, off offset:240
	scratch_load_b128 v[6:9], off, off offset:256
	;; [unrolled: 1-line block ×8, first 2 shown]
	v_mov_b32_e32 v1, 0
	s_clause 0x1
	scratch_load_b128 v[34:37], off, off offset:368
	scratch_load_b128 v[175:178], off, off offset:384
	s_mov_b32 s2, exec_lo
	ds_load_b128 v[38:41], v1 offset:1168
	ds_load_b128 v[171:174], v1 offset:1184
	s_waitcnt vmcnt(9) lgkmcnt(1)
	v_mul_f64 v[44:45], v[40:41], v[4:5]
	v_mul_f64 v[4:5], v[38:39], v[4:5]
	s_waitcnt vmcnt(8) lgkmcnt(0)
	v_mul_f64 v[46:47], v[171:172], v[8:9]
	v_mul_f64 v[8:9], v[173:174], v[8:9]
	s_delay_alu instid0(VALU_DEP_4) | instskip(NEXT) | instid1(VALU_DEP_4)
	v_fma_f64 v[44:45], v[38:39], v[2:3], -v[44:45]
	v_fma_f64 v[48:49], v[40:41], v[2:3], v[4:5]
	ds_load_b128 v[2:5], v1 offset:1200
	scratch_load_b128 v[38:41], off, off offset:400
	v_fma_f64 v[46:47], v[173:174], v[6:7], v[46:47]
	v_fma_f64 v[52:53], v[171:172], v[6:7], -v[8:9]
	scratch_load_b128 v[171:174], off, off offset:416
	ds_load_b128 v[6:9], v1 offset:1216
	s_waitcnt vmcnt(9) lgkmcnt(1)
	v_mul_f64 v[50:51], v[2:3], v[12:13]
	v_mul_f64 v[12:13], v[4:5], v[12:13]
	s_waitcnt vmcnt(8) lgkmcnt(0)
	v_mul_f64 v[54:55], v[6:7], v[16:17]
	v_mul_f64 v[16:17], v[8:9], v[16:17]
	v_add_f64 v[44:45], v[44:45], 0
	v_add_f64 v[48:49], v[48:49], 0
	v_fma_f64 v[50:51], v[4:5], v[10:11], v[50:51]
	v_fma_f64 v[56:57], v[2:3], v[10:11], -v[12:13]
	ds_load_b128 v[2:5], v1 offset:1232
	scratch_load_b128 v[10:13], off, off offset:432
	v_add_f64 v[44:45], v[44:45], v[52:53]
	v_add_f64 v[46:47], v[48:49], v[46:47]
	v_fma_f64 v[52:53], v[8:9], v[14:15], v[54:55]
	v_fma_f64 v[54:55], v[6:7], v[14:15], -v[16:17]
	scratch_load_b128 v[14:17], off, off offset:448
	ds_load_b128 v[6:9], v1 offset:1248
	s_waitcnt vmcnt(9) lgkmcnt(1)
	v_mul_f64 v[48:49], v[2:3], v[20:21]
	v_mul_f64 v[20:21], v[4:5], v[20:21]
	v_add_f64 v[44:45], v[44:45], v[56:57]
	v_add_f64 v[46:47], v[46:47], v[50:51]
	s_waitcnt vmcnt(8) lgkmcnt(0)
	v_mul_f64 v[50:51], v[6:7], v[24:25]
	v_mul_f64 v[24:25], v[8:9], v[24:25]
	v_fma_f64 v[48:49], v[4:5], v[18:19], v[48:49]
	v_fma_f64 v[56:57], v[2:3], v[18:19], -v[20:21]
	ds_load_b128 v[2:5], v1 offset:1264
	scratch_load_b128 v[18:21], off, off offset:464
	v_add_f64 v[44:45], v[44:45], v[54:55]
	v_add_f64 v[46:47], v[46:47], v[52:53]
	v_fma_f64 v[50:51], v[8:9], v[22:23], v[50:51]
	v_fma_f64 v[54:55], v[6:7], v[22:23], -v[24:25]
	scratch_load_b128 v[22:25], off, off offset:480
	ds_load_b128 v[6:9], v1 offset:1280
	s_waitcnt vmcnt(9) lgkmcnt(1)
	v_mul_f64 v[52:53], v[2:3], v[28:29]
	v_mul_f64 v[28:29], v[4:5], v[28:29]
	v_add_f64 v[44:45], v[44:45], v[56:57]
	v_add_f64 v[46:47], v[46:47], v[48:49]
	s_waitcnt vmcnt(8) lgkmcnt(0)
	v_mul_f64 v[48:49], v[6:7], v[32:33]
	v_mul_f64 v[32:33], v[8:9], v[32:33]
	;; [unrolled: 18-line block ×3, first 2 shown]
	v_fma_f64 v[50:51], v[4:5], v[34:35], v[50:51]
	v_fma_f64 v[58:59], v[2:3], v[34:35], -v[36:37]
	ds_load_b128 v[2:5], v1 offset:1328
	scratch_load_b128 v[34:37], off, off offset:528
	v_add_f64 v[44:45], v[44:45], v[54:55]
	v_add_f64 v[46:47], v[46:47], v[48:49]
	v_fma_f64 v[52:53], v[8:9], v[175:176], v[52:53]
	v_fma_f64 v[54:55], v[6:7], v[175:176], -v[56:57]
	scratch_load_b128 v[175:178], off, off offset:544
	ds_load_b128 v[6:9], v1 offset:1344
	s_waitcnt vmcnt(9) lgkmcnt(1)
	v_mul_f64 v[48:49], v[2:3], v[40:41]
	v_mul_f64 v[40:41], v[4:5], v[40:41]
	s_waitcnt vmcnt(8) lgkmcnt(0)
	v_mul_f64 v[56:57], v[8:9], v[173:174]
	v_add_f64 v[44:45], v[44:45], v[58:59]
	v_add_f64 v[46:47], v[46:47], v[50:51]
	v_mul_f64 v[50:51], v[6:7], v[173:174]
	v_fma_f64 v[48:49], v[4:5], v[38:39], v[48:49]
	v_fma_f64 v[58:59], v[2:3], v[38:39], -v[40:41]
	ds_load_b128 v[2:5], v1 offset:1360
	scratch_load_b128 v[38:41], off, off offset:560
	v_add_f64 v[44:45], v[44:45], v[54:55]
	v_add_f64 v[46:47], v[46:47], v[52:53]
	v_fma_f64 v[50:51], v[8:9], v[171:172], v[50:51]
	v_fma_f64 v[54:55], v[6:7], v[171:172], -v[56:57]
	scratch_load_b128 v[171:174], off, off offset:576
	ds_load_b128 v[6:9], v1 offset:1376
	s_waitcnt vmcnt(9) lgkmcnt(1)
	v_mul_f64 v[52:53], v[2:3], v[12:13]
	v_mul_f64 v[12:13], v[4:5], v[12:13]
	v_add_f64 v[44:45], v[44:45], v[58:59]
	v_add_f64 v[46:47], v[46:47], v[48:49]
	s_waitcnt vmcnt(8) lgkmcnt(0)
	v_mul_f64 v[48:49], v[6:7], v[16:17]
	v_mul_f64 v[16:17], v[8:9], v[16:17]
	v_fma_f64 v[52:53], v[4:5], v[10:11], v[52:53]
	v_fma_f64 v[56:57], v[2:3], v[10:11], -v[12:13]
	ds_load_b128 v[2:5], v1 offset:1392
	scratch_load_b128 v[10:13], off, off offset:592
	v_add_f64 v[44:45], v[44:45], v[54:55]
	v_add_f64 v[46:47], v[46:47], v[50:51]
	v_fma_f64 v[48:49], v[8:9], v[14:15], v[48:49]
	v_fma_f64 v[54:55], v[6:7], v[14:15], -v[16:17]
	scratch_load_b128 v[14:17], off, off offset:608
	ds_load_b128 v[6:9], v1 offset:1408
	s_waitcnt vmcnt(9) lgkmcnt(1)
	v_mul_f64 v[50:51], v[2:3], v[20:21]
	v_mul_f64 v[20:21], v[4:5], v[20:21]
	v_add_f64 v[44:45], v[44:45], v[56:57]
	v_add_f64 v[46:47], v[46:47], v[52:53]
	s_waitcnt vmcnt(8) lgkmcnt(0)
	v_mul_f64 v[52:53], v[6:7], v[24:25]
	;; [unrolled: 18-line block ×4, first 2 shown]
	v_mul_f64 v[56:57], v[8:9], v[177:178]
	v_fma_f64 v[52:53], v[4:5], v[34:35], v[52:53]
	v_fma_f64 v[58:59], v[2:3], v[34:35], -v[36:37]
	ds_load_b128 v[2:5], v1 offset:1488
	scratch_load_b128 v[34:37], off, off offset:688
	v_add_f64 v[44:45], v[44:45], v[54:55]
	v_add_f64 v[46:47], v[46:47], v[50:51]
	v_fma_f64 v[48:49], v[8:9], v[175:176], v[48:49]
	v_fma_f64 v[54:55], v[6:7], v[175:176], -v[56:57]
	scratch_load_b128 v[175:178], off, off offset:704
	ds_load_b128 v[6:9], v1 offset:1504
	s_waitcnt vmcnt(9) lgkmcnt(1)
	v_mul_f64 v[50:51], v[2:3], v[40:41]
	v_mul_f64 v[40:41], v[4:5], v[40:41]
	s_waitcnt vmcnt(8) lgkmcnt(0)
	v_mul_f64 v[56:57], v[8:9], v[173:174]
	v_add_f64 v[44:45], v[44:45], v[58:59]
	v_add_f64 v[46:47], v[46:47], v[52:53]
	v_mul_f64 v[52:53], v[6:7], v[173:174]
	v_fma_f64 v[50:51], v[4:5], v[38:39], v[50:51]
	v_fma_f64 v[58:59], v[2:3], v[38:39], -v[40:41]
	ds_load_b128 v[2:5], v1 offset:1520
	scratch_load_b128 v[38:41], off, off offset:720
	v_add_f64 v[44:45], v[44:45], v[54:55]
	v_add_f64 v[46:47], v[46:47], v[48:49]
	v_fma_f64 v[52:53], v[8:9], v[171:172], v[52:53]
	v_fma_f64 v[54:55], v[6:7], v[171:172], -v[56:57]
	scratch_load_b128 v[171:174], off, off offset:736
	ds_load_b128 v[6:9], v1 offset:1536
	s_waitcnt vmcnt(9) lgkmcnt(1)
	v_mul_f64 v[48:49], v[2:3], v[12:13]
	v_mul_f64 v[12:13], v[4:5], v[12:13]
	v_add_f64 v[44:45], v[44:45], v[58:59]
	v_add_f64 v[46:47], v[46:47], v[50:51]
	s_waitcnt vmcnt(8) lgkmcnt(0)
	v_mul_f64 v[50:51], v[6:7], v[16:17]
	v_mul_f64 v[16:17], v[8:9], v[16:17]
	v_fma_f64 v[48:49], v[4:5], v[10:11], v[48:49]
	v_fma_f64 v[56:57], v[2:3], v[10:11], -v[12:13]
	ds_load_b128 v[2:5], v1 offset:1552
	scratch_load_b128 v[10:13], off, off offset:752
	v_add_f64 v[44:45], v[44:45], v[54:55]
	v_add_f64 v[46:47], v[46:47], v[52:53]
	v_fma_f64 v[50:51], v[8:9], v[14:15], v[50:51]
	v_fma_f64 v[54:55], v[6:7], v[14:15], -v[16:17]
	scratch_load_b128 v[14:17], off, off offset:768
	ds_load_b128 v[6:9], v1 offset:1568
	s_waitcnt vmcnt(9) lgkmcnt(1)
	v_mul_f64 v[52:53], v[2:3], v[20:21]
	v_mul_f64 v[20:21], v[4:5], v[20:21]
	v_add_f64 v[44:45], v[44:45], v[56:57]
	v_add_f64 v[46:47], v[46:47], v[48:49]
	s_waitcnt vmcnt(8) lgkmcnt(0)
	v_mul_f64 v[48:49], v[6:7], v[24:25]
	;; [unrolled: 18-line block ×3, first 2 shown]
	v_mul_f64 v[32:33], v[8:9], v[32:33]
	v_fma_f64 v[50:51], v[4:5], v[26:27], v[50:51]
	v_fma_f64 v[56:57], v[2:3], v[26:27], -v[28:29]
	ds_load_b128 v[2:5], v1 offset:1616
	scratch_load_b128 v[26:29], off, off offset:816
	v_add_f64 v[44:45], v[44:45], v[54:55]
	v_add_f64 v[46:47], v[46:47], v[48:49]
	v_fma_f64 v[52:53], v[8:9], v[30:31], v[52:53]
	v_fma_f64 v[54:55], v[6:7], v[30:31], -v[32:33]
	ds_load_b128 v[6:9], v1 offset:1632
	s_waitcnt vmcnt(8) lgkmcnt(1)
	v_mul_f64 v[48:49], v[2:3], v[36:37]
	v_mul_f64 v[36:37], v[4:5], v[36:37]
	scratch_load_b128 v[30:33], off, off offset:832
	v_add_f64 v[44:45], v[44:45], v[56:57]
	v_add_f64 v[46:47], v[46:47], v[50:51]
	s_waitcnt vmcnt(8) lgkmcnt(0)
	v_mul_f64 v[50:51], v[6:7], v[177:178]
	v_mul_f64 v[56:57], v[8:9], v[177:178]
	v_fma_f64 v[48:49], v[4:5], v[34:35], v[48:49]
	v_fma_f64 v[58:59], v[2:3], v[34:35], -v[36:37]
	scratch_load_b128 v[34:37], off, off offset:848
	ds_load_b128 v[2:5], v1 offset:1648
	v_add_f64 v[44:45], v[44:45], v[54:55]
	v_add_f64 v[46:47], v[46:47], v[52:53]
	v_fma_f64 v[50:51], v[8:9], v[175:176], v[50:51]
	v_fma_f64 v[54:55], v[6:7], v[175:176], -v[56:57]
	ds_load_b128 v[6:9], v1 offset:1664
	s_waitcnt vmcnt(8) lgkmcnt(1)
	v_mul_f64 v[52:53], v[2:3], v[40:41]
	v_mul_f64 v[40:41], v[4:5], v[40:41]
	scratch_load_b128 v[175:178], off, off offset:864
	s_waitcnt vmcnt(8) lgkmcnt(0)
	v_mul_f64 v[56:57], v[8:9], v[173:174]
	v_add_f64 v[44:45], v[44:45], v[58:59]
	v_add_f64 v[46:47], v[46:47], v[48:49]
	v_mul_f64 v[48:49], v[6:7], v[173:174]
	v_fma_f64 v[52:53], v[4:5], v[38:39], v[52:53]
	v_fma_f64 v[58:59], v[2:3], v[38:39], -v[40:41]
	scratch_load_b128 v[38:41], off, off offset:880
	ds_load_b128 v[2:5], v1 offset:1680
	v_add_f64 v[44:45], v[44:45], v[54:55]
	v_add_f64 v[46:47], v[46:47], v[50:51]
	v_fma_f64 v[48:49], v[8:9], v[171:172], v[48:49]
	v_fma_f64 v[54:55], v[6:7], v[171:172], -v[56:57]
	ds_load_b128 v[6:9], v1 offset:1696
	s_waitcnt vmcnt(8) lgkmcnt(1)
	v_mul_f64 v[50:51], v[2:3], v[12:13]
	v_mul_f64 v[12:13], v[4:5], v[12:13]
	scratch_load_b128 v[171:174], off, off offset:896
	v_add_f64 v[44:45], v[44:45], v[58:59]
	v_add_f64 v[46:47], v[46:47], v[52:53]
	s_waitcnt vmcnt(8) lgkmcnt(0)
	v_mul_f64 v[52:53], v[6:7], v[16:17]
	v_mul_f64 v[16:17], v[8:9], v[16:17]
	v_fma_f64 v[50:51], v[4:5], v[10:11], v[50:51]
	v_fma_f64 v[56:57], v[2:3], v[10:11], -v[12:13]
	scratch_load_b128 v[10:13], off, off offset:912
	ds_load_b128 v[2:5], v1 offset:1712
	v_add_f64 v[44:45], v[44:45], v[54:55]
	v_add_f64 v[46:47], v[46:47], v[48:49]
	v_fma_f64 v[52:53], v[8:9], v[14:15], v[52:53]
	v_fma_f64 v[14:15], v[6:7], v[14:15], -v[16:17]
	ds_load_b128 v[6:9], v1 offset:1728
	s_waitcnt vmcnt(8) lgkmcnt(1)
	v_mul_f64 v[48:49], v[2:3], v[20:21]
	v_mul_f64 v[20:21], v[4:5], v[20:21]
	v_add_f64 v[16:17], v[44:45], v[56:57]
	v_add_f64 v[44:45], v[46:47], v[50:51]
	s_waitcnt vmcnt(7) lgkmcnt(0)
	v_mul_f64 v[46:47], v[6:7], v[24:25]
	v_mul_f64 v[24:25], v[8:9], v[24:25]
	v_fma_f64 v[48:49], v[4:5], v[18:19], v[48:49]
	v_fma_f64 v[18:19], v[2:3], v[18:19], -v[20:21]
	ds_load_b128 v[2:5], v1 offset:1744
	v_add_f64 v[14:15], v[16:17], v[14:15]
	v_add_f64 v[16:17], v[44:45], v[52:53]
	v_fma_f64 v[44:45], v[8:9], v[22:23], v[46:47]
	v_fma_f64 v[22:23], v[6:7], v[22:23], -v[24:25]
	ds_load_b128 v[6:9], v1 offset:1760
	s_waitcnt vmcnt(5) lgkmcnt(0)
	v_mul_f64 v[46:47], v[6:7], v[32:33]
	v_mul_f64 v[32:33], v[8:9], v[32:33]
	v_add_f64 v[18:19], v[14:15], v[18:19]
	v_add_f64 v[24:25], v[16:17], v[48:49]
	scratch_load_b128 v[14:17], off, off offset:224
	v_mul_f64 v[20:21], v[2:3], v[28:29]
	v_mul_f64 v[28:29], v[4:5], v[28:29]
	v_add_f64 v[18:19], v[18:19], v[22:23]
	v_add_f64 v[22:23], v[24:25], v[44:45]
	s_delay_alu instid0(VALU_DEP_4) | instskip(NEXT) | instid1(VALU_DEP_4)
	v_fma_f64 v[20:21], v[4:5], v[26:27], v[20:21]
	v_fma_f64 v[26:27], v[2:3], v[26:27], -v[28:29]
	ds_load_b128 v[2:5], v1 offset:1776
	s_waitcnt vmcnt(5) lgkmcnt(0)
	v_mul_f64 v[24:25], v[2:3], v[36:37]
	v_mul_f64 v[28:29], v[4:5], v[36:37]
	v_fma_f64 v[36:37], v[8:9], v[30:31], v[46:47]
	v_fma_f64 v[30:31], v[6:7], v[30:31], -v[32:33]
	ds_load_b128 v[6:9], v1 offset:1792
	v_add_f64 v[20:21], v[22:23], v[20:21]
	v_add_f64 v[18:19], v[18:19], v[26:27]
	v_fma_f64 v[24:25], v[4:5], v[34:35], v[24:25]
	v_fma_f64 v[28:29], v[2:3], v[34:35], -v[28:29]
	ds_load_b128 v[2:5], v1 offset:1808
	s_waitcnt vmcnt(4) lgkmcnt(1)
	v_mul_f64 v[22:23], v[6:7], v[177:178]
	v_mul_f64 v[26:27], v[8:9], v[177:178]
	v_add_f64 v[20:21], v[20:21], v[36:37]
	v_add_f64 v[18:19], v[18:19], v[30:31]
	s_waitcnt vmcnt(3) lgkmcnt(0)
	v_mul_f64 v[30:31], v[2:3], v[40:41]
	v_mul_f64 v[32:33], v[4:5], v[40:41]
	v_fma_f64 v[22:23], v[8:9], v[175:176], v[22:23]
	v_fma_f64 v[26:27], v[6:7], v[175:176], -v[26:27]
	ds_load_b128 v[6:9], v1 offset:1824
	v_add_f64 v[20:21], v[20:21], v[24:25]
	v_add_f64 v[18:19], v[18:19], v[28:29]
	v_fma_f64 v[30:31], v[4:5], v[38:39], v[30:31]
	v_fma_f64 v[32:33], v[2:3], v[38:39], -v[32:33]
	ds_load_b128 v[2:5], v1 offset:1840
	s_waitcnt vmcnt(2) lgkmcnt(1)
	v_mul_f64 v[24:25], v[6:7], v[173:174]
	v_mul_f64 v[28:29], v[8:9], v[173:174]
	v_add_f64 v[20:21], v[20:21], v[22:23]
	v_add_f64 v[18:19], v[18:19], v[26:27]
	s_waitcnt vmcnt(1) lgkmcnt(0)
	v_mul_f64 v[22:23], v[2:3], v[12:13]
	v_mul_f64 v[12:13], v[4:5], v[12:13]
	v_fma_f64 v[8:9], v[8:9], v[171:172], v[24:25]
	v_fma_f64 v[6:7], v[6:7], v[171:172], -v[28:29]
	v_add_f64 v[20:21], v[20:21], v[30:31]
	v_add_f64 v[18:19], v[18:19], v[32:33]
	v_fma_f64 v[4:5], v[4:5], v[10:11], v[22:23]
	v_fma_f64 v[2:3], v[2:3], v[10:11], -v[12:13]
	s_delay_alu instid0(VALU_DEP_4) | instskip(NEXT) | instid1(VALU_DEP_4)
	v_add_f64 v[8:9], v[20:21], v[8:9]
	v_add_f64 v[6:7], v[18:19], v[6:7]
	s_delay_alu instid0(VALU_DEP_2) | instskip(NEXT) | instid1(VALU_DEP_2)
	v_add_f64 v[4:5], v[8:9], v[4:5]
	v_add_f64 v[2:3], v[6:7], v[2:3]
	s_waitcnt vmcnt(0)
	s_delay_alu instid0(VALU_DEP_2) | instskip(NEXT) | instid1(VALU_DEP_2)
	v_add_f64 v[4:5], v[16:17], -v[4:5]
	v_add_f64 v[2:3], v[14:15], -v[2:3]
	scratch_store_b128 off, v[2:5], off offset:224
	v_cmpx_lt_u32_e32 13, v158
	s_cbranch_execz .LBB121_335
; %bb.334:
	scratch_load_b128 v[5:8], v203, off
	v_mov_b32_e32 v2, v1
	v_mov_b32_e32 v3, v1
	;; [unrolled: 1-line block ×3, first 2 shown]
	scratch_store_b128 off, v[1:4], off offset:208
	s_waitcnt vmcnt(0)
	ds_store_b128 v216, v[5:8]
.LBB121_335:
	s_or_b32 exec_lo, exec_lo, s2
	s_waitcnt lgkmcnt(0)
	s_waitcnt_vscnt null, 0x0
	s_barrier
	buffer_gl0_inv
	s_clause 0x7
	scratch_load_b128 v[2:5], off, off offset:224
	scratch_load_b128 v[6:9], off, off offset:240
	scratch_load_b128 v[10:13], off, off offset:256
	scratch_load_b128 v[14:17], off, off offset:272
	scratch_load_b128 v[18:21], off, off offset:288
	scratch_load_b128 v[22:25], off, off offset:304
	scratch_load_b128 v[26:29], off, off offset:320
	scratch_load_b128 v[30:33], off, off offset:336
	ds_load_b128 v[38:41], v1 offset:1152
	ds_load_b128 v[171:174], v1 offset:1168
	s_clause 0x1
	scratch_load_b128 v[34:37], off, off offset:352
	scratch_load_b128 v[175:178], off, off offset:368
	s_mov_b32 s2, exec_lo
	s_waitcnt vmcnt(9) lgkmcnt(1)
	v_mul_f64 v[44:45], v[40:41], v[4:5]
	v_mul_f64 v[4:5], v[38:39], v[4:5]
	s_waitcnt vmcnt(8) lgkmcnt(0)
	v_mul_f64 v[46:47], v[171:172], v[8:9]
	v_mul_f64 v[8:9], v[173:174], v[8:9]
	s_delay_alu instid0(VALU_DEP_4) | instskip(NEXT) | instid1(VALU_DEP_4)
	v_fma_f64 v[44:45], v[38:39], v[2:3], -v[44:45]
	v_fma_f64 v[48:49], v[40:41], v[2:3], v[4:5]
	ds_load_b128 v[2:5], v1 offset:1184
	scratch_load_b128 v[38:41], off, off offset:384
	v_fma_f64 v[46:47], v[173:174], v[6:7], v[46:47]
	v_fma_f64 v[52:53], v[171:172], v[6:7], -v[8:9]
	scratch_load_b128 v[171:174], off, off offset:400
	ds_load_b128 v[6:9], v1 offset:1200
	s_waitcnt vmcnt(9) lgkmcnt(1)
	v_mul_f64 v[50:51], v[2:3], v[12:13]
	v_mul_f64 v[12:13], v[4:5], v[12:13]
	s_waitcnt vmcnt(8) lgkmcnt(0)
	v_mul_f64 v[54:55], v[6:7], v[16:17]
	v_mul_f64 v[16:17], v[8:9], v[16:17]
	v_add_f64 v[44:45], v[44:45], 0
	v_add_f64 v[48:49], v[48:49], 0
	v_fma_f64 v[50:51], v[4:5], v[10:11], v[50:51]
	v_fma_f64 v[56:57], v[2:3], v[10:11], -v[12:13]
	ds_load_b128 v[2:5], v1 offset:1216
	scratch_load_b128 v[10:13], off, off offset:416
	v_add_f64 v[44:45], v[44:45], v[52:53]
	v_add_f64 v[46:47], v[48:49], v[46:47]
	v_fma_f64 v[52:53], v[8:9], v[14:15], v[54:55]
	v_fma_f64 v[54:55], v[6:7], v[14:15], -v[16:17]
	scratch_load_b128 v[14:17], off, off offset:432
	ds_load_b128 v[6:9], v1 offset:1232
	s_waitcnt vmcnt(9) lgkmcnt(1)
	v_mul_f64 v[48:49], v[2:3], v[20:21]
	v_mul_f64 v[20:21], v[4:5], v[20:21]
	v_add_f64 v[44:45], v[44:45], v[56:57]
	v_add_f64 v[46:47], v[46:47], v[50:51]
	s_waitcnt vmcnt(8) lgkmcnt(0)
	v_mul_f64 v[50:51], v[6:7], v[24:25]
	v_mul_f64 v[24:25], v[8:9], v[24:25]
	v_fma_f64 v[48:49], v[4:5], v[18:19], v[48:49]
	v_fma_f64 v[56:57], v[2:3], v[18:19], -v[20:21]
	ds_load_b128 v[2:5], v1 offset:1248
	scratch_load_b128 v[18:21], off, off offset:448
	v_add_f64 v[44:45], v[44:45], v[54:55]
	v_add_f64 v[46:47], v[46:47], v[52:53]
	v_fma_f64 v[50:51], v[8:9], v[22:23], v[50:51]
	v_fma_f64 v[54:55], v[6:7], v[22:23], -v[24:25]
	scratch_load_b128 v[22:25], off, off offset:464
	ds_load_b128 v[6:9], v1 offset:1264
	s_waitcnt vmcnt(9) lgkmcnt(1)
	v_mul_f64 v[52:53], v[2:3], v[28:29]
	v_mul_f64 v[28:29], v[4:5], v[28:29]
	v_add_f64 v[44:45], v[44:45], v[56:57]
	v_add_f64 v[46:47], v[46:47], v[48:49]
	s_waitcnt vmcnt(8) lgkmcnt(0)
	v_mul_f64 v[48:49], v[6:7], v[32:33]
	v_mul_f64 v[32:33], v[8:9], v[32:33]
	;; [unrolled: 18-line block ×3, first 2 shown]
	v_fma_f64 v[50:51], v[4:5], v[34:35], v[50:51]
	v_fma_f64 v[58:59], v[2:3], v[34:35], -v[36:37]
	ds_load_b128 v[2:5], v1 offset:1312
	scratch_load_b128 v[34:37], off, off offset:512
	v_add_f64 v[44:45], v[44:45], v[54:55]
	v_add_f64 v[46:47], v[46:47], v[48:49]
	v_fma_f64 v[52:53], v[8:9], v[175:176], v[52:53]
	v_fma_f64 v[54:55], v[6:7], v[175:176], -v[56:57]
	scratch_load_b128 v[175:178], off, off offset:528
	ds_load_b128 v[6:9], v1 offset:1328
	s_waitcnt vmcnt(9) lgkmcnt(1)
	v_mul_f64 v[48:49], v[2:3], v[40:41]
	v_mul_f64 v[40:41], v[4:5], v[40:41]
	s_waitcnt vmcnt(8) lgkmcnt(0)
	v_mul_f64 v[56:57], v[8:9], v[173:174]
	v_add_f64 v[44:45], v[44:45], v[58:59]
	v_add_f64 v[46:47], v[46:47], v[50:51]
	v_mul_f64 v[50:51], v[6:7], v[173:174]
	v_fma_f64 v[48:49], v[4:5], v[38:39], v[48:49]
	v_fma_f64 v[58:59], v[2:3], v[38:39], -v[40:41]
	ds_load_b128 v[2:5], v1 offset:1344
	scratch_load_b128 v[38:41], off, off offset:544
	v_add_f64 v[44:45], v[44:45], v[54:55]
	v_add_f64 v[46:47], v[46:47], v[52:53]
	v_fma_f64 v[50:51], v[8:9], v[171:172], v[50:51]
	v_fma_f64 v[54:55], v[6:7], v[171:172], -v[56:57]
	scratch_load_b128 v[171:174], off, off offset:560
	ds_load_b128 v[6:9], v1 offset:1360
	s_waitcnt vmcnt(9) lgkmcnt(1)
	v_mul_f64 v[52:53], v[2:3], v[12:13]
	v_mul_f64 v[12:13], v[4:5], v[12:13]
	v_add_f64 v[44:45], v[44:45], v[58:59]
	v_add_f64 v[46:47], v[46:47], v[48:49]
	s_waitcnt vmcnt(8) lgkmcnt(0)
	v_mul_f64 v[48:49], v[6:7], v[16:17]
	v_mul_f64 v[16:17], v[8:9], v[16:17]
	v_fma_f64 v[52:53], v[4:5], v[10:11], v[52:53]
	v_fma_f64 v[56:57], v[2:3], v[10:11], -v[12:13]
	ds_load_b128 v[2:5], v1 offset:1376
	scratch_load_b128 v[10:13], off, off offset:576
	v_add_f64 v[44:45], v[44:45], v[54:55]
	v_add_f64 v[46:47], v[46:47], v[50:51]
	v_fma_f64 v[48:49], v[8:9], v[14:15], v[48:49]
	v_fma_f64 v[54:55], v[6:7], v[14:15], -v[16:17]
	scratch_load_b128 v[14:17], off, off offset:592
	ds_load_b128 v[6:9], v1 offset:1392
	s_waitcnt vmcnt(9) lgkmcnt(1)
	v_mul_f64 v[50:51], v[2:3], v[20:21]
	v_mul_f64 v[20:21], v[4:5], v[20:21]
	v_add_f64 v[44:45], v[44:45], v[56:57]
	v_add_f64 v[46:47], v[46:47], v[52:53]
	s_waitcnt vmcnt(8) lgkmcnt(0)
	v_mul_f64 v[52:53], v[6:7], v[24:25]
	;; [unrolled: 18-line block ×4, first 2 shown]
	v_mul_f64 v[56:57], v[8:9], v[177:178]
	v_fma_f64 v[52:53], v[4:5], v[34:35], v[52:53]
	v_fma_f64 v[58:59], v[2:3], v[34:35], -v[36:37]
	ds_load_b128 v[2:5], v1 offset:1472
	scratch_load_b128 v[34:37], off, off offset:672
	v_add_f64 v[44:45], v[44:45], v[54:55]
	v_add_f64 v[46:47], v[46:47], v[50:51]
	v_fma_f64 v[48:49], v[8:9], v[175:176], v[48:49]
	v_fma_f64 v[54:55], v[6:7], v[175:176], -v[56:57]
	scratch_load_b128 v[175:178], off, off offset:688
	ds_load_b128 v[6:9], v1 offset:1488
	s_waitcnt vmcnt(9) lgkmcnt(1)
	v_mul_f64 v[50:51], v[2:3], v[40:41]
	v_mul_f64 v[40:41], v[4:5], v[40:41]
	s_waitcnt vmcnt(8) lgkmcnt(0)
	v_mul_f64 v[56:57], v[8:9], v[173:174]
	v_add_f64 v[44:45], v[44:45], v[58:59]
	v_add_f64 v[46:47], v[46:47], v[52:53]
	v_mul_f64 v[52:53], v[6:7], v[173:174]
	v_fma_f64 v[50:51], v[4:5], v[38:39], v[50:51]
	v_fma_f64 v[58:59], v[2:3], v[38:39], -v[40:41]
	ds_load_b128 v[2:5], v1 offset:1504
	scratch_load_b128 v[38:41], off, off offset:704
	v_add_f64 v[44:45], v[44:45], v[54:55]
	v_add_f64 v[46:47], v[46:47], v[48:49]
	v_fma_f64 v[52:53], v[8:9], v[171:172], v[52:53]
	v_fma_f64 v[54:55], v[6:7], v[171:172], -v[56:57]
	scratch_load_b128 v[171:174], off, off offset:720
	ds_load_b128 v[6:9], v1 offset:1520
	s_waitcnt vmcnt(9) lgkmcnt(1)
	v_mul_f64 v[48:49], v[2:3], v[12:13]
	v_mul_f64 v[12:13], v[4:5], v[12:13]
	v_add_f64 v[44:45], v[44:45], v[58:59]
	v_add_f64 v[46:47], v[46:47], v[50:51]
	s_waitcnt vmcnt(8) lgkmcnt(0)
	v_mul_f64 v[50:51], v[6:7], v[16:17]
	v_mul_f64 v[16:17], v[8:9], v[16:17]
	v_fma_f64 v[48:49], v[4:5], v[10:11], v[48:49]
	v_fma_f64 v[56:57], v[2:3], v[10:11], -v[12:13]
	ds_load_b128 v[2:5], v1 offset:1536
	scratch_load_b128 v[10:13], off, off offset:736
	v_add_f64 v[44:45], v[44:45], v[54:55]
	v_add_f64 v[46:47], v[46:47], v[52:53]
	v_fma_f64 v[50:51], v[8:9], v[14:15], v[50:51]
	v_fma_f64 v[54:55], v[6:7], v[14:15], -v[16:17]
	scratch_load_b128 v[14:17], off, off offset:752
	ds_load_b128 v[6:9], v1 offset:1552
	s_waitcnt vmcnt(9) lgkmcnt(1)
	v_mul_f64 v[52:53], v[2:3], v[20:21]
	v_mul_f64 v[20:21], v[4:5], v[20:21]
	v_add_f64 v[44:45], v[44:45], v[56:57]
	v_add_f64 v[46:47], v[46:47], v[48:49]
	s_waitcnt vmcnt(8) lgkmcnt(0)
	v_mul_f64 v[48:49], v[6:7], v[24:25]
	;; [unrolled: 18-line block ×3, first 2 shown]
	v_mul_f64 v[32:33], v[8:9], v[32:33]
	v_fma_f64 v[50:51], v[4:5], v[26:27], v[50:51]
	v_fma_f64 v[56:57], v[2:3], v[26:27], -v[28:29]
	ds_load_b128 v[2:5], v1 offset:1600
	scratch_load_b128 v[26:29], off, off offset:800
	v_add_f64 v[44:45], v[44:45], v[54:55]
	v_add_f64 v[46:47], v[46:47], v[48:49]
	v_fma_f64 v[52:53], v[8:9], v[30:31], v[52:53]
	v_fma_f64 v[54:55], v[6:7], v[30:31], -v[32:33]
	ds_load_b128 v[6:9], v1 offset:1616
	s_waitcnt vmcnt(8) lgkmcnt(1)
	v_mul_f64 v[48:49], v[2:3], v[36:37]
	v_mul_f64 v[36:37], v[4:5], v[36:37]
	scratch_load_b128 v[30:33], off, off offset:816
	v_add_f64 v[44:45], v[44:45], v[56:57]
	v_add_f64 v[46:47], v[46:47], v[50:51]
	s_waitcnt vmcnt(8) lgkmcnt(0)
	v_mul_f64 v[50:51], v[6:7], v[177:178]
	v_mul_f64 v[56:57], v[8:9], v[177:178]
	v_fma_f64 v[48:49], v[4:5], v[34:35], v[48:49]
	v_fma_f64 v[58:59], v[2:3], v[34:35], -v[36:37]
	ds_load_b128 v[2:5], v1 offset:1632
	scratch_load_b128 v[34:37], off, off offset:832
	v_add_f64 v[44:45], v[44:45], v[54:55]
	v_add_f64 v[46:47], v[46:47], v[52:53]
	v_fma_f64 v[50:51], v[8:9], v[175:176], v[50:51]
	v_fma_f64 v[54:55], v[6:7], v[175:176], -v[56:57]
	ds_load_b128 v[6:9], v1 offset:1648
	s_waitcnt vmcnt(8) lgkmcnt(1)
	v_mul_f64 v[52:53], v[2:3], v[40:41]
	v_mul_f64 v[40:41], v[4:5], v[40:41]
	scratch_load_b128 v[175:178], off, off offset:848
	s_waitcnt vmcnt(8) lgkmcnt(0)
	v_mul_f64 v[56:57], v[8:9], v[173:174]
	v_add_f64 v[44:45], v[44:45], v[58:59]
	v_add_f64 v[46:47], v[46:47], v[48:49]
	v_mul_f64 v[48:49], v[6:7], v[173:174]
	v_fma_f64 v[52:53], v[4:5], v[38:39], v[52:53]
	v_fma_f64 v[58:59], v[2:3], v[38:39], -v[40:41]
	scratch_load_b128 v[38:41], off, off offset:864
	ds_load_b128 v[2:5], v1 offset:1664
	v_add_f64 v[44:45], v[44:45], v[54:55]
	v_add_f64 v[46:47], v[46:47], v[50:51]
	v_fma_f64 v[48:49], v[8:9], v[171:172], v[48:49]
	v_fma_f64 v[54:55], v[6:7], v[171:172], -v[56:57]
	ds_load_b128 v[6:9], v1 offset:1680
	s_waitcnt vmcnt(8) lgkmcnt(1)
	v_mul_f64 v[50:51], v[2:3], v[12:13]
	v_mul_f64 v[12:13], v[4:5], v[12:13]
	scratch_load_b128 v[171:174], off, off offset:880
	v_add_f64 v[44:45], v[44:45], v[58:59]
	v_add_f64 v[46:47], v[46:47], v[52:53]
	s_waitcnt vmcnt(8) lgkmcnt(0)
	v_mul_f64 v[52:53], v[6:7], v[16:17]
	v_mul_f64 v[16:17], v[8:9], v[16:17]
	v_fma_f64 v[50:51], v[4:5], v[10:11], v[50:51]
	v_fma_f64 v[56:57], v[2:3], v[10:11], -v[12:13]
	scratch_load_b128 v[10:13], off, off offset:896
	ds_load_b128 v[2:5], v1 offset:1696
	v_add_f64 v[44:45], v[44:45], v[54:55]
	v_add_f64 v[46:47], v[46:47], v[48:49]
	v_fma_f64 v[52:53], v[8:9], v[14:15], v[52:53]
	v_fma_f64 v[54:55], v[6:7], v[14:15], -v[16:17]
	ds_load_b128 v[6:9], v1 offset:1712
	s_waitcnt vmcnt(8) lgkmcnt(1)
	v_mul_f64 v[48:49], v[2:3], v[20:21]
	v_mul_f64 v[20:21], v[4:5], v[20:21]
	scratch_load_b128 v[14:17], off, off offset:912
	v_add_f64 v[44:45], v[44:45], v[56:57]
	v_add_f64 v[46:47], v[46:47], v[50:51]
	s_waitcnt vmcnt(8) lgkmcnt(0)
	v_mul_f64 v[50:51], v[6:7], v[24:25]
	v_mul_f64 v[24:25], v[8:9], v[24:25]
	v_fma_f64 v[48:49], v[4:5], v[18:19], v[48:49]
	v_fma_f64 v[18:19], v[2:3], v[18:19], -v[20:21]
	ds_load_b128 v[2:5], v1 offset:1728
	v_add_f64 v[20:21], v[44:45], v[54:55]
	v_add_f64 v[44:45], v[46:47], v[52:53]
	v_fma_f64 v[50:51], v[8:9], v[22:23], v[50:51]
	v_fma_f64 v[22:23], v[6:7], v[22:23], -v[24:25]
	ds_load_b128 v[6:9], v1 offset:1744
	s_waitcnt vmcnt(7) lgkmcnt(1)
	v_mul_f64 v[46:47], v[2:3], v[28:29]
	v_mul_f64 v[28:29], v[4:5], v[28:29]
	v_add_f64 v[18:19], v[20:21], v[18:19]
	v_add_f64 v[20:21], v[44:45], v[48:49]
	s_delay_alu instid0(VALU_DEP_4) | instskip(NEXT) | instid1(VALU_DEP_4)
	v_fma_f64 v[44:45], v[4:5], v[26:27], v[46:47]
	v_fma_f64 v[26:27], v[2:3], v[26:27], -v[28:29]
	ds_load_b128 v[2:5], v1 offset:1760
	v_add_f64 v[22:23], v[18:19], v[22:23]
	v_add_f64 v[28:29], v[20:21], v[50:51]
	scratch_load_b128 v[18:21], off, off offset:208
	s_waitcnt vmcnt(7) lgkmcnt(1)
	v_mul_f64 v[24:25], v[6:7], v[32:33]
	v_mul_f64 v[32:33], v[8:9], v[32:33]
	v_add_f64 v[22:23], v[22:23], v[26:27]
	v_add_f64 v[26:27], v[28:29], v[44:45]
	s_delay_alu instid0(VALU_DEP_4) | instskip(NEXT) | instid1(VALU_DEP_4)
	v_fma_f64 v[24:25], v[8:9], v[30:31], v[24:25]
	v_fma_f64 v[30:31], v[6:7], v[30:31], -v[32:33]
	ds_load_b128 v[6:9], v1 offset:1776
	s_waitcnt vmcnt(6) lgkmcnt(1)
	v_mul_f64 v[46:47], v[2:3], v[36:37]
	v_mul_f64 v[36:37], v[4:5], v[36:37]
	s_waitcnt vmcnt(5) lgkmcnt(0)
	v_mul_f64 v[28:29], v[6:7], v[177:178]
	v_mul_f64 v[32:33], v[8:9], v[177:178]
	v_add_f64 v[24:25], v[26:27], v[24:25]
	v_add_f64 v[22:23], v[22:23], v[30:31]
	v_fma_f64 v[44:45], v[4:5], v[34:35], v[46:47]
	v_fma_f64 v[34:35], v[2:3], v[34:35], -v[36:37]
	ds_load_b128 v[2:5], v1 offset:1792
	v_fma_f64 v[28:29], v[8:9], v[175:176], v[28:29]
	v_fma_f64 v[32:33], v[6:7], v[175:176], -v[32:33]
	ds_load_b128 v[6:9], v1 offset:1808
	s_waitcnt vmcnt(4) lgkmcnt(1)
	v_mul_f64 v[26:27], v[2:3], v[40:41]
	v_mul_f64 v[30:31], v[4:5], v[40:41]
	v_add_f64 v[24:25], v[24:25], v[44:45]
	v_add_f64 v[22:23], v[22:23], v[34:35]
	s_waitcnt vmcnt(3) lgkmcnt(0)
	v_mul_f64 v[34:35], v[6:7], v[173:174]
	v_mul_f64 v[36:37], v[8:9], v[173:174]
	v_fma_f64 v[26:27], v[4:5], v[38:39], v[26:27]
	v_fma_f64 v[30:31], v[2:3], v[38:39], -v[30:31]
	ds_load_b128 v[2:5], v1 offset:1824
	v_add_f64 v[24:25], v[24:25], v[28:29]
	v_add_f64 v[22:23], v[22:23], v[32:33]
	v_fma_f64 v[32:33], v[8:9], v[171:172], v[34:35]
	v_fma_f64 v[34:35], v[6:7], v[171:172], -v[36:37]
	ds_load_b128 v[6:9], v1 offset:1840
	s_waitcnt vmcnt(2) lgkmcnt(1)
	v_mul_f64 v[28:29], v[2:3], v[12:13]
	v_mul_f64 v[12:13], v[4:5], v[12:13]
	v_add_f64 v[24:25], v[24:25], v[26:27]
	v_add_f64 v[22:23], v[22:23], v[30:31]
	s_waitcnt vmcnt(1) lgkmcnt(0)
	v_mul_f64 v[26:27], v[6:7], v[16:17]
	v_mul_f64 v[16:17], v[8:9], v[16:17]
	v_fma_f64 v[4:5], v[4:5], v[10:11], v[28:29]
	v_fma_f64 v[1:2], v[2:3], v[10:11], -v[12:13]
	v_add_f64 v[12:13], v[24:25], v[32:33]
	v_add_f64 v[10:11], v[22:23], v[34:35]
	v_fma_f64 v[8:9], v[8:9], v[14:15], v[26:27]
	v_fma_f64 v[6:7], v[6:7], v[14:15], -v[16:17]
	s_delay_alu instid0(VALU_DEP_4) | instskip(NEXT) | instid1(VALU_DEP_4)
	v_add_f64 v[3:4], v[12:13], v[4:5]
	v_add_f64 v[1:2], v[10:11], v[1:2]
	s_delay_alu instid0(VALU_DEP_2) | instskip(NEXT) | instid1(VALU_DEP_2)
	v_add_f64 v[3:4], v[3:4], v[8:9]
	v_add_f64 v[1:2], v[1:2], v[6:7]
	s_waitcnt vmcnt(0)
	s_delay_alu instid0(VALU_DEP_2) | instskip(NEXT) | instid1(VALU_DEP_2)
	v_add_f64 v[3:4], v[20:21], -v[3:4]
	v_add_f64 v[1:2], v[18:19], -v[1:2]
	scratch_store_b128 off, v[1:4], off offset:208
	v_cmpx_lt_u32_e32 12, v158
	s_cbranch_execz .LBB121_337
; %bb.336:
	scratch_load_b128 v[1:4], v204, off
	v_mov_b32_e32 v5, 0
	s_delay_alu instid0(VALU_DEP_1)
	v_mov_b32_e32 v6, v5
	v_mov_b32_e32 v7, v5
	;; [unrolled: 1-line block ×3, first 2 shown]
	scratch_store_b128 off, v[5:8], off offset:192
	s_waitcnt vmcnt(0)
	ds_store_b128 v216, v[1:4]
.LBB121_337:
	s_or_b32 exec_lo, exec_lo, s2
	s_waitcnt lgkmcnt(0)
	s_waitcnt_vscnt null, 0x0
	s_barrier
	buffer_gl0_inv
	s_clause 0x7
	scratch_load_b128 v[2:5], off, off offset:208
	scratch_load_b128 v[6:9], off, off offset:224
	scratch_load_b128 v[10:13], off, off offset:240
	scratch_load_b128 v[14:17], off, off offset:256
	scratch_load_b128 v[18:21], off, off offset:272
	scratch_load_b128 v[22:25], off, off offset:288
	scratch_load_b128 v[26:29], off, off offset:304
	scratch_load_b128 v[30:33], off, off offset:320
	v_mov_b32_e32 v1, 0
	s_clause 0x1
	scratch_load_b128 v[34:37], off, off offset:336
	scratch_load_b128 v[175:178], off, off offset:352
	s_mov_b32 s2, exec_lo
	ds_load_b128 v[38:41], v1 offset:1136
	ds_load_b128 v[171:174], v1 offset:1152
	s_waitcnt vmcnt(9) lgkmcnt(1)
	v_mul_f64 v[44:45], v[40:41], v[4:5]
	v_mul_f64 v[4:5], v[38:39], v[4:5]
	s_waitcnt vmcnt(8) lgkmcnt(0)
	v_mul_f64 v[46:47], v[171:172], v[8:9]
	v_mul_f64 v[8:9], v[173:174], v[8:9]
	s_delay_alu instid0(VALU_DEP_4) | instskip(NEXT) | instid1(VALU_DEP_4)
	v_fma_f64 v[44:45], v[38:39], v[2:3], -v[44:45]
	v_fma_f64 v[48:49], v[40:41], v[2:3], v[4:5]
	ds_load_b128 v[2:5], v1 offset:1168
	scratch_load_b128 v[38:41], off, off offset:368
	v_fma_f64 v[46:47], v[173:174], v[6:7], v[46:47]
	v_fma_f64 v[52:53], v[171:172], v[6:7], -v[8:9]
	scratch_load_b128 v[171:174], off, off offset:384
	ds_load_b128 v[6:9], v1 offset:1184
	s_waitcnt vmcnt(9) lgkmcnt(1)
	v_mul_f64 v[50:51], v[2:3], v[12:13]
	v_mul_f64 v[12:13], v[4:5], v[12:13]
	s_waitcnt vmcnt(8) lgkmcnt(0)
	v_mul_f64 v[54:55], v[6:7], v[16:17]
	v_mul_f64 v[16:17], v[8:9], v[16:17]
	v_add_f64 v[44:45], v[44:45], 0
	v_add_f64 v[48:49], v[48:49], 0
	v_fma_f64 v[50:51], v[4:5], v[10:11], v[50:51]
	v_fma_f64 v[56:57], v[2:3], v[10:11], -v[12:13]
	ds_load_b128 v[2:5], v1 offset:1200
	scratch_load_b128 v[10:13], off, off offset:400
	v_add_f64 v[44:45], v[44:45], v[52:53]
	v_add_f64 v[46:47], v[48:49], v[46:47]
	v_fma_f64 v[52:53], v[8:9], v[14:15], v[54:55]
	v_fma_f64 v[54:55], v[6:7], v[14:15], -v[16:17]
	scratch_load_b128 v[14:17], off, off offset:416
	ds_load_b128 v[6:9], v1 offset:1216
	s_waitcnt vmcnt(9) lgkmcnt(1)
	v_mul_f64 v[48:49], v[2:3], v[20:21]
	v_mul_f64 v[20:21], v[4:5], v[20:21]
	v_add_f64 v[44:45], v[44:45], v[56:57]
	v_add_f64 v[46:47], v[46:47], v[50:51]
	s_waitcnt vmcnt(8) lgkmcnt(0)
	v_mul_f64 v[50:51], v[6:7], v[24:25]
	v_mul_f64 v[24:25], v[8:9], v[24:25]
	v_fma_f64 v[48:49], v[4:5], v[18:19], v[48:49]
	v_fma_f64 v[56:57], v[2:3], v[18:19], -v[20:21]
	ds_load_b128 v[2:5], v1 offset:1232
	scratch_load_b128 v[18:21], off, off offset:432
	v_add_f64 v[44:45], v[44:45], v[54:55]
	v_add_f64 v[46:47], v[46:47], v[52:53]
	v_fma_f64 v[50:51], v[8:9], v[22:23], v[50:51]
	v_fma_f64 v[54:55], v[6:7], v[22:23], -v[24:25]
	scratch_load_b128 v[22:25], off, off offset:448
	ds_load_b128 v[6:9], v1 offset:1248
	s_waitcnt vmcnt(9) lgkmcnt(1)
	v_mul_f64 v[52:53], v[2:3], v[28:29]
	v_mul_f64 v[28:29], v[4:5], v[28:29]
	v_add_f64 v[44:45], v[44:45], v[56:57]
	v_add_f64 v[46:47], v[46:47], v[48:49]
	s_waitcnt vmcnt(8) lgkmcnt(0)
	v_mul_f64 v[48:49], v[6:7], v[32:33]
	v_mul_f64 v[32:33], v[8:9], v[32:33]
	;; [unrolled: 18-line block ×3, first 2 shown]
	v_fma_f64 v[50:51], v[4:5], v[34:35], v[50:51]
	v_fma_f64 v[58:59], v[2:3], v[34:35], -v[36:37]
	ds_load_b128 v[2:5], v1 offset:1296
	scratch_load_b128 v[34:37], off, off offset:496
	v_add_f64 v[44:45], v[44:45], v[54:55]
	v_add_f64 v[46:47], v[46:47], v[48:49]
	v_fma_f64 v[52:53], v[8:9], v[175:176], v[52:53]
	v_fma_f64 v[54:55], v[6:7], v[175:176], -v[56:57]
	scratch_load_b128 v[175:178], off, off offset:512
	ds_load_b128 v[6:9], v1 offset:1312
	s_waitcnt vmcnt(9) lgkmcnt(1)
	v_mul_f64 v[48:49], v[2:3], v[40:41]
	v_mul_f64 v[40:41], v[4:5], v[40:41]
	s_waitcnt vmcnt(8) lgkmcnt(0)
	v_mul_f64 v[56:57], v[8:9], v[173:174]
	v_add_f64 v[44:45], v[44:45], v[58:59]
	v_add_f64 v[46:47], v[46:47], v[50:51]
	v_mul_f64 v[50:51], v[6:7], v[173:174]
	v_fma_f64 v[48:49], v[4:5], v[38:39], v[48:49]
	v_fma_f64 v[58:59], v[2:3], v[38:39], -v[40:41]
	ds_load_b128 v[2:5], v1 offset:1328
	scratch_load_b128 v[38:41], off, off offset:528
	v_add_f64 v[44:45], v[44:45], v[54:55]
	v_add_f64 v[46:47], v[46:47], v[52:53]
	v_fma_f64 v[50:51], v[8:9], v[171:172], v[50:51]
	v_fma_f64 v[54:55], v[6:7], v[171:172], -v[56:57]
	scratch_load_b128 v[171:174], off, off offset:544
	ds_load_b128 v[6:9], v1 offset:1344
	s_waitcnt vmcnt(9) lgkmcnt(1)
	v_mul_f64 v[52:53], v[2:3], v[12:13]
	v_mul_f64 v[12:13], v[4:5], v[12:13]
	v_add_f64 v[44:45], v[44:45], v[58:59]
	v_add_f64 v[46:47], v[46:47], v[48:49]
	s_waitcnt vmcnt(8) lgkmcnt(0)
	v_mul_f64 v[48:49], v[6:7], v[16:17]
	v_mul_f64 v[16:17], v[8:9], v[16:17]
	v_fma_f64 v[52:53], v[4:5], v[10:11], v[52:53]
	v_fma_f64 v[56:57], v[2:3], v[10:11], -v[12:13]
	ds_load_b128 v[2:5], v1 offset:1360
	scratch_load_b128 v[10:13], off, off offset:560
	v_add_f64 v[44:45], v[44:45], v[54:55]
	v_add_f64 v[46:47], v[46:47], v[50:51]
	v_fma_f64 v[48:49], v[8:9], v[14:15], v[48:49]
	v_fma_f64 v[54:55], v[6:7], v[14:15], -v[16:17]
	scratch_load_b128 v[14:17], off, off offset:576
	ds_load_b128 v[6:9], v1 offset:1376
	s_waitcnt vmcnt(9) lgkmcnt(1)
	v_mul_f64 v[50:51], v[2:3], v[20:21]
	v_mul_f64 v[20:21], v[4:5], v[20:21]
	v_add_f64 v[44:45], v[44:45], v[56:57]
	v_add_f64 v[46:47], v[46:47], v[52:53]
	s_waitcnt vmcnt(8) lgkmcnt(0)
	v_mul_f64 v[52:53], v[6:7], v[24:25]
	;; [unrolled: 18-line block ×4, first 2 shown]
	v_mul_f64 v[56:57], v[8:9], v[177:178]
	v_fma_f64 v[52:53], v[4:5], v[34:35], v[52:53]
	v_fma_f64 v[58:59], v[2:3], v[34:35], -v[36:37]
	ds_load_b128 v[2:5], v1 offset:1456
	scratch_load_b128 v[34:37], off, off offset:656
	v_add_f64 v[44:45], v[44:45], v[54:55]
	v_add_f64 v[46:47], v[46:47], v[50:51]
	v_fma_f64 v[48:49], v[8:9], v[175:176], v[48:49]
	v_fma_f64 v[54:55], v[6:7], v[175:176], -v[56:57]
	scratch_load_b128 v[175:178], off, off offset:672
	ds_load_b128 v[6:9], v1 offset:1472
	s_waitcnt vmcnt(9) lgkmcnt(1)
	v_mul_f64 v[50:51], v[2:3], v[40:41]
	v_mul_f64 v[40:41], v[4:5], v[40:41]
	s_waitcnt vmcnt(8) lgkmcnt(0)
	v_mul_f64 v[56:57], v[8:9], v[173:174]
	v_add_f64 v[44:45], v[44:45], v[58:59]
	v_add_f64 v[46:47], v[46:47], v[52:53]
	v_mul_f64 v[52:53], v[6:7], v[173:174]
	v_fma_f64 v[50:51], v[4:5], v[38:39], v[50:51]
	v_fma_f64 v[58:59], v[2:3], v[38:39], -v[40:41]
	ds_load_b128 v[2:5], v1 offset:1488
	scratch_load_b128 v[38:41], off, off offset:688
	v_add_f64 v[44:45], v[44:45], v[54:55]
	v_add_f64 v[46:47], v[46:47], v[48:49]
	v_fma_f64 v[52:53], v[8:9], v[171:172], v[52:53]
	v_fma_f64 v[54:55], v[6:7], v[171:172], -v[56:57]
	scratch_load_b128 v[171:174], off, off offset:704
	ds_load_b128 v[6:9], v1 offset:1504
	s_waitcnt vmcnt(9) lgkmcnt(1)
	v_mul_f64 v[48:49], v[2:3], v[12:13]
	v_mul_f64 v[12:13], v[4:5], v[12:13]
	v_add_f64 v[44:45], v[44:45], v[58:59]
	v_add_f64 v[46:47], v[46:47], v[50:51]
	s_waitcnt vmcnt(8) lgkmcnt(0)
	v_mul_f64 v[50:51], v[6:7], v[16:17]
	v_mul_f64 v[16:17], v[8:9], v[16:17]
	v_fma_f64 v[48:49], v[4:5], v[10:11], v[48:49]
	v_fma_f64 v[56:57], v[2:3], v[10:11], -v[12:13]
	ds_load_b128 v[2:5], v1 offset:1520
	scratch_load_b128 v[10:13], off, off offset:720
	v_add_f64 v[44:45], v[44:45], v[54:55]
	v_add_f64 v[46:47], v[46:47], v[52:53]
	v_fma_f64 v[50:51], v[8:9], v[14:15], v[50:51]
	v_fma_f64 v[54:55], v[6:7], v[14:15], -v[16:17]
	scratch_load_b128 v[14:17], off, off offset:736
	ds_load_b128 v[6:9], v1 offset:1536
	s_waitcnt vmcnt(9) lgkmcnt(1)
	v_mul_f64 v[52:53], v[2:3], v[20:21]
	v_mul_f64 v[20:21], v[4:5], v[20:21]
	v_add_f64 v[44:45], v[44:45], v[56:57]
	v_add_f64 v[46:47], v[46:47], v[48:49]
	s_waitcnt vmcnt(8) lgkmcnt(0)
	v_mul_f64 v[48:49], v[6:7], v[24:25]
	;; [unrolled: 18-line block ×4, first 2 shown]
	v_mul_f64 v[56:57], v[8:9], v[177:178]
	v_fma_f64 v[48:49], v[4:5], v[34:35], v[48:49]
	v_fma_f64 v[58:59], v[2:3], v[34:35], -v[36:37]
	ds_load_b128 v[2:5], v1 offset:1616
	scratch_load_b128 v[34:37], off, off offset:816
	v_add_f64 v[44:45], v[44:45], v[54:55]
	v_add_f64 v[46:47], v[46:47], v[52:53]
	v_fma_f64 v[50:51], v[8:9], v[175:176], v[50:51]
	v_fma_f64 v[54:55], v[6:7], v[175:176], -v[56:57]
	ds_load_b128 v[6:9], v1 offset:1632
	s_waitcnt vmcnt(8) lgkmcnt(1)
	v_mul_f64 v[52:53], v[2:3], v[40:41]
	v_mul_f64 v[40:41], v[4:5], v[40:41]
	scratch_load_b128 v[175:178], off, off offset:832
	s_waitcnt vmcnt(8) lgkmcnt(0)
	v_mul_f64 v[56:57], v[8:9], v[173:174]
	v_add_f64 v[44:45], v[44:45], v[58:59]
	v_add_f64 v[46:47], v[46:47], v[48:49]
	v_mul_f64 v[48:49], v[6:7], v[173:174]
	v_fma_f64 v[52:53], v[4:5], v[38:39], v[52:53]
	v_fma_f64 v[58:59], v[2:3], v[38:39], -v[40:41]
	scratch_load_b128 v[38:41], off, off offset:848
	ds_load_b128 v[2:5], v1 offset:1648
	v_add_f64 v[44:45], v[44:45], v[54:55]
	v_add_f64 v[46:47], v[46:47], v[50:51]
	v_fma_f64 v[48:49], v[8:9], v[171:172], v[48:49]
	v_fma_f64 v[54:55], v[6:7], v[171:172], -v[56:57]
	ds_load_b128 v[6:9], v1 offset:1664
	s_waitcnt vmcnt(8) lgkmcnt(1)
	v_mul_f64 v[50:51], v[2:3], v[12:13]
	v_mul_f64 v[12:13], v[4:5], v[12:13]
	scratch_load_b128 v[171:174], off, off offset:864
	v_add_f64 v[44:45], v[44:45], v[58:59]
	v_add_f64 v[46:47], v[46:47], v[52:53]
	s_waitcnt vmcnt(8) lgkmcnt(0)
	v_mul_f64 v[52:53], v[6:7], v[16:17]
	v_mul_f64 v[16:17], v[8:9], v[16:17]
	v_fma_f64 v[50:51], v[4:5], v[10:11], v[50:51]
	v_fma_f64 v[56:57], v[2:3], v[10:11], -v[12:13]
	scratch_load_b128 v[10:13], off, off offset:880
	ds_load_b128 v[2:5], v1 offset:1680
	v_add_f64 v[44:45], v[44:45], v[54:55]
	v_add_f64 v[46:47], v[46:47], v[48:49]
	v_fma_f64 v[52:53], v[8:9], v[14:15], v[52:53]
	v_fma_f64 v[54:55], v[6:7], v[14:15], -v[16:17]
	ds_load_b128 v[6:9], v1 offset:1696
	s_waitcnt vmcnt(8) lgkmcnt(1)
	v_mul_f64 v[48:49], v[2:3], v[20:21]
	v_mul_f64 v[20:21], v[4:5], v[20:21]
	scratch_load_b128 v[14:17], off, off offset:896
	v_add_f64 v[44:45], v[44:45], v[56:57]
	v_add_f64 v[46:47], v[46:47], v[50:51]
	s_waitcnt vmcnt(8) lgkmcnt(0)
	v_mul_f64 v[50:51], v[6:7], v[24:25]
	v_mul_f64 v[24:25], v[8:9], v[24:25]
	v_fma_f64 v[48:49], v[4:5], v[18:19], v[48:49]
	v_fma_f64 v[56:57], v[2:3], v[18:19], -v[20:21]
	scratch_load_b128 v[18:21], off, off offset:912
	ds_load_b128 v[2:5], v1 offset:1712
	v_add_f64 v[44:45], v[44:45], v[54:55]
	v_add_f64 v[46:47], v[46:47], v[52:53]
	v_fma_f64 v[50:51], v[8:9], v[22:23], v[50:51]
	v_fma_f64 v[22:23], v[6:7], v[22:23], -v[24:25]
	ds_load_b128 v[6:9], v1 offset:1728
	s_waitcnt vmcnt(8) lgkmcnt(1)
	v_mul_f64 v[52:53], v[2:3], v[28:29]
	v_mul_f64 v[28:29], v[4:5], v[28:29]
	v_add_f64 v[24:25], v[44:45], v[56:57]
	v_add_f64 v[44:45], v[46:47], v[48:49]
	s_waitcnt vmcnt(7) lgkmcnt(0)
	v_mul_f64 v[46:47], v[6:7], v[32:33]
	v_mul_f64 v[32:33], v[8:9], v[32:33]
	v_fma_f64 v[48:49], v[4:5], v[26:27], v[52:53]
	v_fma_f64 v[26:27], v[2:3], v[26:27], -v[28:29]
	ds_load_b128 v[2:5], v1 offset:1744
	v_add_f64 v[22:23], v[24:25], v[22:23]
	v_add_f64 v[24:25], v[44:45], v[50:51]
	v_fma_f64 v[44:45], v[8:9], v[30:31], v[46:47]
	v_fma_f64 v[30:31], v[6:7], v[30:31], -v[32:33]
	ds_load_b128 v[6:9], v1 offset:1760
	s_waitcnt vmcnt(5) lgkmcnt(0)
	v_mul_f64 v[46:47], v[6:7], v[177:178]
	v_add_f64 v[26:27], v[22:23], v[26:27]
	v_add_f64 v[32:33], v[24:25], v[48:49]
	scratch_load_b128 v[22:25], off, off offset:192
	v_mul_f64 v[28:29], v[2:3], v[36:37]
	v_mul_f64 v[36:37], v[4:5], v[36:37]
	v_mul_f64 v[48:49], v[8:9], v[177:178]
	v_add_f64 v[26:27], v[26:27], v[30:31]
	v_add_f64 v[30:31], v[32:33], v[44:45]
	v_fma_f64 v[28:29], v[4:5], v[34:35], v[28:29]
	v_fma_f64 v[34:35], v[2:3], v[34:35], -v[36:37]
	ds_load_b128 v[2:5], v1 offset:1776
	v_fma_f64 v[44:45], v[6:7], v[175:176], -v[48:49]
	s_waitcnt vmcnt(5) lgkmcnt(0)
	v_mul_f64 v[32:33], v[2:3], v[40:41]
	v_mul_f64 v[36:37], v[4:5], v[40:41]
	v_fma_f64 v[40:41], v[8:9], v[175:176], v[46:47]
	ds_load_b128 v[6:9], v1 offset:1792
	v_add_f64 v[28:29], v[30:31], v[28:29]
	v_add_f64 v[26:27], v[26:27], v[34:35]
	v_fma_f64 v[32:33], v[4:5], v[38:39], v[32:33]
	v_fma_f64 v[36:37], v[2:3], v[38:39], -v[36:37]
	ds_load_b128 v[2:5], v1 offset:1808
	s_waitcnt vmcnt(4) lgkmcnt(1)
	v_mul_f64 v[30:31], v[6:7], v[173:174]
	v_mul_f64 v[34:35], v[8:9], v[173:174]
	v_add_f64 v[28:29], v[28:29], v[40:41]
	v_add_f64 v[26:27], v[26:27], v[44:45]
	s_waitcnt vmcnt(3) lgkmcnt(0)
	v_mul_f64 v[38:39], v[2:3], v[12:13]
	v_mul_f64 v[12:13], v[4:5], v[12:13]
	v_fma_f64 v[30:31], v[8:9], v[171:172], v[30:31]
	v_fma_f64 v[34:35], v[6:7], v[171:172], -v[34:35]
	ds_load_b128 v[6:9], v1 offset:1824
	v_add_f64 v[28:29], v[28:29], v[32:33]
	v_add_f64 v[26:27], v[26:27], v[36:37]
	v_fma_f64 v[36:37], v[4:5], v[10:11], v[38:39]
	v_fma_f64 v[10:11], v[2:3], v[10:11], -v[12:13]
	ds_load_b128 v[2:5], v1 offset:1840
	s_waitcnt vmcnt(2) lgkmcnt(1)
	v_mul_f64 v[32:33], v[6:7], v[16:17]
	v_mul_f64 v[16:17], v[8:9], v[16:17]
	v_add_f64 v[12:13], v[26:27], v[34:35]
	v_add_f64 v[26:27], v[28:29], v[30:31]
	s_waitcnt vmcnt(1) lgkmcnt(0)
	v_mul_f64 v[28:29], v[2:3], v[20:21]
	v_mul_f64 v[20:21], v[4:5], v[20:21]
	v_fma_f64 v[8:9], v[8:9], v[14:15], v[32:33]
	v_fma_f64 v[6:7], v[6:7], v[14:15], -v[16:17]
	v_add_f64 v[10:11], v[12:13], v[10:11]
	v_add_f64 v[12:13], v[26:27], v[36:37]
	v_fma_f64 v[4:5], v[4:5], v[18:19], v[28:29]
	v_fma_f64 v[2:3], v[2:3], v[18:19], -v[20:21]
	s_delay_alu instid0(VALU_DEP_4) | instskip(NEXT) | instid1(VALU_DEP_4)
	v_add_f64 v[6:7], v[10:11], v[6:7]
	v_add_f64 v[8:9], v[12:13], v[8:9]
	s_delay_alu instid0(VALU_DEP_2) | instskip(NEXT) | instid1(VALU_DEP_2)
	v_add_f64 v[2:3], v[6:7], v[2:3]
	v_add_f64 v[4:5], v[8:9], v[4:5]
	s_waitcnt vmcnt(0)
	s_delay_alu instid0(VALU_DEP_2) | instskip(NEXT) | instid1(VALU_DEP_2)
	v_add_f64 v[2:3], v[22:23], -v[2:3]
	v_add_f64 v[4:5], v[24:25], -v[4:5]
	scratch_store_b128 off, v[2:5], off offset:192
	v_cmpx_lt_u32_e32 11, v158
	s_cbranch_execz .LBB121_339
; %bb.338:
	scratch_load_b128 v[5:8], v205, off
	v_mov_b32_e32 v2, v1
	v_mov_b32_e32 v3, v1
	;; [unrolled: 1-line block ×3, first 2 shown]
	scratch_store_b128 off, v[1:4], off offset:176
	s_waitcnt vmcnt(0)
	ds_store_b128 v216, v[5:8]
.LBB121_339:
	s_or_b32 exec_lo, exec_lo, s2
	s_waitcnt lgkmcnt(0)
	s_waitcnt_vscnt null, 0x0
	s_barrier
	buffer_gl0_inv
	s_clause 0x7
	scratch_load_b128 v[2:5], off, off offset:192
	scratch_load_b128 v[6:9], off, off offset:208
	;; [unrolled: 1-line block ×8, first 2 shown]
	ds_load_b128 v[38:41], v1 offset:1120
	ds_load_b128 v[171:174], v1 offset:1136
	s_clause 0x1
	scratch_load_b128 v[34:37], off, off offset:320
	scratch_load_b128 v[175:178], off, off offset:336
	s_mov_b32 s2, exec_lo
	s_waitcnt vmcnt(9) lgkmcnt(1)
	v_mul_f64 v[44:45], v[40:41], v[4:5]
	v_mul_f64 v[4:5], v[38:39], v[4:5]
	s_waitcnt vmcnt(8) lgkmcnt(0)
	v_mul_f64 v[46:47], v[171:172], v[8:9]
	v_mul_f64 v[8:9], v[173:174], v[8:9]
	s_delay_alu instid0(VALU_DEP_4) | instskip(NEXT) | instid1(VALU_DEP_4)
	v_fma_f64 v[44:45], v[38:39], v[2:3], -v[44:45]
	v_fma_f64 v[48:49], v[40:41], v[2:3], v[4:5]
	ds_load_b128 v[2:5], v1 offset:1152
	scratch_load_b128 v[38:41], off, off offset:352
	v_fma_f64 v[46:47], v[173:174], v[6:7], v[46:47]
	v_fma_f64 v[52:53], v[171:172], v[6:7], -v[8:9]
	scratch_load_b128 v[171:174], off, off offset:368
	ds_load_b128 v[6:9], v1 offset:1168
	s_waitcnt vmcnt(9) lgkmcnt(1)
	v_mul_f64 v[50:51], v[2:3], v[12:13]
	v_mul_f64 v[12:13], v[4:5], v[12:13]
	s_waitcnt vmcnt(8) lgkmcnt(0)
	v_mul_f64 v[54:55], v[6:7], v[16:17]
	v_mul_f64 v[16:17], v[8:9], v[16:17]
	v_add_f64 v[44:45], v[44:45], 0
	v_add_f64 v[48:49], v[48:49], 0
	v_fma_f64 v[50:51], v[4:5], v[10:11], v[50:51]
	v_fma_f64 v[56:57], v[2:3], v[10:11], -v[12:13]
	ds_load_b128 v[2:5], v1 offset:1184
	scratch_load_b128 v[10:13], off, off offset:384
	v_add_f64 v[44:45], v[44:45], v[52:53]
	v_add_f64 v[46:47], v[48:49], v[46:47]
	v_fma_f64 v[52:53], v[8:9], v[14:15], v[54:55]
	v_fma_f64 v[54:55], v[6:7], v[14:15], -v[16:17]
	scratch_load_b128 v[14:17], off, off offset:400
	ds_load_b128 v[6:9], v1 offset:1200
	s_waitcnt vmcnt(9) lgkmcnt(1)
	v_mul_f64 v[48:49], v[2:3], v[20:21]
	v_mul_f64 v[20:21], v[4:5], v[20:21]
	v_add_f64 v[44:45], v[44:45], v[56:57]
	v_add_f64 v[46:47], v[46:47], v[50:51]
	s_waitcnt vmcnt(8) lgkmcnt(0)
	v_mul_f64 v[50:51], v[6:7], v[24:25]
	v_mul_f64 v[24:25], v[8:9], v[24:25]
	v_fma_f64 v[48:49], v[4:5], v[18:19], v[48:49]
	v_fma_f64 v[56:57], v[2:3], v[18:19], -v[20:21]
	ds_load_b128 v[2:5], v1 offset:1216
	scratch_load_b128 v[18:21], off, off offset:416
	v_add_f64 v[44:45], v[44:45], v[54:55]
	v_add_f64 v[46:47], v[46:47], v[52:53]
	v_fma_f64 v[50:51], v[8:9], v[22:23], v[50:51]
	v_fma_f64 v[54:55], v[6:7], v[22:23], -v[24:25]
	scratch_load_b128 v[22:25], off, off offset:432
	ds_load_b128 v[6:9], v1 offset:1232
	s_waitcnt vmcnt(9) lgkmcnt(1)
	v_mul_f64 v[52:53], v[2:3], v[28:29]
	v_mul_f64 v[28:29], v[4:5], v[28:29]
	v_add_f64 v[44:45], v[44:45], v[56:57]
	v_add_f64 v[46:47], v[46:47], v[48:49]
	s_waitcnt vmcnt(8) lgkmcnt(0)
	v_mul_f64 v[48:49], v[6:7], v[32:33]
	v_mul_f64 v[32:33], v[8:9], v[32:33]
	;; [unrolled: 18-line block ×3, first 2 shown]
	v_fma_f64 v[50:51], v[4:5], v[34:35], v[50:51]
	v_fma_f64 v[58:59], v[2:3], v[34:35], -v[36:37]
	ds_load_b128 v[2:5], v1 offset:1280
	scratch_load_b128 v[34:37], off, off offset:480
	v_add_f64 v[44:45], v[44:45], v[54:55]
	v_add_f64 v[46:47], v[46:47], v[48:49]
	v_fma_f64 v[52:53], v[8:9], v[175:176], v[52:53]
	v_fma_f64 v[54:55], v[6:7], v[175:176], -v[56:57]
	scratch_load_b128 v[175:178], off, off offset:496
	ds_load_b128 v[6:9], v1 offset:1296
	s_waitcnt vmcnt(9) lgkmcnt(1)
	v_mul_f64 v[48:49], v[2:3], v[40:41]
	v_mul_f64 v[40:41], v[4:5], v[40:41]
	s_waitcnt vmcnt(8) lgkmcnt(0)
	v_mul_f64 v[56:57], v[8:9], v[173:174]
	v_add_f64 v[44:45], v[44:45], v[58:59]
	v_add_f64 v[46:47], v[46:47], v[50:51]
	v_mul_f64 v[50:51], v[6:7], v[173:174]
	v_fma_f64 v[48:49], v[4:5], v[38:39], v[48:49]
	v_fma_f64 v[58:59], v[2:3], v[38:39], -v[40:41]
	ds_load_b128 v[2:5], v1 offset:1312
	scratch_load_b128 v[38:41], off, off offset:512
	v_add_f64 v[44:45], v[44:45], v[54:55]
	v_add_f64 v[46:47], v[46:47], v[52:53]
	v_fma_f64 v[50:51], v[8:9], v[171:172], v[50:51]
	v_fma_f64 v[54:55], v[6:7], v[171:172], -v[56:57]
	scratch_load_b128 v[171:174], off, off offset:528
	ds_load_b128 v[6:9], v1 offset:1328
	s_waitcnt vmcnt(9) lgkmcnt(1)
	v_mul_f64 v[52:53], v[2:3], v[12:13]
	v_mul_f64 v[12:13], v[4:5], v[12:13]
	v_add_f64 v[44:45], v[44:45], v[58:59]
	v_add_f64 v[46:47], v[46:47], v[48:49]
	s_waitcnt vmcnt(8) lgkmcnt(0)
	v_mul_f64 v[48:49], v[6:7], v[16:17]
	v_mul_f64 v[16:17], v[8:9], v[16:17]
	v_fma_f64 v[52:53], v[4:5], v[10:11], v[52:53]
	v_fma_f64 v[56:57], v[2:3], v[10:11], -v[12:13]
	ds_load_b128 v[2:5], v1 offset:1344
	scratch_load_b128 v[10:13], off, off offset:544
	v_add_f64 v[44:45], v[44:45], v[54:55]
	v_add_f64 v[46:47], v[46:47], v[50:51]
	v_fma_f64 v[48:49], v[8:9], v[14:15], v[48:49]
	v_fma_f64 v[54:55], v[6:7], v[14:15], -v[16:17]
	scratch_load_b128 v[14:17], off, off offset:560
	ds_load_b128 v[6:9], v1 offset:1360
	s_waitcnt vmcnt(9) lgkmcnt(1)
	v_mul_f64 v[50:51], v[2:3], v[20:21]
	v_mul_f64 v[20:21], v[4:5], v[20:21]
	v_add_f64 v[44:45], v[44:45], v[56:57]
	v_add_f64 v[46:47], v[46:47], v[52:53]
	s_waitcnt vmcnt(8) lgkmcnt(0)
	v_mul_f64 v[52:53], v[6:7], v[24:25]
	;; [unrolled: 18-line block ×4, first 2 shown]
	v_mul_f64 v[56:57], v[8:9], v[177:178]
	v_fma_f64 v[52:53], v[4:5], v[34:35], v[52:53]
	v_fma_f64 v[58:59], v[2:3], v[34:35], -v[36:37]
	ds_load_b128 v[2:5], v1 offset:1440
	scratch_load_b128 v[34:37], off, off offset:640
	v_add_f64 v[44:45], v[44:45], v[54:55]
	v_add_f64 v[46:47], v[46:47], v[50:51]
	v_fma_f64 v[48:49], v[8:9], v[175:176], v[48:49]
	v_fma_f64 v[54:55], v[6:7], v[175:176], -v[56:57]
	scratch_load_b128 v[175:178], off, off offset:656
	ds_load_b128 v[6:9], v1 offset:1456
	s_waitcnt vmcnt(9) lgkmcnt(1)
	v_mul_f64 v[50:51], v[2:3], v[40:41]
	v_mul_f64 v[40:41], v[4:5], v[40:41]
	s_waitcnt vmcnt(8) lgkmcnt(0)
	v_mul_f64 v[56:57], v[8:9], v[173:174]
	v_add_f64 v[44:45], v[44:45], v[58:59]
	v_add_f64 v[46:47], v[46:47], v[52:53]
	v_mul_f64 v[52:53], v[6:7], v[173:174]
	v_fma_f64 v[50:51], v[4:5], v[38:39], v[50:51]
	v_fma_f64 v[58:59], v[2:3], v[38:39], -v[40:41]
	ds_load_b128 v[2:5], v1 offset:1472
	scratch_load_b128 v[38:41], off, off offset:672
	v_add_f64 v[44:45], v[44:45], v[54:55]
	v_add_f64 v[46:47], v[46:47], v[48:49]
	v_fma_f64 v[52:53], v[8:9], v[171:172], v[52:53]
	v_fma_f64 v[54:55], v[6:7], v[171:172], -v[56:57]
	scratch_load_b128 v[171:174], off, off offset:688
	ds_load_b128 v[6:9], v1 offset:1488
	s_waitcnt vmcnt(9) lgkmcnt(1)
	v_mul_f64 v[48:49], v[2:3], v[12:13]
	v_mul_f64 v[12:13], v[4:5], v[12:13]
	v_add_f64 v[44:45], v[44:45], v[58:59]
	v_add_f64 v[46:47], v[46:47], v[50:51]
	s_waitcnt vmcnt(8) lgkmcnt(0)
	v_mul_f64 v[50:51], v[6:7], v[16:17]
	v_mul_f64 v[16:17], v[8:9], v[16:17]
	v_fma_f64 v[48:49], v[4:5], v[10:11], v[48:49]
	v_fma_f64 v[56:57], v[2:3], v[10:11], -v[12:13]
	ds_load_b128 v[2:5], v1 offset:1504
	scratch_load_b128 v[10:13], off, off offset:704
	v_add_f64 v[44:45], v[44:45], v[54:55]
	v_add_f64 v[46:47], v[46:47], v[52:53]
	v_fma_f64 v[50:51], v[8:9], v[14:15], v[50:51]
	v_fma_f64 v[54:55], v[6:7], v[14:15], -v[16:17]
	scratch_load_b128 v[14:17], off, off offset:720
	ds_load_b128 v[6:9], v1 offset:1520
	s_waitcnt vmcnt(9) lgkmcnt(1)
	v_mul_f64 v[52:53], v[2:3], v[20:21]
	v_mul_f64 v[20:21], v[4:5], v[20:21]
	v_add_f64 v[44:45], v[44:45], v[56:57]
	v_add_f64 v[46:47], v[46:47], v[48:49]
	s_waitcnt vmcnt(8) lgkmcnt(0)
	v_mul_f64 v[48:49], v[6:7], v[24:25]
	;; [unrolled: 18-line block ×4, first 2 shown]
	v_mul_f64 v[56:57], v[8:9], v[177:178]
	v_fma_f64 v[48:49], v[4:5], v[34:35], v[48:49]
	v_fma_f64 v[58:59], v[2:3], v[34:35], -v[36:37]
	ds_load_b128 v[2:5], v1 offset:1600
	scratch_load_b128 v[34:37], off, off offset:800
	v_add_f64 v[44:45], v[44:45], v[54:55]
	v_add_f64 v[46:47], v[46:47], v[52:53]
	v_fma_f64 v[50:51], v[8:9], v[175:176], v[50:51]
	v_fma_f64 v[54:55], v[6:7], v[175:176], -v[56:57]
	ds_load_b128 v[6:9], v1 offset:1616
	s_waitcnt vmcnt(8) lgkmcnt(1)
	v_mul_f64 v[52:53], v[2:3], v[40:41]
	v_mul_f64 v[40:41], v[4:5], v[40:41]
	scratch_load_b128 v[175:178], off, off offset:816
	s_waitcnt vmcnt(8) lgkmcnt(0)
	v_mul_f64 v[56:57], v[8:9], v[173:174]
	v_add_f64 v[44:45], v[44:45], v[58:59]
	v_add_f64 v[46:47], v[46:47], v[48:49]
	v_mul_f64 v[48:49], v[6:7], v[173:174]
	v_fma_f64 v[52:53], v[4:5], v[38:39], v[52:53]
	v_fma_f64 v[58:59], v[2:3], v[38:39], -v[40:41]
	ds_load_b128 v[2:5], v1 offset:1632
	scratch_load_b128 v[38:41], off, off offset:832
	v_add_f64 v[44:45], v[44:45], v[54:55]
	v_add_f64 v[46:47], v[46:47], v[50:51]
	v_fma_f64 v[48:49], v[8:9], v[171:172], v[48:49]
	v_fma_f64 v[54:55], v[6:7], v[171:172], -v[56:57]
	ds_load_b128 v[6:9], v1 offset:1648
	s_waitcnt vmcnt(8) lgkmcnt(1)
	v_mul_f64 v[50:51], v[2:3], v[12:13]
	v_mul_f64 v[12:13], v[4:5], v[12:13]
	scratch_load_b128 v[171:174], off, off offset:848
	v_add_f64 v[44:45], v[44:45], v[58:59]
	v_add_f64 v[46:47], v[46:47], v[52:53]
	s_waitcnt vmcnt(8) lgkmcnt(0)
	v_mul_f64 v[52:53], v[6:7], v[16:17]
	v_mul_f64 v[16:17], v[8:9], v[16:17]
	v_fma_f64 v[50:51], v[4:5], v[10:11], v[50:51]
	v_fma_f64 v[56:57], v[2:3], v[10:11], -v[12:13]
	scratch_load_b128 v[10:13], off, off offset:864
	ds_load_b128 v[2:5], v1 offset:1664
	v_add_f64 v[44:45], v[44:45], v[54:55]
	v_add_f64 v[46:47], v[46:47], v[48:49]
	v_fma_f64 v[52:53], v[8:9], v[14:15], v[52:53]
	v_fma_f64 v[54:55], v[6:7], v[14:15], -v[16:17]
	ds_load_b128 v[6:9], v1 offset:1680
	s_waitcnt vmcnt(8) lgkmcnt(1)
	v_mul_f64 v[48:49], v[2:3], v[20:21]
	v_mul_f64 v[20:21], v[4:5], v[20:21]
	scratch_load_b128 v[14:17], off, off offset:880
	v_add_f64 v[44:45], v[44:45], v[56:57]
	v_add_f64 v[46:47], v[46:47], v[50:51]
	s_waitcnt vmcnt(8) lgkmcnt(0)
	v_mul_f64 v[50:51], v[6:7], v[24:25]
	v_mul_f64 v[24:25], v[8:9], v[24:25]
	v_fma_f64 v[48:49], v[4:5], v[18:19], v[48:49]
	v_fma_f64 v[56:57], v[2:3], v[18:19], -v[20:21]
	scratch_load_b128 v[18:21], off, off offset:896
	ds_load_b128 v[2:5], v1 offset:1696
	v_add_f64 v[44:45], v[44:45], v[54:55]
	v_add_f64 v[46:47], v[46:47], v[52:53]
	v_fma_f64 v[50:51], v[8:9], v[22:23], v[50:51]
	v_fma_f64 v[54:55], v[6:7], v[22:23], -v[24:25]
	ds_load_b128 v[6:9], v1 offset:1712
	s_waitcnt vmcnt(8) lgkmcnt(1)
	v_mul_f64 v[52:53], v[2:3], v[28:29]
	v_mul_f64 v[28:29], v[4:5], v[28:29]
	scratch_load_b128 v[22:25], off, off offset:912
	v_add_f64 v[44:45], v[44:45], v[56:57]
	v_add_f64 v[46:47], v[46:47], v[48:49]
	s_waitcnt vmcnt(8) lgkmcnt(0)
	v_mul_f64 v[48:49], v[6:7], v[32:33]
	v_mul_f64 v[32:33], v[8:9], v[32:33]
	v_fma_f64 v[52:53], v[4:5], v[26:27], v[52:53]
	v_fma_f64 v[26:27], v[2:3], v[26:27], -v[28:29]
	ds_load_b128 v[2:5], v1 offset:1728
	v_add_f64 v[28:29], v[44:45], v[54:55]
	v_add_f64 v[44:45], v[46:47], v[50:51]
	v_fma_f64 v[48:49], v[8:9], v[30:31], v[48:49]
	v_fma_f64 v[30:31], v[6:7], v[30:31], -v[32:33]
	ds_load_b128 v[6:9], v1 offset:1744
	s_waitcnt vmcnt(7) lgkmcnt(1)
	v_mul_f64 v[46:47], v[2:3], v[36:37]
	v_mul_f64 v[36:37], v[4:5], v[36:37]
	v_add_f64 v[26:27], v[28:29], v[26:27]
	v_add_f64 v[28:29], v[44:45], v[52:53]
	s_delay_alu instid0(VALU_DEP_4) | instskip(NEXT) | instid1(VALU_DEP_4)
	v_fma_f64 v[46:47], v[4:5], v[34:35], v[46:47]
	v_fma_f64 v[34:35], v[2:3], v[34:35], -v[36:37]
	ds_load_b128 v[2:5], v1 offset:1760
	v_add_f64 v[30:31], v[26:27], v[30:31]
	v_add_f64 v[36:37], v[28:29], v[48:49]
	scratch_load_b128 v[26:29], off, off offset:176
	s_waitcnt vmcnt(7) lgkmcnt(1)
	v_mul_f64 v[32:33], v[6:7], v[177:178]
	v_mul_f64 v[44:45], v[8:9], v[177:178]
	v_add_f64 v[30:31], v[30:31], v[34:35]
	v_add_f64 v[34:35], v[36:37], v[46:47]
	s_delay_alu instid0(VALU_DEP_4) | instskip(NEXT) | instid1(VALU_DEP_4)
	v_fma_f64 v[32:33], v[8:9], v[175:176], v[32:33]
	v_fma_f64 v[44:45], v[6:7], v[175:176], -v[44:45]
	ds_load_b128 v[6:9], v1 offset:1776
	s_waitcnt vmcnt(6) lgkmcnt(1)
	v_mul_f64 v[48:49], v[2:3], v[40:41]
	v_mul_f64 v[40:41], v[4:5], v[40:41]
	s_waitcnt vmcnt(5) lgkmcnt(0)
	v_mul_f64 v[36:37], v[6:7], v[173:174]
	v_mul_f64 v[46:47], v[8:9], v[173:174]
	v_add_f64 v[32:33], v[34:35], v[32:33]
	v_add_f64 v[30:31], v[30:31], v[44:45]
	v_fma_f64 v[48:49], v[4:5], v[38:39], v[48:49]
	v_fma_f64 v[38:39], v[2:3], v[38:39], -v[40:41]
	ds_load_b128 v[2:5], v1 offset:1792
	v_fma_f64 v[36:37], v[8:9], v[171:172], v[36:37]
	v_fma_f64 v[40:41], v[6:7], v[171:172], -v[46:47]
	ds_load_b128 v[6:9], v1 offset:1808
	s_waitcnt vmcnt(4) lgkmcnt(1)
	v_mul_f64 v[34:35], v[2:3], v[12:13]
	v_mul_f64 v[12:13], v[4:5], v[12:13]
	v_add_f64 v[32:33], v[32:33], v[48:49]
	v_add_f64 v[30:31], v[30:31], v[38:39]
	s_waitcnt vmcnt(3) lgkmcnt(0)
	v_mul_f64 v[38:39], v[6:7], v[16:17]
	v_mul_f64 v[16:17], v[8:9], v[16:17]
	v_fma_f64 v[34:35], v[4:5], v[10:11], v[34:35]
	v_fma_f64 v[10:11], v[2:3], v[10:11], -v[12:13]
	ds_load_b128 v[2:5], v1 offset:1824
	v_add_f64 v[12:13], v[30:31], v[40:41]
	v_add_f64 v[30:31], v[32:33], v[36:37]
	v_fma_f64 v[36:37], v[8:9], v[14:15], v[38:39]
	v_fma_f64 v[14:15], v[6:7], v[14:15], -v[16:17]
	ds_load_b128 v[6:9], v1 offset:1840
	s_waitcnt vmcnt(2) lgkmcnt(1)
	v_mul_f64 v[32:33], v[2:3], v[20:21]
	v_mul_f64 v[20:21], v[4:5], v[20:21]
	s_waitcnt vmcnt(1) lgkmcnt(0)
	v_mul_f64 v[16:17], v[6:7], v[24:25]
	v_mul_f64 v[24:25], v[8:9], v[24:25]
	v_add_f64 v[10:11], v[12:13], v[10:11]
	v_add_f64 v[12:13], v[30:31], v[34:35]
	v_fma_f64 v[4:5], v[4:5], v[18:19], v[32:33]
	v_fma_f64 v[1:2], v[2:3], v[18:19], -v[20:21]
	v_fma_f64 v[8:9], v[8:9], v[22:23], v[16:17]
	v_fma_f64 v[6:7], v[6:7], v[22:23], -v[24:25]
	v_add_f64 v[10:11], v[10:11], v[14:15]
	v_add_f64 v[12:13], v[12:13], v[36:37]
	s_delay_alu instid0(VALU_DEP_2) | instskip(NEXT) | instid1(VALU_DEP_2)
	v_add_f64 v[1:2], v[10:11], v[1:2]
	v_add_f64 v[3:4], v[12:13], v[4:5]
	s_delay_alu instid0(VALU_DEP_2) | instskip(NEXT) | instid1(VALU_DEP_2)
	v_add_f64 v[1:2], v[1:2], v[6:7]
	v_add_f64 v[3:4], v[3:4], v[8:9]
	s_waitcnt vmcnt(0)
	s_delay_alu instid0(VALU_DEP_2) | instskip(NEXT) | instid1(VALU_DEP_2)
	v_add_f64 v[1:2], v[26:27], -v[1:2]
	v_add_f64 v[3:4], v[28:29], -v[3:4]
	scratch_store_b128 off, v[1:4], off offset:176
	v_cmpx_lt_u32_e32 10, v158
	s_cbranch_execz .LBB121_341
; %bb.340:
	scratch_load_b128 v[1:4], v206, off
	v_mov_b32_e32 v5, 0
	s_delay_alu instid0(VALU_DEP_1)
	v_mov_b32_e32 v6, v5
	v_mov_b32_e32 v7, v5
	;; [unrolled: 1-line block ×3, first 2 shown]
	scratch_store_b128 off, v[5:8], off offset:160
	s_waitcnt vmcnt(0)
	ds_store_b128 v216, v[1:4]
.LBB121_341:
	s_or_b32 exec_lo, exec_lo, s2
	s_waitcnt lgkmcnt(0)
	s_waitcnt_vscnt null, 0x0
	s_barrier
	buffer_gl0_inv
	s_clause 0x7
	scratch_load_b128 v[2:5], off, off offset:176
	scratch_load_b128 v[6:9], off, off offset:192
	;; [unrolled: 1-line block ×8, first 2 shown]
	v_mov_b32_e32 v1, 0
	s_clause 0x1
	scratch_load_b128 v[34:37], off, off offset:304
	scratch_load_b128 v[175:178], off, off offset:320
	s_mov_b32 s2, exec_lo
	ds_load_b128 v[38:41], v1 offset:1104
	ds_load_b128 v[171:174], v1 offset:1120
	s_waitcnt vmcnt(9) lgkmcnt(1)
	v_mul_f64 v[44:45], v[40:41], v[4:5]
	v_mul_f64 v[4:5], v[38:39], v[4:5]
	s_waitcnt vmcnt(8) lgkmcnt(0)
	v_mul_f64 v[46:47], v[171:172], v[8:9]
	v_mul_f64 v[8:9], v[173:174], v[8:9]
	s_delay_alu instid0(VALU_DEP_4) | instskip(NEXT) | instid1(VALU_DEP_4)
	v_fma_f64 v[44:45], v[38:39], v[2:3], -v[44:45]
	v_fma_f64 v[48:49], v[40:41], v[2:3], v[4:5]
	ds_load_b128 v[2:5], v1 offset:1136
	scratch_load_b128 v[38:41], off, off offset:336
	v_fma_f64 v[46:47], v[173:174], v[6:7], v[46:47]
	v_fma_f64 v[52:53], v[171:172], v[6:7], -v[8:9]
	scratch_load_b128 v[171:174], off, off offset:352
	ds_load_b128 v[6:9], v1 offset:1152
	s_waitcnt vmcnt(9) lgkmcnt(1)
	v_mul_f64 v[50:51], v[2:3], v[12:13]
	v_mul_f64 v[12:13], v[4:5], v[12:13]
	s_waitcnt vmcnt(8) lgkmcnt(0)
	v_mul_f64 v[54:55], v[6:7], v[16:17]
	v_mul_f64 v[16:17], v[8:9], v[16:17]
	v_add_f64 v[44:45], v[44:45], 0
	v_add_f64 v[48:49], v[48:49], 0
	v_fma_f64 v[50:51], v[4:5], v[10:11], v[50:51]
	v_fma_f64 v[56:57], v[2:3], v[10:11], -v[12:13]
	ds_load_b128 v[2:5], v1 offset:1168
	scratch_load_b128 v[10:13], off, off offset:368
	v_add_f64 v[44:45], v[44:45], v[52:53]
	v_add_f64 v[46:47], v[48:49], v[46:47]
	v_fma_f64 v[52:53], v[8:9], v[14:15], v[54:55]
	v_fma_f64 v[54:55], v[6:7], v[14:15], -v[16:17]
	scratch_load_b128 v[14:17], off, off offset:384
	ds_load_b128 v[6:9], v1 offset:1184
	s_waitcnt vmcnt(9) lgkmcnt(1)
	v_mul_f64 v[48:49], v[2:3], v[20:21]
	v_mul_f64 v[20:21], v[4:5], v[20:21]
	v_add_f64 v[44:45], v[44:45], v[56:57]
	v_add_f64 v[46:47], v[46:47], v[50:51]
	s_waitcnt vmcnt(8) lgkmcnt(0)
	v_mul_f64 v[50:51], v[6:7], v[24:25]
	v_mul_f64 v[24:25], v[8:9], v[24:25]
	v_fma_f64 v[48:49], v[4:5], v[18:19], v[48:49]
	v_fma_f64 v[56:57], v[2:3], v[18:19], -v[20:21]
	ds_load_b128 v[2:5], v1 offset:1200
	scratch_load_b128 v[18:21], off, off offset:400
	v_add_f64 v[44:45], v[44:45], v[54:55]
	v_add_f64 v[46:47], v[46:47], v[52:53]
	v_fma_f64 v[50:51], v[8:9], v[22:23], v[50:51]
	v_fma_f64 v[54:55], v[6:7], v[22:23], -v[24:25]
	scratch_load_b128 v[22:25], off, off offset:416
	ds_load_b128 v[6:9], v1 offset:1216
	s_waitcnt vmcnt(9) lgkmcnt(1)
	v_mul_f64 v[52:53], v[2:3], v[28:29]
	v_mul_f64 v[28:29], v[4:5], v[28:29]
	v_add_f64 v[44:45], v[44:45], v[56:57]
	v_add_f64 v[46:47], v[46:47], v[48:49]
	s_waitcnt vmcnt(8) lgkmcnt(0)
	v_mul_f64 v[48:49], v[6:7], v[32:33]
	v_mul_f64 v[32:33], v[8:9], v[32:33]
	;; [unrolled: 18-line block ×3, first 2 shown]
	v_fma_f64 v[50:51], v[4:5], v[34:35], v[50:51]
	v_fma_f64 v[58:59], v[2:3], v[34:35], -v[36:37]
	ds_load_b128 v[2:5], v1 offset:1264
	scratch_load_b128 v[34:37], off, off offset:464
	v_add_f64 v[44:45], v[44:45], v[54:55]
	v_add_f64 v[46:47], v[46:47], v[48:49]
	v_fma_f64 v[52:53], v[8:9], v[175:176], v[52:53]
	v_fma_f64 v[54:55], v[6:7], v[175:176], -v[56:57]
	scratch_load_b128 v[175:178], off, off offset:480
	ds_load_b128 v[6:9], v1 offset:1280
	s_waitcnt vmcnt(9) lgkmcnt(1)
	v_mul_f64 v[48:49], v[2:3], v[40:41]
	v_mul_f64 v[40:41], v[4:5], v[40:41]
	s_waitcnt vmcnt(8) lgkmcnt(0)
	v_mul_f64 v[56:57], v[8:9], v[173:174]
	v_add_f64 v[44:45], v[44:45], v[58:59]
	v_add_f64 v[46:47], v[46:47], v[50:51]
	v_mul_f64 v[50:51], v[6:7], v[173:174]
	v_fma_f64 v[48:49], v[4:5], v[38:39], v[48:49]
	v_fma_f64 v[58:59], v[2:3], v[38:39], -v[40:41]
	ds_load_b128 v[2:5], v1 offset:1296
	scratch_load_b128 v[38:41], off, off offset:496
	v_add_f64 v[44:45], v[44:45], v[54:55]
	v_add_f64 v[46:47], v[46:47], v[52:53]
	v_fma_f64 v[50:51], v[8:9], v[171:172], v[50:51]
	v_fma_f64 v[54:55], v[6:7], v[171:172], -v[56:57]
	scratch_load_b128 v[171:174], off, off offset:512
	ds_load_b128 v[6:9], v1 offset:1312
	s_waitcnt vmcnt(9) lgkmcnt(1)
	v_mul_f64 v[52:53], v[2:3], v[12:13]
	v_mul_f64 v[12:13], v[4:5], v[12:13]
	v_add_f64 v[44:45], v[44:45], v[58:59]
	v_add_f64 v[46:47], v[46:47], v[48:49]
	s_waitcnt vmcnt(8) lgkmcnt(0)
	v_mul_f64 v[48:49], v[6:7], v[16:17]
	v_mul_f64 v[16:17], v[8:9], v[16:17]
	v_fma_f64 v[52:53], v[4:5], v[10:11], v[52:53]
	v_fma_f64 v[56:57], v[2:3], v[10:11], -v[12:13]
	ds_load_b128 v[2:5], v1 offset:1328
	scratch_load_b128 v[10:13], off, off offset:528
	v_add_f64 v[44:45], v[44:45], v[54:55]
	v_add_f64 v[46:47], v[46:47], v[50:51]
	v_fma_f64 v[48:49], v[8:9], v[14:15], v[48:49]
	v_fma_f64 v[54:55], v[6:7], v[14:15], -v[16:17]
	scratch_load_b128 v[14:17], off, off offset:544
	ds_load_b128 v[6:9], v1 offset:1344
	s_waitcnt vmcnt(9) lgkmcnt(1)
	v_mul_f64 v[50:51], v[2:3], v[20:21]
	v_mul_f64 v[20:21], v[4:5], v[20:21]
	v_add_f64 v[44:45], v[44:45], v[56:57]
	v_add_f64 v[46:47], v[46:47], v[52:53]
	s_waitcnt vmcnt(8) lgkmcnt(0)
	v_mul_f64 v[52:53], v[6:7], v[24:25]
	v_mul_f64 v[24:25], v[8:9], v[24:25]
	v_fma_f64 v[50:51], v[4:5], v[18:19], v[50:51]
	v_fma_f64 v[56:57], v[2:3], v[18:19], -v[20:21]
	ds_load_b128 v[2:5], v1 offset:1360
	scratch_load_b128 v[18:21], off, off offset:560
	v_add_f64 v[44:45], v[44:45], v[54:55]
	v_add_f64 v[46:47], v[46:47], v[48:49]
	v_fma_f64 v[52:53], v[8:9], v[22:23], v[52:53]
	v_fma_f64 v[54:55], v[6:7], v[22:23], -v[24:25]
	scratch_load_b128 v[22:25], off, off offset:576
	ds_load_b128 v[6:9], v1 offset:1376
	s_waitcnt vmcnt(9) lgkmcnt(1)
	v_mul_f64 v[48:49], v[2:3], v[28:29]
	v_mul_f64 v[28:29], v[4:5], v[28:29]
	v_add_f64 v[44:45], v[44:45], v[56:57]
	v_add_f64 v[46:47], v[46:47], v[50:51]
	s_waitcnt vmcnt(8) lgkmcnt(0)
	v_mul_f64 v[50:51], v[6:7], v[32:33]
	v_mul_f64 v[32:33], v[8:9], v[32:33]
	v_fma_f64 v[48:49], v[4:5], v[26:27], v[48:49]
	v_fma_f64 v[56:57], v[2:3], v[26:27], -v[28:29]
	ds_load_b128 v[2:5], v1 offset:1392
	scratch_load_b128 v[26:29], off, off offset:592
	v_add_f64 v[44:45], v[44:45], v[54:55]
	v_add_f64 v[46:47], v[46:47], v[52:53]
	v_fma_f64 v[50:51], v[8:9], v[30:31], v[50:51]
	v_fma_f64 v[54:55], v[6:7], v[30:31], -v[32:33]
	scratch_load_b128 v[30:33], off, off offset:608
	ds_load_b128 v[6:9], v1 offset:1408
	s_waitcnt vmcnt(9) lgkmcnt(1)
	v_mul_f64 v[52:53], v[2:3], v[36:37]
	v_mul_f64 v[36:37], v[4:5], v[36:37]
	v_add_f64 v[44:45], v[44:45], v[56:57]
	v_add_f64 v[46:47], v[46:47], v[48:49]
	s_waitcnt vmcnt(8) lgkmcnt(0)
	v_mul_f64 v[48:49], v[6:7], v[177:178]
	v_mul_f64 v[56:57], v[8:9], v[177:178]
	v_fma_f64 v[52:53], v[4:5], v[34:35], v[52:53]
	v_fma_f64 v[58:59], v[2:3], v[34:35], -v[36:37]
	ds_load_b128 v[2:5], v1 offset:1424
	scratch_load_b128 v[34:37], off, off offset:624
	v_add_f64 v[44:45], v[44:45], v[54:55]
	v_add_f64 v[46:47], v[46:47], v[50:51]
	v_fma_f64 v[48:49], v[8:9], v[175:176], v[48:49]
	v_fma_f64 v[54:55], v[6:7], v[175:176], -v[56:57]
	scratch_load_b128 v[175:178], off, off offset:640
	ds_load_b128 v[6:9], v1 offset:1440
	s_waitcnt vmcnt(9) lgkmcnt(1)
	v_mul_f64 v[50:51], v[2:3], v[40:41]
	v_mul_f64 v[40:41], v[4:5], v[40:41]
	s_waitcnt vmcnt(8) lgkmcnt(0)
	v_mul_f64 v[56:57], v[8:9], v[173:174]
	v_add_f64 v[44:45], v[44:45], v[58:59]
	v_add_f64 v[46:47], v[46:47], v[52:53]
	v_mul_f64 v[52:53], v[6:7], v[173:174]
	v_fma_f64 v[50:51], v[4:5], v[38:39], v[50:51]
	v_fma_f64 v[58:59], v[2:3], v[38:39], -v[40:41]
	ds_load_b128 v[2:5], v1 offset:1456
	scratch_load_b128 v[38:41], off, off offset:656
	v_add_f64 v[44:45], v[44:45], v[54:55]
	v_add_f64 v[46:47], v[46:47], v[48:49]
	v_fma_f64 v[52:53], v[8:9], v[171:172], v[52:53]
	v_fma_f64 v[54:55], v[6:7], v[171:172], -v[56:57]
	scratch_load_b128 v[171:174], off, off offset:672
	ds_load_b128 v[6:9], v1 offset:1472
	s_waitcnt vmcnt(9) lgkmcnt(1)
	v_mul_f64 v[48:49], v[2:3], v[12:13]
	v_mul_f64 v[12:13], v[4:5], v[12:13]
	v_add_f64 v[44:45], v[44:45], v[58:59]
	v_add_f64 v[46:47], v[46:47], v[50:51]
	s_waitcnt vmcnt(8) lgkmcnt(0)
	v_mul_f64 v[50:51], v[6:7], v[16:17]
	v_mul_f64 v[16:17], v[8:9], v[16:17]
	v_fma_f64 v[48:49], v[4:5], v[10:11], v[48:49]
	v_fma_f64 v[56:57], v[2:3], v[10:11], -v[12:13]
	ds_load_b128 v[2:5], v1 offset:1488
	scratch_load_b128 v[10:13], off, off offset:688
	v_add_f64 v[44:45], v[44:45], v[54:55]
	v_add_f64 v[46:47], v[46:47], v[52:53]
	v_fma_f64 v[50:51], v[8:9], v[14:15], v[50:51]
	v_fma_f64 v[54:55], v[6:7], v[14:15], -v[16:17]
	scratch_load_b128 v[14:17], off, off offset:704
	ds_load_b128 v[6:9], v1 offset:1504
	s_waitcnt vmcnt(9) lgkmcnt(1)
	v_mul_f64 v[52:53], v[2:3], v[20:21]
	v_mul_f64 v[20:21], v[4:5], v[20:21]
	v_add_f64 v[44:45], v[44:45], v[56:57]
	v_add_f64 v[46:47], v[46:47], v[48:49]
	s_waitcnt vmcnt(8) lgkmcnt(0)
	v_mul_f64 v[48:49], v[6:7], v[24:25]
	;; [unrolled: 18-line block ×4, first 2 shown]
	v_mul_f64 v[56:57], v[8:9], v[177:178]
	v_fma_f64 v[48:49], v[4:5], v[34:35], v[48:49]
	v_fma_f64 v[58:59], v[2:3], v[34:35], -v[36:37]
	ds_load_b128 v[2:5], v1 offset:1584
	scratch_load_b128 v[34:37], off, off offset:784
	v_add_f64 v[44:45], v[44:45], v[54:55]
	v_add_f64 v[46:47], v[46:47], v[52:53]
	v_fma_f64 v[50:51], v[8:9], v[175:176], v[50:51]
	v_fma_f64 v[54:55], v[6:7], v[175:176], -v[56:57]
	ds_load_b128 v[6:9], v1 offset:1600
	s_waitcnt vmcnt(8) lgkmcnt(1)
	v_mul_f64 v[52:53], v[2:3], v[40:41]
	v_mul_f64 v[40:41], v[4:5], v[40:41]
	scratch_load_b128 v[175:178], off, off offset:800
	s_waitcnt vmcnt(8) lgkmcnt(0)
	v_mul_f64 v[56:57], v[8:9], v[173:174]
	v_add_f64 v[44:45], v[44:45], v[58:59]
	v_add_f64 v[46:47], v[46:47], v[48:49]
	v_mul_f64 v[48:49], v[6:7], v[173:174]
	v_fma_f64 v[52:53], v[4:5], v[38:39], v[52:53]
	v_fma_f64 v[58:59], v[2:3], v[38:39], -v[40:41]
	ds_load_b128 v[2:5], v1 offset:1616
	scratch_load_b128 v[38:41], off, off offset:816
	v_add_f64 v[44:45], v[44:45], v[54:55]
	v_add_f64 v[46:47], v[46:47], v[50:51]
	v_fma_f64 v[48:49], v[8:9], v[171:172], v[48:49]
	v_fma_f64 v[54:55], v[6:7], v[171:172], -v[56:57]
	ds_load_b128 v[6:9], v1 offset:1632
	s_waitcnt vmcnt(8) lgkmcnt(1)
	v_mul_f64 v[50:51], v[2:3], v[12:13]
	v_mul_f64 v[12:13], v[4:5], v[12:13]
	scratch_load_b128 v[171:174], off, off offset:832
	v_add_f64 v[44:45], v[44:45], v[58:59]
	v_add_f64 v[46:47], v[46:47], v[52:53]
	s_waitcnt vmcnt(8) lgkmcnt(0)
	v_mul_f64 v[52:53], v[6:7], v[16:17]
	v_mul_f64 v[16:17], v[8:9], v[16:17]
	v_fma_f64 v[50:51], v[4:5], v[10:11], v[50:51]
	v_fma_f64 v[56:57], v[2:3], v[10:11], -v[12:13]
	scratch_load_b128 v[10:13], off, off offset:848
	ds_load_b128 v[2:5], v1 offset:1648
	v_add_f64 v[44:45], v[44:45], v[54:55]
	v_add_f64 v[46:47], v[46:47], v[48:49]
	v_fma_f64 v[52:53], v[8:9], v[14:15], v[52:53]
	v_fma_f64 v[54:55], v[6:7], v[14:15], -v[16:17]
	ds_load_b128 v[6:9], v1 offset:1664
	s_waitcnt vmcnt(8) lgkmcnt(1)
	v_mul_f64 v[48:49], v[2:3], v[20:21]
	v_mul_f64 v[20:21], v[4:5], v[20:21]
	scratch_load_b128 v[14:17], off, off offset:864
	v_add_f64 v[44:45], v[44:45], v[56:57]
	v_add_f64 v[46:47], v[46:47], v[50:51]
	s_waitcnt vmcnt(8) lgkmcnt(0)
	v_mul_f64 v[50:51], v[6:7], v[24:25]
	v_mul_f64 v[24:25], v[8:9], v[24:25]
	v_fma_f64 v[48:49], v[4:5], v[18:19], v[48:49]
	v_fma_f64 v[56:57], v[2:3], v[18:19], -v[20:21]
	scratch_load_b128 v[18:21], off, off offset:880
	ds_load_b128 v[2:5], v1 offset:1680
	;; [unrolled: 18-line block ×3, first 2 shown]
	v_add_f64 v[44:45], v[44:45], v[54:55]
	v_add_f64 v[46:47], v[46:47], v[50:51]
	v_fma_f64 v[48:49], v[8:9], v[30:31], v[48:49]
	v_fma_f64 v[30:31], v[6:7], v[30:31], -v[32:33]
	ds_load_b128 v[6:9], v1 offset:1728
	s_waitcnt vmcnt(8) lgkmcnt(1)
	v_mul_f64 v[50:51], v[2:3], v[36:37]
	v_mul_f64 v[36:37], v[4:5], v[36:37]
	v_add_f64 v[32:33], v[44:45], v[56:57]
	v_add_f64 v[44:45], v[46:47], v[52:53]
	s_delay_alu instid0(VALU_DEP_4) | instskip(NEXT) | instid1(VALU_DEP_4)
	v_fma_f64 v[50:51], v[4:5], v[34:35], v[50:51]
	v_fma_f64 v[34:35], v[2:3], v[34:35], -v[36:37]
	ds_load_b128 v[2:5], v1 offset:1744
	v_add_f64 v[30:31], v[32:33], v[30:31]
	v_add_f64 v[32:33], v[44:45], v[48:49]
	s_delay_alu instid0(VALU_DEP_2) | instskip(NEXT) | instid1(VALU_DEP_2)
	v_add_f64 v[34:35], v[30:31], v[34:35]
	v_add_f64 v[48:49], v[32:33], v[50:51]
	scratch_load_b128 v[30:33], off, off offset:160
	s_waitcnt vmcnt(8) lgkmcnt(1)
	v_mul_f64 v[46:47], v[6:7], v[177:178]
	v_mul_f64 v[52:53], v[8:9], v[177:178]
	s_delay_alu instid0(VALU_DEP_2) | instskip(NEXT) | instid1(VALU_DEP_2)
	v_fma_f64 v[44:45], v[8:9], v[175:176], v[46:47]
	v_fma_f64 v[46:47], v[6:7], v[175:176], -v[52:53]
	ds_load_b128 v[6:9], v1 offset:1760
	s_waitcnt vmcnt(7) lgkmcnt(1)
	v_mul_f64 v[36:37], v[2:3], v[40:41]
	v_mul_f64 v[40:41], v[4:5], v[40:41]
	s_waitcnt vmcnt(6) lgkmcnt(0)
	v_mul_f64 v[50:51], v[6:7], v[173:174]
	v_mul_f64 v[52:53], v[8:9], v[173:174]
	v_add_f64 v[34:35], v[34:35], v[46:47]
	v_fma_f64 v[36:37], v[4:5], v[38:39], v[36:37]
	v_fma_f64 v[38:39], v[2:3], v[38:39], -v[40:41]
	v_add_f64 v[40:41], v[48:49], v[44:45]
	ds_load_b128 v[2:5], v1 offset:1776
	v_fma_f64 v[46:47], v[8:9], v[171:172], v[50:51]
	v_fma_f64 v[48:49], v[6:7], v[171:172], -v[52:53]
	ds_load_b128 v[6:9], v1 offset:1792
	s_waitcnt vmcnt(5) lgkmcnt(1)
	v_mul_f64 v[44:45], v[2:3], v[12:13]
	v_mul_f64 v[12:13], v[4:5], v[12:13]
	v_add_f64 v[34:35], v[34:35], v[38:39]
	v_add_f64 v[36:37], v[40:41], v[36:37]
	s_waitcnt vmcnt(4) lgkmcnt(0)
	v_mul_f64 v[38:39], v[6:7], v[16:17]
	v_mul_f64 v[16:17], v[8:9], v[16:17]
	v_fma_f64 v[40:41], v[4:5], v[10:11], v[44:45]
	v_fma_f64 v[10:11], v[2:3], v[10:11], -v[12:13]
	ds_load_b128 v[2:5], v1 offset:1808
	v_add_f64 v[12:13], v[34:35], v[48:49]
	v_add_f64 v[34:35], v[36:37], v[46:47]
	v_fma_f64 v[38:39], v[8:9], v[14:15], v[38:39]
	v_fma_f64 v[14:15], v[6:7], v[14:15], -v[16:17]
	ds_load_b128 v[6:9], v1 offset:1824
	s_waitcnt vmcnt(3) lgkmcnt(1)
	v_mul_f64 v[36:37], v[2:3], v[20:21]
	v_mul_f64 v[20:21], v[4:5], v[20:21]
	s_waitcnt vmcnt(2) lgkmcnt(0)
	v_mul_f64 v[16:17], v[6:7], v[24:25]
	v_mul_f64 v[24:25], v[8:9], v[24:25]
	v_add_f64 v[10:11], v[12:13], v[10:11]
	v_add_f64 v[12:13], v[34:35], v[40:41]
	v_fma_f64 v[34:35], v[4:5], v[18:19], v[36:37]
	v_fma_f64 v[18:19], v[2:3], v[18:19], -v[20:21]
	ds_load_b128 v[2:5], v1 offset:1840
	v_fma_f64 v[8:9], v[8:9], v[22:23], v[16:17]
	v_fma_f64 v[6:7], v[6:7], v[22:23], -v[24:25]
	s_waitcnt vmcnt(1) lgkmcnt(0)
	v_mul_f64 v[20:21], v[4:5], v[28:29]
	v_add_f64 v[10:11], v[10:11], v[14:15]
	v_add_f64 v[12:13], v[12:13], v[38:39]
	v_mul_f64 v[14:15], v[2:3], v[28:29]
	s_delay_alu instid0(VALU_DEP_4) | instskip(NEXT) | instid1(VALU_DEP_4)
	v_fma_f64 v[2:3], v[2:3], v[26:27], -v[20:21]
	v_add_f64 v[10:11], v[10:11], v[18:19]
	s_delay_alu instid0(VALU_DEP_4) | instskip(NEXT) | instid1(VALU_DEP_4)
	v_add_f64 v[12:13], v[12:13], v[34:35]
	v_fma_f64 v[4:5], v[4:5], v[26:27], v[14:15]
	s_delay_alu instid0(VALU_DEP_3) | instskip(NEXT) | instid1(VALU_DEP_3)
	v_add_f64 v[6:7], v[10:11], v[6:7]
	v_add_f64 v[8:9], v[12:13], v[8:9]
	s_delay_alu instid0(VALU_DEP_2) | instskip(NEXT) | instid1(VALU_DEP_2)
	v_add_f64 v[2:3], v[6:7], v[2:3]
	v_add_f64 v[4:5], v[8:9], v[4:5]
	s_waitcnt vmcnt(0)
	s_delay_alu instid0(VALU_DEP_2) | instskip(NEXT) | instid1(VALU_DEP_2)
	v_add_f64 v[2:3], v[30:31], -v[2:3]
	v_add_f64 v[4:5], v[32:33], -v[4:5]
	scratch_store_b128 off, v[2:5], off offset:160
	v_cmpx_lt_u32_e32 9, v158
	s_cbranch_execz .LBB121_343
; %bb.342:
	scratch_load_b128 v[5:8], v207, off
	v_mov_b32_e32 v2, v1
	v_mov_b32_e32 v3, v1
	;; [unrolled: 1-line block ×3, first 2 shown]
	scratch_store_b128 off, v[1:4], off offset:144
	s_waitcnt vmcnt(0)
	ds_store_b128 v216, v[5:8]
.LBB121_343:
	s_or_b32 exec_lo, exec_lo, s2
	s_waitcnt lgkmcnt(0)
	s_waitcnt_vscnt null, 0x0
	s_barrier
	buffer_gl0_inv
	s_clause 0x7
	scratch_load_b128 v[2:5], off, off offset:160
	scratch_load_b128 v[6:9], off, off offset:176
	;; [unrolled: 1-line block ×8, first 2 shown]
	ds_load_b128 v[38:41], v1 offset:1088
	ds_load_b128 v[171:174], v1 offset:1104
	s_clause 0x1
	scratch_load_b128 v[34:37], off, off offset:288
	scratch_load_b128 v[175:178], off, off offset:304
	s_mov_b32 s2, exec_lo
	s_waitcnt vmcnt(9) lgkmcnt(1)
	v_mul_f64 v[44:45], v[40:41], v[4:5]
	v_mul_f64 v[4:5], v[38:39], v[4:5]
	s_waitcnt vmcnt(8) lgkmcnt(0)
	v_mul_f64 v[46:47], v[171:172], v[8:9]
	v_mul_f64 v[8:9], v[173:174], v[8:9]
	s_delay_alu instid0(VALU_DEP_4) | instskip(NEXT) | instid1(VALU_DEP_4)
	v_fma_f64 v[44:45], v[38:39], v[2:3], -v[44:45]
	v_fma_f64 v[48:49], v[40:41], v[2:3], v[4:5]
	ds_load_b128 v[2:5], v1 offset:1120
	scratch_load_b128 v[38:41], off, off offset:320
	v_fma_f64 v[46:47], v[173:174], v[6:7], v[46:47]
	v_fma_f64 v[52:53], v[171:172], v[6:7], -v[8:9]
	scratch_load_b128 v[171:174], off, off offset:336
	ds_load_b128 v[6:9], v1 offset:1136
	s_waitcnt vmcnt(9) lgkmcnt(1)
	v_mul_f64 v[50:51], v[2:3], v[12:13]
	v_mul_f64 v[12:13], v[4:5], v[12:13]
	s_waitcnt vmcnt(8) lgkmcnt(0)
	v_mul_f64 v[54:55], v[6:7], v[16:17]
	v_mul_f64 v[16:17], v[8:9], v[16:17]
	v_add_f64 v[44:45], v[44:45], 0
	v_add_f64 v[48:49], v[48:49], 0
	v_fma_f64 v[50:51], v[4:5], v[10:11], v[50:51]
	v_fma_f64 v[56:57], v[2:3], v[10:11], -v[12:13]
	ds_load_b128 v[2:5], v1 offset:1152
	scratch_load_b128 v[10:13], off, off offset:352
	v_add_f64 v[44:45], v[44:45], v[52:53]
	v_add_f64 v[46:47], v[48:49], v[46:47]
	v_fma_f64 v[52:53], v[8:9], v[14:15], v[54:55]
	v_fma_f64 v[54:55], v[6:7], v[14:15], -v[16:17]
	scratch_load_b128 v[14:17], off, off offset:368
	ds_load_b128 v[6:9], v1 offset:1168
	s_waitcnt vmcnt(9) lgkmcnt(1)
	v_mul_f64 v[48:49], v[2:3], v[20:21]
	v_mul_f64 v[20:21], v[4:5], v[20:21]
	v_add_f64 v[44:45], v[44:45], v[56:57]
	v_add_f64 v[46:47], v[46:47], v[50:51]
	s_waitcnt vmcnt(8) lgkmcnt(0)
	v_mul_f64 v[50:51], v[6:7], v[24:25]
	v_mul_f64 v[24:25], v[8:9], v[24:25]
	v_fma_f64 v[48:49], v[4:5], v[18:19], v[48:49]
	v_fma_f64 v[56:57], v[2:3], v[18:19], -v[20:21]
	ds_load_b128 v[2:5], v1 offset:1184
	scratch_load_b128 v[18:21], off, off offset:384
	v_add_f64 v[44:45], v[44:45], v[54:55]
	v_add_f64 v[46:47], v[46:47], v[52:53]
	v_fma_f64 v[50:51], v[8:9], v[22:23], v[50:51]
	v_fma_f64 v[54:55], v[6:7], v[22:23], -v[24:25]
	scratch_load_b128 v[22:25], off, off offset:400
	ds_load_b128 v[6:9], v1 offset:1200
	s_waitcnt vmcnt(9) lgkmcnt(1)
	v_mul_f64 v[52:53], v[2:3], v[28:29]
	v_mul_f64 v[28:29], v[4:5], v[28:29]
	v_add_f64 v[44:45], v[44:45], v[56:57]
	v_add_f64 v[46:47], v[46:47], v[48:49]
	s_waitcnt vmcnt(8) lgkmcnt(0)
	v_mul_f64 v[48:49], v[6:7], v[32:33]
	v_mul_f64 v[32:33], v[8:9], v[32:33]
	;; [unrolled: 18-line block ×3, first 2 shown]
	v_fma_f64 v[50:51], v[4:5], v[34:35], v[50:51]
	v_fma_f64 v[58:59], v[2:3], v[34:35], -v[36:37]
	ds_load_b128 v[2:5], v1 offset:1248
	scratch_load_b128 v[34:37], off, off offset:448
	v_add_f64 v[44:45], v[44:45], v[54:55]
	v_add_f64 v[46:47], v[46:47], v[48:49]
	v_fma_f64 v[52:53], v[8:9], v[175:176], v[52:53]
	v_fma_f64 v[54:55], v[6:7], v[175:176], -v[56:57]
	scratch_load_b128 v[175:178], off, off offset:464
	ds_load_b128 v[6:9], v1 offset:1264
	s_waitcnt vmcnt(9) lgkmcnt(1)
	v_mul_f64 v[48:49], v[2:3], v[40:41]
	v_mul_f64 v[40:41], v[4:5], v[40:41]
	s_waitcnt vmcnt(8) lgkmcnt(0)
	v_mul_f64 v[56:57], v[8:9], v[173:174]
	v_add_f64 v[44:45], v[44:45], v[58:59]
	v_add_f64 v[46:47], v[46:47], v[50:51]
	v_mul_f64 v[50:51], v[6:7], v[173:174]
	v_fma_f64 v[48:49], v[4:5], v[38:39], v[48:49]
	v_fma_f64 v[58:59], v[2:3], v[38:39], -v[40:41]
	ds_load_b128 v[2:5], v1 offset:1280
	scratch_load_b128 v[38:41], off, off offset:480
	v_add_f64 v[44:45], v[44:45], v[54:55]
	v_add_f64 v[46:47], v[46:47], v[52:53]
	v_fma_f64 v[50:51], v[8:9], v[171:172], v[50:51]
	v_fma_f64 v[54:55], v[6:7], v[171:172], -v[56:57]
	scratch_load_b128 v[171:174], off, off offset:496
	ds_load_b128 v[6:9], v1 offset:1296
	s_waitcnt vmcnt(9) lgkmcnt(1)
	v_mul_f64 v[52:53], v[2:3], v[12:13]
	v_mul_f64 v[12:13], v[4:5], v[12:13]
	v_add_f64 v[44:45], v[44:45], v[58:59]
	v_add_f64 v[46:47], v[46:47], v[48:49]
	s_waitcnt vmcnt(8) lgkmcnt(0)
	v_mul_f64 v[48:49], v[6:7], v[16:17]
	v_mul_f64 v[16:17], v[8:9], v[16:17]
	v_fma_f64 v[52:53], v[4:5], v[10:11], v[52:53]
	v_fma_f64 v[56:57], v[2:3], v[10:11], -v[12:13]
	ds_load_b128 v[2:5], v1 offset:1312
	scratch_load_b128 v[10:13], off, off offset:512
	v_add_f64 v[44:45], v[44:45], v[54:55]
	v_add_f64 v[46:47], v[46:47], v[50:51]
	v_fma_f64 v[48:49], v[8:9], v[14:15], v[48:49]
	v_fma_f64 v[54:55], v[6:7], v[14:15], -v[16:17]
	scratch_load_b128 v[14:17], off, off offset:528
	ds_load_b128 v[6:9], v1 offset:1328
	s_waitcnt vmcnt(9) lgkmcnt(1)
	v_mul_f64 v[50:51], v[2:3], v[20:21]
	v_mul_f64 v[20:21], v[4:5], v[20:21]
	v_add_f64 v[44:45], v[44:45], v[56:57]
	v_add_f64 v[46:47], v[46:47], v[52:53]
	s_waitcnt vmcnt(8) lgkmcnt(0)
	v_mul_f64 v[52:53], v[6:7], v[24:25]
	;; [unrolled: 18-line block ×4, first 2 shown]
	v_mul_f64 v[56:57], v[8:9], v[177:178]
	v_fma_f64 v[52:53], v[4:5], v[34:35], v[52:53]
	v_fma_f64 v[58:59], v[2:3], v[34:35], -v[36:37]
	ds_load_b128 v[2:5], v1 offset:1408
	scratch_load_b128 v[34:37], off, off offset:608
	v_add_f64 v[44:45], v[44:45], v[54:55]
	v_add_f64 v[46:47], v[46:47], v[50:51]
	v_fma_f64 v[48:49], v[8:9], v[175:176], v[48:49]
	v_fma_f64 v[54:55], v[6:7], v[175:176], -v[56:57]
	scratch_load_b128 v[175:178], off, off offset:624
	ds_load_b128 v[6:9], v1 offset:1424
	s_waitcnt vmcnt(9) lgkmcnt(1)
	v_mul_f64 v[50:51], v[2:3], v[40:41]
	v_mul_f64 v[40:41], v[4:5], v[40:41]
	s_waitcnt vmcnt(8) lgkmcnt(0)
	v_mul_f64 v[56:57], v[8:9], v[173:174]
	v_add_f64 v[44:45], v[44:45], v[58:59]
	v_add_f64 v[46:47], v[46:47], v[52:53]
	v_mul_f64 v[52:53], v[6:7], v[173:174]
	v_fma_f64 v[50:51], v[4:5], v[38:39], v[50:51]
	v_fma_f64 v[58:59], v[2:3], v[38:39], -v[40:41]
	ds_load_b128 v[2:5], v1 offset:1440
	scratch_load_b128 v[38:41], off, off offset:640
	v_add_f64 v[44:45], v[44:45], v[54:55]
	v_add_f64 v[46:47], v[46:47], v[48:49]
	v_fma_f64 v[52:53], v[8:9], v[171:172], v[52:53]
	v_fma_f64 v[54:55], v[6:7], v[171:172], -v[56:57]
	scratch_load_b128 v[171:174], off, off offset:656
	ds_load_b128 v[6:9], v1 offset:1456
	s_waitcnt vmcnt(9) lgkmcnt(1)
	v_mul_f64 v[48:49], v[2:3], v[12:13]
	v_mul_f64 v[12:13], v[4:5], v[12:13]
	v_add_f64 v[44:45], v[44:45], v[58:59]
	v_add_f64 v[46:47], v[46:47], v[50:51]
	s_waitcnt vmcnt(8) lgkmcnt(0)
	v_mul_f64 v[50:51], v[6:7], v[16:17]
	v_mul_f64 v[16:17], v[8:9], v[16:17]
	v_fma_f64 v[48:49], v[4:5], v[10:11], v[48:49]
	v_fma_f64 v[56:57], v[2:3], v[10:11], -v[12:13]
	ds_load_b128 v[2:5], v1 offset:1472
	scratch_load_b128 v[10:13], off, off offset:672
	v_add_f64 v[44:45], v[44:45], v[54:55]
	v_add_f64 v[46:47], v[46:47], v[52:53]
	v_fma_f64 v[50:51], v[8:9], v[14:15], v[50:51]
	v_fma_f64 v[54:55], v[6:7], v[14:15], -v[16:17]
	scratch_load_b128 v[14:17], off, off offset:688
	ds_load_b128 v[6:9], v1 offset:1488
	s_waitcnt vmcnt(9) lgkmcnt(1)
	v_mul_f64 v[52:53], v[2:3], v[20:21]
	v_mul_f64 v[20:21], v[4:5], v[20:21]
	v_add_f64 v[44:45], v[44:45], v[56:57]
	v_add_f64 v[46:47], v[46:47], v[48:49]
	s_waitcnt vmcnt(8) lgkmcnt(0)
	v_mul_f64 v[48:49], v[6:7], v[24:25]
	v_mul_f64 v[24:25], v[8:9], v[24:25]
	v_fma_f64 v[52:53], v[4:5], v[18:19], v[52:53]
	v_fma_f64 v[56:57], v[2:3], v[18:19], -v[20:21]
	ds_load_b128 v[2:5], v1 offset:1504
	scratch_load_b128 v[18:21], off, off offset:704
	v_add_f64 v[44:45], v[44:45], v[54:55]
	v_add_f64 v[46:47], v[46:47], v[50:51]
	v_fma_f64 v[48:49], v[8:9], v[22:23], v[48:49]
	v_fma_f64 v[54:55], v[6:7], v[22:23], -v[24:25]
	scratch_load_b128 v[22:25], off, off offset:720
	ds_load_b128 v[6:9], v1 offset:1520
	s_waitcnt vmcnt(9) lgkmcnt(1)
	v_mul_f64 v[50:51], v[2:3], v[28:29]
	v_mul_f64 v[28:29], v[4:5], v[28:29]
	v_add_f64 v[44:45], v[44:45], v[56:57]
	v_add_f64 v[46:47], v[46:47], v[52:53]
	s_waitcnt vmcnt(8) lgkmcnt(0)
	v_mul_f64 v[52:53], v[6:7], v[32:33]
	v_mul_f64 v[32:33], v[8:9], v[32:33]
	v_fma_f64 v[50:51], v[4:5], v[26:27], v[50:51]
	v_fma_f64 v[56:57], v[2:3], v[26:27], -v[28:29]
	ds_load_b128 v[2:5], v1 offset:1536
	scratch_load_b128 v[26:29], off, off offset:736
	v_add_f64 v[44:45], v[44:45], v[54:55]
	v_add_f64 v[46:47], v[46:47], v[48:49]
	v_fma_f64 v[52:53], v[8:9], v[30:31], v[52:53]
	v_fma_f64 v[54:55], v[6:7], v[30:31], -v[32:33]
	scratch_load_b128 v[30:33], off, off offset:752
	ds_load_b128 v[6:9], v1 offset:1552
	s_waitcnt vmcnt(9) lgkmcnt(1)
	v_mul_f64 v[48:49], v[2:3], v[36:37]
	v_mul_f64 v[36:37], v[4:5], v[36:37]
	v_add_f64 v[44:45], v[44:45], v[56:57]
	v_add_f64 v[46:47], v[46:47], v[50:51]
	s_waitcnt vmcnt(8) lgkmcnt(0)
	v_mul_f64 v[50:51], v[6:7], v[177:178]
	v_mul_f64 v[56:57], v[8:9], v[177:178]
	v_fma_f64 v[48:49], v[4:5], v[34:35], v[48:49]
	v_fma_f64 v[58:59], v[2:3], v[34:35], -v[36:37]
	ds_load_b128 v[2:5], v1 offset:1568
	scratch_load_b128 v[34:37], off, off offset:768
	v_add_f64 v[44:45], v[44:45], v[54:55]
	v_add_f64 v[46:47], v[46:47], v[52:53]
	v_fma_f64 v[50:51], v[8:9], v[175:176], v[50:51]
	v_fma_f64 v[54:55], v[6:7], v[175:176], -v[56:57]
	scratch_load_b128 v[175:178], off, off offset:784
	ds_load_b128 v[6:9], v1 offset:1584
	s_waitcnt vmcnt(9) lgkmcnt(1)
	v_mul_f64 v[52:53], v[2:3], v[40:41]
	v_mul_f64 v[40:41], v[4:5], v[40:41]
	s_waitcnt vmcnt(8) lgkmcnt(0)
	v_mul_f64 v[56:57], v[8:9], v[173:174]
	v_add_f64 v[44:45], v[44:45], v[58:59]
	v_add_f64 v[46:47], v[46:47], v[48:49]
	v_mul_f64 v[48:49], v[6:7], v[173:174]
	v_fma_f64 v[52:53], v[4:5], v[38:39], v[52:53]
	v_fma_f64 v[58:59], v[2:3], v[38:39], -v[40:41]
	ds_load_b128 v[2:5], v1 offset:1600
	scratch_load_b128 v[38:41], off, off offset:800
	v_add_f64 v[44:45], v[44:45], v[54:55]
	v_add_f64 v[46:47], v[46:47], v[50:51]
	v_fma_f64 v[48:49], v[8:9], v[171:172], v[48:49]
	v_fma_f64 v[54:55], v[6:7], v[171:172], -v[56:57]
	ds_load_b128 v[6:9], v1 offset:1616
	s_waitcnt vmcnt(8) lgkmcnt(1)
	v_mul_f64 v[50:51], v[2:3], v[12:13]
	v_mul_f64 v[12:13], v[4:5], v[12:13]
	scratch_load_b128 v[171:174], off, off offset:816
	v_add_f64 v[44:45], v[44:45], v[58:59]
	v_add_f64 v[46:47], v[46:47], v[52:53]
	s_waitcnt vmcnt(8) lgkmcnt(0)
	v_mul_f64 v[52:53], v[6:7], v[16:17]
	v_mul_f64 v[16:17], v[8:9], v[16:17]
	v_fma_f64 v[50:51], v[4:5], v[10:11], v[50:51]
	v_fma_f64 v[56:57], v[2:3], v[10:11], -v[12:13]
	ds_load_b128 v[2:5], v1 offset:1632
	scratch_load_b128 v[10:13], off, off offset:832
	v_add_f64 v[44:45], v[44:45], v[54:55]
	v_add_f64 v[46:47], v[46:47], v[48:49]
	v_fma_f64 v[52:53], v[8:9], v[14:15], v[52:53]
	v_fma_f64 v[54:55], v[6:7], v[14:15], -v[16:17]
	ds_load_b128 v[6:9], v1 offset:1648
	s_waitcnt vmcnt(8) lgkmcnt(1)
	v_mul_f64 v[48:49], v[2:3], v[20:21]
	v_mul_f64 v[20:21], v[4:5], v[20:21]
	scratch_load_b128 v[14:17], off, off offset:848
	v_add_f64 v[44:45], v[44:45], v[56:57]
	v_add_f64 v[46:47], v[46:47], v[50:51]
	s_waitcnt vmcnt(8) lgkmcnt(0)
	v_mul_f64 v[50:51], v[6:7], v[24:25]
	v_mul_f64 v[24:25], v[8:9], v[24:25]
	v_fma_f64 v[48:49], v[4:5], v[18:19], v[48:49]
	v_fma_f64 v[56:57], v[2:3], v[18:19], -v[20:21]
	scratch_load_b128 v[18:21], off, off offset:864
	ds_load_b128 v[2:5], v1 offset:1664
	v_add_f64 v[44:45], v[44:45], v[54:55]
	v_add_f64 v[46:47], v[46:47], v[52:53]
	v_fma_f64 v[50:51], v[8:9], v[22:23], v[50:51]
	v_fma_f64 v[54:55], v[6:7], v[22:23], -v[24:25]
	ds_load_b128 v[6:9], v1 offset:1680
	s_waitcnt vmcnt(8) lgkmcnt(1)
	v_mul_f64 v[52:53], v[2:3], v[28:29]
	v_mul_f64 v[28:29], v[4:5], v[28:29]
	scratch_load_b128 v[22:25], off, off offset:880
	v_add_f64 v[44:45], v[44:45], v[56:57]
	v_add_f64 v[46:47], v[46:47], v[48:49]
	s_waitcnt vmcnt(8) lgkmcnt(0)
	v_mul_f64 v[48:49], v[6:7], v[32:33]
	v_mul_f64 v[32:33], v[8:9], v[32:33]
	v_fma_f64 v[52:53], v[4:5], v[26:27], v[52:53]
	v_fma_f64 v[56:57], v[2:3], v[26:27], -v[28:29]
	scratch_load_b128 v[26:29], off, off offset:896
	ds_load_b128 v[2:5], v1 offset:1696
	v_add_f64 v[44:45], v[44:45], v[54:55]
	v_add_f64 v[46:47], v[46:47], v[50:51]
	v_fma_f64 v[48:49], v[8:9], v[30:31], v[48:49]
	v_fma_f64 v[54:55], v[6:7], v[30:31], -v[32:33]
	ds_load_b128 v[6:9], v1 offset:1712
	s_waitcnt vmcnt(8) lgkmcnt(1)
	v_mul_f64 v[50:51], v[2:3], v[36:37]
	v_mul_f64 v[36:37], v[4:5], v[36:37]
	scratch_load_b128 v[30:33], off, off offset:912
	v_add_f64 v[44:45], v[44:45], v[56:57]
	v_add_f64 v[46:47], v[46:47], v[52:53]
	s_waitcnt vmcnt(8) lgkmcnt(0)
	v_mul_f64 v[52:53], v[6:7], v[177:178]
	v_mul_f64 v[56:57], v[8:9], v[177:178]
	v_fma_f64 v[50:51], v[4:5], v[34:35], v[50:51]
	v_fma_f64 v[34:35], v[2:3], v[34:35], -v[36:37]
	ds_load_b128 v[2:5], v1 offset:1728
	v_add_f64 v[36:37], v[44:45], v[54:55]
	v_add_f64 v[44:45], v[46:47], v[48:49]
	v_fma_f64 v[48:49], v[8:9], v[175:176], v[52:53]
	v_fma_f64 v[52:53], v[6:7], v[175:176], -v[56:57]
	ds_load_b128 v[6:9], v1 offset:1744
	s_waitcnt vmcnt(7) lgkmcnt(1)
	v_mul_f64 v[46:47], v[2:3], v[40:41]
	v_mul_f64 v[40:41], v[4:5], v[40:41]
	v_add_f64 v[34:35], v[36:37], v[34:35]
	v_add_f64 v[36:37], v[44:45], v[50:51]
	s_delay_alu instid0(VALU_DEP_4) | instskip(NEXT) | instid1(VALU_DEP_4)
	v_fma_f64 v[46:47], v[4:5], v[38:39], v[46:47]
	v_fma_f64 v[38:39], v[2:3], v[38:39], -v[40:41]
	ds_load_b128 v[2:5], v1 offset:1760
	v_add_f64 v[40:41], v[34:35], v[52:53]
	v_add_f64 v[48:49], v[36:37], v[48:49]
	scratch_load_b128 v[34:37], off, off offset:144
	s_waitcnt vmcnt(7) lgkmcnt(1)
	v_mul_f64 v[44:45], v[6:7], v[173:174]
	v_mul_f64 v[50:51], v[8:9], v[173:174]
	v_add_f64 v[38:39], v[40:41], v[38:39]
	v_add_f64 v[40:41], v[48:49], v[46:47]
	s_delay_alu instid0(VALU_DEP_4) | instskip(NEXT) | instid1(VALU_DEP_4)
	v_fma_f64 v[44:45], v[8:9], v[171:172], v[44:45]
	v_fma_f64 v[50:51], v[6:7], v[171:172], -v[50:51]
	ds_load_b128 v[6:9], v1 offset:1776
	s_waitcnt vmcnt(6) lgkmcnt(1)
	v_mul_f64 v[52:53], v[2:3], v[12:13]
	v_mul_f64 v[12:13], v[4:5], v[12:13]
	s_waitcnt vmcnt(5) lgkmcnt(0)
	v_mul_f64 v[46:47], v[6:7], v[16:17]
	v_mul_f64 v[16:17], v[8:9], v[16:17]
	s_delay_alu instid0(VALU_DEP_4) | instskip(NEXT) | instid1(VALU_DEP_4)
	v_fma_f64 v[48:49], v[4:5], v[10:11], v[52:53]
	v_fma_f64 v[10:11], v[2:3], v[10:11], -v[12:13]
	v_add_f64 v[12:13], v[38:39], v[50:51]
	v_add_f64 v[38:39], v[40:41], v[44:45]
	ds_load_b128 v[2:5], v1 offset:1792
	v_fma_f64 v[44:45], v[8:9], v[14:15], v[46:47]
	v_fma_f64 v[14:15], v[6:7], v[14:15], -v[16:17]
	ds_load_b128 v[6:9], v1 offset:1808
	s_waitcnt vmcnt(4) lgkmcnt(1)
	v_mul_f64 v[40:41], v[2:3], v[20:21]
	v_mul_f64 v[20:21], v[4:5], v[20:21]
	v_add_f64 v[10:11], v[12:13], v[10:11]
	v_add_f64 v[12:13], v[38:39], v[48:49]
	s_waitcnt vmcnt(3) lgkmcnt(0)
	v_mul_f64 v[16:17], v[6:7], v[24:25]
	v_mul_f64 v[24:25], v[8:9], v[24:25]
	v_fma_f64 v[38:39], v[4:5], v[18:19], v[40:41]
	v_fma_f64 v[18:19], v[2:3], v[18:19], -v[20:21]
	ds_load_b128 v[2:5], v1 offset:1824
	v_add_f64 v[10:11], v[10:11], v[14:15]
	v_add_f64 v[12:13], v[12:13], v[44:45]
	v_fma_f64 v[16:17], v[8:9], v[22:23], v[16:17]
	v_fma_f64 v[22:23], v[6:7], v[22:23], -v[24:25]
	ds_load_b128 v[6:9], v1 offset:1840
	s_waitcnt vmcnt(2) lgkmcnt(1)
	v_mul_f64 v[14:15], v[2:3], v[28:29]
	v_mul_f64 v[20:21], v[4:5], v[28:29]
	s_waitcnt vmcnt(1) lgkmcnt(0)
	v_mul_f64 v[24:25], v[8:9], v[32:33]
	v_add_f64 v[10:11], v[10:11], v[18:19]
	v_add_f64 v[12:13], v[12:13], v[38:39]
	v_mul_f64 v[18:19], v[6:7], v[32:33]
	v_fma_f64 v[4:5], v[4:5], v[26:27], v[14:15]
	v_fma_f64 v[1:2], v[2:3], v[26:27], -v[20:21]
	v_fma_f64 v[6:7], v[6:7], v[30:31], -v[24:25]
	v_add_f64 v[10:11], v[10:11], v[22:23]
	v_add_f64 v[12:13], v[12:13], v[16:17]
	v_fma_f64 v[8:9], v[8:9], v[30:31], v[18:19]
	s_delay_alu instid0(VALU_DEP_3) | instskip(NEXT) | instid1(VALU_DEP_3)
	v_add_f64 v[1:2], v[10:11], v[1:2]
	v_add_f64 v[3:4], v[12:13], v[4:5]
	s_delay_alu instid0(VALU_DEP_2) | instskip(NEXT) | instid1(VALU_DEP_2)
	v_add_f64 v[1:2], v[1:2], v[6:7]
	v_add_f64 v[3:4], v[3:4], v[8:9]
	s_waitcnt vmcnt(0)
	s_delay_alu instid0(VALU_DEP_2) | instskip(NEXT) | instid1(VALU_DEP_2)
	v_add_f64 v[1:2], v[34:35], -v[1:2]
	v_add_f64 v[3:4], v[36:37], -v[3:4]
	scratch_store_b128 off, v[1:4], off offset:144
	v_cmpx_lt_u32_e32 8, v158
	s_cbranch_execz .LBB121_345
; %bb.344:
	scratch_load_b128 v[1:4], v208, off
	v_mov_b32_e32 v5, 0
	s_delay_alu instid0(VALU_DEP_1)
	v_mov_b32_e32 v6, v5
	v_mov_b32_e32 v7, v5
	;; [unrolled: 1-line block ×3, first 2 shown]
	scratch_store_b128 off, v[5:8], off offset:128
	s_waitcnt vmcnt(0)
	ds_store_b128 v216, v[1:4]
.LBB121_345:
	s_or_b32 exec_lo, exec_lo, s2
	s_waitcnt lgkmcnt(0)
	s_waitcnt_vscnt null, 0x0
	s_barrier
	buffer_gl0_inv
	s_clause 0x7
	scratch_load_b128 v[2:5], off, off offset:144
	scratch_load_b128 v[6:9], off, off offset:160
	;; [unrolled: 1-line block ×8, first 2 shown]
	v_mov_b32_e32 v1, 0
	s_clause 0x1
	scratch_load_b128 v[34:37], off, off offset:272
	scratch_load_b128 v[175:178], off, off offset:288
	s_mov_b32 s2, exec_lo
	ds_load_b128 v[38:41], v1 offset:1072
	ds_load_b128 v[171:174], v1 offset:1088
	s_waitcnt vmcnt(9) lgkmcnt(1)
	v_mul_f64 v[44:45], v[40:41], v[4:5]
	v_mul_f64 v[4:5], v[38:39], v[4:5]
	s_waitcnt vmcnt(8) lgkmcnt(0)
	v_mul_f64 v[46:47], v[171:172], v[8:9]
	v_mul_f64 v[8:9], v[173:174], v[8:9]
	s_delay_alu instid0(VALU_DEP_4) | instskip(NEXT) | instid1(VALU_DEP_4)
	v_fma_f64 v[44:45], v[38:39], v[2:3], -v[44:45]
	v_fma_f64 v[48:49], v[40:41], v[2:3], v[4:5]
	ds_load_b128 v[2:5], v1 offset:1104
	scratch_load_b128 v[38:41], off, off offset:304
	v_fma_f64 v[46:47], v[173:174], v[6:7], v[46:47]
	v_fma_f64 v[52:53], v[171:172], v[6:7], -v[8:9]
	scratch_load_b128 v[171:174], off, off offset:320
	ds_load_b128 v[6:9], v1 offset:1120
	s_waitcnt vmcnt(9) lgkmcnt(1)
	v_mul_f64 v[50:51], v[2:3], v[12:13]
	v_mul_f64 v[12:13], v[4:5], v[12:13]
	s_waitcnt vmcnt(8) lgkmcnt(0)
	v_mul_f64 v[54:55], v[6:7], v[16:17]
	v_mul_f64 v[16:17], v[8:9], v[16:17]
	v_add_f64 v[44:45], v[44:45], 0
	v_add_f64 v[48:49], v[48:49], 0
	v_fma_f64 v[50:51], v[4:5], v[10:11], v[50:51]
	v_fma_f64 v[56:57], v[2:3], v[10:11], -v[12:13]
	ds_load_b128 v[2:5], v1 offset:1136
	scratch_load_b128 v[10:13], off, off offset:336
	v_add_f64 v[44:45], v[44:45], v[52:53]
	v_add_f64 v[46:47], v[48:49], v[46:47]
	v_fma_f64 v[52:53], v[8:9], v[14:15], v[54:55]
	v_fma_f64 v[54:55], v[6:7], v[14:15], -v[16:17]
	scratch_load_b128 v[14:17], off, off offset:352
	ds_load_b128 v[6:9], v1 offset:1152
	s_waitcnt vmcnt(9) lgkmcnt(1)
	v_mul_f64 v[48:49], v[2:3], v[20:21]
	v_mul_f64 v[20:21], v[4:5], v[20:21]
	v_add_f64 v[44:45], v[44:45], v[56:57]
	v_add_f64 v[46:47], v[46:47], v[50:51]
	s_waitcnt vmcnt(8) lgkmcnt(0)
	v_mul_f64 v[50:51], v[6:7], v[24:25]
	v_mul_f64 v[24:25], v[8:9], v[24:25]
	v_fma_f64 v[48:49], v[4:5], v[18:19], v[48:49]
	v_fma_f64 v[56:57], v[2:3], v[18:19], -v[20:21]
	ds_load_b128 v[2:5], v1 offset:1168
	scratch_load_b128 v[18:21], off, off offset:368
	v_add_f64 v[44:45], v[44:45], v[54:55]
	v_add_f64 v[46:47], v[46:47], v[52:53]
	v_fma_f64 v[50:51], v[8:9], v[22:23], v[50:51]
	v_fma_f64 v[54:55], v[6:7], v[22:23], -v[24:25]
	scratch_load_b128 v[22:25], off, off offset:384
	ds_load_b128 v[6:9], v1 offset:1184
	s_waitcnt vmcnt(9) lgkmcnt(1)
	v_mul_f64 v[52:53], v[2:3], v[28:29]
	v_mul_f64 v[28:29], v[4:5], v[28:29]
	v_add_f64 v[44:45], v[44:45], v[56:57]
	v_add_f64 v[46:47], v[46:47], v[48:49]
	s_waitcnt vmcnt(8) lgkmcnt(0)
	v_mul_f64 v[48:49], v[6:7], v[32:33]
	v_mul_f64 v[32:33], v[8:9], v[32:33]
	;; [unrolled: 18-line block ×3, first 2 shown]
	v_fma_f64 v[50:51], v[4:5], v[34:35], v[50:51]
	v_fma_f64 v[58:59], v[2:3], v[34:35], -v[36:37]
	ds_load_b128 v[2:5], v1 offset:1232
	scratch_load_b128 v[34:37], off, off offset:432
	v_add_f64 v[44:45], v[44:45], v[54:55]
	v_add_f64 v[46:47], v[46:47], v[48:49]
	v_fma_f64 v[52:53], v[8:9], v[175:176], v[52:53]
	v_fma_f64 v[54:55], v[6:7], v[175:176], -v[56:57]
	scratch_load_b128 v[175:178], off, off offset:448
	ds_load_b128 v[6:9], v1 offset:1248
	s_waitcnt vmcnt(9) lgkmcnt(1)
	v_mul_f64 v[48:49], v[2:3], v[40:41]
	v_mul_f64 v[40:41], v[4:5], v[40:41]
	s_waitcnt vmcnt(8) lgkmcnt(0)
	v_mul_f64 v[56:57], v[8:9], v[173:174]
	v_add_f64 v[44:45], v[44:45], v[58:59]
	v_add_f64 v[46:47], v[46:47], v[50:51]
	v_mul_f64 v[50:51], v[6:7], v[173:174]
	v_fma_f64 v[48:49], v[4:5], v[38:39], v[48:49]
	v_fma_f64 v[58:59], v[2:3], v[38:39], -v[40:41]
	ds_load_b128 v[2:5], v1 offset:1264
	scratch_load_b128 v[38:41], off, off offset:464
	v_add_f64 v[44:45], v[44:45], v[54:55]
	v_add_f64 v[46:47], v[46:47], v[52:53]
	v_fma_f64 v[50:51], v[8:9], v[171:172], v[50:51]
	v_fma_f64 v[54:55], v[6:7], v[171:172], -v[56:57]
	scratch_load_b128 v[171:174], off, off offset:480
	ds_load_b128 v[6:9], v1 offset:1280
	s_waitcnt vmcnt(9) lgkmcnt(1)
	v_mul_f64 v[52:53], v[2:3], v[12:13]
	v_mul_f64 v[12:13], v[4:5], v[12:13]
	v_add_f64 v[44:45], v[44:45], v[58:59]
	v_add_f64 v[46:47], v[46:47], v[48:49]
	s_waitcnt vmcnt(8) lgkmcnt(0)
	v_mul_f64 v[48:49], v[6:7], v[16:17]
	v_mul_f64 v[16:17], v[8:9], v[16:17]
	v_fma_f64 v[52:53], v[4:5], v[10:11], v[52:53]
	v_fma_f64 v[56:57], v[2:3], v[10:11], -v[12:13]
	ds_load_b128 v[2:5], v1 offset:1296
	scratch_load_b128 v[10:13], off, off offset:496
	v_add_f64 v[44:45], v[44:45], v[54:55]
	v_add_f64 v[46:47], v[46:47], v[50:51]
	v_fma_f64 v[48:49], v[8:9], v[14:15], v[48:49]
	v_fma_f64 v[54:55], v[6:7], v[14:15], -v[16:17]
	scratch_load_b128 v[14:17], off, off offset:512
	ds_load_b128 v[6:9], v1 offset:1312
	s_waitcnt vmcnt(9) lgkmcnt(1)
	v_mul_f64 v[50:51], v[2:3], v[20:21]
	v_mul_f64 v[20:21], v[4:5], v[20:21]
	v_add_f64 v[44:45], v[44:45], v[56:57]
	v_add_f64 v[46:47], v[46:47], v[52:53]
	s_waitcnt vmcnt(8) lgkmcnt(0)
	v_mul_f64 v[52:53], v[6:7], v[24:25]
	;; [unrolled: 18-line block ×4, first 2 shown]
	v_mul_f64 v[56:57], v[8:9], v[177:178]
	v_fma_f64 v[52:53], v[4:5], v[34:35], v[52:53]
	v_fma_f64 v[58:59], v[2:3], v[34:35], -v[36:37]
	ds_load_b128 v[2:5], v1 offset:1392
	scratch_load_b128 v[34:37], off, off offset:592
	v_add_f64 v[44:45], v[44:45], v[54:55]
	v_add_f64 v[46:47], v[46:47], v[50:51]
	v_fma_f64 v[48:49], v[8:9], v[175:176], v[48:49]
	v_fma_f64 v[54:55], v[6:7], v[175:176], -v[56:57]
	scratch_load_b128 v[175:178], off, off offset:608
	ds_load_b128 v[6:9], v1 offset:1408
	s_waitcnt vmcnt(9) lgkmcnt(1)
	v_mul_f64 v[50:51], v[2:3], v[40:41]
	v_mul_f64 v[40:41], v[4:5], v[40:41]
	s_waitcnt vmcnt(8) lgkmcnt(0)
	v_mul_f64 v[56:57], v[8:9], v[173:174]
	v_add_f64 v[44:45], v[44:45], v[58:59]
	v_add_f64 v[46:47], v[46:47], v[52:53]
	v_mul_f64 v[52:53], v[6:7], v[173:174]
	v_fma_f64 v[50:51], v[4:5], v[38:39], v[50:51]
	v_fma_f64 v[58:59], v[2:3], v[38:39], -v[40:41]
	ds_load_b128 v[2:5], v1 offset:1424
	scratch_load_b128 v[38:41], off, off offset:624
	v_add_f64 v[44:45], v[44:45], v[54:55]
	v_add_f64 v[46:47], v[46:47], v[48:49]
	v_fma_f64 v[52:53], v[8:9], v[171:172], v[52:53]
	v_fma_f64 v[54:55], v[6:7], v[171:172], -v[56:57]
	scratch_load_b128 v[171:174], off, off offset:640
	ds_load_b128 v[6:9], v1 offset:1440
	s_waitcnt vmcnt(9) lgkmcnt(1)
	v_mul_f64 v[48:49], v[2:3], v[12:13]
	v_mul_f64 v[12:13], v[4:5], v[12:13]
	v_add_f64 v[44:45], v[44:45], v[58:59]
	v_add_f64 v[46:47], v[46:47], v[50:51]
	s_waitcnt vmcnt(8) lgkmcnt(0)
	v_mul_f64 v[50:51], v[6:7], v[16:17]
	v_mul_f64 v[16:17], v[8:9], v[16:17]
	v_fma_f64 v[48:49], v[4:5], v[10:11], v[48:49]
	v_fma_f64 v[56:57], v[2:3], v[10:11], -v[12:13]
	ds_load_b128 v[2:5], v1 offset:1456
	scratch_load_b128 v[10:13], off, off offset:656
	v_add_f64 v[44:45], v[44:45], v[54:55]
	v_add_f64 v[46:47], v[46:47], v[52:53]
	v_fma_f64 v[50:51], v[8:9], v[14:15], v[50:51]
	v_fma_f64 v[54:55], v[6:7], v[14:15], -v[16:17]
	scratch_load_b128 v[14:17], off, off offset:672
	ds_load_b128 v[6:9], v1 offset:1472
	s_waitcnt vmcnt(9) lgkmcnt(1)
	v_mul_f64 v[52:53], v[2:3], v[20:21]
	v_mul_f64 v[20:21], v[4:5], v[20:21]
	v_add_f64 v[44:45], v[44:45], v[56:57]
	v_add_f64 v[46:47], v[46:47], v[48:49]
	s_waitcnt vmcnt(8) lgkmcnt(0)
	v_mul_f64 v[48:49], v[6:7], v[24:25]
	;; [unrolled: 18-line block ×4, first 2 shown]
	v_mul_f64 v[56:57], v[8:9], v[177:178]
	v_fma_f64 v[48:49], v[4:5], v[34:35], v[48:49]
	v_fma_f64 v[58:59], v[2:3], v[34:35], -v[36:37]
	ds_load_b128 v[2:5], v1 offset:1552
	scratch_load_b128 v[34:37], off, off offset:752
	v_add_f64 v[44:45], v[44:45], v[54:55]
	v_add_f64 v[46:47], v[46:47], v[52:53]
	v_fma_f64 v[50:51], v[8:9], v[175:176], v[50:51]
	v_fma_f64 v[54:55], v[6:7], v[175:176], -v[56:57]
	scratch_load_b128 v[175:178], off, off offset:768
	ds_load_b128 v[6:9], v1 offset:1568
	s_waitcnt vmcnt(9) lgkmcnt(1)
	v_mul_f64 v[52:53], v[2:3], v[40:41]
	v_mul_f64 v[40:41], v[4:5], v[40:41]
	s_waitcnt vmcnt(8) lgkmcnt(0)
	v_mul_f64 v[56:57], v[8:9], v[173:174]
	v_add_f64 v[44:45], v[44:45], v[58:59]
	v_add_f64 v[46:47], v[46:47], v[48:49]
	v_mul_f64 v[48:49], v[6:7], v[173:174]
	v_fma_f64 v[52:53], v[4:5], v[38:39], v[52:53]
	v_fma_f64 v[58:59], v[2:3], v[38:39], -v[40:41]
	ds_load_b128 v[2:5], v1 offset:1584
	scratch_load_b128 v[38:41], off, off offset:784
	v_add_f64 v[44:45], v[44:45], v[54:55]
	v_add_f64 v[46:47], v[46:47], v[50:51]
	v_fma_f64 v[48:49], v[8:9], v[171:172], v[48:49]
	v_fma_f64 v[54:55], v[6:7], v[171:172], -v[56:57]
	ds_load_b128 v[6:9], v1 offset:1600
	s_waitcnt vmcnt(8) lgkmcnt(1)
	v_mul_f64 v[50:51], v[2:3], v[12:13]
	v_mul_f64 v[12:13], v[4:5], v[12:13]
	scratch_load_b128 v[171:174], off, off offset:800
	v_add_f64 v[44:45], v[44:45], v[58:59]
	v_add_f64 v[46:47], v[46:47], v[52:53]
	s_waitcnt vmcnt(8) lgkmcnt(0)
	v_mul_f64 v[52:53], v[6:7], v[16:17]
	v_mul_f64 v[16:17], v[8:9], v[16:17]
	v_fma_f64 v[50:51], v[4:5], v[10:11], v[50:51]
	v_fma_f64 v[56:57], v[2:3], v[10:11], -v[12:13]
	ds_load_b128 v[2:5], v1 offset:1616
	scratch_load_b128 v[10:13], off, off offset:816
	v_add_f64 v[44:45], v[44:45], v[54:55]
	v_add_f64 v[46:47], v[46:47], v[48:49]
	v_fma_f64 v[52:53], v[8:9], v[14:15], v[52:53]
	v_fma_f64 v[54:55], v[6:7], v[14:15], -v[16:17]
	ds_load_b128 v[6:9], v1 offset:1632
	s_waitcnt vmcnt(8) lgkmcnt(1)
	v_mul_f64 v[48:49], v[2:3], v[20:21]
	v_mul_f64 v[20:21], v[4:5], v[20:21]
	scratch_load_b128 v[14:17], off, off offset:832
	v_add_f64 v[44:45], v[44:45], v[56:57]
	v_add_f64 v[46:47], v[46:47], v[50:51]
	s_waitcnt vmcnt(8) lgkmcnt(0)
	v_mul_f64 v[50:51], v[6:7], v[24:25]
	v_mul_f64 v[24:25], v[8:9], v[24:25]
	v_fma_f64 v[48:49], v[4:5], v[18:19], v[48:49]
	v_fma_f64 v[56:57], v[2:3], v[18:19], -v[20:21]
	scratch_load_b128 v[18:21], off, off offset:848
	ds_load_b128 v[2:5], v1 offset:1648
	v_add_f64 v[44:45], v[44:45], v[54:55]
	v_add_f64 v[46:47], v[46:47], v[52:53]
	v_fma_f64 v[50:51], v[8:9], v[22:23], v[50:51]
	v_fma_f64 v[54:55], v[6:7], v[22:23], -v[24:25]
	ds_load_b128 v[6:9], v1 offset:1664
	s_waitcnt vmcnt(8) lgkmcnt(1)
	v_mul_f64 v[52:53], v[2:3], v[28:29]
	v_mul_f64 v[28:29], v[4:5], v[28:29]
	scratch_load_b128 v[22:25], off, off offset:864
	v_add_f64 v[44:45], v[44:45], v[56:57]
	v_add_f64 v[46:47], v[46:47], v[48:49]
	s_waitcnt vmcnt(8) lgkmcnt(0)
	v_mul_f64 v[48:49], v[6:7], v[32:33]
	v_mul_f64 v[32:33], v[8:9], v[32:33]
	v_fma_f64 v[52:53], v[4:5], v[26:27], v[52:53]
	v_fma_f64 v[56:57], v[2:3], v[26:27], -v[28:29]
	scratch_load_b128 v[26:29], off, off offset:880
	ds_load_b128 v[2:5], v1 offset:1680
	;; [unrolled: 18-line block ×3, first 2 shown]
	v_add_f64 v[44:45], v[44:45], v[54:55]
	v_add_f64 v[46:47], v[46:47], v[48:49]
	v_fma_f64 v[52:53], v[8:9], v[175:176], v[52:53]
	v_fma_f64 v[54:55], v[6:7], v[175:176], -v[56:57]
	ds_load_b128 v[6:9], v1 offset:1728
	s_waitcnt vmcnt(8) lgkmcnt(1)
	v_mul_f64 v[48:49], v[2:3], v[40:41]
	v_mul_f64 v[40:41], v[4:5], v[40:41]
	v_add_f64 v[44:45], v[44:45], v[58:59]
	v_add_f64 v[46:47], v[46:47], v[50:51]
	s_delay_alu instid0(VALU_DEP_4) | instskip(NEXT) | instid1(VALU_DEP_4)
	v_fma_f64 v[48:49], v[4:5], v[38:39], v[48:49]
	v_fma_f64 v[38:39], v[2:3], v[38:39], -v[40:41]
	ds_load_b128 v[2:5], v1 offset:1744
	v_add_f64 v[40:41], v[44:45], v[54:55]
	v_add_f64 v[44:45], v[46:47], v[52:53]
	s_delay_alu instid0(VALU_DEP_2)
	v_add_f64 v[54:55], v[40:41], v[38:39]
	scratch_load_b128 v[38:41], off, off offset:128
	s_waitcnt vmcnt(8) lgkmcnt(1)
	v_mul_f64 v[50:51], v[6:7], v[173:174]
	v_mul_f64 v[56:57], v[8:9], v[173:174]
	v_add_f64 v[44:45], v[44:45], v[48:49]
	s_delay_alu instid0(VALU_DEP_3) | instskip(NEXT) | instid1(VALU_DEP_3)
	v_fma_f64 v[50:51], v[8:9], v[171:172], v[50:51]
	v_fma_f64 v[52:53], v[6:7], v[171:172], -v[56:57]
	ds_load_b128 v[6:9], v1 offset:1760
	s_waitcnt vmcnt(7) lgkmcnt(1)
	v_mul_f64 v[46:47], v[2:3], v[12:13]
	v_mul_f64 v[12:13], v[4:5], v[12:13]
	s_waitcnt vmcnt(6) lgkmcnt(0)
	v_mul_f64 v[48:49], v[6:7], v[16:17]
	v_mul_f64 v[16:17], v[8:9], v[16:17]
	v_add_f64 v[44:45], v[44:45], v[50:51]
	v_fma_f64 v[46:47], v[4:5], v[10:11], v[46:47]
	v_fma_f64 v[10:11], v[2:3], v[10:11], -v[12:13]
	v_add_f64 v[12:13], v[54:55], v[52:53]
	ds_load_b128 v[2:5], v1 offset:1776
	v_fma_f64 v[48:49], v[8:9], v[14:15], v[48:49]
	v_fma_f64 v[14:15], v[6:7], v[14:15], -v[16:17]
	ds_load_b128 v[6:9], v1 offset:1792
	s_waitcnt vmcnt(5) lgkmcnt(1)
	v_mul_f64 v[50:51], v[2:3], v[20:21]
	v_mul_f64 v[20:21], v[4:5], v[20:21]
	v_add_f64 v[10:11], v[12:13], v[10:11]
	v_add_f64 v[12:13], v[44:45], v[46:47]
	s_waitcnt vmcnt(4) lgkmcnt(0)
	v_mul_f64 v[16:17], v[6:7], v[24:25]
	v_mul_f64 v[24:25], v[8:9], v[24:25]
	v_fma_f64 v[44:45], v[4:5], v[18:19], v[50:51]
	v_fma_f64 v[18:19], v[2:3], v[18:19], -v[20:21]
	ds_load_b128 v[2:5], v1 offset:1808
	v_add_f64 v[10:11], v[10:11], v[14:15]
	v_add_f64 v[12:13], v[12:13], v[48:49]
	v_fma_f64 v[16:17], v[8:9], v[22:23], v[16:17]
	v_fma_f64 v[22:23], v[6:7], v[22:23], -v[24:25]
	ds_load_b128 v[6:9], v1 offset:1824
	s_waitcnt vmcnt(3) lgkmcnt(1)
	v_mul_f64 v[14:15], v[2:3], v[28:29]
	v_mul_f64 v[20:21], v[4:5], v[28:29]
	s_waitcnt vmcnt(2) lgkmcnt(0)
	v_mul_f64 v[24:25], v[8:9], v[32:33]
	v_add_f64 v[10:11], v[10:11], v[18:19]
	v_add_f64 v[12:13], v[12:13], v[44:45]
	v_mul_f64 v[18:19], v[6:7], v[32:33]
	v_fma_f64 v[14:15], v[4:5], v[26:27], v[14:15]
	v_fma_f64 v[20:21], v[2:3], v[26:27], -v[20:21]
	ds_load_b128 v[2:5], v1 offset:1840
	v_fma_f64 v[6:7], v[6:7], v[30:31], -v[24:25]
	v_add_f64 v[10:11], v[10:11], v[22:23]
	v_add_f64 v[12:13], v[12:13], v[16:17]
	s_waitcnt vmcnt(1) lgkmcnt(0)
	v_mul_f64 v[16:17], v[2:3], v[36:37]
	v_mul_f64 v[22:23], v[4:5], v[36:37]
	v_fma_f64 v[8:9], v[8:9], v[30:31], v[18:19]
	v_add_f64 v[10:11], v[10:11], v[20:21]
	v_add_f64 v[12:13], v[12:13], v[14:15]
	v_fma_f64 v[4:5], v[4:5], v[34:35], v[16:17]
	v_fma_f64 v[2:3], v[2:3], v[34:35], -v[22:23]
	s_delay_alu instid0(VALU_DEP_4) | instskip(NEXT) | instid1(VALU_DEP_4)
	v_add_f64 v[6:7], v[10:11], v[6:7]
	v_add_f64 v[8:9], v[12:13], v[8:9]
	s_delay_alu instid0(VALU_DEP_2) | instskip(NEXT) | instid1(VALU_DEP_2)
	v_add_f64 v[2:3], v[6:7], v[2:3]
	v_add_f64 v[4:5], v[8:9], v[4:5]
	s_waitcnt vmcnt(0)
	s_delay_alu instid0(VALU_DEP_2) | instskip(NEXT) | instid1(VALU_DEP_2)
	v_add_f64 v[2:3], v[38:39], -v[2:3]
	v_add_f64 v[4:5], v[40:41], -v[4:5]
	scratch_store_b128 off, v[2:5], off offset:128
	v_cmpx_lt_u32_e32 7, v158
	s_cbranch_execz .LBB121_347
; %bb.346:
	scratch_load_b128 v[5:8], v209, off
	v_mov_b32_e32 v2, v1
	v_mov_b32_e32 v3, v1
	v_mov_b32_e32 v4, v1
	scratch_store_b128 off, v[1:4], off offset:112
	s_waitcnt vmcnt(0)
	ds_store_b128 v216, v[5:8]
.LBB121_347:
	s_or_b32 exec_lo, exec_lo, s2
	s_waitcnt lgkmcnt(0)
	s_waitcnt_vscnt null, 0x0
	s_barrier
	buffer_gl0_inv
	s_clause 0x7
	scratch_load_b128 v[2:5], off, off offset:128
	scratch_load_b128 v[6:9], off, off offset:144
	;; [unrolled: 1-line block ×8, first 2 shown]
	ds_load_b128 v[38:41], v1 offset:1056
	ds_load_b128 v[171:174], v1 offset:1072
	s_clause 0x1
	scratch_load_b128 v[34:37], off, off offset:256
	scratch_load_b128 v[175:178], off, off offset:272
	s_mov_b32 s2, exec_lo
	s_waitcnt vmcnt(9) lgkmcnt(1)
	v_mul_f64 v[44:45], v[40:41], v[4:5]
	v_mul_f64 v[4:5], v[38:39], v[4:5]
	s_waitcnt vmcnt(8) lgkmcnt(0)
	v_mul_f64 v[46:47], v[171:172], v[8:9]
	v_mul_f64 v[8:9], v[173:174], v[8:9]
	s_delay_alu instid0(VALU_DEP_4) | instskip(NEXT) | instid1(VALU_DEP_4)
	v_fma_f64 v[44:45], v[38:39], v[2:3], -v[44:45]
	v_fma_f64 v[48:49], v[40:41], v[2:3], v[4:5]
	ds_load_b128 v[2:5], v1 offset:1088
	scratch_load_b128 v[38:41], off, off offset:288
	v_fma_f64 v[46:47], v[173:174], v[6:7], v[46:47]
	v_fma_f64 v[52:53], v[171:172], v[6:7], -v[8:9]
	scratch_load_b128 v[171:174], off, off offset:304
	ds_load_b128 v[6:9], v1 offset:1104
	s_waitcnt vmcnt(9) lgkmcnt(1)
	v_mul_f64 v[50:51], v[2:3], v[12:13]
	v_mul_f64 v[12:13], v[4:5], v[12:13]
	s_waitcnt vmcnt(8) lgkmcnt(0)
	v_mul_f64 v[54:55], v[6:7], v[16:17]
	v_mul_f64 v[16:17], v[8:9], v[16:17]
	v_add_f64 v[44:45], v[44:45], 0
	v_add_f64 v[48:49], v[48:49], 0
	v_fma_f64 v[50:51], v[4:5], v[10:11], v[50:51]
	v_fma_f64 v[56:57], v[2:3], v[10:11], -v[12:13]
	ds_load_b128 v[2:5], v1 offset:1120
	scratch_load_b128 v[10:13], off, off offset:320
	v_add_f64 v[44:45], v[44:45], v[52:53]
	v_add_f64 v[46:47], v[48:49], v[46:47]
	v_fma_f64 v[52:53], v[8:9], v[14:15], v[54:55]
	v_fma_f64 v[54:55], v[6:7], v[14:15], -v[16:17]
	scratch_load_b128 v[14:17], off, off offset:336
	ds_load_b128 v[6:9], v1 offset:1136
	s_waitcnt vmcnt(9) lgkmcnt(1)
	v_mul_f64 v[48:49], v[2:3], v[20:21]
	v_mul_f64 v[20:21], v[4:5], v[20:21]
	v_add_f64 v[44:45], v[44:45], v[56:57]
	v_add_f64 v[46:47], v[46:47], v[50:51]
	s_waitcnt vmcnt(8) lgkmcnt(0)
	v_mul_f64 v[50:51], v[6:7], v[24:25]
	v_mul_f64 v[24:25], v[8:9], v[24:25]
	v_fma_f64 v[48:49], v[4:5], v[18:19], v[48:49]
	v_fma_f64 v[56:57], v[2:3], v[18:19], -v[20:21]
	ds_load_b128 v[2:5], v1 offset:1152
	scratch_load_b128 v[18:21], off, off offset:352
	v_add_f64 v[44:45], v[44:45], v[54:55]
	v_add_f64 v[46:47], v[46:47], v[52:53]
	v_fma_f64 v[50:51], v[8:9], v[22:23], v[50:51]
	v_fma_f64 v[54:55], v[6:7], v[22:23], -v[24:25]
	scratch_load_b128 v[22:25], off, off offset:368
	ds_load_b128 v[6:9], v1 offset:1168
	s_waitcnt vmcnt(9) lgkmcnt(1)
	v_mul_f64 v[52:53], v[2:3], v[28:29]
	v_mul_f64 v[28:29], v[4:5], v[28:29]
	v_add_f64 v[44:45], v[44:45], v[56:57]
	v_add_f64 v[46:47], v[46:47], v[48:49]
	s_waitcnt vmcnt(8) lgkmcnt(0)
	v_mul_f64 v[48:49], v[6:7], v[32:33]
	v_mul_f64 v[32:33], v[8:9], v[32:33]
	;; [unrolled: 18-line block ×3, first 2 shown]
	v_fma_f64 v[50:51], v[4:5], v[34:35], v[50:51]
	v_fma_f64 v[58:59], v[2:3], v[34:35], -v[36:37]
	ds_load_b128 v[2:5], v1 offset:1216
	scratch_load_b128 v[34:37], off, off offset:416
	v_add_f64 v[44:45], v[44:45], v[54:55]
	v_add_f64 v[46:47], v[46:47], v[48:49]
	v_fma_f64 v[52:53], v[8:9], v[175:176], v[52:53]
	v_fma_f64 v[54:55], v[6:7], v[175:176], -v[56:57]
	scratch_load_b128 v[175:178], off, off offset:432
	ds_load_b128 v[6:9], v1 offset:1232
	s_waitcnt vmcnt(9) lgkmcnt(1)
	v_mul_f64 v[48:49], v[2:3], v[40:41]
	v_mul_f64 v[40:41], v[4:5], v[40:41]
	s_waitcnt vmcnt(8) lgkmcnt(0)
	v_mul_f64 v[56:57], v[8:9], v[173:174]
	v_add_f64 v[44:45], v[44:45], v[58:59]
	v_add_f64 v[46:47], v[46:47], v[50:51]
	v_mul_f64 v[50:51], v[6:7], v[173:174]
	v_fma_f64 v[48:49], v[4:5], v[38:39], v[48:49]
	v_fma_f64 v[58:59], v[2:3], v[38:39], -v[40:41]
	ds_load_b128 v[2:5], v1 offset:1248
	scratch_load_b128 v[38:41], off, off offset:448
	v_add_f64 v[44:45], v[44:45], v[54:55]
	v_add_f64 v[46:47], v[46:47], v[52:53]
	v_fma_f64 v[50:51], v[8:9], v[171:172], v[50:51]
	v_fma_f64 v[54:55], v[6:7], v[171:172], -v[56:57]
	scratch_load_b128 v[171:174], off, off offset:464
	ds_load_b128 v[6:9], v1 offset:1264
	s_waitcnt vmcnt(9) lgkmcnt(1)
	v_mul_f64 v[52:53], v[2:3], v[12:13]
	v_mul_f64 v[12:13], v[4:5], v[12:13]
	v_add_f64 v[44:45], v[44:45], v[58:59]
	v_add_f64 v[46:47], v[46:47], v[48:49]
	s_waitcnt vmcnt(8) lgkmcnt(0)
	v_mul_f64 v[48:49], v[6:7], v[16:17]
	v_mul_f64 v[16:17], v[8:9], v[16:17]
	v_fma_f64 v[52:53], v[4:5], v[10:11], v[52:53]
	v_fma_f64 v[56:57], v[2:3], v[10:11], -v[12:13]
	ds_load_b128 v[2:5], v1 offset:1280
	scratch_load_b128 v[10:13], off, off offset:480
	v_add_f64 v[44:45], v[44:45], v[54:55]
	v_add_f64 v[46:47], v[46:47], v[50:51]
	v_fma_f64 v[48:49], v[8:9], v[14:15], v[48:49]
	v_fma_f64 v[54:55], v[6:7], v[14:15], -v[16:17]
	scratch_load_b128 v[14:17], off, off offset:496
	ds_load_b128 v[6:9], v1 offset:1296
	s_waitcnt vmcnt(9) lgkmcnt(1)
	v_mul_f64 v[50:51], v[2:3], v[20:21]
	v_mul_f64 v[20:21], v[4:5], v[20:21]
	v_add_f64 v[44:45], v[44:45], v[56:57]
	v_add_f64 v[46:47], v[46:47], v[52:53]
	s_waitcnt vmcnt(8) lgkmcnt(0)
	v_mul_f64 v[52:53], v[6:7], v[24:25]
	;; [unrolled: 18-line block ×4, first 2 shown]
	v_mul_f64 v[56:57], v[8:9], v[177:178]
	v_fma_f64 v[52:53], v[4:5], v[34:35], v[52:53]
	v_fma_f64 v[58:59], v[2:3], v[34:35], -v[36:37]
	ds_load_b128 v[2:5], v1 offset:1376
	scratch_load_b128 v[34:37], off, off offset:576
	v_add_f64 v[44:45], v[44:45], v[54:55]
	v_add_f64 v[46:47], v[46:47], v[50:51]
	v_fma_f64 v[48:49], v[8:9], v[175:176], v[48:49]
	v_fma_f64 v[54:55], v[6:7], v[175:176], -v[56:57]
	scratch_load_b128 v[175:178], off, off offset:592
	ds_load_b128 v[6:9], v1 offset:1392
	s_waitcnt vmcnt(9) lgkmcnt(1)
	v_mul_f64 v[50:51], v[2:3], v[40:41]
	v_mul_f64 v[40:41], v[4:5], v[40:41]
	s_waitcnt vmcnt(8) lgkmcnt(0)
	v_mul_f64 v[56:57], v[8:9], v[173:174]
	v_add_f64 v[44:45], v[44:45], v[58:59]
	v_add_f64 v[46:47], v[46:47], v[52:53]
	v_mul_f64 v[52:53], v[6:7], v[173:174]
	v_fma_f64 v[50:51], v[4:5], v[38:39], v[50:51]
	v_fma_f64 v[58:59], v[2:3], v[38:39], -v[40:41]
	ds_load_b128 v[2:5], v1 offset:1408
	scratch_load_b128 v[38:41], off, off offset:608
	v_add_f64 v[44:45], v[44:45], v[54:55]
	v_add_f64 v[46:47], v[46:47], v[48:49]
	v_fma_f64 v[52:53], v[8:9], v[171:172], v[52:53]
	v_fma_f64 v[54:55], v[6:7], v[171:172], -v[56:57]
	scratch_load_b128 v[171:174], off, off offset:624
	ds_load_b128 v[6:9], v1 offset:1424
	s_waitcnt vmcnt(9) lgkmcnt(1)
	v_mul_f64 v[48:49], v[2:3], v[12:13]
	v_mul_f64 v[12:13], v[4:5], v[12:13]
	v_add_f64 v[44:45], v[44:45], v[58:59]
	v_add_f64 v[46:47], v[46:47], v[50:51]
	s_waitcnt vmcnt(8) lgkmcnt(0)
	v_mul_f64 v[50:51], v[6:7], v[16:17]
	v_mul_f64 v[16:17], v[8:9], v[16:17]
	v_fma_f64 v[48:49], v[4:5], v[10:11], v[48:49]
	v_fma_f64 v[56:57], v[2:3], v[10:11], -v[12:13]
	scratch_load_b128 v[10:13], off, off offset:640
	ds_load_b128 v[2:5], v1 offset:1440
	v_add_f64 v[44:45], v[44:45], v[54:55]
	v_add_f64 v[46:47], v[46:47], v[52:53]
	v_fma_f64 v[50:51], v[8:9], v[14:15], v[50:51]
	v_fma_f64 v[54:55], v[6:7], v[14:15], -v[16:17]
	ds_load_b128 v[6:9], v1 offset:1456
	s_waitcnt vmcnt(8) lgkmcnt(1)
	v_mul_f64 v[52:53], v[2:3], v[20:21]
	v_mul_f64 v[20:21], v[4:5], v[20:21]
	scratch_load_b128 v[14:17], off, off offset:656
	v_add_f64 v[44:45], v[44:45], v[56:57]
	v_add_f64 v[46:47], v[46:47], v[48:49]
	s_waitcnt vmcnt(8) lgkmcnt(0)
	v_mul_f64 v[48:49], v[6:7], v[24:25]
	v_mul_f64 v[24:25], v[8:9], v[24:25]
	v_fma_f64 v[52:53], v[4:5], v[18:19], v[52:53]
	v_fma_f64 v[56:57], v[2:3], v[18:19], -v[20:21]
	ds_load_b128 v[2:5], v1 offset:1472
	scratch_load_b128 v[18:21], off, off offset:672
	v_add_f64 v[44:45], v[44:45], v[54:55]
	v_add_f64 v[46:47], v[46:47], v[50:51]
	v_fma_f64 v[48:49], v[8:9], v[22:23], v[48:49]
	v_fma_f64 v[54:55], v[6:7], v[22:23], -v[24:25]
	scratch_load_b128 v[22:25], off, off offset:688
	ds_load_b128 v[6:9], v1 offset:1488
	s_waitcnt vmcnt(9) lgkmcnt(1)
	v_mul_f64 v[50:51], v[2:3], v[28:29]
	v_mul_f64 v[28:29], v[4:5], v[28:29]
	v_add_f64 v[44:45], v[44:45], v[56:57]
	v_add_f64 v[46:47], v[46:47], v[52:53]
	s_waitcnt vmcnt(8) lgkmcnt(0)
	v_mul_f64 v[52:53], v[6:7], v[32:33]
	v_mul_f64 v[32:33], v[8:9], v[32:33]
	v_fma_f64 v[50:51], v[4:5], v[26:27], v[50:51]
	v_fma_f64 v[56:57], v[2:3], v[26:27], -v[28:29]
	ds_load_b128 v[2:5], v1 offset:1504
	scratch_load_b128 v[26:29], off, off offset:704
	v_add_f64 v[44:45], v[44:45], v[54:55]
	v_add_f64 v[46:47], v[46:47], v[48:49]
	v_fma_f64 v[52:53], v[8:9], v[30:31], v[52:53]
	v_fma_f64 v[54:55], v[6:7], v[30:31], -v[32:33]
	scratch_load_b128 v[30:33], off, off offset:720
	ds_load_b128 v[6:9], v1 offset:1520
	s_waitcnt vmcnt(9) lgkmcnt(1)
	v_mul_f64 v[48:49], v[2:3], v[36:37]
	v_mul_f64 v[36:37], v[4:5], v[36:37]
	;; [unrolled: 18-line block ×3, first 2 shown]
	s_waitcnt vmcnt(8) lgkmcnt(0)
	v_mul_f64 v[56:57], v[8:9], v[173:174]
	v_add_f64 v[44:45], v[44:45], v[58:59]
	v_add_f64 v[46:47], v[46:47], v[48:49]
	v_mul_f64 v[48:49], v[6:7], v[173:174]
	v_fma_f64 v[52:53], v[4:5], v[38:39], v[52:53]
	v_fma_f64 v[58:59], v[2:3], v[38:39], -v[40:41]
	ds_load_b128 v[2:5], v1 offset:1568
	scratch_load_b128 v[38:41], off, off offset:768
	v_add_f64 v[44:45], v[44:45], v[54:55]
	v_add_f64 v[46:47], v[46:47], v[50:51]
	v_fma_f64 v[48:49], v[8:9], v[171:172], v[48:49]
	v_fma_f64 v[54:55], v[6:7], v[171:172], -v[56:57]
	ds_load_b128 v[6:9], v1 offset:1584
	s_waitcnt vmcnt(8) lgkmcnt(1)
	v_mul_f64 v[50:51], v[2:3], v[12:13]
	v_mul_f64 v[12:13], v[4:5], v[12:13]
	scratch_load_b128 v[171:174], off, off offset:784
	v_add_f64 v[44:45], v[44:45], v[58:59]
	v_add_f64 v[46:47], v[46:47], v[52:53]
	s_waitcnt vmcnt(8) lgkmcnt(0)
	v_mul_f64 v[52:53], v[6:7], v[16:17]
	v_mul_f64 v[16:17], v[8:9], v[16:17]
	v_fma_f64 v[50:51], v[4:5], v[10:11], v[50:51]
	v_fma_f64 v[56:57], v[2:3], v[10:11], -v[12:13]
	scratch_load_b128 v[10:13], off, off offset:800
	ds_load_b128 v[2:5], v1 offset:1600
	v_add_f64 v[44:45], v[44:45], v[54:55]
	v_add_f64 v[46:47], v[46:47], v[48:49]
	v_fma_f64 v[52:53], v[8:9], v[14:15], v[52:53]
	v_fma_f64 v[54:55], v[6:7], v[14:15], -v[16:17]
	ds_load_b128 v[6:9], v1 offset:1616
	s_waitcnt vmcnt(8) lgkmcnt(1)
	v_mul_f64 v[48:49], v[2:3], v[20:21]
	v_mul_f64 v[20:21], v[4:5], v[20:21]
	scratch_load_b128 v[14:17], off, off offset:816
	v_add_f64 v[44:45], v[44:45], v[56:57]
	v_add_f64 v[46:47], v[46:47], v[50:51]
	s_waitcnt vmcnt(8) lgkmcnt(0)
	v_mul_f64 v[50:51], v[6:7], v[24:25]
	v_mul_f64 v[24:25], v[8:9], v[24:25]
	v_fma_f64 v[48:49], v[4:5], v[18:19], v[48:49]
	v_fma_f64 v[56:57], v[2:3], v[18:19], -v[20:21]
	scratch_load_b128 v[18:21], off, off offset:832
	ds_load_b128 v[2:5], v1 offset:1632
	;; [unrolled: 18-line block ×4, first 2 shown]
	v_add_f64 v[44:45], v[44:45], v[54:55]
	v_add_f64 v[46:47], v[46:47], v[48:49]
	v_fma_f64 v[52:53], v[8:9], v[175:176], v[52:53]
	v_fma_f64 v[54:55], v[6:7], v[175:176], -v[56:57]
	ds_load_b128 v[6:9], v1 offset:1712
	s_waitcnt vmcnt(8) lgkmcnt(1)
	v_mul_f64 v[48:49], v[2:3], v[40:41]
	v_mul_f64 v[40:41], v[4:5], v[40:41]
	scratch_load_b128 v[175:178], off, off offset:912
	v_add_f64 v[44:45], v[44:45], v[58:59]
	v_add_f64 v[46:47], v[46:47], v[50:51]
	v_fma_f64 v[48:49], v[4:5], v[38:39], v[48:49]
	v_fma_f64 v[38:39], v[2:3], v[38:39], -v[40:41]
	ds_load_b128 v[2:5], v1 offset:1728
	v_add_f64 v[40:41], v[44:45], v[54:55]
	v_add_f64 v[44:45], v[46:47], v[52:53]
	s_waitcnt vmcnt(7) lgkmcnt(0)
	v_mul_f64 v[46:47], v[2:3], v[12:13]
	v_mul_f64 v[12:13], v[4:5], v[12:13]
	s_delay_alu instid0(VALU_DEP_4) | instskip(NEXT) | instid1(VALU_DEP_4)
	v_add_f64 v[38:39], v[40:41], v[38:39]
	v_add_f64 v[40:41], v[44:45], v[48:49]
	s_delay_alu instid0(VALU_DEP_4) | instskip(NEXT) | instid1(VALU_DEP_4)
	v_fma_f64 v[46:47], v[4:5], v[10:11], v[46:47]
	v_fma_f64 v[48:49], v[2:3], v[10:11], -v[12:13]
	scratch_load_b128 v[10:13], off, off offset:112
	v_mul_f64 v[50:51], v[6:7], v[173:174]
	v_mul_f64 v[56:57], v[8:9], v[173:174]
	ds_load_b128 v[2:5], v1 offset:1760
	v_fma_f64 v[50:51], v[8:9], v[171:172], v[50:51]
	v_fma_f64 v[52:53], v[6:7], v[171:172], -v[56:57]
	ds_load_b128 v[6:9], v1 offset:1744
	s_waitcnt vmcnt(7) lgkmcnt(0)
	v_mul_f64 v[44:45], v[6:7], v[16:17]
	v_mul_f64 v[16:17], v[8:9], v[16:17]
	v_add_f64 v[40:41], v[40:41], v[50:51]
	v_add_f64 v[38:39], v[38:39], v[52:53]
	s_waitcnt vmcnt(6)
	v_mul_f64 v[50:51], v[2:3], v[20:21]
	v_mul_f64 v[20:21], v[4:5], v[20:21]
	v_fma_f64 v[44:45], v[8:9], v[14:15], v[44:45]
	v_fma_f64 v[14:15], v[6:7], v[14:15], -v[16:17]
	ds_load_b128 v[6:9], v1 offset:1776
	v_add_f64 v[16:17], v[38:39], v[48:49]
	v_add_f64 v[38:39], v[40:41], v[46:47]
	v_fma_f64 v[46:47], v[4:5], v[18:19], v[50:51]
	v_fma_f64 v[18:19], v[2:3], v[18:19], -v[20:21]
	ds_load_b128 v[2:5], v1 offset:1792
	s_waitcnt vmcnt(5) lgkmcnt(1)
	v_mul_f64 v[40:41], v[6:7], v[24:25]
	v_mul_f64 v[24:25], v[8:9], v[24:25]
	s_waitcnt vmcnt(4) lgkmcnt(0)
	v_mul_f64 v[20:21], v[2:3], v[28:29]
	v_mul_f64 v[28:29], v[4:5], v[28:29]
	v_add_f64 v[14:15], v[16:17], v[14:15]
	v_add_f64 v[16:17], v[38:39], v[44:45]
	v_fma_f64 v[38:39], v[8:9], v[22:23], v[40:41]
	v_fma_f64 v[22:23], v[6:7], v[22:23], -v[24:25]
	ds_load_b128 v[6:9], v1 offset:1808
	v_fma_f64 v[20:21], v[4:5], v[26:27], v[20:21]
	v_fma_f64 v[26:27], v[2:3], v[26:27], -v[28:29]
	ds_load_b128 v[2:5], v1 offset:1824
	s_waitcnt vmcnt(3) lgkmcnt(1)
	v_mul_f64 v[24:25], v[8:9], v[32:33]
	v_add_f64 v[14:15], v[14:15], v[18:19]
	v_add_f64 v[16:17], v[16:17], v[46:47]
	v_mul_f64 v[18:19], v[6:7], v[32:33]
	s_waitcnt vmcnt(2) lgkmcnt(0)
	v_mul_f64 v[28:29], v[4:5], v[36:37]
	v_fma_f64 v[24:25], v[6:7], v[30:31], -v[24:25]
	v_add_f64 v[14:15], v[14:15], v[22:23]
	v_add_f64 v[16:17], v[16:17], v[38:39]
	v_mul_f64 v[22:23], v[2:3], v[36:37]
	v_fma_f64 v[18:19], v[8:9], v[30:31], v[18:19]
	ds_load_b128 v[6:9], v1 offset:1840
	v_fma_f64 v[1:2], v[2:3], v[34:35], -v[28:29]
	v_add_f64 v[14:15], v[14:15], v[26:27]
	v_add_f64 v[16:17], v[16:17], v[20:21]
	s_waitcnt vmcnt(1) lgkmcnt(0)
	v_mul_f64 v[20:21], v[6:7], v[177:178]
	v_mul_f64 v[26:27], v[8:9], v[177:178]
	v_fma_f64 v[4:5], v[4:5], v[34:35], v[22:23]
	v_add_f64 v[14:15], v[14:15], v[24:25]
	v_add_f64 v[16:17], v[16:17], v[18:19]
	v_fma_f64 v[8:9], v[8:9], v[175:176], v[20:21]
	v_fma_f64 v[6:7], v[6:7], v[175:176], -v[26:27]
	s_delay_alu instid0(VALU_DEP_4) | instskip(NEXT) | instid1(VALU_DEP_4)
	v_add_f64 v[1:2], v[14:15], v[1:2]
	v_add_f64 v[3:4], v[16:17], v[4:5]
	s_delay_alu instid0(VALU_DEP_2) | instskip(NEXT) | instid1(VALU_DEP_2)
	v_add_f64 v[1:2], v[1:2], v[6:7]
	v_add_f64 v[3:4], v[3:4], v[8:9]
	s_waitcnt vmcnt(0)
	s_delay_alu instid0(VALU_DEP_2) | instskip(NEXT) | instid1(VALU_DEP_2)
	v_add_f64 v[1:2], v[10:11], -v[1:2]
	v_add_f64 v[3:4], v[12:13], -v[3:4]
	scratch_store_b128 off, v[1:4], off offset:112
	v_cmpx_lt_u32_e32 6, v158
	s_cbranch_execz .LBB121_349
; %bb.348:
	scratch_load_b128 v[1:4], v210, off
	v_mov_b32_e32 v5, 0
	s_delay_alu instid0(VALU_DEP_1)
	v_mov_b32_e32 v6, v5
	v_mov_b32_e32 v7, v5
	;; [unrolled: 1-line block ×3, first 2 shown]
	scratch_store_b128 off, v[5:8], off offset:96
	s_waitcnt vmcnt(0)
	ds_store_b128 v216, v[1:4]
.LBB121_349:
	s_or_b32 exec_lo, exec_lo, s2
	s_waitcnt lgkmcnt(0)
	s_waitcnt_vscnt null, 0x0
	s_barrier
	buffer_gl0_inv
	s_clause 0x7
	scratch_load_b128 v[2:5], off, off offset:112
	scratch_load_b128 v[6:9], off, off offset:128
	;; [unrolled: 1-line block ×8, first 2 shown]
	v_mov_b32_e32 v1, 0
	s_clause 0x1
	scratch_load_b128 v[34:37], off, off offset:240
	scratch_load_b128 v[175:178], off, off offset:256
	s_mov_b32 s2, exec_lo
	ds_load_b128 v[38:41], v1 offset:1040
	ds_load_b128 v[171:174], v1 offset:1056
	s_waitcnt vmcnt(9) lgkmcnt(1)
	v_mul_f64 v[44:45], v[40:41], v[4:5]
	v_mul_f64 v[4:5], v[38:39], v[4:5]
	s_waitcnt vmcnt(8) lgkmcnt(0)
	v_mul_f64 v[46:47], v[171:172], v[8:9]
	v_mul_f64 v[8:9], v[173:174], v[8:9]
	s_delay_alu instid0(VALU_DEP_4) | instskip(NEXT) | instid1(VALU_DEP_4)
	v_fma_f64 v[44:45], v[38:39], v[2:3], -v[44:45]
	v_fma_f64 v[48:49], v[40:41], v[2:3], v[4:5]
	ds_load_b128 v[2:5], v1 offset:1072
	scratch_load_b128 v[38:41], off, off offset:272
	v_fma_f64 v[46:47], v[173:174], v[6:7], v[46:47]
	v_fma_f64 v[52:53], v[171:172], v[6:7], -v[8:9]
	scratch_load_b128 v[171:174], off, off offset:288
	ds_load_b128 v[6:9], v1 offset:1088
	s_waitcnt vmcnt(9) lgkmcnt(1)
	v_mul_f64 v[50:51], v[2:3], v[12:13]
	v_mul_f64 v[12:13], v[4:5], v[12:13]
	s_waitcnt vmcnt(8) lgkmcnt(0)
	v_mul_f64 v[54:55], v[6:7], v[16:17]
	v_mul_f64 v[16:17], v[8:9], v[16:17]
	v_add_f64 v[44:45], v[44:45], 0
	v_add_f64 v[48:49], v[48:49], 0
	v_fma_f64 v[50:51], v[4:5], v[10:11], v[50:51]
	v_fma_f64 v[56:57], v[2:3], v[10:11], -v[12:13]
	ds_load_b128 v[2:5], v1 offset:1104
	scratch_load_b128 v[10:13], off, off offset:304
	v_add_f64 v[44:45], v[44:45], v[52:53]
	v_add_f64 v[46:47], v[48:49], v[46:47]
	v_fma_f64 v[52:53], v[8:9], v[14:15], v[54:55]
	v_fma_f64 v[54:55], v[6:7], v[14:15], -v[16:17]
	scratch_load_b128 v[14:17], off, off offset:320
	ds_load_b128 v[6:9], v1 offset:1120
	s_waitcnt vmcnt(9) lgkmcnt(1)
	v_mul_f64 v[48:49], v[2:3], v[20:21]
	v_mul_f64 v[20:21], v[4:5], v[20:21]
	v_add_f64 v[44:45], v[44:45], v[56:57]
	v_add_f64 v[46:47], v[46:47], v[50:51]
	s_waitcnt vmcnt(8) lgkmcnt(0)
	v_mul_f64 v[50:51], v[6:7], v[24:25]
	v_mul_f64 v[24:25], v[8:9], v[24:25]
	v_fma_f64 v[48:49], v[4:5], v[18:19], v[48:49]
	v_fma_f64 v[56:57], v[2:3], v[18:19], -v[20:21]
	ds_load_b128 v[2:5], v1 offset:1136
	scratch_load_b128 v[18:21], off, off offset:336
	v_add_f64 v[44:45], v[44:45], v[54:55]
	v_add_f64 v[46:47], v[46:47], v[52:53]
	v_fma_f64 v[50:51], v[8:9], v[22:23], v[50:51]
	v_fma_f64 v[54:55], v[6:7], v[22:23], -v[24:25]
	scratch_load_b128 v[22:25], off, off offset:352
	ds_load_b128 v[6:9], v1 offset:1152
	s_waitcnt vmcnt(9) lgkmcnt(1)
	v_mul_f64 v[52:53], v[2:3], v[28:29]
	v_mul_f64 v[28:29], v[4:5], v[28:29]
	v_add_f64 v[44:45], v[44:45], v[56:57]
	v_add_f64 v[46:47], v[46:47], v[48:49]
	s_waitcnt vmcnt(8) lgkmcnt(0)
	v_mul_f64 v[48:49], v[6:7], v[32:33]
	v_mul_f64 v[32:33], v[8:9], v[32:33]
	;; [unrolled: 18-line block ×3, first 2 shown]
	v_fma_f64 v[50:51], v[4:5], v[34:35], v[50:51]
	v_fma_f64 v[58:59], v[2:3], v[34:35], -v[36:37]
	ds_load_b128 v[2:5], v1 offset:1200
	scratch_load_b128 v[34:37], off, off offset:400
	v_add_f64 v[44:45], v[44:45], v[54:55]
	v_add_f64 v[46:47], v[46:47], v[48:49]
	v_fma_f64 v[52:53], v[8:9], v[175:176], v[52:53]
	v_fma_f64 v[54:55], v[6:7], v[175:176], -v[56:57]
	scratch_load_b128 v[175:178], off, off offset:416
	ds_load_b128 v[6:9], v1 offset:1216
	s_waitcnt vmcnt(9) lgkmcnt(1)
	v_mul_f64 v[48:49], v[2:3], v[40:41]
	v_mul_f64 v[40:41], v[4:5], v[40:41]
	s_waitcnt vmcnt(8) lgkmcnt(0)
	v_mul_f64 v[56:57], v[8:9], v[173:174]
	v_add_f64 v[44:45], v[44:45], v[58:59]
	v_add_f64 v[46:47], v[46:47], v[50:51]
	v_mul_f64 v[50:51], v[6:7], v[173:174]
	v_fma_f64 v[48:49], v[4:5], v[38:39], v[48:49]
	v_fma_f64 v[58:59], v[2:3], v[38:39], -v[40:41]
	ds_load_b128 v[2:5], v1 offset:1232
	scratch_load_b128 v[38:41], off, off offset:432
	v_add_f64 v[44:45], v[44:45], v[54:55]
	v_add_f64 v[46:47], v[46:47], v[52:53]
	v_fma_f64 v[50:51], v[8:9], v[171:172], v[50:51]
	v_fma_f64 v[54:55], v[6:7], v[171:172], -v[56:57]
	scratch_load_b128 v[171:174], off, off offset:448
	ds_load_b128 v[6:9], v1 offset:1248
	s_waitcnt vmcnt(9) lgkmcnt(1)
	v_mul_f64 v[52:53], v[2:3], v[12:13]
	v_mul_f64 v[12:13], v[4:5], v[12:13]
	v_add_f64 v[44:45], v[44:45], v[58:59]
	v_add_f64 v[46:47], v[46:47], v[48:49]
	s_waitcnt vmcnt(8) lgkmcnt(0)
	v_mul_f64 v[48:49], v[6:7], v[16:17]
	v_mul_f64 v[16:17], v[8:9], v[16:17]
	v_fma_f64 v[52:53], v[4:5], v[10:11], v[52:53]
	v_fma_f64 v[56:57], v[2:3], v[10:11], -v[12:13]
	ds_load_b128 v[2:5], v1 offset:1264
	scratch_load_b128 v[10:13], off, off offset:464
	v_add_f64 v[44:45], v[44:45], v[54:55]
	v_add_f64 v[46:47], v[46:47], v[50:51]
	v_fma_f64 v[48:49], v[8:9], v[14:15], v[48:49]
	v_fma_f64 v[54:55], v[6:7], v[14:15], -v[16:17]
	scratch_load_b128 v[14:17], off, off offset:480
	ds_load_b128 v[6:9], v1 offset:1280
	s_waitcnt vmcnt(9) lgkmcnt(1)
	v_mul_f64 v[50:51], v[2:3], v[20:21]
	v_mul_f64 v[20:21], v[4:5], v[20:21]
	v_add_f64 v[44:45], v[44:45], v[56:57]
	v_add_f64 v[46:47], v[46:47], v[52:53]
	s_waitcnt vmcnt(8) lgkmcnt(0)
	v_mul_f64 v[52:53], v[6:7], v[24:25]
	;; [unrolled: 18-line block ×4, first 2 shown]
	v_mul_f64 v[56:57], v[8:9], v[177:178]
	v_fma_f64 v[52:53], v[4:5], v[34:35], v[52:53]
	v_fma_f64 v[58:59], v[2:3], v[34:35], -v[36:37]
	ds_load_b128 v[2:5], v1 offset:1360
	scratch_load_b128 v[34:37], off, off offset:560
	v_add_f64 v[44:45], v[44:45], v[54:55]
	v_add_f64 v[46:47], v[46:47], v[50:51]
	v_fma_f64 v[48:49], v[8:9], v[175:176], v[48:49]
	v_fma_f64 v[54:55], v[6:7], v[175:176], -v[56:57]
	scratch_load_b128 v[175:178], off, off offset:576
	ds_load_b128 v[6:9], v1 offset:1376
	s_waitcnt vmcnt(9) lgkmcnt(1)
	v_mul_f64 v[50:51], v[2:3], v[40:41]
	v_mul_f64 v[40:41], v[4:5], v[40:41]
	s_waitcnt vmcnt(8) lgkmcnt(0)
	v_mul_f64 v[56:57], v[8:9], v[173:174]
	v_add_f64 v[44:45], v[44:45], v[58:59]
	v_add_f64 v[46:47], v[46:47], v[52:53]
	v_mul_f64 v[52:53], v[6:7], v[173:174]
	v_fma_f64 v[50:51], v[4:5], v[38:39], v[50:51]
	v_fma_f64 v[58:59], v[2:3], v[38:39], -v[40:41]
	ds_load_b128 v[2:5], v1 offset:1392
	scratch_load_b128 v[38:41], off, off offset:592
	v_add_f64 v[44:45], v[44:45], v[54:55]
	v_add_f64 v[46:47], v[46:47], v[48:49]
	v_fma_f64 v[52:53], v[8:9], v[171:172], v[52:53]
	v_fma_f64 v[54:55], v[6:7], v[171:172], -v[56:57]
	scratch_load_b128 v[171:174], off, off offset:608
	ds_load_b128 v[6:9], v1 offset:1408
	s_waitcnt vmcnt(9) lgkmcnt(1)
	v_mul_f64 v[48:49], v[2:3], v[12:13]
	v_mul_f64 v[12:13], v[4:5], v[12:13]
	v_add_f64 v[44:45], v[44:45], v[58:59]
	v_add_f64 v[46:47], v[46:47], v[50:51]
	s_waitcnt vmcnt(8) lgkmcnt(0)
	v_mul_f64 v[50:51], v[6:7], v[16:17]
	v_mul_f64 v[16:17], v[8:9], v[16:17]
	v_fma_f64 v[48:49], v[4:5], v[10:11], v[48:49]
	v_fma_f64 v[56:57], v[2:3], v[10:11], -v[12:13]
	ds_load_b128 v[2:5], v1 offset:1424
	scratch_load_b128 v[10:13], off, off offset:624
	v_add_f64 v[44:45], v[44:45], v[54:55]
	v_add_f64 v[46:47], v[46:47], v[52:53]
	v_fma_f64 v[50:51], v[8:9], v[14:15], v[50:51]
	v_fma_f64 v[54:55], v[6:7], v[14:15], -v[16:17]
	scratch_load_b128 v[14:17], off, off offset:640
	ds_load_b128 v[6:9], v1 offset:1440
	s_waitcnt vmcnt(9) lgkmcnt(1)
	v_mul_f64 v[52:53], v[2:3], v[20:21]
	v_mul_f64 v[20:21], v[4:5], v[20:21]
	v_add_f64 v[44:45], v[44:45], v[56:57]
	v_add_f64 v[46:47], v[46:47], v[48:49]
	s_waitcnt vmcnt(8) lgkmcnt(0)
	v_mul_f64 v[48:49], v[6:7], v[24:25]
	;; [unrolled: 18-line block ×4, first 2 shown]
	v_mul_f64 v[56:57], v[8:9], v[177:178]
	v_fma_f64 v[48:49], v[4:5], v[34:35], v[48:49]
	v_fma_f64 v[58:59], v[2:3], v[34:35], -v[36:37]
	ds_load_b128 v[2:5], v1 offset:1520
	scratch_load_b128 v[34:37], off, off offset:720
	v_add_f64 v[44:45], v[44:45], v[54:55]
	v_add_f64 v[46:47], v[46:47], v[52:53]
	v_fma_f64 v[50:51], v[8:9], v[175:176], v[50:51]
	v_fma_f64 v[54:55], v[6:7], v[175:176], -v[56:57]
	scratch_load_b128 v[175:178], off, off offset:736
	ds_load_b128 v[6:9], v1 offset:1536
	s_waitcnt vmcnt(9) lgkmcnt(1)
	v_mul_f64 v[52:53], v[2:3], v[40:41]
	v_mul_f64 v[40:41], v[4:5], v[40:41]
	s_waitcnt vmcnt(8) lgkmcnt(0)
	v_mul_f64 v[56:57], v[8:9], v[173:174]
	v_add_f64 v[44:45], v[44:45], v[58:59]
	v_add_f64 v[46:47], v[46:47], v[48:49]
	v_mul_f64 v[48:49], v[6:7], v[173:174]
	v_fma_f64 v[52:53], v[4:5], v[38:39], v[52:53]
	v_fma_f64 v[58:59], v[2:3], v[38:39], -v[40:41]
	ds_load_b128 v[2:5], v1 offset:1552
	scratch_load_b128 v[38:41], off, off offset:752
	v_add_f64 v[44:45], v[44:45], v[54:55]
	v_add_f64 v[46:47], v[46:47], v[50:51]
	v_fma_f64 v[48:49], v[8:9], v[171:172], v[48:49]
	v_fma_f64 v[54:55], v[6:7], v[171:172], -v[56:57]
	scratch_load_b128 v[171:174], off, off offset:768
	ds_load_b128 v[6:9], v1 offset:1568
	s_waitcnt vmcnt(9) lgkmcnt(1)
	v_mul_f64 v[50:51], v[2:3], v[12:13]
	v_mul_f64 v[12:13], v[4:5], v[12:13]
	v_add_f64 v[44:45], v[44:45], v[58:59]
	v_add_f64 v[46:47], v[46:47], v[52:53]
	s_waitcnt vmcnt(8) lgkmcnt(0)
	v_mul_f64 v[52:53], v[6:7], v[16:17]
	v_mul_f64 v[16:17], v[8:9], v[16:17]
	v_fma_f64 v[50:51], v[4:5], v[10:11], v[50:51]
	v_fma_f64 v[56:57], v[2:3], v[10:11], -v[12:13]
	ds_load_b128 v[2:5], v1 offset:1584
	scratch_load_b128 v[10:13], off, off offset:784
	v_add_f64 v[44:45], v[44:45], v[54:55]
	v_add_f64 v[46:47], v[46:47], v[48:49]
	v_fma_f64 v[52:53], v[8:9], v[14:15], v[52:53]
	v_fma_f64 v[54:55], v[6:7], v[14:15], -v[16:17]
	scratch_load_b128 v[14:17], off, off offset:800
	ds_load_b128 v[6:9], v1 offset:1600
	s_waitcnt vmcnt(9) lgkmcnt(1)
	v_mul_f64 v[48:49], v[2:3], v[20:21]
	v_mul_f64 v[20:21], v[4:5], v[20:21]
	v_add_f64 v[44:45], v[44:45], v[56:57]
	v_add_f64 v[46:47], v[46:47], v[50:51]
	s_waitcnt vmcnt(8) lgkmcnt(0)
	v_mul_f64 v[50:51], v[6:7], v[24:25]
	v_mul_f64 v[24:25], v[8:9], v[24:25]
	v_fma_f64 v[48:49], v[4:5], v[18:19], v[48:49]
	v_fma_f64 v[56:57], v[2:3], v[18:19], -v[20:21]
	ds_load_b128 v[2:5], v1 offset:1616
	scratch_load_b128 v[18:21], off, off offset:816
	v_add_f64 v[44:45], v[44:45], v[54:55]
	v_add_f64 v[46:47], v[46:47], v[52:53]
	v_fma_f64 v[50:51], v[8:9], v[22:23], v[50:51]
	v_fma_f64 v[54:55], v[6:7], v[22:23], -v[24:25]
	ds_load_b128 v[6:9], v1 offset:1632
	s_waitcnt vmcnt(8) lgkmcnt(1)
	v_mul_f64 v[52:53], v[2:3], v[28:29]
	v_mul_f64 v[28:29], v[4:5], v[28:29]
	scratch_load_b128 v[22:25], off, off offset:832
	v_add_f64 v[44:45], v[44:45], v[56:57]
	v_add_f64 v[46:47], v[46:47], v[48:49]
	s_waitcnt vmcnt(8) lgkmcnt(0)
	v_mul_f64 v[48:49], v[6:7], v[32:33]
	v_mul_f64 v[32:33], v[8:9], v[32:33]
	v_fma_f64 v[52:53], v[4:5], v[26:27], v[52:53]
	v_fma_f64 v[56:57], v[2:3], v[26:27], -v[28:29]
	scratch_load_b128 v[26:29], off, off offset:848
	ds_load_b128 v[2:5], v1 offset:1648
	v_add_f64 v[44:45], v[44:45], v[54:55]
	v_add_f64 v[46:47], v[46:47], v[50:51]
	v_fma_f64 v[48:49], v[8:9], v[30:31], v[48:49]
	v_fma_f64 v[54:55], v[6:7], v[30:31], -v[32:33]
	ds_load_b128 v[6:9], v1 offset:1664
	s_waitcnt vmcnt(8) lgkmcnt(1)
	v_mul_f64 v[50:51], v[2:3], v[36:37]
	v_mul_f64 v[36:37], v[4:5], v[36:37]
	scratch_load_b128 v[30:33], off, off offset:864
	v_add_f64 v[44:45], v[44:45], v[56:57]
	v_add_f64 v[46:47], v[46:47], v[52:53]
	s_waitcnt vmcnt(8) lgkmcnt(0)
	v_mul_f64 v[52:53], v[6:7], v[177:178]
	v_mul_f64 v[56:57], v[8:9], v[177:178]
	v_fma_f64 v[50:51], v[4:5], v[34:35], v[50:51]
	v_fma_f64 v[58:59], v[2:3], v[34:35], -v[36:37]
	scratch_load_b128 v[34:37], off, off offset:880
	ds_load_b128 v[2:5], v1 offset:1680
	v_add_f64 v[44:45], v[44:45], v[54:55]
	v_add_f64 v[46:47], v[46:47], v[48:49]
	v_fma_f64 v[52:53], v[8:9], v[175:176], v[52:53]
	v_fma_f64 v[54:55], v[6:7], v[175:176], -v[56:57]
	ds_load_b128 v[6:9], v1 offset:1696
	s_waitcnt vmcnt(8) lgkmcnt(1)
	v_mul_f64 v[48:49], v[2:3], v[40:41]
	v_mul_f64 v[40:41], v[4:5], v[40:41]
	scratch_load_b128 v[175:178], off, off offset:896
	s_waitcnt vmcnt(8) lgkmcnt(0)
	v_mul_f64 v[56:57], v[8:9], v[173:174]
	v_add_f64 v[44:45], v[44:45], v[58:59]
	v_add_f64 v[46:47], v[46:47], v[50:51]
	v_mul_f64 v[50:51], v[6:7], v[173:174]
	v_fma_f64 v[48:49], v[4:5], v[38:39], v[48:49]
	v_fma_f64 v[58:59], v[2:3], v[38:39], -v[40:41]
	scratch_load_b128 v[38:41], off, off offset:912
	ds_load_b128 v[2:5], v1 offset:1712
	v_add_f64 v[44:45], v[44:45], v[54:55]
	v_add_f64 v[46:47], v[46:47], v[52:53]
	v_fma_f64 v[50:51], v[8:9], v[171:172], v[50:51]
	v_fma_f64 v[54:55], v[6:7], v[171:172], -v[56:57]
	ds_load_b128 v[6:9], v1 offset:1728
	s_waitcnt vmcnt(8) lgkmcnt(1)
	v_mul_f64 v[52:53], v[2:3], v[12:13]
	v_mul_f64 v[12:13], v[4:5], v[12:13]
	v_add_f64 v[44:45], v[44:45], v[58:59]
	v_add_f64 v[46:47], v[46:47], v[48:49]
	s_waitcnt vmcnt(7) lgkmcnt(0)
	v_mul_f64 v[48:49], v[6:7], v[16:17]
	v_mul_f64 v[16:17], v[8:9], v[16:17]
	v_fma_f64 v[52:53], v[4:5], v[10:11], v[52:53]
	v_fma_f64 v[10:11], v[2:3], v[10:11], -v[12:13]
	ds_load_b128 v[2:5], v1 offset:1744
	v_add_f64 v[12:13], v[44:45], v[54:55]
	v_add_f64 v[44:45], v[46:47], v[50:51]
	v_fma_f64 v[48:49], v[8:9], v[14:15], v[48:49]
	v_fma_f64 v[14:15], v[6:7], v[14:15], -v[16:17]
	ds_load_b128 v[6:9], v1 offset:1760
	s_waitcnt vmcnt(5) lgkmcnt(0)
	v_mul_f64 v[50:51], v[6:7], v[24:25]
	v_mul_f64 v[24:25], v[8:9], v[24:25]
	v_add_f64 v[16:17], v[12:13], v[10:11]
	v_add_f64 v[44:45], v[44:45], v[52:53]
	scratch_load_b128 v[10:13], off, off offset:96
	v_mul_f64 v[46:47], v[2:3], v[20:21]
	v_mul_f64 v[20:21], v[4:5], v[20:21]
	v_add_f64 v[14:15], v[16:17], v[14:15]
	v_add_f64 v[16:17], v[44:45], v[48:49]
	v_fma_f64 v[44:45], v[8:9], v[22:23], v[50:51]
	v_fma_f64 v[46:47], v[4:5], v[18:19], v[46:47]
	v_fma_f64 v[18:19], v[2:3], v[18:19], -v[20:21]
	ds_load_b128 v[2:5], v1 offset:1776
	v_fma_f64 v[22:23], v[6:7], v[22:23], -v[24:25]
	ds_load_b128 v[6:9], v1 offset:1792
	s_waitcnt vmcnt(5) lgkmcnt(1)
	v_mul_f64 v[20:21], v[2:3], v[28:29]
	v_mul_f64 v[28:29], v[4:5], v[28:29]
	s_waitcnt vmcnt(4) lgkmcnt(0)
	v_mul_f64 v[24:25], v[8:9], v[32:33]
	v_add_f64 v[16:17], v[16:17], v[46:47]
	v_add_f64 v[14:15], v[14:15], v[18:19]
	v_mul_f64 v[18:19], v[6:7], v[32:33]
	v_fma_f64 v[20:21], v[4:5], v[26:27], v[20:21]
	v_fma_f64 v[26:27], v[2:3], v[26:27], -v[28:29]
	ds_load_b128 v[2:5], v1 offset:1808
	v_fma_f64 v[24:25], v[6:7], v[30:31], -v[24:25]
	v_add_f64 v[16:17], v[16:17], v[44:45]
	v_add_f64 v[14:15], v[14:15], v[22:23]
	v_fma_f64 v[18:19], v[8:9], v[30:31], v[18:19]
	ds_load_b128 v[6:9], v1 offset:1824
	s_waitcnt vmcnt(3) lgkmcnt(1)
	v_mul_f64 v[22:23], v[2:3], v[36:37]
	v_mul_f64 v[28:29], v[4:5], v[36:37]
	v_add_f64 v[16:17], v[16:17], v[20:21]
	v_add_f64 v[14:15], v[14:15], v[26:27]
	s_waitcnt vmcnt(2) lgkmcnt(0)
	v_mul_f64 v[20:21], v[6:7], v[177:178]
	v_mul_f64 v[26:27], v[8:9], v[177:178]
	v_fma_f64 v[22:23], v[4:5], v[34:35], v[22:23]
	v_fma_f64 v[28:29], v[2:3], v[34:35], -v[28:29]
	ds_load_b128 v[2:5], v1 offset:1840
	v_add_f64 v[16:17], v[16:17], v[18:19]
	v_add_f64 v[14:15], v[14:15], v[24:25]
	s_waitcnt vmcnt(1) lgkmcnt(0)
	v_mul_f64 v[18:19], v[2:3], v[40:41]
	v_mul_f64 v[24:25], v[4:5], v[40:41]
	v_fma_f64 v[8:9], v[8:9], v[175:176], v[20:21]
	v_fma_f64 v[6:7], v[6:7], v[175:176], -v[26:27]
	v_add_f64 v[16:17], v[16:17], v[22:23]
	v_add_f64 v[14:15], v[14:15], v[28:29]
	v_fma_f64 v[4:5], v[4:5], v[38:39], v[18:19]
	v_fma_f64 v[2:3], v[2:3], v[38:39], -v[24:25]
	s_delay_alu instid0(VALU_DEP_4) | instskip(NEXT) | instid1(VALU_DEP_4)
	v_add_f64 v[8:9], v[16:17], v[8:9]
	v_add_f64 v[6:7], v[14:15], v[6:7]
	s_delay_alu instid0(VALU_DEP_2) | instskip(NEXT) | instid1(VALU_DEP_2)
	v_add_f64 v[4:5], v[8:9], v[4:5]
	v_add_f64 v[2:3], v[6:7], v[2:3]
	s_waitcnt vmcnt(0)
	s_delay_alu instid0(VALU_DEP_2) | instskip(NEXT) | instid1(VALU_DEP_2)
	v_add_f64 v[4:5], v[12:13], -v[4:5]
	v_add_f64 v[2:3], v[10:11], -v[2:3]
	scratch_store_b128 off, v[2:5], off offset:96
	v_cmpx_lt_u32_e32 5, v158
	s_cbranch_execz .LBB121_351
; %bb.350:
	scratch_load_b128 v[5:8], v211, off
	v_mov_b32_e32 v2, v1
	v_mov_b32_e32 v3, v1
	;; [unrolled: 1-line block ×3, first 2 shown]
	scratch_store_b128 off, v[1:4], off offset:80
	s_waitcnt vmcnt(0)
	ds_store_b128 v216, v[5:8]
.LBB121_351:
	s_or_b32 exec_lo, exec_lo, s2
	s_waitcnt lgkmcnt(0)
	s_waitcnt_vscnt null, 0x0
	s_barrier
	buffer_gl0_inv
	s_clause 0x7
	scratch_load_b128 v[2:5], off, off offset:96
	scratch_load_b128 v[6:9], off, off offset:112
	;; [unrolled: 1-line block ×8, first 2 shown]
	ds_load_b128 v[38:41], v1 offset:1024
	ds_load_b128 v[171:174], v1 offset:1040
	s_clause 0x1
	scratch_load_b128 v[34:37], off, off offset:224
	scratch_load_b128 v[175:178], off, off offset:240
	s_mov_b32 s2, exec_lo
	s_waitcnt vmcnt(9) lgkmcnt(1)
	v_mul_f64 v[44:45], v[40:41], v[4:5]
	v_mul_f64 v[4:5], v[38:39], v[4:5]
	s_waitcnt vmcnt(8) lgkmcnt(0)
	v_mul_f64 v[46:47], v[171:172], v[8:9]
	v_mul_f64 v[8:9], v[173:174], v[8:9]
	s_delay_alu instid0(VALU_DEP_4) | instskip(NEXT) | instid1(VALU_DEP_4)
	v_fma_f64 v[44:45], v[38:39], v[2:3], -v[44:45]
	v_fma_f64 v[48:49], v[40:41], v[2:3], v[4:5]
	ds_load_b128 v[2:5], v1 offset:1056
	scratch_load_b128 v[38:41], off, off offset:256
	v_fma_f64 v[46:47], v[173:174], v[6:7], v[46:47]
	v_fma_f64 v[52:53], v[171:172], v[6:7], -v[8:9]
	scratch_load_b128 v[171:174], off, off offset:272
	ds_load_b128 v[6:9], v1 offset:1072
	s_waitcnt vmcnt(9) lgkmcnt(1)
	v_mul_f64 v[50:51], v[2:3], v[12:13]
	v_mul_f64 v[12:13], v[4:5], v[12:13]
	s_waitcnt vmcnt(8) lgkmcnt(0)
	v_mul_f64 v[54:55], v[6:7], v[16:17]
	v_mul_f64 v[16:17], v[8:9], v[16:17]
	v_add_f64 v[44:45], v[44:45], 0
	v_add_f64 v[48:49], v[48:49], 0
	v_fma_f64 v[50:51], v[4:5], v[10:11], v[50:51]
	v_fma_f64 v[56:57], v[2:3], v[10:11], -v[12:13]
	ds_load_b128 v[2:5], v1 offset:1088
	scratch_load_b128 v[10:13], off, off offset:288
	v_add_f64 v[44:45], v[44:45], v[52:53]
	v_add_f64 v[46:47], v[48:49], v[46:47]
	v_fma_f64 v[52:53], v[8:9], v[14:15], v[54:55]
	v_fma_f64 v[54:55], v[6:7], v[14:15], -v[16:17]
	scratch_load_b128 v[14:17], off, off offset:304
	ds_load_b128 v[6:9], v1 offset:1104
	s_waitcnt vmcnt(9) lgkmcnt(1)
	v_mul_f64 v[48:49], v[2:3], v[20:21]
	v_mul_f64 v[20:21], v[4:5], v[20:21]
	v_add_f64 v[44:45], v[44:45], v[56:57]
	v_add_f64 v[46:47], v[46:47], v[50:51]
	s_waitcnt vmcnt(8) lgkmcnt(0)
	v_mul_f64 v[50:51], v[6:7], v[24:25]
	v_mul_f64 v[24:25], v[8:9], v[24:25]
	v_fma_f64 v[48:49], v[4:5], v[18:19], v[48:49]
	v_fma_f64 v[56:57], v[2:3], v[18:19], -v[20:21]
	ds_load_b128 v[2:5], v1 offset:1120
	scratch_load_b128 v[18:21], off, off offset:320
	v_add_f64 v[44:45], v[44:45], v[54:55]
	v_add_f64 v[46:47], v[46:47], v[52:53]
	v_fma_f64 v[50:51], v[8:9], v[22:23], v[50:51]
	v_fma_f64 v[54:55], v[6:7], v[22:23], -v[24:25]
	scratch_load_b128 v[22:25], off, off offset:336
	ds_load_b128 v[6:9], v1 offset:1136
	s_waitcnt vmcnt(9) lgkmcnt(1)
	v_mul_f64 v[52:53], v[2:3], v[28:29]
	v_mul_f64 v[28:29], v[4:5], v[28:29]
	v_add_f64 v[44:45], v[44:45], v[56:57]
	v_add_f64 v[46:47], v[46:47], v[48:49]
	s_waitcnt vmcnt(8) lgkmcnt(0)
	v_mul_f64 v[48:49], v[6:7], v[32:33]
	v_mul_f64 v[32:33], v[8:9], v[32:33]
	v_fma_f64 v[52:53], v[4:5], v[26:27], v[52:53]
	v_fma_f64 v[56:57], v[2:3], v[26:27], -v[28:29]
	ds_load_b128 v[2:5], v1 offset:1152
	scratch_load_b128 v[26:29], off, off offset:352
	v_add_f64 v[44:45], v[44:45], v[54:55]
	v_add_f64 v[46:47], v[46:47], v[50:51]
	v_fma_f64 v[48:49], v[8:9], v[30:31], v[48:49]
	v_fma_f64 v[54:55], v[6:7], v[30:31], -v[32:33]
	scratch_load_b128 v[30:33], off, off offset:368
	ds_load_b128 v[6:9], v1 offset:1168
	s_waitcnt vmcnt(9) lgkmcnt(1)
	v_mul_f64 v[50:51], v[2:3], v[36:37]
	v_mul_f64 v[36:37], v[4:5], v[36:37]
	v_add_f64 v[44:45], v[44:45], v[56:57]
	v_add_f64 v[46:47], v[46:47], v[52:53]
	s_waitcnt vmcnt(8) lgkmcnt(0)
	v_mul_f64 v[52:53], v[6:7], v[177:178]
	v_mul_f64 v[56:57], v[8:9], v[177:178]
	v_fma_f64 v[50:51], v[4:5], v[34:35], v[50:51]
	v_fma_f64 v[58:59], v[2:3], v[34:35], -v[36:37]
	ds_load_b128 v[2:5], v1 offset:1184
	scratch_load_b128 v[34:37], off, off offset:384
	v_add_f64 v[44:45], v[44:45], v[54:55]
	v_add_f64 v[46:47], v[46:47], v[48:49]
	v_fma_f64 v[52:53], v[8:9], v[175:176], v[52:53]
	v_fma_f64 v[54:55], v[6:7], v[175:176], -v[56:57]
	scratch_load_b128 v[175:178], off, off offset:400
	ds_load_b128 v[6:9], v1 offset:1200
	s_waitcnt vmcnt(9) lgkmcnt(1)
	v_mul_f64 v[48:49], v[2:3], v[40:41]
	v_mul_f64 v[40:41], v[4:5], v[40:41]
	s_waitcnt vmcnt(8) lgkmcnt(0)
	v_mul_f64 v[56:57], v[8:9], v[173:174]
	v_add_f64 v[44:45], v[44:45], v[58:59]
	v_add_f64 v[46:47], v[46:47], v[50:51]
	v_mul_f64 v[50:51], v[6:7], v[173:174]
	v_fma_f64 v[48:49], v[4:5], v[38:39], v[48:49]
	v_fma_f64 v[58:59], v[2:3], v[38:39], -v[40:41]
	ds_load_b128 v[2:5], v1 offset:1216
	scratch_load_b128 v[38:41], off, off offset:416
	v_add_f64 v[44:45], v[44:45], v[54:55]
	v_add_f64 v[46:47], v[46:47], v[52:53]
	v_fma_f64 v[50:51], v[8:9], v[171:172], v[50:51]
	v_fma_f64 v[54:55], v[6:7], v[171:172], -v[56:57]
	scratch_load_b128 v[171:174], off, off offset:432
	ds_load_b128 v[6:9], v1 offset:1232
	s_waitcnt vmcnt(9) lgkmcnt(1)
	v_mul_f64 v[52:53], v[2:3], v[12:13]
	v_mul_f64 v[12:13], v[4:5], v[12:13]
	v_add_f64 v[44:45], v[44:45], v[58:59]
	v_add_f64 v[46:47], v[46:47], v[48:49]
	s_waitcnt vmcnt(8) lgkmcnt(0)
	v_mul_f64 v[48:49], v[6:7], v[16:17]
	v_mul_f64 v[16:17], v[8:9], v[16:17]
	v_fma_f64 v[52:53], v[4:5], v[10:11], v[52:53]
	v_fma_f64 v[56:57], v[2:3], v[10:11], -v[12:13]
	ds_load_b128 v[2:5], v1 offset:1248
	scratch_load_b128 v[10:13], off, off offset:448
	v_add_f64 v[44:45], v[44:45], v[54:55]
	v_add_f64 v[46:47], v[46:47], v[50:51]
	v_fma_f64 v[48:49], v[8:9], v[14:15], v[48:49]
	v_fma_f64 v[54:55], v[6:7], v[14:15], -v[16:17]
	scratch_load_b128 v[14:17], off, off offset:464
	ds_load_b128 v[6:9], v1 offset:1264
	s_waitcnt vmcnt(9) lgkmcnt(1)
	v_mul_f64 v[50:51], v[2:3], v[20:21]
	v_mul_f64 v[20:21], v[4:5], v[20:21]
	v_add_f64 v[44:45], v[44:45], v[56:57]
	v_add_f64 v[46:47], v[46:47], v[52:53]
	s_waitcnt vmcnt(8) lgkmcnt(0)
	v_mul_f64 v[52:53], v[6:7], v[24:25]
	;; [unrolled: 18-line block ×4, first 2 shown]
	v_mul_f64 v[56:57], v[8:9], v[177:178]
	v_fma_f64 v[52:53], v[4:5], v[34:35], v[52:53]
	v_fma_f64 v[58:59], v[2:3], v[34:35], -v[36:37]
	ds_load_b128 v[2:5], v1 offset:1344
	scratch_load_b128 v[34:37], off, off offset:544
	v_add_f64 v[44:45], v[44:45], v[54:55]
	v_add_f64 v[46:47], v[46:47], v[50:51]
	v_fma_f64 v[48:49], v[8:9], v[175:176], v[48:49]
	v_fma_f64 v[54:55], v[6:7], v[175:176], -v[56:57]
	scratch_load_b128 v[175:178], off, off offset:560
	ds_load_b128 v[6:9], v1 offset:1360
	s_waitcnt vmcnt(9) lgkmcnt(1)
	v_mul_f64 v[50:51], v[2:3], v[40:41]
	v_mul_f64 v[40:41], v[4:5], v[40:41]
	s_waitcnt vmcnt(8) lgkmcnt(0)
	v_mul_f64 v[56:57], v[8:9], v[173:174]
	v_add_f64 v[44:45], v[44:45], v[58:59]
	v_add_f64 v[46:47], v[46:47], v[52:53]
	v_mul_f64 v[52:53], v[6:7], v[173:174]
	v_fma_f64 v[50:51], v[4:5], v[38:39], v[50:51]
	v_fma_f64 v[58:59], v[2:3], v[38:39], -v[40:41]
	ds_load_b128 v[2:5], v1 offset:1376
	scratch_load_b128 v[38:41], off, off offset:576
	v_add_f64 v[44:45], v[44:45], v[54:55]
	v_add_f64 v[46:47], v[46:47], v[48:49]
	v_fma_f64 v[52:53], v[8:9], v[171:172], v[52:53]
	v_fma_f64 v[54:55], v[6:7], v[171:172], -v[56:57]
	scratch_load_b128 v[171:174], off, off offset:592
	ds_load_b128 v[6:9], v1 offset:1392
	s_waitcnt vmcnt(9) lgkmcnt(1)
	v_mul_f64 v[48:49], v[2:3], v[12:13]
	v_mul_f64 v[12:13], v[4:5], v[12:13]
	v_add_f64 v[44:45], v[44:45], v[58:59]
	v_add_f64 v[46:47], v[46:47], v[50:51]
	s_waitcnt vmcnt(8) lgkmcnt(0)
	v_mul_f64 v[50:51], v[6:7], v[16:17]
	v_mul_f64 v[16:17], v[8:9], v[16:17]
	v_fma_f64 v[48:49], v[4:5], v[10:11], v[48:49]
	v_fma_f64 v[56:57], v[2:3], v[10:11], -v[12:13]
	ds_load_b128 v[2:5], v1 offset:1408
	scratch_load_b128 v[10:13], off, off offset:608
	v_add_f64 v[44:45], v[44:45], v[54:55]
	v_add_f64 v[46:47], v[46:47], v[52:53]
	v_fma_f64 v[50:51], v[8:9], v[14:15], v[50:51]
	v_fma_f64 v[54:55], v[6:7], v[14:15], -v[16:17]
	scratch_load_b128 v[14:17], off, off offset:624
	ds_load_b128 v[6:9], v1 offset:1424
	s_waitcnt vmcnt(9) lgkmcnt(1)
	v_mul_f64 v[52:53], v[2:3], v[20:21]
	v_mul_f64 v[20:21], v[4:5], v[20:21]
	v_add_f64 v[44:45], v[44:45], v[56:57]
	v_add_f64 v[46:47], v[46:47], v[48:49]
	s_waitcnt vmcnt(8) lgkmcnt(0)
	v_mul_f64 v[48:49], v[6:7], v[24:25]
	;; [unrolled: 18-line block ×4, first 2 shown]
	v_mul_f64 v[56:57], v[8:9], v[177:178]
	v_fma_f64 v[48:49], v[4:5], v[34:35], v[48:49]
	v_fma_f64 v[58:59], v[2:3], v[34:35], -v[36:37]
	ds_load_b128 v[2:5], v1 offset:1504
	scratch_load_b128 v[34:37], off, off offset:704
	v_add_f64 v[44:45], v[44:45], v[54:55]
	v_add_f64 v[46:47], v[46:47], v[52:53]
	v_fma_f64 v[50:51], v[8:9], v[175:176], v[50:51]
	v_fma_f64 v[54:55], v[6:7], v[175:176], -v[56:57]
	scratch_load_b128 v[175:178], off, off offset:720
	ds_load_b128 v[6:9], v1 offset:1520
	s_waitcnt vmcnt(9) lgkmcnt(1)
	v_mul_f64 v[52:53], v[2:3], v[40:41]
	v_mul_f64 v[40:41], v[4:5], v[40:41]
	s_waitcnt vmcnt(8) lgkmcnt(0)
	v_mul_f64 v[56:57], v[8:9], v[173:174]
	v_add_f64 v[44:45], v[44:45], v[58:59]
	v_add_f64 v[46:47], v[46:47], v[48:49]
	v_mul_f64 v[48:49], v[6:7], v[173:174]
	v_fma_f64 v[52:53], v[4:5], v[38:39], v[52:53]
	v_fma_f64 v[58:59], v[2:3], v[38:39], -v[40:41]
	ds_load_b128 v[2:5], v1 offset:1536
	scratch_load_b128 v[38:41], off, off offset:736
	v_add_f64 v[44:45], v[44:45], v[54:55]
	v_add_f64 v[46:47], v[46:47], v[50:51]
	v_fma_f64 v[48:49], v[8:9], v[171:172], v[48:49]
	v_fma_f64 v[54:55], v[6:7], v[171:172], -v[56:57]
	scratch_load_b128 v[171:174], off, off offset:752
	ds_load_b128 v[6:9], v1 offset:1552
	s_waitcnt vmcnt(9) lgkmcnt(1)
	v_mul_f64 v[50:51], v[2:3], v[12:13]
	v_mul_f64 v[12:13], v[4:5], v[12:13]
	v_add_f64 v[44:45], v[44:45], v[58:59]
	v_add_f64 v[46:47], v[46:47], v[52:53]
	s_waitcnt vmcnt(8) lgkmcnt(0)
	v_mul_f64 v[52:53], v[6:7], v[16:17]
	v_mul_f64 v[16:17], v[8:9], v[16:17]
	v_fma_f64 v[50:51], v[4:5], v[10:11], v[50:51]
	v_fma_f64 v[56:57], v[2:3], v[10:11], -v[12:13]
	ds_load_b128 v[2:5], v1 offset:1568
	scratch_load_b128 v[10:13], off, off offset:768
	v_add_f64 v[44:45], v[44:45], v[54:55]
	v_add_f64 v[46:47], v[46:47], v[48:49]
	v_fma_f64 v[52:53], v[8:9], v[14:15], v[52:53]
	v_fma_f64 v[54:55], v[6:7], v[14:15], -v[16:17]
	scratch_load_b128 v[14:17], off, off offset:784
	ds_load_b128 v[6:9], v1 offset:1584
	s_waitcnt vmcnt(9) lgkmcnt(1)
	v_mul_f64 v[48:49], v[2:3], v[20:21]
	v_mul_f64 v[20:21], v[4:5], v[20:21]
	v_add_f64 v[44:45], v[44:45], v[56:57]
	v_add_f64 v[46:47], v[46:47], v[50:51]
	s_waitcnt vmcnt(8) lgkmcnt(0)
	v_mul_f64 v[50:51], v[6:7], v[24:25]
	v_mul_f64 v[24:25], v[8:9], v[24:25]
	v_fma_f64 v[48:49], v[4:5], v[18:19], v[48:49]
	v_fma_f64 v[56:57], v[2:3], v[18:19], -v[20:21]
	ds_load_b128 v[2:5], v1 offset:1600
	scratch_load_b128 v[18:21], off, off offset:800
	v_add_f64 v[44:45], v[44:45], v[54:55]
	v_add_f64 v[46:47], v[46:47], v[52:53]
	v_fma_f64 v[50:51], v[8:9], v[22:23], v[50:51]
	v_fma_f64 v[54:55], v[6:7], v[22:23], -v[24:25]
	ds_load_b128 v[6:9], v1 offset:1616
	s_waitcnt vmcnt(8) lgkmcnt(1)
	v_mul_f64 v[52:53], v[2:3], v[28:29]
	v_mul_f64 v[28:29], v[4:5], v[28:29]
	scratch_load_b128 v[22:25], off, off offset:816
	v_add_f64 v[44:45], v[44:45], v[56:57]
	v_add_f64 v[46:47], v[46:47], v[48:49]
	s_waitcnt vmcnt(8) lgkmcnt(0)
	v_mul_f64 v[48:49], v[6:7], v[32:33]
	v_mul_f64 v[32:33], v[8:9], v[32:33]
	v_fma_f64 v[52:53], v[4:5], v[26:27], v[52:53]
	v_fma_f64 v[56:57], v[2:3], v[26:27], -v[28:29]
	ds_load_b128 v[2:5], v1 offset:1632
	scratch_load_b128 v[26:29], off, off offset:832
	v_add_f64 v[44:45], v[44:45], v[54:55]
	v_add_f64 v[46:47], v[46:47], v[50:51]
	v_fma_f64 v[48:49], v[8:9], v[30:31], v[48:49]
	v_fma_f64 v[54:55], v[6:7], v[30:31], -v[32:33]
	ds_load_b128 v[6:9], v1 offset:1648
	s_waitcnt vmcnt(8) lgkmcnt(1)
	v_mul_f64 v[50:51], v[2:3], v[36:37]
	v_mul_f64 v[36:37], v[4:5], v[36:37]
	scratch_load_b128 v[30:33], off, off offset:848
	v_add_f64 v[44:45], v[44:45], v[56:57]
	v_add_f64 v[46:47], v[46:47], v[52:53]
	s_waitcnt vmcnt(8) lgkmcnt(0)
	v_mul_f64 v[52:53], v[6:7], v[177:178]
	v_mul_f64 v[56:57], v[8:9], v[177:178]
	v_fma_f64 v[50:51], v[4:5], v[34:35], v[50:51]
	v_fma_f64 v[58:59], v[2:3], v[34:35], -v[36:37]
	scratch_load_b128 v[34:37], off, off offset:864
	ds_load_b128 v[2:5], v1 offset:1664
	v_add_f64 v[44:45], v[44:45], v[54:55]
	v_add_f64 v[46:47], v[46:47], v[48:49]
	v_fma_f64 v[52:53], v[8:9], v[175:176], v[52:53]
	v_fma_f64 v[54:55], v[6:7], v[175:176], -v[56:57]
	ds_load_b128 v[6:9], v1 offset:1680
	s_waitcnt vmcnt(8) lgkmcnt(1)
	v_mul_f64 v[48:49], v[2:3], v[40:41]
	v_mul_f64 v[40:41], v[4:5], v[40:41]
	scratch_load_b128 v[175:178], off, off offset:880
	s_waitcnt vmcnt(8) lgkmcnt(0)
	v_mul_f64 v[56:57], v[8:9], v[173:174]
	v_add_f64 v[44:45], v[44:45], v[58:59]
	v_add_f64 v[46:47], v[46:47], v[50:51]
	v_mul_f64 v[50:51], v[6:7], v[173:174]
	v_fma_f64 v[48:49], v[4:5], v[38:39], v[48:49]
	v_fma_f64 v[58:59], v[2:3], v[38:39], -v[40:41]
	scratch_load_b128 v[38:41], off, off offset:896
	ds_load_b128 v[2:5], v1 offset:1696
	v_add_f64 v[44:45], v[44:45], v[54:55]
	v_add_f64 v[46:47], v[46:47], v[52:53]
	v_fma_f64 v[50:51], v[8:9], v[171:172], v[50:51]
	v_fma_f64 v[54:55], v[6:7], v[171:172], -v[56:57]
	ds_load_b128 v[6:9], v1 offset:1712
	s_waitcnt vmcnt(8) lgkmcnt(1)
	v_mul_f64 v[52:53], v[2:3], v[12:13]
	v_mul_f64 v[12:13], v[4:5], v[12:13]
	scratch_load_b128 v[171:174], off, off offset:912
	v_add_f64 v[44:45], v[44:45], v[58:59]
	v_add_f64 v[46:47], v[46:47], v[48:49]
	s_waitcnt vmcnt(8) lgkmcnt(0)
	v_mul_f64 v[48:49], v[6:7], v[16:17]
	v_mul_f64 v[16:17], v[8:9], v[16:17]
	v_fma_f64 v[52:53], v[4:5], v[10:11], v[52:53]
	v_fma_f64 v[10:11], v[2:3], v[10:11], -v[12:13]
	ds_load_b128 v[2:5], v1 offset:1728
	v_add_f64 v[12:13], v[44:45], v[54:55]
	v_add_f64 v[44:45], v[46:47], v[50:51]
	v_fma_f64 v[48:49], v[8:9], v[14:15], v[48:49]
	v_fma_f64 v[14:15], v[6:7], v[14:15], -v[16:17]
	ds_load_b128 v[6:9], v1 offset:1744
	s_waitcnt vmcnt(7) lgkmcnt(1)
	v_mul_f64 v[46:47], v[2:3], v[20:21]
	v_mul_f64 v[20:21], v[4:5], v[20:21]
	v_add_f64 v[10:11], v[12:13], v[10:11]
	v_add_f64 v[12:13], v[44:45], v[52:53]
	s_delay_alu instid0(VALU_DEP_4) | instskip(NEXT) | instid1(VALU_DEP_4)
	v_fma_f64 v[44:45], v[4:5], v[18:19], v[46:47]
	v_fma_f64 v[18:19], v[2:3], v[18:19], -v[20:21]
	ds_load_b128 v[2:5], v1 offset:1760
	v_add_f64 v[14:15], v[10:11], v[14:15]
	v_add_f64 v[20:21], v[12:13], v[48:49]
	scratch_load_b128 v[10:13], off, off offset:80
	s_waitcnt vmcnt(7) lgkmcnt(1)
	v_mul_f64 v[16:17], v[6:7], v[24:25]
	v_mul_f64 v[24:25], v[8:9], v[24:25]
	v_add_f64 v[14:15], v[14:15], v[18:19]
	v_add_f64 v[18:19], v[20:21], v[44:45]
	s_delay_alu instid0(VALU_DEP_4) | instskip(NEXT) | instid1(VALU_DEP_4)
	v_fma_f64 v[16:17], v[8:9], v[22:23], v[16:17]
	v_fma_f64 v[22:23], v[6:7], v[22:23], -v[24:25]
	ds_load_b128 v[6:9], v1 offset:1776
	s_waitcnt vmcnt(6) lgkmcnt(1)
	v_mul_f64 v[46:47], v[2:3], v[28:29]
	v_mul_f64 v[28:29], v[4:5], v[28:29]
	s_waitcnt vmcnt(5) lgkmcnt(0)
	v_mul_f64 v[20:21], v[6:7], v[32:33]
	v_mul_f64 v[24:25], v[8:9], v[32:33]
	v_add_f64 v[16:17], v[18:19], v[16:17]
	v_add_f64 v[14:15], v[14:15], v[22:23]
	v_fma_f64 v[32:33], v[4:5], v[26:27], v[46:47]
	v_fma_f64 v[26:27], v[2:3], v[26:27], -v[28:29]
	ds_load_b128 v[2:5], v1 offset:1792
	v_fma_f64 v[20:21], v[8:9], v[30:31], v[20:21]
	v_fma_f64 v[24:25], v[6:7], v[30:31], -v[24:25]
	ds_load_b128 v[6:9], v1 offset:1808
	s_waitcnt vmcnt(4) lgkmcnt(1)
	v_mul_f64 v[18:19], v[2:3], v[36:37]
	v_mul_f64 v[22:23], v[4:5], v[36:37]
	v_add_f64 v[16:17], v[16:17], v[32:33]
	v_add_f64 v[14:15], v[14:15], v[26:27]
	s_waitcnt vmcnt(3) lgkmcnt(0)
	v_mul_f64 v[26:27], v[6:7], v[177:178]
	v_mul_f64 v[28:29], v[8:9], v[177:178]
	v_fma_f64 v[18:19], v[4:5], v[34:35], v[18:19]
	v_fma_f64 v[22:23], v[2:3], v[34:35], -v[22:23]
	ds_load_b128 v[2:5], v1 offset:1824
	v_add_f64 v[16:17], v[16:17], v[20:21]
	v_add_f64 v[14:15], v[14:15], v[24:25]
	v_fma_f64 v[26:27], v[8:9], v[175:176], v[26:27]
	v_fma_f64 v[28:29], v[6:7], v[175:176], -v[28:29]
	ds_load_b128 v[6:9], v1 offset:1840
	s_waitcnt vmcnt(2) lgkmcnt(1)
	v_mul_f64 v[20:21], v[2:3], v[40:41]
	v_mul_f64 v[24:25], v[4:5], v[40:41]
	v_add_f64 v[16:17], v[16:17], v[18:19]
	v_add_f64 v[14:15], v[14:15], v[22:23]
	s_waitcnt vmcnt(1) lgkmcnt(0)
	v_mul_f64 v[18:19], v[6:7], v[173:174]
	v_mul_f64 v[22:23], v[8:9], v[173:174]
	v_fma_f64 v[4:5], v[4:5], v[38:39], v[20:21]
	v_fma_f64 v[1:2], v[2:3], v[38:39], -v[24:25]
	v_add_f64 v[16:17], v[16:17], v[26:27]
	v_add_f64 v[14:15], v[14:15], v[28:29]
	v_fma_f64 v[8:9], v[8:9], v[171:172], v[18:19]
	v_fma_f64 v[6:7], v[6:7], v[171:172], -v[22:23]
	s_delay_alu instid0(VALU_DEP_4) | instskip(NEXT) | instid1(VALU_DEP_4)
	v_add_f64 v[3:4], v[16:17], v[4:5]
	v_add_f64 v[1:2], v[14:15], v[1:2]
	s_delay_alu instid0(VALU_DEP_2) | instskip(NEXT) | instid1(VALU_DEP_2)
	v_add_f64 v[3:4], v[3:4], v[8:9]
	v_add_f64 v[1:2], v[1:2], v[6:7]
	s_waitcnt vmcnt(0)
	s_delay_alu instid0(VALU_DEP_2) | instskip(NEXT) | instid1(VALU_DEP_2)
	v_add_f64 v[3:4], v[12:13], -v[3:4]
	v_add_f64 v[1:2], v[10:11], -v[1:2]
	scratch_store_b128 off, v[1:4], off offset:80
	v_cmpx_lt_u32_e32 4, v158
	s_cbranch_execz .LBB121_353
; %bb.352:
	scratch_load_b128 v[1:4], v212, off
	v_mov_b32_e32 v5, 0
	s_delay_alu instid0(VALU_DEP_1)
	v_mov_b32_e32 v6, v5
	v_mov_b32_e32 v7, v5
	;; [unrolled: 1-line block ×3, first 2 shown]
	scratch_store_b128 off, v[5:8], off offset:64
	s_waitcnt vmcnt(0)
	ds_store_b128 v216, v[1:4]
.LBB121_353:
	s_or_b32 exec_lo, exec_lo, s2
	s_waitcnt lgkmcnt(0)
	s_waitcnt_vscnt null, 0x0
	s_barrier
	buffer_gl0_inv
	s_clause 0x7
	scratch_load_b128 v[2:5], off, off offset:80
	scratch_load_b128 v[6:9], off, off offset:96
	;; [unrolled: 1-line block ×8, first 2 shown]
	v_mov_b32_e32 v1, 0
	s_clause 0x1
	scratch_load_b128 v[34:37], off, off offset:208
	scratch_load_b128 v[175:178], off, off offset:224
	s_mov_b32 s2, exec_lo
	ds_load_b128 v[38:41], v1 offset:1008
	ds_load_b128 v[171:174], v1 offset:1024
	s_waitcnt vmcnt(9) lgkmcnt(1)
	v_mul_f64 v[44:45], v[40:41], v[4:5]
	v_mul_f64 v[4:5], v[38:39], v[4:5]
	s_waitcnt vmcnt(8) lgkmcnt(0)
	v_mul_f64 v[46:47], v[171:172], v[8:9]
	v_mul_f64 v[8:9], v[173:174], v[8:9]
	s_delay_alu instid0(VALU_DEP_4) | instskip(NEXT) | instid1(VALU_DEP_4)
	v_fma_f64 v[44:45], v[38:39], v[2:3], -v[44:45]
	v_fma_f64 v[48:49], v[40:41], v[2:3], v[4:5]
	ds_load_b128 v[2:5], v1 offset:1040
	scratch_load_b128 v[38:41], off, off offset:240
	v_fma_f64 v[46:47], v[173:174], v[6:7], v[46:47]
	v_fma_f64 v[52:53], v[171:172], v[6:7], -v[8:9]
	scratch_load_b128 v[171:174], off, off offset:256
	ds_load_b128 v[6:9], v1 offset:1056
	s_waitcnt vmcnt(9) lgkmcnt(1)
	v_mul_f64 v[50:51], v[2:3], v[12:13]
	v_mul_f64 v[12:13], v[4:5], v[12:13]
	s_waitcnt vmcnt(8) lgkmcnt(0)
	v_mul_f64 v[54:55], v[6:7], v[16:17]
	v_mul_f64 v[16:17], v[8:9], v[16:17]
	v_add_f64 v[44:45], v[44:45], 0
	v_add_f64 v[48:49], v[48:49], 0
	v_fma_f64 v[50:51], v[4:5], v[10:11], v[50:51]
	v_fma_f64 v[56:57], v[2:3], v[10:11], -v[12:13]
	ds_load_b128 v[2:5], v1 offset:1072
	scratch_load_b128 v[10:13], off, off offset:272
	v_add_f64 v[44:45], v[44:45], v[52:53]
	v_add_f64 v[46:47], v[48:49], v[46:47]
	v_fma_f64 v[52:53], v[8:9], v[14:15], v[54:55]
	v_fma_f64 v[54:55], v[6:7], v[14:15], -v[16:17]
	scratch_load_b128 v[14:17], off, off offset:288
	ds_load_b128 v[6:9], v1 offset:1088
	s_waitcnt vmcnt(9) lgkmcnt(1)
	v_mul_f64 v[48:49], v[2:3], v[20:21]
	v_mul_f64 v[20:21], v[4:5], v[20:21]
	v_add_f64 v[44:45], v[44:45], v[56:57]
	v_add_f64 v[46:47], v[46:47], v[50:51]
	s_waitcnt vmcnt(8) lgkmcnt(0)
	v_mul_f64 v[50:51], v[6:7], v[24:25]
	v_mul_f64 v[24:25], v[8:9], v[24:25]
	v_fma_f64 v[48:49], v[4:5], v[18:19], v[48:49]
	v_fma_f64 v[56:57], v[2:3], v[18:19], -v[20:21]
	ds_load_b128 v[2:5], v1 offset:1104
	scratch_load_b128 v[18:21], off, off offset:304
	v_add_f64 v[44:45], v[44:45], v[54:55]
	v_add_f64 v[46:47], v[46:47], v[52:53]
	v_fma_f64 v[50:51], v[8:9], v[22:23], v[50:51]
	v_fma_f64 v[54:55], v[6:7], v[22:23], -v[24:25]
	scratch_load_b128 v[22:25], off, off offset:320
	ds_load_b128 v[6:9], v1 offset:1120
	s_waitcnt vmcnt(9) lgkmcnt(1)
	v_mul_f64 v[52:53], v[2:3], v[28:29]
	v_mul_f64 v[28:29], v[4:5], v[28:29]
	v_add_f64 v[44:45], v[44:45], v[56:57]
	v_add_f64 v[46:47], v[46:47], v[48:49]
	s_waitcnt vmcnt(8) lgkmcnt(0)
	v_mul_f64 v[48:49], v[6:7], v[32:33]
	v_mul_f64 v[32:33], v[8:9], v[32:33]
	;; [unrolled: 18-line block ×3, first 2 shown]
	v_fma_f64 v[50:51], v[4:5], v[34:35], v[50:51]
	v_fma_f64 v[58:59], v[2:3], v[34:35], -v[36:37]
	ds_load_b128 v[2:5], v1 offset:1168
	scratch_load_b128 v[34:37], off, off offset:368
	v_add_f64 v[44:45], v[44:45], v[54:55]
	v_add_f64 v[46:47], v[46:47], v[48:49]
	v_fma_f64 v[52:53], v[8:9], v[175:176], v[52:53]
	v_fma_f64 v[54:55], v[6:7], v[175:176], -v[56:57]
	scratch_load_b128 v[175:178], off, off offset:384
	ds_load_b128 v[6:9], v1 offset:1184
	s_waitcnt vmcnt(9) lgkmcnt(1)
	v_mul_f64 v[48:49], v[2:3], v[40:41]
	v_mul_f64 v[40:41], v[4:5], v[40:41]
	s_waitcnt vmcnt(8) lgkmcnt(0)
	v_mul_f64 v[56:57], v[8:9], v[173:174]
	v_add_f64 v[44:45], v[44:45], v[58:59]
	v_add_f64 v[46:47], v[46:47], v[50:51]
	v_mul_f64 v[50:51], v[6:7], v[173:174]
	v_fma_f64 v[48:49], v[4:5], v[38:39], v[48:49]
	v_fma_f64 v[58:59], v[2:3], v[38:39], -v[40:41]
	ds_load_b128 v[2:5], v1 offset:1200
	scratch_load_b128 v[38:41], off, off offset:400
	v_add_f64 v[44:45], v[44:45], v[54:55]
	v_add_f64 v[46:47], v[46:47], v[52:53]
	v_fma_f64 v[50:51], v[8:9], v[171:172], v[50:51]
	v_fma_f64 v[54:55], v[6:7], v[171:172], -v[56:57]
	scratch_load_b128 v[171:174], off, off offset:416
	ds_load_b128 v[6:9], v1 offset:1216
	s_waitcnt vmcnt(9) lgkmcnt(1)
	v_mul_f64 v[52:53], v[2:3], v[12:13]
	v_mul_f64 v[12:13], v[4:5], v[12:13]
	v_add_f64 v[44:45], v[44:45], v[58:59]
	v_add_f64 v[46:47], v[46:47], v[48:49]
	s_waitcnt vmcnt(8) lgkmcnt(0)
	v_mul_f64 v[48:49], v[6:7], v[16:17]
	v_mul_f64 v[16:17], v[8:9], v[16:17]
	v_fma_f64 v[52:53], v[4:5], v[10:11], v[52:53]
	v_fma_f64 v[56:57], v[2:3], v[10:11], -v[12:13]
	ds_load_b128 v[2:5], v1 offset:1232
	scratch_load_b128 v[10:13], off, off offset:432
	v_add_f64 v[44:45], v[44:45], v[54:55]
	v_add_f64 v[46:47], v[46:47], v[50:51]
	v_fma_f64 v[48:49], v[8:9], v[14:15], v[48:49]
	v_fma_f64 v[54:55], v[6:7], v[14:15], -v[16:17]
	scratch_load_b128 v[14:17], off, off offset:448
	ds_load_b128 v[6:9], v1 offset:1248
	s_waitcnt vmcnt(9) lgkmcnt(1)
	v_mul_f64 v[50:51], v[2:3], v[20:21]
	v_mul_f64 v[20:21], v[4:5], v[20:21]
	v_add_f64 v[44:45], v[44:45], v[56:57]
	v_add_f64 v[46:47], v[46:47], v[52:53]
	s_waitcnt vmcnt(8) lgkmcnt(0)
	v_mul_f64 v[52:53], v[6:7], v[24:25]
	;; [unrolled: 18-line block ×4, first 2 shown]
	v_mul_f64 v[56:57], v[8:9], v[177:178]
	v_fma_f64 v[52:53], v[4:5], v[34:35], v[52:53]
	v_fma_f64 v[58:59], v[2:3], v[34:35], -v[36:37]
	ds_load_b128 v[2:5], v1 offset:1328
	scratch_load_b128 v[34:37], off, off offset:528
	v_add_f64 v[44:45], v[44:45], v[54:55]
	v_add_f64 v[46:47], v[46:47], v[50:51]
	v_fma_f64 v[48:49], v[8:9], v[175:176], v[48:49]
	v_fma_f64 v[54:55], v[6:7], v[175:176], -v[56:57]
	scratch_load_b128 v[175:178], off, off offset:544
	ds_load_b128 v[6:9], v1 offset:1344
	s_waitcnt vmcnt(9) lgkmcnt(1)
	v_mul_f64 v[50:51], v[2:3], v[40:41]
	v_mul_f64 v[40:41], v[4:5], v[40:41]
	s_waitcnt vmcnt(8) lgkmcnt(0)
	v_mul_f64 v[56:57], v[8:9], v[173:174]
	v_add_f64 v[44:45], v[44:45], v[58:59]
	v_add_f64 v[46:47], v[46:47], v[52:53]
	v_mul_f64 v[52:53], v[6:7], v[173:174]
	v_fma_f64 v[50:51], v[4:5], v[38:39], v[50:51]
	v_fma_f64 v[58:59], v[2:3], v[38:39], -v[40:41]
	ds_load_b128 v[2:5], v1 offset:1360
	scratch_load_b128 v[38:41], off, off offset:560
	v_add_f64 v[44:45], v[44:45], v[54:55]
	v_add_f64 v[46:47], v[46:47], v[48:49]
	v_fma_f64 v[52:53], v[8:9], v[171:172], v[52:53]
	v_fma_f64 v[54:55], v[6:7], v[171:172], -v[56:57]
	scratch_load_b128 v[171:174], off, off offset:576
	ds_load_b128 v[6:9], v1 offset:1376
	s_waitcnt vmcnt(9) lgkmcnt(1)
	v_mul_f64 v[48:49], v[2:3], v[12:13]
	v_mul_f64 v[12:13], v[4:5], v[12:13]
	v_add_f64 v[44:45], v[44:45], v[58:59]
	v_add_f64 v[46:47], v[46:47], v[50:51]
	s_waitcnt vmcnt(8) lgkmcnt(0)
	v_mul_f64 v[50:51], v[6:7], v[16:17]
	v_mul_f64 v[16:17], v[8:9], v[16:17]
	v_fma_f64 v[48:49], v[4:5], v[10:11], v[48:49]
	v_fma_f64 v[56:57], v[2:3], v[10:11], -v[12:13]
	ds_load_b128 v[2:5], v1 offset:1392
	scratch_load_b128 v[10:13], off, off offset:592
	v_add_f64 v[44:45], v[44:45], v[54:55]
	v_add_f64 v[46:47], v[46:47], v[52:53]
	v_fma_f64 v[50:51], v[8:9], v[14:15], v[50:51]
	v_fma_f64 v[54:55], v[6:7], v[14:15], -v[16:17]
	scratch_load_b128 v[14:17], off, off offset:608
	ds_load_b128 v[6:9], v1 offset:1408
	s_waitcnt vmcnt(9) lgkmcnt(1)
	v_mul_f64 v[52:53], v[2:3], v[20:21]
	v_mul_f64 v[20:21], v[4:5], v[20:21]
	v_add_f64 v[44:45], v[44:45], v[56:57]
	v_add_f64 v[46:47], v[46:47], v[48:49]
	s_waitcnt vmcnt(8) lgkmcnt(0)
	v_mul_f64 v[48:49], v[6:7], v[24:25]
	;; [unrolled: 18-line block ×4, first 2 shown]
	v_mul_f64 v[56:57], v[8:9], v[177:178]
	v_fma_f64 v[48:49], v[4:5], v[34:35], v[48:49]
	v_fma_f64 v[58:59], v[2:3], v[34:35], -v[36:37]
	ds_load_b128 v[2:5], v1 offset:1488
	scratch_load_b128 v[34:37], off, off offset:688
	v_add_f64 v[44:45], v[44:45], v[54:55]
	v_add_f64 v[46:47], v[46:47], v[52:53]
	v_fma_f64 v[50:51], v[8:9], v[175:176], v[50:51]
	v_fma_f64 v[54:55], v[6:7], v[175:176], -v[56:57]
	scratch_load_b128 v[175:178], off, off offset:704
	ds_load_b128 v[6:9], v1 offset:1504
	s_waitcnt vmcnt(9) lgkmcnt(1)
	v_mul_f64 v[52:53], v[2:3], v[40:41]
	v_mul_f64 v[40:41], v[4:5], v[40:41]
	s_waitcnt vmcnt(8) lgkmcnt(0)
	v_mul_f64 v[56:57], v[8:9], v[173:174]
	v_add_f64 v[44:45], v[44:45], v[58:59]
	v_add_f64 v[46:47], v[46:47], v[48:49]
	v_mul_f64 v[48:49], v[6:7], v[173:174]
	v_fma_f64 v[52:53], v[4:5], v[38:39], v[52:53]
	v_fma_f64 v[58:59], v[2:3], v[38:39], -v[40:41]
	ds_load_b128 v[2:5], v1 offset:1520
	scratch_load_b128 v[38:41], off, off offset:720
	v_add_f64 v[44:45], v[44:45], v[54:55]
	v_add_f64 v[46:47], v[46:47], v[50:51]
	v_fma_f64 v[48:49], v[8:9], v[171:172], v[48:49]
	v_fma_f64 v[54:55], v[6:7], v[171:172], -v[56:57]
	scratch_load_b128 v[171:174], off, off offset:736
	ds_load_b128 v[6:9], v1 offset:1536
	s_waitcnt vmcnt(9) lgkmcnt(1)
	v_mul_f64 v[50:51], v[2:3], v[12:13]
	v_mul_f64 v[12:13], v[4:5], v[12:13]
	v_add_f64 v[44:45], v[44:45], v[58:59]
	v_add_f64 v[46:47], v[46:47], v[52:53]
	s_waitcnt vmcnt(8) lgkmcnt(0)
	v_mul_f64 v[52:53], v[6:7], v[16:17]
	v_mul_f64 v[16:17], v[8:9], v[16:17]
	v_fma_f64 v[50:51], v[4:5], v[10:11], v[50:51]
	v_fma_f64 v[56:57], v[2:3], v[10:11], -v[12:13]
	ds_load_b128 v[2:5], v1 offset:1552
	scratch_load_b128 v[10:13], off, off offset:752
	v_add_f64 v[44:45], v[44:45], v[54:55]
	v_add_f64 v[46:47], v[46:47], v[48:49]
	v_fma_f64 v[52:53], v[8:9], v[14:15], v[52:53]
	v_fma_f64 v[54:55], v[6:7], v[14:15], -v[16:17]
	scratch_load_b128 v[14:17], off, off offset:768
	ds_load_b128 v[6:9], v1 offset:1568
	s_waitcnt vmcnt(9) lgkmcnt(1)
	v_mul_f64 v[48:49], v[2:3], v[20:21]
	v_mul_f64 v[20:21], v[4:5], v[20:21]
	v_add_f64 v[44:45], v[44:45], v[56:57]
	v_add_f64 v[46:47], v[46:47], v[50:51]
	s_waitcnt vmcnt(8) lgkmcnt(0)
	v_mul_f64 v[50:51], v[6:7], v[24:25]
	;; [unrolled: 18-line block ×3, first 2 shown]
	v_mul_f64 v[32:33], v[8:9], v[32:33]
	v_fma_f64 v[52:53], v[4:5], v[26:27], v[52:53]
	v_fma_f64 v[56:57], v[2:3], v[26:27], -v[28:29]
	ds_load_b128 v[2:5], v1 offset:1616
	scratch_load_b128 v[26:29], off, off offset:816
	v_add_f64 v[44:45], v[44:45], v[54:55]
	v_add_f64 v[46:47], v[46:47], v[50:51]
	v_fma_f64 v[48:49], v[8:9], v[30:31], v[48:49]
	v_fma_f64 v[54:55], v[6:7], v[30:31], -v[32:33]
	ds_load_b128 v[6:9], v1 offset:1632
	s_waitcnt vmcnt(8) lgkmcnt(1)
	v_mul_f64 v[50:51], v[2:3], v[36:37]
	v_mul_f64 v[36:37], v[4:5], v[36:37]
	scratch_load_b128 v[30:33], off, off offset:832
	v_add_f64 v[44:45], v[44:45], v[56:57]
	v_add_f64 v[46:47], v[46:47], v[52:53]
	s_waitcnt vmcnt(8) lgkmcnt(0)
	v_mul_f64 v[52:53], v[6:7], v[177:178]
	v_mul_f64 v[56:57], v[8:9], v[177:178]
	v_fma_f64 v[50:51], v[4:5], v[34:35], v[50:51]
	v_fma_f64 v[58:59], v[2:3], v[34:35], -v[36:37]
	scratch_load_b128 v[34:37], off, off offset:848
	ds_load_b128 v[2:5], v1 offset:1648
	v_add_f64 v[44:45], v[44:45], v[54:55]
	v_add_f64 v[46:47], v[46:47], v[48:49]
	v_fma_f64 v[52:53], v[8:9], v[175:176], v[52:53]
	v_fma_f64 v[54:55], v[6:7], v[175:176], -v[56:57]
	ds_load_b128 v[6:9], v1 offset:1664
	s_waitcnt vmcnt(8) lgkmcnt(1)
	v_mul_f64 v[48:49], v[2:3], v[40:41]
	v_mul_f64 v[40:41], v[4:5], v[40:41]
	scratch_load_b128 v[175:178], off, off offset:864
	s_waitcnt vmcnt(8) lgkmcnt(0)
	v_mul_f64 v[56:57], v[8:9], v[173:174]
	v_add_f64 v[44:45], v[44:45], v[58:59]
	v_add_f64 v[46:47], v[46:47], v[50:51]
	v_mul_f64 v[50:51], v[6:7], v[173:174]
	v_fma_f64 v[48:49], v[4:5], v[38:39], v[48:49]
	v_fma_f64 v[58:59], v[2:3], v[38:39], -v[40:41]
	scratch_load_b128 v[38:41], off, off offset:880
	ds_load_b128 v[2:5], v1 offset:1680
	v_add_f64 v[44:45], v[44:45], v[54:55]
	v_add_f64 v[46:47], v[46:47], v[52:53]
	v_fma_f64 v[50:51], v[8:9], v[171:172], v[50:51]
	v_fma_f64 v[54:55], v[6:7], v[171:172], -v[56:57]
	ds_load_b128 v[6:9], v1 offset:1696
	s_waitcnt vmcnt(8) lgkmcnt(1)
	v_mul_f64 v[52:53], v[2:3], v[12:13]
	v_mul_f64 v[12:13], v[4:5], v[12:13]
	scratch_load_b128 v[171:174], off, off offset:896
	v_add_f64 v[44:45], v[44:45], v[58:59]
	v_add_f64 v[46:47], v[46:47], v[48:49]
	s_waitcnt vmcnt(8) lgkmcnt(0)
	v_mul_f64 v[48:49], v[6:7], v[16:17]
	v_mul_f64 v[16:17], v[8:9], v[16:17]
	v_fma_f64 v[52:53], v[4:5], v[10:11], v[52:53]
	v_fma_f64 v[56:57], v[2:3], v[10:11], -v[12:13]
	scratch_load_b128 v[10:13], off, off offset:912
	ds_load_b128 v[2:5], v1 offset:1712
	v_add_f64 v[44:45], v[44:45], v[54:55]
	v_add_f64 v[46:47], v[46:47], v[50:51]
	v_fma_f64 v[48:49], v[8:9], v[14:15], v[48:49]
	v_fma_f64 v[14:15], v[6:7], v[14:15], -v[16:17]
	ds_load_b128 v[6:9], v1 offset:1728
	s_waitcnt vmcnt(8) lgkmcnt(1)
	v_mul_f64 v[50:51], v[2:3], v[20:21]
	v_mul_f64 v[20:21], v[4:5], v[20:21]
	v_add_f64 v[16:17], v[44:45], v[56:57]
	v_add_f64 v[44:45], v[46:47], v[52:53]
	s_waitcnt vmcnt(7) lgkmcnt(0)
	v_mul_f64 v[46:47], v[6:7], v[24:25]
	v_mul_f64 v[24:25], v[8:9], v[24:25]
	v_fma_f64 v[50:51], v[4:5], v[18:19], v[50:51]
	v_fma_f64 v[18:19], v[2:3], v[18:19], -v[20:21]
	ds_load_b128 v[2:5], v1 offset:1744
	v_add_f64 v[14:15], v[16:17], v[14:15]
	v_add_f64 v[16:17], v[44:45], v[48:49]
	v_fma_f64 v[44:45], v[8:9], v[22:23], v[46:47]
	v_fma_f64 v[22:23], v[6:7], v[22:23], -v[24:25]
	ds_load_b128 v[6:9], v1 offset:1760
	s_waitcnt vmcnt(5) lgkmcnt(0)
	v_mul_f64 v[46:47], v[6:7], v[32:33]
	v_mul_f64 v[32:33], v[8:9], v[32:33]
	v_add_f64 v[18:19], v[14:15], v[18:19]
	v_add_f64 v[24:25], v[16:17], v[50:51]
	scratch_load_b128 v[14:17], off, off offset:64
	v_mul_f64 v[20:21], v[2:3], v[28:29]
	v_mul_f64 v[28:29], v[4:5], v[28:29]
	v_add_f64 v[18:19], v[18:19], v[22:23]
	v_add_f64 v[22:23], v[24:25], v[44:45]
	s_delay_alu instid0(VALU_DEP_4) | instskip(NEXT) | instid1(VALU_DEP_4)
	v_fma_f64 v[20:21], v[4:5], v[26:27], v[20:21]
	v_fma_f64 v[26:27], v[2:3], v[26:27], -v[28:29]
	ds_load_b128 v[2:5], v1 offset:1776
	s_waitcnt vmcnt(5) lgkmcnt(0)
	v_mul_f64 v[24:25], v[2:3], v[36:37]
	v_mul_f64 v[28:29], v[4:5], v[36:37]
	v_fma_f64 v[36:37], v[8:9], v[30:31], v[46:47]
	v_fma_f64 v[30:31], v[6:7], v[30:31], -v[32:33]
	ds_load_b128 v[6:9], v1 offset:1792
	v_add_f64 v[20:21], v[22:23], v[20:21]
	v_add_f64 v[18:19], v[18:19], v[26:27]
	v_fma_f64 v[24:25], v[4:5], v[34:35], v[24:25]
	v_fma_f64 v[28:29], v[2:3], v[34:35], -v[28:29]
	ds_load_b128 v[2:5], v1 offset:1808
	s_waitcnt vmcnt(4) lgkmcnt(1)
	v_mul_f64 v[22:23], v[6:7], v[177:178]
	v_mul_f64 v[26:27], v[8:9], v[177:178]
	v_add_f64 v[20:21], v[20:21], v[36:37]
	v_add_f64 v[18:19], v[18:19], v[30:31]
	s_waitcnt vmcnt(3) lgkmcnt(0)
	v_mul_f64 v[30:31], v[2:3], v[40:41]
	v_mul_f64 v[32:33], v[4:5], v[40:41]
	v_fma_f64 v[22:23], v[8:9], v[175:176], v[22:23]
	v_fma_f64 v[26:27], v[6:7], v[175:176], -v[26:27]
	ds_load_b128 v[6:9], v1 offset:1824
	v_add_f64 v[20:21], v[20:21], v[24:25]
	v_add_f64 v[18:19], v[18:19], v[28:29]
	v_fma_f64 v[30:31], v[4:5], v[38:39], v[30:31]
	v_fma_f64 v[32:33], v[2:3], v[38:39], -v[32:33]
	ds_load_b128 v[2:5], v1 offset:1840
	s_waitcnt vmcnt(2) lgkmcnt(1)
	v_mul_f64 v[24:25], v[6:7], v[173:174]
	v_mul_f64 v[28:29], v[8:9], v[173:174]
	v_add_f64 v[20:21], v[20:21], v[22:23]
	v_add_f64 v[18:19], v[18:19], v[26:27]
	s_waitcnt vmcnt(1) lgkmcnt(0)
	v_mul_f64 v[22:23], v[2:3], v[12:13]
	v_mul_f64 v[12:13], v[4:5], v[12:13]
	v_fma_f64 v[8:9], v[8:9], v[171:172], v[24:25]
	v_fma_f64 v[6:7], v[6:7], v[171:172], -v[28:29]
	v_add_f64 v[20:21], v[20:21], v[30:31]
	v_add_f64 v[18:19], v[18:19], v[32:33]
	v_fma_f64 v[4:5], v[4:5], v[10:11], v[22:23]
	v_fma_f64 v[2:3], v[2:3], v[10:11], -v[12:13]
	s_delay_alu instid0(VALU_DEP_4) | instskip(NEXT) | instid1(VALU_DEP_4)
	v_add_f64 v[8:9], v[20:21], v[8:9]
	v_add_f64 v[6:7], v[18:19], v[6:7]
	s_delay_alu instid0(VALU_DEP_2) | instskip(NEXT) | instid1(VALU_DEP_2)
	v_add_f64 v[4:5], v[8:9], v[4:5]
	v_add_f64 v[2:3], v[6:7], v[2:3]
	s_waitcnt vmcnt(0)
	s_delay_alu instid0(VALU_DEP_2) | instskip(NEXT) | instid1(VALU_DEP_2)
	v_add_f64 v[4:5], v[16:17], -v[4:5]
	v_add_f64 v[2:3], v[14:15], -v[2:3]
	scratch_store_b128 off, v[2:5], off offset:64
	v_cmpx_lt_u32_e32 3, v158
	s_cbranch_execz .LBB121_355
; %bb.354:
	scratch_load_b128 v[5:8], v213, off
	v_mov_b32_e32 v2, v1
	v_mov_b32_e32 v3, v1
	;; [unrolled: 1-line block ×3, first 2 shown]
	scratch_store_b128 off, v[1:4], off offset:48
	s_waitcnt vmcnt(0)
	ds_store_b128 v216, v[5:8]
.LBB121_355:
	s_or_b32 exec_lo, exec_lo, s2
	s_waitcnt lgkmcnt(0)
	s_waitcnt_vscnt null, 0x0
	s_barrier
	buffer_gl0_inv
	s_clause 0x7
	scratch_load_b128 v[2:5], off, off offset:64
	scratch_load_b128 v[6:9], off, off offset:80
	;; [unrolled: 1-line block ×8, first 2 shown]
	ds_load_b128 v[38:41], v1 offset:992
	ds_load_b128 v[171:174], v1 offset:1008
	s_clause 0x1
	scratch_load_b128 v[34:37], off, off offset:192
	scratch_load_b128 v[175:178], off, off offset:208
	s_mov_b32 s2, exec_lo
	s_waitcnt vmcnt(9) lgkmcnt(1)
	v_mul_f64 v[44:45], v[40:41], v[4:5]
	v_mul_f64 v[4:5], v[38:39], v[4:5]
	s_waitcnt vmcnt(8) lgkmcnt(0)
	v_mul_f64 v[46:47], v[171:172], v[8:9]
	v_mul_f64 v[8:9], v[173:174], v[8:9]
	s_delay_alu instid0(VALU_DEP_4) | instskip(NEXT) | instid1(VALU_DEP_4)
	v_fma_f64 v[44:45], v[38:39], v[2:3], -v[44:45]
	v_fma_f64 v[48:49], v[40:41], v[2:3], v[4:5]
	ds_load_b128 v[2:5], v1 offset:1024
	scratch_load_b128 v[38:41], off, off offset:224
	v_fma_f64 v[46:47], v[173:174], v[6:7], v[46:47]
	v_fma_f64 v[52:53], v[171:172], v[6:7], -v[8:9]
	scratch_load_b128 v[171:174], off, off offset:240
	ds_load_b128 v[6:9], v1 offset:1040
	s_waitcnt vmcnt(9) lgkmcnt(1)
	v_mul_f64 v[50:51], v[2:3], v[12:13]
	v_mul_f64 v[12:13], v[4:5], v[12:13]
	s_waitcnt vmcnt(8) lgkmcnt(0)
	v_mul_f64 v[54:55], v[6:7], v[16:17]
	v_mul_f64 v[16:17], v[8:9], v[16:17]
	v_add_f64 v[44:45], v[44:45], 0
	v_add_f64 v[48:49], v[48:49], 0
	v_fma_f64 v[50:51], v[4:5], v[10:11], v[50:51]
	v_fma_f64 v[56:57], v[2:3], v[10:11], -v[12:13]
	ds_load_b128 v[2:5], v1 offset:1056
	scratch_load_b128 v[10:13], off, off offset:256
	v_add_f64 v[44:45], v[44:45], v[52:53]
	v_add_f64 v[46:47], v[48:49], v[46:47]
	v_fma_f64 v[52:53], v[8:9], v[14:15], v[54:55]
	v_fma_f64 v[54:55], v[6:7], v[14:15], -v[16:17]
	scratch_load_b128 v[14:17], off, off offset:272
	ds_load_b128 v[6:9], v1 offset:1072
	s_waitcnt vmcnt(9) lgkmcnt(1)
	v_mul_f64 v[48:49], v[2:3], v[20:21]
	v_mul_f64 v[20:21], v[4:5], v[20:21]
	v_add_f64 v[44:45], v[44:45], v[56:57]
	v_add_f64 v[46:47], v[46:47], v[50:51]
	s_waitcnt vmcnt(8) lgkmcnt(0)
	v_mul_f64 v[50:51], v[6:7], v[24:25]
	v_mul_f64 v[24:25], v[8:9], v[24:25]
	v_fma_f64 v[48:49], v[4:5], v[18:19], v[48:49]
	v_fma_f64 v[56:57], v[2:3], v[18:19], -v[20:21]
	ds_load_b128 v[2:5], v1 offset:1088
	scratch_load_b128 v[18:21], off, off offset:288
	v_add_f64 v[44:45], v[44:45], v[54:55]
	v_add_f64 v[46:47], v[46:47], v[52:53]
	v_fma_f64 v[50:51], v[8:9], v[22:23], v[50:51]
	v_fma_f64 v[54:55], v[6:7], v[22:23], -v[24:25]
	scratch_load_b128 v[22:25], off, off offset:304
	ds_load_b128 v[6:9], v1 offset:1104
	s_waitcnt vmcnt(9) lgkmcnt(1)
	v_mul_f64 v[52:53], v[2:3], v[28:29]
	v_mul_f64 v[28:29], v[4:5], v[28:29]
	v_add_f64 v[44:45], v[44:45], v[56:57]
	v_add_f64 v[46:47], v[46:47], v[48:49]
	s_waitcnt vmcnt(8) lgkmcnt(0)
	v_mul_f64 v[48:49], v[6:7], v[32:33]
	v_mul_f64 v[32:33], v[8:9], v[32:33]
	;; [unrolled: 18-line block ×3, first 2 shown]
	v_fma_f64 v[50:51], v[4:5], v[34:35], v[50:51]
	v_fma_f64 v[58:59], v[2:3], v[34:35], -v[36:37]
	ds_load_b128 v[2:5], v1 offset:1152
	scratch_load_b128 v[34:37], off, off offset:352
	v_add_f64 v[44:45], v[44:45], v[54:55]
	v_add_f64 v[46:47], v[46:47], v[48:49]
	v_fma_f64 v[52:53], v[8:9], v[175:176], v[52:53]
	v_fma_f64 v[54:55], v[6:7], v[175:176], -v[56:57]
	scratch_load_b128 v[175:178], off, off offset:368
	ds_load_b128 v[6:9], v1 offset:1168
	s_waitcnt vmcnt(9) lgkmcnt(1)
	v_mul_f64 v[48:49], v[2:3], v[40:41]
	v_mul_f64 v[40:41], v[4:5], v[40:41]
	s_waitcnt vmcnt(8) lgkmcnt(0)
	v_mul_f64 v[56:57], v[8:9], v[173:174]
	v_add_f64 v[44:45], v[44:45], v[58:59]
	v_add_f64 v[46:47], v[46:47], v[50:51]
	v_mul_f64 v[50:51], v[6:7], v[173:174]
	v_fma_f64 v[48:49], v[4:5], v[38:39], v[48:49]
	v_fma_f64 v[58:59], v[2:3], v[38:39], -v[40:41]
	ds_load_b128 v[2:5], v1 offset:1184
	scratch_load_b128 v[38:41], off, off offset:384
	v_add_f64 v[44:45], v[44:45], v[54:55]
	v_add_f64 v[46:47], v[46:47], v[52:53]
	v_fma_f64 v[50:51], v[8:9], v[171:172], v[50:51]
	v_fma_f64 v[54:55], v[6:7], v[171:172], -v[56:57]
	scratch_load_b128 v[171:174], off, off offset:400
	ds_load_b128 v[6:9], v1 offset:1200
	s_waitcnt vmcnt(9) lgkmcnt(1)
	v_mul_f64 v[52:53], v[2:3], v[12:13]
	v_mul_f64 v[12:13], v[4:5], v[12:13]
	v_add_f64 v[44:45], v[44:45], v[58:59]
	v_add_f64 v[46:47], v[46:47], v[48:49]
	s_waitcnt vmcnt(8) lgkmcnt(0)
	v_mul_f64 v[48:49], v[6:7], v[16:17]
	v_mul_f64 v[16:17], v[8:9], v[16:17]
	v_fma_f64 v[52:53], v[4:5], v[10:11], v[52:53]
	v_fma_f64 v[56:57], v[2:3], v[10:11], -v[12:13]
	ds_load_b128 v[2:5], v1 offset:1216
	scratch_load_b128 v[10:13], off, off offset:416
	v_add_f64 v[44:45], v[44:45], v[54:55]
	v_add_f64 v[46:47], v[46:47], v[50:51]
	v_fma_f64 v[48:49], v[8:9], v[14:15], v[48:49]
	v_fma_f64 v[54:55], v[6:7], v[14:15], -v[16:17]
	scratch_load_b128 v[14:17], off, off offset:432
	ds_load_b128 v[6:9], v1 offset:1232
	s_waitcnt vmcnt(9) lgkmcnt(1)
	v_mul_f64 v[50:51], v[2:3], v[20:21]
	v_mul_f64 v[20:21], v[4:5], v[20:21]
	v_add_f64 v[44:45], v[44:45], v[56:57]
	v_add_f64 v[46:47], v[46:47], v[52:53]
	s_waitcnt vmcnt(8) lgkmcnt(0)
	v_mul_f64 v[52:53], v[6:7], v[24:25]
	;; [unrolled: 18-line block ×4, first 2 shown]
	v_mul_f64 v[56:57], v[8:9], v[177:178]
	v_fma_f64 v[52:53], v[4:5], v[34:35], v[52:53]
	v_fma_f64 v[58:59], v[2:3], v[34:35], -v[36:37]
	ds_load_b128 v[2:5], v1 offset:1312
	scratch_load_b128 v[34:37], off, off offset:512
	v_add_f64 v[44:45], v[44:45], v[54:55]
	v_add_f64 v[46:47], v[46:47], v[50:51]
	v_fma_f64 v[48:49], v[8:9], v[175:176], v[48:49]
	v_fma_f64 v[54:55], v[6:7], v[175:176], -v[56:57]
	scratch_load_b128 v[175:178], off, off offset:528
	ds_load_b128 v[6:9], v1 offset:1328
	s_waitcnt vmcnt(9) lgkmcnt(1)
	v_mul_f64 v[50:51], v[2:3], v[40:41]
	v_mul_f64 v[40:41], v[4:5], v[40:41]
	s_waitcnt vmcnt(8) lgkmcnt(0)
	v_mul_f64 v[56:57], v[8:9], v[173:174]
	v_add_f64 v[44:45], v[44:45], v[58:59]
	v_add_f64 v[46:47], v[46:47], v[52:53]
	v_mul_f64 v[52:53], v[6:7], v[173:174]
	v_fma_f64 v[50:51], v[4:5], v[38:39], v[50:51]
	v_fma_f64 v[58:59], v[2:3], v[38:39], -v[40:41]
	ds_load_b128 v[2:5], v1 offset:1344
	scratch_load_b128 v[38:41], off, off offset:544
	v_add_f64 v[44:45], v[44:45], v[54:55]
	v_add_f64 v[46:47], v[46:47], v[48:49]
	v_fma_f64 v[52:53], v[8:9], v[171:172], v[52:53]
	v_fma_f64 v[54:55], v[6:7], v[171:172], -v[56:57]
	scratch_load_b128 v[171:174], off, off offset:560
	ds_load_b128 v[6:9], v1 offset:1360
	s_waitcnt vmcnt(9) lgkmcnt(1)
	v_mul_f64 v[48:49], v[2:3], v[12:13]
	v_mul_f64 v[12:13], v[4:5], v[12:13]
	v_add_f64 v[44:45], v[44:45], v[58:59]
	v_add_f64 v[46:47], v[46:47], v[50:51]
	s_waitcnt vmcnt(8) lgkmcnt(0)
	v_mul_f64 v[50:51], v[6:7], v[16:17]
	v_mul_f64 v[16:17], v[8:9], v[16:17]
	v_fma_f64 v[48:49], v[4:5], v[10:11], v[48:49]
	v_fma_f64 v[56:57], v[2:3], v[10:11], -v[12:13]
	ds_load_b128 v[2:5], v1 offset:1376
	scratch_load_b128 v[10:13], off, off offset:576
	v_add_f64 v[44:45], v[44:45], v[54:55]
	v_add_f64 v[46:47], v[46:47], v[52:53]
	v_fma_f64 v[50:51], v[8:9], v[14:15], v[50:51]
	v_fma_f64 v[54:55], v[6:7], v[14:15], -v[16:17]
	scratch_load_b128 v[14:17], off, off offset:592
	ds_load_b128 v[6:9], v1 offset:1392
	s_waitcnt vmcnt(9) lgkmcnt(1)
	v_mul_f64 v[52:53], v[2:3], v[20:21]
	v_mul_f64 v[20:21], v[4:5], v[20:21]
	v_add_f64 v[44:45], v[44:45], v[56:57]
	v_add_f64 v[46:47], v[46:47], v[48:49]
	s_waitcnt vmcnt(8) lgkmcnt(0)
	v_mul_f64 v[48:49], v[6:7], v[24:25]
	;; [unrolled: 18-line block ×4, first 2 shown]
	v_mul_f64 v[56:57], v[8:9], v[177:178]
	v_fma_f64 v[48:49], v[4:5], v[34:35], v[48:49]
	v_fma_f64 v[58:59], v[2:3], v[34:35], -v[36:37]
	ds_load_b128 v[2:5], v1 offset:1472
	scratch_load_b128 v[34:37], off, off offset:672
	v_add_f64 v[44:45], v[44:45], v[54:55]
	v_add_f64 v[46:47], v[46:47], v[52:53]
	v_fma_f64 v[50:51], v[8:9], v[175:176], v[50:51]
	v_fma_f64 v[54:55], v[6:7], v[175:176], -v[56:57]
	scratch_load_b128 v[175:178], off, off offset:688
	ds_load_b128 v[6:9], v1 offset:1488
	s_waitcnt vmcnt(9) lgkmcnt(1)
	v_mul_f64 v[52:53], v[2:3], v[40:41]
	v_mul_f64 v[40:41], v[4:5], v[40:41]
	s_waitcnt vmcnt(8) lgkmcnt(0)
	v_mul_f64 v[56:57], v[8:9], v[173:174]
	v_add_f64 v[44:45], v[44:45], v[58:59]
	v_add_f64 v[46:47], v[46:47], v[48:49]
	v_mul_f64 v[48:49], v[6:7], v[173:174]
	v_fma_f64 v[52:53], v[4:5], v[38:39], v[52:53]
	v_fma_f64 v[58:59], v[2:3], v[38:39], -v[40:41]
	ds_load_b128 v[2:5], v1 offset:1504
	scratch_load_b128 v[38:41], off, off offset:704
	v_add_f64 v[44:45], v[44:45], v[54:55]
	v_add_f64 v[46:47], v[46:47], v[50:51]
	v_fma_f64 v[48:49], v[8:9], v[171:172], v[48:49]
	v_fma_f64 v[54:55], v[6:7], v[171:172], -v[56:57]
	scratch_load_b128 v[171:174], off, off offset:720
	ds_load_b128 v[6:9], v1 offset:1520
	s_waitcnt vmcnt(9) lgkmcnt(1)
	v_mul_f64 v[50:51], v[2:3], v[12:13]
	v_mul_f64 v[12:13], v[4:5], v[12:13]
	v_add_f64 v[44:45], v[44:45], v[58:59]
	v_add_f64 v[46:47], v[46:47], v[52:53]
	s_waitcnt vmcnt(8) lgkmcnt(0)
	v_mul_f64 v[52:53], v[6:7], v[16:17]
	v_mul_f64 v[16:17], v[8:9], v[16:17]
	v_fma_f64 v[50:51], v[4:5], v[10:11], v[50:51]
	v_fma_f64 v[56:57], v[2:3], v[10:11], -v[12:13]
	ds_load_b128 v[2:5], v1 offset:1536
	scratch_load_b128 v[10:13], off, off offset:736
	v_add_f64 v[44:45], v[44:45], v[54:55]
	v_add_f64 v[46:47], v[46:47], v[48:49]
	v_fma_f64 v[52:53], v[8:9], v[14:15], v[52:53]
	v_fma_f64 v[54:55], v[6:7], v[14:15], -v[16:17]
	scratch_load_b128 v[14:17], off, off offset:752
	ds_load_b128 v[6:9], v1 offset:1552
	s_waitcnt vmcnt(9) lgkmcnt(1)
	v_mul_f64 v[48:49], v[2:3], v[20:21]
	v_mul_f64 v[20:21], v[4:5], v[20:21]
	v_add_f64 v[44:45], v[44:45], v[56:57]
	v_add_f64 v[46:47], v[46:47], v[50:51]
	s_waitcnt vmcnt(8) lgkmcnt(0)
	v_mul_f64 v[50:51], v[6:7], v[24:25]
	;; [unrolled: 18-line block ×3, first 2 shown]
	v_mul_f64 v[32:33], v[8:9], v[32:33]
	v_fma_f64 v[52:53], v[4:5], v[26:27], v[52:53]
	v_fma_f64 v[56:57], v[2:3], v[26:27], -v[28:29]
	ds_load_b128 v[2:5], v1 offset:1600
	scratch_load_b128 v[26:29], off, off offset:800
	v_add_f64 v[44:45], v[44:45], v[54:55]
	v_add_f64 v[46:47], v[46:47], v[50:51]
	v_fma_f64 v[48:49], v[8:9], v[30:31], v[48:49]
	v_fma_f64 v[54:55], v[6:7], v[30:31], -v[32:33]
	ds_load_b128 v[6:9], v1 offset:1616
	s_waitcnt vmcnt(8) lgkmcnt(1)
	v_mul_f64 v[50:51], v[2:3], v[36:37]
	v_mul_f64 v[36:37], v[4:5], v[36:37]
	scratch_load_b128 v[30:33], off, off offset:816
	v_add_f64 v[44:45], v[44:45], v[56:57]
	v_add_f64 v[46:47], v[46:47], v[52:53]
	s_waitcnt vmcnt(8) lgkmcnt(0)
	v_mul_f64 v[52:53], v[6:7], v[177:178]
	v_mul_f64 v[56:57], v[8:9], v[177:178]
	v_fma_f64 v[50:51], v[4:5], v[34:35], v[50:51]
	v_fma_f64 v[58:59], v[2:3], v[34:35], -v[36:37]
	ds_load_b128 v[2:5], v1 offset:1632
	scratch_load_b128 v[34:37], off, off offset:832
	v_add_f64 v[44:45], v[44:45], v[54:55]
	v_add_f64 v[46:47], v[46:47], v[48:49]
	v_fma_f64 v[52:53], v[8:9], v[175:176], v[52:53]
	v_fma_f64 v[54:55], v[6:7], v[175:176], -v[56:57]
	ds_load_b128 v[6:9], v1 offset:1648
	s_waitcnt vmcnt(8) lgkmcnt(1)
	v_mul_f64 v[48:49], v[2:3], v[40:41]
	v_mul_f64 v[40:41], v[4:5], v[40:41]
	scratch_load_b128 v[175:178], off, off offset:848
	s_waitcnt vmcnt(8) lgkmcnt(0)
	v_mul_f64 v[56:57], v[8:9], v[173:174]
	v_add_f64 v[44:45], v[44:45], v[58:59]
	v_add_f64 v[46:47], v[46:47], v[50:51]
	v_mul_f64 v[50:51], v[6:7], v[173:174]
	v_fma_f64 v[48:49], v[4:5], v[38:39], v[48:49]
	v_fma_f64 v[58:59], v[2:3], v[38:39], -v[40:41]
	scratch_load_b128 v[38:41], off, off offset:864
	ds_load_b128 v[2:5], v1 offset:1664
	v_add_f64 v[44:45], v[44:45], v[54:55]
	v_add_f64 v[46:47], v[46:47], v[52:53]
	v_fma_f64 v[50:51], v[8:9], v[171:172], v[50:51]
	v_fma_f64 v[54:55], v[6:7], v[171:172], -v[56:57]
	ds_load_b128 v[6:9], v1 offset:1680
	s_waitcnt vmcnt(8) lgkmcnt(1)
	v_mul_f64 v[52:53], v[2:3], v[12:13]
	v_mul_f64 v[12:13], v[4:5], v[12:13]
	scratch_load_b128 v[171:174], off, off offset:880
	v_add_f64 v[44:45], v[44:45], v[58:59]
	v_add_f64 v[46:47], v[46:47], v[48:49]
	s_waitcnt vmcnt(8) lgkmcnt(0)
	v_mul_f64 v[48:49], v[6:7], v[16:17]
	v_mul_f64 v[16:17], v[8:9], v[16:17]
	v_fma_f64 v[52:53], v[4:5], v[10:11], v[52:53]
	v_fma_f64 v[56:57], v[2:3], v[10:11], -v[12:13]
	scratch_load_b128 v[10:13], off, off offset:896
	ds_load_b128 v[2:5], v1 offset:1696
	v_add_f64 v[44:45], v[44:45], v[54:55]
	v_add_f64 v[46:47], v[46:47], v[50:51]
	v_fma_f64 v[48:49], v[8:9], v[14:15], v[48:49]
	v_fma_f64 v[54:55], v[6:7], v[14:15], -v[16:17]
	ds_load_b128 v[6:9], v1 offset:1712
	s_waitcnt vmcnt(8) lgkmcnt(1)
	v_mul_f64 v[50:51], v[2:3], v[20:21]
	v_mul_f64 v[20:21], v[4:5], v[20:21]
	scratch_load_b128 v[14:17], off, off offset:912
	v_add_f64 v[44:45], v[44:45], v[56:57]
	v_add_f64 v[46:47], v[46:47], v[52:53]
	s_waitcnt vmcnt(8) lgkmcnt(0)
	v_mul_f64 v[52:53], v[6:7], v[24:25]
	v_mul_f64 v[24:25], v[8:9], v[24:25]
	v_fma_f64 v[50:51], v[4:5], v[18:19], v[50:51]
	v_fma_f64 v[18:19], v[2:3], v[18:19], -v[20:21]
	ds_load_b128 v[2:5], v1 offset:1728
	v_add_f64 v[20:21], v[44:45], v[54:55]
	v_add_f64 v[44:45], v[46:47], v[48:49]
	v_fma_f64 v[48:49], v[8:9], v[22:23], v[52:53]
	v_fma_f64 v[22:23], v[6:7], v[22:23], -v[24:25]
	ds_load_b128 v[6:9], v1 offset:1744
	s_waitcnt vmcnt(7) lgkmcnt(1)
	v_mul_f64 v[46:47], v[2:3], v[28:29]
	v_mul_f64 v[28:29], v[4:5], v[28:29]
	v_add_f64 v[18:19], v[20:21], v[18:19]
	v_add_f64 v[20:21], v[44:45], v[50:51]
	s_delay_alu instid0(VALU_DEP_4) | instskip(NEXT) | instid1(VALU_DEP_4)
	v_fma_f64 v[44:45], v[4:5], v[26:27], v[46:47]
	v_fma_f64 v[26:27], v[2:3], v[26:27], -v[28:29]
	ds_load_b128 v[2:5], v1 offset:1760
	v_add_f64 v[22:23], v[18:19], v[22:23]
	v_add_f64 v[28:29], v[20:21], v[48:49]
	scratch_load_b128 v[18:21], off, off offset:48
	s_waitcnt vmcnt(7) lgkmcnt(1)
	v_mul_f64 v[24:25], v[6:7], v[32:33]
	v_mul_f64 v[32:33], v[8:9], v[32:33]
	v_add_f64 v[22:23], v[22:23], v[26:27]
	v_add_f64 v[26:27], v[28:29], v[44:45]
	s_delay_alu instid0(VALU_DEP_4) | instskip(NEXT) | instid1(VALU_DEP_4)
	v_fma_f64 v[24:25], v[8:9], v[30:31], v[24:25]
	v_fma_f64 v[30:31], v[6:7], v[30:31], -v[32:33]
	ds_load_b128 v[6:9], v1 offset:1776
	s_waitcnt vmcnt(6) lgkmcnt(1)
	v_mul_f64 v[46:47], v[2:3], v[36:37]
	v_mul_f64 v[36:37], v[4:5], v[36:37]
	s_waitcnt vmcnt(5) lgkmcnt(0)
	v_mul_f64 v[28:29], v[6:7], v[177:178]
	v_mul_f64 v[32:33], v[8:9], v[177:178]
	v_add_f64 v[24:25], v[26:27], v[24:25]
	v_add_f64 v[22:23], v[22:23], v[30:31]
	v_fma_f64 v[44:45], v[4:5], v[34:35], v[46:47]
	v_fma_f64 v[34:35], v[2:3], v[34:35], -v[36:37]
	ds_load_b128 v[2:5], v1 offset:1792
	v_fma_f64 v[28:29], v[8:9], v[175:176], v[28:29]
	v_fma_f64 v[32:33], v[6:7], v[175:176], -v[32:33]
	ds_load_b128 v[6:9], v1 offset:1808
	s_waitcnt vmcnt(4) lgkmcnt(1)
	v_mul_f64 v[26:27], v[2:3], v[40:41]
	v_mul_f64 v[30:31], v[4:5], v[40:41]
	v_add_f64 v[24:25], v[24:25], v[44:45]
	v_add_f64 v[22:23], v[22:23], v[34:35]
	s_waitcnt vmcnt(3) lgkmcnt(0)
	v_mul_f64 v[34:35], v[6:7], v[173:174]
	v_mul_f64 v[36:37], v[8:9], v[173:174]
	v_fma_f64 v[26:27], v[4:5], v[38:39], v[26:27]
	v_fma_f64 v[30:31], v[2:3], v[38:39], -v[30:31]
	ds_load_b128 v[2:5], v1 offset:1824
	v_add_f64 v[24:25], v[24:25], v[28:29]
	v_add_f64 v[22:23], v[22:23], v[32:33]
	v_fma_f64 v[32:33], v[8:9], v[171:172], v[34:35]
	v_fma_f64 v[34:35], v[6:7], v[171:172], -v[36:37]
	ds_load_b128 v[6:9], v1 offset:1840
	s_waitcnt vmcnt(2) lgkmcnt(1)
	v_mul_f64 v[28:29], v[2:3], v[12:13]
	v_mul_f64 v[12:13], v[4:5], v[12:13]
	v_add_f64 v[24:25], v[24:25], v[26:27]
	v_add_f64 v[22:23], v[22:23], v[30:31]
	s_waitcnt vmcnt(1) lgkmcnt(0)
	v_mul_f64 v[26:27], v[6:7], v[16:17]
	v_mul_f64 v[16:17], v[8:9], v[16:17]
	v_fma_f64 v[4:5], v[4:5], v[10:11], v[28:29]
	v_fma_f64 v[1:2], v[2:3], v[10:11], -v[12:13]
	v_add_f64 v[12:13], v[24:25], v[32:33]
	v_add_f64 v[10:11], v[22:23], v[34:35]
	v_fma_f64 v[8:9], v[8:9], v[14:15], v[26:27]
	v_fma_f64 v[6:7], v[6:7], v[14:15], -v[16:17]
	s_delay_alu instid0(VALU_DEP_4) | instskip(NEXT) | instid1(VALU_DEP_4)
	v_add_f64 v[3:4], v[12:13], v[4:5]
	v_add_f64 v[1:2], v[10:11], v[1:2]
	s_delay_alu instid0(VALU_DEP_2) | instskip(NEXT) | instid1(VALU_DEP_2)
	v_add_f64 v[3:4], v[3:4], v[8:9]
	v_add_f64 v[1:2], v[1:2], v[6:7]
	s_waitcnt vmcnt(0)
	s_delay_alu instid0(VALU_DEP_2) | instskip(NEXT) | instid1(VALU_DEP_2)
	v_add_f64 v[3:4], v[20:21], -v[3:4]
	v_add_f64 v[1:2], v[18:19], -v[1:2]
	scratch_store_b128 off, v[1:4], off offset:48
	v_cmpx_lt_u32_e32 2, v158
	s_cbranch_execz .LBB121_357
; %bb.356:
	scratch_load_b128 v[1:4], v214, off
	v_mov_b32_e32 v5, 0
	s_delay_alu instid0(VALU_DEP_1)
	v_mov_b32_e32 v6, v5
	v_mov_b32_e32 v7, v5
	;; [unrolled: 1-line block ×3, first 2 shown]
	scratch_store_b128 off, v[5:8], off offset:32
	s_waitcnt vmcnt(0)
	ds_store_b128 v216, v[1:4]
.LBB121_357:
	s_or_b32 exec_lo, exec_lo, s2
	s_waitcnt lgkmcnt(0)
	s_waitcnt_vscnt null, 0x0
	s_barrier
	buffer_gl0_inv
	s_clause 0x7
	scratch_load_b128 v[2:5], off, off offset:48
	scratch_load_b128 v[6:9], off, off offset:64
	;; [unrolled: 1-line block ×8, first 2 shown]
	v_mov_b32_e32 v1, 0
	s_clause 0x1
	scratch_load_b128 v[34:37], off, off offset:176
	scratch_load_b128 v[175:178], off, off offset:192
	s_mov_b32 s2, exec_lo
	ds_load_b128 v[38:41], v1 offset:976
	ds_load_b128 v[171:174], v1 offset:992
	s_waitcnt vmcnt(9) lgkmcnt(1)
	v_mul_f64 v[44:45], v[40:41], v[4:5]
	v_mul_f64 v[4:5], v[38:39], v[4:5]
	s_waitcnt vmcnt(8) lgkmcnt(0)
	v_mul_f64 v[46:47], v[171:172], v[8:9]
	v_mul_f64 v[8:9], v[173:174], v[8:9]
	s_delay_alu instid0(VALU_DEP_4) | instskip(NEXT) | instid1(VALU_DEP_4)
	v_fma_f64 v[44:45], v[38:39], v[2:3], -v[44:45]
	v_fma_f64 v[48:49], v[40:41], v[2:3], v[4:5]
	ds_load_b128 v[2:5], v1 offset:1008
	scratch_load_b128 v[38:41], off, off offset:208
	v_fma_f64 v[46:47], v[173:174], v[6:7], v[46:47]
	v_fma_f64 v[52:53], v[171:172], v[6:7], -v[8:9]
	scratch_load_b128 v[171:174], off, off offset:224
	ds_load_b128 v[6:9], v1 offset:1024
	s_waitcnt vmcnt(9) lgkmcnt(1)
	v_mul_f64 v[50:51], v[2:3], v[12:13]
	v_mul_f64 v[12:13], v[4:5], v[12:13]
	s_waitcnt vmcnt(8) lgkmcnt(0)
	v_mul_f64 v[54:55], v[6:7], v[16:17]
	v_mul_f64 v[16:17], v[8:9], v[16:17]
	v_add_f64 v[44:45], v[44:45], 0
	v_add_f64 v[48:49], v[48:49], 0
	v_fma_f64 v[50:51], v[4:5], v[10:11], v[50:51]
	v_fma_f64 v[56:57], v[2:3], v[10:11], -v[12:13]
	ds_load_b128 v[2:5], v1 offset:1040
	scratch_load_b128 v[10:13], off, off offset:240
	v_add_f64 v[44:45], v[44:45], v[52:53]
	v_add_f64 v[46:47], v[48:49], v[46:47]
	v_fma_f64 v[52:53], v[8:9], v[14:15], v[54:55]
	v_fma_f64 v[54:55], v[6:7], v[14:15], -v[16:17]
	scratch_load_b128 v[14:17], off, off offset:256
	ds_load_b128 v[6:9], v1 offset:1056
	s_waitcnt vmcnt(9) lgkmcnt(1)
	v_mul_f64 v[48:49], v[2:3], v[20:21]
	v_mul_f64 v[20:21], v[4:5], v[20:21]
	v_add_f64 v[44:45], v[44:45], v[56:57]
	v_add_f64 v[46:47], v[46:47], v[50:51]
	s_waitcnt vmcnt(8) lgkmcnt(0)
	v_mul_f64 v[50:51], v[6:7], v[24:25]
	v_mul_f64 v[24:25], v[8:9], v[24:25]
	v_fma_f64 v[48:49], v[4:5], v[18:19], v[48:49]
	v_fma_f64 v[56:57], v[2:3], v[18:19], -v[20:21]
	ds_load_b128 v[2:5], v1 offset:1072
	scratch_load_b128 v[18:21], off, off offset:272
	v_add_f64 v[44:45], v[44:45], v[54:55]
	v_add_f64 v[46:47], v[46:47], v[52:53]
	v_fma_f64 v[50:51], v[8:9], v[22:23], v[50:51]
	v_fma_f64 v[54:55], v[6:7], v[22:23], -v[24:25]
	scratch_load_b128 v[22:25], off, off offset:288
	ds_load_b128 v[6:9], v1 offset:1088
	s_waitcnt vmcnt(9) lgkmcnt(1)
	v_mul_f64 v[52:53], v[2:3], v[28:29]
	v_mul_f64 v[28:29], v[4:5], v[28:29]
	v_add_f64 v[44:45], v[44:45], v[56:57]
	v_add_f64 v[46:47], v[46:47], v[48:49]
	s_waitcnt vmcnt(8) lgkmcnt(0)
	v_mul_f64 v[48:49], v[6:7], v[32:33]
	v_mul_f64 v[32:33], v[8:9], v[32:33]
	v_fma_f64 v[52:53], v[4:5], v[26:27], v[52:53]
	v_fma_f64 v[56:57], v[2:3], v[26:27], -v[28:29]
	ds_load_b128 v[2:5], v1 offset:1104
	scratch_load_b128 v[26:29], off, off offset:304
	v_add_f64 v[44:45], v[44:45], v[54:55]
	v_add_f64 v[46:47], v[46:47], v[50:51]
	v_fma_f64 v[48:49], v[8:9], v[30:31], v[48:49]
	v_fma_f64 v[54:55], v[6:7], v[30:31], -v[32:33]
	scratch_load_b128 v[30:33], off, off offset:320
	ds_load_b128 v[6:9], v1 offset:1120
	s_waitcnt vmcnt(9) lgkmcnt(1)
	v_mul_f64 v[50:51], v[2:3], v[36:37]
	v_mul_f64 v[36:37], v[4:5], v[36:37]
	v_add_f64 v[44:45], v[44:45], v[56:57]
	v_add_f64 v[46:47], v[46:47], v[52:53]
	s_waitcnt vmcnt(8) lgkmcnt(0)
	v_mul_f64 v[52:53], v[6:7], v[177:178]
	v_mul_f64 v[56:57], v[8:9], v[177:178]
	v_fma_f64 v[50:51], v[4:5], v[34:35], v[50:51]
	v_fma_f64 v[58:59], v[2:3], v[34:35], -v[36:37]
	ds_load_b128 v[2:5], v1 offset:1136
	scratch_load_b128 v[34:37], off, off offset:336
	v_add_f64 v[44:45], v[44:45], v[54:55]
	v_add_f64 v[46:47], v[46:47], v[48:49]
	v_fma_f64 v[52:53], v[8:9], v[175:176], v[52:53]
	v_fma_f64 v[54:55], v[6:7], v[175:176], -v[56:57]
	scratch_load_b128 v[175:178], off, off offset:352
	ds_load_b128 v[6:9], v1 offset:1152
	s_waitcnt vmcnt(9) lgkmcnt(1)
	v_mul_f64 v[48:49], v[2:3], v[40:41]
	v_mul_f64 v[40:41], v[4:5], v[40:41]
	s_waitcnt vmcnt(8) lgkmcnt(0)
	v_mul_f64 v[56:57], v[8:9], v[173:174]
	v_add_f64 v[44:45], v[44:45], v[58:59]
	v_add_f64 v[46:47], v[46:47], v[50:51]
	v_mul_f64 v[50:51], v[6:7], v[173:174]
	v_fma_f64 v[48:49], v[4:5], v[38:39], v[48:49]
	v_fma_f64 v[58:59], v[2:3], v[38:39], -v[40:41]
	ds_load_b128 v[2:5], v1 offset:1168
	scratch_load_b128 v[38:41], off, off offset:368
	v_add_f64 v[44:45], v[44:45], v[54:55]
	v_add_f64 v[46:47], v[46:47], v[52:53]
	v_fma_f64 v[50:51], v[8:9], v[171:172], v[50:51]
	v_fma_f64 v[54:55], v[6:7], v[171:172], -v[56:57]
	scratch_load_b128 v[171:174], off, off offset:384
	ds_load_b128 v[6:9], v1 offset:1184
	s_waitcnt vmcnt(9) lgkmcnt(1)
	v_mul_f64 v[52:53], v[2:3], v[12:13]
	v_mul_f64 v[12:13], v[4:5], v[12:13]
	v_add_f64 v[44:45], v[44:45], v[58:59]
	v_add_f64 v[46:47], v[46:47], v[48:49]
	s_waitcnt vmcnt(8) lgkmcnt(0)
	v_mul_f64 v[48:49], v[6:7], v[16:17]
	v_mul_f64 v[16:17], v[8:9], v[16:17]
	v_fma_f64 v[52:53], v[4:5], v[10:11], v[52:53]
	v_fma_f64 v[56:57], v[2:3], v[10:11], -v[12:13]
	ds_load_b128 v[2:5], v1 offset:1200
	scratch_load_b128 v[10:13], off, off offset:400
	v_add_f64 v[44:45], v[44:45], v[54:55]
	v_add_f64 v[46:47], v[46:47], v[50:51]
	v_fma_f64 v[48:49], v[8:9], v[14:15], v[48:49]
	v_fma_f64 v[54:55], v[6:7], v[14:15], -v[16:17]
	scratch_load_b128 v[14:17], off, off offset:416
	ds_load_b128 v[6:9], v1 offset:1216
	s_waitcnt vmcnt(9) lgkmcnt(1)
	v_mul_f64 v[50:51], v[2:3], v[20:21]
	v_mul_f64 v[20:21], v[4:5], v[20:21]
	v_add_f64 v[44:45], v[44:45], v[56:57]
	v_add_f64 v[46:47], v[46:47], v[52:53]
	s_waitcnt vmcnt(8) lgkmcnt(0)
	v_mul_f64 v[52:53], v[6:7], v[24:25]
	;; [unrolled: 18-line block ×4, first 2 shown]
	v_mul_f64 v[56:57], v[8:9], v[177:178]
	v_fma_f64 v[52:53], v[4:5], v[34:35], v[52:53]
	v_fma_f64 v[58:59], v[2:3], v[34:35], -v[36:37]
	ds_load_b128 v[2:5], v1 offset:1296
	scratch_load_b128 v[34:37], off, off offset:496
	v_add_f64 v[44:45], v[44:45], v[54:55]
	v_add_f64 v[46:47], v[46:47], v[50:51]
	v_fma_f64 v[48:49], v[8:9], v[175:176], v[48:49]
	v_fma_f64 v[54:55], v[6:7], v[175:176], -v[56:57]
	scratch_load_b128 v[175:178], off, off offset:512
	ds_load_b128 v[6:9], v1 offset:1312
	s_waitcnt vmcnt(9) lgkmcnt(1)
	v_mul_f64 v[50:51], v[2:3], v[40:41]
	v_mul_f64 v[40:41], v[4:5], v[40:41]
	s_waitcnt vmcnt(8) lgkmcnt(0)
	v_mul_f64 v[56:57], v[8:9], v[173:174]
	v_add_f64 v[44:45], v[44:45], v[58:59]
	v_add_f64 v[46:47], v[46:47], v[52:53]
	v_mul_f64 v[52:53], v[6:7], v[173:174]
	v_fma_f64 v[50:51], v[4:5], v[38:39], v[50:51]
	v_fma_f64 v[58:59], v[2:3], v[38:39], -v[40:41]
	ds_load_b128 v[2:5], v1 offset:1328
	scratch_load_b128 v[38:41], off, off offset:528
	v_add_f64 v[44:45], v[44:45], v[54:55]
	v_add_f64 v[46:47], v[46:47], v[48:49]
	v_fma_f64 v[52:53], v[8:9], v[171:172], v[52:53]
	v_fma_f64 v[54:55], v[6:7], v[171:172], -v[56:57]
	scratch_load_b128 v[171:174], off, off offset:544
	ds_load_b128 v[6:9], v1 offset:1344
	s_waitcnt vmcnt(9) lgkmcnt(1)
	v_mul_f64 v[48:49], v[2:3], v[12:13]
	v_mul_f64 v[12:13], v[4:5], v[12:13]
	v_add_f64 v[44:45], v[44:45], v[58:59]
	v_add_f64 v[46:47], v[46:47], v[50:51]
	s_waitcnt vmcnt(8) lgkmcnt(0)
	v_mul_f64 v[50:51], v[6:7], v[16:17]
	v_mul_f64 v[16:17], v[8:9], v[16:17]
	v_fma_f64 v[48:49], v[4:5], v[10:11], v[48:49]
	v_fma_f64 v[56:57], v[2:3], v[10:11], -v[12:13]
	ds_load_b128 v[2:5], v1 offset:1360
	scratch_load_b128 v[10:13], off, off offset:560
	v_add_f64 v[44:45], v[44:45], v[54:55]
	v_add_f64 v[46:47], v[46:47], v[52:53]
	v_fma_f64 v[50:51], v[8:9], v[14:15], v[50:51]
	v_fma_f64 v[54:55], v[6:7], v[14:15], -v[16:17]
	scratch_load_b128 v[14:17], off, off offset:576
	ds_load_b128 v[6:9], v1 offset:1376
	s_waitcnt vmcnt(9) lgkmcnt(1)
	v_mul_f64 v[52:53], v[2:3], v[20:21]
	v_mul_f64 v[20:21], v[4:5], v[20:21]
	v_add_f64 v[44:45], v[44:45], v[56:57]
	v_add_f64 v[46:47], v[46:47], v[48:49]
	s_waitcnt vmcnt(8) lgkmcnt(0)
	v_mul_f64 v[48:49], v[6:7], v[24:25]
	;; [unrolled: 18-line block ×4, first 2 shown]
	v_mul_f64 v[56:57], v[8:9], v[177:178]
	v_fma_f64 v[48:49], v[4:5], v[34:35], v[48:49]
	v_fma_f64 v[58:59], v[2:3], v[34:35], -v[36:37]
	ds_load_b128 v[2:5], v1 offset:1456
	scratch_load_b128 v[34:37], off, off offset:656
	v_add_f64 v[44:45], v[44:45], v[54:55]
	v_add_f64 v[46:47], v[46:47], v[52:53]
	v_fma_f64 v[50:51], v[8:9], v[175:176], v[50:51]
	v_fma_f64 v[54:55], v[6:7], v[175:176], -v[56:57]
	scratch_load_b128 v[175:178], off, off offset:672
	ds_load_b128 v[6:9], v1 offset:1472
	s_waitcnt vmcnt(9) lgkmcnt(1)
	v_mul_f64 v[52:53], v[2:3], v[40:41]
	v_mul_f64 v[40:41], v[4:5], v[40:41]
	s_waitcnt vmcnt(8) lgkmcnt(0)
	v_mul_f64 v[56:57], v[8:9], v[173:174]
	v_add_f64 v[44:45], v[44:45], v[58:59]
	v_add_f64 v[46:47], v[46:47], v[48:49]
	v_mul_f64 v[48:49], v[6:7], v[173:174]
	v_fma_f64 v[52:53], v[4:5], v[38:39], v[52:53]
	v_fma_f64 v[58:59], v[2:3], v[38:39], -v[40:41]
	ds_load_b128 v[2:5], v1 offset:1488
	scratch_load_b128 v[38:41], off, off offset:688
	v_add_f64 v[44:45], v[44:45], v[54:55]
	v_add_f64 v[46:47], v[46:47], v[50:51]
	v_fma_f64 v[48:49], v[8:9], v[171:172], v[48:49]
	v_fma_f64 v[54:55], v[6:7], v[171:172], -v[56:57]
	scratch_load_b128 v[171:174], off, off offset:704
	ds_load_b128 v[6:9], v1 offset:1504
	s_waitcnt vmcnt(9) lgkmcnt(1)
	v_mul_f64 v[50:51], v[2:3], v[12:13]
	v_mul_f64 v[12:13], v[4:5], v[12:13]
	v_add_f64 v[44:45], v[44:45], v[58:59]
	v_add_f64 v[46:47], v[46:47], v[52:53]
	s_waitcnt vmcnt(8) lgkmcnt(0)
	v_mul_f64 v[52:53], v[6:7], v[16:17]
	v_mul_f64 v[16:17], v[8:9], v[16:17]
	v_fma_f64 v[50:51], v[4:5], v[10:11], v[50:51]
	v_fma_f64 v[56:57], v[2:3], v[10:11], -v[12:13]
	ds_load_b128 v[2:5], v1 offset:1520
	scratch_load_b128 v[10:13], off, off offset:720
	v_add_f64 v[44:45], v[44:45], v[54:55]
	v_add_f64 v[46:47], v[46:47], v[48:49]
	v_fma_f64 v[52:53], v[8:9], v[14:15], v[52:53]
	v_fma_f64 v[54:55], v[6:7], v[14:15], -v[16:17]
	scratch_load_b128 v[14:17], off, off offset:736
	ds_load_b128 v[6:9], v1 offset:1536
	s_waitcnt vmcnt(9) lgkmcnt(1)
	v_mul_f64 v[48:49], v[2:3], v[20:21]
	v_mul_f64 v[20:21], v[4:5], v[20:21]
	v_add_f64 v[44:45], v[44:45], v[56:57]
	v_add_f64 v[46:47], v[46:47], v[50:51]
	s_waitcnt vmcnt(8) lgkmcnt(0)
	v_mul_f64 v[50:51], v[6:7], v[24:25]
	;; [unrolled: 18-line block ×4, first 2 shown]
	v_mul_f64 v[56:57], v[8:9], v[177:178]
	v_fma_f64 v[50:51], v[4:5], v[34:35], v[50:51]
	v_fma_f64 v[58:59], v[2:3], v[34:35], -v[36:37]
	ds_load_b128 v[2:5], v1 offset:1616
	scratch_load_b128 v[34:37], off, off offset:816
	v_add_f64 v[44:45], v[44:45], v[54:55]
	v_add_f64 v[46:47], v[46:47], v[48:49]
	v_fma_f64 v[52:53], v[8:9], v[175:176], v[52:53]
	v_fma_f64 v[54:55], v[6:7], v[175:176], -v[56:57]
	ds_load_b128 v[6:9], v1 offset:1632
	s_waitcnt vmcnt(8) lgkmcnt(1)
	v_mul_f64 v[48:49], v[2:3], v[40:41]
	v_mul_f64 v[40:41], v[4:5], v[40:41]
	scratch_load_b128 v[175:178], off, off offset:832
	s_waitcnt vmcnt(8) lgkmcnt(0)
	v_mul_f64 v[56:57], v[8:9], v[173:174]
	v_add_f64 v[44:45], v[44:45], v[58:59]
	v_add_f64 v[46:47], v[46:47], v[50:51]
	v_mul_f64 v[50:51], v[6:7], v[173:174]
	v_fma_f64 v[48:49], v[4:5], v[38:39], v[48:49]
	v_fma_f64 v[58:59], v[2:3], v[38:39], -v[40:41]
	scratch_load_b128 v[38:41], off, off offset:848
	ds_load_b128 v[2:5], v1 offset:1648
	v_add_f64 v[44:45], v[44:45], v[54:55]
	v_add_f64 v[46:47], v[46:47], v[52:53]
	v_fma_f64 v[50:51], v[8:9], v[171:172], v[50:51]
	v_fma_f64 v[54:55], v[6:7], v[171:172], -v[56:57]
	ds_load_b128 v[6:9], v1 offset:1664
	s_waitcnt vmcnt(8) lgkmcnt(1)
	v_mul_f64 v[52:53], v[2:3], v[12:13]
	v_mul_f64 v[12:13], v[4:5], v[12:13]
	scratch_load_b128 v[171:174], off, off offset:864
	v_add_f64 v[44:45], v[44:45], v[58:59]
	v_add_f64 v[46:47], v[46:47], v[48:49]
	s_waitcnt vmcnt(8) lgkmcnt(0)
	v_mul_f64 v[48:49], v[6:7], v[16:17]
	v_mul_f64 v[16:17], v[8:9], v[16:17]
	v_fma_f64 v[52:53], v[4:5], v[10:11], v[52:53]
	v_fma_f64 v[56:57], v[2:3], v[10:11], -v[12:13]
	scratch_load_b128 v[10:13], off, off offset:880
	ds_load_b128 v[2:5], v1 offset:1680
	v_add_f64 v[44:45], v[44:45], v[54:55]
	v_add_f64 v[46:47], v[46:47], v[50:51]
	v_fma_f64 v[48:49], v[8:9], v[14:15], v[48:49]
	v_fma_f64 v[54:55], v[6:7], v[14:15], -v[16:17]
	ds_load_b128 v[6:9], v1 offset:1696
	s_waitcnt vmcnt(8) lgkmcnt(1)
	v_mul_f64 v[50:51], v[2:3], v[20:21]
	v_mul_f64 v[20:21], v[4:5], v[20:21]
	scratch_load_b128 v[14:17], off, off offset:896
	v_add_f64 v[44:45], v[44:45], v[56:57]
	v_add_f64 v[46:47], v[46:47], v[52:53]
	s_waitcnt vmcnt(8) lgkmcnt(0)
	v_mul_f64 v[52:53], v[6:7], v[24:25]
	v_mul_f64 v[24:25], v[8:9], v[24:25]
	v_fma_f64 v[50:51], v[4:5], v[18:19], v[50:51]
	v_fma_f64 v[56:57], v[2:3], v[18:19], -v[20:21]
	scratch_load_b128 v[18:21], off, off offset:912
	ds_load_b128 v[2:5], v1 offset:1712
	v_add_f64 v[44:45], v[44:45], v[54:55]
	v_add_f64 v[46:47], v[46:47], v[48:49]
	v_fma_f64 v[52:53], v[8:9], v[22:23], v[52:53]
	v_fma_f64 v[22:23], v[6:7], v[22:23], -v[24:25]
	ds_load_b128 v[6:9], v1 offset:1728
	s_waitcnt vmcnt(8) lgkmcnt(1)
	v_mul_f64 v[48:49], v[2:3], v[28:29]
	v_mul_f64 v[28:29], v[4:5], v[28:29]
	v_add_f64 v[24:25], v[44:45], v[56:57]
	v_add_f64 v[44:45], v[46:47], v[50:51]
	s_waitcnt vmcnt(7) lgkmcnt(0)
	v_mul_f64 v[46:47], v[6:7], v[32:33]
	v_mul_f64 v[32:33], v[8:9], v[32:33]
	v_fma_f64 v[48:49], v[4:5], v[26:27], v[48:49]
	v_fma_f64 v[26:27], v[2:3], v[26:27], -v[28:29]
	ds_load_b128 v[2:5], v1 offset:1744
	v_add_f64 v[22:23], v[24:25], v[22:23]
	v_add_f64 v[24:25], v[44:45], v[52:53]
	v_fma_f64 v[44:45], v[8:9], v[30:31], v[46:47]
	v_fma_f64 v[30:31], v[6:7], v[30:31], -v[32:33]
	ds_load_b128 v[6:9], v1 offset:1760
	s_waitcnt vmcnt(5) lgkmcnt(0)
	v_mul_f64 v[46:47], v[6:7], v[177:178]
	v_add_f64 v[26:27], v[22:23], v[26:27]
	v_add_f64 v[32:33], v[24:25], v[48:49]
	scratch_load_b128 v[22:25], off, off offset:32
	v_mul_f64 v[28:29], v[2:3], v[36:37]
	v_mul_f64 v[36:37], v[4:5], v[36:37]
	;; [unrolled: 1-line block ×3, first 2 shown]
	v_add_f64 v[26:27], v[26:27], v[30:31]
	v_add_f64 v[30:31], v[32:33], v[44:45]
	v_fma_f64 v[28:29], v[4:5], v[34:35], v[28:29]
	v_fma_f64 v[34:35], v[2:3], v[34:35], -v[36:37]
	ds_load_b128 v[2:5], v1 offset:1776
	v_fma_f64 v[44:45], v[6:7], v[175:176], -v[48:49]
	s_waitcnt vmcnt(5) lgkmcnt(0)
	v_mul_f64 v[32:33], v[2:3], v[40:41]
	v_mul_f64 v[36:37], v[4:5], v[40:41]
	v_fma_f64 v[40:41], v[8:9], v[175:176], v[46:47]
	ds_load_b128 v[6:9], v1 offset:1792
	v_add_f64 v[28:29], v[30:31], v[28:29]
	v_add_f64 v[26:27], v[26:27], v[34:35]
	v_fma_f64 v[32:33], v[4:5], v[38:39], v[32:33]
	v_fma_f64 v[36:37], v[2:3], v[38:39], -v[36:37]
	ds_load_b128 v[2:5], v1 offset:1808
	s_waitcnt vmcnt(4) lgkmcnt(1)
	v_mul_f64 v[30:31], v[6:7], v[173:174]
	v_mul_f64 v[34:35], v[8:9], v[173:174]
	v_add_f64 v[28:29], v[28:29], v[40:41]
	v_add_f64 v[26:27], v[26:27], v[44:45]
	s_waitcnt vmcnt(3) lgkmcnt(0)
	v_mul_f64 v[38:39], v[2:3], v[12:13]
	v_mul_f64 v[12:13], v[4:5], v[12:13]
	v_fma_f64 v[30:31], v[8:9], v[171:172], v[30:31]
	v_fma_f64 v[34:35], v[6:7], v[171:172], -v[34:35]
	ds_load_b128 v[6:9], v1 offset:1824
	v_add_f64 v[28:29], v[28:29], v[32:33]
	v_add_f64 v[26:27], v[26:27], v[36:37]
	v_fma_f64 v[36:37], v[4:5], v[10:11], v[38:39]
	v_fma_f64 v[10:11], v[2:3], v[10:11], -v[12:13]
	ds_load_b128 v[2:5], v1 offset:1840
	s_waitcnt vmcnt(2) lgkmcnt(1)
	v_mul_f64 v[32:33], v[6:7], v[16:17]
	v_mul_f64 v[16:17], v[8:9], v[16:17]
	v_add_f64 v[12:13], v[26:27], v[34:35]
	v_add_f64 v[26:27], v[28:29], v[30:31]
	s_waitcnt vmcnt(1) lgkmcnt(0)
	v_mul_f64 v[28:29], v[2:3], v[20:21]
	v_mul_f64 v[20:21], v[4:5], v[20:21]
	v_fma_f64 v[8:9], v[8:9], v[14:15], v[32:33]
	v_fma_f64 v[6:7], v[6:7], v[14:15], -v[16:17]
	v_add_f64 v[10:11], v[12:13], v[10:11]
	v_add_f64 v[12:13], v[26:27], v[36:37]
	v_fma_f64 v[4:5], v[4:5], v[18:19], v[28:29]
	v_fma_f64 v[2:3], v[2:3], v[18:19], -v[20:21]
	s_delay_alu instid0(VALU_DEP_4) | instskip(NEXT) | instid1(VALU_DEP_4)
	v_add_f64 v[6:7], v[10:11], v[6:7]
	v_add_f64 v[8:9], v[12:13], v[8:9]
	s_delay_alu instid0(VALU_DEP_2) | instskip(NEXT) | instid1(VALU_DEP_2)
	v_add_f64 v[2:3], v[6:7], v[2:3]
	v_add_f64 v[4:5], v[8:9], v[4:5]
	s_waitcnt vmcnt(0)
	s_delay_alu instid0(VALU_DEP_2) | instskip(NEXT) | instid1(VALU_DEP_2)
	v_add_f64 v[2:3], v[22:23], -v[2:3]
	v_add_f64 v[4:5], v[24:25], -v[4:5]
	scratch_store_b128 off, v[2:5], off offset:32
	v_cmpx_lt_u32_e32 1, v158
	s_cbranch_execz .LBB121_359
; %bb.358:
	scratch_load_b128 v[5:8], v215, off
	v_mov_b32_e32 v2, v1
	v_mov_b32_e32 v3, v1
	;; [unrolled: 1-line block ×3, first 2 shown]
	scratch_store_b128 off, v[1:4], off offset:16
	s_waitcnt vmcnt(0)
	ds_store_b128 v216, v[5:8]
.LBB121_359:
	s_or_b32 exec_lo, exec_lo, s2
	s_waitcnt lgkmcnt(0)
	s_waitcnt_vscnt null, 0x0
	s_barrier
	buffer_gl0_inv
	s_clause 0x7
	scratch_load_b128 v[2:5], off, off offset:32
	scratch_load_b128 v[6:9], off, off offset:48
	;; [unrolled: 1-line block ×8, first 2 shown]
	ds_load_b128 v[38:41], v1 offset:960
	ds_load_b128 v[171:174], v1 offset:976
	s_clause 0x1
	scratch_load_b128 v[34:37], off, off offset:160
	scratch_load_b128 v[175:178], off, off offset:176
	s_mov_b32 s2, exec_lo
	s_waitcnt vmcnt(9) lgkmcnt(1)
	v_mul_f64 v[44:45], v[40:41], v[4:5]
	v_mul_f64 v[4:5], v[38:39], v[4:5]
	s_waitcnt vmcnt(8) lgkmcnt(0)
	v_mul_f64 v[46:47], v[171:172], v[8:9]
	v_mul_f64 v[8:9], v[173:174], v[8:9]
	s_delay_alu instid0(VALU_DEP_4) | instskip(NEXT) | instid1(VALU_DEP_4)
	v_fma_f64 v[44:45], v[38:39], v[2:3], -v[44:45]
	v_fma_f64 v[48:49], v[40:41], v[2:3], v[4:5]
	ds_load_b128 v[2:5], v1 offset:992
	scratch_load_b128 v[38:41], off, off offset:192
	v_fma_f64 v[46:47], v[173:174], v[6:7], v[46:47]
	v_fma_f64 v[52:53], v[171:172], v[6:7], -v[8:9]
	scratch_load_b128 v[171:174], off, off offset:208
	ds_load_b128 v[6:9], v1 offset:1008
	s_waitcnt vmcnt(9) lgkmcnt(1)
	v_mul_f64 v[50:51], v[2:3], v[12:13]
	v_mul_f64 v[12:13], v[4:5], v[12:13]
	s_waitcnt vmcnt(8) lgkmcnt(0)
	v_mul_f64 v[54:55], v[6:7], v[16:17]
	v_mul_f64 v[16:17], v[8:9], v[16:17]
	v_add_f64 v[44:45], v[44:45], 0
	v_add_f64 v[48:49], v[48:49], 0
	v_fma_f64 v[50:51], v[4:5], v[10:11], v[50:51]
	v_fma_f64 v[56:57], v[2:3], v[10:11], -v[12:13]
	ds_load_b128 v[2:5], v1 offset:1024
	scratch_load_b128 v[10:13], off, off offset:224
	v_add_f64 v[44:45], v[44:45], v[52:53]
	v_add_f64 v[46:47], v[48:49], v[46:47]
	v_fma_f64 v[52:53], v[8:9], v[14:15], v[54:55]
	v_fma_f64 v[54:55], v[6:7], v[14:15], -v[16:17]
	scratch_load_b128 v[14:17], off, off offset:240
	ds_load_b128 v[6:9], v1 offset:1040
	s_waitcnt vmcnt(9) lgkmcnt(1)
	v_mul_f64 v[48:49], v[2:3], v[20:21]
	v_mul_f64 v[20:21], v[4:5], v[20:21]
	v_add_f64 v[44:45], v[44:45], v[56:57]
	v_add_f64 v[46:47], v[46:47], v[50:51]
	s_waitcnt vmcnt(8) lgkmcnt(0)
	v_mul_f64 v[50:51], v[6:7], v[24:25]
	v_mul_f64 v[24:25], v[8:9], v[24:25]
	v_fma_f64 v[48:49], v[4:5], v[18:19], v[48:49]
	v_fma_f64 v[56:57], v[2:3], v[18:19], -v[20:21]
	ds_load_b128 v[2:5], v1 offset:1056
	scratch_load_b128 v[18:21], off, off offset:256
	v_add_f64 v[44:45], v[44:45], v[54:55]
	v_add_f64 v[46:47], v[46:47], v[52:53]
	v_fma_f64 v[50:51], v[8:9], v[22:23], v[50:51]
	v_fma_f64 v[54:55], v[6:7], v[22:23], -v[24:25]
	scratch_load_b128 v[22:25], off, off offset:272
	ds_load_b128 v[6:9], v1 offset:1072
	s_waitcnt vmcnt(9) lgkmcnt(1)
	v_mul_f64 v[52:53], v[2:3], v[28:29]
	v_mul_f64 v[28:29], v[4:5], v[28:29]
	v_add_f64 v[44:45], v[44:45], v[56:57]
	v_add_f64 v[46:47], v[46:47], v[48:49]
	s_waitcnt vmcnt(8) lgkmcnt(0)
	v_mul_f64 v[48:49], v[6:7], v[32:33]
	v_mul_f64 v[32:33], v[8:9], v[32:33]
	;; [unrolled: 18-line block ×3, first 2 shown]
	v_fma_f64 v[50:51], v[4:5], v[34:35], v[50:51]
	v_fma_f64 v[58:59], v[2:3], v[34:35], -v[36:37]
	ds_load_b128 v[2:5], v1 offset:1120
	scratch_load_b128 v[34:37], off, off offset:320
	v_add_f64 v[44:45], v[44:45], v[54:55]
	v_add_f64 v[46:47], v[46:47], v[48:49]
	v_fma_f64 v[52:53], v[8:9], v[175:176], v[52:53]
	v_fma_f64 v[54:55], v[6:7], v[175:176], -v[56:57]
	scratch_load_b128 v[175:178], off, off offset:336
	ds_load_b128 v[6:9], v1 offset:1136
	s_waitcnt vmcnt(9) lgkmcnt(1)
	v_mul_f64 v[48:49], v[2:3], v[40:41]
	v_mul_f64 v[40:41], v[4:5], v[40:41]
	s_waitcnt vmcnt(8) lgkmcnt(0)
	v_mul_f64 v[56:57], v[8:9], v[173:174]
	v_add_f64 v[44:45], v[44:45], v[58:59]
	v_add_f64 v[46:47], v[46:47], v[50:51]
	v_mul_f64 v[50:51], v[6:7], v[173:174]
	v_fma_f64 v[48:49], v[4:5], v[38:39], v[48:49]
	v_fma_f64 v[58:59], v[2:3], v[38:39], -v[40:41]
	ds_load_b128 v[2:5], v1 offset:1152
	scratch_load_b128 v[38:41], off, off offset:352
	v_add_f64 v[44:45], v[44:45], v[54:55]
	v_add_f64 v[46:47], v[46:47], v[52:53]
	v_fma_f64 v[50:51], v[8:9], v[171:172], v[50:51]
	v_fma_f64 v[54:55], v[6:7], v[171:172], -v[56:57]
	scratch_load_b128 v[171:174], off, off offset:368
	ds_load_b128 v[6:9], v1 offset:1168
	s_waitcnt vmcnt(9) lgkmcnt(1)
	v_mul_f64 v[52:53], v[2:3], v[12:13]
	v_mul_f64 v[12:13], v[4:5], v[12:13]
	v_add_f64 v[44:45], v[44:45], v[58:59]
	v_add_f64 v[46:47], v[46:47], v[48:49]
	s_waitcnt vmcnt(8) lgkmcnt(0)
	v_mul_f64 v[48:49], v[6:7], v[16:17]
	v_mul_f64 v[16:17], v[8:9], v[16:17]
	v_fma_f64 v[52:53], v[4:5], v[10:11], v[52:53]
	v_fma_f64 v[56:57], v[2:3], v[10:11], -v[12:13]
	ds_load_b128 v[2:5], v1 offset:1184
	scratch_load_b128 v[10:13], off, off offset:384
	v_add_f64 v[44:45], v[44:45], v[54:55]
	v_add_f64 v[46:47], v[46:47], v[50:51]
	v_fma_f64 v[48:49], v[8:9], v[14:15], v[48:49]
	v_fma_f64 v[54:55], v[6:7], v[14:15], -v[16:17]
	scratch_load_b128 v[14:17], off, off offset:400
	ds_load_b128 v[6:9], v1 offset:1200
	s_waitcnt vmcnt(9) lgkmcnt(1)
	v_mul_f64 v[50:51], v[2:3], v[20:21]
	v_mul_f64 v[20:21], v[4:5], v[20:21]
	v_add_f64 v[44:45], v[44:45], v[56:57]
	v_add_f64 v[46:47], v[46:47], v[52:53]
	s_waitcnt vmcnt(8) lgkmcnt(0)
	v_mul_f64 v[52:53], v[6:7], v[24:25]
	;; [unrolled: 18-line block ×4, first 2 shown]
	v_mul_f64 v[56:57], v[8:9], v[177:178]
	v_fma_f64 v[52:53], v[4:5], v[34:35], v[52:53]
	v_fma_f64 v[58:59], v[2:3], v[34:35], -v[36:37]
	ds_load_b128 v[2:5], v1 offset:1280
	scratch_load_b128 v[34:37], off, off offset:480
	v_add_f64 v[44:45], v[44:45], v[54:55]
	v_add_f64 v[46:47], v[46:47], v[50:51]
	v_fma_f64 v[48:49], v[8:9], v[175:176], v[48:49]
	v_fma_f64 v[54:55], v[6:7], v[175:176], -v[56:57]
	scratch_load_b128 v[175:178], off, off offset:496
	ds_load_b128 v[6:9], v1 offset:1296
	s_waitcnt vmcnt(9) lgkmcnt(1)
	v_mul_f64 v[50:51], v[2:3], v[40:41]
	v_mul_f64 v[40:41], v[4:5], v[40:41]
	s_waitcnt vmcnt(8) lgkmcnt(0)
	v_mul_f64 v[56:57], v[8:9], v[173:174]
	v_add_f64 v[44:45], v[44:45], v[58:59]
	v_add_f64 v[46:47], v[46:47], v[52:53]
	v_mul_f64 v[52:53], v[6:7], v[173:174]
	v_fma_f64 v[50:51], v[4:5], v[38:39], v[50:51]
	v_fma_f64 v[58:59], v[2:3], v[38:39], -v[40:41]
	ds_load_b128 v[2:5], v1 offset:1312
	scratch_load_b128 v[38:41], off, off offset:512
	v_add_f64 v[44:45], v[44:45], v[54:55]
	v_add_f64 v[46:47], v[46:47], v[48:49]
	v_fma_f64 v[52:53], v[8:9], v[171:172], v[52:53]
	v_fma_f64 v[54:55], v[6:7], v[171:172], -v[56:57]
	scratch_load_b128 v[171:174], off, off offset:528
	ds_load_b128 v[6:9], v1 offset:1328
	s_waitcnt vmcnt(9) lgkmcnt(1)
	v_mul_f64 v[48:49], v[2:3], v[12:13]
	v_mul_f64 v[12:13], v[4:5], v[12:13]
	v_add_f64 v[44:45], v[44:45], v[58:59]
	v_add_f64 v[46:47], v[46:47], v[50:51]
	s_waitcnt vmcnt(8) lgkmcnt(0)
	v_mul_f64 v[50:51], v[6:7], v[16:17]
	v_mul_f64 v[16:17], v[8:9], v[16:17]
	v_fma_f64 v[48:49], v[4:5], v[10:11], v[48:49]
	v_fma_f64 v[56:57], v[2:3], v[10:11], -v[12:13]
	ds_load_b128 v[2:5], v1 offset:1344
	scratch_load_b128 v[10:13], off, off offset:544
	v_add_f64 v[44:45], v[44:45], v[54:55]
	v_add_f64 v[46:47], v[46:47], v[52:53]
	v_fma_f64 v[50:51], v[8:9], v[14:15], v[50:51]
	v_fma_f64 v[54:55], v[6:7], v[14:15], -v[16:17]
	scratch_load_b128 v[14:17], off, off offset:560
	ds_load_b128 v[6:9], v1 offset:1360
	s_waitcnt vmcnt(9) lgkmcnt(1)
	v_mul_f64 v[52:53], v[2:3], v[20:21]
	v_mul_f64 v[20:21], v[4:5], v[20:21]
	v_add_f64 v[44:45], v[44:45], v[56:57]
	v_add_f64 v[46:47], v[46:47], v[48:49]
	s_waitcnt vmcnt(8) lgkmcnt(0)
	v_mul_f64 v[48:49], v[6:7], v[24:25]
	;; [unrolled: 18-line block ×4, first 2 shown]
	v_mul_f64 v[56:57], v[8:9], v[177:178]
	v_fma_f64 v[48:49], v[4:5], v[34:35], v[48:49]
	v_fma_f64 v[58:59], v[2:3], v[34:35], -v[36:37]
	ds_load_b128 v[2:5], v1 offset:1440
	scratch_load_b128 v[34:37], off, off offset:640
	v_add_f64 v[44:45], v[44:45], v[54:55]
	v_add_f64 v[46:47], v[46:47], v[52:53]
	v_fma_f64 v[50:51], v[8:9], v[175:176], v[50:51]
	v_fma_f64 v[54:55], v[6:7], v[175:176], -v[56:57]
	scratch_load_b128 v[175:178], off, off offset:656
	ds_load_b128 v[6:9], v1 offset:1456
	s_waitcnt vmcnt(9) lgkmcnt(1)
	v_mul_f64 v[52:53], v[2:3], v[40:41]
	v_mul_f64 v[40:41], v[4:5], v[40:41]
	s_waitcnt vmcnt(8) lgkmcnt(0)
	v_mul_f64 v[56:57], v[8:9], v[173:174]
	v_add_f64 v[44:45], v[44:45], v[58:59]
	v_add_f64 v[46:47], v[46:47], v[48:49]
	v_mul_f64 v[48:49], v[6:7], v[173:174]
	v_fma_f64 v[52:53], v[4:5], v[38:39], v[52:53]
	v_fma_f64 v[58:59], v[2:3], v[38:39], -v[40:41]
	ds_load_b128 v[2:5], v1 offset:1472
	scratch_load_b128 v[38:41], off, off offset:672
	v_add_f64 v[44:45], v[44:45], v[54:55]
	v_add_f64 v[46:47], v[46:47], v[50:51]
	v_fma_f64 v[48:49], v[8:9], v[171:172], v[48:49]
	v_fma_f64 v[54:55], v[6:7], v[171:172], -v[56:57]
	scratch_load_b128 v[171:174], off, off offset:688
	ds_load_b128 v[6:9], v1 offset:1488
	s_waitcnt vmcnt(9) lgkmcnt(1)
	v_mul_f64 v[50:51], v[2:3], v[12:13]
	v_mul_f64 v[12:13], v[4:5], v[12:13]
	v_add_f64 v[44:45], v[44:45], v[58:59]
	v_add_f64 v[46:47], v[46:47], v[52:53]
	s_waitcnt vmcnt(8) lgkmcnt(0)
	v_mul_f64 v[52:53], v[6:7], v[16:17]
	v_mul_f64 v[16:17], v[8:9], v[16:17]
	v_fma_f64 v[50:51], v[4:5], v[10:11], v[50:51]
	v_fma_f64 v[56:57], v[2:3], v[10:11], -v[12:13]
	ds_load_b128 v[2:5], v1 offset:1504
	scratch_load_b128 v[10:13], off, off offset:704
	v_add_f64 v[44:45], v[44:45], v[54:55]
	v_add_f64 v[46:47], v[46:47], v[48:49]
	v_fma_f64 v[52:53], v[8:9], v[14:15], v[52:53]
	v_fma_f64 v[54:55], v[6:7], v[14:15], -v[16:17]
	scratch_load_b128 v[14:17], off, off offset:720
	ds_load_b128 v[6:9], v1 offset:1520
	s_waitcnt vmcnt(9) lgkmcnt(1)
	v_mul_f64 v[48:49], v[2:3], v[20:21]
	v_mul_f64 v[20:21], v[4:5], v[20:21]
	v_add_f64 v[44:45], v[44:45], v[56:57]
	v_add_f64 v[46:47], v[46:47], v[50:51]
	s_waitcnt vmcnt(8) lgkmcnt(0)
	v_mul_f64 v[50:51], v[6:7], v[24:25]
	;; [unrolled: 18-line block ×4, first 2 shown]
	v_mul_f64 v[56:57], v[8:9], v[177:178]
	v_fma_f64 v[50:51], v[4:5], v[34:35], v[50:51]
	v_fma_f64 v[58:59], v[2:3], v[34:35], -v[36:37]
	ds_load_b128 v[2:5], v1 offset:1600
	scratch_load_b128 v[34:37], off, off offset:800
	v_add_f64 v[44:45], v[44:45], v[54:55]
	v_add_f64 v[46:47], v[46:47], v[48:49]
	v_fma_f64 v[52:53], v[8:9], v[175:176], v[52:53]
	v_fma_f64 v[54:55], v[6:7], v[175:176], -v[56:57]
	ds_load_b128 v[6:9], v1 offset:1616
	s_waitcnt vmcnt(8) lgkmcnt(1)
	v_mul_f64 v[48:49], v[2:3], v[40:41]
	v_mul_f64 v[40:41], v[4:5], v[40:41]
	scratch_load_b128 v[175:178], off, off offset:816
	s_waitcnt vmcnt(8) lgkmcnt(0)
	v_mul_f64 v[56:57], v[8:9], v[173:174]
	v_add_f64 v[44:45], v[44:45], v[58:59]
	v_add_f64 v[46:47], v[46:47], v[50:51]
	v_mul_f64 v[50:51], v[6:7], v[173:174]
	v_fma_f64 v[48:49], v[4:5], v[38:39], v[48:49]
	v_fma_f64 v[58:59], v[2:3], v[38:39], -v[40:41]
	ds_load_b128 v[2:5], v1 offset:1632
	scratch_load_b128 v[38:41], off, off offset:832
	v_add_f64 v[44:45], v[44:45], v[54:55]
	v_add_f64 v[46:47], v[46:47], v[52:53]
	v_fma_f64 v[50:51], v[8:9], v[171:172], v[50:51]
	v_fma_f64 v[54:55], v[6:7], v[171:172], -v[56:57]
	ds_load_b128 v[6:9], v1 offset:1648
	s_waitcnt vmcnt(8) lgkmcnt(1)
	v_mul_f64 v[52:53], v[2:3], v[12:13]
	v_mul_f64 v[12:13], v[4:5], v[12:13]
	scratch_load_b128 v[171:174], off, off offset:848
	v_add_f64 v[44:45], v[44:45], v[58:59]
	v_add_f64 v[46:47], v[46:47], v[48:49]
	s_waitcnt vmcnt(8) lgkmcnt(0)
	v_mul_f64 v[48:49], v[6:7], v[16:17]
	v_mul_f64 v[16:17], v[8:9], v[16:17]
	v_fma_f64 v[52:53], v[4:5], v[10:11], v[52:53]
	v_fma_f64 v[56:57], v[2:3], v[10:11], -v[12:13]
	scratch_load_b128 v[10:13], off, off offset:864
	ds_load_b128 v[2:5], v1 offset:1664
	v_add_f64 v[44:45], v[44:45], v[54:55]
	v_add_f64 v[46:47], v[46:47], v[50:51]
	v_fma_f64 v[48:49], v[8:9], v[14:15], v[48:49]
	v_fma_f64 v[54:55], v[6:7], v[14:15], -v[16:17]
	ds_load_b128 v[6:9], v1 offset:1680
	s_waitcnt vmcnt(8) lgkmcnt(1)
	v_mul_f64 v[50:51], v[2:3], v[20:21]
	v_mul_f64 v[20:21], v[4:5], v[20:21]
	scratch_load_b128 v[14:17], off, off offset:880
	v_add_f64 v[44:45], v[44:45], v[56:57]
	v_add_f64 v[46:47], v[46:47], v[52:53]
	s_waitcnt vmcnt(8) lgkmcnt(0)
	v_mul_f64 v[52:53], v[6:7], v[24:25]
	v_mul_f64 v[24:25], v[8:9], v[24:25]
	v_fma_f64 v[50:51], v[4:5], v[18:19], v[50:51]
	v_fma_f64 v[56:57], v[2:3], v[18:19], -v[20:21]
	scratch_load_b128 v[18:21], off, off offset:896
	ds_load_b128 v[2:5], v1 offset:1696
	v_add_f64 v[44:45], v[44:45], v[54:55]
	v_add_f64 v[46:47], v[46:47], v[48:49]
	v_fma_f64 v[52:53], v[8:9], v[22:23], v[52:53]
	v_fma_f64 v[54:55], v[6:7], v[22:23], -v[24:25]
	ds_load_b128 v[6:9], v1 offset:1712
	s_waitcnt vmcnt(8) lgkmcnt(1)
	v_mul_f64 v[48:49], v[2:3], v[28:29]
	v_mul_f64 v[28:29], v[4:5], v[28:29]
	scratch_load_b128 v[22:25], off, off offset:912
	v_add_f64 v[44:45], v[44:45], v[56:57]
	v_add_f64 v[46:47], v[46:47], v[50:51]
	s_waitcnt vmcnt(8) lgkmcnt(0)
	v_mul_f64 v[50:51], v[6:7], v[32:33]
	v_mul_f64 v[32:33], v[8:9], v[32:33]
	v_fma_f64 v[48:49], v[4:5], v[26:27], v[48:49]
	v_fma_f64 v[26:27], v[2:3], v[26:27], -v[28:29]
	ds_load_b128 v[2:5], v1 offset:1728
	v_add_f64 v[28:29], v[44:45], v[54:55]
	v_add_f64 v[44:45], v[46:47], v[52:53]
	v_fma_f64 v[50:51], v[8:9], v[30:31], v[50:51]
	v_fma_f64 v[30:31], v[6:7], v[30:31], -v[32:33]
	ds_load_b128 v[6:9], v1 offset:1744
	s_waitcnt vmcnt(7) lgkmcnt(1)
	v_mul_f64 v[46:47], v[2:3], v[36:37]
	v_mul_f64 v[36:37], v[4:5], v[36:37]
	v_add_f64 v[26:27], v[28:29], v[26:27]
	v_add_f64 v[28:29], v[44:45], v[48:49]
	s_delay_alu instid0(VALU_DEP_4) | instskip(NEXT) | instid1(VALU_DEP_4)
	v_fma_f64 v[46:47], v[4:5], v[34:35], v[46:47]
	v_fma_f64 v[34:35], v[2:3], v[34:35], -v[36:37]
	ds_load_b128 v[2:5], v1 offset:1760
	v_add_f64 v[30:31], v[26:27], v[30:31]
	v_add_f64 v[36:37], v[28:29], v[50:51]
	scratch_load_b128 v[26:29], off, off offset:16
	s_waitcnt vmcnt(7) lgkmcnt(1)
	v_mul_f64 v[32:33], v[6:7], v[177:178]
	v_mul_f64 v[44:45], v[8:9], v[177:178]
	v_add_f64 v[30:31], v[30:31], v[34:35]
	v_add_f64 v[34:35], v[36:37], v[46:47]
	s_delay_alu instid0(VALU_DEP_4) | instskip(NEXT) | instid1(VALU_DEP_4)
	v_fma_f64 v[32:33], v[8:9], v[175:176], v[32:33]
	v_fma_f64 v[44:45], v[6:7], v[175:176], -v[44:45]
	ds_load_b128 v[6:9], v1 offset:1776
	s_waitcnt vmcnt(6) lgkmcnt(1)
	v_mul_f64 v[48:49], v[2:3], v[40:41]
	v_mul_f64 v[40:41], v[4:5], v[40:41]
	s_waitcnt vmcnt(5) lgkmcnt(0)
	v_mul_f64 v[36:37], v[6:7], v[173:174]
	v_mul_f64 v[46:47], v[8:9], v[173:174]
	v_add_f64 v[32:33], v[34:35], v[32:33]
	v_add_f64 v[30:31], v[30:31], v[44:45]
	v_fma_f64 v[48:49], v[4:5], v[38:39], v[48:49]
	v_fma_f64 v[38:39], v[2:3], v[38:39], -v[40:41]
	ds_load_b128 v[2:5], v1 offset:1792
	v_fma_f64 v[36:37], v[8:9], v[171:172], v[36:37]
	v_fma_f64 v[40:41], v[6:7], v[171:172], -v[46:47]
	ds_load_b128 v[6:9], v1 offset:1808
	s_waitcnt vmcnt(4) lgkmcnt(1)
	v_mul_f64 v[34:35], v[2:3], v[12:13]
	v_mul_f64 v[12:13], v[4:5], v[12:13]
	v_add_f64 v[32:33], v[32:33], v[48:49]
	v_add_f64 v[30:31], v[30:31], v[38:39]
	s_waitcnt vmcnt(3) lgkmcnt(0)
	v_mul_f64 v[38:39], v[6:7], v[16:17]
	v_mul_f64 v[16:17], v[8:9], v[16:17]
	v_fma_f64 v[34:35], v[4:5], v[10:11], v[34:35]
	v_fma_f64 v[10:11], v[2:3], v[10:11], -v[12:13]
	ds_load_b128 v[2:5], v1 offset:1824
	v_add_f64 v[12:13], v[30:31], v[40:41]
	v_add_f64 v[30:31], v[32:33], v[36:37]
	v_fma_f64 v[36:37], v[8:9], v[14:15], v[38:39]
	v_fma_f64 v[14:15], v[6:7], v[14:15], -v[16:17]
	ds_load_b128 v[6:9], v1 offset:1840
	s_waitcnt vmcnt(2) lgkmcnt(1)
	v_mul_f64 v[32:33], v[2:3], v[20:21]
	v_mul_f64 v[20:21], v[4:5], v[20:21]
	s_waitcnt vmcnt(1) lgkmcnt(0)
	v_mul_f64 v[16:17], v[6:7], v[24:25]
	v_mul_f64 v[24:25], v[8:9], v[24:25]
	v_add_f64 v[10:11], v[12:13], v[10:11]
	v_add_f64 v[12:13], v[30:31], v[34:35]
	v_fma_f64 v[4:5], v[4:5], v[18:19], v[32:33]
	v_fma_f64 v[1:2], v[2:3], v[18:19], -v[20:21]
	v_fma_f64 v[8:9], v[8:9], v[22:23], v[16:17]
	v_fma_f64 v[6:7], v[6:7], v[22:23], -v[24:25]
	v_add_f64 v[10:11], v[10:11], v[14:15]
	v_add_f64 v[12:13], v[12:13], v[36:37]
	s_delay_alu instid0(VALU_DEP_2) | instskip(NEXT) | instid1(VALU_DEP_2)
	v_add_f64 v[1:2], v[10:11], v[1:2]
	v_add_f64 v[3:4], v[12:13], v[4:5]
	s_delay_alu instid0(VALU_DEP_2) | instskip(NEXT) | instid1(VALU_DEP_2)
	v_add_f64 v[1:2], v[1:2], v[6:7]
	v_add_f64 v[3:4], v[3:4], v[8:9]
	s_waitcnt vmcnt(0)
	s_delay_alu instid0(VALU_DEP_2) | instskip(NEXT) | instid1(VALU_DEP_2)
	v_add_f64 v[1:2], v[26:27], -v[1:2]
	v_add_f64 v[3:4], v[28:29], -v[3:4]
	scratch_store_b128 off, v[1:4], off offset:16
	v_cmpx_ne_u32_e32 0, v158
	s_cbranch_execz .LBB121_361
; %bb.360:
	scratch_load_b128 v[1:4], off, off
	v_mov_b32_e32 v5, 0
	s_delay_alu instid0(VALU_DEP_1)
	v_mov_b32_e32 v6, v5
	v_mov_b32_e32 v7, v5
	;; [unrolled: 1-line block ×3, first 2 shown]
	scratch_store_b128 off, v[5:8], off
	s_waitcnt vmcnt(0)
	ds_store_b128 v216, v[1:4]
.LBB121_361:
	s_or_b32 exec_lo, exec_lo, s2
	s_waitcnt lgkmcnt(0)
	s_waitcnt_vscnt null, 0x0
	s_barrier
	buffer_gl0_inv
	s_clause 0x7
	scratch_load_b128 v[1:4], off, off offset:16
	scratch_load_b128 v[5:8], off, off offset:32
	;; [unrolled: 1-line block ×8, first 2 shown]
	v_mov_b32_e32 v41, 0
	s_clause 0x1
	scratch_load_b128 v[33:36], off, off offset:144
	scratch_load_b128 v[175:178], off, off offset:160
	s_and_b32 vcc_lo, exec_lo, s14
	ds_load_b128 v[37:40], v41 offset:944
	ds_load_b128 v[171:174], v41 offset:960
	s_waitcnt vmcnt(9) lgkmcnt(1)
	v_mul_f64 v[44:45], v[39:40], v[3:4]
	v_mul_f64 v[3:4], v[37:38], v[3:4]
	s_waitcnt vmcnt(8) lgkmcnt(0)
	v_mul_f64 v[46:47], v[171:172], v[7:8]
	v_mul_f64 v[7:8], v[173:174], v[7:8]
	s_delay_alu instid0(VALU_DEP_4) | instskip(NEXT) | instid1(VALU_DEP_4)
	v_fma_f64 v[44:45], v[37:38], v[1:2], -v[44:45]
	v_fma_f64 v[48:49], v[39:40], v[1:2], v[3:4]
	ds_load_b128 v[1:4], v41 offset:976
	scratch_load_b128 v[37:40], off, off offset:176
	v_fma_f64 v[46:47], v[173:174], v[5:6], v[46:47]
	v_fma_f64 v[52:53], v[171:172], v[5:6], -v[7:8]
	scratch_load_b128 v[171:174], off, off offset:192
	ds_load_b128 v[5:8], v41 offset:992
	s_waitcnt vmcnt(9) lgkmcnt(1)
	v_mul_f64 v[50:51], v[1:2], v[11:12]
	v_mul_f64 v[11:12], v[3:4], v[11:12]
	s_waitcnt vmcnt(8) lgkmcnt(0)
	v_mul_f64 v[54:55], v[5:6], v[15:16]
	v_mul_f64 v[15:16], v[7:8], v[15:16]
	v_add_f64 v[44:45], v[44:45], 0
	v_add_f64 v[48:49], v[48:49], 0
	v_fma_f64 v[50:51], v[3:4], v[9:10], v[50:51]
	v_fma_f64 v[56:57], v[1:2], v[9:10], -v[11:12]
	ds_load_b128 v[1:4], v41 offset:1008
	scratch_load_b128 v[9:12], off, off offset:208
	v_add_f64 v[44:45], v[44:45], v[52:53]
	v_add_f64 v[46:47], v[48:49], v[46:47]
	v_fma_f64 v[52:53], v[7:8], v[13:14], v[54:55]
	v_fma_f64 v[54:55], v[5:6], v[13:14], -v[15:16]
	scratch_load_b128 v[13:16], off, off offset:224
	ds_load_b128 v[5:8], v41 offset:1024
	s_waitcnt vmcnt(9) lgkmcnt(1)
	v_mul_f64 v[48:49], v[1:2], v[19:20]
	v_mul_f64 v[19:20], v[3:4], v[19:20]
	v_add_f64 v[44:45], v[44:45], v[56:57]
	v_add_f64 v[46:47], v[46:47], v[50:51]
	s_waitcnt vmcnt(8) lgkmcnt(0)
	v_mul_f64 v[50:51], v[5:6], v[23:24]
	v_mul_f64 v[23:24], v[7:8], v[23:24]
	v_fma_f64 v[48:49], v[3:4], v[17:18], v[48:49]
	v_fma_f64 v[56:57], v[1:2], v[17:18], -v[19:20]
	ds_load_b128 v[1:4], v41 offset:1040
	scratch_load_b128 v[17:20], off, off offset:240
	v_add_f64 v[44:45], v[44:45], v[54:55]
	v_add_f64 v[46:47], v[46:47], v[52:53]
	v_fma_f64 v[50:51], v[7:8], v[21:22], v[50:51]
	v_fma_f64 v[54:55], v[5:6], v[21:22], -v[23:24]
	scratch_load_b128 v[21:24], off, off offset:256
	ds_load_b128 v[5:8], v41 offset:1056
	s_waitcnt vmcnt(9) lgkmcnt(1)
	v_mul_f64 v[52:53], v[1:2], v[27:28]
	v_mul_f64 v[27:28], v[3:4], v[27:28]
	v_add_f64 v[44:45], v[44:45], v[56:57]
	v_add_f64 v[46:47], v[46:47], v[48:49]
	s_waitcnt vmcnt(8) lgkmcnt(0)
	v_mul_f64 v[48:49], v[5:6], v[31:32]
	v_mul_f64 v[31:32], v[7:8], v[31:32]
	;; [unrolled: 18-line block ×3, first 2 shown]
	v_fma_f64 v[50:51], v[3:4], v[33:34], v[50:51]
	v_fma_f64 v[58:59], v[1:2], v[33:34], -v[35:36]
	ds_load_b128 v[1:4], v41 offset:1104
	scratch_load_b128 v[33:36], off, off offset:304
	v_add_f64 v[44:45], v[44:45], v[54:55]
	v_add_f64 v[46:47], v[46:47], v[48:49]
	v_fma_f64 v[52:53], v[7:8], v[175:176], v[52:53]
	v_fma_f64 v[54:55], v[5:6], v[175:176], -v[56:57]
	scratch_load_b128 v[175:178], off, off offset:320
	ds_load_b128 v[5:8], v41 offset:1120
	s_waitcnt vmcnt(9) lgkmcnt(1)
	v_mul_f64 v[48:49], v[1:2], v[39:40]
	v_mul_f64 v[39:40], v[3:4], v[39:40]
	s_waitcnt vmcnt(8) lgkmcnt(0)
	v_mul_f64 v[56:57], v[7:8], v[173:174]
	v_add_f64 v[44:45], v[44:45], v[58:59]
	v_add_f64 v[46:47], v[46:47], v[50:51]
	v_mul_f64 v[50:51], v[5:6], v[173:174]
	v_fma_f64 v[48:49], v[3:4], v[37:38], v[48:49]
	v_fma_f64 v[58:59], v[1:2], v[37:38], -v[39:40]
	ds_load_b128 v[1:4], v41 offset:1136
	scratch_load_b128 v[37:40], off, off offset:336
	v_add_f64 v[44:45], v[44:45], v[54:55]
	v_add_f64 v[46:47], v[46:47], v[52:53]
	v_fma_f64 v[50:51], v[7:8], v[171:172], v[50:51]
	v_fma_f64 v[54:55], v[5:6], v[171:172], -v[56:57]
	scratch_load_b128 v[171:174], off, off offset:352
	ds_load_b128 v[5:8], v41 offset:1152
	s_waitcnt vmcnt(9) lgkmcnt(1)
	v_mul_f64 v[52:53], v[1:2], v[11:12]
	v_mul_f64 v[11:12], v[3:4], v[11:12]
	v_add_f64 v[44:45], v[44:45], v[58:59]
	v_add_f64 v[46:47], v[46:47], v[48:49]
	s_waitcnt vmcnt(8) lgkmcnt(0)
	v_mul_f64 v[48:49], v[5:6], v[15:16]
	v_mul_f64 v[15:16], v[7:8], v[15:16]
	v_fma_f64 v[52:53], v[3:4], v[9:10], v[52:53]
	v_fma_f64 v[56:57], v[1:2], v[9:10], -v[11:12]
	ds_load_b128 v[1:4], v41 offset:1168
	scratch_load_b128 v[9:12], off, off offset:368
	v_add_f64 v[44:45], v[44:45], v[54:55]
	v_add_f64 v[46:47], v[46:47], v[50:51]
	v_fma_f64 v[48:49], v[7:8], v[13:14], v[48:49]
	v_fma_f64 v[54:55], v[5:6], v[13:14], -v[15:16]
	scratch_load_b128 v[13:16], off, off offset:384
	ds_load_b128 v[5:8], v41 offset:1184
	s_waitcnt vmcnt(9) lgkmcnt(1)
	v_mul_f64 v[50:51], v[1:2], v[19:20]
	v_mul_f64 v[19:20], v[3:4], v[19:20]
	v_add_f64 v[44:45], v[44:45], v[56:57]
	v_add_f64 v[46:47], v[46:47], v[52:53]
	s_waitcnt vmcnt(8) lgkmcnt(0)
	v_mul_f64 v[52:53], v[5:6], v[23:24]
	;; [unrolled: 18-line block ×4, first 2 shown]
	v_mul_f64 v[56:57], v[7:8], v[177:178]
	v_fma_f64 v[52:53], v[3:4], v[33:34], v[52:53]
	v_fma_f64 v[58:59], v[1:2], v[33:34], -v[35:36]
	ds_load_b128 v[1:4], v41 offset:1264
	scratch_load_b128 v[33:36], off, off offset:464
	v_add_f64 v[44:45], v[44:45], v[54:55]
	v_add_f64 v[46:47], v[46:47], v[50:51]
	v_fma_f64 v[48:49], v[7:8], v[175:176], v[48:49]
	v_fma_f64 v[54:55], v[5:6], v[175:176], -v[56:57]
	scratch_load_b128 v[175:178], off, off offset:480
	ds_load_b128 v[5:8], v41 offset:1280
	s_waitcnt vmcnt(9) lgkmcnt(1)
	v_mul_f64 v[50:51], v[1:2], v[39:40]
	v_mul_f64 v[39:40], v[3:4], v[39:40]
	s_waitcnt vmcnt(8) lgkmcnt(0)
	v_mul_f64 v[56:57], v[7:8], v[173:174]
	v_add_f64 v[44:45], v[44:45], v[58:59]
	v_add_f64 v[46:47], v[46:47], v[52:53]
	v_mul_f64 v[52:53], v[5:6], v[173:174]
	v_fma_f64 v[50:51], v[3:4], v[37:38], v[50:51]
	v_fma_f64 v[58:59], v[1:2], v[37:38], -v[39:40]
	ds_load_b128 v[1:4], v41 offset:1296
	scratch_load_b128 v[37:40], off, off offset:496
	v_add_f64 v[44:45], v[44:45], v[54:55]
	v_add_f64 v[46:47], v[46:47], v[48:49]
	v_fma_f64 v[52:53], v[7:8], v[171:172], v[52:53]
	v_fma_f64 v[54:55], v[5:6], v[171:172], -v[56:57]
	scratch_load_b128 v[171:174], off, off offset:512
	ds_load_b128 v[5:8], v41 offset:1312
	s_waitcnt vmcnt(9) lgkmcnt(1)
	v_mul_f64 v[48:49], v[1:2], v[11:12]
	v_mul_f64 v[11:12], v[3:4], v[11:12]
	v_add_f64 v[44:45], v[44:45], v[58:59]
	v_add_f64 v[46:47], v[46:47], v[50:51]
	s_waitcnt vmcnt(8) lgkmcnt(0)
	v_mul_f64 v[50:51], v[5:6], v[15:16]
	v_mul_f64 v[15:16], v[7:8], v[15:16]
	v_fma_f64 v[48:49], v[3:4], v[9:10], v[48:49]
	v_fma_f64 v[56:57], v[1:2], v[9:10], -v[11:12]
	ds_load_b128 v[1:4], v41 offset:1328
	scratch_load_b128 v[9:12], off, off offset:528
	v_add_f64 v[44:45], v[44:45], v[54:55]
	v_add_f64 v[46:47], v[46:47], v[52:53]
	v_fma_f64 v[50:51], v[7:8], v[13:14], v[50:51]
	v_fma_f64 v[54:55], v[5:6], v[13:14], -v[15:16]
	scratch_load_b128 v[13:16], off, off offset:544
	ds_load_b128 v[5:8], v41 offset:1344
	s_waitcnt vmcnt(9) lgkmcnt(1)
	v_mul_f64 v[52:53], v[1:2], v[19:20]
	v_mul_f64 v[19:20], v[3:4], v[19:20]
	v_add_f64 v[44:45], v[44:45], v[56:57]
	v_add_f64 v[46:47], v[46:47], v[48:49]
	s_waitcnt vmcnt(8) lgkmcnt(0)
	v_mul_f64 v[48:49], v[5:6], v[23:24]
	;; [unrolled: 18-line block ×4, first 2 shown]
	v_mul_f64 v[56:57], v[7:8], v[177:178]
	v_fma_f64 v[48:49], v[3:4], v[33:34], v[48:49]
	v_fma_f64 v[58:59], v[1:2], v[33:34], -v[35:36]
	ds_load_b128 v[1:4], v41 offset:1424
	scratch_load_b128 v[33:36], off, off offset:624
	v_add_f64 v[44:45], v[44:45], v[54:55]
	v_add_f64 v[46:47], v[46:47], v[52:53]
	v_fma_f64 v[50:51], v[7:8], v[175:176], v[50:51]
	v_fma_f64 v[54:55], v[5:6], v[175:176], -v[56:57]
	scratch_load_b128 v[175:178], off, off offset:640
	ds_load_b128 v[5:8], v41 offset:1440
	s_waitcnt vmcnt(9) lgkmcnt(1)
	v_mul_f64 v[52:53], v[1:2], v[39:40]
	v_mul_f64 v[39:40], v[3:4], v[39:40]
	s_waitcnt vmcnt(8) lgkmcnt(0)
	v_mul_f64 v[56:57], v[7:8], v[173:174]
	v_add_f64 v[44:45], v[44:45], v[58:59]
	v_add_f64 v[46:47], v[46:47], v[48:49]
	v_mul_f64 v[48:49], v[5:6], v[173:174]
	v_fma_f64 v[52:53], v[3:4], v[37:38], v[52:53]
	v_fma_f64 v[58:59], v[1:2], v[37:38], -v[39:40]
	ds_load_b128 v[1:4], v41 offset:1456
	scratch_load_b128 v[37:40], off, off offset:656
	v_add_f64 v[44:45], v[44:45], v[54:55]
	v_add_f64 v[46:47], v[46:47], v[50:51]
	v_fma_f64 v[48:49], v[7:8], v[171:172], v[48:49]
	v_fma_f64 v[54:55], v[5:6], v[171:172], -v[56:57]
	scratch_load_b128 v[171:174], off, off offset:672
	ds_load_b128 v[5:8], v41 offset:1472
	s_waitcnt vmcnt(9) lgkmcnt(1)
	v_mul_f64 v[50:51], v[1:2], v[11:12]
	v_mul_f64 v[11:12], v[3:4], v[11:12]
	v_add_f64 v[44:45], v[44:45], v[58:59]
	v_add_f64 v[46:47], v[46:47], v[52:53]
	s_waitcnt vmcnt(8) lgkmcnt(0)
	v_mul_f64 v[52:53], v[5:6], v[15:16]
	v_mul_f64 v[15:16], v[7:8], v[15:16]
	v_fma_f64 v[50:51], v[3:4], v[9:10], v[50:51]
	v_fma_f64 v[56:57], v[1:2], v[9:10], -v[11:12]
	ds_load_b128 v[1:4], v41 offset:1488
	scratch_load_b128 v[9:12], off, off offset:688
	v_add_f64 v[44:45], v[44:45], v[54:55]
	v_add_f64 v[46:47], v[46:47], v[48:49]
	v_fma_f64 v[52:53], v[7:8], v[13:14], v[52:53]
	v_fma_f64 v[54:55], v[5:6], v[13:14], -v[15:16]
	scratch_load_b128 v[13:16], off, off offset:704
	ds_load_b128 v[5:8], v41 offset:1504
	s_waitcnt vmcnt(9) lgkmcnt(1)
	v_mul_f64 v[48:49], v[1:2], v[19:20]
	v_mul_f64 v[19:20], v[3:4], v[19:20]
	v_add_f64 v[44:45], v[44:45], v[56:57]
	v_add_f64 v[46:47], v[46:47], v[50:51]
	s_waitcnt vmcnt(8) lgkmcnt(0)
	v_mul_f64 v[50:51], v[5:6], v[23:24]
	;; [unrolled: 18-line block ×4, first 2 shown]
	v_mul_f64 v[56:57], v[7:8], v[177:178]
	v_fma_f64 v[50:51], v[3:4], v[33:34], v[50:51]
	v_fma_f64 v[58:59], v[1:2], v[33:34], -v[35:36]
	ds_load_b128 v[1:4], v41 offset:1584
	scratch_load_b128 v[33:36], off, off offset:784
	v_add_f64 v[44:45], v[44:45], v[54:55]
	v_add_f64 v[46:47], v[46:47], v[48:49]
	v_fma_f64 v[52:53], v[7:8], v[175:176], v[52:53]
	v_fma_f64 v[54:55], v[5:6], v[175:176], -v[56:57]
	scratch_load_b128 v[175:178], off, off offset:800
	ds_load_b128 v[5:8], v41 offset:1600
	s_waitcnt vmcnt(9) lgkmcnt(1)
	v_mul_f64 v[48:49], v[1:2], v[39:40]
	v_mul_f64 v[39:40], v[3:4], v[39:40]
	s_waitcnt vmcnt(8) lgkmcnt(0)
	v_mul_f64 v[56:57], v[7:8], v[173:174]
	v_add_f64 v[44:45], v[44:45], v[58:59]
	v_add_f64 v[46:47], v[46:47], v[50:51]
	v_mul_f64 v[50:51], v[5:6], v[173:174]
	v_fma_f64 v[48:49], v[3:4], v[37:38], v[48:49]
	v_fma_f64 v[58:59], v[1:2], v[37:38], -v[39:40]
	ds_load_b128 v[1:4], v41 offset:1616
	scratch_load_b128 v[37:40], off, off offset:816
	v_add_f64 v[44:45], v[44:45], v[54:55]
	v_add_f64 v[46:47], v[46:47], v[52:53]
	v_fma_f64 v[50:51], v[7:8], v[171:172], v[50:51]
	v_fma_f64 v[54:55], v[5:6], v[171:172], -v[56:57]
	ds_load_b128 v[5:8], v41 offset:1632
	s_waitcnt vmcnt(8) lgkmcnt(1)
	v_mul_f64 v[52:53], v[1:2], v[11:12]
	v_mul_f64 v[11:12], v[3:4], v[11:12]
	scratch_load_b128 v[171:174], off, off offset:832
	v_add_f64 v[44:45], v[44:45], v[58:59]
	v_add_f64 v[46:47], v[46:47], v[48:49]
	s_waitcnt vmcnt(8) lgkmcnt(0)
	v_mul_f64 v[48:49], v[5:6], v[15:16]
	v_mul_f64 v[15:16], v[7:8], v[15:16]
	v_fma_f64 v[52:53], v[3:4], v[9:10], v[52:53]
	v_fma_f64 v[56:57], v[1:2], v[9:10], -v[11:12]
	scratch_load_b128 v[9:12], off, off offset:848
	ds_load_b128 v[1:4], v41 offset:1648
	v_add_f64 v[44:45], v[44:45], v[54:55]
	v_add_f64 v[46:47], v[46:47], v[50:51]
	v_fma_f64 v[48:49], v[7:8], v[13:14], v[48:49]
	v_fma_f64 v[54:55], v[5:6], v[13:14], -v[15:16]
	ds_load_b128 v[5:8], v41 offset:1664
	s_waitcnt vmcnt(8) lgkmcnt(1)
	v_mul_f64 v[50:51], v[1:2], v[19:20]
	v_mul_f64 v[19:20], v[3:4], v[19:20]
	scratch_load_b128 v[13:16], off, off offset:864
	v_add_f64 v[44:45], v[44:45], v[56:57]
	v_add_f64 v[46:47], v[46:47], v[52:53]
	s_waitcnt vmcnt(8) lgkmcnt(0)
	v_mul_f64 v[52:53], v[5:6], v[23:24]
	v_mul_f64 v[23:24], v[7:8], v[23:24]
	v_fma_f64 v[50:51], v[3:4], v[17:18], v[50:51]
	v_fma_f64 v[56:57], v[1:2], v[17:18], -v[19:20]
	scratch_load_b128 v[17:20], off, off offset:880
	ds_load_b128 v[1:4], v41 offset:1680
	;; [unrolled: 18-line block ×3, first 2 shown]
	v_add_f64 v[44:45], v[44:45], v[54:55]
	v_add_f64 v[46:47], v[46:47], v[52:53]
	v_fma_f64 v[50:51], v[7:8], v[29:30], v[50:51]
	v_fma_f64 v[29:30], v[5:6], v[29:30], -v[31:32]
	ds_load_b128 v[5:8], v41 offset:1728
	s_waitcnt vmcnt(8) lgkmcnt(1)
	v_mul_f64 v[52:53], v[1:2], v[35:36]
	v_mul_f64 v[35:36], v[3:4], v[35:36]
	v_add_f64 v[31:32], v[44:45], v[56:57]
	v_add_f64 v[44:45], v[46:47], v[48:49]
	s_waitcnt vmcnt(7) lgkmcnt(0)
	v_mul_f64 v[46:47], v[5:6], v[177:178]
	v_mul_f64 v[48:49], v[7:8], v[177:178]
	v_fma_f64 v[52:53], v[3:4], v[33:34], v[52:53]
	v_fma_f64 v[33:34], v[1:2], v[33:34], -v[35:36]
	ds_load_b128 v[1:4], v41 offset:1744
	v_add_f64 v[29:30], v[31:32], v[29:30]
	v_add_f64 v[31:32], v[44:45], v[50:51]
	v_fma_f64 v[44:45], v[7:8], v[175:176], v[46:47]
	v_fma_f64 v[46:47], v[5:6], v[175:176], -v[48:49]
	ds_load_b128 v[5:8], v41 offset:1760
	s_waitcnt vmcnt(5) lgkmcnt(0)
	v_mul_f64 v[50:51], v[5:6], v[173:174]
	v_add_f64 v[33:34], v[29:30], v[33:34]
	v_add_f64 v[48:49], v[31:32], v[52:53]
	scratch_load_b128 v[29:32], off, off
	v_mul_f64 v[35:36], v[1:2], v[39:40]
	v_mul_f64 v[39:40], v[3:4], v[39:40]
	;; [unrolled: 1-line block ×3, first 2 shown]
	v_add_f64 v[33:34], v[33:34], v[46:47]
	v_fma_f64 v[46:47], v[7:8], v[171:172], v[50:51]
	v_fma_f64 v[35:36], v[3:4], v[37:38], v[35:36]
	v_fma_f64 v[37:38], v[1:2], v[37:38], -v[39:40]
	v_add_f64 v[39:40], v[48:49], v[44:45]
	ds_load_b128 v[1:4], v41 offset:1776
	v_fma_f64 v[48:49], v[5:6], v[171:172], -v[52:53]
	ds_load_b128 v[5:8], v41 offset:1792
	s_waitcnt vmcnt(5) lgkmcnt(1)
	v_mul_f64 v[44:45], v[1:2], v[11:12]
	v_mul_f64 v[11:12], v[3:4], v[11:12]
	v_add_f64 v[33:34], v[33:34], v[37:38]
	v_add_f64 v[35:36], v[39:40], v[35:36]
	s_waitcnt vmcnt(4) lgkmcnt(0)
	v_mul_f64 v[37:38], v[5:6], v[15:16]
	v_mul_f64 v[15:16], v[7:8], v[15:16]
	v_fma_f64 v[39:40], v[3:4], v[9:10], v[44:45]
	v_fma_f64 v[9:10], v[1:2], v[9:10], -v[11:12]
	ds_load_b128 v[1:4], v41 offset:1808
	v_add_f64 v[11:12], v[33:34], v[48:49]
	v_add_f64 v[33:34], v[35:36], v[46:47]
	v_fma_f64 v[37:38], v[7:8], v[13:14], v[37:38]
	v_fma_f64 v[13:14], v[5:6], v[13:14], -v[15:16]
	ds_load_b128 v[5:8], v41 offset:1824
	s_waitcnt vmcnt(3) lgkmcnt(1)
	v_mul_f64 v[35:36], v[1:2], v[19:20]
	v_mul_f64 v[19:20], v[3:4], v[19:20]
	s_waitcnt vmcnt(2) lgkmcnt(0)
	v_mul_f64 v[15:16], v[5:6], v[23:24]
	v_mul_f64 v[23:24], v[7:8], v[23:24]
	v_add_f64 v[9:10], v[11:12], v[9:10]
	v_add_f64 v[11:12], v[33:34], v[39:40]
	v_fma_f64 v[33:34], v[3:4], v[17:18], v[35:36]
	v_fma_f64 v[17:18], v[1:2], v[17:18], -v[19:20]
	ds_load_b128 v[1:4], v41 offset:1840
	v_fma_f64 v[7:8], v[7:8], v[21:22], v[15:16]
	v_fma_f64 v[5:6], v[5:6], v[21:22], -v[23:24]
	s_waitcnt vmcnt(1) lgkmcnt(0)
	v_mul_f64 v[19:20], v[3:4], v[27:28]
	v_add_f64 v[9:10], v[9:10], v[13:14]
	v_add_f64 v[11:12], v[11:12], v[37:38]
	v_mul_f64 v[13:14], v[1:2], v[27:28]
	s_delay_alu instid0(VALU_DEP_4) | instskip(NEXT) | instid1(VALU_DEP_4)
	v_fma_f64 v[1:2], v[1:2], v[25:26], -v[19:20]
	v_add_f64 v[9:10], v[9:10], v[17:18]
	s_delay_alu instid0(VALU_DEP_4) | instskip(NEXT) | instid1(VALU_DEP_4)
	v_add_f64 v[11:12], v[11:12], v[33:34]
	v_fma_f64 v[3:4], v[3:4], v[25:26], v[13:14]
	s_delay_alu instid0(VALU_DEP_3) | instskip(NEXT) | instid1(VALU_DEP_3)
	v_add_f64 v[5:6], v[9:10], v[5:6]
	v_add_f64 v[7:8], v[11:12], v[7:8]
	s_delay_alu instid0(VALU_DEP_2) | instskip(NEXT) | instid1(VALU_DEP_2)
	v_add_f64 v[1:2], v[5:6], v[1:2]
	v_add_f64 v[3:4], v[7:8], v[3:4]
	s_waitcnt vmcnt(0)
	s_delay_alu instid0(VALU_DEP_2) | instskip(NEXT) | instid1(VALU_DEP_2)
	v_add_f64 v[1:2], v[29:30], -v[1:2]
	v_add_f64 v[3:4], v[31:32], -v[3:4]
	scratch_store_b128 off, v[1:4], off
	s_cbranch_vccz .LBB121_477
; %bb.362:
	v_dual_mov_b32 v1, s8 :: v_dual_mov_b32 v2, s9
	s_load_b64 s[0:1], s[0:1], 0x4
	flat_load_b32 v1, v[1:2] offset:224
	v_bfe_u32 v2, v0, 10, 10
	v_bfe_u32 v0, v0, 20, 10
	s_waitcnt lgkmcnt(0)
	s_lshr_b32 s0, s0, 16
	s_delay_alu instid0(VALU_DEP_2) | instskip(SKIP_1) | instid1(SALU_CYCLE_1)
	v_mul_u32_u24_e32 v2, s1, v2
	s_mul_i32 s0, s0, s1
	v_mul_u32_u24_e32 v3, s0, v158
	s_mov_b32 s0, exec_lo
	s_delay_alu instid0(VALU_DEP_1) | instskip(NEXT) | instid1(VALU_DEP_1)
	v_add3_u32 v0, v3, v2, v0
	v_lshl_add_u32 v0, v0, 4, 0x748
	s_waitcnt vmcnt(0)
	v_cmpx_ne_u32_e32 57, v1
	s_cbranch_execz .LBB121_364
; %bb.363:
	v_lshl_add_u32 v9, v1, 4, 0
	s_clause 0x1
	scratch_load_b128 v[1:4], v163, off
	scratch_load_b128 v[5:8], v9, off offset:-16
	s_waitcnt vmcnt(1)
	ds_store_2addr_b64 v0, v[1:2], v[3:4] offset1:1
	s_waitcnt vmcnt(0)
	s_clause 0x1
	scratch_store_b128 v163, v[5:8], off
	scratch_store_b128 v9, v[1:4], off offset:-16
.LBB121_364:
	s_or_b32 exec_lo, exec_lo, s0
	v_dual_mov_b32 v1, s8 :: v_dual_mov_b32 v2, s9
	s_mov_b32 s0, exec_lo
	flat_load_b32 v1, v[1:2] offset:220
	s_waitcnt vmcnt(0) lgkmcnt(0)
	v_cmpx_ne_u32_e32 56, v1
	s_cbranch_execz .LBB121_366
; %bb.365:
	v_lshl_add_u32 v9, v1, 4, 0
	s_clause 0x1
	scratch_load_b128 v[1:4], v164, off
	scratch_load_b128 v[5:8], v9, off offset:-16
	s_waitcnt vmcnt(1)
	ds_store_2addr_b64 v0, v[1:2], v[3:4] offset1:1
	s_waitcnt vmcnt(0)
	s_clause 0x1
	scratch_store_b128 v164, v[5:8], off
	scratch_store_b128 v9, v[1:4], off offset:-16
.LBB121_366:
	s_or_b32 exec_lo, exec_lo, s0
	v_dual_mov_b32 v1, s8 :: v_dual_mov_b32 v2, s9
	s_mov_b32 s0, exec_lo
	flat_load_b32 v1, v[1:2] offset:216
	s_waitcnt vmcnt(0) lgkmcnt(0)
	;; [unrolled: 19-line block ×18, first 2 shown]
	v_cmpx_ne_u32_e32 39, v1
	s_cbranch_execz .LBB121_400
; %bb.399:
	scratch_load_b32 v10, off, off offset:928 ; 4-byte Folded Reload
	v_lshl_add_u32 v9, v1, 4, 0
	s_waitcnt vmcnt(0)
	s_clause 0x1
	scratch_load_b128 v[1:4], v10, off
	scratch_load_b128 v[5:8], v9, off offset:-16
	s_waitcnt vmcnt(1)
	ds_store_2addr_b64 v0, v[1:2], v[3:4] offset1:1
	s_waitcnt vmcnt(0)
	s_clause 0x1
	scratch_store_b128 v10, v[5:8], off
	scratch_store_b128 v9, v[1:4], off offset:-16
.LBB121_400:
	s_or_b32 exec_lo, exec_lo, s0
	v_dual_mov_b32 v1, s8 :: v_dual_mov_b32 v2, s9
	s_mov_b32 s0, exec_lo
	flat_load_b32 v1, v[1:2] offset:148
	s_waitcnt vmcnt(0) lgkmcnt(0)
	v_cmpx_ne_u32_e32 38, v1
	s_cbranch_execz .LBB121_402
; %bb.401:
	scratch_load_b32 v10, off, off offset:932 ; 4-byte Folded Reload
	v_lshl_add_u32 v9, v1, 4, 0
	s_waitcnt vmcnt(0)
	s_clause 0x1
	scratch_load_b128 v[1:4], v10, off
	scratch_load_b128 v[5:8], v9, off offset:-16
	s_waitcnt vmcnt(1)
	ds_store_2addr_b64 v0, v[1:2], v[3:4] offset1:1
	s_waitcnt vmcnt(0)
	s_clause 0x1
	scratch_store_b128 v10, v[5:8], off
	scratch_store_b128 v9, v[1:4], off offset:-16
.LBB121_402:
	s_or_b32 exec_lo, exec_lo, s0
	v_dual_mov_b32 v1, s8 :: v_dual_mov_b32 v2, s9
	s_mov_b32 s0, exec_lo
	flat_load_b32 v1, v[1:2] offset:144
	s_waitcnt vmcnt(0) lgkmcnt(0)
	;; [unrolled: 21-line block ×15, first 2 shown]
	v_cmpx_ne_u32_e32 24, v1
	s_cbranch_execz .LBB121_430
; %bb.429:
	v_lshl_add_u32 v9, v1, 4, 0
	s_clause 0x1
	scratch_load_b128 v[1:4], v160, off
	scratch_load_b128 v[5:8], v9, off offset:-16
	s_waitcnt vmcnt(1)
	ds_store_2addr_b64 v0, v[1:2], v[3:4] offset1:1
	s_waitcnt vmcnt(0)
	s_clause 0x1
	scratch_store_b128 v160, v[5:8], off
	scratch_store_b128 v9, v[1:4], off offset:-16
.LBB121_430:
	s_or_b32 exec_lo, exec_lo, s0
	v_dual_mov_b32 v1, s8 :: v_dual_mov_b32 v2, s9
	s_mov_b32 s0, exec_lo
	flat_load_b32 v1, v[1:2] offset:88
	s_waitcnt vmcnt(0) lgkmcnt(0)
	v_cmpx_ne_u32_e32 23, v1
	s_cbranch_execz .LBB121_432
; %bb.431:
	scratch_load_b32 v10, off, off offset:988 ; 4-byte Folded Reload
	v_lshl_add_u32 v9, v1, 4, 0
	s_waitcnt vmcnt(0)
	s_clause 0x1
	scratch_load_b128 v[1:4], v10, off
	scratch_load_b128 v[5:8], v9, off offset:-16
	s_waitcnt vmcnt(1)
	ds_store_2addr_b64 v0, v[1:2], v[3:4] offset1:1
	s_waitcnt vmcnt(0)
	s_clause 0x1
	scratch_store_b128 v10, v[5:8], off
	scratch_store_b128 v9, v[1:4], off offset:-16
.LBB121_432:
	s_or_b32 exec_lo, exec_lo, s0
	v_dual_mov_b32 v1, s8 :: v_dual_mov_b32 v2, s9
	s_mov_b32 s0, exec_lo
	flat_load_b32 v1, v[1:2] offset:84
	s_waitcnt vmcnt(0) lgkmcnt(0)
	v_cmpx_ne_u32_e32 22, v1
	s_cbranch_execz .LBB121_434
; %bb.433:
	v_lshl_add_u32 v9, v1, 4, 0
	s_clause 0x1
	scratch_load_b128 v[1:4], v159, off
	scratch_load_b128 v[5:8], v9, off offset:-16
	s_waitcnt vmcnt(1)
	ds_store_2addr_b64 v0, v[1:2], v[3:4] offset1:1
	s_waitcnt vmcnt(0)
	s_clause 0x1
	scratch_store_b128 v159, v[5:8], off
	scratch_store_b128 v9, v[1:4], off offset:-16
.LBB121_434:
	s_or_b32 exec_lo, exec_lo, s0
	v_dual_mov_b32 v1, s8 :: v_dual_mov_b32 v2, s9
	s_mov_b32 s0, exec_lo
	flat_load_b32 v1, v[1:2] offset:80
	s_waitcnt vmcnt(0) lgkmcnt(0)
	v_cmpx_ne_u32_e32 21, v1
	s_cbranch_execz .LBB121_436
; %bb.435:
	v_lshl_add_u32 v9, v1, 4, 0
	s_clause 0x1
	scratch_load_b128 v[1:4], v161, off
	scratch_load_b128 v[5:8], v9, off offset:-16
	s_waitcnt vmcnt(1)
	ds_store_2addr_b64 v0, v[1:2], v[3:4] offset1:1
	s_waitcnt vmcnt(0)
	s_clause 0x1
	scratch_store_b128 v161, v[5:8], off
	scratch_store_b128 v9, v[1:4], off offset:-16
.LBB121_436:
	;; [unrolled: 19-line block ×3, first 2 shown]
	s_or_b32 exec_lo, exec_lo, s0
	v_dual_mov_b32 v1, s8 :: v_dual_mov_b32 v2, s9
	s_mov_b32 s0, exec_lo
	flat_load_b32 v1, v[1:2] offset:72
	s_waitcnt vmcnt(0) lgkmcnt(0)
	v_cmpx_ne_u32_e32 19, v1
	s_cbranch_execz .LBB121_440
; %bb.439:
	scratch_load_b32 v10, off, off offset:992 ; 4-byte Folded Reload
	v_lshl_add_u32 v9, v1, 4, 0
	s_waitcnt vmcnt(0)
	s_clause 0x1
	scratch_load_b128 v[1:4], v10, off
	scratch_load_b128 v[5:8], v9, off offset:-16
	s_waitcnt vmcnt(1)
	ds_store_2addr_b64 v0, v[1:2], v[3:4] offset1:1
	s_waitcnt vmcnt(0)
	s_clause 0x1
	scratch_store_b128 v10, v[5:8], off
	scratch_store_b128 v9, v[1:4], off offset:-16
.LBB121_440:
	s_or_b32 exec_lo, exec_lo, s0
	v_dual_mov_b32 v1, s8 :: v_dual_mov_b32 v2, s9
	s_mov_b32 s0, exec_lo
	flat_load_b32 v1, v[1:2] offset:68
	s_waitcnt vmcnt(0) lgkmcnt(0)
	v_cmpx_ne_u32_e32 18, v1
	s_cbranch_execz .LBB121_442
; %bb.441:
	v_lshl_add_u32 v9, v1, 4, 0
	s_clause 0x1
	scratch_load_b128 v[1:4], v199, off
	scratch_load_b128 v[5:8], v9, off offset:-16
	s_waitcnt vmcnt(1)
	ds_store_2addr_b64 v0, v[1:2], v[3:4] offset1:1
	s_waitcnt vmcnt(0)
	s_clause 0x1
	scratch_store_b128 v199, v[5:8], off
	scratch_store_b128 v9, v[1:4], off offset:-16
.LBB121_442:
	s_or_b32 exec_lo, exec_lo, s0
	v_dual_mov_b32 v1, s8 :: v_dual_mov_b32 v2, s9
	s_mov_b32 s0, exec_lo
	flat_load_b32 v1, v[1:2] offset:64
	s_waitcnt vmcnt(0) lgkmcnt(0)
	v_cmpx_ne_u32_e32 17, v1
	s_cbranch_execz .LBB121_444
; %bb.443:
	v_lshl_add_u32 v9, v1, 4, 0
	s_clause 0x1
	scratch_load_b128 v[1:4], v200, off
	scratch_load_b128 v[5:8], v9, off offset:-16
	s_waitcnt vmcnt(1)
	ds_store_2addr_b64 v0, v[1:2], v[3:4] offset1:1
	s_waitcnt vmcnt(0)
	s_clause 0x1
	scratch_store_b128 v200, v[5:8], off
	scratch_store_b128 v9, v[1:4], off offset:-16
.LBB121_444:
	;; [unrolled: 19-line block ×17, first 2 shown]
	s_or_b32 exec_lo, exec_lo, s0
	v_dual_mov_b32 v1, s8 :: v_dual_mov_b32 v2, s9
	s_mov_b32 s0, exec_lo
	flat_load_b32 v1, v[1:2]
	s_waitcnt vmcnt(0) lgkmcnt(0)
	v_cmpx_ne_u32_e32 1, v1
	s_cbranch_execz .LBB121_476
; %bb.475:
	v_lshl_add_u32 v9, v1, 4, 0
	scratch_load_b128 v[1:4], off, off
	scratch_load_b128 v[5:8], v9, off offset:-16
	s_waitcnt vmcnt(1)
	ds_store_2addr_b64 v0, v[1:2], v[3:4] offset1:1
	s_waitcnt vmcnt(0)
	scratch_store_b128 off, v[5:8], off
	scratch_store_b128 v9, v[1:4], off offset:-16
.LBB121_476:
	s_or_b32 exec_lo, exec_lo, s0
.LBB121_477:
	scratch_load_b128 v[0:3], off, off
	s_clause 0x10
	scratch_load_b128 v[4:7], v215, off
	scratch_load_b128 v[8:11], v214, off
	;; [unrolled: 1-line block ×17, first 2 shown]
	scratch_load_b32 v40, off, off offset:992 ; 4-byte Folded Reload
	s_waitcnt vmcnt(0)
	s_clause 0x1
	scratch_load_b128 v[208:211], v40, off
	scratch_load_b128 v[195:198], v198, off
	global_store_b128 v[42:43], v[0:3], off
	s_clause 0x1
	scratch_load_b128 v[0:3], v161, off
	scratch_load_b128 v[40:43], v159, off
	scratch_load_b64 v[44:45], off, off offset:1004 ; 8-byte Folded Reload
	s_waitcnt vmcnt(0)
	global_store_b128 v[44:45], v[4:7], off
	scratch_load_b32 v4, off, off offset:988 ; 4-byte Folded Reload
	s_waitcnt vmcnt(0)
	s_clause 0x1
	scratch_load_b128 v[4:7], v4, off
	scratch_load_b128 v[158:161], v160, off
	scratch_load_b64 v[44:45], off, off offset:996 ; 8-byte Folded Reload
	s_waitcnt vmcnt(0)
	global_store_b128 v[44:45], v[8:11], off
	scratch_load_b32 v8, off, off offset:984 ; 4-byte Folded Reload
	s_waitcnt vmcnt(0)
	scratch_load_b128 v[8:11], v8, off
	scratch_load_b32 v44, off, off offset:980 ; 4-byte Folded Reload
	s_waitcnt vmcnt(0)
	scratch_load_b128 v[44:47], v44, off
	scratch_load_b64 v[48:49], off, off offset:1020 ; 8-byte Folded Reload
	s_waitcnt vmcnt(0)
	global_store_b128 v[48:49], v[12:15], off
	scratch_load_b32 v12, off, off offset:972 ; 4-byte Folded Reload
	s_waitcnt vmcnt(0)
	scratch_load_b128 v[12:15], v12, off
	scratch_load_b32 v48, off, off offset:976 ; 4-byte Folded Reload
	s_waitcnt vmcnt(0)
	;; [unrolled: 9-line block ×6, first 2 shown]
	scratch_load_b128 v[232:235], v56, off
	scratch_load_b64 v[56:57], off, off offset:1044 ; 8-byte Folded Reload
	s_waitcnt vmcnt(0)
	global_store_b128 v[56:57], v[32:35], off
	scratch_load_b32 v32, off, off offset:936 ; 4-byte Folded Reload
	s_waitcnt vmcnt(0)
	scratch_load_b128 v[32:35], v32, off
	scratch_load_b32 v56, off, off offset:932 ; 4-byte Folded Reload
	global_store_b128 v[62:63], v[36:39], off
	scratch_load_b32 v36, off, off offset:928 ; 4-byte Folded Reload
	s_waitcnt vmcnt(1)
	scratch_load_b128 v[56:59], v56, off
	s_waitcnt vmcnt(1)
	s_clause 0x1
	scratch_load_b128 v[36:39], v36, off
	scratch_load_b128 v[236:239], v221, off
	global_store_b128 v[60:61], v[171:174], off
	s_clause 0x1
	scratch_load_b128 v[60:63], v223, off
	scratch_load_b128 v[171:174], v222, off
	global_store_b128 v[66:67], v[175:178], off
	;; [unrolled: 4-line block ×9, first 2 shown]
	s_clause 0x1
	scratch_load_b128 v[76:79], v163, off
	scratch_load_b128 v[162:165], v162, off
	s_clause 0x11
	global_store_b128 v[80:81], v[195:198], off
	global_store_b128 v[82:83], v[0:3], off
	;; [unrolled: 1-line block ×18, first 2 shown]
	s_waitcnt vmcnt(20)
	global_store_b128 v[118:119], v[56:59], off
	s_waitcnt vmcnt(19)
	global_store_b128 v[120:121], v[36:39], off
	;; [unrolled: 2-line block ×21, first 2 shown]
	s_endpgm
	.section	.rodata,"a",@progbits
	.p2align	6, 0x0
	.amdhsa_kernel _ZN9rocsolver6v33100L18getri_kernel_smallILi58E19rocblas_complex_numIdEPKPS3_EEvT1_iilPiilS8_bb
		.amdhsa_group_segment_fixed_size 2888
		.amdhsa_private_segment_fixed_size 1072
		.amdhsa_kernarg_size 60
		.amdhsa_user_sgpr_count 15
		.amdhsa_user_sgpr_dispatch_ptr 1
		.amdhsa_user_sgpr_queue_ptr 0
		.amdhsa_user_sgpr_kernarg_segment_ptr 1
		.amdhsa_user_sgpr_dispatch_id 0
		.amdhsa_user_sgpr_private_segment_size 0
		.amdhsa_wavefront_size32 1
		.amdhsa_uses_dynamic_stack 0
		.amdhsa_enable_private_segment 1
		.amdhsa_system_sgpr_workgroup_id_x 1
		.amdhsa_system_sgpr_workgroup_id_y 0
		.amdhsa_system_sgpr_workgroup_id_z 0
		.amdhsa_system_sgpr_workgroup_info 0
		.amdhsa_system_vgpr_workitem_id 2
		.amdhsa_next_free_vgpr 256
		.amdhsa_next_free_sgpr 64
		.amdhsa_reserve_vcc 1
		.amdhsa_float_round_mode_32 0
		.amdhsa_float_round_mode_16_64 0
		.amdhsa_float_denorm_mode_32 3
		.amdhsa_float_denorm_mode_16_64 3
		.amdhsa_dx10_clamp 1
		.amdhsa_ieee_mode 1
		.amdhsa_fp16_overflow 0
		.amdhsa_workgroup_processor_mode 1
		.amdhsa_memory_ordered 1
		.amdhsa_forward_progress 0
		.amdhsa_shared_vgpr_count 0
		.amdhsa_exception_fp_ieee_invalid_op 0
		.amdhsa_exception_fp_denorm_src 0
		.amdhsa_exception_fp_ieee_div_zero 0
		.amdhsa_exception_fp_ieee_overflow 0
		.amdhsa_exception_fp_ieee_underflow 0
		.amdhsa_exception_fp_ieee_inexact 0
		.amdhsa_exception_int_div_zero 0
	.end_amdhsa_kernel
	.section	.text._ZN9rocsolver6v33100L18getri_kernel_smallILi58E19rocblas_complex_numIdEPKPS3_EEvT1_iilPiilS8_bb,"axG",@progbits,_ZN9rocsolver6v33100L18getri_kernel_smallILi58E19rocblas_complex_numIdEPKPS3_EEvT1_iilPiilS8_bb,comdat
.Lfunc_end121:
	.size	_ZN9rocsolver6v33100L18getri_kernel_smallILi58E19rocblas_complex_numIdEPKPS3_EEvT1_iilPiilS8_bb, .Lfunc_end121-_ZN9rocsolver6v33100L18getri_kernel_smallILi58E19rocblas_complex_numIdEPKPS3_EEvT1_iilPiilS8_bb
                                        ; -- End function
	.section	.AMDGPU.csdata,"",@progbits
; Kernel info:
; codeLenInByte = 149464
; NumSgprs: 66
; NumVgprs: 256
; ScratchSize: 1072
; MemoryBound: 0
; FloatMode: 240
; IeeeMode: 1
; LDSByteSize: 2888 bytes/workgroup (compile time only)
; SGPRBlocks: 8
; VGPRBlocks: 31
; NumSGPRsForWavesPerEU: 66
; NumVGPRsForWavesPerEU: 256
; Occupancy: 5
; WaveLimiterHint : 1
; COMPUTE_PGM_RSRC2:SCRATCH_EN: 1
; COMPUTE_PGM_RSRC2:USER_SGPR: 15
; COMPUTE_PGM_RSRC2:TRAP_HANDLER: 0
; COMPUTE_PGM_RSRC2:TGID_X_EN: 1
; COMPUTE_PGM_RSRC2:TGID_Y_EN: 0
; COMPUTE_PGM_RSRC2:TGID_Z_EN: 0
; COMPUTE_PGM_RSRC2:TIDIG_COMP_CNT: 2
	.section	.text._ZN9rocsolver6v33100L18getri_kernel_smallILi59E19rocblas_complex_numIdEPKPS3_EEvT1_iilPiilS8_bb,"axG",@progbits,_ZN9rocsolver6v33100L18getri_kernel_smallILi59E19rocblas_complex_numIdEPKPS3_EEvT1_iilPiilS8_bb,comdat
	.globl	_ZN9rocsolver6v33100L18getri_kernel_smallILi59E19rocblas_complex_numIdEPKPS3_EEvT1_iilPiilS8_bb ; -- Begin function _ZN9rocsolver6v33100L18getri_kernel_smallILi59E19rocblas_complex_numIdEPKPS3_EEvT1_iilPiilS8_bb
	.p2align	8
	.type	_ZN9rocsolver6v33100L18getri_kernel_smallILi59E19rocblas_complex_numIdEPKPS3_EEvT1_iilPiilS8_bb,@function
_ZN9rocsolver6v33100L18getri_kernel_smallILi59E19rocblas_complex_numIdEPKPS3_EEvT1_iilPiilS8_bb: ; @_ZN9rocsolver6v33100L18getri_kernel_smallILi59E19rocblas_complex_numIdEPKPS3_EEvT1_iilPiilS8_bb
; %bb.0:
	v_and_b32_e32 v164, 0x3ff, v0
	s_mov_b32 s4, exec_lo
	s_delay_alu instid0(VALU_DEP_1)
	v_cmpx_gt_u32_e32 59, v164
	s_cbranch_execz .LBB122_250
; %bb.1:
	s_mov_b32 s10, s15
	s_clause 0x2
	s_load_b32 s15, s[2:3], 0x38
	s_load_b64 s[8:9], s[2:3], 0x0
	s_load_b128 s[4:7], s[2:3], 0x28
	s_waitcnt lgkmcnt(0)
	s_bitcmp1_b32 s15, 8
	s_cselect_b32 s14, -1, 0
	s_ashr_i32 s11, s10, 31
	s_delay_alu instid0(SALU_CYCLE_1) | instskip(NEXT) | instid1(SALU_CYCLE_1)
	s_lshl_b64 s[12:13], s[10:11], 3
	s_add_u32 s8, s8, s12
	s_addc_u32 s9, s9, s13
	s_load_b64 s[12:13], s[8:9], 0x0
	s_bfe_u32 s8, s15, 0x10008
	s_delay_alu instid0(SALU_CYCLE_1)
	s_cmp_eq_u32 s8, 0
                                        ; implicit-def: $sgpr8_sgpr9
	s_cbranch_scc1 .LBB122_3
; %bb.2:
	s_clause 0x1
	s_load_b32 s8, s[2:3], 0x20
	s_load_b64 s[16:17], s[2:3], 0x18
	s_mul_i32 s5, s10, s5
	s_mul_hi_u32 s9, s10, s4
	s_mul_i32 s18, s11, s4
	s_add_i32 s5, s9, s5
	s_mul_i32 s4, s10, s4
	s_add_i32 s5, s5, s18
	s_delay_alu instid0(SALU_CYCLE_1)
	s_lshl_b64 s[4:5], s[4:5], 2
	s_waitcnt lgkmcnt(0)
	s_ashr_i32 s9, s8, 31
	s_add_u32 s16, s16, s4
	s_addc_u32 s17, s17, s5
	s_lshl_b64 s[4:5], s[8:9], 2
	s_delay_alu instid0(SALU_CYCLE_1)
	s_add_u32 s8, s16, s4
	s_addc_u32 s9, s17, s5
.LBB122_3:
	s_load_b64 s[2:3], s[2:3], 0x8
	v_lshlrev_b32_e32 v45, 4, v164
	s_movk_i32 s20, 0xf0
	s_movk_i32 s24, 0x130
	;; [unrolled: 1-line block ×18, first 2 shown]
	s_waitcnt lgkmcnt(0)
	v_add3_u32 v5, s3, s3, v164
	s_ashr_i32 s5, s2, 31
	s_mov_b32 s4, s2
	s_mov_b32 s16, s3
	s_lshl_b64 s[4:5], s[4:5], 4
	v_add_nc_u32_e32 v7, s3, v5
	s_add_u32 s4, s12, s4
	v_ashrrev_i32_e32 v6, 31, v5
	s_addc_u32 s5, s13, s5
	v_add_co_u32 v46, s2, s4, v45
	s_ashr_i32 s17, s3, 31
	v_add_co_ci_u32_e64 v47, null, s5, 0, s2
	v_add_nc_u32_e32 v9, s3, v7
	s_lshl_b64 s[12:13], s[16:17], 4
	v_ashrrev_i32_e32 v8, 31, v7
	v_lshlrev_b64 v[5:6], 4, v[5:6]
	v_add_co_u32 v14, vcc_lo, v46, s12
	v_add_co_ci_u32_e32 v15, vcc_lo, s13, v47, vcc_lo
	v_add_nc_u32_e32 v13, s3, v9
	v_lshlrev_b64 v[11:12], 4, v[7:8]
	v_ashrrev_i32_e32 v10, 31, v9
	v_add_co_u32 v17, vcc_lo, s4, v5
	global_load_b128 v[1:4], v45, s[4:5]
	v_add_co_ci_u32_e32 v18, vcc_lo, s5, v6, vcc_lo
	global_load_b128 v[5:8], v[14:15], off
	scratch_store_b64 off, v[14:15], off offset:1024 ; 8-byte Folded Spill
	v_ashrrev_i32_e32 v14, 31, v13
	v_add_nc_u32_e32 v15, s3, v13
	v_lshlrev_b64 v[9:10], 4, v[9:10]
	v_add_co_u32 v19, vcc_lo, s4, v11
	v_add_co_ci_u32_e32 v20, vcc_lo, s5, v12, vcc_lo
	scratch_store_b64 off, v[17:18], off offset:1032 ; 8-byte Folded Spill
	v_lshlrev_b64 v[11:12], 4, v[13:14]
	v_ashrrev_i32_e32 v16, 31, v15
	v_add_nc_u32_e32 v13, s3, v15
	v_add_co_u32 v21, vcc_lo, s4, v9
	v_add_co_ci_u32_e32 v22, vcc_lo, s5, v10, vcc_lo
	scratch_store_b64 off, v[19:20], off offset:1040 ; 8-byte Folded Spill
	v_lshlrev_b64 v[9:10], 4, v[15:16]
	v_ashrrev_i32_e32 v14, 31, v13
	scratch_store_b64 off, v[21:22], off offset:1048 ; 8-byte Folded Spill
	v_add_nc_u32_e32 v15, s3, v13
	v_add_co_u32 v23, vcc_lo, s4, v11
	v_add_co_ci_u32_e32 v24, vcc_lo, s5, v12, vcc_lo
	v_lshlrev_b64 v[11:12], 4, v[13:14]
	s_delay_alu instid0(VALU_DEP_4) | instskip(SKIP_3) | instid1(VALU_DEP_4)
	v_ashrrev_i32_e32 v16, 31, v15
	v_add_nc_u32_e32 v13, s3, v15
	v_add_co_u32 v25, vcc_lo, s4, v9
	v_add_co_ci_u32_e32 v26, vcc_lo, s5, v10, vcc_lo
	v_lshlrev_b64 v[9:10], 4, v[15:16]
	s_delay_alu instid0(VALU_DEP_4) | instskip(SKIP_3) | instid1(VALU_DEP_4)
	v_ashrrev_i32_e32 v14, 31, v13
	;; [unrolled: 6-line block ×6, first 2 shown]
	v_add_nc_u32_e32 v15, s3, v13
	v_add_co_u32 v68, vcc_lo, s4, v11
	v_add_co_ci_u32_e32 v69, vcc_lo, s5, v12, vcc_lo
	v_lshlrev_b64 v[11:12], 4, v[13:14]
	s_delay_alu instid0(VALU_DEP_4)
	v_ashrrev_i32_e32 v16, 31, v15
	v_add_nc_u32_e32 v13, s3, v15
	v_add_co_u32 v70, vcc_lo, s4, v9
	s_clause 0x3
	global_load_b128 v[134:137], v[17:18], off
	global_load_b128 v[138:141], v[19:20], off
	;; [unrolled: 1-line block ×4, first 2 shown]
	v_add_co_ci_u32_e32 v71, vcc_lo, s5, v10, vcc_lo
	v_lshlrev_b64 v[9:10], 4, v[15:16]
	v_ashrrev_i32_e32 v14, 31, v13
	v_add_nc_u32_e32 v15, s3, v13
	v_add_co_u32 v72, vcc_lo, s4, v11
	v_add_co_ci_u32_e32 v73, vcc_lo, s5, v12, vcc_lo
	s_delay_alu instid0(VALU_DEP_4) | instskip(NEXT) | instid1(VALU_DEP_4)
	v_lshlrev_b64 v[11:12], 4, v[13:14]
	v_ashrrev_i32_e32 v16, 31, v15
	v_add_nc_u32_e32 v13, s3, v15
	v_add_co_u32 v74, vcc_lo, s4, v9
	v_add_co_ci_u32_e32 v75, vcc_lo, s5, v10, vcc_lo
	s_delay_alu instid0(VALU_DEP_4) | instskip(NEXT) | instid1(VALU_DEP_4)
	v_lshlrev_b64 v[9:10], 4, v[15:16]
	v_ashrrev_i32_e32 v14, 31, v13
	v_add_nc_u32_e32 v15, s3, v13
	s_clause 0x1
	global_load_b128 v[150:153], v[25:26], off
	global_load_b128 v[154:157], v[78:79], off
	v_add_co_u32 v76, vcc_lo, s4, v11
	v_add_co_ci_u32_e32 v77, vcc_lo, s5, v12, vcc_lo
	v_lshlrev_b64 v[11:12], 4, v[13:14]
	v_ashrrev_i32_e32 v16, 31, v15
	v_add_nc_u32_e32 v13, s3, v15
	v_add_co_u32 v80, vcc_lo, s4, v9
	v_add_co_ci_u32_e32 v81, vcc_lo, s5, v10, vcc_lo
	s_delay_alu instid0(VALU_DEP_4) | instskip(NEXT) | instid1(VALU_DEP_4)
	v_lshlrev_b64 v[9:10], 4, v[15:16]
	v_ashrrev_i32_e32 v14, 31, v13
	v_add_nc_u32_e32 v15, s3, v13
	v_add_co_u32 v254, vcc_lo, s4, v11
	v_add_co_ci_u32_e32 v255, vcc_lo, s5, v12, vcc_lo
	s_delay_alu instid0(VALU_DEP_4) | instskip(NEXT) | instid1(VALU_DEP_4)
	;; [unrolled: 6-line block ×3, first 2 shown]
	v_lshlrev_b64 v[9:10], 4, v[15:16]
	v_ashrrev_i32_e32 v14, 31, v13
	v_add_nc_u32_e32 v15, s3, v13
	v_add_co_u32 v84, vcc_lo, s4, v11
	v_add_co_ci_u32_e32 v85, vcc_lo, s5, v12, vcc_lo
	s_delay_alu instid0(VALU_DEP_4)
	v_lshlrev_b64 v[11:12], 4, v[13:14]
	v_add_co_u32 v86, vcc_lo, s4, v9
	v_add_nc_u32_e32 v9, s3, v15
	v_ashrrev_i32_e32 v16, 31, v15
	v_add_co_ci_u32_e32 v87, vcc_lo, s5, v10, vcc_lo
	v_add_co_u32 v88, vcc_lo, s4, v11
	s_delay_alu instid0(VALU_DEP_4)
	v_ashrrev_i32_e32 v10, 31, v9
	v_add_co_ci_u32_e32 v89, vcc_lo, s5, v12, vcc_lo
	v_lshlrev_b64 v[11:12], 4, v[15:16]
	s_clause 0x2
	scratch_store_b64 off, v[23:24], off offset:1056
	scratch_store_b64 off, v[25:26], off offset:1064
	;; [unrolled: 1-line block ×3, first 2 shown]
	s_clause 0x1
	global_load_b128 v[158:161], v[27:28], off
	global_load_b128 v[165:168], v[64:65], off
	v_add_nc_u32_e32 v13, s3, v9
	v_lshlrev_b64 v[9:10], 4, v[9:10]
	v_add_co_u32 v90, vcc_lo, s4, v11
	v_add_co_ci_u32_e32 v91, vcc_lo, s5, v12, vcc_lo
	s_delay_alu instid0(VALU_DEP_4) | instskip(NEXT) | instid1(VALU_DEP_4)
	v_ashrrev_i32_e32 v14, 31, v13
	v_add_co_u32 v92, vcc_lo, s4, v9
	v_add_nc_u32_e32 v9, s3, v13
	v_add_co_ci_u32_e32 v93, vcc_lo, s5, v10, vcc_lo
	s_delay_alu instid0(VALU_DEP_4)
	v_lshlrev_b64 v[11:12], 4, v[13:14]
	global_load_b128 v[169:172], v[66:67], off
	v_ashrrev_i32_e32 v10, 31, v9
	s_clause 0x4
	global_load_b128 v[173:176], v[68:69], off
	global_load_b128 v[177:180], v[70:71], off
	;; [unrolled: 1-line block ×5, first 2 shown]
	v_add_co_u32 v94, vcc_lo, s4, v11
	v_lshlrev_b64 v[13:14], 4, v[9:10]
	scratch_store_b64 off, v[17:18], off offset:1080 ; 8-byte Folded Spill
	v_add_co_ci_u32_e32 v95, vcc_lo, s5, v12, vcc_lo
	s_clause 0x5
	global_load_b128 v[193:196], v[80:81], off
	global_load_b128 v[197:200], v[254:255], off
	;; [unrolled: 1-line block ×6, first 2 shown]
	v_add_co_u32 v96, vcc_lo, s4, v13
	v_add_co_ci_u32_e32 v97, vcc_lo, s5, v14, vcc_lo
	s_clause 0x3
	global_load_b128 v[217:220], v[90:91], off
	global_load_b128 v[221:224], v[92:93], off
	;; [unrolled: 1-line block ×4, first 2 shown]
	v_add_nc_u32_e32 v9, s3, v9
	s_movk_i32 s42, 0x240
	s_movk_i32 s45, 0x270
	;; [unrolled: 1-line block ×4, first 2 shown]
	v_add_nc_u32_e32 v11, s3, v9
	v_ashrrev_i32_e32 v10, 31, v9
	s_movk_i32 s13, 0xa0
	s_movk_i32 s16, 0xb0
	;; [unrolled: 1-line block ×3, first 2 shown]
	v_add_nc_u32_e32 v13, s3, v11
	v_ashrrev_i32_e32 v12, 31, v11
	v_lshlrev_b64 v[9:10], 4, v[9:10]
	s_movk_i32 s18, 0xd0
	s_movk_i32 s19, 0xe0
	v_add_nc_u32_e32 v15, s3, v13
	v_ashrrev_i32_e32 v14, 31, v13
	v_lshlrev_b64 v[11:12], 4, v[11:12]
	v_add_co_u32 v98, vcc_lo, s4, v9
	s_delay_alu instid0(VALU_DEP_4) | instskip(SKIP_3) | instid1(VALU_DEP_4)
	v_add_nc_u32_e32 v17, s3, v15
	v_ashrrev_i32_e32 v16, 31, v15
	v_lshlrev_b64 v[13:14], 4, v[13:14]
	v_add_co_ci_u32_e32 v99, vcc_lo, s5, v10, vcc_lo
	v_add_nc_u32_e32 v21, s3, v17
	v_ashrrev_i32_e32 v18, 31, v17
	v_add_co_u32 v100, vcc_lo, s4, v11
	v_lshlrev_b64 v[15:16], 4, v[15:16]
	s_delay_alu instid0(VALU_DEP_4) | instskip(SKIP_3) | instid1(VALU_DEP_4)
	v_add_nc_u32_e32 v25, s3, v21
	v_ashrrev_i32_e32 v22, 31, v21
	v_add_co_ci_u32_e32 v101, vcc_lo, s5, v12, vcc_lo
	v_add_co_u32 v102, vcc_lo, s4, v13
	v_add_nc_u32_e32 v29, s3, v25
	v_lshlrev_b64 v[23:24], 4, v[17:18]
	v_ashrrev_i32_e32 v26, 31, v25
	v_add_co_ci_u32_e32 v103, vcc_lo, s5, v14, vcc_lo
	s_delay_alu instid0(VALU_DEP_4) | instskip(SKIP_3) | instid1(VALU_DEP_4)
	v_add_nc_u32_e32 v33, s3, v29
	v_add_co_u32 v104, vcc_lo, s4, v15
	v_lshlrev_b64 v[21:22], 4, v[21:22]
	v_ashrrev_i32_e32 v30, 31, v29
	v_add_nc_u32_e32 v37, s3, v33
	v_add_co_ci_u32_e32 v105, vcc_lo, s5, v16, vcc_lo
	v_add_co_u32 v106, vcc_lo, s4, v23
	v_lshlrev_b64 v[31:32], 4, v[25:26]
	s_delay_alu instid0(VALU_DEP_4)
	v_add_nc_u32_e32 v41, s3, v37
	v_ashrrev_i32_e32 v34, 31, v33
	v_add_co_ci_u32_e32 v107, vcc_lo, s5, v24, vcc_lo
	v_add_co_u32 v108, vcc_lo, s4, v21
	v_lshlrev_b64 v[29:30], 4, v[29:30]
	v_ashrrev_i32_e32 v38, 31, v37
	v_add_co_ci_u32_e32 v109, vcc_lo, s5, v22, vcc_lo
	v_add_nc_u32_e32 v48, s3, v41
	v_add_co_u32 v110, vcc_lo, s4, v31
	v_lshlrev_b64 v[39:40], 4, v[33:34]
	v_ashrrev_i32_e32 v42, 31, v41
	v_add_co_ci_u32_e32 v111, vcc_lo, s5, v32, vcc_lo
	v_add_co_u32 v112, vcc_lo, s4, v29
	v_lshlrev_b64 v[37:38], 4, v[37:38]
	v_add_nc_u32_e32 v52, s3, v48
	v_add_co_ci_u32_e32 v113, vcc_lo, s5, v30, vcc_lo
	v_add_co_u32 v114, vcc_lo, s4, v39
	v_lshlrev_b64 v[50:51], 4, v[41:42]
	v_ashrrev_i32_e32 v49, 31, v48
	v_add_co_ci_u32_e32 v115, vcc_lo, s5, v40, vcc_lo
	v_add_co_u32 v116, vcc_lo, s4, v37
	v_ashrrev_i32_e32 v53, 31, v52
	v_add_nc_u32_e32 v54, s3, v52
	v_add_co_ci_u32_e32 v117, vcc_lo, s5, v38, vcc_lo
	v_lshlrev_b64 v[48:49], 4, v[48:49]
	v_add_co_u32 v118, vcc_lo, s4, v50
	v_add_co_ci_u32_e32 v119, vcc_lo, s5, v51, vcc_lo
	v_lshlrev_b64 v[50:51], 4, v[52:53]
	v_add_nc_u32_e32 v52, s3, v54
	v_ashrrev_i32_e32 v55, 31, v54
	v_add_co_u32 v120, vcc_lo, s4, v48
	v_add_co_ci_u32_e32 v121, vcc_lo, s5, v49, vcc_lo
	s_delay_alu instid0(VALU_DEP_4) | instskip(NEXT) | instid1(VALU_DEP_4)
	v_ashrrev_i32_e32 v53, 31, v52
	v_lshlrev_b64 v[48:49], 4, v[54:55]
	v_add_nc_u32_e32 v54, s3, v52
	v_add_co_u32 v122, vcc_lo, s4, v50
	v_add_co_ci_u32_e32 v123, vcc_lo, s5, v51, vcc_lo
	v_lshlrev_b64 v[50:51], 4, v[52:53]
	s_delay_alu instid0(VALU_DEP_4)
	v_ashrrev_i32_e32 v55, 31, v54
	v_add_nc_u32_e32 v52, s3, v54
	v_add_co_u32 v124, vcc_lo, s4, v48
	global_load_b128 v[9:12], v[98:99], off
	v_add_co_ci_u32_e32 v125, vcc_lo, s5, v49, vcc_lo
	v_lshlrev_b64 v[48:49], 4, v[54:55]
	v_ashrrev_i32_e32 v53, 31, v52
	v_add_nc_u32_e32 v54, s3, v52
	v_add_co_u32 v126, vcc_lo, s4, v50
	v_add_co_ci_u32_e32 v127, vcc_lo, s5, v51, vcc_lo
	s_delay_alu instid0(VALU_DEP_4) | instskip(NEXT) | instid1(VALU_DEP_4)
	v_lshlrev_b64 v[50:51], 4, v[52:53]
	v_ashrrev_i32_e32 v55, 31, v54
	v_add_nc_u32_e32 v52, s3, v54
	v_add_co_u32 v128, vcc_lo, s4, v48
	s_clause 0x3
	global_load_b128 v[17:20], v[100:101], off
	global_load_b128 v[13:16], v[102:103], off
	;; [unrolled: 1-line block ×4, first 2 shown]
	v_add_co_ci_u32_e32 v129, vcc_lo, s5, v49, vcc_lo
	v_lshlrev_b64 v[48:49], 4, v[54:55]
	v_add_nc_u32_e32 v54, s3, v52
	s_clause 0x1
	global_load_b128 v[33:36], v[108:109], off
	global_load_b128 v[29:32], v[110:111], off
	v_ashrrev_i32_e32 v53, 31, v52
	v_add_co_u32 v130, vcc_lo, s4, v50
	v_add_nc_u32_e32 v56, s3, v54
	v_add_co_ci_u32_e32 v131, vcc_lo, s5, v51, vcc_lo
	v_ashrrev_i32_e32 v55, 31, v54
	s_clause 0x1
	global_load_b128 v[41:44], v[112:113], off
	global_load_b128 v[37:40], v[114:115], off
	v_add_nc_u32_e32 v60, s3, v56
	s_clause 0x3
	global_load_b128 v[233:236], v[116:117], off
	global_load_b128 v[237:240], v[118:119], off
	;; [unrolled: 1-line block ×4, first 2 shown]
	s_waitcnt vmcnt(38)
	scratch_store_b128 off, v[1:4], off
	v_add_co_u32 v132, vcc_lo, s4, v48
	v_add_nc_u32_e32 v82, s3, v60
	s_clause 0x1
	global_load_b128 v[1:4], v[124:125], off
	global_load_b128 v[249:252], v[126:127], off
	s_waitcnt vmcnt(39)
	scratch_store_b128 off, v[5:8], off offset:16
	v_lshlrev_b64 v[52:53], 4, v[52:53]
	s_waitcnt vmcnt(38)
	scratch_store_b128 off, v[134:137], off offset:32
	s_waitcnt vmcnt(37)
	scratch_store_b128 off, v[138:141], off offset:48
	v_add_co_ci_u32_e32 v133, vcc_lo, s5, v49, vcc_lo
	s_clause 0x1
	global_load_b128 v[5:8], v[128:129], off
	global_load_b128 v[48:51], v[130:131], off
	v_ashrrev_i32_e32 v57, 31, v56
	s_waitcnt vmcnt(38)
	scratch_store_b128 off, v[142:145], off offset:64
	v_add_nc_u32_e32 v142, s3, v82
	v_lshlrev_b64 v[54:55], 4, v[54:55]
	v_ashrrev_i32_e32 v61, 31, v60
	v_add_co_u32 v134, vcc_lo, s4, v52
	v_lshlrev_b64 v[62:63], 4, v[56:57]
	v_add_nc_u32_e32 v144, s3, v142
	v_ashrrev_i32_e32 v83, 31, v82
	v_add_co_ci_u32_e32 v135, vcc_lo, s5, v53, vcc_lo
	v_add_co_u32 v136, vcc_lo, s4, v54
	v_lshlrev_b64 v[60:61], 4, v[60:61]
	v_add_co_ci_u32_e32 v137, vcc_lo, s5, v55, vcc_lo
	s_waitcnt vmcnt(37)
	scratch_store_b128 off, v[146:149], off offset:80
	s_waitcnt vmcnt(36)
	scratch_store_b128 off, v[150:153], off offset:96
	v_add_nc_u32_e32 v148, s3, v144
	v_add_co_u32 v138, vcc_lo, s4, v62
	v_lshlrev_b64 v[82:83], 4, v[82:83]
	v_ashrrev_i32_e32 v143, 31, v142
	v_add_co_ci_u32_e32 v139, vcc_lo, s5, v63, vcc_lo
	v_add_co_u32 v140, vcc_lo, s4, v60
	v_ashrrev_i32_e32 v145, 31, v144
	v_add_nc_u32_e32 v150, s3, v148
	v_add_co_ci_u32_e32 v141, vcc_lo, s5, v61, vcc_lo
	v_lshlrev_b64 v[146:147], 4, v[142:143]
	v_add_co_u32 v142, vcc_lo, s4, v82
	v_add_co_ci_u32_e32 v143, vcc_lo, s5, v83, vcc_lo
	v_lshlrev_b64 v[82:83], 4, v[144:145]
	v_ashrrev_i32_e32 v149, 31, v148
	v_add_nc_u32_e32 v152, s3, v150
	v_add_co_u32 v144, vcc_lo, s4, v146
	v_ashrrev_i32_e32 v151, 31, v150
	v_add_co_ci_u32_e32 v145, vcc_lo, s5, v147, vcc_lo
	v_lshlrev_b64 v[148:149], 4, v[148:149]
	s_clause 0x1
	global_load_b128 v[52:55], v[132:133], off
	global_load_b128 v[56:59], v[134:135], off
	s_waitcnt vmcnt(37)
	scratch_store_b128 off, v[154:157], off offset:112
	v_add_co_u32 v146, vcc_lo, s4, v82
	v_add_nc_u32_e32 v154, s3, v152
	v_add_co_ci_u32_e32 v147, vcc_lo, s5, v83, vcc_lo
	v_lshlrev_b64 v[82:83], 4, v[150:151]
	v_ashrrev_i32_e32 v153, 31, v152
	v_add_co_u32 v148, vcc_lo, s4, v148
	v_ashrrev_i32_e32 v155, 31, v154
	v_add_co_ci_u32_e32 v149, vcc_lo, s5, v149, vcc_lo
	s_delay_alu instid0(VALU_DEP_4)
	v_lshlrev_b64 v[152:153], 4, v[152:153]
	v_add_co_u32 v150, vcc_lo, s4, v82
	v_add_co_ci_u32_e32 v151, vcc_lo, s5, v83, vcc_lo
	v_lshlrev_b64 v[82:83], 4, v[154:155]
	v_add_nc_u32_e32 v156, s3, v154
	v_add_co_u32 v152, vcc_lo, s4, v152
	v_add_co_ci_u32_e32 v153, vcc_lo, s5, v153, vcc_lo
	s_delay_alu instid0(VALU_DEP_4) | instskip(NEXT) | instid1(VALU_DEP_4)
	v_add_co_u32 v154, vcc_lo, s4, v82
	v_add_nc_u32_e32 v82, s3, v156
	v_ashrrev_i32_e32 v157, 31, v156
	s_waitcnt vmcnt(36)
	scratch_store_b128 off, v[158:161], off offset:128
	s_waitcnt vmcnt(35)
	scratch_store_b128 off, v[165:168], off offset:144
	v_add_co_ci_u32_e32 v155, vcc_lo, s5, v83, vcc_lo
	v_add_nc_u32_e32 v158, s3, v82
	v_ashrrev_i32_e32 v83, 31, v82
	v_lshlrev_b64 v[156:157], 4, v[156:157]
	s_clause 0x1
	global_load_b128 v[165:168], v[136:137], off
	global_load_b128 v[60:63], v[138:139], off
	s_movk_i32 s21, 0x100
	v_add_nc_u32_e32 v160, s3, v158
	v_lshlrev_b64 v[82:83], 4, v[82:83]
	v_ashrrev_i32_e32 v159, 31, v158
	v_add_co_u32 v156, vcc_lo, s4, v156
	s_delay_alu instid0(VALU_DEP_4) | instskip(SKIP_1) | instid1(VALU_DEP_4)
	v_ashrrev_i32_e32 v161, 31, v160
	v_add_co_ci_u32_e32 v157, vcc_lo, s5, v157, vcc_lo
	v_lshlrev_b64 v[162:163], 4, v[158:159]
	v_add_co_u32 v158, vcc_lo, s4, v82
	v_add_co_ci_u32_e32 v159, vcc_lo, s5, v83, vcc_lo
	v_lshlrev_b64 v[82:83], 4, v[160:161]
	s_delay_alu instid0(VALU_DEP_4)
	v_add_co_u32 v160, vcc_lo, s4, v162
	s_waitcnt vmcnt(36)
	scratch_store_b128 off, v[169:172], off offset:160
	s_waitcnt vmcnt(35)
	scratch_store_b128 off, v[173:176], off offset:176
	;; [unrolled: 2-line block ×3, first 2 shown]
	v_add_co_ci_u32_e32 v161, vcc_lo, s5, v163, vcc_lo
	s_clause 0x1
	global_load_b128 v[169:172], v[140:141], off
	global_load_b128 v[173:176], v[142:143], off
	s_waitcnt vmcnt(35)
	scratch_store_b128 off, v[181:184], off offset:208
	s_waitcnt vmcnt(34)
	scratch_store_b128 off, v[185:188], off offset:224
	;; [unrolled: 2-line block ×3, first 2 shown]
	v_add_co_u32 v162, vcc_lo, s4, v82
	s_clause 0x1
	global_load_b128 v[177:180], v[144:145], off
	global_load_b128 v[181:184], v[146:147], off
	s_waitcnt vmcnt(34)
	scratch_store_b128 off, v[193:196], off offset:256
	s_waitcnt vmcnt(33)
	scratch_store_b128 off, v[197:200], off offset:272
	;; [unrolled: 2-line block ×6, first 2 shown]
	s_clause 0x3
	global_load_b128 v[185:188], v[148:149], off
	global_load_b128 v[189:192], v[150:151], off
	;; [unrolled: 1-line block ×4, first 2 shown]
	v_add_co_ci_u32_e32 v163, vcc_lo, s5, v83, vcc_lo
	s_waitcnt vmcnt(32)
	scratch_store_b128 off, v[217:220], off offset:352
	s_waitcnt vmcnt(31)
	scratch_store_b128 off, v[221:224], off offset:368
	s_clause 0x1
	global_load_b128 v[201:204], v[156:157], off
	global_load_b128 v[205:208], v[158:159], off
	s_waitcnt vmcnt(32)
	scratch_store_b128 off, v[225:228], off offset:384
	s_waitcnt vmcnt(31)
	scratch_store_b128 off, v[229:232], off offset:400
	s_clause 0x1
	global_load_b128 v[223:226], v[160:161], off
	global_load_b128 v[227:230], v[162:163], off
	s_movk_i32 s3, 0x60
	s_movk_i32 s4, 0x70
	;; [unrolled: 1-line block ×26, first 2 shown]
	v_add_nc_u32_e64 v222, 0, 16
	v_add_nc_u32_e64 v221, 0, 32
	;; [unrolled: 1-line block ×17, first 2 shown]
	s_bitcmp0_b32 s15, 0
	s_mov_b32 s3, -1
	s_waitcnt vmcnt(32)
	scratch_store_b128 off, v[9:12], off offset:416
	v_add_nc_u32_e64 v9, s20, 0
	scratch_store_b32 off, v9, off offset:1020 ; 4-byte Folded Spill
	v_add_nc_u32_e64 v9, s24, 0
	scratch_store_b32 off, v9, off offset:1016 ; 4-byte Folded Spill
	v_add_nc_u32_e64 v9, s25, 0
	s_waitcnt vmcnt(31)
	scratch_store_b128 off, v[17:20], off offset:432
	s_waitcnt vmcnt(30)
	scratch_store_b128 off, v[13:16], off offset:448
	;; [unrolled: 2-line block ×3, first 2 shown]
	s_waitcnt vmcnt(28)
	s_clause 0x1
	scratch_store_b128 off, v[21:24], off offset:480
	scratch_store_b32 off, v9, off offset:1012
	s_waitcnt vmcnt(27)
	scratch_store_b128 off, v[33:36], off offset:496
	v_add_nc_u32_e64 v9, s26, 0
	scratch_store_b32 off, v9, off offset:1008 ; 4-byte Folded Spill
	v_add_nc_u32_e64 v9, s27, 0
	scratch_store_b32 off, v9, off offset:1004 ; 4-byte Folded Spill
	v_add_nc_u32_e64 v9, s28, 0
	scratch_store_b32 off, v9, off offset:1000 ; 4-byte Folded Spill
	v_add_nc_u32_e64 v9, s29, 0
	scratch_store_b32 off, v9, off offset:996 ; 4-byte Folded Spill
	s_waitcnt vmcnt(26)
	scratch_store_b128 off, v[29:32], off offset:512
	v_add_nc_u32_e64 v9, s30, 0
	scratch_store_b32 off, v9, off offset:992 ; 4-byte Folded Spill
	v_add_nc_u32_e64 v9, s31, 0
	scratch_store_b32 off, v9, off offset:988 ; 4-byte Folded Spill
	v_add_nc_u32_e64 v9, s33, 0
	scratch_store_b32 off, v9, off offset:984 ; 4-byte Folded Spill
	v_add_nc_u32_e64 v9, s34, 0
	scratch_store_b32 off, v9, off offset:980 ; 4-byte Folded Spill
	s_waitcnt vmcnt(25)
	scratch_store_b128 off, v[41:44], off offset:528
	v_add_nc_u32_e64 v9, s35, 0
	scratch_store_b32 off, v9, off offset:976 ; 4-byte Folded Spill
	v_add_nc_u32_e64 v9, s36, 0
	scratch_store_b32 off, v9, off offset:972 ; 4-byte Folded Spill
	v_add_nc_u32_e64 v9, s37, 0
	scratch_store_b32 off, v9, off offset:968 ; 4-byte Folded Spill
	v_add_nc_u32_e64 v9, s38, 0
	scratch_store_b32 off, v9, off offset:964 ; 4-byte Folded Spill
	s_waitcnt vmcnt(24)
	scratch_store_b128 off, v[37:40], off offset:544
	v_add_nc_u32_e64 v9, s39, 0
	scratch_store_b32 off, v9, off offset:960 ; 4-byte Folded Spill
	v_add_nc_u32_e64 v9, s40, 0
	scratch_store_b32 off, v9, off offset:956 ; 4-byte Folded Spill
	v_add_nc_u32_e64 v9, s41, 0
	scratch_store_b32 off, v9, off offset:952 ; 4-byte Folded Spill
	v_add_nc_u32_e64 v9, s42, 0
	scratch_store_b32 off, v9, off offset:948 ; 4-byte Folded Spill
	s_waitcnt vmcnt(23)
	scratch_store_b128 off, v[233:236], off offset:560
	v_add_nc_u32_e64 v9, s45, 0
	v_add_nc_u32_e64 v233, s43, 0
	;; [unrolled: 1-line block ×4, first 2 shown]
	s_waitcnt vmcnt(22)
	s_clause 0x1
	scratch_store_b128 off, v[237:240], off offset:576
	scratch_store_b32 off, v9, off offset:944
	v_add_nc_u32_e64 v234, s47, 0
	s_waitcnt vmcnt(21)
	scratch_store_b128 off, v[241:244], off offset:592
	s_waitcnt vmcnt(20)
	scratch_store_b128 off, v[245:248], off offset:608
	;; [unrolled: 2-line block ×19, first 2 shown]
	v_add_nc_u32_e64 v179, s48, 0
	v_add_nc_u32_e64 v193, s49, 0
	;; [unrolled: 1-line block ×17, first 2 shown]
	s_waitcnt vmcnt(2)
	scratch_store_b128 off, v[205:208], off offset:896
	s_waitcnt vmcnt(1)
	scratch_store_b128 off, v[223:226], off offset:912
	;; [unrolled: 2-line block ×3, first 2 shown]
	s_cbranch_scc1 .LBB122_248
; %bb.4:
	v_cmp_eq_u32_e64 s2, 0, v164
	s_delay_alu instid0(VALU_DEP_1)
	s_and_saveexec_b32 s3, s2
	s_cbranch_execz .LBB122_6
; %bb.5:
	v_mov_b32_e32 v1, 0
	ds_store_b32 v1, v1 offset:1888
.LBB122_6:
	s_or_b32 exec_lo, exec_lo, s3
	s_waitcnt lgkmcnt(0)
	s_waitcnt_vscnt null, 0x0
	s_barrier
	buffer_gl0_inv
	scratch_load_b128 v[1:4], v45, off
	s_waitcnt vmcnt(0)
	v_cmp_eq_f64_e32 vcc_lo, 0, v[1:2]
	v_cmp_eq_f64_e64 s3, 0, v[3:4]
	s_delay_alu instid0(VALU_DEP_1) | instskip(NEXT) | instid1(SALU_CYCLE_1)
	s_and_b32 s3, vcc_lo, s3
	s_and_saveexec_b32 s4, s3
	s_cbranch_execz .LBB122_10
; %bb.7:
	v_mov_b32_e32 v1, 0
	s_mov_b32 s5, 0
	ds_load_b32 v2, v1 offset:1888
	s_waitcnt lgkmcnt(0)
	v_readfirstlane_b32 s3, v2
	v_add_nc_u32_e32 v2, 1, v164
	s_delay_alu instid0(VALU_DEP_2) | instskip(NEXT) | instid1(VALU_DEP_1)
	s_cmp_eq_u32 s3, 0
	v_cmp_gt_i32_e32 vcc_lo, s3, v2
	s_cselect_b32 s12, -1, 0
	s_delay_alu instid0(SALU_CYCLE_1) | instskip(NEXT) | instid1(SALU_CYCLE_1)
	s_or_b32 s12, s12, vcc_lo
	s_and_b32 exec_lo, exec_lo, s12
	s_cbranch_execz .LBB122_10
; %bb.8:
	v_mov_b32_e32 v3, s3
.LBB122_9:                              ; =>This Inner Loop Header: Depth=1
	ds_cmpstore_rtn_b32 v3, v1, v2, v3 offset:1888
	s_waitcnt lgkmcnt(0)
	v_cmp_ne_u32_e32 vcc_lo, 0, v3
	v_cmp_le_i32_e64 s3, v3, v2
	s_delay_alu instid0(VALU_DEP_1) | instskip(NEXT) | instid1(SALU_CYCLE_1)
	s_and_b32 s3, vcc_lo, s3
	s_and_b32 s3, exec_lo, s3
	s_delay_alu instid0(SALU_CYCLE_1) | instskip(NEXT) | instid1(SALU_CYCLE_1)
	s_or_b32 s5, s3, s5
	s_and_not1_b32 exec_lo, exec_lo, s5
	s_cbranch_execnz .LBB122_9
.LBB122_10:
	s_or_b32 exec_lo, exec_lo, s4
	v_mov_b32_e32 v1, 0
	s_barrier
	buffer_gl0_inv
	ds_load_b32 v2, v1 offset:1888
	s_and_saveexec_b32 s3, s2
	s_cbranch_execz .LBB122_12
; %bb.11:
	s_lshl_b64 s[4:5], s[10:11], 2
	s_delay_alu instid0(SALU_CYCLE_1)
	s_add_u32 s4, s6, s4
	s_addc_u32 s5, s7, s5
	s_waitcnt lgkmcnt(0)
	global_store_b32 v1, v2, s[4:5]
.LBB122_12:
	s_or_b32 exec_lo, exec_lo, s3
	s_waitcnt lgkmcnt(0)
	v_cmp_ne_u32_e32 vcc_lo, 0, v2
	s_mov_b32 s3, 0
	s_cbranch_vccnz .LBB122_248
; %bb.13:
	v_add_nc_u32_e32 v13, 0, v45
                                        ; implicit-def: $vgpr9_vgpr10
	scratch_load_b128 v[1:4], v13, off
	s_waitcnt vmcnt(0)
	v_cmp_gt_f64_e32 vcc_lo, 0, v[1:2]
	v_xor_b32_e32 v6, 0x80000000, v2
	v_xor_b32_e32 v7, 0x80000000, v4
	s_delay_alu instid0(VALU_DEP_2) | instskip(SKIP_1) | instid1(VALU_DEP_3)
	v_cndmask_b32_e32 v6, v2, v6, vcc_lo
	v_cmp_gt_f64_e32 vcc_lo, 0, v[3:4]
	v_dual_mov_b32 v5, v1 :: v_dual_cndmask_b32 v8, v4, v7
	v_mov_b32_e32 v7, v3
	s_delay_alu instid0(VALU_DEP_1) | instskip(SKIP_1) | instid1(SALU_CYCLE_1)
	v_cmp_ngt_f64_e32 vcc_lo, v[5:6], v[7:8]
                                        ; implicit-def: $vgpr5_vgpr6
	s_and_saveexec_b32 s3, vcc_lo
	s_xor_b32 s3, exec_lo, s3
	s_cbranch_execz .LBB122_15
; %bb.14:
	v_div_scale_f64 v[5:6], null, v[3:4], v[3:4], v[1:2]
	v_div_scale_f64 v[11:12], vcc_lo, v[1:2], v[3:4], v[1:2]
	s_delay_alu instid0(VALU_DEP_2) | instskip(SKIP_2) | instid1(VALU_DEP_1)
	v_rcp_f64_e32 v[7:8], v[5:6]
	s_waitcnt_depctr 0xfff
	v_fma_f64 v[9:10], -v[5:6], v[7:8], 1.0
	v_fma_f64 v[7:8], v[7:8], v[9:10], v[7:8]
	s_delay_alu instid0(VALU_DEP_1) | instskip(NEXT) | instid1(VALU_DEP_1)
	v_fma_f64 v[9:10], -v[5:6], v[7:8], 1.0
	v_fma_f64 v[7:8], v[7:8], v[9:10], v[7:8]
	s_delay_alu instid0(VALU_DEP_1) | instskip(NEXT) | instid1(VALU_DEP_1)
	v_mul_f64 v[9:10], v[11:12], v[7:8]
	v_fma_f64 v[5:6], -v[5:6], v[9:10], v[11:12]
	s_delay_alu instid0(VALU_DEP_1) | instskip(NEXT) | instid1(VALU_DEP_1)
	v_div_fmas_f64 v[5:6], v[5:6], v[7:8], v[9:10]
	v_div_fixup_f64 v[5:6], v[5:6], v[3:4], v[1:2]
	s_delay_alu instid0(VALU_DEP_1) | instskip(NEXT) | instid1(VALU_DEP_1)
	v_fma_f64 v[1:2], v[1:2], v[5:6], v[3:4]
	v_div_scale_f64 v[3:4], null, v[1:2], v[1:2], 1.0
	v_div_scale_f64 v[11:12], vcc_lo, 1.0, v[1:2], 1.0
	s_delay_alu instid0(VALU_DEP_2) | instskip(SKIP_2) | instid1(VALU_DEP_1)
	v_rcp_f64_e32 v[7:8], v[3:4]
	s_waitcnt_depctr 0xfff
	v_fma_f64 v[9:10], -v[3:4], v[7:8], 1.0
	v_fma_f64 v[7:8], v[7:8], v[9:10], v[7:8]
	s_delay_alu instid0(VALU_DEP_1) | instskip(NEXT) | instid1(VALU_DEP_1)
	v_fma_f64 v[9:10], -v[3:4], v[7:8], 1.0
	v_fma_f64 v[7:8], v[7:8], v[9:10], v[7:8]
	s_delay_alu instid0(VALU_DEP_1) | instskip(NEXT) | instid1(VALU_DEP_1)
	v_mul_f64 v[9:10], v[11:12], v[7:8]
	v_fma_f64 v[3:4], -v[3:4], v[9:10], v[11:12]
	s_delay_alu instid0(VALU_DEP_1) | instskip(NEXT) | instid1(VALU_DEP_1)
	v_div_fmas_f64 v[3:4], v[3:4], v[7:8], v[9:10]
	v_div_fixup_f64 v[7:8], v[3:4], v[1:2], 1.0
                                        ; implicit-def: $vgpr1_vgpr2
	s_delay_alu instid0(VALU_DEP_1) | instskip(SKIP_1) | instid1(VALU_DEP_2)
	v_mul_f64 v[5:6], v[5:6], v[7:8]
	v_xor_b32_e32 v8, 0x80000000, v8
	v_xor_b32_e32 v10, 0x80000000, v6
	s_delay_alu instid0(VALU_DEP_3)
	v_mov_b32_e32 v9, v5
.LBB122_15:
	s_and_not1_saveexec_b32 s3, s3
	s_cbranch_execz .LBB122_17
; %bb.16:
	v_div_scale_f64 v[5:6], null, v[1:2], v[1:2], v[3:4]
	v_div_scale_f64 v[11:12], vcc_lo, v[3:4], v[1:2], v[3:4]
	s_delay_alu instid0(VALU_DEP_2) | instskip(SKIP_2) | instid1(VALU_DEP_1)
	v_rcp_f64_e32 v[7:8], v[5:6]
	s_waitcnt_depctr 0xfff
	v_fma_f64 v[9:10], -v[5:6], v[7:8], 1.0
	v_fma_f64 v[7:8], v[7:8], v[9:10], v[7:8]
	s_delay_alu instid0(VALU_DEP_1) | instskip(NEXT) | instid1(VALU_DEP_1)
	v_fma_f64 v[9:10], -v[5:6], v[7:8], 1.0
	v_fma_f64 v[7:8], v[7:8], v[9:10], v[7:8]
	s_delay_alu instid0(VALU_DEP_1) | instskip(NEXT) | instid1(VALU_DEP_1)
	v_mul_f64 v[9:10], v[11:12], v[7:8]
	v_fma_f64 v[5:6], -v[5:6], v[9:10], v[11:12]
	s_delay_alu instid0(VALU_DEP_1) | instskip(NEXT) | instid1(VALU_DEP_1)
	v_div_fmas_f64 v[5:6], v[5:6], v[7:8], v[9:10]
	v_div_fixup_f64 v[7:8], v[5:6], v[1:2], v[3:4]
	s_delay_alu instid0(VALU_DEP_1) | instskip(NEXT) | instid1(VALU_DEP_1)
	v_fma_f64 v[1:2], v[3:4], v[7:8], v[1:2]
	v_div_scale_f64 v[3:4], null, v[1:2], v[1:2], 1.0
	s_delay_alu instid0(VALU_DEP_1) | instskip(SKIP_2) | instid1(VALU_DEP_1)
	v_rcp_f64_e32 v[5:6], v[3:4]
	s_waitcnt_depctr 0xfff
	v_fma_f64 v[9:10], -v[3:4], v[5:6], 1.0
	v_fma_f64 v[5:6], v[5:6], v[9:10], v[5:6]
	s_delay_alu instid0(VALU_DEP_1) | instskip(NEXT) | instid1(VALU_DEP_1)
	v_fma_f64 v[9:10], -v[3:4], v[5:6], 1.0
	v_fma_f64 v[5:6], v[5:6], v[9:10], v[5:6]
	v_div_scale_f64 v[9:10], vcc_lo, 1.0, v[1:2], 1.0
	s_delay_alu instid0(VALU_DEP_1) | instskip(NEXT) | instid1(VALU_DEP_1)
	v_mul_f64 v[11:12], v[9:10], v[5:6]
	v_fma_f64 v[3:4], -v[3:4], v[11:12], v[9:10]
	s_delay_alu instid0(VALU_DEP_1) | instskip(NEXT) | instid1(VALU_DEP_1)
	v_div_fmas_f64 v[3:4], v[3:4], v[5:6], v[11:12]
	v_div_fixup_f64 v[5:6], v[3:4], v[1:2], 1.0
	s_delay_alu instid0(VALU_DEP_1)
	v_mul_f64 v[7:8], v[7:8], -v[5:6]
	v_xor_b32_e32 v10, 0x80000000, v6
	v_mov_b32_e32 v9, v5
.LBB122_17:
	s_or_b32 exec_lo, exec_lo, s3
	scratch_store_b128 v13, v[5:8], off
	scratch_load_b128 v[1:4], v222, off
	v_xor_b32_e32 v12, 0x80000000, v8
	v_mov_b32_e32 v11, v7
	v_add_nc_u32_e32 v5, 0x3b0, v45
	ds_store_b128 v45, v[9:12]
	s_waitcnt vmcnt(0)
	ds_store_b128 v45, v[1:4] offset:944
	s_waitcnt lgkmcnt(0)
	s_waitcnt_vscnt null, 0x0
	s_barrier
	buffer_gl0_inv
	s_and_saveexec_b32 s3, s2
	s_cbranch_execz .LBB122_19
; %bb.18:
	scratch_load_b128 v[1:4], v13, off
	ds_load_b128 v[6:9], v5
	v_mov_b32_e32 v10, 0
	ds_load_b128 v[14:17], v10 offset:16
	s_waitcnt vmcnt(0) lgkmcnt(1)
	v_mul_f64 v[10:11], v[6:7], v[3:4]
	v_mul_f64 v[3:4], v[8:9], v[3:4]
	s_delay_alu instid0(VALU_DEP_2) | instskip(NEXT) | instid1(VALU_DEP_2)
	v_fma_f64 v[8:9], v[8:9], v[1:2], v[10:11]
	v_fma_f64 v[1:2], v[6:7], v[1:2], -v[3:4]
	s_delay_alu instid0(VALU_DEP_2) | instskip(NEXT) | instid1(VALU_DEP_2)
	v_add_f64 v[3:4], v[8:9], 0
	v_add_f64 v[1:2], v[1:2], 0
	s_waitcnt lgkmcnt(0)
	s_delay_alu instid0(VALU_DEP_2) | instskip(NEXT) | instid1(VALU_DEP_2)
	v_mul_f64 v[6:7], v[3:4], v[16:17]
	v_mul_f64 v[8:9], v[1:2], v[16:17]
	s_delay_alu instid0(VALU_DEP_2) | instskip(NEXT) | instid1(VALU_DEP_2)
	v_fma_f64 v[1:2], v[1:2], v[14:15], -v[6:7]
	v_fma_f64 v[3:4], v[3:4], v[14:15], v[8:9]
	scratch_store_b128 off, v[1:4], off offset:16
.LBB122_19:
	s_or_b32 exec_lo, exec_lo, s3
	s_waitcnt_vscnt null, 0x0
	s_barrier
	buffer_gl0_inv
	scratch_load_b128 v[1:4], v221, off
	s_mov_b32 s3, exec_lo
	s_waitcnt vmcnt(0)
	ds_store_b128 v5, v[1:4]
	s_waitcnt lgkmcnt(0)
	s_barrier
	buffer_gl0_inv
	v_cmpx_gt_u32_e32 2, v164
	s_cbranch_execz .LBB122_23
; %bb.20:
	scratch_load_b128 v[1:4], v13, off
	ds_load_b128 v[6:9], v5
	s_waitcnt vmcnt(0) lgkmcnt(0)
	v_mul_f64 v[10:11], v[8:9], v[3:4]
	v_mul_f64 v[3:4], v[6:7], v[3:4]
	s_delay_alu instid0(VALU_DEP_2) | instskip(NEXT) | instid1(VALU_DEP_2)
	v_fma_f64 v[6:7], v[6:7], v[1:2], -v[10:11]
	v_fma_f64 v[3:4], v[8:9], v[1:2], v[3:4]
	s_delay_alu instid0(VALU_DEP_2) | instskip(NEXT) | instid1(VALU_DEP_2)
	v_add_f64 v[1:2], v[6:7], 0
	v_add_f64 v[3:4], v[3:4], 0
	s_and_saveexec_b32 s4, s2
	s_cbranch_execz .LBB122_22
; %bb.21:
	scratch_load_b128 v[6:9], off, off offset:16
	v_mov_b32_e32 v10, 0
	ds_load_b128 v[14:17], v10 offset:960
	s_waitcnt vmcnt(0) lgkmcnt(0)
	v_mul_f64 v[10:11], v[14:15], v[8:9]
	v_mul_f64 v[8:9], v[16:17], v[8:9]
	s_delay_alu instid0(VALU_DEP_2) | instskip(NEXT) | instid1(VALU_DEP_2)
	v_fma_f64 v[10:11], v[16:17], v[6:7], v[10:11]
	v_fma_f64 v[6:7], v[14:15], v[6:7], -v[8:9]
	s_delay_alu instid0(VALU_DEP_2) | instskip(NEXT) | instid1(VALU_DEP_2)
	v_add_f64 v[3:4], v[3:4], v[10:11]
	v_add_f64 v[1:2], v[1:2], v[6:7]
.LBB122_22:
	s_or_b32 exec_lo, exec_lo, s4
	v_mov_b32_e32 v6, 0
	ds_load_b128 v[6:9], v6 offset:32
	s_waitcnt lgkmcnt(0)
	v_mul_f64 v[10:11], v[3:4], v[8:9]
	v_mul_f64 v[8:9], v[1:2], v[8:9]
	s_delay_alu instid0(VALU_DEP_2) | instskip(NEXT) | instid1(VALU_DEP_2)
	v_fma_f64 v[1:2], v[1:2], v[6:7], -v[10:11]
	v_fma_f64 v[3:4], v[3:4], v[6:7], v[8:9]
	scratch_store_b128 off, v[1:4], off offset:32
.LBB122_23:
	s_or_b32 exec_lo, exec_lo, s3
	s_waitcnt_vscnt null, 0x0
	s_barrier
	buffer_gl0_inv
	scratch_load_b128 v[1:4], v220, off
	v_add_nc_u32_e32 v6, -1, v164
	s_mov_b32 s2, exec_lo
	s_waitcnt vmcnt(0)
	ds_store_b128 v5, v[1:4]
	s_waitcnt lgkmcnt(0)
	s_barrier
	buffer_gl0_inv
	v_cmpx_gt_u32_e32 3, v164
	s_cbranch_execz .LBB122_27
; %bb.24:
	v_dual_mov_b32 v1, 0 :: v_dual_add_nc_u32 v8, 0x3b0, v45
	v_dual_mov_b32 v2, 0 :: v_dual_add_nc_u32 v7, -1, v164
	v_or_b32_e32 v9, 8, v13
	s_mov_b32 s3, 0
	s_delay_alu instid0(VALU_DEP_2)
	v_dual_mov_b32 v4, v2 :: v_dual_mov_b32 v3, v1
	.p2align	6
.LBB122_25:                             ; =>This Inner Loop Header: Depth=1
	scratch_load_b128 v[14:17], v9, off offset:-8
	ds_load_b128 v[18:21], v8
	v_add_nc_u32_e32 v7, 1, v7
	v_add_nc_u32_e32 v8, 16, v8
	;; [unrolled: 1-line block ×3, first 2 shown]
	s_delay_alu instid0(VALU_DEP_3) | instskip(SKIP_4) | instid1(VALU_DEP_2)
	v_cmp_lt_u32_e32 vcc_lo, 1, v7
	s_or_b32 s3, vcc_lo, s3
	s_waitcnt vmcnt(0) lgkmcnt(0)
	v_mul_f64 v[10:11], v[20:21], v[16:17]
	v_mul_f64 v[16:17], v[18:19], v[16:17]
	v_fma_f64 v[10:11], v[18:19], v[14:15], -v[10:11]
	s_delay_alu instid0(VALU_DEP_2) | instskip(NEXT) | instid1(VALU_DEP_2)
	v_fma_f64 v[14:15], v[20:21], v[14:15], v[16:17]
	v_add_f64 v[3:4], v[3:4], v[10:11]
	s_delay_alu instid0(VALU_DEP_2)
	v_add_f64 v[1:2], v[1:2], v[14:15]
	s_and_not1_b32 exec_lo, exec_lo, s3
	s_cbranch_execnz .LBB122_25
; %bb.26:
	s_or_b32 exec_lo, exec_lo, s3
	v_mov_b32_e32 v7, 0
	ds_load_b128 v[7:10], v7 offset:48
	s_waitcnt lgkmcnt(0)
	v_mul_f64 v[11:12], v[1:2], v[9:10]
	v_mul_f64 v[14:15], v[3:4], v[9:10]
	s_delay_alu instid0(VALU_DEP_2) | instskip(NEXT) | instid1(VALU_DEP_2)
	v_fma_f64 v[9:10], v[3:4], v[7:8], -v[11:12]
	v_fma_f64 v[11:12], v[1:2], v[7:8], v[14:15]
	scratch_store_b128 off, v[9:12], off offset:48
.LBB122_27:
	s_or_b32 exec_lo, exec_lo, s2
	s_waitcnt_vscnt null, 0x0
	s_barrier
	buffer_gl0_inv
	scratch_load_b128 v[1:4], v219, off
	s_mov_b32 s2, exec_lo
	s_waitcnt vmcnt(0)
	ds_store_b128 v5, v[1:4]
	s_waitcnt lgkmcnt(0)
	s_barrier
	buffer_gl0_inv
	v_cmpx_gt_u32_e32 4, v164
	s_cbranch_execz .LBB122_31
; %bb.28:
	v_dual_mov_b32 v1, 0 :: v_dual_add_nc_u32 v8, 0x3b0, v45
	v_dual_mov_b32 v2, 0 :: v_dual_add_nc_u32 v7, -1, v164
	v_or_b32_e32 v9, 8, v13
	s_mov_b32 s3, 0
	s_delay_alu instid0(VALU_DEP_2)
	v_dual_mov_b32 v4, v2 :: v_dual_mov_b32 v3, v1
	.p2align	6
.LBB122_29:                             ; =>This Inner Loop Header: Depth=1
	scratch_load_b128 v[14:17], v9, off offset:-8
	ds_load_b128 v[18:21], v8
	v_add_nc_u32_e32 v7, 1, v7
	v_add_nc_u32_e32 v8, 16, v8
	;; [unrolled: 1-line block ×3, first 2 shown]
	s_delay_alu instid0(VALU_DEP_3) | instskip(SKIP_4) | instid1(VALU_DEP_2)
	v_cmp_lt_u32_e32 vcc_lo, 2, v7
	s_or_b32 s3, vcc_lo, s3
	s_waitcnt vmcnt(0) lgkmcnt(0)
	v_mul_f64 v[10:11], v[20:21], v[16:17]
	v_mul_f64 v[16:17], v[18:19], v[16:17]
	v_fma_f64 v[10:11], v[18:19], v[14:15], -v[10:11]
	s_delay_alu instid0(VALU_DEP_2) | instskip(NEXT) | instid1(VALU_DEP_2)
	v_fma_f64 v[14:15], v[20:21], v[14:15], v[16:17]
	v_add_f64 v[3:4], v[3:4], v[10:11]
	s_delay_alu instid0(VALU_DEP_2)
	v_add_f64 v[1:2], v[1:2], v[14:15]
	s_and_not1_b32 exec_lo, exec_lo, s3
	s_cbranch_execnz .LBB122_29
; %bb.30:
	s_or_b32 exec_lo, exec_lo, s3
	v_mov_b32_e32 v7, 0
	ds_load_b128 v[7:10], v7 offset:64
	s_waitcnt lgkmcnt(0)
	v_mul_f64 v[11:12], v[1:2], v[9:10]
	v_mul_f64 v[14:15], v[3:4], v[9:10]
	s_delay_alu instid0(VALU_DEP_2) | instskip(NEXT) | instid1(VALU_DEP_2)
	v_fma_f64 v[9:10], v[3:4], v[7:8], -v[11:12]
	v_fma_f64 v[11:12], v[1:2], v[7:8], v[14:15]
	scratch_store_b128 off, v[9:12], off offset:64
.LBB122_31:
	s_or_b32 exec_lo, exec_lo, s2
	s_waitcnt_vscnt null, 0x0
	s_barrier
	buffer_gl0_inv
	scratch_load_b128 v[1:4], v218, off
	s_mov_b32 s2, exec_lo
	s_waitcnt vmcnt(0)
	ds_store_b128 v5, v[1:4]
	s_waitcnt lgkmcnt(0)
	s_barrier
	buffer_gl0_inv
	v_cmpx_gt_u32_e32 5, v164
	s_cbranch_execz .LBB122_35
; %bb.32:
	v_dual_mov_b32 v1, 0 :: v_dual_add_nc_u32 v8, 0x3b0, v45
	v_dual_mov_b32 v2, 0 :: v_dual_add_nc_u32 v7, -1, v164
	v_or_b32_e32 v9, 8, v13
	s_mov_b32 s3, 0
	s_delay_alu instid0(VALU_DEP_2)
	v_dual_mov_b32 v4, v2 :: v_dual_mov_b32 v3, v1
	.p2align	6
.LBB122_33:                             ; =>This Inner Loop Header: Depth=1
	scratch_load_b128 v[14:17], v9, off offset:-8
	ds_load_b128 v[18:21], v8
	v_add_nc_u32_e32 v7, 1, v7
	v_add_nc_u32_e32 v8, 16, v8
	;; [unrolled: 1-line block ×3, first 2 shown]
	s_delay_alu instid0(VALU_DEP_3) | instskip(SKIP_4) | instid1(VALU_DEP_2)
	v_cmp_lt_u32_e32 vcc_lo, 3, v7
	s_or_b32 s3, vcc_lo, s3
	s_waitcnt vmcnt(0) lgkmcnt(0)
	v_mul_f64 v[10:11], v[20:21], v[16:17]
	v_mul_f64 v[16:17], v[18:19], v[16:17]
	v_fma_f64 v[10:11], v[18:19], v[14:15], -v[10:11]
	s_delay_alu instid0(VALU_DEP_2) | instskip(NEXT) | instid1(VALU_DEP_2)
	v_fma_f64 v[14:15], v[20:21], v[14:15], v[16:17]
	v_add_f64 v[3:4], v[3:4], v[10:11]
	s_delay_alu instid0(VALU_DEP_2)
	v_add_f64 v[1:2], v[1:2], v[14:15]
	s_and_not1_b32 exec_lo, exec_lo, s3
	s_cbranch_execnz .LBB122_33
; %bb.34:
	s_or_b32 exec_lo, exec_lo, s3
	v_mov_b32_e32 v7, 0
	ds_load_b128 v[7:10], v7 offset:80
	s_waitcnt lgkmcnt(0)
	v_mul_f64 v[11:12], v[1:2], v[9:10]
	v_mul_f64 v[14:15], v[3:4], v[9:10]
	s_delay_alu instid0(VALU_DEP_2) | instskip(NEXT) | instid1(VALU_DEP_2)
	v_fma_f64 v[9:10], v[3:4], v[7:8], -v[11:12]
	v_fma_f64 v[11:12], v[1:2], v[7:8], v[14:15]
	scratch_store_b128 off, v[9:12], off offset:80
.LBB122_35:
	s_or_b32 exec_lo, exec_lo, s2
	s_waitcnt_vscnt null, 0x0
	s_barrier
	buffer_gl0_inv
	scratch_load_b128 v[1:4], v217, off
	s_mov_b32 s2, exec_lo
	s_waitcnt vmcnt(0)
	ds_store_b128 v5, v[1:4]
	s_waitcnt lgkmcnt(0)
	s_barrier
	buffer_gl0_inv
	v_cmpx_gt_u32_e32 6, v164
	s_cbranch_execz .LBB122_39
; %bb.36:
	v_dual_mov_b32 v1, 0 :: v_dual_add_nc_u32 v8, 0x3b0, v45
	v_dual_mov_b32 v2, 0 :: v_dual_add_nc_u32 v7, -1, v164
	v_or_b32_e32 v9, 8, v13
	s_mov_b32 s3, 0
	s_delay_alu instid0(VALU_DEP_2)
	v_dual_mov_b32 v4, v2 :: v_dual_mov_b32 v3, v1
	.p2align	6
.LBB122_37:                             ; =>This Inner Loop Header: Depth=1
	scratch_load_b128 v[14:17], v9, off offset:-8
	ds_load_b128 v[18:21], v8
	v_add_nc_u32_e32 v7, 1, v7
	v_add_nc_u32_e32 v8, 16, v8
	;; [unrolled: 1-line block ×3, first 2 shown]
	s_delay_alu instid0(VALU_DEP_3) | instskip(SKIP_4) | instid1(VALU_DEP_2)
	v_cmp_lt_u32_e32 vcc_lo, 4, v7
	s_or_b32 s3, vcc_lo, s3
	s_waitcnt vmcnt(0) lgkmcnt(0)
	v_mul_f64 v[10:11], v[20:21], v[16:17]
	v_mul_f64 v[16:17], v[18:19], v[16:17]
	v_fma_f64 v[10:11], v[18:19], v[14:15], -v[10:11]
	s_delay_alu instid0(VALU_DEP_2) | instskip(NEXT) | instid1(VALU_DEP_2)
	v_fma_f64 v[14:15], v[20:21], v[14:15], v[16:17]
	v_add_f64 v[3:4], v[3:4], v[10:11]
	s_delay_alu instid0(VALU_DEP_2)
	v_add_f64 v[1:2], v[1:2], v[14:15]
	s_and_not1_b32 exec_lo, exec_lo, s3
	s_cbranch_execnz .LBB122_37
; %bb.38:
	s_or_b32 exec_lo, exec_lo, s3
	v_mov_b32_e32 v7, 0
	ds_load_b128 v[7:10], v7 offset:96
	s_waitcnt lgkmcnt(0)
	v_mul_f64 v[11:12], v[1:2], v[9:10]
	v_mul_f64 v[14:15], v[3:4], v[9:10]
	s_delay_alu instid0(VALU_DEP_2) | instskip(NEXT) | instid1(VALU_DEP_2)
	v_fma_f64 v[9:10], v[3:4], v[7:8], -v[11:12]
	v_fma_f64 v[11:12], v[1:2], v[7:8], v[14:15]
	scratch_store_b128 off, v[9:12], off offset:96
.LBB122_39:
	s_or_b32 exec_lo, exec_lo, s2
	s_waitcnt_vscnt null, 0x0
	s_barrier
	buffer_gl0_inv
	scratch_load_b128 v[1:4], v216, off
	s_mov_b32 s2, exec_lo
	s_waitcnt vmcnt(0)
	ds_store_b128 v5, v[1:4]
	s_waitcnt lgkmcnt(0)
	s_barrier
	buffer_gl0_inv
	v_cmpx_gt_u32_e32 7, v164
	s_cbranch_execz .LBB122_43
; %bb.40:
	v_dual_mov_b32 v1, 0 :: v_dual_add_nc_u32 v8, 0x3b0, v45
	v_dual_mov_b32 v2, 0 :: v_dual_add_nc_u32 v7, -1, v164
	v_or_b32_e32 v9, 8, v13
	s_mov_b32 s3, 0
	s_delay_alu instid0(VALU_DEP_2)
	v_dual_mov_b32 v4, v2 :: v_dual_mov_b32 v3, v1
	.p2align	6
.LBB122_41:                             ; =>This Inner Loop Header: Depth=1
	scratch_load_b128 v[14:17], v9, off offset:-8
	ds_load_b128 v[18:21], v8
	v_add_nc_u32_e32 v7, 1, v7
	v_add_nc_u32_e32 v8, 16, v8
	;; [unrolled: 1-line block ×3, first 2 shown]
	s_delay_alu instid0(VALU_DEP_3) | instskip(SKIP_4) | instid1(VALU_DEP_2)
	v_cmp_lt_u32_e32 vcc_lo, 5, v7
	s_or_b32 s3, vcc_lo, s3
	s_waitcnt vmcnt(0) lgkmcnt(0)
	v_mul_f64 v[10:11], v[20:21], v[16:17]
	v_mul_f64 v[16:17], v[18:19], v[16:17]
	v_fma_f64 v[10:11], v[18:19], v[14:15], -v[10:11]
	s_delay_alu instid0(VALU_DEP_2) | instskip(NEXT) | instid1(VALU_DEP_2)
	v_fma_f64 v[14:15], v[20:21], v[14:15], v[16:17]
	v_add_f64 v[3:4], v[3:4], v[10:11]
	s_delay_alu instid0(VALU_DEP_2)
	v_add_f64 v[1:2], v[1:2], v[14:15]
	s_and_not1_b32 exec_lo, exec_lo, s3
	s_cbranch_execnz .LBB122_41
; %bb.42:
	s_or_b32 exec_lo, exec_lo, s3
	v_mov_b32_e32 v7, 0
	ds_load_b128 v[7:10], v7 offset:112
	s_waitcnt lgkmcnt(0)
	v_mul_f64 v[11:12], v[1:2], v[9:10]
	v_mul_f64 v[14:15], v[3:4], v[9:10]
	s_delay_alu instid0(VALU_DEP_2) | instskip(NEXT) | instid1(VALU_DEP_2)
	v_fma_f64 v[9:10], v[3:4], v[7:8], -v[11:12]
	v_fma_f64 v[11:12], v[1:2], v[7:8], v[14:15]
	scratch_store_b128 off, v[9:12], off offset:112
.LBB122_43:
	s_or_b32 exec_lo, exec_lo, s2
	s_waitcnt_vscnt null, 0x0
	s_barrier
	buffer_gl0_inv
	scratch_load_b128 v[1:4], v215, off
	s_mov_b32 s2, exec_lo
	s_waitcnt vmcnt(0)
	ds_store_b128 v5, v[1:4]
	s_waitcnt lgkmcnt(0)
	s_barrier
	buffer_gl0_inv
	v_cmpx_gt_u32_e32 8, v164
	s_cbranch_execz .LBB122_47
; %bb.44:
	v_dual_mov_b32 v1, 0 :: v_dual_add_nc_u32 v8, 0x3b0, v45
	v_dual_mov_b32 v2, 0 :: v_dual_add_nc_u32 v7, -1, v164
	v_or_b32_e32 v9, 8, v13
	s_mov_b32 s3, 0
	s_delay_alu instid0(VALU_DEP_2)
	v_dual_mov_b32 v4, v2 :: v_dual_mov_b32 v3, v1
	.p2align	6
.LBB122_45:                             ; =>This Inner Loop Header: Depth=1
	scratch_load_b128 v[14:17], v9, off offset:-8
	ds_load_b128 v[18:21], v8
	v_add_nc_u32_e32 v7, 1, v7
	v_add_nc_u32_e32 v8, 16, v8
	;; [unrolled: 1-line block ×3, first 2 shown]
	s_delay_alu instid0(VALU_DEP_3) | instskip(SKIP_4) | instid1(VALU_DEP_2)
	v_cmp_lt_u32_e32 vcc_lo, 6, v7
	s_or_b32 s3, vcc_lo, s3
	s_waitcnt vmcnt(0) lgkmcnt(0)
	v_mul_f64 v[10:11], v[20:21], v[16:17]
	v_mul_f64 v[16:17], v[18:19], v[16:17]
	v_fma_f64 v[10:11], v[18:19], v[14:15], -v[10:11]
	s_delay_alu instid0(VALU_DEP_2) | instskip(NEXT) | instid1(VALU_DEP_2)
	v_fma_f64 v[14:15], v[20:21], v[14:15], v[16:17]
	v_add_f64 v[3:4], v[3:4], v[10:11]
	s_delay_alu instid0(VALU_DEP_2)
	v_add_f64 v[1:2], v[1:2], v[14:15]
	s_and_not1_b32 exec_lo, exec_lo, s3
	s_cbranch_execnz .LBB122_45
; %bb.46:
	s_or_b32 exec_lo, exec_lo, s3
	v_mov_b32_e32 v7, 0
	ds_load_b128 v[7:10], v7 offset:128
	s_waitcnt lgkmcnt(0)
	v_mul_f64 v[11:12], v[1:2], v[9:10]
	v_mul_f64 v[14:15], v[3:4], v[9:10]
	s_delay_alu instid0(VALU_DEP_2) | instskip(NEXT) | instid1(VALU_DEP_2)
	v_fma_f64 v[9:10], v[3:4], v[7:8], -v[11:12]
	v_fma_f64 v[11:12], v[1:2], v[7:8], v[14:15]
	scratch_store_b128 off, v[9:12], off offset:128
.LBB122_47:
	s_or_b32 exec_lo, exec_lo, s2
	s_waitcnt_vscnt null, 0x0
	s_barrier
	buffer_gl0_inv
	scratch_load_b128 v[1:4], v214, off
	s_mov_b32 s2, exec_lo
	s_waitcnt vmcnt(0)
	ds_store_b128 v5, v[1:4]
	s_waitcnt lgkmcnt(0)
	s_barrier
	buffer_gl0_inv
	v_cmpx_gt_u32_e32 9, v164
	s_cbranch_execz .LBB122_51
; %bb.48:
	v_dual_mov_b32 v1, 0 :: v_dual_add_nc_u32 v8, 0x3b0, v45
	v_dual_mov_b32 v2, 0 :: v_dual_add_nc_u32 v7, -1, v164
	v_or_b32_e32 v9, 8, v13
	s_mov_b32 s3, 0
	s_delay_alu instid0(VALU_DEP_2)
	v_dual_mov_b32 v4, v2 :: v_dual_mov_b32 v3, v1
	.p2align	6
.LBB122_49:                             ; =>This Inner Loop Header: Depth=1
	scratch_load_b128 v[14:17], v9, off offset:-8
	ds_load_b128 v[18:21], v8
	v_add_nc_u32_e32 v7, 1, v7
	v_add_nc_u32_e32 v8, 16, v8
	;; [unrolled: 1-line block ×3, first 2 shown]
	s_delay_alu instid0(VALU_DEP_3) | instskip(SKIP_4) | instid1(VALU_DEP_2)
	v_cmp_lt_u32_e32 vcc_lo, 7, v7
	s_or_b32 s3, vcc_lo, s3
	s_waitcnt vmcnt(0) lgkmcnt(0)
	v_mul_f64 v[10:11], v[20:21], v[16:17]
	v_mul_f64 v[16:17], v[18:19], v[16:17]
	v_fma_f64 v[10:11], v[18:19], v[14:15], -v[10:11]
	s_delay_alu instid0(VALU_DEP_2) | instskip(NEXT) | instid1(VALU_DEP_2)
	v_fma_f64 v[14:15], v[20:21], v[14:15], v[16:17]
	v_add_f64 v[3:4], v[3:4], v[10:11]
	s_delay_alu instid0(VALU_DEP_2)
	v_add_f64 v[1:2], v[1:2], v[14:15]
	s_and_not1_b32 exec_lo, exec_lo, s3
	s_cbranch_execnz .LBB122_49
; %bb.50:
	s_or_b32 exec_lo, exec_lo, s3
	v_mov_b32_e32 v7, 0
	ds_load_b128 v[7:10], v7 offset:144
	s_waitcnt lgkmcnt(0)
	v_mul_f64 v[11:12], v[1:2], v[9:10]
	v_mul_f64 v[14:15], v[3:4], v[9:10]
	s_delay_alu instid0(VALU_DEP_2) | instskip(NEXT) | instid1(VALU_DEP_2)
	v_fma_f64 v[9:10], v[3:4], v[7:8], -v[11:12]
	v_fma_f64 v[11:12], v[1:2], v[7:8], v[14:15]
	scratch_store_b128 off, v[9:12], off offset:144
.LBB122_51:
	s_or_b32 exec_lo, exec_lo, s2
	s_waitcnt_vscnt null, 0x0
	s_barrier
	buffer_gl0_inv
	scratch_load_b128 v[1:4], v213, off
	s_mov_b32 s2, exec_lo
	s_waitcnt vmcnt(0)
	ds_store_b128 v5, v[1:4]
	s_waitcnt lgkmcnt(0)
	s_barrier
	buffer_gl0_inv
	v_cmpx_gt_u32_e32 10, v164
	s_cbranch_execz .LBB122_55
; %bb.52:
	v_dual_mov_b32 v1, 0 :: v_dual_add_nc_u32 v8, 0x3b0, v45
	v_dual_mov_b32 v2, 0 :: v_dual_add_nc_u32 v7, -1, v164
	v_or_b32_e32 v9, 8, v13
	s_mov_b32 s3, 0
	s_delay_alu instid0(VALU_DEP_2)
	v_dual_mov_b32 v4, v2 :: v_dual_mov_b32 v3, v1
	.p2align	6
.LBB122_53:                             ; =>This Inner Loop Header: Depth=1
	scratch_load_b128 v[14:17], v9, off offset:-8
	ds_load_b128 v[18:21], v8
	v_add_nc_u32_e32 v7, 1, v7
	v_add_nc_u32_e32 v8, 16, v8
	v_add_nc_u32_e32 v9, 16, v9
	s_delay_alu instid0(VALU_DEP_3) | instskip(SKIP_4) | instid1(VALU_DEP_2)
	v_cmp_lt_u32_e32 vcc_lo, 8, v7
	s_or_b32 s3, vcc_lo, s3
	s_waitcnt vmcnt(0) lgkmcnt(0)
	v_mul_f64 v[10:11], v[20:21], v[16:17]
	v_mul_f64 v[16:17], v[18:19], v[16:17]
	v_fma_f64 v[10:11], v[18:19], v[14:15], -v[10:11]
	s_delay_alu instid0(VALU_DEP_2) | instskip(NEXT) | instid1(VALU_DEP_2)
	v_fma_f64 v[14:15], v[20:21], v[14:15], v[16:17]
	v_add_f64 v[3:4], v[3:4], v[10:11]
	s_delay_alu instid0(VALU_DEP_2)
	v_add_f64 v[1:2], v[1:2], v[14:15]
	s_and_not1_b32 exec_lo, exec_lo, s3
	s_cbranch_execnz .LBB122_53
; %bb.54:
	s_or_b32 exec_lo, exec_lo, s3
	v_mov_b32_e32 v7, 0
	ds_load_b128 v[7:10], v7 offset:160
	s_waitcnt lgkmcnt(0)
	v_mul_f64 v[11:12], v[1:2], v[9:10]
	v_mul_f64 v[14:15], v[3:4], v[9:10]
	s_delay_alu instid0(VALU_DEP_2) | instskip(NEXT) | instid1(VALU_DEP_2)
	v_fma_f64 v[9:10], v[3:4], v[7:8], -v[11:12]
	v_fma_f64 v[11:12], v[1:2], v[7:8], v[14:15]
	scratch_store_b128 off, v[9:12], off offset:160
.LBB122_55:
	s_or_b32 exec_lo, exec_lo, s2
	s_waitcnt_vscnt null, 0x0
	s_barrier
	buffer_gl0_inv
	scratch_load_b128 v[1:4], v212, off
	s_mov_b32 s2, exec_lo
	s_waitcnt vmcnt(0)
	ds_store_b128 v5, v[1:4]
	s_waitcnt lgkmcnt(0)
	s_barrier
	buffer_gl0_inv
	v_cmpx_gt_u32_e32 11, v164
	s_cbranch_execz .LBB122_59
; %bb.56:
	v_dual_mov_b32 v1, 0 :: v_dual_add_nc_u32 v8, 0x3b0, v45
	v_dual_mov_b32 v2, 0 :: v_dual_add_nc_u32 v7, -1, v164
	v_or_b32_e32 v9, 8, v13
	s_mov_b32 s3, 0
	s_delay_alu instid0(VALU_DEP_2)
	v_dual_mov_b32 v4, v2 :: v_dual_mov_b32 v3, v1
	.p2align	6
.LBB122_57:                             ; =>This Inner Loop Header: Depth=1
	scratch_load_b128 v[14:17], v9, off offset:-8
	ds_load_b128 v[18:21], v8
	v_add_nc_u32_e32 v7, 1, v7
	v_add_nc_u32_e32 v8, 16, v8
	;; [unrolled: 1-line block ×3, first 2 shown]
	s_delay_alu instid0(VALU_DEP_3) | instskip(SKIP_4) | instid1(VALU_DEP_2)
	v_cmp_lt_u32_e32 vcc_lo, 9, v7
	s_or_b32 s3, vcc_lo, s3
	s_waitcnt vmcnt(0) lgkmcnt(0)
	v_mul_f64 v[10:11], v[20:21], v[16:17]
	v_mul_f64 v[16:17], v[18:19], v[16:17]
	v_fma_f64 v[10:11], v[18:19], v[14:15], -v[10:11]
	s_delay_alu instid0(VALU_DEP_2) | instskip(NEXT) | instid1(VALU_DEP_2)
	v_fma_f64 v[14:15], v[20:21], v[14:15], v[16:17]
	v_add_f64 v[3:4], v[3:4], v[10:11]
	s_delay_alu instid0(VALU_DEP_2)
	v_add_f64 v[1:2], v[1:2], v[14:15]
	s_and_not1_b32 exec_lo, exec_lo, s3
	s_cbranch_execnz .LBB122_57
; %bb.58:
	s_or_b32 exec_lo, exec_lo, s3
	v_mov_b32_e32 v7, 0
	ds_load_b128 v[7:10], v7 offset:176
	s_waitcnt lgkmcnt(0)
	v_mul_f64 v[11:12], v[1:2], v[9:10]
	v_mul_f64 v[14:15], v[3:4], v[9:10]
	s_delay_alu instid0(VALU_DEP_2) | instskip(NEXT) | instid1(VALU_DEP_2)
	v_fma_f64 v[9:10], v[3:4], v[7:8], -v[11:12]
	v_fma_f64 v[11:12], v[1:2], v[7:8], v[14:15]
	scratch_store_b128 off, v[9:12], off offset:176
.LBB122_59:
	s_or_b32 exec_lo, exec_lo, s2
	s_waitcnt_vscnt null, 0x0
	s_barrier
	buffer_gl0_inv
	scratch_load_b128 v[1:4], v211, off
	s_mov_b32 s2, exec_lo
	s_waitcnt vmcnt(0)
	ds_store_b128 v5, v[1:4]
	s_waitcnt lgkmcnt(0)
	s_barrier
	buffer_gl0_inv
	v_cmpx_gt_u32_e32 12, v164
	s_cbranch_execz .LBB122_63
; %bb.60:
	v_dual_mov_b32 v1, 0 :: v_dual_add_nc_u32 v8, 0x3b0, v45
	v_dual_mov_b32 v2, 0 :: v_dual_add_nc_u32 v7, -1, v164
	v_or_b32_e32 v9, 8, v13
	s_mov_b32 s3, 0
	s_delay_alu instid0(VALU_DEP_2)
	v_dual_mov_b32 v4, v2 :: v_dual_mov_b32 v3, v1
	.p2align	6
.LBB122_61:                             ; =>This Inner Loop Header: Depth=1
	scratch_load_b128 v[14:17], v9, off offset:-8
	ds_load_b128 v[18:21], v8
	v_add_nc_u32_e32 v7, 1, v7
	v_add_nc_u32_e32 v8, 16, v8
	;; [unrolled: 1-line block ×3, first 2 shown]
	s_delay_alu instid0(VALU_DEP_3) | instskip(SKIP_4) | instid1(VALU_DEP_2)
	v_cmp_lt_u32_e32 vcc_lo, 10, v7
	s_or_b32 s3, vcc_lo, s3
	s_waitcnt vmcnt(0) lgkmcnt(0)
	v_mul_f64 v[10:11], v[20:21], v[16:17]
	v_mul_f64 v[16:17], v[18:19], v[16:17]
	v_fma_f64 v[10:11], v[18:19], v[14:15], -v[10:11]
	s_delay_alu instid0(VALU_DEP_2) | instskip(NEXT) | instid1(VALU_DEP_2)
	v_fma_f64 v[14:15], v[20:21], v[14:15], v[16:17]
	v_add_f64 v[3:4], v[3:4], v[10:11]
	s_delay_alu instid0(VALU_DEP_2)
	v_add_f64 v[1:2], v[1:2], v[14:15]
	s_and_not1_b32 exec_lo, exec_lo, s3
	s_cbranch_execnz .LBB122_61
; %bb.62:
	s_or_b32 exec_lo, exec_lo, s3
	v_mov_b32_e32 v7, 0
	ds_load_b128 v[7:10], v7 offset:192
	s_waitcnt lgkmcnt(0)
	v_mul_f64 v[11:12], v[1:2], v[9:10]
	v_mul_f64 v[14:15], v[3:4], v[9:10]
	s_delay_alu instid0(VALU_DEP_2) | instskip(NEXT) | instid1(VALU_DEP_2)
	v_fma_f64 v[9:10], v[3:4], v[7:8], -v[11:12]
	v_fma_f64 v[11:12], v[1:2], v[7:8], v[14:15]
	scratch_store_b128 off, v[9:12], off offset:192
.LBB122_63:
	s_or_b32 exec_lo, exec_lo, s2
	s_waitcnt_vscnt null, 0x0
	s_barrier
	buffer_gl0_inv
	scratch_load_b128 v[1:4], v210, off
	s_mov_b32 s2, exec_lo
	s_waitcnt vmcnt(0)
	ds_store_b128 v5, v[1:4]
	s_waitcnt lgkmcnt(0)
	s_barrier
	buffer_gl0_inv
	v_cmpx_gt_u32_e32 13, v164
	s_cbranch_execz .LBB122_67
; %bb.64:
	v_dual_mov_b32 v1, 0 :: v_dual_add_nc_u32 v8, 0x3b0, v45
	v_dual_mov_b32 v2, 0 :: v_dual_add_nc_u32 v7, -1, v164
	v_or_b32_e32 v9, 8, v13
	s_mov_b32 s3, 0
	s_delay_alu instid0(VALU_DEP_2)
	v_dual_mov_b32 v4, v2 :: v_dual_mov_b32 v3, v1
	.p2align	6
.LBB122_65:                             ; =>This Inner Loop Header: Depth=1
	scratch_load_b128 v[14:17], v9, off offset:-8
	ds_load_b128 v[18:21], v8
	v_add_nc_u32_e32 v7, 1, v7
	v_add_nc_u32_e32 v8, 16, v8
	;; [unrolled: 1-line block ×3, first 2 shown]
	s_delay_alu instid0(VALU_DEP_3) | instskip(SKIP_4) | instid1(VALU_DEP_2)
	v_cmp_lt_u32_e32 vcc_lo, 11, v7
	s_or_b32 s3, vcc_lo, s3
	s_waitcnt vmcnt(0) lgkmcnt(0)
	v_mul_f64 v[10:11], v[20:21], v[16:17]
	v_mul_f64 v[16:17], v[18:19], v[16:17]
	v_fma_f64 v[10:11], v[18:19], v[14:15], -v[10:11]
	s_delay_alu instid0(VALU_DEP_2) | instskip(NEXT) | instid1(VALU_DEP_2)
	v_fma_f64 v[14:15], v[20:21], v[14:15], v[16:17]
	v_add_f64 v[3:4], v[3:4], v[10:11]
	s_delay_alu instid0(VALU_DEP_2)
	v_add_f64 v[1:2], v[1:2], v[14:15]
	s_and_not1_b32 exec_lo, exec_lo, s3
	s_cbranch_execnz .LBB122_65
; %bb.66:
	s_or_b32 exec_lo, exec_lo, s3
	v_mov_b32_e32 v7, 0
	ds_load_b128 v[7:10], v7 offset:208
	s_waitcnt lgkmcnt(0)
	v_mul_f64 v[11:12], v[1:2], v[9:10]
	v_mul_f64 v[14:15], v[3:4], v[9:10]
	s_delay_alu instid0(VALU_DEP_2) | instskip(NEXT) | instid1(VALU_DEP_2)
	v_fma_f64 v[9:10], v[3:4], v[7:8], -v[11:12]
	v_fma_f64 v[11:12], v[1:2], v[7:8], v[14:15]
	scratch_store_b128 off, v[9:12], off offset:208
.LBB122_67:
	s_or_b32 exec_lo, exec_lo, s2
	s_waitcnt_vscnt null, 0x0
	s_barrier
	buffer_gl0_inv
	scratch_load_b128 v[1:4], v209, off
	s_mov_b32 s2, exec_lo
	s_waitcnt vmcnt(0)
	ds_store_b128 v5, v[1:4]
	s_waitcnt lgkmcnt(0)
	s_barrier
	buffer_gl0_inv
	v_cmpx_gt_u32_e32 14, v164
	s_cbranch_execz .LBB122_71
; %bb.68:
	v_dual_mov_b32 v1, 0 :: v_dual_add_nc_u32 v8, 0x3b0, v45
	v_dual_mov_b32 v2, 0 :: v_dual_add_nc_u32 v7, -1, v164
	v_or_b32_e32 v9, 8, v13
	s_mov_b32 s3, 0
	s_delay_alu instid0(VALU_DEP_2)
	v_dual_mov_b32 v4, v2 :: v_dual_mov_b32 v3, v1
	.p2align	6
.LBB122_69:                             ; =>This Inner Loop Header: Depth=1
	scratch_load_b128 v[14:17], v9, off offset:-8
	ds_load_b128 v[18:21], v8
	v_add_nc_u32_e32 v7, 1, v7
	v_add_nc_u32_e32 v8, 16, v8
	;; [unrolled: 1-line block ×3, first 2 shown]
	s_delay_alu instid0(VALU_DEP_3) | instskip(SKIP_4) | instid1(VALU_DEP_2)
	v_cmp_lt_u32_e32 vcc_lo, 12, v7
	s_or_b32 s3, vcc_lo, s3
	s_waitcnt vmcnt(0) lgkmcnt(0)
	v_mul_f64 v[10:11], v[20:21], v[16:17]
	v_mul_f64 v[16:17], v[18:19], v[16:17]
	v_fma_f64 v[10:11], v[18:19], v[14:15], -v[10:11]
	s_delay_alu instid0(VALU_DEP_2) | instskip(NEXT) | instid1(VALU_DEP_2)
	v_fma_f64 v[14:15], v[20:21], v[14:15], v[16:17]
	v_add_f64 v[3:4], v[3:4], v[10:11]
	s_delay_alu instid0(VALU_DEP_2)
	v_add_f64 v[1:2], v[1:2], v[14:15]
	s_and_not1_b32 exec_lo, exec_lo, s3
	s_cbranch_execnz .LBB122_69
; %bb.70:
	s_or_b32 exec_lo, exec_lo, s3
	v_mov_b32_e32 v7, 0
	ds_load_b128 v[7:10], v7 offset:224
	s_waitcnt lgkmcnt(0)
	v_mul_f64 v[11:12], v[1:2], v[9:10]
	v_mul_f64 v[14:15], v[3:4], v[9:10]
	s_delay_alu instid0(VALU_DEP_2) | instskip(NEXT) | instid1(VALU_DEP_2)
	v_fma_f64 v[9:10], v[3:4], v[7:8], -v[11:12]
	v_fma_f64 v[11:12], v[1:2], v[7:8], v[14:15]
	scratch_store_b128 off, v[9:12], off offset:224
.LBB122_71:
	s_or_b32 exec_lo, exec_lo, s2
	s_waitcnt_vscnt null, 0x0
	s_barrier
	buffer_gl0_inv
	scratch_load_b32 v1, off, off offset:1020 ; 4-byte Folded Reload
	s_mov_b32 s2, exec_lo
	s_waitcnt vmcnt(0)
	scratch_load_b128 v[1:4], v1, off
	s_waitcnt vmcnt(0)
	ds_store_b128 v5, v[1:4]
	s_waitcnt lgkmcnt(0)
	s_barrier
	buffer_gl0_inv
	v_cmpx_gt_u32_e32 15, v164
	s_cbranch_execz .LBB122_75
; %bb.72:
	v_dual_mov_b32 v1, 0 :: v_dual_add_nc_u32 v8, 0x3b0, v45
	v_dual_mov_b32 v2, 0 :: v_dual_add_nc_u32 v7, -1, v164
	v_or_b32_e32 v9, 8, v13
	s_mov_b32 s3, 0
	s_delay_alu instid0(VALU_DEP_2)
	v_dual_mov_b32 v4, v2 :: v_dual_mov_b32 v3, v1
	.p2align	6
.LBB122_73:                             ; =>This Inner Loop Header: Depth=1
	scratch_load_b128 v[14:17], v9, off offset:-8
	ds_load_b128 v[18:21], v8
	v_add_nc_u32_e32 v7, 1, v7
	v_add_nc_u32_e32 v8, 16, v8
	;; [unrolled: 1-line block ×3, first 2 shown]
	s_delay_alu instid0(VALU_DEP_3) | instskip(SKIP_4) | instid1(VALU_DEP_2)
	v_cmp_lt_u32_e32 vcc_lo, 13, v7
	s_or_b32 s3, vcc_lo, s3
	s_waitcnt vmcnt(0) lgkmcnt(0)
	v_mul_f64 v[10:11], v[20:21], v[16:17]
	v_mul_f64 v[16:17], v[18:19], v[16:17]
	v_fma_f64 v[10:11], v[18:19], v[14:15], -v[10:11]
	s_delay_alu instid0(VALU_DEP_2) | instskip(NEXT) | instid1(VALU_DEP_2)
	v_fma_f64 v[14:15], v[20:21], v[14:15], v[16:17]
	v_add_f64 v[3:4], v[3:4], v[10:11]
	s_delay_alu instid0(VALU_DEP_2)
	v_add_f64 v[1:2], v[1:2], v[14:15]
	s_and_not1_b32 exec_lo, exec_lo, s3
	s_cbranch_execnz .LBB122_73
; %bb.74:
	s_or_b32 exec_lo, exec_lo, s3
	v_mov_b32_e32 v7, 0
	ds_load_b128 v[7:10], v7 offset:240
	s_waitcnt lgkmcnt(0)
	v_mul_f64 v[11:12], v[1:2], v[9:10]
	v_mul_f64 v[14:15], v[3:4], v[9:10]
	s_delay_alu instid0(VALU_DEP_2) | instskip(NEXT) | instid1(VALU_DEP_2)
	v_fma_f64 v[9:10], v[3:4], v[7:8], -v[11:12]
	v_fma_f64 v[11:12], v[1:2], v[7:8], v[14:15]
	scratch_store_b128 off, v[9:12], off offset:240
.LBB122_75:
	s_or_b32 exec_lo, exec_lo, s2
	s_waitcnt_vscnt null, 0x0
	s_barrier
	buffer_gl0_inv
	scratch_load_b128 v[1:4], v253, off
	s_mov_b32 s2, exec_lo
	s_waitcnt vmcnt(0)
	ds_store_b128 v5, v[1:4]
	s_waitcnt lgkmcnt(0)
	s_barrier
	buffer_gl0_inv
	v_cmpx_gt_u32_e32 16, v164
	s_cbranch_execz .LBB122_79
; %bb.76:
	v_dual_mov_b32 v1, 0 :: v_dual_add_nc_u32 v8, 0x3b0, v45
	v_dual_mov_b32 v2, 0 :: v_dual_add_nc_u32 v7, -1, v164
	v_or_b32_e32 v9, 8, v13
	s_mov_b32 s3, 0
	s_delay_alu instid0(VALU_DEP_2)
	v_dual_mov_b32 v4, v2 :: v_dual_mov_b32 v3, v1
	.p2align	6
.LBB122_77:                             ; =>This Inner Loop Header: Depth=1
	scratch_load_b128 v[14:17], v9, off offset:-8
	ds_load_b128 v[18:21], v8
	v_add_nc_u32_e32 v7, 1, v7
	v_add_nc_u32_e32 v8, 16, v8
	;; [unrolled: 1-line block ×3, first 2 shown]
	s_delay_alu instid0(VALU_DEP_3) | instskip(SKIP_4) | instid1(VALU_DEP_2)
	v_cmp_lt_u32_e32 vcc_lo, 14, v7
	s_or_b32 s3, vcc_lo, s3
	s_waitcnt vmcnt(0) lgkmcnt(0)
	v_mul_f64 v[10:11], v[20:21], v[16:17]
	v_mul_f64 v[16:17], v[18:19], v[16:17]
	v_fma_f64 v[10:11], v[18:19], v[14:15], -v[10:11]
	s_delay_alu instid0(VALU_DEP_2) | instskip(NEXT) | instid1(VALU_DEP_2)
	v_fma_f64 v[14:15], v[20:21], v[14:15], v[16:17]
	v_add_f64 v[3:4], v[3:4], v[10:11]
	s_delay_alu instid0(VALU_DEP_2)
	v_add_f64 v[1:2], v[1:2], v[14:15]
	s_and_not1_b32 exec_lo, exec_lo, s3
	s_cbranch_execnz .LBB122_77
; %bb.78:
	s_or_b32 exec_lo, exec_lo, s3
	v_mov_b32_e32 v7, 0
	ds_load_b128 v[7:10], v7 offset:256
	s_waitcnt lgkmcnt(0)
	v_mul_f64 v[11:12], v[1:2], v[9:10]
	v_mul_f64 v[14:15], v[3:4], v[9:10]
	s_delay_alu instid0(VALU_DEP_2) | instskip(NEXT) | instid1(VALU_DEP_2)
	v_fma_f64 v[9:10], v[3:4], v[7:8], -v[11:12]
	v_fma_f64 v[11:12], v[1:2], v[7:8], v[14:15]
	scratch_store_b128 off, v[9:12], off offset:256
.LBB122_79:
	s_or_b32 exec_lo, exec_lo, s2
	s_waitcnt_vscnt null, 0x0
	s_barrier
	buffer_gl0_inv
	scratch_load_b128 v[1:4], v232, off
	s_mov_b32 s2, exec_lo
	s_waitcnt vmcnt(0)
	ds_store_b128 v5, v[1:4]
	s_waitcnt lgkmcnt(0)
	s_barrier
	buffer_gl0_inv
	v_cmpx_gt_u32_e32 17, v164
	s_cbranch_execz .LBB122_83
; %bb.80:
	v_dual_mov_b32 v1, 0 :: v_dual_add_nc_u32 v8, 0x3b0, v45
	v_dual_mov_b32 v2, 0 :: v_dual_add_nc_u32 v7, -1, v164
	v_or_b32_e32 v9, 8, v13
	s_mov_b32 s3, 0
	s_delay_alu instid0(VALU_DEP_2)
	v_dual_mov_b32 v4, v2 :: v_dual_mov_b32 v3, v1
	.p2align	6
.LBB122_81:                             ; =>This Inner Loop Header: Depth=1
	scratch_load_b128 v[14:17], v9, off offset:-8
	ds_load_b128 v[18:21], v8
	v_add_nc_u32_e32 v7, 1, v7
	v_add_nc_u32_e32 v8, 16, v8
	;; [unrolled: 1-line block ×3, first 2 shown]
	s_delay_alu instid0(VALU_DEP_3) | instskip(SKIP_4) | instid1(VALU_DEP_2)
	v_cmp_lt_u32_e32 vcc_lo, 15, v7
	s_or_b32 s3, vcc_lo, s3
	s_waitcnt vmcnt(0) lgkmcnt(0)
	v_mul_f64 v[10:11], v[20:21], v[16:17]
	v_mul_f64 v[16:17], v[18:19], v[16:17]
	v_fma_f64 v[10:11], v[18:19], v[14:15], -v[10:11]
	s_delay_alu instid0(VALU_DEP_2) | instskip(NEXT) | instid1(VALU_DEP_2)
	v_fma_f64 v[14:15], v[20:21], v[14:15], v[16:17]
	v_add_f64 v[3:4], v[3:4], v[10:11]
	s_delay_alu instid0(VALU_DEP_2)
	v_add_f64 v[1:2], v[1:2], v[14:15]
	s_and_not1_b32 exec_lo, exec_lo, s3
	s_cbranch_execnz .LBB122_81
; %bb.82:
	s_or_b32 exec_lo, exec_lo, s3
	v_mov_b32_e32 v7, 0
	ds_load_b128 v[7:10], v7 offset:272
	s_waitcnt lgkmcnt(0)
	v_mul_f64 v[11:12], v[1:2], v[9:10]
	v_mul_f64 v[14:15], v[3:4], v[9:10]
	s_delay_alu instid0(VALU_DEP_2) | instskip(NEXT) | instid1(VALU_DEP_2)
	v_fma_f64 v[9:10], v[3:4], v[7:8], -v[11:12]
	v_fma_f64 v[11:12], v[1:2], v[7:8], v[14:15]
	scratch_store_b128 off, v[9:12], off offset:272
.LBB122_83:
	s_or_b32 exec_lo, exec_lo, s2
	s_waitcnt_vscnt null, 0x0
	s_barrier
	buffer_gl0_inv
	scratch_load_b128 v[1:4], v231, off
	s_mov_b32 s2, exec_lo
	s_waitcnt vmcnt(0)
	ds_store_b128 v5, v[1:4]
	s_waitcnt lgkmcnt(0)
	s_barrier
	buffer_gl0_inv
	v_cmpx_gt_u32_e32 18, v164
	s_cbranch_execz .LBB122_87
; %bb.84:
	v_dual_mov_b32 v1, 0 :: v_dual_add_nc_u32 v8, 0x3b0, v45
	v_dual_mov_b32 v2, 0 :: v_dual_add_nc_u32 v7, -1, v164
	v_or_b32_e32 v9, 8, v13
	s_mov_b32 s3, 0
	s_delay_alu instid0(VALU_DEP_2)
	v_dual_mov_b32 v4, v2 :: v_dual_mov_b32 v3, v1
	.p2align	6
.LBB122_85:                             ; =>This Inner Loop Header: Depth=1
	scratch_load_b128 v[14:17], v9, off offset:-8
	ds_load_b128 v[18:21], v8
	v_add_nc_u32_e32 v7, 1, v7
	v_add_nc_u32_e32 v8, 16, v8
	v_add_nc_u32_e32 v9, 16, v9
	s_delay_alu instid0(VALU_DEP_3) | instskip(SKIP_4) | instid1(VALU_DEP_2)
	v_cmp_lt_u32_e32 vcc_lo, 16, v7
	s_or_b32 s3, vcc_lo, s3
	s_waitcnt vmcnt(0) lgkmcnt(0)
	v_mul_f64 v[10:11], v[20:21], v[16:17]
	v_mul_f64 v[16:17], v[18:19], v[16:17]
	v_fma_f64 v[10:11], v[18:19], v[14:15], -v[10:11]
	s_delay_alu instid0(VALU_DEP_2) | instskip(NEXT) | instid1(VALU_DEP_2)
	v_fma_f64 v[14:15], v[20:21], v[14:15], v[16:17]
	v_add_f64 v[3:4], v[3:4], v[10:11]
	s_delay_alu instid0(VALU_DEP_2)
	v_add_f64 v[1:2], v[1:2], v[14:15]
	s_and_not1_b32 exec_lo, exec_lo, s3
	s_cbranch_execnz .LBB122_85
; %bb.86:
	s_or_b32 exec_lo, exec_lo, s3
	v_mov_b32_e32 v7, 0
	ds_load_b128 v[7:10], v7 offset:288
	s_waitcnt lgkmcnt(0)
	v_mul_f64 v[11:12], v[1:2], v[9:10]
	v_mul_f64 v[14:15], v[3:4], v[9:10]
	s_delay_alu instid0(VALU_DEP_2) | instskip(NEXT) | instid1(VALU_DEP_2)
	v_fma_f64 v[9:10], v[3:4], v[7:8], -v[11:12]
	v_fma_f64 v[11:12], v[1:2], v[7:8], v[14:15]
	scratch_store_b128 off, v[9:12], off offset:288
.LBB122_87:
	s_or_b32 exec_lo, exec_lo, s2
	s_waitcnt_vscnt null, 0x0
	s_barrier
	buffer_gl0_inv
	scratch_load_b32 v1, off, off offset:1016 ; 4-byte Folded Reload
	s_mov_b32 s2, exec_lo
	s_waitcnt vmcnt(0)
	scratch_load_b128 v[1:4], v1, off
	s_waitcnt vmcnt(0)
	ds_store_b128 v5, v[1:4]
	s_waitcnt lgkmcnt(0)
	s_barrier
	buffer_gl0_inv
	v_cmpx_gt_u32_e32 19, v164
	s_cbranch_execz .LBB122_91
; %bb.88:
	v_dual_mov_b32 v1, 0 :: v_dual_add_nc_u32 v8, 0x3b0, v45
	v_dual_mov_b32 v2, 0 :: v_dual_add_nc_u32 v7, -1, v164
	v_or_b32_e32 v9, 8, v13
	s_mov_b32 s3, 0
	s_delay_alu instid0(VALU_DEP_2)
	v_dual_mov_b32 v4, v2 :: v_dual_mov_b32 v3, v1
	.p2align	6
.LBB122_89:                             ; =>This Inner Loop Header: Depth=1
	scratch_load_b128 v[14:17], v9, off offset:-8
	ds_load_b128 v[18:21], v8
	v_add_nc_u32_e32 v7, 1, v7
	v_add_nc_u32_e32 v8, 16, v8
	;; [unrolled: 1-line block ×3, first 2 shown]
	s_delay_alu instid0(VALU_DEP_3) | instskip(SKIP_4) | instid1(VALU_DEP_2)
	v_cmp_lt_u32_e32 vcc_lo, 17, v7
	s_or_b32 s3, vcc_lo, s3
	s_waitcnt vmcnt(0) lgkmcnt(0)
	v_mul_f64 v[10:11], v[20:21], v[16:17]
	v_mul_f64 v[16:17], v[18:19], v[16:17]
	v_fma_f64 v[10:11], v[18:19], v[14:15], -v[10:11]
	s_delay_alu instid0(VALU_DEP_2) | instskip(NEXT) | instid1(VALU_DEP_2)
	v_fma_f64 v[14:15], v[20:21], v[14:15], v[16:17]
	v_add_f64 v[3:4], v[3:4], v[10:11]
	s_delay_alu instid0(VALU_DEP_2)
	v_add_f64 v[1:2], v[1:2], v[14:15]
	s_and_not1_b32 exec_lo, exec_lo, s3
	s_cbranch_execnz .LBB122_89
; %bb.90:
	s_or_b32 exec_lo, exec_lo, s3
	v_mov_b32_e32 v7, 0
	ds_load_b128 v[7:10], v7 offset:304
	s_waitcnt lgkmcnt(0)
	v_mul_f64 v[11:12], v[1:2], v[9:10]
	v_mul_f64 v[14:15], v[3:4], v[9:10]
	s_delay_alu instid0(VALU_DEP_2) | instskip(NEXT) | instid1(VALU_DEP_2)
	v_fma_f64 v[9:10], v[3:4], v[7:8], -v[11:12]
	v_fma_f64 v[11:12], v[1:2], v[7:8], v[14:15]
	scratch_store_b128 off, v[9:12], off offset:304
.LBB122_91:
	s_or_b32 exec_lo, exec_lo, s2
	s_waitcnt_vscnt null, 0x0
	s_barrier
	buffer_gl0_inv
	scratch_load_b32 v1, off, off offset:1012 ; 4-byte Folded Reload
	s_mov_b32 s2, exec_lo
	s_waitcnt vmcnt(0)
	scratch_load_b128 v[1:4], v1, off
	s_waitcnt vmcnt(0)
	ds_store_b128 v5, v[1:4]
	s_waitcnt lgkmcnt(0)
	s_barrier
	buffer_gl0_inv
	v_cmpx_gt_u32_e32 20, v164
	s_cbranch_execz .LBB122_95
; %bb.92:
	v_dual_mov_b32 v1, 0 :: v_dual_add_nc_u32 v8, 0x3b0, v45
	v_dual_mov_b32 v2, 0 :: v_dual_add_nc_u32 v7, -1, v164
	v_or_b32_e32 v9, 8, v13
	s_mov_b32 s3, 0
	s_delay_alu instid0(VALU_DEP_2)
	v_dual_mov_b32 v4, v2 :: v_dual_mov_b32 v3, v1
	.p2align	6
.LBB122_93:                             ; =>This Inner Loop Header: Depth=1
	scratch_load_b128 v[14:17], v9, off offset:-8
	ds_load_b128 v[18:21], v8
	v_add_nc_u32_e32 v7, 1, v7
	v_add_nc_u32_e32 v8, 16, v8
	;; [unrolled: 1-line block ×3, first 2 shown]
	s_delay_alu instid0(VALU_DEP_3) | instskip(SKIP_4) | instid1(VALU_DEP_2)
	v_cmp_lt_u32_e32 vcc_lo, 18, v7
	s_or_b32 s3, vcc_lo, s3
	s_waitcnt vmcnt(0) lgkmcnt(0)
	v_mul_f64 v[10:11], v[20:21], v[16:17]
	v_mul_f64 v[16:17], v[18:19], v[16:17]
	v_fma_f64 v[10:11], v[18:19], v[14:15], -v[10:11]
	s_delay_alu instid0(VALU_DEP_2) | instskip(NEXT) | instid1(VALU_DEP_2)
	v_fma_f64 v[14:15], v[20:21], v[14:15], v[16:17]
	v_add_f64 v[3:4], v[3:4], v[10:11]
	s_delay_alu instid0(VALU_DEP_2)
	v_add_f64 v[1:2], v[1:2], v[14:15]
	s_and_not1_b32 exec_lo, exec_lo, s3
	s_cbranch_execnz .LBB122_93
; %bb.94:
	s_or_b32 exec_lo, exec_lo, s3
	v_mov_b32_e32 v7, 0
	ds_load_b128 v[7:10], v7 offset:320
	s_waitcnt lgkmcnt(0)
	v_mul_f64 v[11:12], v[1:2], v[9:10]
	v_mul_f64 v[14:15], v[3:4], v[9:10]
	s_delay_alu instid0(VALU_DEP_2) | instskip(NEXT) | instid1(VALU_DEP_2)
	v_fma_f64 v[9:10], v[3:4], v[7:8], -v[11:12]
	v_fma_f64 v[11:12], v[1:2], v[7:8], v[14:15]
	scratch_store_b128 off, v[9:12], off offset:320
.LBB122_95:
	s_or_b32 exec_lo, exec_lo, s2
	s_waitcnt_vscnt null, 0x0
	s_barrier
	buffer_gl0_inv
	scratch_load_b32 v1, off, off offset:1008 ; 4-byte Folded Reload
	s_mov_b32 s2, exec_lo
	s_waitcnt vmcnt(0)
	scratch_load_b128 v[1:4], v1, off
	s_waitcnt vmcnt(0)
	ds_store_b128 v5, v[1:4]
	s_waitcnt lgkmcnt(0)
	s_barrier
	buffer_gl0_inv
	v_cmpx_gt_u32_e32 21, v164
	s_cbranch_execz .LBB122_99
; %bb.96:
	v_dual_mov_b32 v1, 0 :: v_dual_add_nc_u32 v8, 0x3b0, v45
	v_dual_mov_b32 v2, 0 :: v_dual_add_nc_u32 v7, -1, v164
	v_or_b32_e32 v9, 8, v13
	s_mov_b32 s3, 0
	s_delay_alu instid0(VALU_DEP_2)
	v_dual_mov_b32 v4, v2 :: v_dual_mov_b32 v3, v1
	.p2align	6
.LBB122_97:                             ; =>This Inner Loop Header: Depth=1
	scratch_load_b128 v[14:17], v9, off offset:-8
	ds_load_b128 v[18:21], v8
	v_add_nc_u32_e32 v7, 1, v7
	v_add_nc_u32_e32 v8, 16, v8
	;; [unrolled: 1-line block ×3, first 2 shown]
	s_delay_alu instid0(VALU_DEP_3) | instskip(SKIP_4) | instid1(VALU_DEP_2)
	v_cmp_lt_u32_e32 vcc_lo, 19, v7
	s_or_b32 s3, vcc_lo, s3
	s_waitcnt vmcnt(0) lgkmcnt(0)
	v_mul_f64 v[10:11], v[20:21], v[16:17]
	v_mul_f64 v[16:17], v[18:19], v[16:17]
	v_fma_f64 v[10:11], v[18:19], v[14:15], -v[10:11]
	s_delay_alu instid0(VALU_DEP_2) | instskip(NEXT) | instid1(VALU_DEP_2)
	v_fma_f64 v[14:15], v[20:21], v[14:15], v[16:17]
	v_add_f64 v[3:4], v[3:4], v[10:11]
	s_delay_alu instid0(VALU_DEP_2)
	v_add_f64 v[1:2], v[1:2], v[14:15]
	s_and_not1_b32 exec_lo, exec_lo, s3
	s_cbranch_execnz .LBB122_97
; %bb.98:
	s_or_b32 exec_lo, exec_lo, s3
	v_mov_b32_e32 v7, 0
	ds_load_b128 v[7:10], v7 offset:336
	s_waitcnt lgkmcnt(0)
	v_mul_f64 v[11:12], v[1:2], v[9:10]
	v_mul_f64 v[14:15], v[3:4], v[9:10]
	s_delay_alu instid0(VALU_DEP_2) | instskip(NEXT) | instid1(VALU_DEP_2)
	v_fma_f64 v[9:10], v[3:4], v[7:8], -v[11:12]
	v_fma_f64 v[11:12], v[1:2], v[7:8], v[14:15]
	scratch_store_b128 off, v[9:12], off offset:336
.LBB122_99:
	s_or_b32 exec_lo, exec_lo, s2
	s_waitcnt_vscnt null, 0x0
	s_barrier
	buffer_gl0_inv
	scratch_load_b32 v1, off, off offset:1004 ; 4-byte Folded Reload
	s_mov_b32 s2, exec_lo
	s_waitcnt vmcnt(0)
	scratch_load_b128 v[1:4], v1, off
	s_waitcnt vmcnt(0)
	ds_store_b128 v5, v[1:4]
	s_waitcnt lgkmcnt(0)
	s_barrier
	buffer_gl0_inv
	v_cmpx_gt_u32_e32 22, v164
	s_cbranch_execz .LBB122_103
; %bb.100:
	v_dual_mov_b32 v1, 0 :: v_dual_add_nc_u32 v8, 0x3b0, v45
	v_dual_mov_b32 v2, 0 :: v_dual_add_nc_u32 v7, -1, v164
	v_or_b32_e32 v9, 8, v13
	s_mov_b32 s3, 0
	s_delay_alu instid0(VALU_DEP_2)
	v_dual_mov_b32 v4, v2 :: v_dual_mov_b32 v3, v1
	.p2align	6
.LBB122_101:                            ; =>This Inner Loop Header: Depth=1
	scratch_load_b128 v[14:17], v9, off offset:-8
	ds_load_b128 v[18:21], v8
	v_add_nc_u32_e32 v7, 1, v7
	v_add_nc_u32_e32 v8, 16, v8
	;; [unrolled: 1-line block ×3, first 2 shown]
	s_delay_alu instid0(VALU_DEP_3) | instskip(SKIP_4) | instid1(VALU_DEP_2)
	v_cmp_lt_u32_e32 vcc_lo, 20, v7
	s_or_b32 s3, vcc_lo, s3
	s_waitcnt vmcnt(0) lgkmcnt(0)
	v_mul_f64 v[10:11], v[20:21], v[16:17]
	v_mul_f64 v[16:17], v[18:19], v[16:17]
	v_fma_f64 v[10:11], v[18:19], v[14:15], -v[10:11]
	s_delay_alu instid0(VALU_DEP_2) | instskip(NEXT) | instid1(VALU_DEP_2)
	v_fma_f64 v[14:15], v[20:21], v[14:15], v[16:17]
	v_add_f64 v[3:4], v[3:4], v[10:11]
	s_delay_alu instid0(VALU_DEP_2)
	v_add_f64 v[1:2], v[1:2], v[14:15]
	s_and_not1_b32 exec_lo, exec_lo, s3
	s_cbranch_execnz .LBB122_101
; %bb.102:
	s_or_b32 exec_lo, exec_lo, s3
	v_mov_b32_e32 v7, 0
	ds_load_b128 v[7:10], v7 offset:352
	s_waitcnt lgkmcnt(0)
	v_mul_f64 v[11:12], v[1:2], v[9:10]
	v_mul_f64 v[14:15], v[3:4], v[9:10]
	s_delay_alu instid0(VALU_DEP_2) | instskip(NEXT) | instid1(VALU_DEP_2)
	v_fma_f64 v[9:10], v[3:4], v[7:8], -v[11:12]
	v_fma_f64 v[11:12], v[1:2], v[7:8], v[14:15]
	scratch_store_b128 off, v[9:12], off offset:352
.LBB122_103:
	s_or_b32 exec_lo, exec_lo, s2
	s_waitcnt_vscnt null, 0x0
	s_barrier
	buffer_gl0_inv
	scratch_load_b32 v1, off, off offset:1000 ; 4-byte Folded Reload
	s_mov_b32 s2, exec_lo
	s_waitcnt vmcnt(0)
	scratch_load_b128 v[1:4], v1, off
	s_waitcnt vmcnt(0)
	ds_store_b128 v5, v[1:4]
	s_waitcnt lgkmcnt(0)
	s_barrier
	buffer_gl0_inv
	v_cmpx_gt_u32_e32 23, v164
	s_cbranch_execz .LBB122_107
; %bb.104:
	v_dual_mov_b32 v1, 0 :: v_dual_add_nc_u32 v8, 0x3b0, v45
	v_dual_mov_b32 v2, 0 :: v_dual_add_nc_u32 v7, -1, v164
	v_or_b32_e32 v9, 8, v13
	s_mov_b32 s3, 0
	s_delay_alu instid0(VALU_DEP_2)
	v_dual_mov_b32 v4, v2 :: v_dual_mov_b32 v3, v1
	.p2align	6
.LBB122_105:                            ; =>This Inner Loop Header: Depth=1
	scratch_load_b128 v[14:17], v9, off offset:-8
	ds_load_b128 v[18:21], v8
	v_add_nc_u32_e32 v7, 1, v7
	v_add_nc_u32_e32 v8, 16, v8
	;; [unrolled: 1-line block ×3, first 2 shown]
	s_delay_alu instid0(VALU_DEP_3) | instskip(SKIP_4) | instid1(VALU_DEP_2)
	v_cmp_lt_u32_e32 vcc_lo, 21, v7
	s_or_b32 s3, vcc_lo, s3
	s_waitcnt vmcnt(0) lgkmcnt(0)
	v_mul_f64 v[10:11], v[20:21], v[16:17]
	v_mul_f64 v[16:17], v[18:19], v[16:17]
	v_fma_f64 v[10:11], v[18:19], v[14:15], -v[10:11]
	s_delay_alu instid0(VALU_DEP_2) | instskip(NEXT) | instid1(VALU_DEP_2)
	v_fma_f64 v[14:15], v[20:21], v[14:15], v[16:17]
	v_add_f64 v[3:4], v[3:4], v[10:11]
	s_delay_alu instid0(VALU_DEP_2)
	v_add_f64 v[1:2], v[1:2], v[14:15]
	s_and_not1_b32 exec_lo, exec_lo, s3
	s_cbranch_execnz .LBB122_105
; %bb.106:
	s_or_b32 exec_lo, exec_lo, s3
	v_mov_b32_e32 v7, 0
	ds_load_b128 v[7:10], v7 offset:368
	s_waitcnt lgkmcnt(0)
	v_mul_f64 v[11:12], v[1:2], v[9:10]
	v_mul_f64 v[14:15], v[3:4], v[9:10]
	s_delay_alu instid0(VALU_DEP_2) | instskip(NEXT) | instid1(VALU_DEP_2)
	v_fma_f64 v[9:10], v[3:4], v[7:8], -v[11:12]
	v_fma_f64 v[11:12], v[1:2], v[7:8], v[14:15]
	scratch_store_b128 off, v[9:12], off offset:368
.LBB122_107:
	s_or_b32 exec_lo, exec_lo, s2
	s_waitcnt_vscnt null, 0x0
	s_barrier
	buffer_gl0_inv
	scratch_load_b32 v1, off, off offset:996 ; 4-byte Folded Reload
	s_mov_b32 s2, exec_lo
	s_waitcnt vmcnt(0)
	scratch_load_b128 v[1:4], v1, off
	s_waitcnt vmcnt(0)
	ds_store_b128 v5, v[1:4]
	s_waitcnt lgkmcnt(0)
	s_barrier
	buffer_gl0_inv
	v_cmpx_gt_u32_e32 24, v164
	s_cbranch_execz .LBB122_111
; %bb.108:
	v_dual_mov_b32 v1, 0 :: v_dual_add_nc_u32 v8, 0x3b0, v45
	v_dual_mov_b32 v2, 0 :: v_dual_add_nc_u32 v7, -1, v164
	v_or_b32_e32 v9, 8, v13
	s_mov_b32 s3, 0
	s_delay_alu instid0(VALU_DEP_2)
	v_dual_mov_b32 v4, v2 :: v_dual_mov_b32 v3, v1
	.p2align	6
.LBB122_109:                            ; =>This Inner Loop Header: Depth=1
	scratch_load_b128 v[14:17], v9, off offset:-8
	ds_load_b128 v[18:21], v8
	v_add_nc_u32_e32 v7, 1, v7
	v_add_nc_u32_e32 v8, 16, v8
	;; [unrolled: 1-line block ×3, first 2 shown]
	s_delay_alu instid0(VALU_DEP_3) | instskip(SKIP_4) | instid1(VALU_DEP_2)
	v_cmp_lt_u32_e32 vcc_lo, 22, v7
	s_or_b32 s3, vcc_lo, s3
	s_waitcnt vmcnt(0) lgkmcnt(0)
	v_mul_f64 v[10:11], v[20:21], v[16:17]
	v_mul_f64 v[16:17], v[18:19], v[16:17]
	v_fma_f64 v[10:11], v[18:19], v[14:15], -v[10:11]
	s_delay_alu instid0(VALU_DEP_2) | instskip(NEXT) | instid1(VALU_DEP_2)
	v_fma_f64 v[14:15], v[20:21], v[14:15], v[16:17]
	v_add_f64 v[3:4], v[3:4], v[10:11]
	s_delay_alu instid0(VALU_DEP_2)
	v_add_f64 v[1:2], v[1:2], v[14:15]
	s_and_not1_b32 exec_lo, exec_lo, s3
	s_cbranch_execnz .LBB122_109
; %bb.110:
	s_or_b32 exec_lo, exec_lo, s3
	v_mov_b32_e32 v7, 0
	ds_load_b128 v[7:10], v7 offset:384
	s_waitcnt lgkmcnt(0)
	v_mul_f64 v[11:12], v[1:2], v[9:10]
	v_mul_f64 v[14:15], v[3:4], v[9:10]
	s_delay_alu instid0(VALU_DEP_2) | instskip(NEXT) | instid1(VALU_DEP_2)
	v_fma_f64 v[9:10], v[3:4], v[7:8], -v[11:12]
	v_fma_f64 v[11:12], v[1:2], v[7:8], v[14:15]
	scratch_store_b128 off, v[9:12], off offset:384
.LBB122_111:
	s_or_b32 exec_lo, exec_lo, s2
	s_waitcnt_vscnt null, 0x0
	s_barrier
	buffer_gl0_inv
	scratch_load_b32 v1, off, off offset:992 ; 4-byte Folded Reload
	s_mov_b32 s2, exec_lo
	s_waitcnt vmcnt(0)
	scratch_load_b128 v[1:4], v1, off
	s_waitcnt vmcnt(0)
	ds_store_b128 v5, v[1:4]
	s_waitcnt lgkmcnt(0)
	s_barrier
	buffer_gl0_inv
	v_cmpx_gt_u32_e32 25, v164
	s_cbranch_execz .LBB122_115
; %bb.112:
	v_dual_mov_b32 v1, 0 :: v_dual_add_nc_u32 v8, 0x3b0, v45
	v_dual_mov_b32 v2, 0 :: v_dual_add_nc_u32 v7, -1, v164
	v_or_b32_e32 v9, 8, v13
	s_mov_b32 s3, 0
	s_delay_alu instid0(VALU_DEP_2)
	v_dual_mov_b32 v4, v2 :: v_dual_mov_b32 v3, v1
	.p2align	6
.LBB122_113:                            ; =>This Inner Loop Header: Depth=1
	scratch_load_b128 v[14:17], v9, off offset:-8
	ds_load_b128 v[18:21], v8
	v_add_nc_u32_e32 v7, 1, v7
	v_add_nc_u32_e32 v8, 16, v8
	;; [unrolled: 1-line block ×3, first 2 shown]
	s_delay_alu instid0(VALU_DEP_3) | instskip(SKIP_4) | instid1(VALU_DEP_2)
	v_cmp_lt_u32_e32 vcc_lo, 23, v7
	s_or_b32 s3, vcc_lo, s3
	s_waitcnt vmcnt(0) lgkmcnt(0)
	v_mul_f64 v[10:11], v[20:21], v[16:17]
	v_mul_f64 v[16:17], v[18:19], v[16:17]
	v_fma_f64 v[10:11], v[18:19], v[14:15], -v[10:11]
	s_delay_alu instid0(VALU_DEP_2) | instskip(NEXT) | instid1(VALU_DEP_2)
	v_fma_f64 v[14:15], v[20:21], v[14:15], v[16:17]
	v_add_f64 v[3:4], v[3:4], v[10:11]
	s_delay_alu instid0(VALU_DEP_2)
	v_add_f64 v[1:2], v[1:2], v[14:15]
	s_and_not1_b32 exec_lo, exec_lo, s3
	s_cbranch_execnz .LBB122_113
; %bb.114:
	s_or_b32 exec_lo, exec_lo, s3
	v_mov_b32_e32 v7, 0
	ds_load_b128 v[7:10], v7 offset:400
	s_waitcnt lgkmcnt(0)
	v_mul_f64 v[11:12], v[1:2], v[9:10]
	v_mul_f64 v[14:15], v[3:4], v[9:10]
	s_delay_alu instid0(VALU_DEP_2) | instskip(NEXT) | instid1(VALU_DEP_2)
	v_fma_f64 v[9:10], v[3:4], v[7:8], -v[11:12]
	v_fma_f64 v[11:12], v[1:2], v[7:8], v[14:15]
	scratch_store_b128 off, v[9:12], off offset:400
.LBB122_115:
	s_or_b32 exec_lo, exec_lo, s2
	s_waitcnt_vscnt null, 0x0
	s_barrier
	buffer_gl0_inv
	scratch_load_b32 v1, off, off offset:988 ; 4-byte Folded Reload
	s_mov_b32 s2, exec_lo
	s_waitcnt vmcnt(0)
	scratch_load_b128 v[1:4], v1, off
	s_waitcnt vmcnt(0)
	ds_store_b128 v5, v[1:4]
	s_waitcnt lgkmcnt(0)
	s_barrier
	buffer_gl0_inv
	v_cmpx_gt_u32_e32 26, v164
	s_cbranch_execz .LBB122_119
; %bb.116:
	v_dual_mov_b32 v1, 0 :: v_dual_add_nc_u32 v8, 0x3b0, v45
	v_dual_mov_b32 v2, 0 :: v_dual_add_nc_u32 v7, -1, v164
	v_or_b32_e32 v9, 8, v13
	s_mov_b32 s3, 0
	s_delay_alu instid0(VALU_DEP_2)
	v_dual_mov_b32 v4, v2 :: v_dual_mov_b32 v3, v1
	.p2align	6
.LBB122_117:                            ; =>This Inner Loop Header: Depth=1
	scratch_load_b128 v[14:17], v9, off offset:-8
	ds_load_b128 v[18:21], v8
	v_add_nc_u32_e32 v7, 1, v7
	v_add_nc_u32_e32 v8, 16, v8
	;; [unrolled: 1-line block ×3, first 2 shown]
	s_delay_alu instid0(VALU_DEP_3) | instskip(SKIP_4) | instid1(VALU_DEP_2)
	v_cmp_lt_u32_e32 vcc_lo, 24, v7
	s_or_b32 s3, vcc_lo, s3
	s_waitcnt vmcnt(0) lgkmcnt(0)
	v_mul_f64 v[10:11], v[20:21], v[16:17]
	v_mul_f64 v[16:17], v[18:19], v[16:17]
	v_fma_f64 v[10:11], v[18:19], v[14:15], -v[10:11]
	s_delay_alu instid0(VALU_DEP_2) | instskip(NEXT) | instid1(VALU_DEP_2)
	v_fma_f64 v[14:15], v[20:21], v[14:15], v[16:17]
	v_add_f64 v[3:4], v[3:4], v[10:11]
	s_delay_alu instid0(VALU_DEP_2)
	v_add_f64 v[1:2], v[1:2], v[14:15]
	s_and_not1_b32 exec_lo, exec_lo, s3
	s_cbranch_execnz .LBB122_117
; %bb.118:
	s_or_b32 exec_lo, exec_lo, s3
	v_mov_b32_e32 v7, 0
	ds_load_b128 v[7:10], v7 offset:416
	s_waitcnt lgkmcnt(0)
	v_mul_f64 v[11:12], v[1:2], v[9:10]
	v_mul_f64 v[14:15], v[3:4], v[9:10]
	s_delay_alu instid0(VALU_DEP_2) | instskip(NEXT) | instid1(VALU_DEP_2)
	v_fma_f64 v[9:10], v[3:4], v[7:8], -v[11:12]
	v_fma_f64 v[11:12], v[1:2], v[7:8], v[14:15]
	scratch_store_b128 off, v[9:12], off offset:416
.LBB122_119:
	s_or_b32 exec_lo, exec_lo, s2
	s_waitcnt_vscnt null, 0x0
	s_barrier
	buffer_gl0_inv
	scratch_load_b32 v1, off, off offset:984 ; 4-byte Folded Reload
	s_mov_b32 s2, exec_lo
	s_waitcnt vmcnt(0)
	scratch_load_b128 v[1:4], v1, off
	s_waitcnt vmcnt(0)
	ds_store_b128 v5, v[1:4]
	s_waitcnt lgkmcnt(0)
	s_barrier
	buffer_gl0_inv
	v_cmpx_gt_u32_e32 27, v164
	s_cbranch_execz .LBB122_123
; %bb.120:
	v_dual_mov_b32 v1, 0 :: v_dual_add_nc_u32 v8, 0x3b0, v45
	v_dual_mov_b32 v2, 0 :: v_dual_add_nc_u32 v7, -1, v164
	v_or_b32_e32 v9, 8, v13
	s_mov_b32 s3, 0
	s_delay_alu instid0(VALU_DEP_2)
	v_dual_mov_b32 v4, v2 :: v_dual_mov_b32 v3, v1
	.p2align	6
.LBB122_121:                            ; =>This Inner Loop Header: Depth=1
	scratch_load_b128 v[14:17], v9, off offset:-8
	ds_load_b128 v[18:21], v8
	v_add_nc_u32_e32 v7, 1, v7
	v_add_nc_u32_e32 v8, 16, v8
	;; [unrolled: 1-line block ×3, first 2 shown]
	s_delay_alu instid0(VALU_DEP_3) | instskip(SKIP_4) | instid1(VALU_DEP_2)
	v_cmp_lt_u32_e32 vcc_lo, 25, v7
	s_or_b32 s3, vcc_lo, s3
	s_waitcnt vmcnt(0) lgkmcnt(0)
	v_mul_f64 v[10:11], v[20:21], v[16:17]
	v_mul_f64 v[16:17], v[18:19], v[16:17]
	v_fma_f64 v[10:11], v[18:19], v[14:15], -v[10:11]
	s_delay_alu instid0(VALU_DEP_2) | instskip(NEXT) | instid1(VALU_DEP_2)
	v_fma_f64 v[14:15], v[20:21], v[14:15], v[16:17]
	v_add_f64 v[3:4], v[3:4], v[10:11]
	s_delay_alu instid0(VALU_DEP_2)
	v_add_f64 v[1:2], v[1:2], v[14:15]
	s_and_not1_b32 exec_lo, exec_lo, s3
	s_cbranch_execnz .LBB122_121
; %bb.122:
	s_or_b32 exec_lo, exec_lo, s3
	v_mov_b32_e32 v7, 0
	ds_load_b128 v[7:10], v7 offset:432
	s_waitcnt lgkmcnt(0)
	v_mul_f64 v[11:12], v[1:2], v[9:10]
	v_mul_f64 v[14:15], v[3:4], v[9:10]
	s_delay_alu instid0(VALU_DEP_2) | instskip(NEXT) | instid1(VALU_DEP_2)
	v_fma_f64 v[9:10], v[3:4], v[7:8], -v[11:12]
	v_fma_f64 v[11:12], v[1:2], v[7:8], v[14:15]
	scratch_store_b128 off, v[9:12], off offset:432
.LBB122_123:
	s_or_b32 exec_lo, exec_lo, s2
	s_waitcnt_vscnt null, 0x0
	s_barrier
	buffer_gl0_inv
	scratch_load_b32 v1, off, off offset:980 ; 4-byte Folded Reload
	s_mov_b32 s2, exec_lo
	s_waitcnt vmcnt(0)
	scratch_load_b128 v[1:4], v1, off
	s_waitcnt vmcnt(0)
	ds_store_b128 v5, v[1:4]
	s_waitcnt lgkmcnt(0)
	s_barrier
	buffer_gl0_inv
	v_cmpx_gt_u32_e32 28, v164
	s_cbranch_execz .LBB122_127
; %bb.124:
	v_dual_mov_b32 v1, 0 :: v_dual_add_nc_u32 v8, 0x3b0, v45
	v_dual_mov_b32 v2, 0 :: v_dual_add_nc_u32 v7, -1, v164
	v_or_b32_e32 v9, 8, v13
	s_mov_b32 s3, 0
	s_delay_alu instid0(VALU_DEP_2)
	v_dual_mov_b32 v4, v2 :: v_dual_mov_b32 v3, v1
	.p2align	6
.LBB122_125:                            ; =>This Inner Loop Header: Depth=1
	scratch_load_b128 v[14:17], v9, off offset:-8
	ds_load_b128 v[18:21], v8
	v_add_nc_u32_e32 v7, 1, v7
	v_add_nc_u32_e32 v8, 16, v8
	;; [unrolled: 1-line block ×3, first 2 shown]
	s_delay_alu instid0(VALU_DEP_3) | instskip(SKIP_4) | instid1(VALU_DEP_2)
	v_cmp_lt_u32_e32 vcc_lo, 26, v7
	s_or_b32 s3, vcc_lo, s3
	s_waitcnt vmcnt(0) lgkmcnt(0)
	v_mul_f64 v[10:11], v[20:21], v[16:17]
	v_mul_f64 v[16:17], v[18:19], v[16:17]
	v_fma_f64 v[10:11], v[18:19], v[14:15], -v[10:11]
	s_delay_alu instid0(VALU_DEP_2) | instskip(NEXT) | instid1(VALU_DEP_2)
	v_fma_f64 v[14:15], v[20:21], v[14:15], v[16:17]
	v_add_f64 v[3:4], v[3:4], v[10:11]
	s_delay_alu instid0(VALU_DEP_2)
	v_add_f64 v[1:2], v[1:2], v[14:15]
	s_and_not1_b32 exec_lo, exec_lo, s3
	s_cbranch_execnz .LBB122_125
; %bb.126:
	s_or_b32 exec_lo, exec_lo, s3
	v_mov_b32_e32 v7, 0
	ds_load_b128 v[7:10], v7 offset:448
	s_waitcnt lgkmcnt(0)
	v_mul_f64 v[11:12], v[1:2], v[9:10]
	v_mul_f64 v[14:15], v[3:4], v[9:10]
	s_delay_alu instid0(VALU_DEP_2) | instskip(NEXT) | instid1(VALU_DEP_2)
	v_fma_f64 v[9:10], v[3:4], v[7:8], -v[11:12]
	v_fma_f64 v[11:12], v[1:2], v[7:8], v[14:15]
	scratch_store_b128 off, v[9:12], off offset:448
.LBB122_127:
	s_or_b32 exec_lo, exec_lo, s2
	s_waitcnt_vscnt null, 0x0
	s_barrier
	buffer_gl0_inv
	scratch_load_b32 v1, off, off offset:976 ; 4-byte Folded Reload
	s_mov_b32 s2, exec_lo
	s_waitcnt vmcnt(0)
	scratch_load_b128 v[1:4], v1, off
	s_waitcnt vmcnt(0)
	ds_store_b128 v5, v[1:4]
	s_waitcnt lgkmcnt(0)
	s_barrier
	buffer_gl0_inv
	v_cmpx_gt_u32_e32 29, v164
	s_cbranch_execz .LBB122_131
; %bb.128:
	v_dual_mov_b32 v1, 0 :: v_dual_add_nc_u32 v8, 0x3b0, v45
	v_dual_mov_b32 v2, 0 :: v_dual_add_nc_u32 v7, -1, v164
	v_or_b32_e32 v9, 8, v13
	s_mov_b32 s3, 0
	s_delay_alu instid0(VALU_DEP_2)
	v_dual_mov_b32 v4, v2 :: v_dual_mov_b32 v3, v1
	.p2align	6
.LBB122_129:                            ; =>This Inner Loop Header: Depth=1
	scratch_load_b128 v[14:17], v9, off offset:-8
	ds_load_b128 v[18:21], v8
	v_add_nc_u32_e32 v7, 1, v7
	v_add_nc_u32_e32 v8, 16, v8
	;; [unrolled: 1-line block ×3, first 2 shown]
	s_delay_alu instid0(VALU_DEP_3) | instskip(SKIP_4) | instid1(VALU_DEP_2)
	v_cmp_lt_u32_e32 vcc_lo, 27, v7
	s_or_b32 s3, vcc_lo, s3
	s_waitcnt vmcnt(0) lgkmcnt(0)
	v_mul_f64 v[10:11], v[20:21], v[16:17]
	v_mul_f64 v[16:17], v[18:19], v[16:17]
	v_fma_f64 v[10:11], v[18:19], v[14:15], -v[10:11]
	s_delay_alu instid0(VALU_DEP_2) | instskip(NEXT) | instid1(VALU_DEP_2)
	v_fma_f64 v[14:15], v[20:21], v[14:15], v[16:17]
	v_add_f64 v[3:4], v[3:4], v[10:11]
	s_delay_alu instid0(VALU_DEP_2)
	v_add_f64 v[1:2], v[1:2], v[14:15]
	s_and_not1_b32 exec_lo, exec_lo, s3
	s_cbranch_execnz .LBB122_129
; %bb.130:
	s_or_b32 exec_lo, exec_lo, s3
	v_mov_b32_e32 v7, 0
	ds_load_b128 v[7:10], v7 offset:464
	s_waitcnt lgkmcnt(0)
	v_mul_f64 v[11:12], v[1:2], v[9:10]
	v_mul_f64 v[14:15], v[3:4], v[9:10]
	s_delay_alu instid0(VALU_DEP_2) | instskip(NEXT) | instid1(VALU_DEP_2)
	v_fma_f64 v[9:10], v[3:4], v[7:8], -v[11:12]
	v_fma_f64 v[11:12], v[1:2], v[7:8], v[14:15]
	scratch_store_b128 off, v[9:12], off offset:464
.LBB122_131:
	s_or_b32 exec_lo, exec_lo, s2
	s_waitcnt_vscnt null, 0x0
	s_barrier
	buffer_gl0_inv
	scratch_load_b32 v1, off, off offset:972 ; 4-byte Folded Reload
	s_mov_b32 s2, exec_lo
	s_waitcnt vmcnt(0)
	scratch_load_b128 v[1:4], v1, off
	s_waitcnt vmcnt(0)
	ds_store_b128 v5, v[1:4]
	s_waitcnt lgkmcnt(0)
	s_barrier
	buffer_gl0_inv
	v_cmpx_gt_u32_e32 30, v164
	s_cbranch_execz .LBB122_135
; %bb.132:
	v_dual_mov_b32 v1, 0 :: v_dual_add_nc_u32 v8, 0x3b0, v45
	v_dual_mov_b32 v2, 0 :: v_dual_add_nc_u32 v7, -1, v164
	v_or_b32_e32 v9, 8, v13
	s_mov_b32 s3, 0
	s_delay_alu instid0(VALU_DEP_2)
	v_dual_mov_b32 v4, v2 :: v_dual_mov_b32 v3, v1
	.p2align	6
.LBB122_133:                            ; =>This Inner Loop Header: Depth=1
	scratch_load_b128 v[14:17], v9, off offset:-8
	ds_load_b128 v[18:21], v8
	v_add_nc_u32_e32 v7, 1, v7
	v_add_nc_u32_e32 v8, 16, v8
	;; [unrolled: 1-line block ×3, first 2 shown]
	s_delay_alu instid0(VALU_DEP_3) | instskip(SKIP_4) | instid1(VALU_DEP_2)
	v_cmp_lt_u32_e32 vcc_lo, 28, v7
	s_or_b32 s3, vcc_lo, s3
	s_waitcnt vmcnt(0) lgkmcnt(0)
	v_mul_f64 v[10:11], v[20:21], v[16:17]
	v_mul_f64 v[16:17], v[18:19], v[16:17]
	v_fma_f64 v[10:11], v[18:19], v[14:15], -v[10:11]
	s_delay_alu instid0(VALU_DEP_2) | instskip(NEXT) | instid1(VALU_DEP_2)
	v_fma_f64 v[14:15], v[20:21], v[14:15], v[16:17]
	v_add_f64 v[3:4], v[3:4], v[10:11]
	s_delay_alu instid0(VALU_DEP_2)
	v_add_f64 v[1:2], v[1:2], v[14:15]
	s_and_not1_b32 exec_lo, exec_lo, s3
	s_cbranch_execnz .LBB122_133
; %bb.134:
	s_or_b32 exec_lo, exec_lo, s3
	v_mov_b32_e32 v7, 0
	ds_load_b128 v[7:10], v7 offset:480
	s_waitcnt lgkmcnt(0)
	v_mul_f64 v[11:12], v[1:2], v[9:10]
	v_mul_f64 v[14:15], v[3:4], v[9:10]
	s_delay_alu instid0(VALU_DEP_2) | instskip(NEXT) | instid1(VALU_DEP_2)
	v_fma_f64 v[9:10], v[3:4], v[7:8], -v[11:12]
	v_fma_f64 v[11:12], v[1:2], v[7:8], v[14:15]
	scratch_store_b128 off, v[9:12], off offset:480
.LBB122_135:
	s_or_b32 exec_lo, exec_lo, s2
	s_waitcnt_vscnt null, 0x0
	s_barrier
	buffer_gl0_inv
	scratch_load_b32 v1, off, off offset:968 ; 4-byte Folded Reload
	s_mov_b32 s2, exec_lo
	s_waitcnt vmcnt(0)
	scratch_load_b128 v[1:4], v1, off
	s_waitcnt vmcnt(0)
	ds_store_b128 v5, v[1:4]
	s_waitcnt lgkmcnt(0)
	s_barrier
	buffer_gl0_inv
	v_cmpx_gt_u32_e32 31, v164
	s_cbranch_execz .LBB122_139
; %bb.136:
	v_dual_mov_b32 v1, 0 :: v_dual_add_nc_u32 v8, 0x3b0, v45
	v_dual_mov_b32 v2, 0 :: v_dual_add_nc_u32 v7, -1, v164
	v_or_b32_e32 v9, 8, v13
	s_mov_b32 s3, 0
	s_delay_alu instid0(VALU_DEP_2)
	v_dual_mov_b32 v4, v2 :: v_dual_mov_b32 v3, v1
	.p2align	6
.LBB122_137:                            ; =>This Inner Loop Header: Depth=1
	scratch_load_b128 v[14:17], v9, off offset:-8
	ds_load_b128 v[18:21], v8
	v_add_nc_u32_e32 v7, 1, v7
	v_add_nc_u32_e32 v8, 16, v8
	;; [unrolled: 1-line block ×3, first 2 shown]
	s_delay_alu instid0(VALU_DEP_3) | instskip(SKIP_4) | instid1(VALU_DEP_2)
	v_cmp_lt_u32_e32 vcc_lo, 29, v7
	s_or_b32 s3, vcc_lo, s3
	s_waitcnt vmcnt(0) lgkmcnt(0)
	v_mul_f64 v[10:11], v[20:21], v[16:17]
	v_mul_f64 v[16:17], v[18:19], v[16:17]
	v_fma_f64 v[10:11], v[18:19], v[14:15], -v[10:11]
	s_delay_alu instid0(VALU_DEP_2) | instskip(NEXT) | instid1(VALU_DEP_2)
	v_fma_f64 v[14:15], v[20:21], v[14:15], v[16:17]
	v_add_f64 v[3:4], v[3:4], v[10:11]
	s_delay_alu instid0(VALU_DEP_2)
	v_add_f64 v[1:2], v[1:2], v[14:15]
	s_and_not1_b32 exec_lo, exec_lo, s3
	s_cbranch_execnz .LBB122_137
; %bb.138:
	s_or_b32 exec_lo, exec_lo, s3
	v_mov_b32_e32 v7, 0
	ds_load_b128 v[7:10], v7 offset:496
	s_waitcnt lgkmcnt(0)
	v_mul_f64 v[11:12], v[1:2], v[9:10]
	v_mul_f64 v[14:15], v[3:4], v[9:10]
	s_delay_alu instid0(VALU_DEP_2) | instskip(NEXT) | instid1(VALU_DEP_2)
	v_fma_f64 v[9:10], v[3:4], v[7:8], -v[11:12]
	v_fma_f64 v[11:12], v[1:2], v[7:8], v[14:15]
	scratch_store_b128 off, v[9:12], off offset:496
.LBB122_139:
	s_or_b32 exec_lo, exec_lo, s2
	s_waitcnt_vscnt null, 0x0
	s_barrier
	buffer_gl0_inv
	scratch_load_b32 v1, off, off offset:964 ; 4-byte Folded Reload
	s_mov_b32 s2, exec_lo
	s_waitcnt vmcnt(0)
	scratch_load_b128 v[1:4], v1, off
	s_waitcnt vmcnt(0)
	ds_store_b128 v5, v[1:4]
	s_waitcnt lgkmcnt(0)
	s_barrier
	buffer_gl0_inv
	v_cmpx_gt_u32_e32 32, v164
	s_cbranch_execz .LBB122_143
; %bb.140:
	v_dual_mov_b32 v1, 0 :: v_dual_add_nc_u32 v8, 0x3b0, v45
	v_dual_mov_b32 v2, 0 :: v_dual_add_nc_u32 v7, -1, v164
	v_or_b32_e32 v9, 8, v13
	s_mov_b32 s3, 0
	s_delay_alu instid0(VALU_DEP_2)
	v_dual_mov_b32 v4, v2 :: v_dual_mov_b32 v3, v1
	.p2align	6
.LBB122_141:                            ; =>This Inner Loop Header: Depth=1
	scratch_load_b128 v[14:17], v9, off offset:-8
	ds_load_b128 v[18:21], v8
	v_add_nc_u32_e32 v7, 1, v7
	v_add_nc_u32_e32 v8, 16, v8
	v_add_nc_u32_e32 v9, 16, v9
	s_delay_alu instid0(VALU_DEP_3) | instskip(SKIP_4) | instid1(VALU_DEP_2)
	v_cmp_lt_u32_e32 vcc_lo, 30, v7
	s_or_b32 s3, vcc_lo, s3
	s_waitcnt vmcnt(0) lgkmcnt(0)
	v_mul_f64 v[10:11], v[20:21], v[16:17]
	v_mul_f64 v[16:17], v[18:19], v[16:17]
	v_fma_f64 v[10:11], v[18:19], v[14:15], -v[10:11]
	s_delay_alu instid0(VALU_DEP_2) | instskip(NEXT) | instid1(VALU_DEP_2)
	v_fma_f64 v[14:15], v[20:21], v[14:15], v[16:17]
	v_add_f64 v[3:4], v[3:4], v[10:11]
	s_delay_alu instid0(VALU_DEP_2)
	v_add_f64 v[1:2], v[1:2], v[14:15]
	s_and_not1_b32 exec_lo, exec_lo, s3
	s_cbranch_execnz .LBB122_141
; %bb.142:
	s_or_b32 exec_lo, exec_lo, s3
	v_mov_b32_e32 v7, 0
	ds_load_b128 v[7:10], v7 offset:512
	s_waitcnt lgkmcnt(0)
	v_mul_f64 v[11:12], v[1:2], v[9:10]
	v_mul_f64 v[14:15], v[3:4], v[9:10]
	s_delay_alu instid0(VALU_DEP_2) | instskip(NEXT) | instid1(VALU_DEP_2)
	v_fma_f64 v[9:10], v[3:4], v[7:8], -v[11:12]
	v_fma_f64 v[11:12], v[1:2], v[7:8], v[14:15]
	scratch_store_b128 off, v[9:12], off offset:512
.LBB122_143:
	s_or_b32 exec_lo, exec_lo, s2
	s_waitcnt_vscnt null, 0x0
	s_barrier
	buffer_gl0_inv
	scratch_load_b32 v1, off, off offset:960 ; 4-byte Folded Reload
	s_mov_b32 s2, exec_lo
	s_waitcnt vmcnt(0)
	scratch_load_b128 v[1:4], v1, off
	s_waitcnt vmcnt(0)
	ds_store_b128 v5, v[1:4]
	s_waitcnt lgkmcnt(0)
	s_barrier
	buffer_gl0_inv
	v_cmpx_gt_u32_e32 33, v164
	s_cbranch_execz .LBB122_147
; %bb.144:
	v_dual_mov_b32 v1, 0 :: v_dual_add_nc_u32 v8, 0x3b0, v45
	v_dual_mov_b32 v2, 0 :: v_dual_add_nc_u32 v7, -1, v164
	v_or_b32_e32 v9, 8, v13
	s_mov_b32 s3, 0
	s_delay_alu instid0(VALU_DEP_2)
	v_dual_mov_b32 v4, v2 :: v_dual_mov_b32 v3, v1
	.p2align	6
.LBB122_145:                            ; =>This Inner Loop Header: Depth=1
	scratch_load_b128 v[14:17], v9, off offset:-8
	ds_load_b128 v[18:21], v8
	v_add_nc_u32_e32 v7, 1, v7
	v_add_nc_u32_e32 v8, 16, v8
	;; [unrolled: 1-line block ×3, first 2 shown]
	s_delay_alu instid0(VALU_DEP_3) | instskip(SKIP_4) | instid1(VALU_DEP_2)
	v_cmp_lt_u32_e32 vcc_lo, 31, v7
	s_or_b32 s3, vcc_lo, s3
	s_waitcnt vmcnt(0) lgkmcnt(0)
	v_mul_f64 v[10:11], v[20:21], v[16:17]
	v_mul_f64 v[16:17], v[18:19], v[16:17]
	v_fma_f64 v[10:11], v[18:19], v[14:15], -v[10:11]
	s_delay_alu instid0(VALU_DEP_2) | instskip(NEXT) | instid1(VALU_DEP_2)
	v_fma_f64 v[14:15], v[20:21], v[14:15], v[16:17]
	v_add_f64 v[3:4], v[3:4], v[10:11]
	s_delay_alu instid0(VALU_DEP_2)
	v_add_f64 v[1:2], v[1:2], v[14:15]
	s_and_not1_b32 exec_lo, exec_lo, s3
	s_cbranch_execnz .LBB122_145
; %bb.146:
	s_or_b32 exec_lo, exec_lo, s3
	v_mov_b32_e32 v7, 0
	ds_load_b128 v[7:10], v7 offset:528
	s_waitcnt lgkmcnt(0)
	v_mul_f64 v[11:12], v[1:2], v[9:10]
	v_mul_f64 v[14:15], v[3:4], v[9:10]
	s_delay_alu instid0(VALU_DEP_2) | instskip(NEXT) | instid1(VALU_DEP_2)
	v_fma_f64 v[9:10], v[3:4], v[7:8], -v[11:12]
	v_fma_f64 v[11:12], v[1:2], v[7:8], v[14:15]
	scratch_store_b128 off, v[9:12], off offset:528
.LBB122_147:
	s_or_b32 exec_lo, exec_lo, s2
	s_waitcnt_vscnt null, 0x0
	s_barrier
	buffer_gl0_inv
	scratch_load_b32 v1, off, off offset:956 ; 4-byte Folded Reload
	s_mov_b32 s2, exec_lo
	s_waitcnt vmcnt(0)
	scratch_load_b128 v[1:4], v1, off
	s_waitcnt vmcnt(0)
	ds_store_b128 v5, v[1:4]
	s_waitcnt lgkmcnt(0)
	s_barrier
	buffer_gl0_inv
	v_cmpx_gt_u32_e32 34, v164
	s_cbranch_execz .LBB122_151
; %bb.148:
	v_dual_mov_b32 v1, 0 :: v_dual_add_nc_u32 v8, 0x3b0, v45
	v_dual_mov_b32 v2, 0 :: v_dual_add_nc_u32 v7, -1, v164
	v_or_b32_e32 v9, 8, v13
	s_mov_b32 s3, 0
	s_delay_alu instid0(VALU_DEP_2)
	v_dual_mov_b32 v4, v2 :: v_dual_mov_b32 v3, v1
	.p2align	6
.LBB122_149:                            ; =>This Inner Loop Header: Depth=1
	scratch_load_b128 v[14:17], v9, off offset:-8
	ds_load_b128 v[18:21], v8
	v_add_nc_u32_e32 v7, 1, v7
	v_add_nc_u32_e32 v8, 16, v8
	;; [unrolled: 1-line block ×3, first 2 shown]
	s_delay_alu instid0(VALU_DEP_3) | instskip(SKIP_4) | instid1(VALU_DEP_2)
	v_cmp_lt_u32_e32 vcc_lo, 32, v7
	s_or_b32 s3, vcc_lo, s3
	s_waitcnt vmcnt(0) lgkmcnt(0)
	v_mul_f64 v[10:11], v[20:21], v[16:17]
	v_mul_f64 v[16:17], v[18:19], v[16:17]
	v_fma_f64 v[10:11], v[18:19], v[14:15], -v[10:11]
	s_delay_alu instid0(VALU_DEP_2) | instskip(NEXT) | instid1(VALU_DEP_2)
	v_fma_f64 v[14:15], v[20:21], v[14:15], v[16:17]
	v_add_f64 v[3:4], v[3:4], v[10:11]
	s_delay_alu instid0(VALU_DEP_2)
	v_add_f64 v[1:2], v[1:2], v[14:15]
	s_and_not1_b32 exec_lo, exec_lo, s3
	s_cbranch_execnz .LBB122_149
; %bb.150:
	s_or_b32 exec_lo, exec_lo, s3
	v_mov_b32_e32 v7, 0
	ds_load_b128 v[7:10], v7 offset:544
	s_waitcnt lgkmcnt(0)
	v_mul_f64 v[11:12], v[1:2], v[9:10]
	v_mul_f64 v[14:15], v[3:4], v[9:10]
	s_delay_alu instid0(VALU_DEP_2) | instskip(NEXT) | instid1(VALU_DEP_2)
	v_fma_f64 v[9:10], v[3:4], v[7:8], -v[11:12]
	v_fma_f64 v[11:12], v[1:2], v[7:8], v[14:15]
	scratch_store_b128 off, v[9:12], off offset:544
.LBB122_151:
	s_or_b32 exec_lo, exec_lo, s2
	s_waitcnt_vscnt null, 0x0
	s_barrier
	buffer_gl0_inv
	scratch_load_b32 v1, off, off offset:952 ; 4-byte Folded Reload
	s_mov_b32 s2, exec_lo
	s_waitcnt vmcnt(0)
	scratch_load_b128 v[1:4], v1, off
	s_waitcnt vmcnt(0)
	ds_store_b128 v5, v[1:4]
	s_waitcnt lgkmcnt(0)
	s_barrier
	buffer_gl0_inv
	v_cmpx_gt_u32_e32 35, v164
	s_cbranch_execz .LBB122_155
; %bb.152:
	v_dual_mov_b32 v1, 0 :: v_dual_add_nc_u32 v8, 0x3b0, v45
	v_dual_mov_b32 v2, 0 :: v_dual_add_nc_u32 v7, -1, v164
	v_or_b32_e32 v9, 8, v13
	s_mov_b32 s3, 0
	s_delay_alu instid0(VALU_DEP_2)
	v_dual_mov_b32 v4, v2 :: v_dual_mov_b32 v3, v1
	.p2align	6
.LBB122_153:                            ; =>This Inner Loop Header: Depth=1
	scratch_load_b128 v[14:17], v9, off offset:-8
	ds_load_b128 v[18:21], v8
	v_add_nc_u32_e32 v7, 1, v7
	v_add_nc_u32_e32 v8, 16, v8
	;; [unrolled: 1-line block ×3, first 2 shown]
	s_delay_alu instid0(VALU_DEP_3) | instskip(SKIP_4) | instid1(VALU_DEP_2)
	v_cmp_lt_u32_e32 vcc_lo, 33, v7
	s_or_b32 s3, vcc_lo, s3
	s_waitcnt vmcnt(0) lgkmcnt(0)
	v_mul_f64 v[10:11], v[20:21], v[16:17]
	v_mul_f64 v[16:17], v[18:19], v[16:17]
	v_fma_f64 v[10:11], v[18:19], v[14:15], -v[10:11]
	s_delay_alu instid0(VALU_DEP_2) | instskip(NEXT) | instid1(VALU_DEP_2)
	v_fma_f64 v[14:15], v[20:21], v[14:15], v[16:17]
	v_add_f64 v[3:4], v[3:4], v[10:11]
	s_delay_alu instid0(VALU_DEP_2)
	v_add_f64 v[1:2], v[1:2], v[14:15]
	s_and_not1_b32 exec_lo, exec_lo, s3
	s_cbranch_execnz .LBB122_153
; %bb.154:
	s_or_b32 exec_lo, exec_lo, s3
	v_mov_b32_e32 v7, 0
	ds_load_b128 v[7:10], v7 offset:560
	s_waitcnt lgkmcnt(0)
	v_mul_f64 v[11:12], v[1:2], v[9:10]
	v_mul_f64 v[14:15], v[3:4], v[9:10]
	s_delay_alu instid0(VALU_DEP_2) | instskip(NEXT) | instid1(VALU_DEP_2)
	v_fma_f64 v[9:10], v[3:4], v[7:8], -v[11:12]
	v_fma_f64 v[11:12], v[1:2], v[7:8], v[14:15]
	scratch_store_b128 off, v[9:12], off offset:560
.LBB122_155:
	s_or_b32 exec_lo, exec_lo, s2
	s_waitcnt_vscnt null, 0x0
	s_barrier
	buffer_gl0_inv
	scratch_load_b32 v1, off, off offset:948 ; 4-byte Folded Reload
	s_mov_b32 s2, exec_lo
	s_waitcnt vmcnt(0)
	scratch_load_b128 v[1:4], v1, off
	s_waitcnt vmcnt(0)
	ds_store_b128 v5, v[1:4]
	s_waitcnt lgkmcnt(0)
	s_barrier
	buffer_gl0_inv
	v_cmpx_gt_u32_e32 36, v164
	s_cbranch_execz .LBB122_159
; %bb.156:
	v_dual_mov_b32 v1, 0 :: v_dual_add_nc_u32 v8, 0x3b0, v45
	v_dual_mov_b32 v2, 0 :: v_dual_add_nc_u32 v7, -1, v164
	v_or_b32_e32 v9, 8, v13
	s_mov_b32 s3, 0
	s_delay_alu instid0(VALU_DEP_2)
	v_dual_mov_b32 v4, v2 :: v_dual_mov_b32 v3, v1
	.p2align	6
.LBB122_157:                            ; =>This Inner Loop Header: Depth=1
	scratch_load_b128 v[14:17], v9, off offset:-8
	ds_load_b128 v[18:21], v8
	v_add_nc_u32_e32 v7, 1, v7
	v_add_nc_u32_e32 v8, 16, v8
	;; [unrolled: 1-line block ×3, first 2 shown]
	s_delay_alu instid0(VALU_DEP_3) | instskip(SKIP_4) | instid1(VALU_DEP_2)
	v_cmp_lt_u32_e32 vcc_lo, 34, v7
	s_or_b32 s3, vcc_lo, s3
	s_waitcnt vmcnt(0) lgkmcnt(0)
	v_mul_f64 v[10:11], v[20:21], v[16:17]
	v_mul_f64 v[16:17], v[18:19], v[16:17]
	v_fma_f64 v[10:11], v[18:19], v[14:15], -v[10:11]
	s_delay_alu instid0(VALU_DEP_2) | instskip(NEXT) | instid1(VALU_DEP_2)
	v_fma_f64 v[14:15], v[20:21], v[14:15], v[16:17]
	v_add_f64 v[3:4], v[3:4], v[10:11]
	s_delay_alu instid0(VALU_DEP_2)
	v_add_f64 v[1:2], v[1:2], v[14:15]
	s_and_not1_b32 exec_lo, exec_lo, s3
	s_cbranch_execnz .LBB122_157
; %bb.158:
	s_or_b32 exec_lo, exec_lo, s3
	v_mov_b32_e32 v7, 0
	ds_load_b128 v[7:10], v7 offset:576
	s_waitcnt lgkmcnt(0)
	v_mul_f64 v[11:12], v[1:2], v[9:10]
	v_mul_f64 v[14:15], v[3:4], v[9:10]
	s_delay_alu instid0(VALU_DEP_2) | instskip(NEXT) | instid1(VALU_DEP_2)
	v_fma_f64 v[9:10], v[3:4], v[7:8], -v[11:12]
	v_fma_f64 v[11:12], v[1:2], v[7:8], v[14:15]
	scratch_store_b128 off, v[9:12], off offset:576
.LBB122_159:
	s_or_b32 exec_lo, exec_lo, s2
	s_waitcnt_vscnt null, 0x0
	s_barrier
	buffer_gl0_inv
	scratch_load_b128 v[1:4], v233, off
	s_mov_b32 s2, exec_lo
	s_waitcnt vmcnt(0)
	ds_store_b128 v5, v[1:4]
	s_waitcnt lgkmcnt(0)
	s_barrier
	buffer_gl0_inv
	v_cmpx_gt_u32_e32 37, v164
	s_cbranch_execz .LBB122_163
; %bb.160:
	v_dual_mov_b32 v1, 0 :: v_dual_add_nc_u32 v8, 0x3b0, v45
	v_dual_mov_b32 v2, 0 :: v_dual_add_nc_u32 v7, -1, v164
	v_or_b32_e32 v9, 8, v13
	s_mov_b32 s3, 0
	s_delay_alu instid0(VALU_DEP_2)
	v_dual_mov_b32 v4, v2 :: v_dual_mov_b32 v3, v1
	.p2align	6
.LBB122_161:                            ; =>This Inner Loop Header: Depth=1
	scratch_load_b128 v[14:17], v9, off offset:-8
	ds_load_b128 v[18:21], v8
	v_add_nc_u32_e32 v7, 1, v7
	v_add_nc_u32_e32 v8, 16, v8
	;; [unrolled: 1-line block ×3, first 2 shown]
	s_delay_alu instid0(VALU_DEP_3) | instskip(SKIP_4) | instid1(VALU_DEP_2)
	v_cmp_lt_u32_e32 vcc_lo, 35, v7
	s_or_b32 s3, vcc_lo, s3
	s_waitcnt vmcnt(0) lgkmcnt(0)
	v_mul_f64 v[10:11], v[20:21], v[16:17]
	v_mul_f64 v[16:17], v[18:19], v[16:17]
	v_fma_f64 v[10:11], v[18:19], v[14:15], -v[10:11]
	s_delay_alu instid0(VALU_DEP_2) | instskip(NEXT) | instid1(VALU_DEP_2)
	v_fma_f64 v[14:15], v[20:21], v[14:15], v[16:17]
	v_add_f64 v[3:4], v[3:4], v[10:11]
	s_delay_alu instid0(VALU_DEP_2)
	v_add_f64 v[1:2], v[1:2], v[14:15]
	s_and_not1_b32 exec_lo, exec_lo, s3
	s_cbranch_execnz .LBB122_161
; %bb.162:
	s_or_b32 exec_lo, exec_lo, s3
	v_mov_b32_e32 v7, 0
	ds_load_b128 v[7:10], v7 offset:592
	s_waitcnt lgkmcnt(0)
	v_mul_f64 v[11:12], v[1:2], v[9:10]
	v_mul_f64 v[14:15], v[3:4], v[9:10]
	s_delay_alu instid0(VALU_DEP_2) | instskip(NEXT) | instid1(VALU_DEP_2)
	v_fma_f64 v[9:10], v[3:4], v[7:8], -v[11:12]
	v_fma_f64 v[11:12], v[1:2], v[7:8], v[14:15]
	scratch_store_b128 off, v[9:12], off offset:592
.LBB122_163:
	s_or_b32 exec_lo, exec_lo, s2
	s_waitcnt_vscnt null, 0x0
	s_barrier
	buffer_gl0_inv
	scratch_load_b128 v[1:4], v236, off
	s_mov_b32 s2, exec_lo
	s_waitcnt vmcnt(0)
	ds_store_b128 v5, v[1:4]
	s_waitcnt lgkmcnt(0)
	s_barrier
	buffer_gl0_inv
	v_cmpx_gt_u32_e32 38, v164
	s_cbranch_execz .LBB122_167
; %bb.164:
	v_dual_mov_b32 v1, 0 :: v_dual_add_nc_u32 v8, 0x3b0, v45
	v_dual_mov_b32 v2, 0 :: v_dual_add_nc_u32 v7, -1, v164
	v_or_b32_e32 v9, 8, v13
	s_mov_b32 s3, 0
	s_delay_alu instid0(VALU_DEP_2)
	v_dual_mov_b32 v4, v2 :: v_dual_mov_b32 v3, v1
	.p2align	6
.LBB122_165:                            ; =>This Inner Loop Header: Depth=1
	scratch_load_b128 v[14:17], v9, off offset:-8
	ds_load_b128 v[18:21], v8
	v_add_nc_u32_e32 v7, 1, v7
	v_add_nc_u32_e32 v8, 16, v8
	v_add_nc_u32_e32 v9, 16, v9
	s_delay_alu instid0(VALU_DEP_3) | instskip(SKIP_4) | instid1(VALU_DEP_2)
	v_cmp_lt_u32_e32 vcc_lo, 36, v7
	s_or_b32 s3, vcc_lo, s3
	s_waitcnt vmcnt(0) lgkmcnt(0)
	v_mul_f64 v[10:11], v[20:21], v[16:17]
	v_mul_f64 v[16:17], v[18:19], v[16:17]
	v_fma_f64 v[10:11], v[18:19], v[14:15], -v[10:11]
	s_delay_alu instid0(VALU_DEP_2) | instskip(NEXT) | instid1(VALU_DEP_2)
	v_fma_f64 v[14:15], v[20:21], v[14:15], v[16:17]
	v_add_f64 v[3:4], v[3:4], v[10:11]
	s_delay_alu instid0(VALU_DEP_2)
	v_add_f64 v[1:2], v[1:2], v[14:15]
	s_and_not1_b32 exec_lo, exec_lo, s3
	s_cbranch_execnz .LBB122_165
; %bb.166:
	s_or_b32 exec_lo, exec_lo, s3
	v_mov_b32_e32 v7, 0
	ds_load_b128 v[7:10], v7 offset:608
	s_waitcnt lgkmcnt(0)
	v_mul_f64 v[11:12], v[1:2], v[9:10]
	v_mul_f64 v[14:15], v[3:4], v[9:10]
	s_delay_alu instid0(VALU_DEP_2) | instskip(NEXT) | instid1(VALU_DEP_2)
	v_fma_f64 v[9:10], v[3:4], v[7:8], -v[11:12]
	v_fma_f64 v[11:12], v[1:2], v[7:8], v[14:15]
	scratch_store_b128 off, v[9:12], off offset:608
.LBB122_167:
	s_or_b32 exec_lo, exec_lo, s2
	s_waitcnt_vscnt null, 0x0
	s_barrier
	buffer_gl0_inv
	scratch_load_b32 v1, off, off offset:944 ; 4-byte Folded Reload
	s_mov_b32 s2, exec_lo
	s_waitcnt vmcnt(0)
	scratch_load_b128 v[1:4], v1, off
	s_waitcnt vmcnt(0)
	ds_store_b128 v5, v[1:4]
	s_waitcnt lgkmcnt(0)
	s_barrier
	buffer_gl0_inv
	v_cmpx_gt_u32_e32 39, v164
	s_cbranch_execz .LBB122_171
; %bb.168:
	v_dual_mov_b32 v1, 0 :: v_dual_add_nc_u32 v8, 0x3b0, v45
	v_dual_mov_b32 v2, 0 :: v_dual_add_nc_u32 v7, -1, v164
	v_or_b32_e32 v9, 8, v13
	s_mov_b32 s3, 0
	s_delay_alu instid0(VALU_DEP_2)
	v_dual_mov_b32 v4, v2 :: v_dual_mov_b32 v3, v1
	.p2align	6
.LBB122_169:                            ; =>This Inner Loop Header: Depth=1
	scratch_load_b128 v[14:17], v9, off offset:-8
	ds_load_b128 v[18:21], v8
	v_add_nc_u32_e32 v7, 1, v7
	v_add_nc_u32_e32 v8, 16, v8
	;; [unrolled: 1-line block ×3, first 2 shown]
	s_delay_alu instid0(VALU_DEP_3) | instskip(SKIP_4) | instid1(VALU_DEP_2)
	v_cmp_lt_u32_e32 vcc_lo, 37, v7
	s_or_b32 s3, vcc_lo, s3
	s_waitcnt vmcnt(0) lgkmcnt(0)
	v_mul_f64 v[10:11], v[20:21], v[16:17]
	v_mul_f64 v[16:17], v[18:19], v[16:17]
	v_fma_f64 v[10:11], v[18:19], v[14:15], -v[10:11]
	s_delay_alu instid0(VALU_DEP_2) | instskip(NEXT) | instid1(VALU_DEP_2)
	v_fma_f64 v[14:15], v[20:21], v[14:15], v[16:17]
	v_add_f64 v[3:4], v[3:4], v[10:11]
	s_delay_alu instid0(VALU_DEP_2)
	v_add_f64 v[1:2], v[1:2], v[14:15]
	s_and_not1_b32 exec_lo, exec_lo, s3
	s_cbranch_execnz .LBB122_169
; %bb.170:
	s_or_b32 exec_lo, exec_lo, s3
	v_mov_b32_e32 v7, 0
	ds_load_b128 v[7:10], v7 offset:624
	s_waitcnt lgkmcnt(0)
	v_mul_f64 v[11:12], v[1:2], v[9:10]
	v_mul_f64 v[14:15], v[3:4], v[9:10]
	s_delay_alu instid0(VALU_DEP_2) | instskip(NEXT) | instid1(VALU_DEP_2)
	v_fma_f64 v[9:10], v[3:4], v[7:8], -v[11:12]
	v_fma_f64 v[11:12], v[1:2], v[7:8], v[14:15]
	scratch_store_b128 off, v[9:12], off offset:624
.LBB122_171:
	s_or_b32 exec_lo, exec_lo, s2
	s_waitcnt_vscnt null, 0x0
	s_barrier
	buffer_gl0_inv
	scratch_load_b128 v[1:4], v235, off
	s_mov_b32 s2, exec_lo
	s_waitcnt vmcnt(0)
	ds_store_b128 v5, v[1:4]
	s_waitcnt lgkmcnt(0)
	s_barrier
	buffer_gl0_inv
	v_cmpx_gt_u32_e32 40, v164
	s_cbranch_execz .LBB122_175
; %bb.172:
	v_dual_mov_b32 v1, 0 :: v_dual_add_nc_u32 v8, 0x3b0, v45
	v_dual_mov_b32 v2, 0 :: v_dual_add_nc_u32 v7, -1, v164
	v_or_b32_e32 v9, 8, v13
	s_mov_b32 s3, 0
	s_delay_alu instid0(VALU_DEP_2)
	v_dual_mov_b32 v4, v2 :: v_dual_mov_b32 v3, v1
	.p2align	6
.LBB122_173:                            ; =>This Inner Loop Header: Depth=1
	scratch_load_b128 v[14:17], v9, off offset:-8
	ds_load_b128 v[18:21], v8
	v_add_nc_u32_e32 v7, 1, v7
	v_add_nc_u32_e32 v8, 16, v8
	;; [unrolled: 1-line block ×3, first 2 shown]
	s_delay_alu instid0(VALU_DEP_3) | instskip(SKIP_4) | instid1(VALU_DEP_2)
	v_cmp_lt_u32_e32 vcc_lo, 38, v7
	s_or_b32 s3, vcc_lo, s3
	s_waitcnt vmcnt(0) lgkmcnt(0)
	v_mul_f64 v[10:11], v[20:21], v[16:17]
	v_mul_f64 v[16:17], v[18:19], v[16:17]
	v_fma_f64 v[10:11], v[18:19], v[14:15], -v[10:11]
	s_delay_alu instid0(VALU_DEP_2) | instskip(NEXT) | instid1(VALU_DEP_2)
	v_fma_f64 v[14:15], v[20:21], v[14:15], v[16:17]
	v_add_f64 v[3:4], v[3:4], v[10:11]
	s_delay_alu instid0(VALU_DEP_2)
	v_add_f64 v[1:2], v[1:2], v[14:15]
	s_and_not1_b32 exec_lo, exec_lo, s3
	s_cbranch_execnz .LBB122_173
; %bb.174:
	s_or_b32 exec_lo, exec_lo, s3
	v_mov_b32_e32 v7, 0
	ds_load_b128 v[7:10], v7 offset:640
	s_waitcnt lgkmcnt(0)
	v_mul_f64 v[11:12], v[1:2], v[9:10]
	v_mul_f64 v[14:15], v[3:4], v[9:10]
	s_delay_alu instid0(VALU_DEP_2) | instskip(NEXT) | instid1(VALU_DEP_2)
	v_fma_f64 v[9:10], v[3:4], v[7:8], -v[11:12]
	v_fma_f64 v[11:12], v[1:2], v[7:8], v[14:15]
	scratch_store_b128 off, v[9:12], off offset:640
.LBB122_175:
	s_or_b32 exec_lo, exec_lo, s2
	s_waitcnt_vscnt null, 0x0
	s_barrier
	buffer_gl0_inv
	scratch_load_b128 v[1:4], v234, off
	s_mov_b32 s2, exec_lo
	s_waitcnt vmcnt(0)
	ds_store_b128 v5, v[1:4]
	s_waitcnt lgkmcnt(0)
	s_barrier
	buffer_gl0_inv
	v_cmpx_gt_u32_e32 41, v164
	s_cbranch_execz .LBB122_179
; %bb.176:
	v_dual_mov_b32 v1, 0 :: v_dual_add_nc_u32 v8, 0x3b0, v45
	v_dual_mov_b32 v2, 0 :: v_dual_add_nc_u32 v7, -1, v164
	v_or_b32_e32 v9, 8, v13
	s_mov_b32 s3, 0
	s_delay_alu instid0(VALU_DEP_2)
	v_dual_mov_b32 v4, v2 :: v_dual_mov_b32 v3, v1
	.p2align	6
.LBB122_177:                            ; =>This Inner Loop Header: Depth=1
	scratch_load_b128 v[14:17], v9, off offset:-8
	ds_load_b128 v[18:21], v8
	v_add_nc_u32_e32 v7, 1, v7
	v_add_nc_u32_e32 v8, 16, v8
	v_add_nc_u32_e32 v9, 16, v9
	s_delay_alu instid0(VALU_DEP_3) | instskip(SKIP_4) | instid1(VALU_DEP_2)
	v_cmp_lt_u32_e32 vcc_lo, 39, v7
	s_or_b32 s3, vcc_lo, s3
	s_waitcnt vmcnt(0) lgkmcnt(0)
	v_mul_f64 v[10:11], v[20:21], v[16:17]
	v_mul_f64 v[16:17], v[18:19], v[16:17]
	v_fma_f64 v[10:11], v[18:19], v[14:15], -v[10:11]
	s_delay_alu instid0(VALU_DEP_2) | instskip(NEXT) | instid1(VALU_DEP_2)
	v_fma_f64 v[14:15], v[20:21], v[14:15], v[16:17]
	v_add_f64 v[3:4], v[3:4], v[10:11]
	s_delay_alu instid0(VALU_DEP_2)
	v_add_f64 v[1:2], v[1:2], v[14:15]
	s_and_not1_b32 exec_lo, exec_lo, s3
	s_cbranch_execnz .LBB122_177
; %bb.178:
	s_or_b32 exec_lo, exec_lo, s3
	v_mov_b32_e32 v7, 0
	ds_load_b128 v[7:10], v7 offset:656
	s_waitcnt lgkmcnt(0)
	v_mul_f64 v[11:12], v[1:2], v[9:10]
	v_mul_f64 v[14:15], v[3:4], v[9:10]
	s_delay_alu instid0(VALU_DEP_2) | instskip(NEXT) | instid1(VALU_DEP_2)
	v_fma_f64 v[9:10], v[3:4], v[7:8], -v[11:12]
	v_fma_f64 v[11:12], v[1:2], v[7:8], v[14:15]
	scratch_store_b128 off, v[9:12], off offset:656
.LBB122_179:
	s_or_b32 exec_lo, exec_lo, s2
	s_waitcnt_vscnt null, 0x0
	s_barrier
	buffer_gl0_inv
	scratch_load_b128 v[1:4], v179, off
	s_mov_b32 s2, exec_lo
	s_waitcnt vmcnt(0)
	ds_store_b128 v5, v[1:4]
	s_waitcnt lgkmcnt(0)
	s_barrier
	buffer_gl0_inv
	v_cmpx_gt_u32_e32 42, v164
	s_cbranch_execz .LBB122_183
; %bb.180:
	v_dual_mov_b32 v1, 0 :: v_dual_add_nc_u32 v8, 0x3b0, v45
	v_dual_mov_b32 v2, 0 :: v_dual_add_nc_u32 v7, -1, v164
	v_or_b32_e32 v9, 8, v13
	s_mov_b32 s3, 0
	s_delay_alu instid0(VALU_DEP_2)
	v_dual_mov_b32 v4, v2 :: v_dual_mov_b32 v3, v1
	.p2align	6
.LBB122_181:                            ; =>This Inner Loop Header: Depth=1
	scratch_load_b128 v[14:17], v9, off offset:-8
	ds_load_b128 v[18:21], v8
	v_add_nc_u32_e32 v7, 1, v7
	v_add_nc_u32_e32 v8, 16, v8
	;; [unrolled: 1-line block ×3, first 2 shown]
	s_delay_alu instid0(VALU_DEP_3) | instskip(SKIP_4) | instid1(VALU_DEP_2)
	v_cmp_lt_u32_e32 vcc_lo, 40, v7
	s_or_b32 s3, vcc_lo, s3
	s_waitcnt vmcnt(0) lgkmcnt(0)
	v_mul_f64 v[10:11], v[20:21], v[16:17]
	v_mul_f64 v[16:17], v[18:19], v[16:17]
	v_fma_f64 v[10:11], v[18:19], v[14:15], -v[10:11]
	s_delay_alu instid0(VALU_DEP_2) | instskip(NEXT) | instid1(VALU_DEP_2)
	v_fma_f64 v[14:15], v[20:21], v[14:15], v[16:17]
	v_add_f64 v[3:4], v[3:4], v[10:11]
	s_delay_alu instid0(VALU_DEP_2)
	v_add_f64 v[1:2], v[1:2], v[14:15]
	s_and_not1_b32 exec_lo, exec_lo, s3
	s_cbranch_execnz .LBB122_181
; %bb.182:
	s_or_b32 exec_lo, exec_lo, s3
	v_mov_b32_e32 v7, 0
	ds_load_b128 v[7:10], v7 offset:672
	s_waitcnt lgkmcnt(0)
	v_mul_f64 v[11:12], v[1:2], v[9:10]
	v_mul_f64 v[14:15], v[3:4], v[9:10]
	s_delay_alu instid0(VALU_DEP_2) | instskip(NEXT) | instid1(VALU_DEP_2)
	v_fma_f64 v[9:10], v[3:4], v[7:8], -v[11:12]
	v_fma_f64 v[11:12], v[1:2], v[7:8], v[14:15]
	scratch_store_b128 off, v[9:12], off offset:672
.LBB122_183:
	s_or_b32 exec_lo, exec_lo, s2
	s_waitcnt_vscnt null, 0x0
	s_barrier
	buffer_gl0_inv
	scratch_load_b128 v[1:4], v193, off
	s_mov_b32 s2, exec_lo
	s_waitcnt vmcnt(0)
	ds_store_b128 v5, v[1:4]
	s_waitcnt lgkmcnt(0)
	s_barrier
	buffer_gl0_inv
	v_cmpx_gt_u32_e32 43, v164
	s_cbranch_execz .LBB122_187
; %bb.184:
	v_dual_mov_b32 v1, 0 :: v_dual_add_nc_u32 v8, 0x3b0, v45
	v_dual_mov_b32 v2, 0 :: v_dual_add_nc_u32 v7, -1, v164
	v_or_b32_e32 v9, 8, v13
	s_mov_b32 s3, 0
	s_delay_alu instid0(VALU_DEP_2)
	v_dual_mov_b32 v4, v2 :: v_dual_mov_b32 v3, v1
	.p2align	6
.LBB122_185:                            ; =>This Inner Loop Header: Depth=1
	scratch_load_b128 v[14:17], v9, off offset:-8
	ds_load_b128 v[18:21], v8
	v_add_nc_u32_e32 v7, 1, v7
	v_add_nc_u32_e32 v8, 16, v8
	;; [unrolled: 1-line block ×3, first 2 shown]
	s_delay_alu instid0(VALU_DEP_3) | instskip(SKIP_4) | instid1(VALU_DEP_2)
	v_cmp_lt_u32_e32 vcc_lo, 41, v7
	s_or_b32 s3, vcc_lo, s3
	s_waitcnt vmcnt(0) lgkmcnt(0)
	v_mul_f64 v[10:11], v[20:21], v[16:17]
	v_mul_f64 v[16:17], v[18:19], v[16:17]
	v_fma_f64 v[10:11], v[18:19], v[14:15], -v[10:11]
	s_delay_alu instid0(VALU_DEP_2) | instskip(NEXT) | instid1(VALU_DEP_2)
	v_fma_f64 v[14:15], v[20:21], v[14:15], v[16:17]
	v_add_f64 v[3:4], v[3:4], v[10:11]
	s_delay_alu instid0(VALU_DEP_2)
	v_add_f64 v[1:2], v[1:2], v[14:15]
	s_and_not1_b32 exec_lo, exec_lo, s3
	s_cbranch_execnz .LBB122_185
; %bb.186:
	s_or_b32 exec_lo, exec_lo, s3
	v_mov_b32_e32 v7, 0
	ds_load_b128 v[7:10], v7 offset:688
	s_waitcnt lgkmcnt(0)
	v_mul_f64 v[11:12], v[1:2], v[9:10]
	v_mul_f64 v[14:15], v[3:4], v[9:10]
	s_delay_alu instid0(VALU_DEP_2) | instskip(NEXT) | instid1(VALU_DEP_2)
	v_fma_f64 v[9:10], v[3:4], v[7:8], -v[11:12]
	v_fma_f64 v[11:12], v[1:2], v[7:8], v[14:15]
	scratch_store_b128 off, v[9:12], off offset:688
.LBB122_187:
	s_or_b32 exec_lo, exec_lo, s2
	s_waitcnt_vscnt null, 0x0
	s_barrier
	buffer_gl0_inv
	scratch_load_b128 v[1:4], v191, off
	s_mov_b32 s2, exec_lo
	s_waitcnt vmcnt(0)
	ds_store_b128 v5, v[1:4]
	s_waitcnt lgkmcnt(0)
	s_barrier
	buffer_gl0_inv
	v_cmpx_gt_u32_e32 44, v164
	s_cbranch_execz .LBB122_191
; %bb.188:
	v_dual_mov_b32 v1, 0 :: v_dual_add_nc_u32 v8, 0x3b0, v45
	v_dual_mov_b32 v2, 0 :: v_dual_add_nc_u32 v7, -1, v164
	v_or_b32_e32 v9, 8, v13
	s_mov_b32 s3, 0
	s_delay_alu instid0(VALU_DEP_2)
	v_dual_mov_b32 v4, v2 :: v_dual_mov_b32 v3, v1
	.p2align	6
.LBB122_189:                            ; =>This Inner Loop Header: Depth=1
	scratch_load_b128 v[14:17], v9, off offset:-8
	ds_load_b128 v[18:21], v8
	v_add_nc_u32_e32 v7, 1, v7
	v_add_nc_u32_e32 v8, 16, v8
	;; [unrolled: 1-line block ×3, first 2 shown]
	s_delay_alu instid0(VALU_DEP_3) | instskip(SKIP_4) | instid1(VALU_DEP_2)
	v_cmp_lt_u32_e32 vcc_lo, 42, v7
	s_or_b32 s3, vcc_lo, s3
	s_waitcnt vmcnt(0) lgkmcnt(0)
	v_mul_f64 v[10:11], v[20:21], v[16:17]
	v_mul_f64 v[16:17], v[18:19], v[16:17]
	v_fma_f64 v[10:11], v[18:19], v[14:15], -v[10:11]
	s_delay_alu instid0(VALU_DEP_2) | instskip(NEXT) | instid1(VALU_DEP_2)
	v_fma_f64 v[14:15], v[20:21], v[14:15], v[16:17]
	v_add_f64 v[3:4], v[3:4], v[10:11]
	s_delay_alu instid0(VALU_DEP_2)
	v_add_f64 v[1:2], v[1:2], v[14:15]
	s_and_not1_b32 exec_lo, exec_lo, s3
	s_cbranch_execnz .LBB122_189
; %bb.190:
	s_or_b32 exec_lo, exec_lo, s3
	v_mov_b32_e32 v7, 0
	ds_load_b128 v[7:10], v7 offset:704
	s_waitcnt lgkmcnt(0)
	v_mul_f64 v[11:12], v[1:2], v[9:10]
	v_mul_f64 v[14:15], v[3:4], v[9:10]
	s_delay_alu instid0(VALU_DEP_2) | instskip(NEXT) | instid1(VALU_DEP_2)
	v_fma_f64 v[9:10], v[3:4], v[7:8], -v[11:12]
	v_fma_f64 v[11:12], v[1:2], v[7:8], v[14:15]
	scratch_store_b128 off, v[9:12], off offset:704
.LBB122_191:
	s_or_b32 exec_lo, exec_lo, s2
	s_waitcnt_vscnt null, 0x0
	s_barrier
	buffer_gl0_inv
	scratch_load_b128 v[1:4], v189, off
	s_mov_b32 s2, exec_lo
	s_waitcnt vmcnt(0)
	ds_store_b128 v5, v[1:4]
	s_waitcnt lgkmcnt(0)
	s_barrier
	buffer_gl0_inv
	v_cmpx_gt_u32_e32 45, v164
	s_cbranch_execz .LBB122_195
; %bb.192:
	v_dual_mov_b32 v1, 0 :: v_dual_add_nc_u32 v8, 0x3b0, v45
	v_dual_mov_b32 v2, 0 :: v_dual_add_nc_u32 v7, -1, v164
	v_or_b32_e32 v9, 8, v13
	s_mov_b32 s3, 0
	s_delay_alu instid0(VALU_DEP_2)
	v_dual_mov_b32 v4, v2 :: v_dual_mov_b32 v3, v1
	.p2align	6
.LBB122_193:                            ; =>This Inner Loop Header: Depth=1
	scratch_load_b128 v[14:17], v9, off offset:-8
	ds_load_b128 v[18:21], v8
	v_add_nc_u32_e32 v7, 1, v7
	v_add_nc_u32_e32 v8, 16, v8
	;; [unrolled: 1-line block ×3, first 2 shown]
	s_delay_alu instid0(VALU_DEP_3) | instskip(SKIP_4) | instid1(VALU_DEP_2)
	v_cmp_lt_u32_e32 vcc_lo, 43, v7
	s_or_b32 s3, vcc_lo, s3
	s_waitcnt vmcnt(0) lgkmcnt(0)
	v_mul_f64 v[10:11], v[20:21], v[16:17]
	v_mul_f64 v[16:17], v[18:19], v[16:17]
	v_fma_f64 v[10:11], v[18:19], v[14:15], -v[10:11]
	s_delay_alu instid0(VALU_DEP_2) | instskip(NEXT) | instid1(VALU_DEP_2)
	v_fma_f64 v[14:15], v[20:21], v[14:15], v[16:17]
	v_add_f64 v[3:4], v[3:4], v[10:11]
	s_delay_alu instid0(VALU_DEP_2)
	v_add_f64 v[1:2], v[1:2], v[14:15]
	s_and_not1_b32 exec_lo, exec_lo, s3
	s_cbranch_execnz .LBB122_193
; %bb.194:
	s_or_b32 exec_lo, exec_lo, s3
	v_mov_b32_e32 v7, 0
	ds_load_b128 v[7:10], v7 offset:720
	s_waitcnt lgkmcnt(0)
	v_mul_f64 v[11:12], v[1:2], v[9:10]
	v_mul_f64 v[14:15], v[3:4], v[9:10]
	s_delay_alu instid0(VALU_DEP_2) | instskip(NEXT) | instid1(VALU_DEP_2)
	v_fma_f64 v[9:10], v[3:4], v[7:8], -v[11:12]
	v_fma_f64 v[11:12], v[1:2], v[7:8], v[14:15]
	scratch_store_b128 off, v[9:12], off offset:720
.LBB122_195:
	s_or_b32 exec_lo, exec_lo, s2
	s_waitcnt_vscnt null, 0x0
	s_barrier
	buffer_gl0_inv
	scratch_load_b128 v[1:4], v183, off
	s_mov_b32 s2, exec_lo
	s_waitcnt vmcnt(0)
	ds_store_b128 v5, v[1:4]
	s_waitcnt lgkmcnt(0)
	s_barrier
	buffer_gl0_inv
	v_cmpx_gt_u32_e32 46, v164
	s_cbranch_execz .LBB122_199
; %bb.196:
	v_dual_mov_b32 v1, 0 :: v_dual_add_nc_u32 v8, 0x3b0, v45
	v_dual_mov_b32 v2, 0 :: v_dual_add_nc_u32 v7, -1, v164
	v_or_b32_e32 v9, 8, v13
	s_mov_b32 s3, 0
	s_delay_alu instid0(VALU_DEP_2)
	v_dual_mov_b32 v4, v2 :: v_dual_mov_b32 v3, v1
	.p2align	6
.LBB122_197:                            ; =>This Inner Loop Header: Depth=1
	scratch_load_b128 v[14:17], v9, off offset:-8
	ds_load_b128 v[18:21], v8
	v_add_nc_u32_e32 v7, 1, v7
	v_add_nc_u32_e32 v8, 16, v8
	;; [unrolled: 1-line block ×3, first 2 shown]
	s_delay_alu instid0(VALU_DEP_3) | instskip(SKIP_4) | instid1(VALU_DEP_2)
	v_cmp_lt_u32_e32 vcc_lo, 44, v7
	s_or_b32 s3, vcc_lo, s3
	s_waitcnt vmcnt(0) lgkmcnt(0)
	v_mul_f64 v[10:11], v[20:21], v[16:17]
	v_mul_f64 v[16:17], v[18:19], v[16:17]
	v_fma_f64 v[10:11], v[18:19], v[14:15], -v[10:11]
	s_delay_alu instid0(VALU_DEP_2) | instskip(NEXT) | instid1(VALU_DEP_2)
	v_fma_f64 v[14:15], v[20:21], v[14:15], v[16:17]
	v_add_f64 v[3:4], v[3:4], v[10:11]
	s_delay_alu instid0(VALU_DEP_2)
	v_add_f64 v[1:2], v[1:2], v[14:15]
	s_and_not1_b32 exec_lo, exec_lo, s3
	s_cbranch_execnz .LBB122_197
; %bb.198:
	s_or_b32 exec_lo, exec_lo, s3
	v_mov_b32_e32 v7, 0
	ds_load_b128 v[7:10], v7 offset:736
	s_waitcnt lgkmcnt(0)
	v_mul_f64 v[11:12], v[1:2], v[9:10]
	v_mul_f64 v[14:15], v[3:4], v[9:10]
	s_delay_alu instid0(VALU_DEP_2) | instskip(NEXT) | instid1(VALU_DEP_2)
	v_fma_f64 v[9:10], v[3:4], v[7:8], -v[11:12]
	v_fma_f64 v[11:12], v[1:2], v[7:8], v[14:15]
	scratch_store_b128 off, v[9:12], off offset:736
.LBB122_199:
	s_or_b32 exec_lo, exec_lo, s2
	s_waitcnt_vscnt null, 0x0
	s_barrier
	buffer_gl0_inv
	scratch_load_b128 v[1:4], v184, off
	s_mov_b32 s2, exec_lo
	s_waitcnt vmcnt(0)
	ds_store_b128 v5, v[1:4]
	s_waitcnt lgkmcnt(0)
	s_barrier
	buffer_gl0_inv
	v_cmpx_gt_u32_e32 47, v164
	s_cbranch_execz .LBB122_203
; %bb.200:
	v_dual_mov_b32 v1, 0 :: v_dual_add_nc_u32 v8, 0x3b0, v45
	v_dual_mov_b32 v2, 0 :: v_dual_add_nc_u32 v7, -1, v164
	v_or_b32_e32 v9, 8, v13
	s_mov_b32 s3, 0
	s_delay_alu instid0(VALU_DEP_2)
	v_dual_mov_b32 v4, v2 :: v_dual_mov_b32 v3, v1
	.p2align	6
.LBB122_201:                            ; =>This Inner Loop Header: Depth=1
	scratch_load_b128 v[14:17], v9, off offset:-8
	ds_load_b128 v[18:21], v8
	v_add_nc_u32_e32 v7, 1, v7
	v_add_nc_u32_e32 v8, 16, v8
	v_add_nc_u32_e32 v9, 16, v9
	s_delay_alu instid0(VALU_DEP_3) | instskip(SKIP_4) | instid1(VALU_DEP_2)
	v_cmp_lt_u32_e32 vcc_lo, 45, v7
	s_or_b32 s3, vcc_lo, s3
	s_waitcnt vmcnt(0) lgkmcnt(0)
	v_mul_f64 v[10:11], v[20:21], v[16:17]
	v_mul_f64 v[16:17], v[18:19], v[16:17]
	v_fma_f64 v[10:11], v[18:19], v[14:15], -v[10:11]
	s_delay_alu instid0(VALU_DEP_2) | instskip(NEXT) | instid1(VALU_DEP_2)
	v_fma_f64 v[14:15], v[20:21], v[14:15], v[16:17]
	v_add_f64 v[3:4], v[3:4], v[10:11]
	s_delay_alu instid0(VALU_DEP_2)
	v_add_f64 v[1:2], v[1:2], v[14:15]
	s_and_not1_b32 exec_lo, exec_lo, s3
	s_cbranch_execnz .LBB122_201
; %bb.202:
	s_or_b32 exec_lo, exec_lo, s3
	v_mov_b32_e32 v7, 0
	ds_load_b128 v[7:10], v7 offset:752
	s_waitcnt lgkmcnt(0)
	v_mul_f64 v[11:12], v[1:2], v[9:10]
	v_mul_f64 v[14:15], v[3:4], v[9:10]
	s_delay_alu instid0(VALU_DEP_2) | instskip(NEXT) | instid1(VALU_DEP_2)
	v_fma_f64 v[9:10], v[3:4], v[7:8], -v[11:12]
	v_fma_f64 v[11:12], v[1:2], v[7:8], v[14:15]
	scratch_store_b128 off, v[9:12], off offset:752
.LBB122_203:
	s_or_b32 exec_lo, exec_lo, s2
	s_waitcnt_vscnt null, 0x0
	s_barrier
	buffer_gl0_inv
	scratch_load_b128 v[1:4], v182, off
	s_mov_b32 s2, exec_lo
	s_waitcnt vmcnt(0)
	ds_store_b128 v5, v[1:4]
	s_waitcnt lgkmcnt(0)
	s_barrier
	buffer_gl0_inv
	v_cmpx_gt_u32_e32 48, v164
	s_cbranch_execz .LBB122_207
; %bb.204:
	v_dual_mov_b32 v1, 0 :: v_dual_add_nc_u32 v8, 0x3b0, v45
	v_dual_mov_b32 v2, 0 :: v_dual_add_nc_u32 v7, -1, v164
	v_or_b32_e32 v9, 8, v13
	s_mov_b32 s3, 0
	s_delay_alu instid0(VALU_DEP_2)
	v_dual_mov_b32 v4, v2 :: v_dual_mov_b32 v3, v1
	.p2align	6
.LBB122_205:                            ; =>This Inner Loop Header: Depth=1
	scratch_load_b128 v[14:17], v9, off offset:-8
	ds_load_b128 v[18:21], v8
	v_add_nc_u32_e32 v7, 1, v7
	v_add_nc_u32_e32 v8, 16, v8
	;; [unrolled: 1-line block ×3, first 2 shown]
	s_delay_alu instid0(VALU_DEP_3) | instskip(SKIP_4) | instid1(VALU_DEP_2)
	v_cmp_lt_u32_e32 vcc_lo, 46, v7
	s_or_b32 s3, vcc_lo, s3
	s_waitcnt vmcnt(0) lgkmcnt(0)
	v_mul_f64 v[10:11], v[20:21], v[16:17]
	v_mul_f64 v[16:17], v[18:19], v[16:17]
	v_fma_f64 v[10:11], v[18:19], v[14:15], -v[10:11]
	s_delay_alu instid0(VALU_DEP_2) | instskip(NEXT) | instid1(VALU_DEP_2)
	v_fma_f64 v[14:15], v[20:21], v[14:15], v[16:17]
	v_add_f64 v[3:4], v[3:4], v[10:11]
	s_delay_alu instid0(VALU_DEP_2)
	v_add_f64 v[1:2], v[1:2], v[14:15]
	s_and_not1_b32 exec_lo, exec_lo, s3
	s_cbranch_execnz .LBB122_205
; %bb.206:
	s_or_b32 exec_lo, exec_lo, s3
	v_mov_b32_e32 v7, 0
	ds_load_b128 v[7:10], v7 offset:768
	s_waitcnt lgkmcnt(0)
	v_mul_f64 v[11:12], v[1:2], v[9:10]
	v_mul_f64 v[14:15], v[3:4], v[9:10]
	s_delay_alu instid0(VALU_DEP_2) | instskip(NEXT) | instid1(VALU_DEP_2)
	v_fma_f64 v[9:10], v[3:4], v[7:8], -v[11:12]
	v_fma_f64 v[11:12], v[1:2], v[7:8], v[14:15]
	scratch_store_b128 off, v[9:12], off offset:768
.LBB122_207:
	s_or_b32 exec_lo, exec_lo, s2
	s_waitcnt_vscnt null, 0x0
	s_barrier
	buffer_gl0_inv
	scratch_load_b128 v[1:4], v187, off
	s_mov_b32 s2, exec_lo
	s_waitcnt vmcnt(0)
	ds_store_b128 v5, v[1:4]
	s_waitcnt lgkmcnt(0)
	s_barrier
	buffer_gl0_inv
	v_cmpx_gt_u32_e32 49, v164
	s_cbranch_execz .LBB122_211
; %bb.208:
	v_dual_mov_b32 v1, 0 :: v_dual_add_nc_u32 v8, 0x3b0, v45
	v_dual_mov_b32 v2, 0 :: v_dual_add_nc_u32 v7, -1, v164
	v_or_b32_e32 v9, 8, v13
	s_mov_b32 s3, 0
	s_delay_alu instid0(VALU_DEP_2)
	v_dual_mov_b32 v4, v2 :: v_dual_mov_b32 v3, v1
	.p2align	6
.LBB122_209:                            ; =>This Inner Loop Header: Depth=1
	scratch_load_b128 v[14:17], v9, off offset:-8
	ds_load_b128 v[18:21], v8
	v_add_nc_u32_e32 v7, 1, v7
	v_add_nc_u32_e32 v8, 16, v8
	v_add_nc_u32_e32 v9, 16, v9
	s_delay_alu instid0(VALU_DEP_3) | instskip(SKIP_4) | instid1(VALU_DEP_2)
	v_cmp_lt_u32_e32 vcc_lo, 47, v7
	s_or_b32 s3, vcc_lo, s3
	s_waitcnt vmcnt(0) lgkmcnt(0)
	v_mul_f64 v[10:11], v[20:21], v[16:17]
	v_mul_f64 v[16:17], v[18:19], v[16:17]
	v_fma_f64 v[10:11], v[18:19], v[14:15], -v[10:11]
	s_delay_alu instid0(VALU_DEP_2) | instskip(NEXT) | instid1(VALU_DEP_2)
	v_fma_f64 v[14:15], v[20:21], v[14:15], v[16:17]
	v_add_f64 v[3:4], v[3:4], v[10:11]
	s_delay_alu instid0(VALU_DEP_2)
	v_add_f64 v[1:2], v[1:2], v[14:15]
	s_and_not1_b32 exec_lo, exec_lo, s3
	s_cbranch_execnz .LBB122_209
; %bb.210:
	s_or_b32 exec_lo, exec_lo, s3
	v_mov_b32_e32 v7, 0
	ds_load_b128 v[7:10], v7 offset:784
	s_waitcnt lgkmcnt(0)
	v_mul_f64 v[11:12], v[1:2], v[9:10]
	v_mul_f64 v[14:15], v[3:4], v[9:10]
	s_delay_alu instid0(VALU_DEP_2) | instskip(NEXT) | instid1(VALU_DEP_2)
	v_fma_f64 v[9:10], v[3:4], v[7:8], -v[11:12]
	v_fma_f64 v[11:12], v[1:2], v[7:8], v[14:15]
	scratch_store_b128 off, v[9:12], off offset:784
.LBB122_211:
	s_or_b32 exec_lo, exec_lo, s2
	s_waitcnt_vscnt null, 0x0
	s_barrier
	buffer_gl0_inv
	scratch_load_b128 v[1:4], v188, off
	s_mov_b32 s2, exec_lo
	s_waitcnt vmcnt(0)
	ds_store_b128 v5, v[1:4]
	s_waitcnt lgkmcnt(0)
	s_barrier
	buffer_gl0_inv
	v_cmpx_gt_u32_e32 50, v164
	s_cbranch_execz .LBB122_215
; %bb.212:
	v_dual_mov_b32 v1, 0 :: v_dual_add_nc_u32 v8, 0x3b0, v45
	v_dual_mov_b32 v2, 0 :: v_dual_add_nc_u32 v7, -1, v164
	v_or_b32_e32 v9, 8, v13
	s_mov_b32 s3, 0
	s_delay_alu instid0(VALU_DEP_2)
	v_dual_mov_b32 v4, v2 :: v_dual_mov_b32 v3, v1
	.p2align	6
.LBB122_213:                            ; =>This Inner Loop Header: Depth=1
	scratch_load_b128 v[14:17], v9, off offset:-8
	ds_load_b128 v[18:21], v8
	v_add_nc_u32_e32 v7, 1, v7
	v_add_nc_u32_e32 v8, 16, v8
	;; [unrolled: 1-line block ×3, first 2 shown]
	s_delay_alu instid0(VALU_DEP_3) | instskip(SKIP_4) | instid1(VALU_DEP_2)
	v_cmp_lt_u32_e32 vcc_lo, 48, v7
	s_or_b32 s3, vcc_lo, s3
	s_waitcnt vmcnt(0) lgkmcnt(0)
	v_mul_f64 v[10:11], v[20:21], v[16:17]
	v_mul_f64 v[16:17], v[18:19], v[16:17]
	v_fma_f64 v[10:11], v[18:19], v[14:15], -v[10:11]
	s_delay_alu instid0(VALU_DEP_2) | instskip(NEXT) | instid1(VALU_DEP_2)
	v_fma_f64 v[14:15], v[20:21], v[14:15], v[16:17]
	v_add_f64 v[3:4], v[3:4], v[10:11]
	s_delay_alu instid0(VALU_DEP_2)
	v_add_f64 v[1:2], v[1:2], v[14:15]
	s_and_not1_b32 exec_lo, exec_lo, s3
	s_cbranch_execnz .LBB122_213
; %bb.214:
	s_or_b32 exec_lo, exec_lo, s3
	v_mov_b32_e32 v7, 0
	ds_load_b128 v[7:10], v7 offset:800
	s_waitcnt lgkmcnt(0)
	v_mul_f64 v[11:12], v[1:2], v[9:10]
	v_mul_f64 v[14:15], v[3:4], v[9:10]
	s_delay_alu instid0(VALU_DEP_2) | instskip(NEXT) | instid1(VALU_DEP_2)
	v_fma_f64 v[9:10], v[3:4], v[7:8], -v[11:12]
	v_fma_f64 v[11:12], v[1:2], v[7:8], v[14:15]
	scratch_store_b128 off, v[9:12], off offset:800
.LBB122_215:
	s_or_b32 exec_lo, exec_lo, s2
	s_waitcnt_vscnt null, 0x0
	s_barrier
	buffer_gl0_inv
	scratch_load_b128 v[1:4], v186, off
	s_mov_b32 s2, exec_lo
	s_waitcnt vmcnt(0)
	ds_store_b128 v5, v[1:4]
	s_waitcnt lgkmcnt(0)
	s_barrier
	buffer_gl0_inv
	v_cmpx_gt_u32_e32 51, v164
	s_cbranch_execz .LBB122_219
; %bb.216:
	v_dual_mov_b32 v1, 0 :: v_dual_add_nc_u32 v8, 0x3b0, v45
	v_dual_mov_b32 v2, 0 :: v_dual_add_nc_u32 v7, -1, v164
	v_or_b32_e32 v9, 8, v13
	s_mov_b32 s3, 0
	s_delay_alu instid0(VALU_DEP_2)
	v_dual_mov_b32 v4, v2 :: v_dual_mov_b32 v3, v1
	.p2align	6
.LBB122_217:                            ; =>This Inner Loop Header: Depth=1
	scratch_load_b128 v[14:17], v9, off offset:-8
	ds_load_b128 v[18:21], v8
	v_add_nc_u32_e32 v7, 1, v7
	v_add_nc_u32_e32 v8, 16, v8
	v_add_nc_u32_e32 v9, 16, v9
	s_delay_alu instid0(VALU_DEP_3) | instskip(SKIP_4) | instid1(VALU_DEP_2)
	v_cmp_lt_u32_e32 vcc_lo, 49, v7
	s_or_b32 s3, vcc_lo, s3
	s_waitcnt vmcnt(0) lgkmcnt(0)
	v_mul_f64 v[10:11], v[20:21], v[16:17]
	v_mul_f64 v[16:17], v[18:19], v[16:17]
	v_fma_f64 v[10:11], v[18:19], v[14:15], -v[10:11]
	s_delay_alu instid0(VALU_DEP_2) | instskip(NEXT) | instid1(VALU_DEP_2)
	v_fma_f64 v[14:15], v[20:21], v[14:15], v[16:17]
	v_add_f64 v[3:4], v[3:4], v[10:11]
	s_delay_alu instid0(VALU_DEP_2)
	v_add_f64 v[1:2], v[1:2], v[14:15]
	s_and_not1_b32 exec_lo, exec_lo, s3
	s_cbranch_execnz .LBB122_217
; %bb.218:
	s_or_b32 exec_lo, exec_lo, s3
	v_mov_b32_e32 v7, 0
	ds_load_b128 v[7:10], v7 offset:816
	s_waitcnt lgkmcnt(0)
	v_mul_f64 v[11:12], v[1:2], v[9:10]
	v_mul_f64 v[14:15], v[3:4], v[9:10]
	s_delay_alu instid0(VALU_DEP_2) | instskip(NEXT) | instid1(VALU_DEP_2)
	v_fma_f64 v[9:10], v[3:4], v[7:8], -v[11:12]
	v_fma_f64 v[11:12], v[1:2], v[7:8], v[14:15]
	scratch_store_b128 off, v[9:12], off offset:816
.LBB122_219:
	s_or_b32 exec_lo, exec_lo, s2
	s_waitcnt_vscnt null, 0x0
	s_barrier
	buffer_gl0_inv
	scratch_load_b128 v[1:4], v180, off
	s_mov_b32 s2, exec_lo
	s_waitcnt vmcnt(0)
	ds_store_b128 v5, v[1:4]
	s_waitcnt lgkmcnt(0)
	s_barrier
	buffer_gl0_inv
	v_cmpx_gt_u32_e32 52, v164
	s_cbranch_execz .LBB122_223
; %bb.220:
	v_dual_mov_b32 v1, 0 :: v_dual_add_nc_u32 v8, 0x3b0, v45
	v_dual_mov_b32 v2, 0 :: v_dual_add_nc_u32 v7, -1, v164
	v_or_b32_e32 v9, 8, v13
	s_mov_b32 s3, 0
	s_delay_alu instid0(VALU_DEP_2)
	v_dual_mov_b32 v4, v2 :: v_dual_mov_b32 v3, v1
	.p2align	6
.LBB122_221:                            ; =>This Inner Loop Header: Depth=1
	scratch_load_b128 v[14:17], v9, off offset:-8
	ds_load_b128 v[18:21], v8
	v_add_nc_u32_e32 v7, 1, v7
	v_add_nc_u32_e32 v8, 16, v8
	;; [unrolled: 1-line block ×3, first 2 shown]
	s_delay_alu instid0(VALU_DEP_3) | instskip(SKIP_4) | instid1(VALU_DEP_2)
	v_cmp_lt_u32_e32 vcc_lo, 50, v7
	s_or_b32 s3, vcc_lo, s3
	s_waitcnt vmcnt(0) lgkmcnt(0)
	v_mul_f64 v[10:11], v[20:21], v[16:17]
	v_mul_f64 v[16:17], v[18:19], v[16:17]
	v_fma_f64 v[10:11], v[18:19], v[14:15], -v[10:11]
	s_delay_alu instid0(VALU_DEP_2) | instskip(NEXT) | instid1(VALU_DEP_2)
	v_fma_f64 v[14:15], v[20:21], v[14:15], v[16:17]
	v_add_f64 v[3:4], v[3:4], v[10:11]
	s_delay_alu instid0(VALU_DEP_2)
	v_add_f64 v[1:2], v[1:2], v[14:15]
	s_and_not1_b32 exec_lo, exec_lo, s3
	s_cbranch_execnz .LBB122_221
; %bb.222:
	s_or_b32 exec_lo, exec_lo, s3
	v_mov_b32_e32 v7, 0
	ds_load_b128 v[7:10], v7 offset:832
	s_waitcnt lgkmcnt(0)
	v_mul_f64 v[11:12], v[1:2], v[9:10]
	v_mul_f64 v[14:15], v[3:4], v[9:10]
	s_delay_alu instid0(VALU_DEP_2) | instskip(NEXT) | instid1(VALU_DEP_2)
	v_fma_f64 v[9:10], v[3:4], v[7:8], -v[11:12]
	v_fma_f64 v[11:12], v[1:2], v[7:8], v[14:15]
	scratch_store_b128 off, v[9:12], off offset:832
.LBB122_223:
	s_or_b32 exec_lo, exec_lo, s2
	s_waitcnt_vscnt null, 0x0
	s_barrier
	buffer_gl0_inv
	scratch_load_b128 v[1:4], v196, off
	s_mov_b32 s2, exec_lo
	s_waitcnt vmcnt(0)
	ds_store_b128 v5, v[1:4]
	s_waitcnt lgkmcnt(0)
	s_barrier
	buffer_gl0_inv
	v_cmpx_gt_u32_e32 53, v164
	s_cbranch_execz .LBB122_227
; %bb.224:
	v_dual_mov_b32 v1, 0 :: v_dual_add_nc_u32 v8, 0x3b0, v45
	v_dual_mov_b32 v2, 0 :: v_dual_add_nc_u32 v7, -1, v164
	v_or_b32_e32 v9, 8, v13
	s_mov_b32 s3, 0
	s_delay_alu instid0(VALU_DEP_2)
	v_dual_mov_b32 v4, v2 :: v_dual_mov_b32 v3, v1
	.p2align	6
.LBB122_225:                            ; =>This Inner Loop Header: Depth=1
	scratch_load_b128 v[14:17], v9, off offset:-8
	ds_load_b128 v[18:21], v8
	v_add_nc_u32_e32 v7, 1, v7
	v_add_nc_u32_e32 v8, 16, v8
	;; [unrolled: 1-line block ×3, first 2 shown]
	s_delay_alu instid0(VALU_DEP_3) | instskip(SKIP_4) | instid1(VALU_DEP_2)
	v_cmp_lt_u32_e32 vcc_lo, 51, v7
	s_or_b32 s3, vcc_lo, s3
	s_waitcnt vmcnt(0) lgkmcnt(0)
	v_mul_f64 v[10:11], v[20:21], v[16:17]
	v_mul_f64 v[16:17], v[18:19], v[16:17]
	v_fma_f64 v[10:11], v[18:19], v[14:15], -v[10:11]
	s_delay_alu instid0(VALU_DEP_2) | instskip(NEXT) | instid1(VALU_DEP_2)
	v_fma_f64 v[14:15], v[20:21], v[14:15], v[16:17]
	v_add_f64 v[3:4], v[3:4], v[10:11]
	s_delay_alu instid0(VALU_DEP_2)
	v_add_f64 v[1:2], v[1:2], v[14:15]
	s_and_not1_b32 exec_lo, exec_lo, s3
	s_cbranch_execnz .LBB122_225
; %bb.226:
	s_or_b32 exec_lo, exec_lo, s3
	v_mov_b32_e32 v7, 0
	ds_load_b128 v[7:10], v7 offset:848
	s_waitcnt lgkmcnt(0)
	v_mul_f64 v[11:12], v[1:2], v[9:10]
	v_mul_f64 v[14:15], v[3:4], v[9:10]
	s_delay_alu instid0(VALU_DEP_2) | instskip(NEXT) | instid1(VALU_DEP_2)
	v_fma_f64 v[9:10], v[3:4], v[7:8], -v[11:12]
	v_fma_f64 v[11:12], v[1:2], v[7:8], v[14:15]
	scratch_store_b128 off, v[9:12], off offset:848
.LBB122_227:
	s_or_b32 exec_lo, exec_lo, s2
	s_waitcnt_vscnt null, 0x0
	s_barrier
	buffer_gl0_inv
	scratch_load_b128 v[1:4], v194, off
	s_mov_b32 s2, exec_lo
	s_waitcnt vmcnt(0)
	ds_store_b128 v5, v[1:4]
	s_waitcnt lgkmcnt(0)
	s_barrier
	buffer_gl0_inv
	v_cmpx_gt_u32_e32 54, v164
	s_cbranch_execz .LBB122_231
; %bb.228:
	v_dual_mov_b32 v1, 0 :: v_dual_add_nc_u32 v8, 0x3b0, v45
	v_dual_mov_b32 v2, 0 :: v_dual_add_nc_u32 v7, -1, v164
	v_or_b32_e32 v9, 8, v13
	s_mov_b32 s3, 0
	s_delay_alu instid0(VALU_DEP_2)
	v_dual_mov_b32 v4, v2 :: v_dual_mov_b32 v3, v1
	.p2align	6
.LBB122_229:                            ; =>This Inner Loop Header: Depth=1
	scratch_load_b128 v[14:17], v9, off offset:-8
	ds_load_b128 v[18:21], v8
	v_add_nc_u32_e32 v7, 1, v7
	v_add_nc_u32_e32 v8, 16, v8
	;; [unrolled: 1-line block ×3, first 2 shown]
	s_delay_alu instid0(VALU_DEP_3) | instskip(SKIP_4) | instid1(VALU_DEP_2)
	v_cmp_lt_u32_e32 vcc_lo, 52, v7
	s_or_b32 s3, vcc_lo, s3
	s_waitcnt vmcnt(0) lgkmcnt(0)
	v_mul_f64 v[10:11], v[20:21], v[16:17]
	v_mul_f64 v[16:17], v[18:19], v[16:17]
	v_fma_f64 v[10:11], v[18:19], v[14:15], -v[10:11]
	s_delay_alu instid0(VALU_DEP_2) | instskip(NEXT) | instid1(VALU_DEP_2)
	v_fma_f64 v[14:15], v[20:21], v[14:15], v[16:17]
	v_add_f64 v[3:4], v[3:4], v[10:11]
	s_delay_alu instid0(VALU_DEP_2)
	v_add_f64 v[1:2], v[1:2], v[14:15]
	s_and_not1_b32 exec_lo, exec_lo, s3
	s_cbranch_execnz .LBB122_229
; %bb.230:
	s_or_b32 exec_lo, exec_lo, s3
	v_mov_b32_e32 v7, 0
	ds_load_b128 v[7:10], v7 offset:864
	s_waitcnt lgkmcnt(0)
	v_mul_f64 v[11:12], v[1:2], v[9:10]
	v_mul_f64 v[14:15], v[3:4], v[9:10]
	s_delay_alu instid0(VALU_DEP_2) | instskip(NEXT) | instid1(VALU_DEP_2)
	v_fma_f64 v[9:10], v[3:4], v[7:8], -v[11:12]
	v_fma_f64 v[11:12], v[1:2], v[7:8], v[14:15]
	scratch_store_b128 off, v[9:12], off offset:864
.LBB122_231:
	s_or_b32 exec_lo, exec_lo, s2
	s_waitcnt_vscnt null, 0x0
	s_barrier
	buffer_gl0_inv
	scratch_load_b128 v[1:4], v195, off
	s_mov_b32 s2, exec_lo
	s_waitcnt vmcnt(0)
	ds_store_b128 v5, v[1:4]
	s_waitcnt lgkmcnt(0)
	s_barrier
	buffer_gl0_inv
	v_cmpx_gt_u32_e32 55, v164
	s_cbranch_execz .LBB122_235
; %bb.232:
	v_dual_mov_b32 v1, 0 :: v_dual_add_nc_u32 v8, 0x3b0, v45
	v_dual_mov_b32 v2, 0 :: v_dual_add_nc_u32 v7, -1, v164
	v_or_b32_e32 v9, 8, v13
	s_mov_b32 s3, 0
	s_delay_alu instid0(VALU_DEP_2)
	v_dual_mov_b32 v4, v2 :: v_dual_mov_b32 v3, v1
	.p2align	6
.LBB122_233:                            ; =>This Inner Loop Header: Depth=1
	scratch_load_b128 v[14:17], v9, off offset:-8
	ds_load_b128 v[18:21], v8
	v_add_nc_u32_e32 v7, 1, v7
	v_add_nc_u32_e32 v8, 16, v8
	;; [unrolled: 1-line block ×3, first 2 shown]
	s_delay_alu instid0(VALU_DEP_3) | instskip(SKIP_4) | instid1(VALU_DEP_2)
	v_cmp_lt_u32_e32 vcc_lo, 53, v7
	s_or_b32 s3, vcc_lo, s3
	s_waitcnt vmcnt(0) lgkmcnt(0)
	v_mul_f64 v[10:11], v[20:21], v[16:17]
	v_mul_f64 v[16:17], v[18:19], v[16:17]
	v_fma_f64 v[10:11], v[18:19], v[14:15], -v[10:11]
	s_delay_alu instid0(VALU_DEP_2) | instskip(NEXT) | instid1(VALU_DEP_2)
	v_fma_f64 v[14:15], v[20:21], v[14:15], v[16:17]
	v_add_f64 v[3:4], v[3:4], v[10:11]
	s_delay_alu instid0(VALU_DEP_2)
	v_add_f64 v[1:2], v[1:2], v[14:15]
	s_and_not1_b32 exec_lo, exec_lo, s3
	s_cbranch_execnz .LBB122_233
; %bb.234:
	s_or_b32 exec_lo, exec_lo, s3
	v_mov_b32_e32 v7, 0
	ds_load_b128 v[7:10], v7 offset:880
	s_waitcnt lgkmcnt(0)
	v_mul_f64 v[11:12], v[1:2], v[9:10]
	v_mul_f64 v[14:15], v[3:4], v[9:10]
	s_delay_alu instid0(VALU_DEP_2) | instskip(NEXT) | instid1(VALU_DEP_2)
	v_fma_f64 v[9:10], v[3:4], v[7:8], -v[11:12]
	v_fma_f64 v[11:12], v[1:2], v[7:8], v[14:15]
	scratch_store_b128 off, v[9:12], off offset:880
.LBB122_235:
	s_or_b32 exec_lo, exec_lo, s2
	s_waitcnt_vscnt null, 0x0
	s_barrier
	buffer_gl0_inv
	scratch_load_b128 v[1:4], v175, off
	s_mov_b32 s2, exec_lo
	s_waitcnt vmcnt(0)
	ds_store_b128 v5, v[1:4]
	s_waitcnt lgkmcnt(0)
	s_barrier
	buffer_gl0_inv
	v_cmpx_gt_u32_e32 56, v164
	s_cbranch_execz .LBB122_239
; %bb.236:
	v_dual_mov_b32 v1, 0 :: v_dual_add_nc_u32 v8, 0x3b0, v45
	v_dual_mov_b32 v2, 0 :: v_dual_add_nc_u32 v7, -1, v164
	v_or_b32_e32 v9, 8, v13
	s_mov_b32 s3, 0
	s_delay_alu instid0(VALU_DEP_2)
	v_dual_mov_b32 v4, v2 :: v_dual_mov_b32 v3, v1
	.p2align	6
.LBB122_237:                            ; =>This Inner Loop Header: Depth=1
	scratch_load_b128 v[14:17], v9, off offset:-8
	ds_load_b128 v[18:21], v8
	v_add_nc_u32_e32 v7, 1, v7
	v_add_nc_u32_e32 v8, 16, v8
	;; [unrolled: 1-line block ×3, first 2 shown]
	s_delay_alu instid0(VALU_DEP_3) | instskip(SKIP_4) | instid1(VALU_DEP_2)
	v_cmp_lt_u32_e32 vcc_lo, 54, v7
	s_or_b32 s3, vcc_lo, s3
	s_waitcnt vmcnt(0) lgkmcnt(0)
	v_mul_f64 v[10:11], v[20:21], v[16:17]
	v_mul_f64 v[16:17], v[18:19], v[16:17]
	v_fma_f64 v[10:11], v[18:19], v[14:15], -v[10:11]
	s_delay_alu instid0(VALU_DEP_2) | instskip(NEXT) | instid1(VALU_DEP_2)
	v_fma_f64 v[14:15], v[20:21], v[14:15], v[16:17]
	v_add_f64 v[3:4], v[3:4], v[10:11]
	s_delay_alu instid0(VALU_DEP_2)
	v_add_f64 v[1:2], v[1:2], v[14:15]
	s_and_not1_b32 exec_lo, exec_lo, s3
	s_cbranch_execnz .LBB122_237
; %bb.238:
	s_or_b32 exec_lo, exec_lo, s3
	v_mov_b32_e32 v7, 0
	ds_load_b128 v[7:10], v7 offset:896
	s_waitcnt lgkmcnt(0)
	v_mul_f64 v[11:12], v[1:2], v[9:10]
	v_mul_f64 v[14:15], v[3:4], v[9:10]
	s_delay_alu instid0(VALU_DEP_2) | instskip(NEXT) | instid1(VALU_DEP_2)
	v_fma_f64 v[9:10], v[3:4], v[7:8], -v[11:12]
	v_fma_f64 v[11:12], v[1:2], v[7:8], v[14:15]
	scratch_store_b128 off, v[9:12], off offset:896
.LBB122_239:
	s_or_b32 exec_lo, exec_lo, s2
	s_waitcnt_vscnt null, 0x0
	s_barrier
	buffer_gl0_inv
	scratch_load_b128 v[1:4], v174, off
	s_mov_b32 s2, exec_lo
	s_waitcnt vmcnt(0)
	ds_store_b128 v5, v[1:4]
	s_waitcnt lgkmcnt(0)
	s_barrier
	buffer_gl0_inv
	v_cmpx_gt_u32_e32 57, v164
	s_cbranch_execz .LBB122_243
; %bb.240:
	v_dual_mov_b32 v1, 0 :: v_dual_add_nc_u32 v8, 0x3b0, v45
	v_dual_mov_b32 v2, 0 :: v_dual_add_nc_u32 v7, -1, v164
	v_or_b32_e32 v9, 8, v13
	s_mov_b32 s3, 0
	s_delay_alu instid0(VALU_DEP_2)
	v_dual_mov_b32 v4, v2 :: v_dual_mov_b32 v3, v1
	.p2align	6
.LBB122_241:                            ; =>This Inner Loop Header: Depth=1
	scratch_load_b128 v[14:17], v9, off offset:-8
	ds_load_b128 v[18:21], v8
	v_add_nc_u32_e32 v7, 1, v7
	v_add_nc_u32_e32 v8, 16, v8
	;; [unrolled: 1-line block ×3, first 2 shown]
	s_delay_alu instid0(VALU_DEP_3) | instskip(SKIP_4) | instid1(VALU_DEP_2)
	v_cmp_lt_u32_e32 vcc_lo, 55, v7
	s_or_b32 s3, vcc_lo, s3
	s_waitcnt vmcnt(0) lgkmcnt(0)
	v_mul_f64 v[10:11], v[20:21], v[16:17]
	v_mul_f64 v[16:17], v[18:19], v[16:17]
	v_fma_f64 v[10:11], v[18:19], v[14:15], -v[10:11]
	s_delay_alu instid0(VALU_DEP_2) | instskip(NEXT) | instid1(VALU_DEP_2)
	v_fma_f64 v[14:15], v[20:21], v[14:15], v[16:17]
	v_add_f64 v[3:4], v[3:4], v[10:11]
	s_delay_alu instid0(VALU_DEP_2)
	v_add_f64 v[1:2], v[1:2], v[14:15]
	s_and_not1_b32 exec_lo, exec_lo, s3
	s_cbranch_execnz .LBB122_241
; %bb.242:
	s_or_b32 exec_lo, exec_lo, s3
	v_mov_b32_e32 v7, 0
	ds_load_b128 v[7:10], v7 offset:912
	s_waitcnt lgkmcnt(0)
	v_mul_f64 v[11:12], v[1:2], v[9:10]
	v_mul_f64 v[14:15], v[3:4], v[9:10]
	s_delay_alu instid0(VALU_DEP_2) | instskip(NEXT) | instid1(VALU_DEP_2)
	v_fma_f64 v[9:10], v[3:4], v[7:8], -v[11:12]
	v_fma_f64 v[11:12], v[1:2], v[7:8], v[14:15]
	scratch_store_b128 off, v[9:12], off offset:912
.LBB122_243:
	s_or_b32 exec_lo, exec_lo, s2
	s_waitcnt_vscnt null, 0x0
	s_barrier
	buffer_gl0_inv
	scratch_load_b128 v[1:4], v237, off
	s_mov_b32 s2, exec_lo
	s_waitcnt vmcnt(0)
	ds_store_b128 v5, v[1:4]
	s_waitcnt lgkmcnt(0)
	s_barrier
	buffer_gl0_inv
	v_cmpx_ne_u32_e32 58, v164
	s_cbranch_execz .LBB122_247
; %bb.244:
	v_mov_b32_e32 v1, 0
	v_mov_b32_e32 v2, 0
	v_or_b32_e32 v7, 8, v13
	s_mov_b32 s3, 0
	s_delay_alu instid0(VALU_DEP_2)
	v_dual_mov_b32 v4, v2 :: v_dual_mov_b32 v3, v1
	.p2align	6
.LBB122_245:                            ; =>This Inner Loop Header: Depth=1
	scratch_load_b128 v[8:11], v7, off offset:-8
	ds_load_b128 v[12:15], v5
	v_add_nc_u32_e32 v6, 1, v6
	v_add_nc_u32_e32 v5, 16, v5
	;; [unrolled: 1-line block ×3, first 2 shown]
	s_delay_alu instid0(VALU_DEP_3) | instskip(SKIP_4) | instid1(VALU_DEP_2)
	v_cmp_lt_u32_e32 vcc_lo, 56, v6
	s_or_b32 s3, vcc_lo, s3
	s_waitcnt vmcnt(0) lgkmcnt(0)
	v_mul_f64 v[16:17], v[14:15], v[10:11]
	v_mul_f64 v[10:11], v[12:13], v[10:11]
	v_fma_f64 v[12:13], v[12:13], v[8:9], -v[16:17]
	s_delay_alu instid0(VALU_DEP_2) | instskip(NEXT) | instid1(VALU_DEP_2)
	v_fma_f64 v[8:9], v[14:15], v[8:9], v[10:11]
	v_add_f64 v[3:4], v[3:4], v[12:13]
	s_delay_alu instid0(VALU_DEP_2)
	v_add_f64 v[1:2], v[1:2], v[8:9]
	s_and_not1_b32 exec_lo, exec_lo, s3
	s_cbranch_execnz .LBB122_245
; %bb.246:
	s_or_b32 exec_lo, exec_lo, s3
	v_mov_b32_e32 v5, 0
	ds_load_b128 v[5:8], v5 offset:928
	s_waitcnt lgkmcnt(0)
	v_mul_f64 v[9:10], v[1:2], v[7:8]
	v_mul_f64 v[7:8], v[3:4], v[7:8]
	s_delay_alu instid0(VALU_DEP_2) | instskip(NEXT) | instid1(VALU_DEP_2)
	v_fma_f64 v[3:4], v[3:4], v[5:6], -v[9:10]
	v_fma_f64 v[5:6], v[1:2], v[5:6], v[7:8]
	scratch_store_b128 off, v[3:6], off offset:928
.LBB122_247:
	s_or_b32 exec_lo, exec_lo, s2
	s_mov_b32 s3, -1
	s_waitcnt_vscnt null, 0x0
	s_barrier
	buffer_gl0_inv
.LBB122_248:
	s_and_b32 vcc_lo, exec_lo, s3
	s_cbranch_vccz .LBB122_250
; %bb.249:
	s_lshl_b64 s[2:3], s[10:11], 2
	v_mov_b32_e32 v1, 0
	s_add_u32 s2, s6, s2
	s_addc_u32 s3, s7, s3
	global_load_b32 v1, v1, s[2:3]
	s_waitcnt vmcnt(0)
	v_cmp_ne_u32_e32 vcc_lo, 0, v1
	s_cbranch_vccz .LBB122_251
.LBB122_250:
	s_endpgm
.LBB122_251:
	v_lshl_add_u32 v223, v164, 4, 0x3b0
	s_mov_b32 s2, exec_lo
	v_cmpx_eq_u32_e32 58, v164
	s_cbranch_execz .LBB122_253
; %bb.252:
	scratch_load_b128 v[1:4], v174, off
	v_mov_b32_e32 v5, 0
	s_delay_alu instid0(VALU_DEP_1)
	v_mov_b32_e32 v6, v5
	v_mov_b32_e32 v7, v5
	;; [unrolled: 1-line block ×3, first 2 shown]
	scratch_store_b128 off, v[5:8], off offset:912
	s_waitcnt vmcnt(0)
	ds_store_b128 v223, v[1:4]
.LBB122_253:
	s_or_b32 exec_lo, exec_lo, s2
	s_waitcnt lgkmcnt(0)
	s_waitcnt_vscnt null, 0x0
	s_barrier
	buffer_gl0_inv
	s_clause 0x1
	scratch_load_b128 v[2:5], off, off offset:928
	scratch_load_b128 v[6:9], off, off offset:912
	v_mov_b32_e32 v1, 0
	s_mov_b32 s2, exec_lo
	ds_load_b128 v[10:13], v1 offset:1872
	s_waitcnt vmcnt(1) lgkmcnt(0)
	v_mul_f64 v[14:15], v[12:13], v[4:5]
	v_mul_f64 v[4:5], v[10:11], v[4:5]
	s_delay_alu instid0(VALU_DEP_2) | instskip(NEXT) | instid1(VALU_DEP_2)
	v_fma_f64 v[10:11], v[10:11], v[2:3], -v[14:15]
	v_fma_f64 v[2:3], v[12:13], v[2:3], v[4:5]
	s_delay_alu instid0(VALU_DEP_2) | instskip(NEXT) | instid1(VALU_DEP_2)
	v_add_f64 v[4:5], v[10:11], 0
	v_add_f64 v[10:11], v[2:3], 0
	s_waitcnt vmcnt(0)
	s_delay_alu instid0(VALU_DEP_2) | instskip(NEXT) | instid1(VALU_DEP_2)
	v_add_f64 v[2:3], v[6:7], -v[4:5]
	v_add_f64 v[4:5], v[8:9], -v[10:11]
	scratch_store_b128 off, v[2:5], off offset:912
	v_cmpx_lt_u32_e32 56, v164
	s_cbranch_execz .LBB122_255
; %bb.254:
	scratch_load_b128 v[5:8], v175, off
	v_mov_b32_e32 v2, v1
	v_mov_b32_e32 v3, v1
	v_mov_b32_e32 v4, v1
	scratch_store_b128 off, v[1:4], off offset:896
	s_waitcnt vmcnt(0)
	ds_store_b128 v223, v[5:8]
.LBB122_255:
	s_or_b32 exec_lo, exec_lo, s2
	s_waitcnt lgkmcnt(0)
	s_waitcnt_vscnt null, 0x0
	s_barrier
	buffer_gl0_inv
	s_clause 0x2
	scratch_load_b128 v[2:5], off, off offset:912
	scratch_load_b128 v[6:9], off, off offset:928
	;; [unrolled: 1-line block ×3, first 2 shown]
	ds_load_b128 v[14:17], v1 offset:1856
	ds_load_b128 v[18:21], v1 offset:1872
	s_mov_b32 s2, exec_lo
	s_waitcnt vmcnt(2) lgkmcnt(1)
	v_mul_f64 v[22:23], v[16:17], v[4:5]
	v_mul_f64 v[4:5], v[14:15], v[4:5]
	s_waitcnt vmcnt(1) lgkmcnt(0)
	v_mul_f64 v[24:25], v[18:19], v[8:9]
	v_mul_f64 v[8:9], v[20:21], v[8:9]
	s_delay_alu instid0(VALU_DEP_4) | instskip(NEXT) | instid1(VALU_DEP_4)
	v_fma_f64 v[14:15], v[14:15], v[2:3], -v[22:23]
	v_fma_f64 v[1:2], v[16:17], v[2:3], v[4:5]
	s_delay_alu instid0(VALU_DEP_4) | instskip(NEXT) | instid1(VALU_DEP_4)
	v_fma_f64 v[3:4], v[20:21], v[6:7], v[24:25]
	v_fma_f64 v[5:6], v[18:19], v[6:7], -v[8:9]
	s_delay_alu instid0(VALU_DEP_4) | instskip(NEXT) | instid1(VALU_DEP_4)
	v_add_f64 v[7:8], v[14:15], 0
	v_add_f64 v[1:2], v[1:2], 0
	s_delay_alu instid0(VALU_DEP_2) | instskip(NEXT) | instid1(VALU_DEP_2)
	v_add_f64 v[5:6], v[7:8], v[5:6]
	v_add_f64 v[3:4], v[1:2], v[3:4]
	s_waitcnt vmcnt(0)
	s_delay_alu instid0(VALU_DEP_2) | instskip(NEXT) | instid1(VALU_DEP_2)
	v_add_f64 v[1:2], v[10:11], -v[5:6]
	v_add_f64 v[3:4], v[12:13], -v[3:4]
	scratch_store_b128 off, v[1:4], off offset:896
	v_cmpx_lt_u32_e32 55, v164
	s_cbranch_execz .LBB122_257
; %bb.256:
	scratch_load_b128 v[1:4], v195, off
	v_mov_b32_e32 v5, 0
	s_delay_alu instid0(VALU_DEP_1)
	v_mov_b32_e32 v6, v5
	v_mov_b32_e32 v7, v5
	;; [unrolled: 1-line block ×3, first 2 shown]
	scratch_store_b128 off, v[5:8], off offset:880
	s_waitcnt vmcnt(0)
	ds_store_b128 v223, v[1:4]
.LBB122_257:
	s_or_b32 exec_lo, exec_lo, s2
	s_waitcnt lgkmcnt(0)
	s_waitcnt_vscnt null, 0x0
	s_barrier
	buffer_gl0_inv
	s_clause 0x3
	scratch_load_b128 v[2:5], off, off offset:896
	scratch_load_b128 v[6:9], off, off offset:912
	;; [unrolled: 1-line block ×4, first 2 shown]
	v_mov_b32_e32 v1, 0
	ds_load_b128 v[18:21], v1 offset:1840
	ds_load_b128 v[22:25], v1 offset:1856
	s_mov_b32 s2, exec_lo
	s_waitcnt vmcnt(3) lgkmcnt(1)
	v_mul_f64 v[26:27], v[20:21], v[4:5]
	v_mul_f64 v[4:5], v[18:19], v[4:5]
	s_waitcnt vmcnt(2) lgkmcnt(0)
	v_mul_f64 v[28:29], v[22:23], v[8:9]
	v_mul_f64 v[8:9], v[24:25], v[8:9]
	s_delay_alu instid0(VALU_DEP_4) | instskip(NEXT) | instid1(VALU_DEP_4)
	v_fma_f64 v[18:19], v[18:19], v[2:3], -v[26:27]
	v_fma_f64 v[20:21], v[20:21], v[2:3], v[4:5]
	ds_load_b128 v[2:5], v1 offset:1872
	v_fma_f64 v[24:25], v[24:25], v[6:7], v[28:29]
	v_fma_f64 v[6:7], v[22:23], v[6:7], -v[8:9]
	s_waitcnt vmcnt(1) lgkmcnt(0)
	v_mul_f64 v[26:27], v[2:3], v[12:13]
	v_mul_f64 v[12:13], v[4:5], v[12:13]
	v_add_f64 v[8:9], v[18:19], 0
	v_add_f64 v[18:19], v[20:21], 0
	s_delay_alu instid0(VALU_DEP_4) | instskip(NEXT) | instid1(VALU_DEP_4)
	v_fma_f64 v[4:5], v[4:5], v[10:11], v[26:27]
	v_fma_f64 v[2:3], v[2:3], v[10:11], -v[12:13]
	s_delay_alu instid0(VALU_DEP_4) | instskip(NEXT) | instid1(VALU_DEP_4)
	v_add_f64 v[6:7], v[8:9], v[6:7]
	v_add_f64 v[8:9], v[18:19], v[24:25]
	s_delay_alu instid0(VALU_DEP_2) | instskip(NEXT) | instid1(VALU_DEP_2)
	v_add_f64 v[2:3], v[6:7], v[2:3]
	v_add_f64 v[4:5], v[8:9], v[4:5]
	s_waitcnt vmcnt(0)
	s_delay_alu instid0(VALU_DEP_2) | instskip(NEXT) | instid1(VALU_DEP_2)
	v_add_f64 v[2:3], v[14:15], -v[2:3]
	v_add_f64 v[4:5], v[16:17], -v[4:5]
	scratch_store_b128 off, v[2:5], off offset:880
	v_cmpx_lt_u32_e32 54, v164
	s_cbranch_execz .LBB122_259
; %bb.258:
	scratch_load_b128 v[5:8], v194, off
	v_mov_b32_e32 v2, v1
	v_mov_b32_e32 v3, v1
	;; [unrolled: 1-line block ×3, first 2 shown]
	scratch_store_b128 off, v[1:4], off offset:864
	s_waitcnt vmcnt(0)
	ds_store_b128 v223, v[5:8]
.LBB122_259:
	s_or_b32 exec_lo, exec_lo, s2
	s_waitcnt lgkmcnt(0)
	s_waitcnt_vscnt null, 0x0
	s_barrier
	buffer_gl0_inv
	s_clause 0x4
	scratch_load_b128 v[2:5], off, off offset:880
	scratch_load_b128 v[6:9], off, off offset:896
	;; [unrolled: 1-line block ×5, first 2 shown]
	ds_load_b128 v[22:25], v1 offset:1824
	ds_load_b128 v[26:29], v1 offset:1840
	s_mov_b32 s2, exec_lo
	s_waitcnt vmcnt(4) lgkmcnt(1)
	v_mul_f64 v[30:31], v[24:25], v[4:5]
	v_mul_f64 v[4:5], v[22:23], v[4:5]
	s_waitcnt vmcnt(3) lgkmcnt(0)
	v_mul_f64 v[32:33], v[26:27], v[8:9]
	v_mul_f64 v[8:9], v[28:29], v[8:9]
	s_delay_alu instid0(VALU_DEP_4) | instskip(NEXT) | instid1(VALU_DEP_4)
	v_fma_f64 v[30:31], v[22:23], v[2:3], -v[30:31]
	v_fma_f64 v[34:35], v[24:25], v[2:3], v[4:5]
	ds_load_b128 v[2:5], v1 offset:1856
	ds_load_b128 v[22:25], v1 offset:1872
	v_fma_f64 v[28:29], v[28:29], v[6:7], v[32:33]
	v_fma_f64 v[6:7], v[26:27], v[6:7], -v[8:9]
	s_waitcnt vmcnt(2) lgkmcnt(1)
	v_mul_f64 v[36:37], v[2:3], v[12:13]
	v_mul_f64 v[12:13], v[4:5], v[12:13]
	v_add_f64 v[8:9], v[30:31], 0
	v_add_f64 v[26:27], v[34:35], 0
	s_waitcnt vmcnt(1) lgkmcnt(0)
	v_mul_f64 v[30:31], v[22:23], v[16:17]
	v_mul_f64 v[16:17], v[24:25], v[16:17]
	v_fma_f64 v[4:5], v[4:5], v[10:11], v[36:37]
	v_fma_f64 v[1:2], v[2:3], v[10:11], -v[12:13]
	v_add_f64 v[6:7], v[8:9], v[6:7]
	v_add_f64 v[8:9], v[26:27], v[28:29]
	v_fma_f64 v[10:11], v[24:25], v[14:15], v[30:31]
	v_fma_f64 v[12:13], v[22:23], v[14:15], -v[16:17]
	s_delay_alu instid0(VALU_DEP_4) | instskip(NEXT) | instid1(VALU_DEP_4)
	v_add_f64 v[1:2], v[6:7], v[1:2]
	v_add_f64 v[3:4], v[8:9], v[4:5]
	s_delay_alu instid0(VALU_DEP_2) | instskip(NEXT) | instid1(VALU_DEP_2)
	v_add_f64 v[1:2], v[1:2], v[12:13]
	v_add_f64 v[3:4], v[3:4], v[10:11]
	s_waitcnt vmcnt(0)
	s_delay_alu instid0(VALU_DEP_2) | instskip(NEXT) | instid1(VALU_DEP_2)
	v_add_f64 v[1:2], v[18:19], -v[1:2]
	v_add_f64 v[3:4], v[20:21], -v[3:4]
	scratch_store_b128 off, v[1:4], off offset:864
	v_cmpx_lt_u32_e32 53, v164
	s_cbranch_execz .LBB122_261
; %bb.260:
	scratch_load_b128 v[1:4], v196, off
	v_mov_b32_e32 v5, 0
	s_delay_alu instid0(VALU_DEP_1)
	v_mov_b32_e32 v6, v5
	v_mov_b32_e32 v7, v5
	v_mov_b32_e32 v8, v5
	scratch_store_b128 off, v[5:8], off offset:848
	s_waitcnt vmcnt(0)
	ds_store_b128 v223, v[1:4]
.LBB122_261:
	s_or_b32 exec_lo, exec_lo, s2
	s_waitcnt lgkmcnt(0)
	s_waitcnt_vscnt null, 0x0
	s_barrier
	buffer_gl0_inv
	s_clause 0x5
	scratch_load_b128 v[2:5], off, off offset:864
	scratch_load_b128 v[6:9], off, off offset:880
	;; [unrolled: 1-line block ×6, first 2 shown]
	v_mov_b32_e32 v1, 0
	ds_load_b128 v[26:29], v1 offset:1808
	ds_load_b128 v[30:33], v1 offset:1824
	s_mov_b32 s2, exec_lo
	s_waitcnt vmcnt(5) lgkmcnt(1)
	v_mul_f64 v[34:35], v[28:29], v[4:5]
	v_mul_f64 v[4:5], v[26:27], v[4:5]
	s_waitcnt vmcnt(4) lgkmcnt(0)
	v_mul_f64 v[36:37], v[30:31], v[8:9]
	v_mul_f64 v[8:9], v[32:33], v[8:9]
	s_delay_alu instid0(VALU_DEP_4) | instskip(NEXT) | instid1(VALU_DEP_4)
	v_fma_f64 v[34:35], v[26:27], v[2:3], -v[34:35]
	v_fma_f64 v[38:39], v[28:29], v[2:3], v[4:5]
	ds_load_b128 v[2:5], v1 offset:1840
	ds_load_b128 v[26:29], v1 offset:1856
	v_fma_f64 v[32:33], v[32:33], v[6:7], v[36:37]
	v_fma_f64 v[6:7], v[30:31], v[6:7], -v[8:9]
	s_waitcnt vmcnt(3) lgkmcnt(1)
	v_mul_f64 v[40:41], v[2:3], v[12:13]
	v_mul_f64 v[12:13], v[4:5], v[12:13]
	v_add_f64 v[8:9], v[34:35], 0
	v_add_f64 v[30:31], v[38:39], 0
	s_waitcnt vmcnt(2) lgkmcnt(0)
	v_mul_f64 v[34:35], v[26:27], v[16:17]
	v_mul_f64 v[16:17], v[28:29], v[16:17]
	v_fma_f64 v[36:37], v[4:5], v[10:11], v[40:41]
	v_fma_f64 v[10:11], v[2:3], v[10:11], -v[12:13]
	ds_load_b128 v[2:5], v1 offset:1872
	v_add_f64 v[6:7], v[8:9], v[6:7]
	v_add_f64 v[8:9], v[30:31], v[32:33]
	v_fma_f64 v[28:29], v[28:29], v[14:15], v[34:35]
	v_fma_f64 v[14:15], v[26:27], v[14:15], -v[16:17]
	s_waitcnt vmcnt(1) lgkmcnt(0)
	v_mul_f64 v[12:13], v[2:3], v[20:21]
	v_mul_f64 v[20:21], v[4:5], v[20:21]
	v_add_f64 v[6:7], v[6:7], v[10:11]
	v_add_f64 v[8:9], v[8:9], v[36:37]
	s_delay_alu instid0(VALU_DEP_4) | instskip(NEXT) | instid1(VALU_DEP_4)
	v_fma_f64 v[4:5], v[4:5], v[18:19], v[12:13]
	v_fma_f64 v[2:3], v[2:3], v[18:19], -v[20:21]
	s_delay_alu instid0(VALU_DEP_4) | instskip(NEXT) | instid1(VALU_DEP_4)
	v_add_f64 v[6:7], v[6:7], v[14:15]
	v_add_f64 v[8:9], v[8:9], v[28:29]
	s_delay_alu instid0(VALU_DEP_2) | instskip(NEXT) | instid1(VALU_DEP_2)
	v_add_f64 v[2:3], v[6:7], v[2:3]
	v_add_f64 v[4:5], v[8:9], v[4:5]
	s_waitcnt vmcnt(0)
	s_delay_alu instid0(VALU_DEP_2) | instskip(NEXT) | instid1(VALU_DEP_2)
	v_add_f64 v[2:3], v[22:23], -v[2:3]
	v_add_f64 v[4:5], v[24:25], -v[4:5]
	scratch_store_b128 off, v[2:5], off offset:848
	v_cmpx_lt_u32_e32 52, v164
	s_cbranch_execz .LBB122_263
; %bb.262:
	scratch_load_b128 v[5:8], v180, off
	v_mov_b32_e32 v2, v1
	v_mov_b32_e32 v3, v1
	;; [unrolled: 1-line block ×3, first 2 shown]
	scratch_store_b128 off, v[1:4], off offset:832
	s_waitcnt vmcnt(0)
	ds_store_b128 v223, v[5:8]
.LBB122_263:
	s_or_b32 exec_lo, exec_lo, s2
	s_waitcnt lgkmcnt(0)
	s_waitcnt_vscnt null, 0x0
	s_barrier
	buffer_gl0_inv
	s_clause 0x5
	scratch_load_b128 v[2:5], off, off offset:848
	scratch_load_b128 v[6:9], off, off offset:864
	;; [unrolled: 1-line block ×6, first 2 shown]
	ds_load_b128 v[26:29], v1 offset:1792
	ds_load_b128 v[34:37], v1 offset:1808
	scratch_load_b128 v[30:33], off, off offset:832
	s_mov_b32 s2, exec_lo
	s_waitcnt vmcnt(6) lgkmcnt(1)
	v_mul_f64 v[38:39], v[28:29], v[4:5]
	v_mul_f64 v[4:5], v[26:27], v[4:5]
	s_waitcnt vmcnt(5) lgkmcnt(0)
	v_mul_f64 v[40:41], v[34:35], v[8:9]
	v_mul_f64 v[8:9], v[36:37], v[8:9]
	s_delay_alu instid0(VALU_DEP_4) | instskip(NEXT) | instid1(VALU_DEP_4)
	v_fma_f64 v[38:39], v[26:27], v[2:3], -v[38:39]
	v_fma_f64 v[42:43], v[28:29], v[2:3], v[4:5]
	ds_load_b128 v[2:5], v1 offset:1824
	ds_load_b128 v[26:29], v1 offset:1840
	v_fma_f64 v[36:37], v[36:37], v[6:7], v[40:41]
	v_fma_f64 v[6:7], v[34:35], v[6:7], -v[8:9]
	s_waitcnt vmcnt(4) lgkmcnt(1)
	v_mul_f64 v[44:45], v[2:3], v[12:13]
	v_mul_f64 v[12:13], v[4:5], v[12:13]
	v_add_f64 v[8:9], v[38:39], 0
	v_add_f64 v[34:35], v[42:43], 0
	s_waitcnt vmcnt(3) lgkmcnt(0)
	v_mul_f64 v[38:39], v[26:27], v[16:17]
	v_mul_f64 v[16:17], v[28:29], v[16:17]
	v_fma_f64 v[40:41], v[4:5], v[10:11], v[44:45]
	v_fma_f64 v[10:11], v[2:3], v[10:11], -v[12:13]
	v_add_f64 v[12:13], v[8:9], v[6:7]
	v_add_f64 v[34:35], v[34:35], v[36:37]
	ds_load_b128 v[2:5], v1 offset:1856
	ds_load_b128 v[6:9], v1 offset:1872
	v_fma_f64 v[28:29], v[28:29], v[14:15], v[38:39]
	v_fma_f64 v[14:15], v[26:27], v[14:15], -v[16:17]
	s_waitcnt vmcnt(2) lgkmcnt(1)
	v_mul_f64 v[36:37], v[2:3], v[20:21]
	v_mul_f64 v[20:21], v[4:5], v[20:21]
	s_waitcnt vmcnt(1) lgkmcnt(0)
	v_mul_f64 v[16:17], v[6:7], v[24:25]
	v_mul_f64 v[24:25], v[8:9], v[24:25]
	v_add_f64 v[10:11], v[12:13], v[10:11]
	v_add_f64 v[12:13], v[34:35], v[40:41]
	v_fma_f64 v[4:5], v[4:5], v[18:19], v[36:37]
	v_fma_f64 v[1:2], v[2:3], v[18:19], -v[20:21]
	v_fma_f64 v[8:9], v[8:9], v[22:23], v[16:17]
	v_fma_f64 v[6:7], v[6:7], v[22:23], -v[24:25]
	v_add_f64 v[10:11], v[10:11], v[14:15]
	v_add_f64 v[12:13], v[12:13], v[28:29]
	s_delay_alu instid0(VALU_DEP_2) | instskip(NEXT) | instid1(VALU_DEP_2)
	v_add_f64 v[1:2], v[10:11], v[1:2]
	v_add_f64 v[3:4], v[12:13], v[4:5]
	s_delay_alu instid0(VALU_DEP_2) | instskip(NEXT) | instid1(VALU_DEP_2)
	v_add_f64 v[1:2], v[1:2], v[6:7]
	v_add_f64 v[3:4], v[3:4], v[8:9]
	s_waitcnt vmcnt(0)
	s_delay_alu instid0(VALU_DEP_2) | instskip(NEXT) | instid1(VALU_DEP_2)
	v_add_f64 v[1:2], v[30:31], -v[1:2]
	v_add_f64 v[3:4], v[32:33], -v[3:4]
	scratch_store_b128 off, v[1:4], off offset:832
	v_cmpx_lt_u32_e32 51, v164
	s_cbranch_execz .LBB122_265
; %bb.264:
	scratch_load_b128 v[1:4], v186, off
	v_mov_b32_e32 v5, 0
	s_delay_alu instid0(VALU_DEP_1)
	v_mov_b32_e32 v6, v5
	v_mov_b32_e32 v7, v5
	;; [unrolled: 1-line block ×3, first 2 shown]
	scratch_store_b128 off, v[5:8], off offset:816
	s_waitcnt vmcnt(0)
	ds_store_b128 v223, v[1:4]
.LBB122_265:
	s_or_b32 exec_lo, exec_lo, s2
	s_waitcnt lgkmcnt(0)
	s_waitcnt_vscnt null, 0x0
	s_barrier
	buffer_gl0_inv
	s_clause 0x6
	scratch_load_b128 v[2:5], off, off offset:832
	scratch_load_b128 v[6:9], off, off offset:848
	;; [unrolled: 1-line block ×7, first 2 shown]
	v_mov_b32_e32 v1, 0
	scratch_load_b128 v[34:37], off, off offset:816
	s_mov_b32 s2, exec_lo
	ds_load_b128 v[30:33], v1 offset:1776
	ds_load_b128 v[38:41], v1 offset:1792
	s_waitcnt vmcnt(7) lgkmcnt(1)
	v_mul_f64 v[42:43], v[32:33], v[4:5]
	v_mul_f64 v[4:5], v[30:31], v[4:5]
	s_waitcnt vmcnt(6) lgkmcnt(0)
	v_mul_f64 v[44:45], v[38:39], v[8:9]
	v_mul_f64 v[8:9], v[40:41], v[8:9]
	s_delay_alu instid0(VALU_DEP_4) | instskip(NEXT) | instid1(VALU_DEP_4)
	v_fma_f64 v[42:43], v[30:31], v[2:3], -v[42:43]
	v_fma_f64 v[48:49], v[32:33], v[2:3], v[4:5]
	ds_load_b128 v[2:5], v1 offset:1808
	ds_load_b128 v[30:33], v1 offset:1824
	v_fma_f64 v[40:41], v[40:41], v[6:7], v[44:45]
	v_fma_f64 v[6:7], v[38:39], v[6:7], -v[8:9]
	s_waitcnt vmcnt(5) lgkmcnt(1)
	v_mul_f64 v[50:51], v[2:3], v[12:13]
	v_mul_f64 v[12:13], v[4:5], v[12:13]
	v_add_f64 v[8:9], v[42:43], 0
	v_add_f64 v[38:39], v[48:49], 0
	s_waitcnt vmcnt(4) lgkmcnt(0)
	v_mul_f64 v[42:43], v[30:31], v[16:17]
	v_mul_f64 v[16:17], v[32:33], v[16:17]
	v_fma_f64 v[44:45], v[4:5], v[10:11], v[50:51]
	v_fma_f64 v[10:11], v[2:3], v[10:11], -v[12:13]
	v_add_f64 v[12:13], v[8:9], v[6:7]
	v_add_f64 v[38:39], v[38:39], v[40:41]
	ds_load_b128 v[2:5], v1 offset:1840
	ds_load_b128 v[6:9], v1 offset:1856
	v_fma_f64 v[32:33], v[32:33], v[14:15], v[42:43]
	v_fma_f64 v[14:15], v[30:31], v[14:15], -v[16:17]
	s_waitcnt vmcnt(3) lgkmcnt(1)
	v_mul_f64 v[40:41], v[2:3], v[20:21]
	v_mul_f64 v[20:21], v[4:5], v[20:21]
	s_waitcnt vmcnt(2) lgkmcnt(0)
	v_mul_f64 v[16:17], v[6:7], v[24:25]
	v_mul_f64 v[24:25], v[8:9], v[24:25]
	v_add_f64 v[10:11], v[12:13], v[10:11]
	v_add_f64 v[12:13], v[38:39], v[44:45]
	v_fma_f64 v[30:31], v[4:5], v[18:19], v[40:41]
	v_fma_f64 v[18:19], v[2:3], v[18:19], -v[20:21]
	ds_load_b128 v[2:5], v1 offset:1872
	v_fma_f64 v[8:9], v[8:9], v[22:23], v[16:17]
	v_fma_f64 v[6:7], v[6:7], v[22:23], -v[24:25]
	v_add_f64 v[10:11], v[10:11], v[14:15]
	v_add_f64 v[12:13], v[12:13], v[32:33]
	s_waitcnt vmcnt(1) lgkmcnt(0)
	v_mul_f64 v[14:15], v[2:3], v[28:29]
	v_mul_f64 v[20:21], v[4:5], v[28:29]
	s_delay_alu instid0(VALU_DEP_4) | instskip(NEXT) | instid1(VALU_DEP_4)
	v_add_f64 v[10:11], v[10:11], v[18:19]
	v_add_f64 v[12:13], v[12:13], v[30:31]
	s_delay_alu instid0(VALU_DEP_4) | instskip(NEXT) | instid1(VALU_DEP_4)
	v_fma_f64 v[4:5], v[4:5], v[26:27], v[14:15]
	v_fma_f64 v[2:3], v[2:3], v[26:27], -v[20:21]
	s_delay_alu instid0(VALU_DEP_4) | instskip(NEXT) | instid1(VALU_DEP_4)
	v_add_f64 v[6:7], v[10:11], v[6:7]
	v_add_f64 v[8:9], v[12:13], v[8:9]
	s_delay_alu instid0(VALU_DEP_2) | instskip(NEXT) | instid1(VALU_DEP_2)
	v_add_f64 v[2:3], v[6:7], v[2:3]
	v_add_f64 v[4:5], v[8:9], v[4:5]
	s_waitcnt vmcnt(0)
	s_delay_alu instid0(VALU_DEP_2) | instskip(NEXT) | instid1(VALU_DEP_2)
	v_add_f64 v[2:3], v[34:35], -v[2:3]
	v_add_f64 v[4:5], v[36:37], -v[4:5]
	scratch_store_b128 off, v[2:5], off offset:816
	v_cmpx_lt_u32_e32 50, v164
	s_cbranch_execz .LBB122_267
; %bb.266:
	scratch_load_b128 v[5:8], v188, off
	v_mov_b32_e32 v2, v1
	v_mov_b32_e32 v3, v1
	;; [unrolled: 1-line block ×3, first 2 shown]
	scratch_store_b128 off, v[1:4], off offset:800
	s_waitcnt vmcnt(0)
	ds_store_b128 v223, v[5:8]
.LBB122_267:
	s_or_b32 exec_lo, exec_lo, s2
	s_waitcnt lgkmcnt(0)
	s_waitcnt_vscnt null, 0x0
	s_barrier
	buffer_gl0_inv
	s_clause 0x7
	scratch_load_b128 v[2:5], off, off offset:816
	scratch_load_b128 v[6:9], off, off offset:832
	;; [unrolled: 1-line block ×8, first 2 shown]
	ds_load_b128 v[34:37], v1 offset:1760
	ds_load_b128 v[38:41], v1 offset:1776
	scratch_load_b128 v[42:45], off, off offset:800
	s_mov_b32 s2, exec_lo
	s_waitcnt vmcnt(8) lgkmcnt(1)
	v_mul_f64 v[48:49], v[36:37], v[4:5]
	v_mul_f64 v[4:5], v[34:35], v[4:5]
	s_waitcnt vmcnt(7) lgkmcnt(0)
	v_mul_f64 v[50:51], v[38:39], v[8:9]
	v_mul_f64 v[8:9], v[40:41], v[8:9]
	s_delay_alu instid0(VALU_DEP_4) | instskip(NEXT) | instid1(VALU_DEP_4)
	v_fma_f64 v[48:49], v[34:35], v[2:3], -v[48:49]
	v_fma_f64 v[52:53], v[36:37], v[2:3], v[4:5]
	ds_load_b128 v[2:5], v1 offset:1792
	ds_load_b128 v[34:37], v1 offset:1808
	v_fma_f64 v[40:41], v[40:41], v[6:7], v[50:51]
	v_fma_f64 v[6:7], v[38:39], v[6:7], -v[8:9]
	s_waitcnt vmcnt(6) lgkmcnt(1)
	v_mul_f64 v[54:55], v[2:3], v[12:13]
	v_mul_f64 v[12:13], v[4:5], v[12:13]
	v_add_f64 v[8:9], v[48:49], 0
	v_add_f64 v[38:39], v[52:53], 0
	s_waitcnt vmcnt(5) lgkmcnt(0)
	v_mul_f64 v[48:49], v[34:35], v[16:17]
	v_mul_f64 v[16:17], v[36:37], v[16:17]
	v_fma_f64 v[50:51], v[4:5], v[10:11], v[54:55]
	v_fma_f64 v[10:11], v[2:3], v[10:11], -v[12:13]
	v_add_f64 v[12:13], v[8:9], v[6:7]
	v_add_f64 v[38:39], v[38:39], v[40:41]
	ds_load_b128 v[2:5], v1 offset:1824
	ds_load_b128 v[6:9], v1 offset:1840
	v_fma_f64 v[36:37], v[36:37], v[14:15], v[48:49]
	v_fma_f64 v[14:15], v[34:35], v[14:15], -v[16:17]
	s_waitcnt vmcnt(4) lgkmcnt(1)
	v_mul_f64 v[40:41], v[2:3], v[20:21]
	v_mul_f64 v[20:21], v[4:5], v[20:21]
	s_waitcnt vmcnt(3) lgkmcnt(0)
	v_mul_f64 v[16:17], v[6:7], v[24:25]
	v_mul_f64 v[24:25], v[8:9], v[24:25]
	v_add_f64 v[10:11], v[12:13], v[10:11]
	v_add_f64 v[12:13], v[38:39], v[50:51]
	v_fma_f64 v[34:35], v[4:5], v[18:19], v[40:41]
	v_fma_f64 v[18:19], v[2:3], v[18:19], -v[20:21]
	v_fma_f64 v[8:9], v[8:9], v[22:23], v[16:17]
	v_fma_f64 v[6:7], v[6:7], v[22:23], -v[24:25]
	v_add_f64 v[14:15], v[10:11], v[14:15]
	v_add_f64 v[20:21], v[12:13], v[36:37]
	ds_load_b128 v[2:5], v1 offset:1856
	ds_load_b128 v[10:13], v1 offset:1872
	s_waitcnt vmcnt(2) lgkmcnt(1)
	v_mul_f64 v[36:37], v[2:3], v[28:29]
	v_mul_f64 v[28:29], v[4:5], v[28:29]
	v_add_f64 v[14:15], v[14:15], v[18:19]
	v_add_f64 v[16:17], v[20:21], v[34:35]
	s_waitcnt vmcnt(1) lgkmcnt(0)
	v_mul_f64 v[18:19], v[10:11], v[32:33]
	v_mul_f64 v[20:21], v[12:13], v[32:33]
	v_fma_f64 v[4:5], v[4:5], v[26:27], v[36:37]
	v_fma_f64 v[1:2], v[2:3], v[26:27], -v[28:29]
	v_add_f64 v[6:7], v[14:15], v[6:7]
	v_add_f64 v[8:9], v[16:17], v[8:9]
	v_fma_f64 v[12:13], v[12:13], v[30:31], v[18:19]
	v_fma_f64 v[10:11], v[10:11], v[30:31], -v[20:21]
	s_delay_alu instid0(VALU_DEP_4) | instskip(NEXT) | instid1(VALU_DEP_4)
	v_add_f64 v[1:2], v[6:7], v[1:2]
	v_add_f64 v[3:4], v[8:9], v[4:5]
	s_delay_alu instid0(VALU_DEP_2) | instskip(NEXT) | instid1(VALU_DEP_2)
	v_add_f64 v[1:2], v[1:2], v[10:11]
	v_add_f64 v[3:4], v[3:4], v[12:13]
	s_waitcnt vmcnt(0)
	s_delay_alu instid0(VALU_DEP_2) | instskip(NEXT) | instid1(VALU_DEP_2)
	v_add_f64 v[1:2], v[42:43], -v[1:2]
	v_add_f64 v[3:4], v[44:45], -v[3:4]
	scratch_store_b128 off, v[1:4], off offset:800
	v_cmpx_lt_u32_e32 49, v164
	s_cbranch_execz .LBB122_269
; %bb.268:
	scratch_load_b128 v[1:4], v187, off
	v_mov_b32_e32 v5, 0
	s_delay_alu instid0(VALU_DEP_1)
	v_mov_b32_e32 v6, v5
	v_mov_b32_e32 v7, v5
	;; [unrolled: 1-line block ×3, first 2 shown]
	scratch_store_b128 off, v[5:8], off offset:784
	s_waitcnt vmcnt(0)
	ds_store_b128 v223, v[1:4]
.LBB122_269:
	s_or_b32 exec_lo, exec_lo, s2
	s_waitcnt lgkmcnt(0)
	s_waitcnt_vscnt null, 0x0
	s_barrier
	buffer_gl0_inv
	s_clause 0x7
	scratch_load_b128 v[2:5], off, off offset:800
	scratch_load_b128 v[6:9], off, off offset:816
	;; [unrolled: 1-line block ×8, first 2 shown]
	v_mov_b32_e32 v1, 0
	s_mov_b32 s2, exec_lo
	ds_load_b128 v[34:37], v1 offset:1744
	s_clause 0x1
	scratch_load_b128 v[38:41], off, off offset:928
	scratch_load_b128 v[42:45], off, off offset:784
	ds_load_b128 v[48:51], v1 offset:1760
	s_waitcnt vmcnt(9) lgkmcnt(1)
	v_mul_f64 v[52:53], v[36:37], v[4:5]
	v_mul_f64 v[4:5], v[34:35], v[4:5]
	s_waitcnt vmcnt(8) lgkmcnt(0)
	v_mul_f64 v[54:55], v[48:49], v[8:9]
	v_mul_f64 v[8:9], v[50:51], v[8:9]
	s_delay_alu instid0(VALU_DEP_4) | instskip(NEXT) | instid1(VALU_DEP_4)
	v_fma_f64 v[52:53], v[34:35], v[2:3], -v[52:53]
	v_fma_f64 v[56:57], v[36:37], v[2:3], v[4:5]
	ds_load_b128 v[2:5], v1 offset:1776
	ds_load_b128 v[34:37], v1 offset:1792
	v_fma_f64 v[50:51], v[50:51], v[6:7], v[54:55]
	v_fma_f64 v[6:7], v[48:49], v[6:7], -v[8:9]
	s_waitcnt vmcnt(7) lgkmcnt(1)
	v_mul_f64 v[58:59], v[2:3], v[12:13]
	v_mul_f64 v[12:13], v[4:5], v[12:13]
	v_add_f64 v[8:9], v[52:53], 0
	v_add_f64 v[48:49], v[56:57], 0
	s_waitcnt vmcnt(6) lgkmcnt(0)
	v_mul_f64 v[52:53], v[34:35], v[16:17]
	v_mul_f64 v[16:17], v[36:37], v[16:17]
	v_fma_f64 v[54:55], v[4:5], v[10:11], v[58:59]
	v_fma_f64 v[10:11], v[2:3], v[10:11], -v[12:13]
	v_add_f64 v[12:13], v[8:9], v[6:7]
	v_add_f64 v[48:49], v[48:49], v[50:51]
	ds_load_b128 v[2:5], v1 offset:1808
	ds_load_b128 v[6:9], v1 offset:1824
	v_fma_f64 v[36:37], v[36:37], v[14:15], v[52:53]
	v_fma_f64 v[14:15], v[34:35], v[14:15], -v[16:17]
	s_waitcnt vmcnt(5) lgkmcnt(1)
	v_mul_f64 v[50:51], v[2:3], v[20:21]
	v_mul_f64 v[20:21], v[4:5], v[20:21]
	s_waitcnt vmcnt(4) lgkmcnt(0)
	v_mul_f64 v[16:17], v[6:7], v[24:25]
	v_mul_f64 v[24:25], v[8:9], v[24:25]
	v_add_f64 v[10:11], v[12:13], v[10:11]
	v_add_f64 v[12:13], v[48:49], v[54:55]
	v_fma_f64 v[34:35], v[4:5], v[18:19], v[50:51]
	v_fma_f64 v[18:19], v[2:3], v[18:19], -v[20:21]
	v_fma_f64 v[8:9], v[8:9], v[22:23], v[16:17]
	v_fma_f64 v[6:7], v[6:7], v[22:23], -v[24:25]
	v_add_f64 v[14:15], v[10:11], v[14:15]
	v_add_f64 v[20:21], v[12:13], v[36:37]
	ds_load_b128 v[2:5], v1 offset:1840
	ds_load_b128 v[10:13], v1 offset:1856
	s_waitcnt vmcnt(3) lgkmcnt(1)
	v_mul_f64 v[36:37], v[2:3], v[28:29]
	v_mul_f64 v[28:29], v[4:5], v[28:29]
	v_add_f64 v[14:15], v[14:15], v[18:19]
	v_add_f64 v[16:17], v[20:21], v[34:35]
	s_waitcnt vmcnt(2) lgkmcnt(0)
	v_mul_f64 v[18:19], v[10:11], v[32:33]
	v_mul_f64 v[20:21], v[12:13], v[32:33]
	v_fma_f64 v[22:23], v[4:5], v[26:27], v[36:37]
	v_fma_f64 v[24:25], v[2:3], v[26:27], -v[28:29]
	ds_load_b128 v[2:5], v1 offset:1872
	v_add_f64 v[6:7], v[14:15], v[6:7]
	v_add_f64 v[8:9], v[16:17], v[8:9]
	v_fma_f64 v[12:13], v[12:13], v[30:31], v[18:19]
	v_fma_f64 v[10:11], v[10:11], v[30:31], -v[20:21]
	s_waitcnt vmcnt(1) lgkmcnt(0)
	v_mul_f64 v[14:15], v[2:3], v[40:41]
	v_mul_f64 v[16:17], v[4:5], v[40:41]
	v_add_f64 v[6:7], v[6:7], v[24:25]
	v_add_f64 v[8:9], v[8:9], v[22:23]
	s_delay_alu instid0(VALU_DEP_4) | instskip(NEXT) | instid1(VALU_DEP_4)
	v_fma_f64 v[4:5], v[4:5], v[38:39], v[14:15]
	v_fma_f64 v[2:3], v[2:3], v[38:39], -v[16:17]
	s_delay_alu instid0(VALU_DEP_4) | instskip(NEXT) | instid1(VALU_DEP_4)
	v_add_f64 v[6:7], v[6:7], v[10:11]
	v_add_f64 v[8:9], v[8:9], v[12:13]
	s_delay_alu instid0(VALU_DEP_2) | instskip(NEXT) | instid1(VALU_DEP_2)
	v_add_f64 v[2:3], v[6:7], v[2:3]
	v_add_f64 v[4:5], v[8:9], v[4:5]
	s_waitcnt vmcnt(0)
	s_delay_alu instid0(VALU_DEP_2) | instskip(NEXT) | instid1(VALU_DEP_2)
	v_add_f64 v[2:3], v[42:43], -v[2:3]
	v_add_f64 v[4:5], v[44:45], -v[4:5]
	scratch_store_b128 off, v[2:5], off offset:784
	v_cmpx_lt_u32_e32 48, v164
	s_cbranch_execz .LBB122_271
; %bb.270:
	scratch_load_b128 v[5:8], v182, off
	v_mov_b32_e32 v2, v1
	v_mov_b32_e32 v3, v1
	;; [unrolled: 1-line block ×3, first 2 shown]
	scratch_store_b128 off, v[1:4], off offset:768
	s_waitcnt vmcnt(0)
	ds_store_b128 v223, v[5:8]
.LBB122_271:
	s_or_b32 exec_lo, exec_lo, s2
	s_waitcnt lgkmcnt(0)
	s_waitcnt_vscnt null, 0x0
	s_barrier
	buffer_gl0_inv
	s_clause 0x7
	scratch_load_b128 v[2:5], off, off offset:784
	scratch_load_b128 v[6:9], off, off offset:800
	;; [unrolled: 1-line block ×8, first 2 shown]
	ds_load_b128 v[34:37], v1 offset:1728
	ds_load_b128 v[42:45], v1 offset:1744
	s_clause 0x1
	scratch_load_b128 v[38:41], off, off offset:912
	scratch_load_b128 v[48:51], off, off offset:928
	s_mov_b32 s2, exec_lo
	s_waitcnt vmcnt(9) lgkmcnt(1)
	v_mul_f64 v[52:53], v[36:37], v[4:5]
	v_mul_f64 v[4:5], v[34:35], v[4:5]
	s_waitcnt vmcnt(8) lgkmcnt(0)
	v_mul_f64 v[54:55], v[42:43], v[8:9]
	v_mul_f64 v[8:9], v[44:45], v[8:9]
	s_delay_alu instid0(VALU_DEP_4) | instskip(NEXT) | instid1(VALU_DEP_4)
	v_fma_f64 v[34:35], v[34:35], v[2:3], -v[52:53]
	v_fma_f64 v[36:37], v[36:37], v[2:3], v[4:5]
	ds_load_b128 v[2:5], v1 offset:1760
	v_fma_f64 v[44:45], v[44:45], v[6:7], v[54:55]
	v_fma_f64 v[42:43], v[42:43], v[6:7], -v[8:9]
	ds_load_b128 v[6:9], v1 offset:1776
	s_waitcnt vmcnt(7) lgkmcnt(1)
	v_mul_f64 v[52:53], v[2:3], v[12:13]
	v_mul_f64 v[12:13], v[4:5], v[12:13]
	s_waitcnt vmcnt(6) lgkmcnt(0)
	v_mul_f64 v[54:55], v[6:7], v[16:17]
	v_mul_f64 v[16:17], v[8:9], v[16:17]
	v_add_f64 v[34:35], v[34:35], 0
	v_add_f64 v[36:37], v[36:37], 0
	v_fma_f64 v[52:53], v[4:5], v[10:11], v[52:53]
	v_fma_f64 v[56:57], v[2:3], v[10:11], -v[12:13]
	ds_load_b128 v[2:5], v1 offset:1792
	scratch_load_b128 v[10:13], off, off offset:768
	v_add_f64 v[34:35], v[34:35], v[42:43]
	v_add_f64 v[36:37], v[36:37], v[44:45]
	v_fma_f64 v[44:45], v[8:9], v[14:15], v[54:55]
	v_fma_f64 v[14:15], v[6:7], v[14:15], -v[16:17]
	ds_load_b128 v[6:9], v1 offset:1808
	s_waitcnt vmcnt(6) lgkmcnt(1)
	v_mul_f64 v[42:43], v[2:3], v[20:21]
	v_mul_f64 v[20:21], v[4:5], v[20:21]
	v_add_f64 v[16:17], v[34:35], v[56:57]
	v_add_f64 v[34:35], v[36:37], v[52:53]
	s_waitcnt vmcnt(5) lgkmcnt(0)
	v_mul_f64 v[36:37], v[6:7], v[24:25]
	v_mul_f64 v[24:25], v[8:9], v[24:25]
	v_fma_f64 v[42:43], v[4:5], v[18:19], v[42:43]
	v_fma_f64 v[18:19], v[2:3], v[18:19], -v[20:21]
	ds_load_b128 v[2:5], v1 offset:1824
	v_add_f64 v[14:15], v[16:17], v[14:15]
	v_add_f64 v[16:17], v[34:35], v[44:45]
	v_fma_f64 v[34:35], v[8:9], v[22:23], v[36:37]
	v_fma_f64 v[22:23], v[6:7], v[22:23], -v[24:25]
	ds_load_b128 v[6:9], v1 offset:1840
	s_waitcnt vmcnt(4) lgkmcnt(1)
	v_mul_f64 v[20:21], v[2:3], v[28:29]
	v_mul_f64 v[28:29], v[4:5], v[28:29]
	s_waitcnt vmcnt(3) lgkmcnt(0)
	v_mul_f64 v[24:25], v[8:9], v[32:33]
	v_add_f64 v[14:15], v[14:15], v[18:19]
	v_add_f64 v[16:17], v[16:17], v[42:43]
	v_mul_f64 v[18:19], v[6:7], v[32:33]
	v_fma_f64 v[20:21], v[4:5], v[26:27], v[20:21]
	v_fma_f64 v[26:27], v[2:3], v[26:27], -v[28:29]
	ds_load_b128 v[2:5], v1 offset:1856
	v_fma_f64 v[24:25], v[6:7], v[30:31], -v[24:25]
	v_add_f64 v[14:15], v[14:15], v[22:23]
	v_add_f64 v[16:17], v[16:17], v[34:35]
	v_fma_f64 v[18:19], v[8:9], v[30:31], v[18:19]
	ds_load_b128 v[6:9], v1 offset:1872
	s_waitcnt vmcnt(2) lgkmcnt(1)
	v_mul_f64 v[22:23], v[2:3], v[40:41]
	v_mul_f64 v[28:29], v[4:5], v[40:41]
	v_add_f64 v[14:15], v[14:15], v[26:27]
	v_add_f64 v[16:17], v[16:17], v[20:21]
	s_waitcnt vmcnt(1) lgkmcnt(0)
	v_mul_f64 v[20:21], v[6:7], v[50:51]
	v_mul_f64 v[26:27], v[8:9], v[50:51]
	v_fma_f64 v[4:5], v[4:5], v[38:39], v[22:23]
	v_fma_f64 v[1:2], v[2:3], v[38:39], -v[28:29]
	v_add_f64 v[14:15], v[14:15], v[24:25]
	v_add_f64 v[16:17], v[16:17], v[18:19]
	v_fma_f64 v[8:9], v[8:9], v[48:49], v[20:21]
	v_fma_f64 v[6:7], v[6:7], v[48:49], -v[26:27]
	s_delay_alu instid0(VALU_DEP_4) | instskip(NEXT) | instid1(VALU_DEP_4)
	v_add_f64 v[1:2], v[14:15], v[1:2]
	v_add_f64 v[3:4], v[16:17], v[4:5]
	s_delay_alu instid0(VALU_DEP_2) | instskip(NEXT) | instid1(VALU_DEP_2)
	v_add_f64 v[1:2], v[1:2], v[6:7]
	v_add_f64 v[3:4], v[3:4], v[8:9]
	s_waitcnt vmcnt(0)
	s_delay_alu instid0(VALU_DEP_2) | instskip(NEXT) | instid1(VALU_DEP_2)
	v_add_f64 v[1:2], v[10:11], -v[1:2]
	v_add_f64 v[3:4], v[12:13], -v[3:4]
	scratch_store_b128 off, v[1:4], off offset:768
	v_cmpx_lt_u32_e32 47, v164
	s_cbranch_execz .LBB122_273
; %bb.272:
	scratch_load_b128 v[1:4], v184, off
	v_mov_b32_e32 v5, 0
	s_delay_alu instid0(VALU_DEP_1)
	v_mov_b32_e32 v6, v5
	v_mov_b32_e32 v7, v5
	v_mov_b32_e32 v8, v5
	scratch_store_b128 off, v[5:8], off offset:752
	s_waitcnt vmcnt(0)
	ds_store_b128 v223, v[1:4]
.LBB122_273:
	s_or_b32 exec_lo, exec_lo, s2
	s_waitcnt lgkmcnt(0)
	s_waitcnt_vscnt null, 0x0
	s_barrier
	buffer_gl0_inv
	s_clause 0x7
	scratch_load_b128 v[2:5], off, off offset:768
	scratch_load_b128 v[6:9], off, off offset:784
	;; [unrolled: 1-line block ×8, first 2 shown]
	v_mov_b32_e32 v1, 0
	s_clause 0x1
	scratch_load_b128 v[38:41], off, off offset:896
	scratch_load_b128 v[48:51], off, off offset:912
	s_mov_b32 s2, exec_lo
	ds_load_b128 v[34:37], v1 offset:1712
	ds_load_b128 v[42:45], v1 offset:1728
	s_waitcnt vmcnt(9) lgkmcnt(1)
	v_mul_f64 v[52:53], v[36:37], v[4:5]
	v_mul_f64 v[4:5], v[34:35], v[4:5]
	s_waitcnt vmcnt(8) lgkmcnt(0)
	v_mul_f64 v[54:55], v[42:43], v[8:9]
	v_mul_f64 v[8:9], v[44:45], v[8:9]
	s_delay_alu instid0(VALU_DEP_4) | instskip(NEXT) | instid1(VALU_DEP_4)
	v_fma_f64 v[52:53], v[34:35], v[2:3], -v[52:53]
	v_fma_f64 v[56:57], v[36:37], v[2:3], v[4:5]
	ds_load_b128 v[2:5], v1 offset:1744
	scratch_load_b128 v[34:37], off, off offset:928
	v_fma_f64 v[44:45], v[44:45], v[6:7], v[54:55]
	v_fma_f64 v[42:43], v[42:43], v[6:7], -v[8:9]
	ds_load_b128 v[6:9], v1 offset:1760
	s_waitcnt vmcnt(8) lgkmcnt(1)
	v_mul_f64 v[58:59], v[2:3], v[12:13]
	v_mul_f64 v[12:13], v[4:5], v[12:13]
	v_add_f64 v[52:53], v[52:53], 0
	v_add_f64 v[54:55], v[56:57], 0
	s_waitcnt vmcnt(7) lgkmcnt(0)
	v_mul_f64 v[56:57], v[6:7], v[16:17]
	v_mul_f64 v[16:17], v[8:9], v[16:17]
	v_fma_f64 v[58:59], v[4:5], v[10:11], v[58:59]
	v_fma_f64 v[10:11], v[2:3], v[10:11], -v[12:13]
	ds_load_b128 v[2:5], v1 offset:1776
	v_add_f64 v[12:13], v[52:53], v[42:43]
	v_add_f64 v[42:43], v[54:55], v[44:45]
	v_fma_f64 v[52:53], v[8:9], v[14:15], v[56:57]
	v_fma_f64 v[14:15], v[6:7], v[14:15], -v[16:17]
	ds_load_b128 v[6:9], v1 offset:1792
	s_waitcnt vmcnt(6) lgkmcnt(1)
	v_mul_f64 v[44:45], v[2:3], v[20:21]
	v_mul_f64 v[20:21], v[4:5], v[20:21]
	s_waitcnt vmcnt(5) lgkmcnt(0)
	v_mul_f64 v[54:55], v[6:7], v[24:25]
	v_mul_f64 v[24:25], v[8:9], v[24:25]
	v_add_f64 v[16:17], v[12:13], v[10:11]
	v_add_f64 v[42:43], v[42:43], v[58:59]
	scratch_load_b128 v[10:13], off, off offset:752
	v_fma_f64 v[44:45], v[4:5], v[18:19], v[44:45]
	v_fma_f64 v[18:19], v[2:3], v[18:19], -v[20:21]
	ds_load_b128 v[2:5], v1 offset:1808
	v_add_f64 v[14:15], v[16:17], v[14:15]
	v_add_f64 v[16:17], v[42:43], v[52:53]
	v_fma_f64 v[42:43], v[8:9], v[22:23], v[54:55]
	v_fma_f64 v[22:23], v[6:7], v[22:23], -v[24:25]
	ds_load_b128 v[6:9], v1 offset:1824
	s_waitcnt vmcnt(5) lgkmcnt(1)
	v_mul_f64 v[20:21], v[2:3], v[28:29]
	v_mul_f64 v[28:29], v[4:5], v[28:29]
	s_waitcnt vmcnt(4) lgkmcnt(0)
	v_mul_f64 v[24:25], v[8:9], v[32:33]
	v_add_f64 v[14:15], v[14:15], v[18:19]
	v_add_f64 v[16:17], v[16:17], v[44:45]
	v_mul_f64 v[18:19], v[6:7], v[32:33]
	v_fma_f64 v[20:21], v[4:5], v[26:27], v[20:21]
	v_fma_f64 v[26:27], v[2:3], v[26:27], -v[28:29]
	ds_load_b128 v[2:5], v1 offset:1840
	v_fma_f64 v[24:25], v[6:7], v[30:31], -v[24:25]
	v_add_f64 v[14:15], v[14:15], v[22:23]
	v_add_f64 v[16:17], v[16:17], v[42:43]
	v_fma_f64 v[18:19], v[8:9], v[30:31], v[18:19]
	ds_load_b128 v[6:9], v1 offset:1856
	s_waitcnt vmcnt(3) lgkmcnt(1)
	v_mul_f64 v[22:23], v[2:3], v[40:41]
	v_mul_f64 v[28:29], v[4:5], v[40:41]
	v_add_f64 v[14:15], v[14:15], v[26:27]
	v_add_f64 v[16:17], v[16:17], v[20:21]
	s_waitcnt vmcnt(2) lgkmcnt(0)
	v_mul_f64 v[20:21], v[6:7], v[50:51]
	v_mul_f64 v[26:27], v[8:9], v[50:51]
	v_fma_f64 v[22:23], v[4:5], v[38:39], v[22:23]
	v_fma_f64 v[28:29], v[2:3], v[38:39], -v[28:29]
	ds_load_b128 v[2:5], v1 offset:1872
	v_add_f64 v[14:15], v[14:15], v[24:25]
	v_add_f64 v[16:17], v[16:17], v[18:19]
	v_fma_f64 v[8:9], v[8:9], v[48:49], v[20:21]
	v_fma_f64 v[6:7], v[6:7], v[48:49], -v[26:27]
	s_waitcnt vmcnt(1) lgkmcnt(0)
	v_mul_f64 v[18:19], v[2:3], v[36:37]
	v_mul_f64 v[24:25], v[4:5], v[36:37]
	v_add_f64 v[14:15], v[14:15], v[28:29]
	v_add_f64 v[16:17], v[16:17], v[22:23]
	s_delay_alu instid0(VALU_DEP_4) | instskip(NEXT) | instid1(VALU_DEP_4)
	v_fma_f64 v[4:5], v[4:5], v[34:35], v[18:19]
	v_fma_f64 v[2:3], v[2:3], v[34:35], -v[24:25]
	s_delay_alu instid0(VALU_DEP_4) | instskip(NEXT) | instid1(VALU_DEP_4)
	v_add_f64 v[6:7], v[14:15], v[6:7]
	v_add_f64 v[8:9], v[16:17], v[8:9]
	s_delay_alu instid0(VALU_DEP_2) | instskip(NEXT) | instid1(VALU_DEP_2)
	v_add_f64 v[2:3], v[6:7], v[2:3]
	v_add_f64 v[4:5], v[8:9], v[4:5]
	s_waitcnt vmcnt(0)
	s_delay_alu instid0(VALU_DEP_2) | instskip(NEXT) | instid1(VALU_DEP_2)
	v_add_f64 v[2:3], v[10:11], -v[2:3]
	v_add_f64 v[4:5], v[12:13], -v[4:5]
	scratch_store_b128 off, v[2:5], off offset:752
	v_cmpx_lt_u32_e32 46, v164
	s_cbranch_execz .LBB122_275
; %bb.274:
	scratch_load_b128 v[5:8], v183, off
	v_mov_b32_e32 v2, v1
	v_mov_b32_e32 v3, v1
	;; [unrolled: 1-line block ×3, first 2 shown]
	scratch_store_b128 off, v[1:4], off offset:736
	s_waitcnt vmcnt(0)
	ds_store_b128 v223, v[5:8]
.LBB122_275:
	s_or_b32 exec_lo, exec_lo, s2
	s_waitcnt lgkmcnt(0)
	s_waitcnt_vscnt null, 0x0
	s_barrier
	buffer_gl0_inv
	s_clause 0x7
	scratch_load_b128 v[2:5], off, off offset:752
	scratch_load_b128 v[6:9], off, off offset:768
	;; [unrolled: 1-line block ×8, first 2 shown]
	ds_load_b128 v[34:37], v1 offset:1696
	ds_load_b128 v[42:45], v1 offset:1712
	s_clause 0x1
	scratch_load_b128 v[38:41], off, off offset:880
	scratch_load_b128 v[48:51], off, off offset:896
	s_mov_b32 s2, exec_lo
	s_waitcnt vmcnt(9) lgkmcnt(1)
	v_mul_f64 v[52:53], v[36:37], v[4:5]
	v_mul_f64 v[4:5], v[34:35], v[4:5]
	s_waitcnt vmcnt(8) lgkmcnt(0)
	v_mul_f64 v[54:55], v[42:43], v[8:9]
	v_mul_f64 v[8:9], v[44:45], v[8:9]
	s_delay_alu instid0(VALU_DEP_4) | instskip(NEXT) | instid1(VALU_DEP_4)
	v_fma_f64 v[52:53], v[34:35], v[2:3], -v[52:53]
	v_fma_f64 v[56:57], v[36:37], v[2:3], v[4:5]
	scratch_load_b128 v[34:37], off, off offset:912
	ds_load_b128 v[2:5], v1 offset:1728
	v_fma_f64 v[54:55], v[44:45], v[6:7], v[54:55]
	v_fma_f64 v[60:61], v[42:43], v[6:7], -v[8:9]
	ds_load_b128 v[6:9], v1 offset:1744
	scratch_load_b128 v[42:45], off, off offset:928
	s_waitcnt vmcnt(9) lgkmcnt(1)
	v_mul_f64 v[58:59], v[2:3], v[12:13]
	v_mul_f64 v[12:13], v[4:5], v[12:13]
	s_waitcnt vmcnt(8) lgkmcnt(0)
	v_mul_f64 v[62:63], v[6:7], v[16:17]
	v_mul_f64 v[16:17], v[8:9], v[16:17]
	v_add_f64 v[52:53], v[52:53], 0
	v_add_f64 v[56:57], v[56:57], 0
	v_fma_f64 v[58:59], v[4:5], v[10:11], v[58:59]
	v_fma_f64 v[10:11], v[2:3], v[10:11], -v[12:13]
	ds_load_b128 v[2:5], v1 offset:1760
	v_add_f64 v[12:13], v[52:53], v[60:61]
	v_add_f64 v[52:53], v[56:57], v[54:55]
	v_fma_f64 v[56:57], v[8:9], v[14:15], v[62:63]
	v_fma_f64 v[14:15], v[6:7], v[14:15], -v[16:17]
	ds_load_b128 v[6:9], v1 offset:1776
	s_waitcnt vmcnt(7) lgkmcnt(1)
	v_mul_f64 v[54:55], v[2:3], v[20:21]
	v_mul_f64 v[20:21], v[4:5], v[20:21]
	s_waitcnt vmcnt(6) lgkmcnt(0)
	v_mul_f64 v[16:17], v[6:7], v[24:25]
	v_mul_f64 v[24:25], v[8:9], v[24:25]
	v_add_f64 v[10:11], v[12:13], v[10:11]
	v_add_f64 v[12:13], v[52:53], v[58:59]
	v_fma_f64 v[52:53], v[4:5], v[18:19], v[54:55]
	v_fma_f64 v[18:19], v[2:3], v[18:19], -v[20:21]
	ds_load_b128 v[2:5], v1 offset:1792
	v_fma_f64 v[16:17], v[8:9], v[22:23], v[16:17]
	v_fma_f64 v[22:23], v[6:7], v[22:23], -v[24:25]
	ds_load_b128 v[6:9], v1 offset:1808
	s_waitcnt vmcnt(5) lgkmcnt(1)
	v_mul_f64 v[54:55], v[2:3], v[28:29]
	v_mul_f64 v[28:29], v[4:5], v[28:29]
	v_add_f64 v[14:15], v[10:11], v[14:15]
	v_add_f64 v[20:21], v[12:13], v[56:57]
	scratch_load_b128 v[10:13], off, off offset:736
	s_waitcnt vmcnt(5) lgkmcnt(0)
	v_mul_f64 v[24:25], v[8:9], v[32:33]
	v_add_f64 v[14:15], v[14:15], v[18:19]
	v_add_f64 v[18:19], v[20:21], v[52:53]
	v_mul_f64 v[20:21], v[6:7], v[32:33]
	v_fma_f64 v[32:33], v[4:5], v[26:27], v[54:55]
	v_fma_f64 v[26:27], v[2:3], v[26:27], -v[28:29]
	ds_load_b128 v[2:5], v1 offset:1824
	v_fma_f64 v[24:25], v[6:7], v[30:31], -v[24:25]
	v_add_f64 v[14:15], v[14:15], v[22:23]
	v_add_f64 v[16:17], v[18:19], v[16:17]
	v_fma_f64 v[20:21], v[8:9], v[30:31], v[20:21]
	ds_load_b128 v[6:9], v1 offset:1840
	s_waitcnt vmcnt(4) lgkmcnt(1)
	v_mul_f64 v[18:19], v[2:3], v[40:41]
	v_mul_f64 v[22:23], v[4:5], v[40:41]
	s_waitcnt vmcnt(3) lgkmcnt(0)
	v_mul_f64 v[28:29], v[8:9], v[50:51]
	v_add_f64 v[14:15], v[14:15], v[26:27]
	v_add_f64 v[16:17], v[16:17], v[32:33]
	v_mul_f64 v[26:27], v[6:7], v[50:51]
	v_fma_f64 v[18:19], v[4:5], v[38:39], v[18:19]
	v_fma_f64 v[22:23], v[2:3], v[38:39], -v[22:23]
	ds_load_b128 v[2:5], v1 offset:1856
	v_fma_f64 v[28:29], v[6:7], v[48:49], -v[28:29]
	v_add_f64 v[14:15], v[14:15], v[24:25]
	v_add_f64 v[16:17], v[16:17], v[20:21]
	v_fma_f64 v[26:27], v[8:9], v[48:49], v[26:27]
	ds_load_b128 v[6:9], v1 offset:1872
	s_waitcnt vmcnt(2) lgkmcnt(1)
	v_mul_f64 v[20:21], v[2:3], v[36:37]
	v_mul_f64 v[24:25], v[4:5], v[36:37]
	v_add_f64 v[14:15], v[14:15], v[22:23]
	v_add_f64 v[16:17], v[16:17], v[18:19]
	s_waitcnt vmcnt(1) lgkmcnt(0)
	v_mul_f64 v[18:19], v[6:7], v[44:45]
	v_mul_f64 v[22:23], v[8:9], v[44:45]
	v_fma_f64 v[4:5], v[4:5], v[34:35], v[20:21]
	v_fma_f64 v[1:2], v[2:3], v[34:35], -v[24:25]
	v_add_f64 v[14:15], v[14:15], v[28:29]
	v_add_f64 v[16:17], v[16:17], v[26:27]
	v_fma_f64 v[8:9], v[8:9], v[42:43], v[18:19]
	v_fma_f64 v[6:7], v[6:7], v[42:43], -v[22:23]
	s_delay_alu instid0(VALU_DEP_4) | instskip(NEXT) | instid1(VALU_DEP_4)
	v_add_f64 v[1:2], v[14:15], v[1:2]
	v_add_f64 v[3:4], v[16:17], v[4:5]
	s_delay_alu instid0(VALU_DEP_2) | instskip(NEXT) | instid1(VALU_DEP_2)
	v_add_f64 v[1:2], v[1:2], v[6:7]
	v_add_f64 v[3:4], v[3:4], v[8:9]
	s_waitcnt vmcnt(0)
	s_delay_alu instid0(VALU_DEP_2) | instskip(NEXT) | instid1(VALU_DEP_2)
	v_add_f64 v[1:2], v[10:11], -v[1:2]
	v_add_f64 v[3:4], v[12:13], -v[3:4]
	scratch_store_b128 off, v[1:4], off offset:736
	v_cmpx_lt_u32_e32 45, v164
	s_cbranch_execz .LBB122_277
; %bb.276:
	scratch_load_b128 v[1:4], v189, off
	v_mov_b32_e32 v5, 0
	s_delay_alu instid0(VALU_DEP_1)
	v_mov_b32_e32 v6, v5
	v_mov_b32_e32 v7, v5
	;; [unrolled: 1-line block ×3, first 2 shown]
	scratch_store_b128 off, v[5:8], off offset:720
	s_waitcnt vmcnt(0)
	ds_store_b128 v223, v[1:4]
.LBB122_277:
	s_or_b32 exec_lo, exec_lo, s2
	s_waitcnt lgkmcnt(0)
	s_waitcnt_vscnt null, 0x0
	s_barrier
	buffer_gl0_inv
	s_clause 0x7
	scratch_load_b128 v[2:5], off, off offset:736
	scratch_load_b128 v[6:9], off, off offset:752
	;; [unrolled: 1-line block ×8, first 2 shown]
	v_mov_b32_e32 v1, 0
	s_mov_b32 s2, exec_lo
	ds_load_b128 v[34:37], v1 offset:1680
	s_clause 0x1
	scratch_load_b128 v[38:41], off, off offset:864
	scratch_load_b128 v[42:45], off, off offset:720
	ds_load_b128 v[48:51], v1 offset:1696
	scratch_load_b128 v[52:55], off, off offset:880
	s_waitcnt vmcnt(10) lgkmcnt(1)
	v_mul_f64 v[56:57], v[36:37], v[4:5]
	v_mul_f64 v[4:5], v[34:35], v[4:5]
	s_delay_alu instid0(VALU_DEP_2) | instskip(NEXT) | instid1(VALU_DEP_2)
	v_fma_f64 v[62:63], v[34:35], v[2:3], -v[56:57]
	v_fma_f64 v[82:83], v[36:37], v[2:3], v[4:5]
	scratch_load_b128 v[34:37], off, off offset:896
	ds_load_b128 v[2:5], v1 offset:1712
	s_waitcnt vmcnt(10) lgkmcnt(1)
	v_mul_f64 v[60:61], v[48:49], v[8:9]
	v_mul_f64 v[8:9], v[50:51], v[8:9]
	ds_load_b128 v[56:59], v1 offset:1728
	s_waitcnt vmcnt(9) lgkmcnt(1)
	v_mul_f64 v[165:166], v[2:3], v[12:13]
	v_mul_f64 v[12:13], v[4:5], v[12:13]
	v_fma_f64 v[50:51], v[50:51], v[6:7], v[60:61]
	v_fma_f64 v[48:49], v[48:49], v[6:7], -v[8:9]
	v_add_f64 v[60:61], v[62:63], 0
	v_add_f64 v[62:63], v[82:83], 0
	scratch_load_b128 v[6:9], off, off offset:912
	v_fma_f64 v[165:166], v[4:5], v[10:11], v[165:166]
	v_fma_f64 v[167:168], v[2:3], v[10:11], -v[12:13]
	scratch_load_b128 v[10:13], off, off offset:928
	ds_load_b128 v[2:5], v1 offset:1744
	s_waitcnt vmcnt(10) lgkmcnt(1)
	v_mul_f64 v[82:83], v[56:57], v[16:17]
	v_mul_f64 v[16:17], v[58:59], v[16:17]
	v_add_f64 v[60:61], v[60:61], v[48:49]
	v_add_f64 v[62:63], v[62:63], v[50:51]
	s_waitcnt vmcnt(9) lgkmcnt(0)
	v_mul_f64 v[169:170], v[2:3], v[20:21]
	v_mul_f64 v[20:21], v[4:5], v[20:21]
	ds_load_b128 v[48:51], v1 offset:1760
	v_fma_f64 v[58:59], v[58:59], v[14:15], v[82:83]
	v_fma_f64 v[14:15], v[56:57], v[14:15], -v[16:17]
	v_add_f64 v[16:17], v[60:61], v[167:168]
	v_add_f64 v[56:57], v[62:63], v[165:166]
	s_waitcnt vmcnt(8) lgkmcnt(0)
	v_mul_f64 v[60:61], v[48:49], v[24:25]
	v_mul_f64 v[24:25], v[50:51], v[24:25]
	v_fma_f64 v[62:63], v[4:5], v[18:19], v[169:170]
	v_fma_f64 v[18:19], v[2:3], v[18:19], -v[20:21]
	v_add_f64 v[20:21], v[16:17], v[14:15]
	v_add_f64 v[56:57], v[56:57], v[58:59]
	ds_load_b128 v[2:5], v1 offset:1776
	ds_load_b128 v[14:17], v1 offset:1792
	v_fma_f64 v[50:51], v[50:51], v[22:23], v[60:61]
	v_fma_f64 v[22:23], v[48:49], v[22:23], -v[24:25]
	s_waitcnt vmcnt(7) lgkmcnt(1)
	v_mul_f64 v[58:59], v[2:3], v[28:29]
	v_mul_f64 v[28:29], v[4:5], v[28:29]
	s_waitcnt vmcnt(6) lgkmcnt(0)
	v_mul_f64 v[24:25], v[14:15], v[32:33]
	v_mul_f64 v[32:33], v[16:17], v[32:33]
	v_add_f64 v[18:19], v[20:21], v[18:19]
	v_add_f64 v[20:21], v[56:57], v[62:63]
	v_fma_f64 v[48:49], v[4:5], v[26:27], v[58:59]
	v_fma_f64 v[26:27], v[2:3], v[26:27], -v[28:29]
	v_fma_f64 v[16:17], v[16:17], v[30:31], v[24:25]
	v_fma_f64 v[14:15], v[14:15], v[30:31], -v[32:33]
	v_add_f64 v[22:23], v[18:19], v[22:23]
	v_add_f64 v[28:29], v[20:21], v[50:51]
	ds_load_b128 v[2:5], v1 offset:1808
	ds_load_b128 v[18:21], v1 offset:1824
	s_waitcnt vmcnt(5) lgkmcnt(1)
	v_mul_f64 v[50:51], v[2:3], v[40:41]
	v_mul_f64 v[40:41], v[4:5], v[40:41]
	v_add_f64 v[22:23], v[22:23], v[26:27]
	v_add_f64 v[24:25], v[28:29], v[48:49]
	s_waitcnt vmcnt(3) lgkmcnt(0)
	v_mul_f64 v[26:27], v[18:19], v[54:55]
	v_mul_f64 v[28:29], v[20:21], v[54:55]
	v_fma_f64 v[30:31], v[4:5], v[38:39], v[50:51]
	v_fma_f64 v[32:33], v[2:3], v[38:39], -v[40:41]
	v_add_f64 v[22:23], v[22:23], v[14:15]
	v_add_f64 v[24:25], v[24:25], v[16:17]
	ds_load_b128 v[2:5], v1 offset:1840
	ds_load_b128 v[14:17], v1 offset:1856
	v_fma_f64 v[20:21], v[20:21], v[52:53], v[26:27]
	v_fma_f64 v[18:19], v[18:19], v[52:53], -v[28:29]
	s_waitcnt vmcnt(2) lgkmcnt(1)
	v_mul_f64 v[38:39], v[2:3], v[36:37]
	v_mul_f64 v[36:37], v[4:5], v[36:37]
	v_add_f64 v[22:23], v[22:23], v[32:33]
	v_add_f64 v[24:25], v[24:25], v[30:31]
	s_waitcnt vmcnt(1) lgkmcnt(0)
	v_mul_f64 v[26:27], v[14:15], v[8:9]
	v_mul_f64 v[8:9], v[16:17], v[8:9]
	v_fma_f64 v[28:29], v[4:5], v[34:35], v[38:39]
	v_fma_f64 v[30:31], v[2:3], v[34:35], -v[36:37]
	ds_load_b128 v[2:5], v1 offset:1872
	v_add_f64 v[18:19], v[22:23], v[18:19]
	v_add_f64 v[20:21], v[24:25], v[20:21]
	s_waitcnt vmcnt(0) lgkmcnt(0)
	v_mul_f64 v[22:23], v[2:3], v[12:13]
	v_mul_f64 v[12:13], v[4:5], v[12:13]
	v_fma_f64 v[16:17], v[16:17], v[6:7], v[26:27]
	v_fma_f64 v[6:7], v[14:15], v[6:7], -v[8:9]
	v_add_f64 v[8:9], v[18:19], v[30:31]
	v_add_f64 v[14:15], v[20:21], v[28:29]
	v_fma_f64 v[4:5], v[4:5], v[10:11], v[22:23]
	v_fma_f64 v[2:3], v[2:3], v[10:11], -v[12:13]
	s_delay_alu instid0(VALU_DEP_4) | instskip(NEXT) | instid1(VALU_DEP_4)
	v_add_f64 v[6:7], v[8:9], v[6:7]
	v_add_f64 v[8:9], v[14:15], v[16:17]
	s_delay_alu instid0(VALU_DEP_2) | instskip(NEXT) | instid1(VALU_DEP_2)
	v_add_f64 v[2:3], v[6:7], v[2:3]
	v_add_f64 v[4:5], v[8:9], v[4:5]
	s_delay_alu instid0(VALU_DEP_2) | instskip(NEXT) | instid1(VALU_DEP_2)
	v_add_f64 v[2:3], v[42:43], -v[2:3]
	v_add_f64 v[4:5], v[44:45], -v[4:5]
	scratch_store_b128 off, v[2:5], off offset:720
	v_cmpx_lt_u32_e32 44, v164
	s_cbranch_execz .LBB122_279
; %bb.278:
	scratch_load_b128 v[5:8], v191, off
	v_mov_b32_e32 v2, v1
	v_mov_b32_e32 v3, v1
	;; [unrolled: 1-line block ×3, first 2 shown]
	scratch_store_b128 off, v[1:4], off offset:704
	s_waitcnt vmcnt(0)
	ds_store_b128 v223, v[5:8]
.LBB122_279:
	s_or_b32 exec_lo, exec_lo, s2
	s_waitcnt lgkmcnt(0)
	s_waitcnt_vscnt null, 0x0
	s_barrier
	buffer_gl0_inv
	s_clause 0x8
	scratch_load_b128 v[2:5], off, off offset:720
	scratch_load_b128 v[6:9], off, off offset:736
	;; [unrolled: 1-line block ×9, first 2 shown]
	ds_load_b128 v[38:41], v1 offset:1664
	ds_load_b128 v[42:45], v1 offset:1680
	s_clause 0x1
	scratch_load_b128 v[48:51], off, off offset:704
	scratch_load_b128 v[52:55], off, off offset:864
	s_mov_b32 s2, exec_lo
	s_waitcnt vmcnt(10) lgkmcnt(1)
	v_mul_f64 v[56:57], v[40:41], v[4:5]
	v_mul_f64 v[4:5], v[38:39], v[4:5]
	s_waitcnt vmcnt(9) lgkmcnt(0)
	v_mul_f64 v[60:61], v[42:43], v[8:9]
	v_mul_f64 v[8:9], v[44:45], v[8:9]
	s_delay_alu instid0(VALU_DEP_4) | instskip(NEXT) | instid1(VALU_DEP_4)
	v_fma_f64 v[62:63], v[38:39], v[2:3], -v[56:57]
	v_fma_f64 v[82:83], v[40:41], v[2:3], v[4:5]
	ds_load_b128 v[2:5], v1 offset:1696
	ds_load_b128 v[56:59], v1 offset:1712
	scratch_load_b128 v[38:41], off, off offset:880
	v_fma_f64 v[44:45], v[44:45], v[6:7], v[60:61]
	v_fma_f64 v[42:43], v[42:43], v[6:7], -v[8:9]
	scratch_load_b128 v[6:9], off, off offset:896
	s_waitcnt vmcnt(10) lgkmcnt(1)
	v_mul_f64 v[165:166], v[2:3], v[12:13]
	v_mul_f64 v[12:13], v[4:5], v[12:13]
	v_add_f64 v[60:61], v[62:63], 0
	v_add_f64 v[62:63], v[82:83], 0
	s_waitcnt vmcnt(9) lgkmcnt(0)
	v_mul_f64 v[82:83], v[56:57], v[16:17]
	v_mul_f64 v[16:17], v[58:59], v[16:17]
	v_fma_f64 v[165:166], v[4:5], v[10:11], v[165:166]
	v_fma_f64 v[167:168], v[2:3], v[10:11], -v[12:13]
	ds_load_b128 v[2:5], v1 offset:1728
	scratch_load_b128 v[10:13], off, off offset:912
	v_add_f64 v[60:61], v[60:61], v[42:43]
	v_add_f64 v[62:63], v[62:63], v[44:45]
	ds_load_b128 v[42:45], v1 offset:1744
	v_fma_f64 v[58:59], v[58:59], v[14:15], v[82:83]
	v_fma_f64 v[56:57], v[56:57], v[14:15], -v[16:17]
	scratch_load_b128 v[14:17], off, off offset:928
	s_waitcnt vmcnt(10) lgkmcnt(1)
	v_mul_f64 v[169:170], v[2:3], v[20:21]
	v_mul_f64 v[20:21], v[4:5], v[20:21]
	s_waitcnt vmcnt(9) lgkmcnt(0)
	v_mul_f64 v[82:83], v[42:43], v[24:25]
	v_mul_f64 v[24:25], v[44:45], v[24:25]
	v_add_f64 v[60:61], v[60:61], v[167:168]
	v_add_f64 v[62:63], v[62:63], v[165:166]
	v_fma_f64 v[165:166], v[4:5], v[18:19], v[169:170]
	v_fma_f64 v[167:168], v[2:3], v[18:19], -v[20:21]
	ds_load_b128 v[2:5], v1 offset:1760
	ds_load_b128 v[18:21], v1 offset:1776
	v_fma_f64 v[44:45], v[44:45], v[22:23], v[82:83]
	v_fma_f64 v[22:23], v[42:43], v[22:23], -v[24:25]
	v_add_f64 v[56:57], v[60:61], v[56:57]
	v_add_f64 v[58:59], v[62:63], v[58:59]
	s_waitcnt vmcnt(8) lgkmcnt(1)
	v_mul_f64 v[60:61], v[2:3], v[28:29]
	v_mul_f64 v[28:29], v[4:5], v[28:29]
	s_delay_alu instid0(VALU_DEP_4) | instskip(NEXT) | instid1(VALU_DEP_4)
	v_add_f64 v[24:25], v[56:57], v[167:168]
	v_add_f64 v[42:43], v[58:59], v[165:166]
	s_waitcnt vmcnt(7) lgkmcnt(0)
	v_mul_f64 v[56:57], v[18:19], v[32:33]
	v_mul_f64 v[32:33], v[20:21], v[32:33]
	v_fma_f64 v[58:59], v[4:5], v[26:27], v[60:61]
	v_fma_f64 v[26:27], v[2:3], v[26:27], -v[28:29]
	v_add_f64 v[28:29], v[24:25], v[22:23]
	v_add_f64 v[42:43], v[42:43], v[44:45]
	ds_load_b128 v[2:5], v1 offset:1792
	ds_load_b128 v[22:25], v1 offset:1808
	v_fma_f64 v[20:21], v[20:21], v[30:31], v[56:57]
	v_fma_f64 v[18:19], v[18:19], v[30:31], -v[32:33]
	s_waitcnt vmcnt(6) lgkmcnt(1)
	v_mul_f64 v[44:45], v[2:3], v[36:37]
	v_mul_f64 v[36:37], v[4:5], v[36:37]
	s_waitcnt vmcnt(4) lgkmcnt(0)
	v_mul_f64 v[30:31], v[22:23], v[54:55]
	v_mul_f64 v[32:33], v[24:25], v[54:55]
	v_add_f64 v[26:27], v[28:29], v[26:27]
	v_add_f64 v[28:29], v[42:43], v[58:59]
	v_fma_f64 v[42:43], v[4:5], v[34:35], v[44:45]
	v_fma_f64 v[34:35], v[2:3], v[34:35], -v[36:37]
	v_fma_f64 v[24:25], v[24:25], v[52:53], v[30:31]
	v_fma_f64 v[22:23], v[22:23], v[52:53], -v[32:33]
	v_add_f64 v[26:27], v[26:27], v[18:19]
	v_add_f64 v[28:29], v[28:29], v[20:21]
	ds_load_b128 v[2:5], v1 offset:1824
	ds_load_b128 v[18:21], v1 offset:1840
	s_waitcnt vmcnt(3) lgkmcnt(1)
	v_mul_f64 v[36:37], v[2:3], v[40:41]
	v_mul_f64 v[40:41], v[4:5], v[40:41]
	s_waitcnt vmcnt(2) lgkmcnt(0)
	v_mul_f64 v[30:31], v[18:19], v[8:9]
	v_mul_f64 v[8:9], v[20:21], v[8:9]
	v_add_f64 v[26:27], v[26:27], v[34:35]
	v_add_f64 v[28:29], v[28:29], v[42:43]
	v_fma_f64 v[32:33], v[4:5], v[38:39], v[36:37]
	v_fma_f64 v[34:35], v[2:3], v[38:39], -v[40:41]
	v_fma_f64 v[20:21], v[20:21], v[6:7], v[30:31]
	v_fma_f64 v[6:7], v[18:19], v[6:7], -v[8:9]
	v_add_f64 v[26:27], v[26:27], v[22:23]
	v_add_f64 v[28:29], v[28:29], v[24:25]
	ds_load_b128 v[2:5], v1 offset:1856
	ds_load_b128 v[22:25], v1 offset:1872
	s_waitcnt vmcnt(1) lgkmcnt(1)
	v_mul_f64 v[36:37], v[2:3], v[12:13]
	v_mul_f64 v[12:13], v[4:5], v[12:13]
	v_add_f64 v[8:9], v[26:27], v[34:35]
	v_add_f64 v[18:19], v[28:29], v[32:33]
	s_waitcnt vmcnt(0) lgkmcnt(0)
	v_mul_f64 v[26:27], v[22:23], v[16:17]
	v_mul_f64 v[16:17], v[24:25], v[16:17]
	v_fma_f64 v[4:5], v[4:5], v[10:11], v[36:37]
	v_fma_f64 v[1:2], v[2:3], v[10:11], -v[12:13]
	v_add_f64 v[6:7], v[8:9], v[6:7]
	v_add_f64 v[8:9], v[18:19], v[20:21]
	v_fma_f64 v[10:11], v[24:25], v[14:15], v[26:27]
	v_fma_f64 v[12:13], v[22:23], v[14:15], -v[16:17]
	s_delay_alu instid0(VALU_DEP_4) | instskip(NEXT) | instid1(VALU_DEP_4)
	v_add_f64 v[1:2], v[6:7], v[1:2]
	v_add_f64 v[3:4], v[8:9], v[4:5]
	s_delay_alu instid0(VALU_DEP_2) | instskip(NEXT) | instid1(VALU_DEP_2)
	v_add_f64 v[1:2], v[1:2], v[12:13]
	v_add_f64 v[3:4], v[3:4], v[10:11]
	s_delay_alu instid0(VALU_DEP_2) | instskip(NEXT) | instid1(VALU_DEP_2)
	v_add_f64 v[1:2], v[48:49], -v[1:2]
	v_add_f64 v[3:4], v[50:51], -v[3:4]
	scratch_store_b128 off, v[1:4], off offset:704
	v_cmpx_lt_u32_e32 43, v164
	s_cbranch_execz .LBB122_281
; %bb.280:
	scratch_load_b128 v[1:4], v193, off
	v_mov_b32_e32 v5, 0
	s_delay_alu instid0(VALU_DEP_1)
	v_mov_b32_e32 v6, v5
	v_mov_b32_e32 v7, v5
	;; [unrolled: 1-line block ×3, first 2 shown]
	scratch_store_b128 off, v[5:8], off offset:688
	s_waitcnt vmcnt(0)
	ds_store_b128 v223, v[1:4]
.LBB122_281:
	s_or_b32 exec_lo, exec_lo, s2
	s_waitcnt lgkmcnt(0)
	s_waitcnt_vscnt null, 0x0
	s_barrier
	buffer_gl0_inv
	s_clause 0x7
	scratch_load_b128 v[2:5], off, off offset:704
	scratch_load_b128 v[6:9], off, off offset:720
	scratch_load_b128 v[10:13], off, off offset:736
	scratch_load_b128 v[14:17], off, off offset:752
	scratch_load_b128 v[18:21], off, off offset:768
	scratch_load_b128 v[22:25], off, off offset:784
	scratch_load_b128 v[26:29], off, off offset:800
	scratch_load_b128 v[30:33], off, off offset:816
	v_mov_b32_e32 v1, 0
	s_mov_b32 s2, exec_lo
	ds_load_b128 v[34:37], v1 offset:1648
	s_clause 0x1
	scratch_load_b128 v[38:41], off, off offset:832
	scratch_load_b128 v[42:45], off, off offset:688
	ds_load_b128 v[48:51], v1 offset:1664
	scratch_load_b128 v[52:55], off, off offset:848
	s_waitcnt vmcnt(10) lgkmcnt(1)
	v_mul_f64 v[56:57], v[36:37], v[4:5]
	v_mul_f64 v[4:5], v[34:35], v[4:5]
	s_delay_alu instid0(VALU_DEP_2) | instskip(NEXT) | instid1(VALU_DEP_2)
	v_fma_f64 v[62:63], v[34:35], v[2:3], -v[56:57]
	v_fma_f64 v[82:83], v[36:37], v[2:3], v[4:5]
	scratch_load_b128 v[34:37], off, off offset:864
	ds_load_b128 v[2:5], v1 offset:1680
	s_waitcnt vmcnt(10) lgkmcnt(1)
	v_mul_f64 v[60:61], v[48:49], v[8:9]
	v_mul_f64 v[8:9], v[50:51], v[8:9]
	ds_load_b128 v[56:59], v1 offset:1696
	s_waitcnt vmcnt(9) lgkmcnt(1)
	v_mul_f64 v[165:166], v[2:3], v[12:13]
	v_mul_f64 v[12:13], v[4:5], v[12:13]
	v_fma_f64 v[50:51], v[50:51], v[6:7], v[60:61]
	v_fma_f64 v[48:49], v[48:49], v[6:7], -v[8:9]
	v_add_f64 v[60:61], v[62:63], 0
	v_add_f64 v[62:63], v[82:83], 0
	scratch_load_b128 v[6:9], off, off offset:880
	v_fma_f64 v[165:166], v[4:5], v[10:11], v[165:166]
	v_fma_f64 v[167:168], v[2:3], v[10:11], -v[12:13]
	scratch_load_b128 v[10:13], off, off offset:896
	ds_load_b128 v[2:5], v1 offset:1712
	s_waitcnt vmcnt(10) lgkmcnt(1)
	v_mul_f64 v[82:83], v[56:57], v[16:17]
	v_mul_f64 v[16:17], v[58:59], v[16:17]
	v_add_f64 v[60:61], v[60:61], v[48:49]
	v_add_f64 v[62:63], v[62:63], v[50:51]
	s_waitcnt vmcnt(9) lgkmcnt(0)
	v_mul_f64 v[169:170], v[2:3], v[20:21]
	v_mul_f64 v[20:21], v[4:5], v[20:21]
	ds_load_b128 v[48:51], v1 offset:1728
	v_fma_f64 v[58:59], v[58:59], v[14:15], v[82:83]
	v_fma_f64 v[56:57], v[56:57], v[14:15], -v[16:17]
	scratch_load_b128 v[14:17], off, off offset:912
	v_add_f64 v[60:61], v[60:61], v[167:168]
	v_add_f64 v[62:63], v[62:63], v[165:166]
	v_fma_f64 v[165:166], v[4:5], v[18:19], v[169:170]
	v_fma_f64 v[167:168], v[2:3], v[18:19], -v[20:21]
	scratch_load_b128 v[18:21], off, off offset:928
	ds_load_b128 v[2:5], v1 offset:1744
	s_waitcnt vmcnt(10) lgkmcnt(1)
	v_mul_f64 v[82:83], v[48:49], v[24:25]
	v_mul_f64 v[24:25], v[50:51], v[24:25]
	s_waitcnt vmcnt(9) lgkmcnt(0)
	v_mul_f64 v[169:170], v[2:3], v[28:29]
	v_mul_f64 v[28:29], v[4:5], v[28:29]
	v_add_f64 v[60:61], v[60:61], v[56:57]
	v_add_f64 v[62:63], v[62:63], v[58:59]
	ds_load_b128 v[56:59], v1 offset:1760
	v_fma_f64 v[50:51], v[50:51], v[22:23], v[82:83]
	v_fma_f64 v[22:23], v[48:49], v[22:23], -v[24:25]
	v_add_f64 v[24:25], v[60:61], v[167:168]
	v_add_f64 v[48:49], v[62:63], v[165:166]
	s_waitcnt vmcnt(8) lgkmcnt(0)
	v_mul_f64 v[60:61], v[56:57], v[32:33]
	v_mul_f64 v[32:33], v[58:59], v[32:33]
	v_fma_f64 v[62:63], v[4:5], v[26:27], v[169:170]
	v_fma_f64 v[26:27], v[2:3], v[26:27], -v[28:29]
	v_add_f64 v[28:29], v[24:25], v[22:23]
	v_add_f64 v[48:49], v[48:49], v[50:51]
	ds_load_b128 v[2:5], v1 offset:1776
	ds_load_b128 v[22:25], v1 offset:1792
	v_fma_f64 v[58:59], v[58:59], v[30:31], v[60:61]
	v_fma_f64 v[30:31], v[56:57], v[30:31], -v[32:33]
	s_waitcnt vmcnt(7) lgkmcnt(1)
	v_mul_f64 v[50:51], v[2:3], v[40:41]
	v_mul_f64 v[40:41], v[4:5], v[40:41]
	s_waitcnt vmcnt(5) lgkmcnt(0)
	v_mul_f64 v[32:33], v[22:23], v[54:55]
	v_add_f64 v[26:27], v[28:29], v[26:27]
	v_add_f64 v[28:29], v[48:49], v[62:63]
	v_mul_f64 v[48:49], v[24:25], v[54:55]
	v_fma_f64 v[50:51], v[4:5], v[38:39], v[50:51]
	v_fma_f64 v[38:39], v[2:3], v[38:39], -v[40:41]
	v_fma_f64 v[24:25], v[24:25], v[52:53], v[32:33]
	v_add_f64 v[30:31], v[26:27], v[30:31]
	v_add_f64 v[40:41], v[28:29], v[58:59]
	ds_load_b128 v[2:5], v1 offset:1808
	ds_load_b128 v[26:29], v1 offset:1824
	v_fma_f64 v[22:23], v[22:23], v[52:53], -v[48:49]
	s_waitcnt vmcnt(4) lgkmcnt(1)
	v_mul_f64 v[54:55], v[2:3], v[36:37]
	v_mul_f64 v[36:37], v[4:5], v[36:37]
	v_add_f64 v[30:31], v[30:31], v[38:39]
	v_add_f64 v[32:33], v[40:41], v[50:51]
	s_waitcnt vmcnt(3) lgkmcnt(0)
	v_mul_f64 v[38:39], v[26:27], v[8:9]
	v_mul_f64 v[8:9], v[28:29], v[8:9]
	v_fma_f64 v[40:41], v[4:5], v[34:35], v[54:55]
	v_fma_f64 v[34:35], v[2:3], v[34:35], -v[36:37]
	v_add_f64 v[30:31], v[30:31], v[22:23]
	v_add_f64 v[32:33], v[32:33], v[24:25]
	ds_load_b128 v[2:5], v1 offset:1840
	ds_load_b128 v[22:25], v1 offset:1856
	v_fma_f64 v[28:29], v[28:29], v[6:7], v[38:39]
	v_fma_f64 v[6:7], v[26:27], v[6:7], -v[8:9]
	s_waitcnt vmcnt(2) lgkmcnt(1)
	v_mul_f64 v[36:37], v[2:3], v[12:13]
	v_mul_f64 v[12:13], v[4:5], v[12:13]
	v_add_f64 v[8:9], v[30:31], v[34:35]
	v_add_f64 v[26:27], v[32:33], v[40:41]
	s_waitcnt vmcnt(1) lgkmcnt(0)
	v_mul_f64 v[30:31], v[22:23], v[16:17]
	v_mul_f64 v[16:17], v[24:25], v[16:17]
	v_fma_f64 v[32:33], v[4:5], v[10:11], v[36:37]
	v_fma_f64 v[10:11], v[2:3], v[10:11], -v[12:13]
	ds_load_b128 v[2:5], v1 offset:1872
	v_add_f64 v[6:7], v[8:9], v[6:7]
	v_add_f64 v[8:9], v[26:27], v[28:29]
	v_fma_f64 v[24:25], v[24:25], v[14:15], v[30:31]
	v_fma_f64 v[14:15], v[22:23], v[14:15], -v[16:17]
	s_waitcnt vmcnt(0) lgkmcnt(0)
	v_mul_f64 v[12:13], v[2:3], v[20:21]
	v_mul_f64 v[20:21], v[4:5], v[20:21]
	v_add_f64 v[6:7], v[6:7], v[10:11]
	v_add_f64 v[8:9], v[8:9], v[32:33]
	s_delay_alu instid0(VALU_DEP_4) | instskip(NEXT) | instid1(VALU_DEP_4)
	v_fma_f64 v[4:5], v[4:5], v[18:19], v[12:13]
	v_fma_f64 v[2:3], v[2:3], v[18:19], -v[20:21]
	s_delay_alu instid0(VALU_DEP_4) | instskip(NEXT) | instid1(VALU_DEP_4)
	v_add_f64 v[6:7], v[6:7], v[14:15]
	v_add_f64 v[8:9], v[8:9], v[24:25]
	s_delay_alu instid0(VALU_DEP_2) | instskip(NEXT) | instid1(VALU_DEP_2)
	v_add_f64 v[2:3], v[6:7], v[2:3]
	v_add_f64 v[4:5], v[8:9], v[4:5]
	s_delay_alu instid0(VALU_DEP_2) | instskip(NEXT) | instid1(VALU_DEP_2)
	v_add_f64 v[2:3], v[42:43], -v[2:3]
	v_add_f64 v[4:5], v[44:45], -v[4:5]
	scratch_store_b128 off, v[2:5], off offset:688
	v_cmpx_lt_u32_e32 42, v164
	s_cbranch_execz .LBB122_283
; %bb.282:
	scratch_load_b128 v[5:8], v179, off
	v_mov_b32_e32 v2, v1
	v_mov_b32_e32 v3, v1
	v_mov_b32_e32 v4, v1
	scratch_store_b128 off, v[1:4], off offset:672
	s_waitcnt vmcnt(0)
	ds_store_b128 v223, v[5:8]
.LBB122_283:
	s_or_b32 exec_lo, exec_lo, s2
	s_waitcnt lgkmcnt(0)
	s_waitcnt_vscnt null, 0x0
	s_barrier
	buffer_gl0_inv
	s_clause 0x8
	scratch_load_b128 v[2:5], off, off offset:688
	scratch_load_b128 v[6:9], off, off offset:704
	scratch_load_b128 v[10:13], off, off offset:720
	scratch_load_b128 v[14:17], off, off offset:736
	scratch_load_b128 v[18:21], off, off offset:752
	scratch_load_b128 v[22:25], off, off offset:768
	scratch_load_b128 v[26:29], off, off offset:784
	scratch_load_b128 v[30:33], off, off offset:800
	scratch_load_b128 v[34:37], off, off offset:816
	ds_load_b128 v[38:41], v1 offset:1632
	ds_load_b128 v[42:45], v1 offset:1648
	s_clause 0x1
	scratch_load_b128 v[48:51], off, off offset:672
	scratch_load_b128 v[52:55], off, off offset:832
	s_mov_b32 s2, exec_lo
	s_waitcnt vmcnt(10) lgkmcnt(1)
	v_mul_f64 v[56:57], v[40:41], v[4:5]
	v_mul_f64 v[4:5], v[38:39], v[4:5]
	s_waitcnt vmcnt(9) lgkmcnt(0)
	v_mul_f64 v[60:61], v[42:43], v[8:9]
	v_mul_f64 v[8:9], v[44:45], v[8:9]
	s_delay_alu instid0(VALU_DEP_4) | instskip(NEXT) | instid1(VALU_DEP_4)
	v_fma_f64 v[62:63], v[38:39], v[2:3], -v[56:57]
	v_fma_f64 v[82:83], v[40:41], v[2:3], v[4:5]
	ds_load_b128 v[2:5], v1 offset:1664
	ds_load_b128 v[56:59], v1 offset:1680
	scratch_load_b128 v[38:41], off, off offset:848
	v_fma_f64 v[44:45], v[44:45], v[6:7], v[60:61]
	v_fma_f64 v[42:43], v[42:43], v[6:7], -v[8:9]
	scratch_load_b128 v[6:9], off, off offset:864
	s_waitcnt vmcnt(10) lgkmcnt(1)
	v_mul_f64 v[165:166], v[2:3], v[12:13]
	v_mul_f64 v[12:13], v[4:5], v[12:13]
	v_add_f64 v[60:61], v[62:63], 0
	v_add_f64 v[62:63], v[82:83], 0
	s_waitcnt vmcnt(9) lgkmcnt(0)
	v_mul_f64 v[82:83], v[56:57], v[16:17]
	v_mul_f64 v[16:17], v[58:59], v[16:17]
	v_fma_f64 v[165:166], v[4:5], v[10:11], v[165:166]
	v_fma_f64 v[167:168], v[2:3], v[10:11], -v[12:13]
	ds_load_b128 v[2:5], v1 offset:1696
	scratch_load_b128 v[10:13], off, off offset:880
	v_add_f64 v[60:61], v[60:61], v[42:43]
	v_add_f64 v[62:63], v[62:63], v[44:45]
	ds_load_b128 v[42:45], v1 offset:1712
	v_fma_f64 v[58:59], v[58:59], v[14:15], v[82:83]
	v_fma_f64 v[56:57], v[56:57], v[14:15], -v[16:17]
	scratch_load_b128 v[14:17], off, off offset:896
	s_waitcnt vmcnt(10) lgkmcnt(1)
	v_mul_f64 v[169:170], v[2:3], v[20:21]
	v_mul_f64 v[20:21], v[4:5], v[20:21]
	s_waitcnt vmcnt(9) lgkmcnt(0)
	v_mul_f64 v[82:83], v[42:43], v[24:25]
	v_mul_f64 v[24:25], v[44:45], v[24:25]
	v_add_f64 v[60:61], v[60:61], v[167:168]
	v_add_f64 v[62:63], v[62:63], v[165:166]
	v_fma_f64 v[165:166], v[4:5], v[18:19], v[169:170]
	v_fma_f64 v[167:168], v[2:3], v[18:19], -v[20:21]
	ds_load_b128 v[2:5], v1 offset:1728
	scratch_load_b128 v[18:21], off, off offset:912
	v_fma_f64 v[44:45], v[44:45], v[22:23], v[82:83]
	v_fma_f64 v[42:43], v[42:43], v[22:23], -v[24:25]
	scratch_load_b128 v[22:25], off, off offset:928
	v_add_f64 v[60:61], v[60:61], v[56:57]
	v_add_f64 v[62:63], v[62:63], v[58:59]
	ds_load_b128 v[56:59], v1 offset:1744
	s_waitcnt vmcnt(10) lgkmcnt(1)
	v_mul_f64 v[169:170], v[2:3], v[28:29]
	v_mul_f64 v[28:29], v[4:5], v[28:29]
	s_waitcnt vmcnt(9) lgkmcnt(0)
	v_mul_f64 v[82:83], v[56:57], v[32:33]
	v_mul_f64 v[32:33], v[58:59], v[32:33]
	v_add_f64 v[60:61], v[60:61], v[167:168]
	v_add_f64 v[62:63], v[62:63], v[165:166]
	v_fma_f64 v[165:166], v[4:5], v[26:27], v[169:170]
	v_fma_f64 v[167:168], v[2:3], v[26:27], -v[28:29]
	ds_load_b128 v[2:5], v1 offset:1760
	ds_load_b128 v[26:29], v1 offset:1776
	v_fma_f64 v[58:59], v[58:59], v[30:31], v[82:83]
	v_fma_f64 v[30:31], v[56:57], v[30:31], -v[32:33]
	v_add_f64 v[42:43], v[60:61], v[42:43]
	v_add_f64 v[44:45], v[62:63], v[44:45]
	s_waitcnt vmcnt(8) lgkmcnt(1)
	v_mul_f64 v[60:61], v[2:3], v[36:37]
	v_mul_f64 v[36:37], v[4:5], v[36:37]
	s_delay_alu instid0(VALU_DEP_4) | instskip(NEXT) | instid1(VALU_DEP_4)
	v_add_f64 v[32:33], v[42:43], v[167:168]
	v_add_f64 v[42:43], v[44:45], v[165:166]
	s_waitcnt vmcnt(6) lgkmcnt(0)
	v_mul_f64 v[44:45], v[26:27], v[54:55]
	v_mul_f64 v[54:55], v[28:29], v[54:55]
	v_fma_f64 v[56:57], v[4:5], v[34:35], v[60:61]
	v_fma_f64 v[34:35], v[2:3], v[34:35], -v[36:37]
	v_add_f64 v[36:37], v[32:33], v[30:31]
	v_add_f64 v[42:43], v[42:43], v[58:59]
	ds_load_b128 v[2:5], v1 offset:1792
	ds_load_b128 v[30:33], v1 offset:1808
	v_fma_f64 v[28:29], v[28:29], v[52:53], v[44:45]
	v_fma_f64 v[26:27], v[26:27], v[52:53], -v[54:55]
	s_waitcnt vmcnt(5) lgkmcnt(1)
	v_mul_f64 v[58:59], v[2:3], v[40:41]
	v_mul_f64 v[40:41], v[4:5], v[40:41]
	v_add_f64 v[34:35], v[36:37], v[34:35]
	v_add_f64 v[36:37], v[42:43], v[56:57]
	s_waitcnt vmcnt(4) lgkmcnt(0)
	v_mul_f64 v[42:43], v[30:31], v[8:9]
	v_mul_f64 v[8:9], v[32:33], v[8:9]
	v_fma_f64 v[44:45], v[4:5], v[38:39], v[58:59]
	v_fma_f64 v[38:39], v[2:3], v[38:39], -v[40:41]
	v_add_f64 v[34:35], v[34:35], v[26:27]
	v_add_f64 v[36:37], v[36:37], v[28:29]
	ds_load_b128 v[2:5], v1 offset:1824
	ds_load_b128 v[26:29], v1 offset:1840
	v_fma_f64 v[32:33], v[32:33], v[6:7], v[42:43]
	v_fma_f64 v[6:7], v[30:31], v[6:7], -v[8:9]
	s_waitcnt vmcnt(3) lgkmcnt(1)
	v_mul_f64 v[40:41], v[2:3], v[12:13]
	v_mul_f64 v[12:13], v[4:5], v[12:13]
	;; [unrolled: 16-line block ×3, first 2 shown]
	s_waitcnt vmcnt(0) lgkmcnt(0)
	v_mul_f64 v[16:17], v[6:7], v[24:25]
	v_mul_f64 v[24:25], v[8:9], v[24:25]
	v_add_f64 v[10:11], v[12:13], v[10:11]
	v_add_f64 v[12:13], v[30:31], v[36:37]
	v_fma_f64 v[4:5], v[4:5], v[18:19], v[32:33]
	v_fma_f64 v[1:2], v[2:3], v[18:19], -v[20:21]
	v_fma_f64 v[8:9], v[8:9], v[22:23], v[16:17]
	v_fma_f64 v[6:7], v[6:7], v[22:23], -v[24:25]
	v_add_f64 v[10:11], v[10:11], v[14:15]
	v_add_f64 v[12:13], v[12:13], v[28:29]
	s_delay_alu instid0(VALU_DEP_2) | instskip(NEXT) | instid1(VALU_DEP_2)
	v_add_f64 v[1:2], v[10:11], v[1:2]
	v_add_f64 v[3:4], v[12:13], v[4:5]
	s_delay_alu instid0(VALU_DEP_2) | instskip(NEXT) | instid1(VALU_DEP_2)
	;; [unrolled: 3-line block ×3, first 2 shown]
	v_add_f64 v[1:2], v[48:49], -v[1:2]
	v_add_f64 v[3:4], v[50:51], -v[3:4]
	scratch_store_b128 off, v[1:4], off offset:672
	v_cmpx_lt_u32_e32 41, v164
	s_cbranch_execz .LBB122_285
; %bb.284:
	scratch_load_b128 v[1:4], v234, off
	v_mov_b32_e32 v5, 0
	s_delay_alu instid0(VALU_DEP_1)
	v_mov_b32_e32 v6, v5
	v_mov_b32_e32 v7, v5
	;; [unrolled: 1-line block ×3, first 2 shown]
	scratch_store_b128 off, v[5:8], off offset:656
	s_waitcnt vmcnt(0)
	ds_store_b128 v223, v[1:4]
.LBB122_285:
	s_or_b32 exec_lo, exec_lo, s2
	s_waitcnt lgkmcnt(0)
	s_waitcnt_vscnt null, 0x0
	s_barrier
	buffer_gl0_inv
	s_clause 0x7
	scratch_load_b128 v[2:5], off, off offset:672
	scratch_load_b128 v[6:9], off, off offset:688
	;; [unrolled: 1-line block ×8, first 2 shown]
	v_mov_b32_e32 v1, 0
	s_mov_b32 s2, exec_lo
	ds_load_b128 v[34:37], v1 offset:1616
	s_clause 0x1
	scratch_load_b128 v[38:41], off, off offset:800
	scratch_load_b128 v[42:45], off, off offset:656
	ds_load_b128 v[48:51], v1 offset:1632
	scratch_load_b128 v[52:55], off, off offset:816
	s_waitcnt vmcnt(10) lgkmcnt(1)
	v_mul_f64 v[56:57], v[36:37], v[4:5]
	v_mul_f64 v[4:5], v[34:35], v[4:5]
	s_delay_alu instid0(VALU_DEP_2) | instskip(NEXT) | instid1(VALU_DEP_2)
	v_fma_f64 v[62:63], v[34:35], v[2:3], -v[56:57]
	v_fma_f64 v[82:83], v[36:37], v[2:3], v[4:5]
	scratch_load_b128 v[34:37], off, off offset:832
	ds_load_b128 v[2:5], v1 offset:1648
	s_waitcnt vmcnt(10) lgkmcnt(1)
	v_mul_f64 v[60:61], v[48:49], v[8:9]
	v_mul_f64 v[8:9], v[50:51], v[8:9]
	ds_load_b128 v[56:59], v1 offset:1664
	s_waitcnt vmcnt(9) lgkmcnt(1)
	v_mul_f64 v[165:166], v[2:3], v[12:13]
	v_mul_f64 v[12:13], v[4:5], v[12:13]
	v_fma_f64 v[50:51], v[50:51], v[6:7], v[60:61]
	v_fma_f64 v[48:49], v[48:49], v[6:7], -v[8:9]
	v_add_f64 v[60:61], v[62:63], 0
	v_add_f64 v[62:63], v[82:83], 0
	scratch_load_b128 v[6:9], off, off offset:848
	v_fma_f64 v[165:166], v[4:5], v[10:11], v[165:166]
	v_fma_f64 v[167:168], v[2:3], v[10:11], -v[12:13]
	scratch_load_b128 v[10:13], off, off offset:864
	ds_load_b128 v[2:5], v1 offset:1680
	s_waitcnt vmcnt(10) lgkmcnt(1)
	v_mul_f64 v[82:83], v[56:57], v[16:17]
	v_mul_f64 v[16:17], v[58:59], v[16:17]
	v_add_f64 v[60:61], v[60:61], v[48:49]
	v_add_f64 v[62:63], v[62:63], v[50:51]
	s_waitcnt vmcnt(9) lgkmcnt(0)
	v_mul_f64 v[169:170], v[2:3], v[20:21]
	v_mul_f64 v[20:21], v[4:5], v[20:21]
	ds_load_b128 v[48:51], v1 offset:1696
	v_fma_f64 v[58:59], v[58:59], v[14:15], v[82:83]
	v_fma_f64 v[56:57], v[56:57], v[14:15], -v[16:17]
	scratch_load_b128 v[14:17], off, off offset:880
	v_add_f64 v[60:61], v[60:61], v[167:168]
	v_add_f64 v[62:63], v[62:63], v[165:166]
	v_fma_f64 v[165:166], v[4:5], v[18:19], v[169:170]
	v_fma_f64 v[167:168], v[2:3], v[18:19], -v[20:21]
	scratch_load_b128 v[18:21], off, off offset:896
	ds_load_b128 v[2:5], v1 offset:1712
	s_waitcnt vmcnt(10) lgkmcnt(1)
	v_mul_f64 v[82:83], v[48:49], v[24:25]
	v_mul_f64 v[24:25], v[50:51], v[24:25]
	s_waitcnt vmcnt(9) lgkmcnt(0)
	v_mul_f64 v[169:170], v[2:3], v[28:29]
	v_mul_f64 v[28:29], v[4:5], v[28:29]
	v_add_f64 v[60:61], v[60:61], v[56:57]
	v_add_f64 v[62:63], v[62:63], v[58:59]
	ds_load_b128 v[56:59], v1 offset:1728
	v_fma_f64 v[50:51], v[50:51], v[22:23], v[82:83]
	v_fma_f64 v[48:49], v[48:49], v[22:23], -v[24:25]
	scratch_load_b128 v[22:25], off, off offset:912
	v_add_f64 v[60:61], v[60:61], v[167:168]
	v_add_f64 v[62:63], v[62:63], v[165:166]
	v_fma_f64 v[165:166], v[4:5], v[26:27], v[169:170]
	v_fma_f64 v[167:168], v[2:3], v[26:27], -v[28:29]
	scratch_load_b128 v[26:29], off, off offset:928
	ds_load_b128 v[2:5], v1 offset:1744
	s_waitcnt vmcnt(10) lgkmcnt(1)
	v_mul_f64 v[82:83], v[56:57], v[32:33]
	v_mul_f64 v[32:33], v[58:59], v[32:33]
	s_waitcnt vmcnt(9) lgkmcnt(0)
	v_mul_f64 v[169:170], v[2:3], v[40:41]
	v_mul_f64 v[40:41], v[4:5], v[40:41]
	v_add_f64 v[60:61], v[60:61], v[48:49]
	v_add_f64 v[62:63], v[62:63], v[50:51]
	ds_load_b128 v[48:51], v1 offset:1760
	v_fma_f64 v[58:59], v[58:59], v[30:31], v[82:83]
	v_fma_f64 v[30:31], v[56:57], v[30:31], -v[32:33]
	v_add_f64 v[32:33], v[60:61], v[167:168]
	v_add_f64 v[56:57], v[62:63], v[165:166]
	s_waitcnt vmcnt(7) lgkmcnt(0)
	v_mul_f64 v[60:61], v[48:49], v[54:55]
	v_mul_f64 v[54:55], v[50:51], v[54:55]
	v_fma_f64 v[62:63], v[4:5], v[38:39], v[169:170]
	v_fma_f64 v[38:39], v[2:3], v[38:39], -v[40:41]
	v_add_f64 v[40:41], v[32:33], v[30:31]
	v_add_f64 v[56:57], v[56:57], v[58:59]
	ds_load_b128 v[2:5], v1 offset:1776
	ds_load_b128 v[30:33], v1 offset:1792
	v_fma_f64 v[50:51], v[50:51], v[52:53], v[60:61]
	v_fma_f64 v[48:49], v[48:49], v[52:53], -v[54:55]
	s_waitcnt vmcnt(6) lgkmcnt(1)
	v_mul_f64 v[58:59], v[2:3], v[36:37]
	v_mul_f64 v[36:37], v[4:5], v[36:37]
	v_add_f64 v[38:39], v[40:41], v[38:39]
	v_add_f64 v[40:41], v[56:57], v[62:63]
	s_waitcnt vmcnt(5) lgkmcnt(0)
	v_mul_f64 v[52:53], v[30:31], v[8:9]
	v_mul_f64 v[8:9], v[32:33], v[8:9]
	v_fma_f64 v[54:55], v[4:5], v[34:35], v[58:59]
	v_fma_f64 v[56:57], v[2:3], v[34:35], -v[36:37]
	ds_load_b128 v[2:5], v1 offset:1808
	ds_load_b128 v[34:37], v1 offset:1824
	v_add_f64 v[38:39], v[38:39], v[48:49]
	v_add_f64 v[40:41], v[40:41], v[50:51]
	s_waitcnt vmcnt(4) lgkmcnt(1)
	v_mul_f64 v[48:49], v[2:3], v[12:13]
	v_mul_f64 v[12:13], v[4:5], v[12:13]
	v_fma_f64 v[32:33], v[32:33], v[6:7], v[52:53]
	v_fma_f64 v[6:7], v[30:31], v[6:7], -v[8:9]
	v_add_f64 v[8:9], v[38:39], v[56:57]
	v_add_f64 v[30:31], v[40:41], v[54:55]
	s_waitcnt vmcnt(3) lgkmcnt(0)
	v_mul_f64 v[38:39], v[34:35], v[16:17]
	v_mul_f64 v[16:17], v[36:37], v[16:17]
	v_fma_f64 v[40:41], v[4:5], v[10:11], v[48:49]
	v_fma_f64 v[10:11], v[2:3], v[10:11], -v[12:13]
	v_add_f64 v[12:13], v[8:9], v[6:7]
	v_add_f64 v[30:31], v[30:31], v[32:33]
	ds_load_b128 v[2:5], v1 offset:1840
	ds_load_b128 v[6:9], v1 offset:1856
	v_fma_f64 v[36:37], v[36:37], v[14:15], v[38:39]
	v_fma_f64 v[14:15], v[34:35], v[14:15], -v[16:17]
	s_waitcnt vmcnt(2) lgkmcnt(1)
	v_mul_f64 v[32:33], v[2:3], v[20:21]
	v_mul_f64 v[20:21], v[4:5], v[20:21]
	s_waitcnt vmcnt(1) lgkmcnt(0)
	v_mul_f64 v[16:17], v[6:7], v[24:25]
	v_mul_f64 v[24:25], v[8:9], v[24:25]
	v_add_f64 v[10:11], v[12:13], v[10:11]
	v_add_f64 v[12:13], v[30:31], v[40:41]
	v_fma_f64 v[30:31], v[4:5], v[18:19], v[32:33]
	v_fma_f64 v[18:19], v[2:3], v[18:19], -v[20:21]
	ds_load_b128 v[2:5], v1 offset:1872
	v_fma_f64 v[8:9], v[8:9], v[22:23], v[16:17]
	v_fma_f64 v[6:7], v[6:7], v[22:23], -v[24:25]
	v_add_f64 v[10:11], v[10:11], v[14:15]
	v_add_f64 v[12:13], v[12:13], v[36:37]
	s_waitcnt vmcnt(0) lgkmcnt(0)
	v_mul_f64 v[14:15], v[2:3], v[28:29]
	v_mul_f64 v[20:21], v[4:5], v[28:29]
	s_delay_alu instid0(VALU_DEP_4) | instskip(NEXT) | instid1(VALU_DEP_4)
	v_add_f64 v[10:11], v[10:11], v[18:19]
	v_add_f64 v[12:13], v[12:13], v[30:31]
	s_delay_alu instid0(VALU_DEP_4) | instskip(NEXT) | instid1(VALU_DEP_4)
	v_fma_f64 v[4:5], v[4:5], v[26:27], v[14:15]
	v_fma_f64 v[2:3], v[2:3], v[26:27], -v[20:21]
	s_delay_alu instid0(VALU_DEP_4) | instskip(NEXT) | instid1(VALU_DEP_4)
	v_add_f64 v[6:7], v[10:11], v[6:7]
	v_add_f64 v[8:9], v[12:13], v[8:9]
	s_delay_alu instid0(VALU_DEP_2) | instskip(NEXT) | instid1(VALU_DEP_2)
	v_add_f64 v[2:3], v[6:7], v[2:3]
	v_add_f64 v[4:5], v[8:9], v[4:5]
	s_delay_alu instid0(VALU_DEP_2) | instskip(NEXT) | instid1(VALU_DEP_2)
	v_add_f64 v[2:3], v[42:43], -v[2:3]
	v_add_f64 v[4:5], v[44:45], -v[4:5]
	scratch_store_b128 off, v[2:5], off offset:656
	v_cmpx_lt_u32_e32 40, v164
	s_cbranch_execz .LBB122_287
; %bb.286:
	scratch_load_b128 v[5:8], v235, off
	v_mov_b32_e32 v2, v1
	v_mov_b32_e32 v3, v1
	;; [unrolled: 1-line block ×3, first 2 shown]
	scratch_store_b128 off, v[1:4], off offset:640
	s_waitcnt vmcnt(0)
	ds_store_b128 v223, v[5:8]
.LBB122_287:
	s_or_b32 exec_lo, exec_lo, s2
	s_waitcnt lgkmcnt(0)
	s_waitcnt_vscnt null, 0x0
	s_barrier
	buffer_gl0_inv
	s_clause 0x8
	scratch_load_b128 v[2:5], off, off offset:656
	scratch_load_b128 v[6:9], off, off offset:672
	;; [unrolled: 1-line block ×9, first 2 shown]
	ds_load_b128 v[38:41], v1 offset:1600
	ds_load_b128 v[42:45], v1 offset:1616
	s_clause 0x1
	scratch_load_b128 v[48:51], off, off offset:640
	scratch_load_b128 v[52:55], off, off offset:800
	s_mov_b32 s2, exec_lo
	s_waitcnt vmcnt(10) lgkmcnt(1)
	v_mul_f64 v[56:57], v[40:41], v[4:5]
	v_mul_f64 v[4:5], v[38:39], v[4:5]
	s_waitcnt vmcnt(9) lgkmcnt(0)
	v_mul_f64 v[60:61], v[42:43], v[8:9]
	v_mul_f64 v[8:9], v[44:45], v[8:9]
	s_delay_alu instid0(VALU_DEP_4) | instskip(NEXT) | instid1(VALU_DEP_4)
	v_fma_f64 v[62:63], v[38:39], v[2:3], -v[56:57]
	v_fma_f64 v[82:83], v[40:41], v[2:3], v[4:5]
	ds_load_b128 v[2:5], v1 offset:1632
	ds_load_b128 v[56:59], v1 offset:1648
	scratch_load_b128 v[38:41], off, off offset:816
	v_fma_f64 v[44:45], v[44:45], v[6:7], v[60:61]
	v_fma_f64 v[42:43], v[42:43], v[6:7], -v[8:9]
	scratch_load_b128 v[6:9], off, off offset:832
	s_waitcnt vmcnt(10) lgkmcnt(1)
	v_mul_f64 v[165:166], v[2:3], v[12:13]
	v_mul_f64 v[12:13], v[4:5], v[12:13]
	v_add_f64 v[60:61], v[62:63], 0
	v_add_f64 v[62:63], v[82:83], 0
	s_waitcnt vmcnt(9) lgkmcnt(0)
	v_mul_f64 v[82:83], v[56:57], v[16:17]
	v_mul_f64 v[16:17], v[58:59], v[16:17]
	v_fma_f64 v[165:166], v[4:5], v[10:11], v[165:166]
	v_fma_f64 v[167:168], v[2:3], v[10:11], -v[12:13]
	ds_load_b128 v[2:5], v1 offset:1664
	scratch_load_b128 v[10:13], off, off offset:848
	v_add_f64 v[60:61], v[60:61], v[42:43]
	v_add_f64 v[62:63], v[62:63], v[44:45]
	ds_load_b128 v[42:45], v1 offset:1680
	v_fma_f64 v[58:59], v[58:59], v[14:15], v[82:83]
	v_fma_f64 v[56:57], v[56:57], v[14:15], -v[16:17]
	scratch_load_b128 v[14:17], off, off offset:864
	s_waitcnt vmcnt(10) lgkmcnt(1)
	v_mul_f64 v[169:170], v[2:3], v[20:21]
	v_mul_f64 v[20:21], v[4:5], v[20:21]
	s_waitcnt vmcnt(9) lgkmcnt(0)
	v_mul_f64 v[82:83], v[42:43], v[24:25]
	v_mul_f64 v[24:25], v[44:45], v[24:25]
	v_add_f64 v[60:61], v[60:61], v[167:168]
	v_add_f64 v[62:63], v[62:63], v[165:166]
	v_fma_f64 v[165:166], v[4:5], v[18:19], v[169:170]
	v_fma_f64 v[167:168], v[2:3], v[18:19], -v[20:21]
	ds_load_b128 v[2:5], v1 offset:1696
	scratch_load_b128 v[18:21], off, off offset:880
	v_fma_f64 v[44:45], v[44:45], v[22:23], v[82:83]
	v_fma_f64 v[42:43], v[42:43], v[22:23], -v[24:25]
	scratch_load_b128 v[22:25], off, off offset:896
	v_add_f64 v[60:61], v[60:61], v[56:57]
	v_add_f64 v[62:63], v[62:63], v[58:59]
	ds_load_b128 v[56:59], v1 offset:1712
	s_waitcnt vmcnt(10) lgkmcnt(1)
	v_mul_f64 v[169:170], v[2:3], v[28:29]
	v_mul_f64 v[28:29], v[4:5], v[28:29]
	s_waitcnt vmcnt(9) lgkmcnt(0)
	v_mul_f64 v[82:83], v[56:57], v[32:33]
	v_mul_f64 v[32:33], v[58:59], v[32:33]
	v_add_f64 v[60:61], v[60:61], v[167:168]
	v_add_f64 v[62:63], v[62:63], v[165:166]
	v_fma_f64 v[165:166], v[4:5], v[26:27], v[169:170]
	v_fma_f64 v[167:168], v[2:3], v[26:27], -v[28:29]
	ds_load_b128 v[2:5], v1 offset:1728
	scratch_load_b128 v[26:29], off, off offset:912
	v_fma_f64 v[58:59], v[58:59], v[30:31], v[82:83]
	v_fma_f64 v[56:57], v[56:57], v[30:31], -v[32:33]
	scratch_load_b128 v[30:33], off, off offset:928
	v_add_f64 v[60:61], v[60:61], v[42:43]
	v_add_f64 v[62:63], v[62:63], v[44:45]
	ds_load_b128 v[42:45], v1 offset:1744
	s_waitcnt vmcnt(10) lgkmcnt(1)
	v_mul_f64 v[169:170], v[2:3], v[36:37]
	v_mul_f64 v[36:37], v[4:5], v[36:37]
	s_waitcnt vmcnt(8) lgkmcnt(0)
	v_mul_f64 v[82:83], v[42:43], v[54:55]
	v_mul_f64 v[54:55], v[44:45], v[54:55]
	v_add_f64 v[60:61], v[60:61], v[167:168]
	v_add_f64 v[62:63], v[62:63], v[165:166]
	v_fma_f64 v[165:166], v[4:5], v[34:35], v[169:170]
	v_fma_f64 v[167:168], v[2:3], v[34:35], -v[36:37]
	ds_load_b128 v[2:5], v1 offset:1760
	ds_load_b128 v[34:37], v1 offset:1776
	v_fma_f64 v[44:45], v[44:45], v[52:53], v[82:83]
	v_fma_f64 v[42:43], v[42:43], v[52:53], -v[54:55]
	v_add_f64 v[56:57], v[60:61], v[56:57]
	v_add_f64 v[58:59], v[62:63], v[58:59]
	s_waitcnt vmcnt(7) lgkmcnt(1)
	v_mul_f64 v[60:61], v[2:3], v[40:41]
	v_mul_f64 v[40:41], v[4:5], v[40:41]
	s_delay_alu instid0(VALU_DEP_4) | instskip(NEXT) | instid1(VALU_DEP_4)
	v_add_f64 v[52:53], v[56:57], v[167:168]
	v_add_f64 v[54:55], v[58:59], v[165:166]
	s_waitcnt vmcnt(6) lgkmcnt(0)
	v_mul_f64 v[56:57], v[34:35], v[8:9]
	v_mul_f64 v[8:9], v[36:37], v[8:9]
	v_fma_f64 v[58:59], v[4:5], v[38:39], v[60:61]
	v_fma_f64 v[60:61], v[2:3], v[38:39], -v[40:41]
	ds_load_b128 v[2:5], v1 offset:1792
	ds_load_b128 v[38:41], v1 offset:1808
	v_add_f64 v[42:43], v[52:53], v[42:43]
	v_add_f64 v[44:45], v[54:55], v[44:45]
	v_fma_f64 v[36:37], v[36:37], v[6:7], v[56:57]
	s_waitcnt vmcnt(5) lgkmcnt(1)
	v_mul_f64 v[52:53], v[2:3], v[12:13]
	v_mul_f64 v[12:13], v[4:5], v[12:13]
	v_fma_f64 v[6:7], v[34:35], v[6:7], -v[8:9]
	v_add_f64 v[8:9], v[42:43], v[60:61]
	v_add_f64 v[34:35], v[44:45], v[58:59]
	s_waitcnt vmcnt(4) lgkmcnt(0)
	v_mul_f64 v[42:43], v[38:39], v[16:17]
	v_mul_f64 v[16:17], v[40:41], v[16:17]
	v_fma_f64 v[44:45], v[4:5], v[10:11], v[52:53]
	v_fma_f64 v[10:11], v[2:3], v[10:11], -v[12:13]
	v_add_f64 v[12:13], v[8:9], v[6:7]
	v_add_f64 v[34:35], v[34:35], v[36:37]
	ds_load_b128 v[2:5], v1 offset:1824
	ds_load_b128 v[6:9], v1 offset:1840
	v_fma_f64 v[40:41], v[40:41], v[14:15], v[42:43]
	v_fma_f64 v[14:15], v[38:39], v[14:15], -v[16:17]
	s_waitcnt vmcnt(3) lgkmcnt(1)
	v_mul_f64 v[36:37], v[2:3], v[20:21]
	v_mul_f64 v[20:21], v[4:5], v[20:21]
	s_waitcnt vmcnt(2) lgkmcnt(0)
	v_mul_f64 v[16:17], v[6:7], v[24:25]
	v_mul_f64 v[24:25], v[8:9], v[24:25]
	v_add_f64 v[10:11], v[12:13], v[10:11]
	v_add_f64 v[12:13], v[34:35], v[44:45]
	v_fma_f64 v[34:35], v[4:5], v[18:19], v[36:37]
	v_fma_f64 v[18:19], v[2:3], v[18:19], -v[20:21]
	v_fma_f64 v[8:9], v[8:9], v[22:23], v[16:17]
	v_fma_f64 v[6:7], v[6:7], v[22:23], -v[24:25]
	v_add_f64 v[14:15], v[10:11], v[14:15]
	v_add_f64 v[20:21], v[12:13], v[40:41]
	ds_load_b128 v[2:5], v1 offset:1856
	ds_load_b128 v[10:13], v1 offset:1872
	s_waitcnt vmcnt(1) lgkmcnt(1)
	v_mul_f64 v[36:37], v[2:3], v[28:29]
	v_mul_f64 v[28:29], v[4:5], v[28:29]
	v_add_f64 v[14:15], v[14:15], v[18:19]
	v_add_f64 v[16:17], v[20:21], v[34:35]
	s_waitcnt vmcnt(0) lgkmcnt(0)
	v_mul_f64 v[18:19], v[10:11], v[32:33]
	v_mul_f64 v[20:21], v[12:13], v[32:33]
	v_fma_f64 v[4:5], v[4:5], v[26:27], v[36:37]
	v_fma_f64 v[1:2], v[2:3], v[26:27], -v[28:29]
	v_add_f64 v[6:7], v[14:15], v[6:7]
	v_add_f64 v[8:9], v[16:17], v[8:9]
	v_fma_f64 v[12:13], v[12:13], v[30:31], v[18:19]
	v_fma_f64 v[10:11], v[10:11], v[30:31], -v[20:21]
	s_delay_alu instid0(VALU_DEP_4) | instskip(NEXT) | instid1(VALU_DEP_4)
	v_add_f64 v[1:2], v[6:7], v[1:2]
	v_add_f64 v[3:4], v[8:9], v[4:5]
	s_delay_alu instid0(VALU_DEP_2) | instskip(NEXT) | instid1(VALU_DEP_2)
	v_add_f64 v[1:2], v[1:2], v[10:11]
	v_add_f64 v[3:4], v[3:4], v[12:13]
	s_delay_alu instid0(VALU_DEP_2) | instskip(NEXT) | instid1(VALU_DEP_2)
	v_add_f64 v[1:2], v[48:49], -v[1:2]
	v_add_f64 v[3:4], v[50:51], -v[3:4]
	scratch_store_b128 off, v[1:4], off offset:640
	v_cmpx_lt_u32_e32 39, v164
	s_cbranch_execz .LBB122_289
; %bb.288:
	scratch_load_b32 v1, off, off offset:944 ; 4-byte Folded Reload
	v_mov_b32_e32 v5, 0
	s_delay_alu instid0(VALU_DEP_1)
	v_mov_b32_e32 v6, v5
	v_mov_b32_e32 v7, v5
	;; [unrolled: 1-line block ×3, first 2 shown]
	s_waitcnt vmcnt(0)
	scratch_load_b128 v[1:4], v1, off
	scratch_store_b128 off, v[5:8], off offset:624
	s_waitcnt vmcnt(0)
	ds_store_b128 v223, v[1:4]
.LBB122_289:
	s_or_b32 exec_lo, exec_lo, s2
	s_waitcnt lgkmcnt(0)
	s_waitcnt_vscnt null, 0x0
	s_barrier
	buffer_gl0_inv
	s_clause 0x7
	scratch_load_b128 v[2:5], off, off offset:640
	scratch_load_b128 v[6:9], off, off offset:656
	;; [unrolled: 1-line block ×8, first 2 shown]
	v_mov_b32_e32 v1, 0
	s_mov_b32 s2, exec_lo
	ds_load_b128 v[34:37], v1 offset:1584
	s_clause 0x1
	scratch_load_b128 v[38:41], off, off offset:768
	scratch_load_b128 v[42:45], off, off offset:624
	ds_load_b128 v[48:51], v1 offset:1600
	scratch_load_b128 v[52:55], off, off offset:784
	s_waitcnt vmcnt(10) lgkmcnt(1)
	v_mul_f64 v[56:57], v[36:37], v[4:5]
	v_mul_f64 v[4:5], v[34:35], v[4:5]
	s_delay_alu instid0(VALU_DEP_2) | instskip(NEXT) | instid1(VALU_DEP_2)
	v_fma_f64 v[62:63], v[34:35], v[2:3], -v[56:57]
	v_fma_f64 v[82:83], v[36:37], v[2:3], v[4:5]
	scratch_load_b128 v[34:37], off, off offset:800
	ds_load_b128 v[2:5], v1 offset:1616
	s_waitcnt vmcnt(10) lgkmcnt(1)
	v_mul_f64 v[60:61], v[48:49], v[8:9]
	v_mul_f64 v[8:9], v[50:51], v[8:9]
	ds_load_b128 v[56:59], v1 offset:1632
	s_waitcnt vmcnt(9) lgkmcnt(1)
	v_mul_f64 v[165:166], v[2:3], v[12:13]
	v_mul_f64 v[12:13], v[4:5], v[12:13]
	v_fma_f64 v[50:51], v[50:51], v[6:7], v[60:61]
	v_fma_f64 v[48:49], v[48:49], v[6:7], -v[8:9]
	v_add_f64 v[60:61], v[62:63], 0
	v_add_f64 v[62:63], v[82:83], 0
	scratch_load_b128 v[6:9], off, off offset:816
	v_fma_f64 v[165:166], v[4:5], v[10:11], v[165:166]
	v_fma_f64 v[167:168], v[2:3], v[10:11], -v[12:13]
	scratch_load_b128 v[10:13], off, off offset:832
	ds_load_b128 v[2:5], v1 offset:1648
	s_waitcnt vmcnt(10) lgkmcnt(1)
	v_mul_f64 v[82:83], v[56:57], v[16:17]
	v_mul_f64 v[16:17], v[58:59], v[16:17]
	v_add_f64 v[60:61], v[60:61], v[48:49]
	v_add_f64 v[62:63], v[62:63], v[50:51]
	s_waitcnt vmcnt(9) lgkmcnt(0)
	v_mul_f64 v[169:170], v[2:3], v[20:21]
	v_mul_f64 v[20:21], v[4:5], v[20:21]
	ds_load_b128 v[48:51], v1 offset:1664
	v_fma_f64 v[58:59], v[58:59], v[14:15], v[82:83]
	v_fma_f64 v[56:57], v[56:57], v[14:15], -v[16:17]
	scratch_load_b128 v[14:17], off, off offset:848
	v_add_f64 v[60:61], v[60:61], v[167:168]
	v_add_f64 v[62:63], v[62:63], v[165:166]
	v_fma_f64 v[165:166], v[4:5], v[18:19], v[169:170]
	v_fma_f64 v[167:168], v[2:3], v[18:19], -v[20:21]
	scratch_load_b128 v[18:21], off, off offset:864
	ds_load_b128 v[2:5], v1 offset:1680
	s_waitcnt vmcnt(10) lgkmcnt(1)
	v_mul_f64 v[82:83], v[48:49], v[24:25]
	v_mul_f64 v[24:25], v[50:51], v[24:25]
	s_waitcnt vmcnt(9) lgkmcnt(0)
	v_mul_f64 v[169:170], v[2:3], v[28:29]
	v_mul_f64 v[28:29], v[4:5], v[28:29]
	v_add_f64 v[60:61], v[60:61], v[56:57]
	v_add_f64 v[62:63], v[62:63], v[58:59]
	ds_load_b128 v[56:59], v1 offset:1696
	v_fma_f64 v[50:51], v[50:51], v[22:23], v[82:83]
	v_fma_f64 v[48:49], v[48:49], v[22:23], -v[24:25]
	scratch_load_b128 v[22:25], off, off offset:880
	v_add_f64 v[60:61], v[60:61], v[167:168]
	v_add_f64 v[62:63], v[62:63], v[165:166]
	v_fma_f64 v[165:166], v[4:5], v[26:27], v[169:170]
	v_fma_f64 v[167:168], v[2:3], v[26:27], -v[28:29]
	scratch_load_b128 v[26:29], off, off offset:896
	ds_load_b128 v[2:5], v1 offset:1712
	s_waitcnt vmcnt(10) lgkmcnt(1)
	v_mul_f64 v[82:83], v[56:57], v[32:33]
	v_mul_f64 v[32:33], v[58:59], v[32:33]
	s_waitcnt vmcnt(9) lgkmcnt(0)
	v_mul_f64 v[169:170], v[2:3], v[40:41]
	v_mul_f64 v[40:41], v[4:5], v[40:41]
	v_add_f64 v[60:61], v[60:61], v[48:49]
	v_add_f64 v[62:63], v[62:63], v[50:51]
	ds_load_b128 v[48:51], v1 offset:1728
	v_fma_f64 v[58:59], v[58:59], v[30:31], v[82:83]
	v_fma_f64 v[56:57], v[56:57], v[30:31], -v[32:33]
	scratch_load_b128 v[30:33], off, off offset:912
	v_add_f64 v[60:61], v[60:61], v[167:168]
	v_add_f64 v[62:63], v[62:63], v[165:166]
	v_fma_f64 v[167:168], v[4:5], v[38:39], v[169:170]
	v_fma_f64 v[169:170], v[2:3], v[38:39], -v[40:41]
	scratch_load_b128 v[38:41], off, off offset:928
	ds_load_b128 v[2:5], v1 offset:1744
	s_waitcnt vmcnt(9) lgkmcnt(1)
	v_mul_f64 v[82:83], v[48:49], v[54:55]
	v_mul_f64 v[165:166], v[50:51], v[54:55]
	v_add_f64 v[60:61], v[60:61], v[56:57]
	v_add_f64 v[58:59], v[62:63], v[58:59]
	ds_load_b128 v[54:57], v1 offset:1760
	v_fma_f64 v[50:51], v[50:51], v[52:53], v[82:83]
	v_fma_f64 v[48:49], v[48:49], v[52:53], -v[165:166]
	s_waitcnt vmcnt(8) lgkmcnt(1)
	v_mul_f64 v[62:63], v[2:3], v[36:37]
	v_mul_f64 v[36:37], v[4:5], v[36:37]
	v_add_f64 v[52:53], v[60:61], v[169:170]
	v_add_f64 v[58:59], v[58:59], v[167:168]
	s_delay_alu instid0(VALU_DEP_4) | instskip(NEXT) | instid1(VALU_DEP_4)
	v_fma_f64 v[62:63], v[4:5], v[34:35], v[62:63]
	v_fma_f64 v[82:83], v[2:3], v[34:35], -v[36:37]
	ds_load_b128 v[2:5], v1 offset:1776
	ds_load_b128 v[34:37], v1 offset:1792
	s_waitcnt vmcnt(7) lgkmcnt(2)
	v_mul_f64 v[60:61], v[54:55], v[8:9]
	v_mul_f64 v[8:9], v[56:57], v[8:9]
	v_add_f64 v[48:49], v[52:53], v[48:49]
	v_add_f64 v[50:51], v[58:59], v[50:51]
	s_waitcnt vmcnt(6) lgkmcnt(1)
	v_mul_f64 v[52:53], v[2:3], v[12:13]
	v_mul_f64 v[12:13], v[4:5], v[12:13]
	v_fma_f64 v[56:57], v[56:57], v[6:7], v[60:61]
	v_fma_f64 v[6:7], v[54:55], v[6:7], -v[8:9]
	v_add_f64 v[8:9], v[48:49], v[82:83]
	v_add_f64 v[48:49], v[50:51], v[62:63]
	s_waitcnt vmcnt(5) lgkmcnt(0)
	v_mul_f64 v[50:51], v[34:35], v[16:17]
	v_mul_f64 v[16:17], v[36:37], v[16:17]
	v_fma_f64 v[52:53], v[4:5], v[10:11], v[52:53]
	v_fma_f64 v[10:11], v[2:3], v[10:11], -v[12:13]
	v_add_f64 v[12:13], v[8:9], v[6:7]
	v_add_f64 v[48:49], v[48:49], v[56:57]
	ds_load_b128 v[2:5], v1 offset:1808
	ds_load_b128 v[6:9], v1 offset:1824
	v_fma_f64 v[36:37], v[36:37], v[14:15], v[50:51]
	v_fma_f64 v[14:15], v[34:35], v[14:15], -v[16:17]
	s_waitcnt vmcnt(4) lgkmcnt(1)
	v_mul_f64 v[54:55], v[2:3], v[20:21]
	v_mul_f64 v[20:21], v[4:5], v[20:21]
	s_waitcnt vmcnt(3) lgkmcnt(0)
	v_mul_f64 v[16:17], v[6:7], v[24:25]
	v_mul_f64 v[24:25], v[8:9], v[24:25]
	v_add_f64 v[10:11], v[12:13], v[10:11]
	v_add_f64 v[12:13], v[48:49], v[52:53]
	v_fma_f64 v[34:35], v[4:5], v[18:19], v[54:55]
	v_fma_f64 v[18:19], v[2:3], v[18:19], -v[20:21]
	v_fma_f64 v[8:9], v[8:9], v[22:23], v[16:17]
	v_fma_f64 v[6:7], v[6:7], v[22:23], -v[24:25]
	v_add_f64 v[14:15], v[10:11], v[14:15]
	v_add_f64 v[20:21], v[12:13], v[36:37]
	ds_load_b128 v[2:5], v1 offset:1840
	ds_load_b128 v[10:13], v1 offset:1856
	s_waitcnt vmcnt(2) lgkmcnt(1)
	v_mul_f64 v[36:37], v[2:3], v[28:29]
	v_mul_f64 v[28:29], v[4:5], v[28:29]
	v_add_f64 v[14:15], v[14:15], v[18:19]
	v_add_f64 v[16:17], v[20:21], v[34:35]
	s_waitcnt vmcnt(1) lgkmcnt(0)
	v_mul_f64 v[18:19], v[10:11], v[32:33]
	v_mul_f64 v[20:21], v[12:13], v[32:33]
	v_fma_f64 v[22:23], v[4:5], v[26:27], v[36:37]
	v_fma_f64 v[24:25], v[2:3], v[26:27], -v[28:29]
	ds_load_b128 v[2:5], v1 offset:1872
	v_add_f64 v[6:7], v[14:15], v[6:7]
	v_add_f64 v[8:9], v[16:17], v[8:9]
	v_fma_f64 v[12:13], v[12:13], v[30:31], v[18:19]
	v_fma_f64 v[10:11], v[10:11], v[30:31], -v[20:21]
	s_waitcnt vmcnt(0) lgkmcnt(0)
	v_mul_f64 v[14:15], v[2:3], v[40:41]
	v_mul_f64 v[16:17], v[4:5], v[40:41]
	v_add_f64 v[6:7], v[6:7], v[24:25]
	v_add_f64 v[8:9], v[8:9], v[22:23]
	s_delay_alu instid0(VALU_DEP_4) | instskip(NEXT) | instid1(VALU_DEP_4)
	v_fma_f64 v[4:5], v[4:5], v[38:39], v[14:15]
	v_fma_f64 v[2:3], v[2:3], v[38:39], -v[16:17]
	s_delay_alu instid0(VALU_DEP_4) | instskip(NEXT) | instid1(VALU_DEP_4)
	v_add_f64 v[6:7], v[6:7], v[10:11]
	v_add_f64 v[8:9], v[8:9], v[12:13]
	s_delay_alu instid0(VALU_DEP_2) | instskip(NEXT) | instid1(VALU_DEP_2)
	v_add_f64 v[2:3], v[6:7], v[2:3]
	v_add_f64 v[4:5], v[8:9], v[4:5]
	s_delay_alu instid0(VALU_DEP_2) | instskip(NEXT) | instid1(VALU_DEP_2)
	v_add_f64 v[2:3], v[42:43], -v[2:3]
	v_add_f64 v[4:5], v[44:45], -v[4:5]
	scratch_store_b128 off, v[2:5], off offset:624
	v_cmpx_lt_u32_e32 38, v164
	s_cbranch_execz .LBB122_291
; %bb.290:
	scratch_load_b128 v[5:8], v236, off
	v_mov_b32_e32 v2, v1
	v_mov_b32_e32 v3, v1
	;; [unrolled: 1-line block ×3, first 2 shown]
	scratch_store_b128 off, v[1:4], off offset:608
	s_waitcnt vmcnt(0)
	ds_store_b128 v223, v[5:8]
.LBB122_291:
	s_or_b32 exec_lo, exec_lo, s2
	s_waitcnt lgkmcnt(0)
	s_waitcnt_vscnt null, 0x0
	s_barrier
	buffer_gl0_inv
	s_clause 0x8
	scratch_load_b128 v[2:5], off, off offset:624
	scratch_load_b128 v[6:9], off, off offset:640
	;; [unrolled: 1-line block ×9, first 2 shown]
	ds_load_b128 v[38:41], v1 offset:1568
	ds_load_b128 v[42:45], v1 offset:1584
	s_clause 0x1
	scratch_load_b128 v[48:51], off, off offset:608
	scratch_load_b128 v[52:55], off, off offset:768
	s_mov_b32 s2, exec_lo
	s_waitcnt vmcnt(10) lgkmcnt(1)
	v_mul_f64 v[56:57], v[40:41], v[4:5]
	v_mul_f64 v[4:5], v[38:39], v[4:5]
	s_waitcnt vmcnt(9) lgkmcnt(0)
	v_mul_f64 v[60:61], v[42:43], v[8:9]
	v_mul_f64 v[8:9], v[44:45], v[8:9]
	s_delay_alu instid0(VALU_DEP_4) | instskip(NEXT) | instid1(VALU_DEP_4)
	v_fma_f64 v[62:63], v[38:39], v[2:3], -v[56:57]
	v_fma_f64 v[82:83], v[40:41], v[2:3], v[4:5]
	ds_load_b128 v[2:5], v1 offset:1600
	ds_load_b128 v[56:59], v1 offset:1616
	scratch_load_b128 v[38:41], off, off offset:784
	v_fma_f64 v[44:45], v[44:45], v[6:7], v[60:61]
	v_fma_f64 v[42:43], v[42:43], v[6:7], -v[8:9]
	scratch_load_b128 v[6:9], off, off offset:800
	s_waitcnt vmcnt(10) lgkmcnt(1)
	v_mul_f64 v[165:166], v[2:3], v[12:13]
	v_mul_f64 v[12:13], v[4:5], v[12:13]
	v_add_f64 v[60:61], v[62:63], 0
	v_add_f64 v[62:63], v[82:83], 0
	s_waitcnt vmcnt(9) lgkmcnt(0)
	v_mul_f64 v[82:83], v[56:57], v[16:17]
	v_mul_f64 v[16:17], v[58:59], v[16:17]
	v_fma_f64 v[165:166], v[4:5], v[10:11], v[165:166]
	v_fma_f64 v[167:168], v[2:3], v[10:11], -v[12:13]
	ds_load_b128 v[2:5], v1 offset:1632
	scratch_load_b128 v[10:13], off, off offset:816
	v_add_f64 v[60:61], v[60:61], v[42:43]
	v_add_f64 v[62:63], v[62:63], v[44:45]
	ds_load_b128 v[42:45], v1 offset:1648
	v_fma_f64 v[58:59], v[58:59], v[14:15], v[82:83]
	v_fma_f64 v[56:57], v[56:57], v[14:15], -v[16:17]
	scratch_load_b128 v[14:17], off, off offset:832
	s_waitcnt vmcnt(10) lgkmcnt(1)
	v_mul_f64 v[169:170], v[2:3], v[20:21]
	v_mul_f64 v[20:21], v[4:5], v[20:21]
	s_waitcnt vmcnt(9) lgkmcnt(0)
	v_mul_f64 v[82:83], v[42:43], v[24:25]
	v_mul_f64 v[24:25], v[44:45], v[24:25]
	v_add_f64 v[60:61], v[60:61], v[167:168]
	v_add_f64 v[62:63], v[62:63], v[165:166]
	v_fma_f64 v[165:166], v[4:5], v[18:19], v[169:170]
	v_fma_f64 v[167:168], v[2:3], v[18:19], -v[20:21]
	ds_load_b128 v[2:5], v1 offset:1664
	scratch_load_b128 v[18:21], off, off offset:848
	v_fma_f64 v[44:45], v[44:45], v[22:23], v[82:83]
	v_fma_f64 v[42:43], v[42:43], v[22:23], -v[24:25]
	scratch_load_b128 v[22:25], off, off offset:864
	v_add_f64 v[60:61], v[60:61], v[56:57]
	v_add_f64 v[62:63], v[62:63], v[58:59]
	ds_load_b128 v[56:59], v1 offset:1680
	s_waitcnt vmcnt(10) lgkmcnt(1)
	v_mul_f64 v[169:170], v[2:3], v[28:29]
	v_mul_f64 v[28:29], v[4:5], v[28:29]
	s_waitcnt vmcnt(9) lgkmcnt(0)
	v_mul_f64 v[82:83], v[56:57], v[32:33]
	v_mul_f64 v[32:33], v[58:59], v[32:33]
	v_add_f64 v[60:61], v[60:61], v[167:168]
	v_add_f64 v[62:63], v[62:63], v[165:166]
	v_fma_f64 v[165:166], v[4:5], v[26:27], v[169:170]
	v_fma_f64 v[167:168], v[2:3], v[26:27], -v[28:29]
	ds_load_b128 v[2:5], v1 offset:1696
	scratch_load_b128 v[26:29], off, off offset:880
	v_fma_f64 v[58:59], v[58:59], v[30:31], v[82:83]
	v_fma_f64 v[56:57], v[56:57], v[30:31], -v[32:33]
	scratch_load_b128 v[30:33], off, off offset:896
	v_add_f64 v[60:61], v[60:61], v[42:43]
	v_add_f64 v[62:63], v[62:63], v[44:45]
	ds_load_b128 v[42:45], v1 offset:1712
	s_waitcnt vmcnt(10) lgkmcnt(1)
	v_mul_f64 v[169:170], v[2:3], v[36:37]
	v_mul_f64 v[36:37], v[4:5], v[36:37]
	s_waitcnt vmcnt(8) lgkmcnt(0)
	v_mul_f64 v[82:83], v[42:43], v[54:55]
	v_add_f64 v[60:61], v[60:61], v[167:168]
	v_add_f64 v[62:63], v[62:63], v[165:166]
	v_mul_f64 v[165:166], v[44:45], v[54:55]
	v_fma_f64 v[167:168], v[4:5], v[34:35], v[169:170]
	v_fma_f64 v[169:170], v[2:3], v[34:35], -v[36:37]
	ds_load_b128 v[2:5], v1 offset:1728
	scratch_load_b128 v[34:37], off, off offset:912
	v_fma_f64 v[44:45], v[44:45], v[52:53], v[82:83]
	v_add_f64 v[60:61], v[60:61], v[56:57]
	v_add_f64 v[58:59], v[62:63], v[58:59]
	ds_load_b128 v[54:57], v1 offset:1744
	v_fma_f64 v[52:53], v[42:43], v[52:53], -v[165:166]
	s_waitcnt vmcnt(8) lgkmcnt(1)
	v_mul_f64 v[62:63], v[2:3], v[40:41]
	v_mul_f64 v[171:172], v[4:5], v[40:41]
	scratch_load_b128 v[40:43], off, off offset:928
	s_waitcnt vmcnt(8) lgkmcnt(0)
	v_mul_f64 v[82:83], v[54:55], v[8:9]
	v_mul_f64 v[8:9], v[56:57], v[8:9]
	v_add_f64 v[60:61], v[60:61], v[169:170]
	v_add_f64 v[58:59], v[58:59], v[167:168]
	v_fma_f64 v[62:63], v[4:5], v[38:39], v[62:63]
	v_fma_f64 v[38:39], v[2:3], v[38:39], -v[171:172]
	v_fma_f64 v[56:57], v[56:57], v[6:7], v[82:83]
	v_fma_f64 v[6:7], v[54:55], v[6:7], -v[8:9]
	v_add_f64 v[52:53], v[60:61], v[52:53]
	v_add_f64 v[44:45], v[58:59], v[44:45]
	ds_load_b128 v[2:5], v1 offset:1760
	ds_load_b128 v[58:61], v1 offset:1776
	s_waitcnt vmcnt(7) lgkmcnt(1)
	v_mul_f64 v[165:166], v[2:3], v[12:13]
	v_mul_f64 v[12:13], v[4:5], v[12:13]
	v_add_f64 v[8:9], v[52:53], v[38:39]
	v_add_f64 v[38:39], v[44:45], v[62:63]
	s_waitcnt vmcnt(6) lgkmcnt(0)
	v_mul_f64 v[44:45], v[58:59], v[16:17]
	v_mul_f64 v[16:17], v[60:61], v[16:17]
	v_fma_f64 v[52:53], v[4:5], v[10:11], v[165:166]
	v_fma_f64 v[10:11], v[2:3], v[10:11], -v[12:13]
	v_add_f64 v[12:13], v[8:9], v[6:7]
	v_add_f64 v[38:39], v[38:39], v[56:57]
	ds_load_b128 v[2:5], v1 offset:1792
	ds_load_b128 v[6:9], v1 offset:1808
	v_fma_f64 v[44:45], v[60:61], v[14:15], v[44:45]
	v_fma_f64 v[14:15], v[58:59], v[14:15], -v[16:17]
	s_waitcnt vmcnt(5) lgkmcnt(1)
	v_mul_f64 v[54:55], v[2:3], v[20:21]
	v_mul_f64 v[20:21], v[4:5], v[20:21]
	s_waitcnt vmcnt(4) lgkmcnt(0)
	v_mul_f64 v[16:17], v[6:7], v[24:25]
	v_mul_f64 v[24:25], v[8:9], v[24:25]
	v_add_f64 v[10:11], v[12:13], v[10:11]
	v_add_f64 v[12:13], v[38:39], v[52:53]
	v_fma_f64 v[38:39], v[4:5], v[18:19], v[54:55]
	v_fma_f64 v[18:19], v[2:3], v[18:19], -v[20:21]
	v_fma_f64 v[8:9], v[8:9], v[22:23], v[16:17]
	v_fma_f64 v[6:7], v[6:7], v[22:23], -v[24:25]
	v_add_f64 v[14:15], v[10:11], v[14:15]
	v_add_f64 v[20:21], v[12:13], v[44:45]
	ds_load_b128 v[2:5], v1 offset:1824
	ds_load_b128 v[10:13], v1 offset:1840
	s_waitcnt vmcnt(3) lgkmcnt(1)
	v_mul_f64 v[44:45], v[2:3], v[28:29]
	v_mul_f64 v[28:29], v[4:5], v[28:29]
	v_add_f64 v[14:15], v[14:15], v[18:19]
	v_add_f64 v[16:17], v[20:21], v[38:39]
	s_waitcnt vmcnt(2) lgkmcnt(0)
	v_mul_f64 v[18:19], v[10:11], v[32:33]
	v_mul_f64 v[20:21], v[12:13], v[32:33]
	v_fma_f64 v[22:23], v[4:5], v[26:27], v[44:45]
	v_fma_f64 v[24:25], v[2:3], v[26:27], -v[28:29]
	v_add_f64 v[14:15], v[14:15], v[6:7]
	v_add_f64 v[16:17], v[16:17], v[8:9]
	ds_load_b128 v[2:5], v1 offset:1856
	ds_load_b128 v[6:9], v1 offset:1872
	v_fma_f64 v[12:13], v[12:13], v[30:31], v[18:19]
	v_fma_f64 v[10:11], v[10:11], v[30:31], -v[20:21]
	s_waitcnt vmcnt(1) lgkmcnt(1)
	v_mul_f64 v[26:27], v[2:3], v[36:37]
	v_mul_f64 v[28:29], v[4:5], v[36:37]
	s_waitcnt vmcnt(0) lgkmcnt(0)
	v_mul_f64 v[18:19], v[6:7], v[42:43]
	v_add_f64 v[14:15], v[14:15], v[24:25]
	v_add_f64 v[16:17], v[16:17], v[22:23]
	v_mul_f64 v[20:21], v[8:9], v[42:43]
	v_fma_f64 v[4:5], v[4:5], v[34:35], v[26:27]
	v_fma_f64 v[1:2], v[2:3], v[34:35], -v[28:29]
	v_fma_f64 v[8:9], v[8:9], v[40:41], v[18:19]
	v_add_f64 v[10:11], v[14:15], v[10:11]
	v_add_f64 v[12:13], v[16:17], v[12:13]
	v_fma_f64 v[6:7], v[6:7], v[40:41], -v[20:21]
	s_delay_alu instid0(VALU_DEP_3) | instskip(NEXT) | instid1(VALU_DEP_3)
	v_add_f64 v[1:2], v[10:11], v[1:2]
	v_add_f64 v[3:4], v[12:13], v[4:5]
	s_delay_alu instid0(VALU_DEP_2) | instskip(NEXT) | instid1(VALU_DEP_2)
	v_add_f64 v[1:2], v[1:2], v[6:7]
	v_add_f64 v[3:4], v[3:4], v[8:9]
	s_delay_alu instid0(VALU_DEP_2) | instskip(NEXT) | instid1(VALU_DEP_2)
	v_add_f64 v[1:2], v[48:49], -v[1:2]
	v_add_f64 v[3:4], v[50:51], -v[3:4]
	scratch_store_b128 off, v[1:4], off offset:608
	v_cmpx_lt_u32_e32 37, v164
	s_cbranch_execz .LBB122_293
; %bb.292:
	scratch_load_b128 v[1:4], v233, off
	v_mov_b32_e32 v5, 0
	s_delay_alu instid0(VALU_DEP_1)
	v_mov_b32_e32 v6, v5
	v_mov_b32_e32 v7, v5
	v_mov_b32_e32 v8, v5
	scratch_store_b128 off, v[5:8], off offset:592
	s_waitcnt vmcnt(0)
	ds_store_b128 v223, v[1:4]
.LBB122_293:
	s_or_b32 exec_lo, exec_lo, s2
	s_waitcnt lgkmcnt(0)
	s_waitcnt_vscnt null, 0x0
	s_barrier
	buffer_gl0_inv
	s_clause 0x7
	scratch_load_b128 v[2:5], off, off offset:608
	scratch_load_b128 v[6:9], off, off offset:624
	;; [unrolled: 1-line block ×8, first 2 shown]
	v_mov_b32_e32 v1, 0
	s_mov_b32 s2, exec_lo
	ds_load_b128 v[34:37], v1 offset:1552
	s_clause 0x1
	scratch_load_b128 v[38:41], off, off offset:736
	scratch_load_b128 v[42:45], off, off offset:592
	ds_load_b128 v[48:51], v1 offset:1568
	scratch_load_b128 v[52:55], off, off offset:752
	s_waitcnt vmcnt(10) lgkmcnt(1)
	v_mul_f64 v[56:57], v[36:37], v[4:5]
	v_mul_f64 v[4:5], v[34:35], v[4:5]
	s_delay_alu instid0(VALU_DEP_2) | instskip(NEXT) | instid1(VALU_DEP_2)
	v_fma_f64 v[62:63], v[34:35], v[2:3], -v[56:57]
	v_fma_f64 v[82:83], v[36:37], v[2:3], v[4:5]
	scratch_load_b128 v[34:37], off, off offset:768
	ds_load_b128 v[2:5], v1 offset:1584
	s_waitcnt vmcnt(10) lgkmcnt(1)
	v_mul_f64 v[60:61], v[48:49], v[8:9]
	v_mul_f64 v[8:9], v[50:51], v[8:9]
	ds_load_b128 v[56:59], v1 offset:1600
	s_waitcnt vmcnt(9) lgkmcnt(1)
	v_mul_f64 v[165:166], v[2:3], v[12:13]
	v_mul_f64 v[12:13], v[4:5], v[12:13]
	v_fma_f64 v[50:51], v[50:51], v[6:7], v[60:61]
	v_fma_f64 v[48:49], v[48:49], v[6:7], -v[8:9]
	v_add_f64 v[60:61], v[62:63], 0
	v_add_f64 v[62:63], v[82:83], 0
	scratch_load_b128 v[6:9], off, off offset:784
	v_fma_f64 v[165:166], v[4:5], v[10:11], v[165:166]
	v_fma_f64 v[167:168], v[2:3], v[10:11], -v[12:13]
	scratch_load_b128 v[10:13], off, off offset:800
	ds_load_b128 v[2:5], v1 offset:1616
	s_waitcnt vmcnt(10) lgkmcnt(1)
	v_mul_f64 v[82:83], v[56:57], v[16:17]
	v_mul_f64 v[16:17], v[58:59], v[16:17]
	v_add_f64 v[60:61], v[60:61], v[48:49]
	v_add_f64 v[62:63], v[62:63], v[50:51]
	s_waitcnt vmcnt(9) lgkmcnt(0)
	v_mul_f64 v[169:170], v[2:3], v[20:21]
	v_mul_f64 v[20:21], v[4:5], v[20:21]
	ds_load_b128 v[48:51], v1 offset:1632
	v_fma_f64 v[58:59], v[58:59], v[14:15], v[82:83]
	v_fma_f64 v[56:57], v[56:57], v[14:15], -v[16:17]
	scratch_load_b128 v[14:17], off, off offset:816
	v_add_f64 v[60:61], v[60:61], v[167:168]
	v_add_f64 v[62:63], v[62:63], v[165:166]
	v_fma_f64 v[165:166], v[4:5], v[18:19], v[169:170]
	v_fma_f64 v[167:168], v[2:3], v[18:19], -v[20:21]
	scratch_load_b128 v[18:21], off, off offset:832
	ds_load_b128 v[2:5], v1 offset:1648
	s_waitcnt vmcnt(10) lgkmcnt(1)
	v_mul_f64 v[82:83], v[48:49], v[24:25]
	v_mul_f64 v[24:25], v[50:51], v[24:25]
	s_waitcnt vmcnt(9) lgkmcnt(0)
	v_mul_f64 v[169:170], v[2:3], v[28:29]
	v_mul_f64 v[28:29], v[4:5], v[28:29]
	v_add_f64 v[60:61], v[60:61], v[56:57]
	v_add_f64 v[62:63], v[62:63], v[58:59]
	ds_load_b128 v[56:59], v1 offset:1664
	v_fma_f64 v[50:51], v[50:51], v[22:23], v[82:83]
	v_fma_f64 v[48:49], v[48:49], v[22:23], -v[24:25]
	scratch_load_b128 v[22:25], off, off offset:848
	v_add_f64 v[60:61], v[60:61], v[167:168]
	v_add_f64 v[62:63], v[62:63], v[165:166]
	v_fma_f64 v[165:166], v[4:5], v[26:27], v[169:170]
	v_fma_f64 v[167:168], v[2:3], v[26:27], -v[28:29]
	scratch_load_b128 v[26:29], off, off offset:864
	ds_load_b128 v[2:5], v1 offset:1680
	s_waitcnt vmcnt(10) lgkmcnt(1)
	v_mul_f64 v[82:83], v[56:57], v[32:33]
	v_mul_f64 v[32:33], v[58:59], v[32:33]
	s_waitcnt vmcnt(9) lgkmcnt(0)
	v_mul_f64 v[169:170], v[2:3], v[40:41]
	v_mul_f64 v[40:41], v[4:5], v[40:41]
	v_add_f64 v[60:61], v[60:61], v[48:49]
	v_add_f64 v[62:63], v[62:63], v[50:51]
	ds_load_b128 v[48:51], v1 offset:1696
	v_fma_f64 v[58:59], v[58:59], v[30:31], v[82:83]
	v_fma_f64 v[56:57], v[56:57], v[30:31], -v[32:33]
	scratch_load_b128 v[30:33], off, off offset:880
	v_add_f64 v[60:61], v[60:61], v[167:168]
	v_add_f64 v[62:63], v[62:63], v[165:166]
	v_fma_f64 v[167:168], v[4:5], v[38:39], v[169:170]
	v_fma_f64 v[169:170], v[2:3], v[38:39], -v[40:41]
	scratch_load_b128 v[38:41], off, off offset:896
	ds_load_b128 v[2:5], v1 offset:1712
	s_waitcnt vmcnt(9) lgkmcnt(1)
	v_mul_f64 v[82:83], v[48:49], v[54:55]
	v_mul_f64 v[165:166], v[50:51], v[54:55]
	v_add_f64 v[60:61], v[60:61], v[56:57]
	v_add_f64 v[58:59], v[62:63], v[58:59]
	ds_load_b128 v[54:57], v1 offset:1728
	v_fma_f64 v[82:83], v[50:51], v[52:53], v[82:83]
	v_fma_f64 v[52:53], v[48:49], v[52:53], -v[165:166]
	scratch_load_b128 v[48:51], off, off offset:912
	s_waitcnt vmcnt(9) lgkmcnt(1)
	v_mul_f64 v[62:63], v[2:3], v[36:37]
	v_mul_f64 v[36:37], v[4:5], v[36:37]
	v_add_f64 v[60:61], v[60:61], v[169:170]
	v_add_f64 v[58:59], v[58:59], v[167:168]
	s_delay_alu instid0(VALU_DEP_4) | instskip(NEXT) | instid1(VALU_DEP_4)
	v_fma_f64 v[62:63], v[4:5], v[34:35], v[62:63]
	v_fma_f64 v[167:168], v[2:3], v[34:35], -v[36:37]
	scratch_load_b128 v[34:37], off, off offset:928
	ds_load_b128 v[2:5], v1 offset:1744
	s_waitcnt vmcnt(9) lgkmcnt(1)
	v_mul_f64 v[165:166], v[54:55], v[8:9]
	v_mul_f64 v[8:9], v[56:57], v[8:9]
	s_waitcnt vmcnt(8) lgkmcnt(0)
	v_mul_f64 v[169:170], v[2:3], v[12:13]
	v_mul_f64 v[12:13], v[4:5], v[12:13]
	v_add_f64 v[52:53], v[60:61], v[52:53]
	v_add_f64 v[82:83], v[58:59], v[82:83]
	ds_load_b128 v[58:61], v1 offset:1760
	v_fma_f64 v[56:57], v[56:57], v[6:7], v[165:166]
	v_fma_f64 v[6:7], v[54:55], v[6:7], -v[8:9]
	v_add_f64 v[8:9], v[52:53], v[167:168]
	v_add_f64 v[52:53], v[82:83], v[62:63]
	s_waitcnt vmcnt(7) lgkmcnt(0)
	v_mul_f64 v[54:55], v[58:59], v[16:17]
	v_mul_f64 v[16:17], v[60:61], v[16:17]
	v_fma_f64 v[62:63], v[4:5], v[10:11], v[169:170]
	v_fma_f64 v[10:11], v[2:3], v[10:11], -v[12:13]
	v_add_f64 v[12:13], v[8:9], v[6:7]
	v_add_f64 v[52:53], v[52:53], v[56:57]
	ds_load_b128 v[2:5], v1 offset:1776
	ds_load_b128 v[6:9], v1 offset:1792
	v_fma_f64 v[54:55], v[60:61], v[14:15], v[54:55]
	v_fma_f64 v[14:15], v[58:59], v[14:15], -v[16:17]
	s_waitcnt vmcnt(6) lgkmcnt(1)
	v_mul_f64 v[56:57], v[2:3], v[20:21]
	v_mul_f64 v[20:21], v[4:5], v[20:21]
	s_waitcnt vmcnt(5) lgkmcnt(0)
	v_mul_f64 v[16:17], v[6:7], v[24:25]
	v_mul_f64 v[24:25], v[8:9], v[24:25]
	v_add_f64 v[10:11], v[12:13], v[10:11]
	v_add_f64 v[12:13], v[52:53], v[62:63]
	v_fma_f64 v[52:53], v[4:5], v[18:19], v[56:57]
	v_fma_f64 v[18:19], v[2:3], v[18:19], -v[20:21]
	v_fma_f64 v[8:9], v[8:9], v[22:23], v[16:17]
	v_fma_f64 v[6:7], v[6:7], v[22:23], -v[24:25]
	v_add_f64 v[14:15], v[10:11], v[14:15]
	v_add_f64 v[20:21], v[12:13], v[54:55]
	ds_load_b128 v[2:5], v1 offset:1808
	ds_load_b128 v[10:13], v1 offset:1824
	s_waitcnt vmcnt(4) lgkmcnt(1)
	v_mul_f64 v[54:55], v[2:3], v[28:29]
	v_mul_f64 v[28:29], v[4:5], v[28:29]
	v_add_f64 v[14:15], v[14:15], v[18:19]
	v_add_f64 v[16:17], v[20:21], v[52:53]
	s_waitcnt vmcnt(3) lgkmcnt(0)
	v_mul_f64 v[18:19], v[10:11], v[32:33]
	v_mul_f64 v[20:21], v[12:13], v[32:33]
	v_fma_f64 v[22:23], v[4:5], v[26:27], v[54:55]
	v_fma_f64 v[24:25], v[2:3], v[26:27], -v[28:29]
	v_add_f64 v[14:15], v[14:15], v[6:7]
	v_add_f64 v[16:17], v[16:17], v[8:9]
	ds_load_b128 v[2:5], v1 offset:1840
	ds_load_b128 v[6:9], v1 offset:1856
	v_fma_f64 v[12:13], v[12:13], v[30:31], v[18:19]
	v_fma_f64 v[10:11], v[10:11], v[30:31], -v[20:21]
	s_waitcnt vmcnt(2) lgkmcnt(1)
	v_mul_f64 v[26:27], v[2:3], v[40:41]
	v_mul_f64 v[28:29], v[4:5], v[40:41]
	s_waitcnt vmcnt(1) lgkmcnt(0)
	v_mul_f64 v[18:19], v[6:7], v[50:51]
	v_mul_f64 v[20:21], v[8:9], v[50:51]
	v_add_f64 v[14:15], v[14:15], v[24:25]
	v_add_f64 v[16:17], v[16:17], v[22:23]
	v_fma_f64 v[22:23], v[4:5], v[38:39], v[26:27]
	v_fma_f64 v[24:25], v[2:3], v[38:39], -v[28:29]
	ds_load_b128 v[2:5], v1 offset:1872
	v_fma_f64 v[8:9], v[8:9], v[48:49], v[18:19]
	v_fma_f64 v[6:7], v[6:7], v[48:49], -v[20:21]
	v_add_f64 v[10:11], v[14:15], v[10:11]
	v_add_f64 v[12:13], v[16:17], v[12:13]
	s_waitcnt vmcnt(0) lgkmcnt(0)
	v_mul_f64 v[14:15], v[2:3], v[36:37]
	v_mul_f64 v[16:17], v[4:5], v[36:37]
	s_delay_alu instid0(VALU_DEP_4) | instskip(NEXT) | instid1(VALU_DEP_4)
	v_add_f64 v[10:11], v[10:11], v[24:25]
	v_add_f64 v[12:13], v[12:13], v[22:23]
	s_delay_alu instid0(VALU_DEP_4) | instskip(NEXT) | instid1(VALU_DEP_4)
	v_fma_f64 v[4:5], v[4:5], v[34:35], v[14:15]
	v_fma_f64 v[2:3], v[2:3], v[34:35], -v[16:17]
	s_delay_alu instid0(VALU_DEP_4) | instskip(NEXT) | instid1(VALU_DEP_4)
	v_add_f64 v[6:7], v[10:11], v[6:7]
	v_add_f64 v[8:9], v[12:13], v[8:9]
	s_delay_alu instid0(VALU_DEP_2) | instskip(NEXT) | instid1(VALU_DEP_2)
	v_add_f64 v[2:3], v[6:7], v[2:3]
	v_add_f64 v[4:5], v[8:9], v[4:5]
	s_delay_alu instid0(VALU_DEP_2) | instskip(NEXT) | instid1(VALU_DEP_2)
	v_add_f64 v[2:3], v[42:43], -v[2:3]
	v_add_f64 v[4:5], v[44:45], -v[4:5]
	scratch_store_b128 off, v[2:5], off offset:592
	v_cmpx_lt_u32_e32 36, v164
	s_cbranch_execz .LBB122_295
; %bb.294:
	scratch_load_b32 v2, off, off offset:948 ; 4-byte Folded Reload
	v_mov_b32_e32 v3, v1
	v_mov_b32_e32 v4, v1
	s_waitcnt vmcnt(0)
	scratch_load_b128 v[5:8], v2, off
	v_mov_b32_e32 v2, v1
	scratch_store_b128 off, v[1:4], off offset:576
	s_waitcnt vmcnt(0)
	ds_store_b128 v223, v[5:8]
.LBB122_295:
	s_or_b32 exec_lo, exec_lo, s2
	s_waitcnt lgkmcnt(0)
	s_waitcnt_vscnt null, 0x0
	s_barrier
	buffer_gl0_inv
	s_clause 0x8
	scratch_load_b128 v[2:5], off, off offset:592
	scratch_load_b128 v[6:9], off, off offset:608
	;; [unrolled: 1-line block ×9, first 2 shown]
	ds_load_b128 v[38:41], v1 offset:1536
	ds_load_b128 v[42:45], v1 offset:1552
	s_clause 0x1
	scratch_load_b128 v[48:51], off, off offset:576
	scratch_load_b128 v[52:55], off, off offset:736
	s_mov_b32 s2, exec_lo
	ds_load_b128 v[197:200], v1 offset:1744
	s_waitcnt vmcnt(10) lgkmcnt(2)
	v_mul_f64 v[56:57], v[40:41], v[4:5]
	v_mul_f64 v[4:5], v[38:39], v[4:5]
	s_waitcnt vmcnt(9) lgkmcnt(1)
	v_mul_f64 v[60:61], v[42:43], v[8:9]
	v_mul_f64 v[8:9], v[44:45], v[8:9]
	s_delay_alu instid0(VALU_DEP_4) | instskip(NEXT) | instid1(VALU_DEP_4)
	v_fma_f64 v[62:63], v[38:39], v[2:3], -v[56:57]
	v_fma_f64 v[82:83], v[40:41], v[2:3], v[4:5]
	ds_load_b128 v[2:5], v1 offset:1568
	ds_load_b128 v[56:59], v1 offset:1584
	scratch_load_b128 v[38:41], off, off offset:752
	v_fma_f64 v[44:45], v[44:45], v[6:7], v[60:61]
	v_fma_f64 v[42:43], v[42:43], v[6:7], -v[8:9]
	scratch_load_b128 v[6:9], off, off offset:768
	s_waitcnt vmcnt(10) lgkmcnt(1)
	v_mul_f64 v[165:166], v[2:3], v[12:13]
	v_mul_f64 v[12:13], v[4:5], v[12:13]
	v_add_f64 v[60:61], v[62:63], 0
	v_add_f64 v[62:63], v[82:83], 0
	s_waitcnt vmcnt(9) lgkmcnt(0)
	v_mul_f64 v[82:83], v[56:57], v[16:17]
	v_mul_f64 v[16:17], v[58:59], v[16:17]
	v_fma_f64 v[165:166], v[4:5], v[10:11], v[165:166]
	v_fma_f64 v[167:168], v[2:3], v[10:11], -v[12:13]
	ds_load_b128 v[2:5], v1 offset:1600
	scratch_load_b128 v[10:13], off, off offset:784
	v_add_f64 v[60:61], v[60:61], v[42:43]
	v_add_f64 v[62:63], v[62:63], v[44:45]
	ds_load_b128 v[42:45], v1 offset:1616
	v_fma_f64 v[58:59], v[58:59], v[14:15], v[82:83]
	v_fma_f64 v[56:57], v[56:57], v[14:15], -v[16:17]
	scratch_load_b128 v[14:17], off, off offset:800
	s_waitcnt vmcnt(10) lgkmcnt(1)
	v_mul_f64 v[169:170], v[2:3], v[20:21]
	v_mul_f64 v[20:21], v[4:5], v[20:21]
	s_waitcnt vmcnt(9) lgkmcnt(0)
	v_mul_f64 v[82:83], v[42:43], v[24:25]
	v_mul_f64 v[24:25], v[44:45], v[24:25]
	v_add_f64 v[60:61], v[60:61], v[167:168]
	v_add_f64 v[62:63], v[62:63], v[165:166]
	v_fma_f64 v[165:166], v[4:5], v[18:19], v[169:170]
	v_fma_f64 v[167:168], v[2:3], v[18:19], -v[20:21]
	ds_load_b128 v[2:5], v1 offset:1632
	scratch_load_b128 v[18:21], off, off offset:816
	v_fma_f64 v[44:45], v[44:45], v[22:23], v[82:83]
	v_fma_f64 v[42:43], v[42:43], v[22:23], -v[24:25]
	scratch_load_b128 v[22:25], off, off offset:832
	v_add_f64 v[60:61], v[60:61], v[56:57]
	v_add_f64 v[62:63], v[62:63], v[58:59]
	ds_load_b128 v[56:59], v1 offset:1648
	s_waitcnt vmcnt(10) lgkmcnt(1)
	v_mul_f64 v[169:170], v[2:3], v[28:29]
	v_mul_f64 v[28:29], v[4:5], v[28:29]
	s_waitcnt vmcnt(9) lgkmcnt(0)
	v_mul_f64 v[82:83], v[56:57], v[32:33]
	v_mul_f64 v[32:33], v[58:59], v[32:33]
	v_add_f64 v[60:61], v[60:61], v[167:168]
	v_add_f64 v[62:63], v[62:63], v[165:166]
	v_fma_f64 v[165:166], v[4:5], v[26:27], v[169:170]
	v_fma_f64 v[167:168], v[2:3], v[26:27], -v[28:29]
	ds_load_b128 v[2:5], v1 offset:1664
	scratch_load_b128 v[26:29], off, off offset:848
	v_fma_f64 v[58:59], v[58:59], v[30:31], v[82:83]
	v_fma_f64 v[56:57], v[56:57], v[30:31], -v[32:33]
	scratch_load_b128 v[30:33], off, off offset:864
	v_add_f64 v[60:61], v[60:61], v[42:43]
	v_add_f64 v[62:63], v[62:63], v[44:45]
	ds_load_b128 v[42:45], v1 offset:1680
	s_waitcnt vmcnt(10) lgkmcnt(1)
	v_mul_f64 v[169:170], v[2:3], v[36:37]
	v_mul_f64 v[36:37], v[4:5], v[36:37]
	s_waitcnt vmcnt(8) lgkmcnt(0)
	v_mul_f64 v[82:83], v[42:43], v[54:55]
	v_add_f64 v[60:61], v[60:61], v[167:168]
	v_add_f64 v[62:63], v[62:63], v[165:166]
	v_mul_f64 v[165:166], v[44:45], v[54:55]
	v_fma_f64 v[167:168], v[4:5], v[34:35], v[169:170]
	v_fma_f64 v[169:170], v[2:3], v[34:35], -v[36:37]
	ds_load_b128 v[2:5], v1 offset:1696
	scratch_load_b128 v[34:37], off, off offset:880
	v_fma_f64 v[44:45], v[44:45], v[52:53], v[82:83]
	v_add_f64 v[60:61], v[60:61], v[56:57]
	v_add_f64 v[58:59], v[62:63], v[58:59]
	ds_load_b128 v[54:57], v1 offset:1712
	v_fma_f64 v[52:53], v[42:43], v[52:53], -v[165:166]
	s_waitcnt vmcnt(8) lgkmcnt(1)
	v_mul_f64 v[62:63], v[2:3], v[40:41]
	v_mul_f64 v[171:172], v[4:5], v[40:41]
	scratch_load_b128 v[40:43], off, off offset:896
	s_waitcnt vmcnt(8) lgkmcnt(0)
	v_mul_f64 v[82:83], v[54:55], v[8:9]
	v_mul_f64 v[8:9], v[56:57], v[8:9]
	v_add_f64 v[60:61], v[60:61], v[169:170]
	v_add_f64 v[58:59], v[58:59], v[167:168]
	v_fma_f64 v[62:63], v[4:5], v[38:39], v[62:63]
	v_fma_f64 v[38:39], v[2:3], v[38:39], -v[171:172]
	ds_load_b128 v[2:5], v1 offset:1728
	v_fma_f64 v[56:57], v[56:57], v[6:7], v[82:83]
	v_fma_f64 v[54:55], v[54:55], v[6:7], -v[8:9]
	scratch_load_b128 v[6:9], off, off offset:928
	v_add_f64 v[52:53], v[60:61], v[52:53]
	v_add_f64 v[44:45], v[58:59], v[44:45]
	scratch_load_b128 v[58:61], off, off offset:912
	s_waitcnt vmcnt(9) lgkmcnt(0)
	v_mul_f64 v[165:166], v[2:3], v[12:13]
	v_mul_f64 v[12:13], v[4:5], v[12:13]
	v_add_f64 v[38:39], v[52:53], v[38:39]
	v_add_f64 v[44:45], v[44:45], v[62:63]
	s_waitcnt vmcnt(8)
	v_mul_f64 v[52:53], v[197:198], v[16:17]
	v_mul_f64 v[16:17], v[199:200], v[16:17]
	v_fma_f64 v[62:63], v[4:5], v[10:11], v[165:166]
	v_fma_f64 v[82:83], v[2:3], v[10:11], -v[12:13]
	ds_load_b128 v[2:5], v1 offset:1760
	ds_load_b128 v[10:13], v1 offset:1776
	v_add_f64 v[38:39], v[38:39], v[54:55]
	v_add_f64 v[44:45], v[44:45], v[56:57]
	s_waitcnt vmcnt(7) lgkmcnt(1)
	v_mul_f64 v[54:55], v[2:3], v[20:21]
	v_mul_f64 v[20:21], v[4:5], v[20:21]
	v_fma_f64 v[52:53], v[199:200], v[14:15], v[52:53]
	v_fma_f64 v[14:15], v[197:198], v[14:15], -v[16:17]
	v_add_f64 v[16:17], v[38:39], v[82:83]
	v_add_f64 v[38:39], v[44:45], v[62:63]
	s_waitcnt vmcnt(6) lgkmcnt(0)
	v_mul_f64 v[44:45], v[10:11], v[24:25]
	v_mul_f64 v[24:25], v[12:13], v[24:25]
	v_fma_f64 v[54:55], v[4:5], v[18:19], v[54:55]
	v_fma_f64 v[18:19], v[2:3], v[18:19], -v[20:21]
	v_add_f64 v[20:21], v[16:17], v[14:15]
	v_add_f64 v[38:39], v[38:39], v[52:53]
	ds_load_b128 v[2:5], v1 offset:1792
	ds_load_b128 v[14:17], v1 offset:1808
	v_fma_f64 v[12:13], v[12:13], v[22:23], v[44:45]
	v_fma_f64 v[10:11], v[10:11], v[22:23], -v[24:25]
	s_waitcnt vmcnt(5) lgkmcnt(1)
	v_mul_f64 v[52:53], v[2:3], v[28:29]
	v_mul_f64 v[28:29], v[4:5], v[28:29]
	s_waitcnt vmcnt(4) lgkmcnt(0)
	v_mul_f64 v[22:23], v[14:15], v[32:33]
	v_mul_f64 v[24:25], v[16:17], v[32:33]
	v_add_f64 v[18:19], v[20:21], v[18:19]
	v_add_f64 v[20:21], v[38:39], v[54:55]
	v_fma_f64 v[32:33], v[4:5], v[26:27], v[52:53]
	v_fma_f64 v[26:27], v[2:3], v[26:27], -v[28:29]
	v_fma_f64 v[16:17], v[16:17], v[30:31], v[22:23]
	v_fma_f64 v[14:15], v[14:15], v[30:31], -v[24:25]
	v_add_f64 v[18:19], v[18:19], v[10:11]
	v_add_f64 v[20:21], v[20:21], v[12:13]
	ds_load_b128 v[2:5], v1 offset:1824
	ds_load_b128 v[10:13], v1 offset:1840
	s_waitcnt vmcnt(3) lgkmcnt(1)
	v_mul_f64 v[28:29], v[2:3], v[36:37]
	v_mul_f64 v[36:37], v[4:5], v[36:37]
	s_waitcnt vmcnt(2) lgkmcnt(0)
	v_mul_f64 v[22:23], v[10:11], v[42:43]
	v_add_f64 v[18:19], v[18:19], v[26:27]
	v_add_f64 v[20:21], v[20:21], v[32:33]
	v_mul_f64 v[24:25], v[12:13], v[42:43]
	v_fma_f64 v[26:27], v[4:5], v[34:35], v[28:29]
	v_fma_f64 v[28:29], v[2:3], v[34:35], -v[36:37]
	v_fma_f64 v[12:13], v[12:13], v[40:41], v[22:23]
	v_add_f64 v[18:19], v[18:19], v[14:15]
	v_add_f64 v[20:21], v[20:21], v[16:17]
	ds_load_b128 v[2:5], v1 offset:1856
	ds_load_b128 v[14:17], v1 offset:1872
	v_fma_f64 v[10:11], v[10:11], v[40:41], -v[24:25]
	s_waitcnt vmcnt(0) lgkmcnt(1)
	v_mul_f64 v[30:31], v[2:3], v[60:61]
	v_mul_f64 v[32:33], v[4:5], v[60:61]
	s_waitcnt lgkmcnt(0)
	v_mul_f64 v[22:23], v[14:15], v[8:9]
	v_mul_f64 v[8:9], v[16:17], v[8:9]
	v_add_f64 v[18:19], v[18:19], v[28:29]
	v_add_f64 v[20:21], v[20:21], v[26:27]
	v_fma_f64 v[4:5], v[4:5], v[58:59], v[30:31]
	v_fma_f64 v[1:2], v[2:3], v[58:59], -v[32:33]
	v_fma_f64 v[16:17], v[16:17], v[6:7], v[22:23]
	v_fma_f64 v[6:7], v[14:15], v[6:7], -v[8:9]
	v_add_f64 v[10:11], v[18:19], v[10:11]
	v_add_f64 v[12:13], v[20:21], v[12:13]
	s_delay_alu instid0(VALU_DEP_2) | instskip(NEXT) | instid1(VALU_DEP_2)
	v_add_f64 v[1:2], v[10:11], v[1:2]
	v_add_f64 v[3:4], v[12:13], v[4:5]
	s_delay_alu instid0(VALU_DEP_2) | instskip(NEXT) | instid1(VALU_DEP_2)
	;; [unrolled: 3-line block ×3, first 2 shown]
	v_add_f64 v[1:2], v[48:49], -v[1:2]
	v_add_f64 v[3:4], v[50:51], -v[3:4]
	scratch_store_b128 off, v[1:4], off offset:576
	v_cmpx_lt_u32_e32 35, v164
	s_cbranch_execz .LBB122_297
; %bb.296:
	scratch_load_b32 v1, off, off offset:952 ; 4-byte Folded Reload
	v_mov_b32_e32 v5, 0
	s_delay_alu instid0(VALU_DEP_1)
	v_mov_b32_e32 v6, v5
	v_mov_b32_e32 v7, v5
	;; [unrolled: 1-line block ×3, first 2 shown]
	s_waitcnt vmcnt(0)
	scratch_load_b128 v[1:4], v1, off
	scratch_store_b128 off, v[5:8], off offset:560
	s_waitcnt vmcnt(0)
	ds_store_b128 v223, v[1:4]
.LBB122_297:
	s_or_b32 exec_lo, exec_lo, s2
	s_waitcnt lgkmcnt(0)
	s_waitcnt_vscnt null, 0x0
	s_barrier
	buffer_gl0_inv
	s_clause 0x7
	scratch_load_b128 v[2:5], off, off offset:576
	scratch_load_b128 v[6:9], off, off offset:592
	scratch_load_b128 v[10:13], off, off offset:608
	scratch_load_b128 v[14:17], off, off offset:624
	scratch_load_b128 v[18:21], off, off offset:640
	scratch_load_b128 v[22:25], off, off offset:656
	scratch_load_b128 v[26:29], off, off offset:672
	scratch_load_b128 v[30:33], off, off offset:688
	v_mov_b32_e32 v1, 0
	s_mov_b32 s2, exec_lo
	ds_load_b128 v[34:37], v1 offset:1520
	s_clause 0x1
	scratch_load_b128 v[38:41], off, off offset:704
	scratch_load_b128 v[42:45], off, off offset:560
	ds_load_b128 v[48:51], v1 offset:1536
	scratch_load_b128 v[52:55], off, off offset:720
	s_waitcnt vmcnt(10) lgkmcnt(1)
	v_mul_f64 v[56:57], v[36:37], v[4:5]
	v_mul_f64 v[4:5], v[34:35], v[4:5]
	s_delay_alu instid0(VALU_DEP_2) | instskip(NEXT) | instid1(VALU_DEP_2)
	v_fma_f64 v[62:63], v[34:35], v[2:3], -v[56:57]
	v_fma_f64 v[82:83], v[36:37], v[2:3], v[4:5]
	scratch_load_b128 v[34:37], off, off offset:736
	ds_load_b128 v[2:5], v1 offset:1552
	s_waitcnt vmcnt(10) lgkmcnt(1)
	v_mul_f64 v[60:61], v[48:49], v[8:9]
	v_mul_f64 v[8:9], v[50:51], v[8:9]
	ds_load_b128 v[56:59], v1 offset:1568
	s_waitcnt vmcnt(9) lgkmcnt(1)
	v_mul_f64 v[165:166], v[2:3], v[12:13]
	v_mul_f64 v[12:13], v[4:5], v[12:13]
	v_fma_f64 v[50:51], v[50:51], v[6:7], v[60:61]
	v_fma_f64 v[48:49], v[48:49], v[6:7], -v[8:9]
	v_add_f64 v[60:61], v[62:63], 0
	v_add_f64 v[62:63], v[82:83], 0
	scratch_load_b128 v[6:9], off, off offset:752
	v_fma_f64 v[165:166], v[4:5], v[10:11], v[165:166]
	v_fma_f64 v[167:168], v[2:3], v[10:11], -v[12:13]
	scratch_load_b128 v[10:13], off, off offset:768
	ds_load_b128 v[2:5], v1 offset:1584
	s_waitcnt vmcnt(10) lgkmcnt(1)
	v_mul_f64 v[82:83], v[56:57], v[16:17]
	v_mul_f64 v[16:17], v[58:59], v[16:17]
	v_add_f64 v[60:61], v[60:61], v[48:49]
	v_add_f64 v[62:63], v[62:63], v[50:51]
	s_waitcnt vmcnt(9) lgkmcnt(0)
	v_mul_f64 v[169:170], v[2:3], v[20:21]
	v_mul_f64 v[20:21], v[4:5], v[20:21]
	ds_load_b128 v[48:51], v1 offset:1600
	v_fma_f64 v[58:59], v[58:59], v[14:15], v[82:83]
	v_fma_f64 v[56:57], v[56:57], v[14:15], -v[16:17]
	scratch_load_b128 v[14:17], off, off offset:784
	v_add_f64 v[60:61], v[60:61], v[167:168]
	v_add_f64 v[62:63], v[62:63], v[165:166]
	v_fma_f64 v[165:166], v[4:5], v[18:19], v[169:170]
	v_fma_f64 v[167:168], v[2:3], v[18:19], -v[20:21]
	scratch_load_b128 v[18:21], off, off offset:800
	ds_load_b128 v[2:5], v1 offset:1616
	s_waitcnt vmcnt(10) lgkmcnt(1)
	v_mul_f64 v[82:83], v[48:49], v[24:25]
	v_mul_f64 v[24:25], v[50:51], v[24:25]
	s_waitcnt vmcnt(9) lgkmcnt(0)
	v_mul_f64 v[169:170], v[2:3], v[28:29]
	v_mul_f64 v[28:29], v[4:5], v[28:29]
	v_add_f64 v[60:61], v[60:61], v[56:57]
	v_add_f64 v[62:63], v[62:63], v[58:59]
	ds_load_b128 v[56:59], v1 offset:1632
	v_fma_f64 v[50:51], v[50:51], v[22:23], v[82:83]
	v_fma_f64 v[48:49], v[48:49], v[22:23], -v[24:25]
	scratch_load_b128 v[22:25], off, off offset:816
	v_add_f64 v[60:61], v[60:61], v[167:168]
	v_add_f64 v[62:63], v[62:63], v[165:166]
	v_fma_f64 v[165:166], v[4:5], v[26:27], v[169:170]
	v_fma_f64 v[167:168], v[2:3], v[26:27], -v[28:29]
	scratch_load_b128 v[26:29], off, off offset:832
	ds_load_b128 v[2:5], v1 offset:1648
	s_waitcnt vmcnt(10) lgkmcnt(1)
	v_mul_f64 v[82:83], v[56:57], v[32:33]
	v_mul_f64 v[32:33], v[58:59], v[32:33]
	s_waitcnt vmcnt(9) lgkmcnt(0)
	v_mul_f64 v[169:170], v[2:3], v[40:41]
	v_mul_f64 v[40:41], v[4:5], v[40:41]
	v_add_f64 v[60:61], v[60:61], v[48:49]
	v_add_f64 v[62:63], v[62:63], v[50:51]
	ds_load_b128 v[48:51], v1 offset:1664
	v_fma_f64 v[58:59], v[58:59], v[30:31], v[82:83]
	v_fma_f64 v[56:57], v[56:57], v[30:31], -v[32:33]
	scratch_load_b128 v[30:33], off, off offset:848
	v_add_f64 v[60:61], v[60:61], v[167:168]
	v_add_f64 v[62:63], v[62:63], v[165:166]
	v_fma_f64 v[167:168], v[4:5], v[38:39], v[169:170]
	v_fma_f64 v[169:170], v[2:3], v[38:39], -v[40:41]
	scratch_load_b128 v[38:41], off, off offset:864
	ds_load_b128 v[2:5], v1 offset:1680
	s_waitcnt vmcnt(9) lgkmcnt(1)
	v_mul_f64 v[82:83], v[48:49], v[54:55]
	v_mul_f64 v[165:166], v[50:51], v[54:55]
	v_add_f64 v[60:61], v[60:61], v[56:57]
	v_add_f64 v[58:59], v[62:63], v[58:59]
	ds_load_b128 v[54:57], v1 offset:1696
	v_fma_f64 v[82:83], v[50:51], v[52:53], v[82:83]
	v_fma_f64 v[52:53], v[48:49], v[52:53], -v[165:166]
	scratch_load_b128 v[48:51], off, off offset:880
	s_waitcnt vmcnt(9) lgkmcnt(1)
	v_mul_f64 v[62:63], v[2:3], v[36:37]
	v_mul_f64 v[36:37], v[4:5], v[36:37]
	v_add_f64 v[60:61], v[60:61], v[169:170]
	v_add_f64 v[58:59], v[58:59], v[167:168]
	s_delay_alu instid0(VALU_DEP_4) | instskip(NEXT) | instid1(VALU_DEP_4)
	v_fma_f64 v[62:63], v[4:5], v[34:35], v[62:63]
	v_fma_f64 v[167:168], v[2:3], v[34:35], -v[36:37]
	scratch_load_b128 v[34:37], off, off offset:896
	ds_load_b128 v[2:5], v1 offset:1712
	s_waitcnt vmcnt(9) lgkmcnt(1)
	v_mul_f64 v[165:166], v[54:55], v[8:9]
	v_mul_f64 v[8:9], v[56:57], v[8:9]
	s_waitcnt vmcnt(8) lgkmcnt(0)
	v_mul_f64 v[169:170], v[2:3], v[12:13]
	v_mul_f64 v[12:13], v[4:5], v[12:13]
	v_add_f64 v[52:53], v[60:61], v[52:53]
	v_add_f64 v[82:83], v[58:59], v[82:83]
	ds_load_b128 v[58:61], v1 offset:1728
	v_fma_f64 v[56:57], v[56:57], v[6:7], v[165:166]
	v_fma_f64 v[54:55], v[54:55], v[6:7], -v[8:9]
	scratch_load_b128 v[6:9], off, off offset:912
	v_fma_f64 v[165:166], v[4:5], v[10:11], v[169:170]
	v_add_f64 v[52:53], v[52:53], v[167:168]
	v_add_f64 v[62:63], v[82:83], v[62:63]
	v_fma_f64 v[167:168], v[2:3], v[10:11], -v[12:13]
	scratch_load_b128 v[10:13], off, off offset:928
	ds_load_b128 v[2:5], v1 offset:1744
	s_waitcnt vmcnt(9) lgkmcnt(1)
	v_mul_f64 v[82:83], v[58:59], v[16:17]
	v_mul_f64 v[16:17], v[60:61], v[16:17]
	v_add_f64 v[169:170], v[52:53], v[54:55]
	v_add_f64 v[56:57], v[62:63], v[56:57]
	s_waitcnt vmcnt(8) lgkmcnt(0)
	v_mul_f64 v[62:63], v[2:3], v[20:21]
	v_mul_f64 v[20:21], v[4:5], v[20:21]
	ds_load_b128 v[52:55], v1 offset:1760
	v_fma_f64 v[60:61], v[60:61], v[14:15], v[82:83]
	v_fma_f64 v[14:15], v[58:59], v[14:15], -v[16:17]
	s_waitcnt vmcnt(7) lgkmcnt(0)
	v_mul_f64 v[58:59], v[52:53], v[24:25]
	v_mul_f64 v[24:25], v[54:55], v[24:25]
	v_add_f64 v[16:17], v[169:170], v[167:168]
	v_add_f64 v[56:57], v[56:57], v[165:166]
	v_fma_f64 v[62:63], v[4:5], v[18:19], v[62:63]
	v_fma_f64 v[18:19], v[2:3], v[18:19], -v[20:21]
	v_fma_f64 v[54:55], v[54:55], v[22:23], v[58:59]
	v_fma_f64 v[22:23], v[52:53], v[22:23], -v[24:25]
	v_add_f64 v[20:21], v[16:17], v[14:15]
	v_add_f64 v[56:57], v[56:57], v[60:61]
	ds_load_b128 v[2:5], v1 offset:1776
	ds_load_b128 v[14:17], v1 offset:1792
	s_waitcnt vmcnt(6) lgkmcnt(1)
	v_mul_f64 v[60:61], v[2:3], v[28:29]
	v_mul_f64 v[28:29], v[4:5], v[28:29]
	s_waitcnt vmcnt(5) lgkmcnt(0)
	v_mul_f64 v[24:25], v[14:15], v[32:33]
	v_mul_f64 v[32:33], v[16:17], v[32:33]
	v_add_f64 v[18:19], v[20:21], v[18:19]
	v_add_f64 v[20:21], v[56:57], v[62:63]
	v_fma_f64 v[52:53], v[4:5], v[26:27], v[60:61]
	v_fma_f64 v[26:27], v[2:3], v[26:27], -v[28:29]
	v_fma_f64 v[16:17], v[16:17], v[30:31], v[24:25]
	v_fma_f64 v[14:15], v[14:15], v[30:31], -v[32:33]
	v_add_f64 v[22:23], v[18:19], v[22:23]
	v_add_f64 v[28:29], v[20:21], v[54:55]
	ds_load_b128 v[2:5], v1 offset:1808
	ds_load_b128 v[18:21], v1 offset:1824
	s_waitcnt vmcnt(4) lgkmcnt(1)
	v_mul_f64 v[54:55], v[2:3], v[40:41]
	v_mul_f64 v[40:41], v[4:5], v[40:41]
	v_add_f64 v[22:23], v[22:23], v[26:27]
	v_add_f64 v[24:25], v[28:29], v[52:53]
	s_waitcnt vmcnt(3) lgkmcnt(0)
	v_mul_f64 v[26:27], v[18:19], v[50:51]
	v_mul_f64 v[28:29], v[20:21], v[50:51]
	v_fma_f64 v[30:31], v[4:5], v[38:39], v[54:55]
	v_fma_f64 v[32:33], v[2:3], v[38:39], -v[40:41]
	v_add_f64 v[22:23], v[22:23], v[14:15]
	v_add_f64 v[24:25], v[24:25], v[16:17]
	ds_load_b128 v[2:5], v1 offset:1840
	ds_load_b128 v[14:17], v1 offset:1856
	v_fma_f64 v[20:21], v[20:21], v[48:49], v[26:27]
	v_fma_f64 v[18:19], v[18:19], v[48:49], -v[28:29]
	s_waitcnt vmcnt(2) lgkmcnt(1)
	v_mul_f64 v[38:39], v[2:3], v[36:37]
	v_mul_f64 v[36:37], v[4:5], v[36:37]
	s_waitcnt vmcnt(1) lgkmcnt(0)
	v_mul_f64 v[26:27], v[14:15], v[8:9]
	v_mul_f64 v[8:9], v[16:17], v[8:9]
	v_add_f64 v[22:23], v[22:23], v[32:33]
	v_add_f64 v[24:25], v[24:25], v[30:31]
	v_fma_f64 v[28:29], v[4:5], v[34:35], v[38:39]
	v_fma_f64 v[30:31], v[2:3], v[34:35], -v[36:37]
	ds_load_b128 v[2:5], v1 offset:1872
	v_fma_f64 v[16:17], v[16:17], v[6:7], v[26:27]
	v_fma_f64 v[6:7], v[14:15], v[6:7], -v[8:9]
	v_add_f64 v[18:19], v[22:23], v[18:19]
	v_add_f64 v[20:21], v[24:25], v[20:21]
	s_waitcnt vmcnt(0) lgkmcnt(0)
	v_mul_f64 v[22:23], v[2:3], v[12:13]
	v_mul_f64 v[12:13], v[4:5], v[12:13]
	s_delay_alu instid0(VALU_DEP_4) | instskip(NEXT) | instid1(VALU_DEP_4)
	v_add_f64 v[8:9], v[18:19], v[30:31]
	v_add_f64 v[14:15], v[20:21], v[28:29]
	s_delay_alu instid0(VALU_DEP_4) | instskip(NEXT) | instid1(VALU_DEP_4)
	v_fma_f64 v[4:5], v[4:5], v[10:11], v[22:23]
	v_fma_f64 v[2:3], v[2:3], v[10:11], -v[12:13]
	s_delay_alu instid0(VALU_DEP_4) | instskip(NEXT) | instid1(VALU_DEP_4)
	v_add_f64 v[6:7], v[8:9], v[6:7]
	v_add_f64 v[8:9], v[14:15], v[16:17]
	s_delay_alu instid0(VALU_DEP_2) | instskip(NEXT) | instid1(VALU_DEP_2)
	v_add_f64 v[2:3], v[6:7], v[2:3]
	v_add_f64 v[4:5], v[8:9], v[4:5]
	s_delay_alu instid0(VALU_DEP_2) | instskip(NEXT) | instid1(VALU_DEP_2)
	v_add_f64 v[2:3], v[42:43], -v[2:3]
	v_add_f64 v[4:5], v[44:45], -v[4:5]
	scratch_store_b128 off, v[2:5], off offset:560
	v_cmpx_lt_u32_e32 34, v164
	s_cbranch_execz .LBB122_299
; %bb.298:
	scratch_load_b32 v2, off, off offset:956 ; 4-byte Folded Reload
	v_mov_b32_e32 v3, v1
	v_mov_b32_e32 v4, v1
	s_waitcnt vmcnt(0)
	scratch_load_b128 v[5:8], v2, off
	v_mov_b32_e32 v2, v1
	scratch_store_b128 off, v[1:4], off offset:544
	s_waitcnt vmcnt(0)
	ds_store_b128 v223, v[5:8]
.LBB122_299:
	s_or_b32 exec_lo, exec_lo, s2
	s_waitcnt lgkmcnt(0)
	s_waitcnt_vscnt null, 0x0
	s_barrier
	buffer_gl0_inv
	s_clause 0x8
	scratch_load_b128 v[2:5], off, off offset:560
	scratch_load_b128 v[6:9], off, off offset:576
	;; [unrolled: 1-line block ×9, first 2 shown]
	ds_load_b128 v[38:41], v1 offset:1504
	ds_load_b128 v[42:45], v1 offset:1520
	s_clause 0x1
	scratch_load_b128 v[48:51], off, off offset:544
	scratch_load_b128 v[52:55], off, off offset:704
	s_mov_b32 s2, exec_lo
	ds_load_b128 v[197:200], v1 offset:1712
	s_waitcnt vmcnt(10) lgkmcnt(2)
	v_mul_f64 v[56:57], v[40:41], v[4:5]
	v_mul_f64 v[4:5], v[38:39], v[4:5]
	s_waitcnt vmcnt(9) lgkmcnt(1)
	v_mul_f64 v[60:61], v[42:43], v[8:9]
	v_mul_f64 v[8:9], v[44:45], v[8:9]
	s_delay_alu instid0(VALU_DEP_4) | instskip(NEXT) | instid1(VALU_DEP_4)
	v_fma_f64 v[62:63], v[38:39], v[2:3], -v[56:57]
	v_fma_f64 v[82:83], v[40:41], v[2:3], v[4:5]
	ds_load_b128 v[2:5], v1 offset:1536
	ds_load_b128 v[56:59], v1 offset:1552
	scratch_load_b128 v[38:41], off, off offset:720
	v_fma_f64 v[44:45], v[44:45], v[6:7], v[60:61]
	v_fma_f64 v[42:43], v[42:43], v[6:7], -v[8:9]
	scratch_load_b128 v[6:9], off, off offset:736
	s_waitcnt vmcnt(10) lgkmcnt(1)
	v_mul_f64 v[165:166], v[2:3], v[12:13]
	v_mul_f64 v[12:13], v[4:5], v[12:13]
	v_add_f64 v[60:61], v[62:63], 0
	v_add_f64 v[62:63], v[82:83], 0
	s_waitcnt vmcnt(9) lgkmcnt(0)
	v_mul_f64 v[82:83], v[56:57], v[16:17]
	v_mul_f64 v[16:17], v[58:59], v[16:17]
	v_fma_f64 v[165:166], v[4:5], v[10:11], v[165:166]
	v_fma_f64 v[167:168], v[2:3], v[10:11], -v[12:13]
	ds_load_b128 v[2:5], v1 offset:1568
	scratch_load_b128 v[10:13], off, off offset:752
	v_add_f64 v[60:61], v[60:61], v[42:43]
	v_add_f64 v[62:63], v[62:63], v[44:45]
	ds_load_b128 v[42:45], v1 offset:1584
	v_fma_f64 v[58:59], v[58:59], v[14:15], v[82:83]
	v_fma_f64 v[56:57], v[56:57], v[14:15], -v[16:17]
	scratch_load_b128 v[14:17], off, off offset:768
	s_waitcnt vmcnt(10) lgkmcnt(1)
	v_mul_f64 v[169:170], v[2:3], v[20:21]
	v_mul_f64 v[20:21], v[4:5], v[20:21]
	s_waitcnt vmcnt(9) lgkmcnt(0)
	v_mul_f64 v[82:83], v[42:43], v[24:25]
	v_mul_f64 v[24:25], v[44:45], v[24:25]
	v_add_f64 v[60:61], v[60:61], v[167:168]
	v_add_f64 v[62:63], v[62:63], v[165:166]
	v_fma_f64 v[165:166], v[4:5], v[18:19], v[169:170]
	v_fma_f64 v[167:168], v[2:3], v[18:19], -v[20:21]
	ds_load_b128 v[2:5], v1 offset:1600
	scratch_load_b128 v[18:21], off, off offset:784
	v_fma_f64 v[44:45], v[44:45], v[22:23], v[82:83]
	v_fma_f64 v[42:43], v[42:43], v[22:23], -v[24:25]
	scratch_load_b128 v[22:25], off, off offset:800
	v_add_f64 v[60:61], v[60:61], v[56:57]
	v_add_f64 v[62:63], v[62:63], v[58:59]
	ds_load_b128 v[56:59], v1 offset:1616
	s_waitcnt vmcnt(10) lgkmcnt(1)
	v_mul_f64 v[169:170], v[2:3], v[28:29]
	v_mul_f64 v[28:29], v[4:5], v[28:29]
	s_waitcnt vmcnt(9) lgkmcnt(0)
	v_mul_f64 v[82:83], v[56:57], v[32:33]
	v_mul_f64 v[32:33], v[58:59], v[32:33]
	v_add_f64 v[60:61], v[60:61], v[167:168]
	v_add_f64 v[62:63], v[62:63], v[165:166]
	v_fma_f64 v[165:166], v[4:5], v[26:27], v[169:170]
	v_fma_f64 v[167:168], v[2:3], v[26:27], -v[28:29]
	ds_load_b128 v[2:5], v1 offset:1632
	scratch_load_b128 v[26:29], off, off offset:816
	v_fma_f64 v[58:59], v[58:59], v[30:31], v[82:83]
	v_fma_f64 v[56:57], v[56:57], v[30:31], -v[32:33]
	scratch_load_b128 v[30:33], off, off offset:832
	v_add_f64 v[60:61], v[60:61], v[42:43]
	v_add_f64 v[62:63], v[62:63], v[44:45]
	ds_load_b128 v[42:45], v1 offset:1648
	s_waitcnt vmcnt(10) lgkmcnt(1)
	v_mul_f64 v[169:170], v[2:3], v[36:37]
	v_mul_f64 v[36:37], v[4:5], v[36:37]
	s_waitcnt vmcnt(8) lgkmcnt(0)
	v_mul_f64 v[82:83], v[42:43], v[54:55]
	v_add_f64 v[60:61], v[60:61], v[167:168]
	v_add_f64 v[62:63], v[62:63], v[165:166]
	v_mul_f64 v[165:166], v[44:45], v[54:55]
	v_fma_f64 v[167:168], v[4:5], v[34:35], v[169:170]
	v_fma_f64 v[169:170], v[2:3], v[34:35], -v[36:37]
	ds_load_b128 v[2:5], v1 offset:1664
	scratch_load_b128 v[34:37], off, off offset:848
	v_fma_f64 v[44:45], v[44:45], v[52:53], v[82:83]
	v_add_f64 v[60:61], v[60:61], v[56:57]
	v_add_f64 v[58:59], v[62:63], v[58:59]
	ds_load_b128 v[54:57], v1 offset:1680
	v_fma_f64 v[52:53], v[42:43], v[52:53], -v[165:166]
	s_waitcnt vmcnt(8) lgkmcnt(1)
	v_mul_f64 v[62:63], v[2:3], v[40:41]
	v_mul_f64 v[171:172], v[4:5], v[40:41]
	scratch_load_b128 v[40:43], off, off offset:864
	s_waitcnt vmcnt(8) lgkmcnt(0)
	v_mul_f64 v[82:83], v[54:55], v[8:9]
	v_mul_f64 v[8:9], v[56:57], v[8:9]
	v_add_f64 v[60:61], v[60:61], v[169:170]
	v_add_f64 v[58:59], v[58:59], v[167:168]
	v_fma_f64 v[62:63], v[4:5], v[38:39], v[62:63]
	v_fma_f64 v[38:39], v[2:3], v[38:39], -v[171:172]
	ds_load_b128 v[2:5], v1 offset:1696
	v_fma_f64 v[56:57], v[56:57], v[6:7], v[82:83]
	v_fma_f64 v[54:55], v[54:55], v[6:7], -v[8:9]
	scratch_load_b128 v[6:9], off, off offset:896
	v_add_f64 v[52:53], v[60:61], v[52:53]
	v_add_f64 v[44:45], v[58:59], v[44:45]
	scratch_load_b128 v[58:61], off, off offset:880
	s_waitcnt vmcnt(9) lgkmcnt(0)
	v_mul_f64 v[165:166], v[2:3], v[12:13]
	v_mul_f64 v[12:13], v[4:5], v[12:13]
	v_add_f64 v[38:39], v[52:53], v[38:39]
	v_add_f64 v[44:45], v[44:45], v[62:63]
	s_waitcnt vmcnt(8)
	v_mul_f64 v[62:63], v[197:198], v[16:17]
	v_mul_f64 v[16:17], v[199:200], v[16:17]
	v_fma_f64 v[82:83], v[4:5], v[10:11], v[165:166]
	v_fma_f64 v[165:166], v[2:3], v[10:11], -v[12:13]
	ds_load_b128 v[2:5], v1 offset:1728
	scratch_load_b128 v[10:13], off, off offset:912
	v_add_f64 v[38:39], v[38:39], v[54:55]
	v_add_f64 v[44:45], v[44:45], v[56:57]
	ds_load_b128 v[52:55], v1 offset:1744
	s_waitcnt vmcnt(8) lgkmcnt(1)
	v_mul_f64 v[56:57], v[2:3], v[20:21]
	v_mul_f64 v[20:21], v[4:5], v[20:21]
	v_fma_f64 v[62:63], v[199:200], v[14:15], v[62:63]
	v_fma_f64 v[167:168], v[197:198], v[14:15], -v[16:17]
	scratch_load_b128 v[14:17], off, off offset:928
	v_add_f64 v[38:39], v[38:39], v[165:166]
	v_add_f64 v[44:45], v[44:45], v[82:83]
	s_waitcnt vmcnt(8) lgkmcnt(0)
	v_mul_f64 v[82:83], v[52:53], v[24:25]
	v_mul_f64 v[24:25], v[54:55], v[24:25]
	v_fma_f64 v[56:57], v[4:5], v[18:19], v[56:57]
	v_fma_f64 v[165:166], v[2:3], v[18:19], -v[20:21]
	ds_load_b128 v[2:5], v1 offset:1760
	ds_load_b128 v[18:21], v1 offset:1776
	v_add_f64 v[38:39], v[38:39], v[167:168]
	v_add_f64 v[44:45], v[44:45], v[62:63]
	s_waitcnt vmcnt(7) lgkmcnt(1)
	v_mul_f64 v[62:63], v[2:3], v[28:29]
	v_mul_f64 v[28:29], v[4:5], v[28:29]
	v_fma_f64 v[54:55], v[54:55], v[22:23], v[82:83]
	v_fma_f64 v[22:23], v[52:53], v[22:23], -v[24:25]
	v_add_f64 v[24:25], v[38:39], v[165:166]
	v_add_f64 v[38:39], v[44:45], v[56:57]
	s_waitcnt vmcnt(6) lgkmcnt(0)
	v_mul_f64 v[44:45], v[18:19], v[32:33]
	v_mul_f64 v[32:33], v[20:21], v[32:33]
	v_fma_f64 v[52:53], v[4:5], v[26:27], v[62:63]
	v_fma_f64 v[26:27], v[2:3], v[26:27], -v[28:29]
	v_add_f64 v[28:29], v[24:25], v[22:23]
	v_add_f64 v[38:39], v[38:39], v[54:55]
	ds_load_b128 v[2:5], v1 offset:1792
	ds_load_b128 v[22:25], v1 offset:1808
	v_fma_f64 v[20:21], v[20:21], v[30:31], v[44:45]
	v_fma_f64 v[18:19], v[18:19], v[30:31], -v[32:33]
	s_waitcnt vmcnt(5) lgkmcnt(1)
	v_mul_f64 v[54:55], v[2:3], v[36:37]
	v_mul_f64 v[36:37], v[4:5], v[36:37]
	s_waitcnt vmcnt(4) lgkmcnt(0)
	v_mul_f64 v[30:31], v[22:23], v[42:43]
	v_add_f64 v[26:27], v[28:29], v[26:27]
	v_add_f64 v[28:29], v[38:39], v[52:53]
	v_mul_f64 v[32:33], v[24:25], v[42:43]
	v_fma_f64 v[38:39], v[4:5], v[34:35], v[54:55]
	v_fma_f64 v[34:35], v[2:3], v[34:35], -v[36:37]
	v_fma_f64 v[24:25], v[24:25], v[40:41], v[30:31]
	v_add_f64 v[26:27], v[26:27], v[18:19]
	v_add_f64 v[28:29], v[28:29], v[20:21]
	ds_load_b128 v[2:5], v1 offset:1824
	ds_load_b128 v[18:21], v1 offset:1840
	v_fma_f64 v[22:23], v[22:23], v[40:41], -v[32:33]
	s_waitcnt vmcnt(2) lgkmcnt(1)
	v_mul_f64 v[36:37], v[2:3], v[60:61]
	v_mul_f64 v[42:43], v[4:5], v[60:61]
	s_waitcnt lgkmcnt(0)
	v_mul_f64 v[30:31], v[18:19], v[8:9]
	v_mul_f64 v[8:9], v[20:21], v[8:9]
	v_add_f64 v[26:27], v[26:27], v[34:35]
	v_add_f64 v[28:29], v[28:29], v[38:39]
	v_fma_f64 v[32:33], v[4:5], v[58:59], v[36:37]
	v_fma_f64 v[34:35], v[2:3], v[58:59], -v[42:43]
	v_fma_f64 v[20:21], v[20:21], v[6:7], v[30:31]
	v_fma_f64 v[6:7], v[18:19], v[6:7], -v[8:9]
	v_add_f64 v[26:27], v[26:27], v[22:23]
	v_add_f64 v[28:29], v[28:29], v[24:25]
	ds_load_b128 v[2:5], v1 offset:1856
	ds_load_b128 v[22:25], v1 offset:1872
	s_waitcnt vmcnt(1) lgkmcnt(1)
	v_mul_f64 v[36:37], v[2:3], v[12:13]
	v_mul_f64 v[12:13], v[4:5], v[12:13]
	v_add_f64 v[8:9], v[26:27], v[34:35]
	v_add_f64 v[18:19], v[28:29], v[32:33]
	s_waitcnt vmcnt(0) lgkmcnt(0)
	v_mul_f64 v[26:27], v[22:23], v[16:17]
	v_mul_f64 v[16:17], v[24:25], v[16:17]
	v_fma_f64 v[4:5], v[4:5], v[10:11], v[36:37]
	v_fma_f64 v[1:2], v[2:3], v[10:11], -v[12:13]
	v_add_f64 v[6:7], v[8:9], v[6:7]
	v_add_f64 v[8:9], v[18:19], v[20:21]
	v_fma_f64 v[10:11], v[24:25], v[14:15], v[26:27]
	v_fma_f64 v[12:13], v[22:23], v[14:15], -v[16:17]
	s_delay_alu instid0(VALU_DEP_4) | instskip(NEXT) | instid1(VALU_DEP_4)
	v_add_f64 v[1:2], v[6:7], v[1:2]
	v_add_f64 v[3:4], v[8:9], v[4:5]
	s_delay_alu instid0(VALU_DEP_2) | instskip(NEXT) | instid1(VALU_DEP_2)
	v_add_f64 v[1:2], v[1:2], v[12:13]
	v_add_f64 v[3:4], v[3:4], v[10:11]
	s_delay_alu instid0(VALU_DEP_2) | instskip(NEXT) | instid1(VALU_DEP_2)
	v_add_f64 v[1:2], v[48:49], -v[1:2]
	v_add_f64 v[3:4], v[50:51], -v[3:4]
	scratch_store_b128 off, v[1:4], off offset:544
	v_cmpx_lt_u32_e32 33, v164
	s_cbranch_execz .LBB122_301
; %bb.300:
	scratch_load_b32 v1, off, off offset:960 ; 4-byte Folded Reload
	v_mov_b32_e32 v5, 0
	s_delay_alu instid0(VALU_DEP_1)
	v_mov_b32_e32 v6, v5
	v_mov_b32_e32 v7, v5
	;; [unrolled: 1-line block ×3, first 2 shown]
	s_waitcnt vmcnt(0)
	scratch_load_b128 v[1:4], v1, off
	scratch_store_b128 off, v[5:8], off offset:528
	s_waitcnt vmcnt(0)
	ds_store_b128 v223, v[1:4]
.LBB122_301:
	s_or_b32 exec_lo, exec_lo, s2
	s_waitcnt lgkmcnt(0)
	s_waitcnt_vscnt null, 0x0
	s_barrier
	buffer_gl0_inv
	s_clause 0x7
	scratch_load_b128 v[2:5], off, off offset:544
	scratch_load_b128 v[6:9], off, off offset:560
	;; [unrolled: 1-line block ×8, first 2 shown]
	v_mov_b32_e32 v1, 0
	s_mov_b32 s2, exec_lo
	ds_load_b128 v[34:37], v1 offset:1488
	s_clause 0x1
	scratch_load_b128 v[38:41], off, off offset:672
	scratch_load_b128 v[42:45], off, off offset:528
	ds_load_b128 v[48:51], v1 offset:1504
	scratch_load_b128 v[52:55], off, off offset:688
	s_waitcnt vmcnt(10) lgkmcnt(1)
	v_mul_f64 v[56:57], v[36:37], v[4:5]
	v_mul_f64 v[4:5], v[34:35], v[4:5]
	s_delay_alu instid0(VALU_DEP_2) | instskip(NEXT) | instid1(VALU_DEP_2)
	v_fma_f64 v[62:63], v[34:35], v[2:3], -v[56:57]
	v_fma_f64 v[82:83], v[36:37], v[2:3], v[4:5]
	scratch_load_b128 v[34:37], off, off offset:704
	ds_load_b128 v[2:5], v1 offset:1520
	s_waitcnt vmcnt(10) lgkmcnt(1)
	v_mul_f64 v[60:61], v[48:49], v[8:9]
	v_mul_f64 v[8:9], v[50:51], v[8:9]
	ds_load_b128 v[56:59], v1 offset:1536
	s_waitcnt vmcnt(9) lgkmcnt(1)
	v_mul_f64 v[165:166], v[2:3], v[12:13]
	v_mul_f64 v[12:13], v[4:5], v[12:13]
	v_fma_f64 v[50:51], v[50:51], v[6:7], v[60:61]
	v_fma_f64 v[48:49], v[48:49], v[6:7], -v[8:9]
	v_add_f64 v[60:61], v[62:63], 0
	v_add_f64 v[62:63], v[82:83], 0
	scratch_load_b128 v[6:9], off, off offset:720
	v_fma_f64 v[165:166], v[4:5], v[10:11], v[165:166]
	v_fma_f64 v[167:168], v[2:3], v[10:11], -v[12:13]
	scratch_load_b128 v[10:13], off, off offset:736
	ds_load_b128 v[2:5], v1 offset:1552
	s_waitcnt vmcnt(10) lgkmcnt(1)
	v_mul_f64 v[82:83], v[56:57], v[16:17]
	v_mul_f64 v[16:17], v[58:59], v[16:17]
	v_add_f64 v[60:61], v[60:61], v[48:49]
	v_add_f64 v[62:63], v[62:63], v[50:51]
	s_waitcnt vmcnt(9) lgkmcnt(0)
	v_mul_f64 v[169:170], v[2:3], v[20:21]
	v_mul_f64 v[20:21], v[4:5], v[20:21]
	ds_load_b128 v[48:51], v1 offset:1568
	v_fma_f64 v[58:59], v[58:59], v[14:15], v[82:83]
	v_fma_f64 v[56:57], v[56:57], v[14:15], -v[16:17]
	scratch_load_b128 v[14:17], off, off offset:752
	v_add_f64 v[60:61], v[60:61], v[167:168]
	v_add_f64 v[62:63], v[62:63], v[165:166]
	v_fma_f64 v[165:166], v[4:5], v[18:19], v[169:170]
	v_fma_f64 v[167:168], v[2:3], v[18:19], -v[20:21]
	scratch_load_b128 v[18:21], off, off offset:768
	ds_load_b128 v[2:5], v1 offset:1584
	s_waitcnt vmcnt(10) lgkmcnt(1)
	v_mul_f64 v[82:83], v[48:49], v[24:25]
	v_mul_f64 v[24:25], v[50:51], v[24:25]
	s_waitcnt vmcnt(9) lgkmcnt(0)
	v_mul_f64 v[169:170], v[2:3], v[28:29]
	v_mul_f64 v[28:29], v[4:5], v[28:29]
	v_add_f64 v[60:61], v[60:61], v[56:57]
	v_add_f64 v[62:63], v[62:63], v[58:59]
	ds_load_b128 v[56:59], v1 offset:1600
	v_fma_f64 v[50:51], v[50:51], v[22:23], v[82:83]
	v_fma_f64 v[48:49], v[48:49], v[22:23], -v[24:25]
	scratch_load_b128 v[22:25], off, off offset:784
	v_add_f64 v[60:61], v[60:61], v[167:168]
	v_add_f64 v[62:63], v[62:63], v[165:166]
	v_fma_f64 v[165:166], v[4:5], v[26:27], v[169:170]
	v_fma_f64 v[167:168], v[2:3], v[26:27], -v[28:29]
	scratch_load_b128 v[26:29], off, off offset:800
	ds_load_b128 v[2:5], v1 offset:1616
	s_waitcnt vmcnt(10) lgkmcnt(1)
	v_mul_f64 v[82:83], v[56:57], v[32:33]
	v_mul_f64 v[32:33], v[58:59], v[32:33]
	s_waitcnt vmcnt(9) lgkmcnt(0)
	v_mul_f64 v[169:170], v[2:3], v[40:41]
	v_mul_f64 v[40:41], v[4:5], v[40:41]
	v_add_f64 v[60:61], v[60:61], v[48:49]
	v_add_f64 v[62:63], v[62:63], v[50:51]
	ds_load_b128 v[48:51], v1 offset:1632
	v_fma_f64 v[58:59], v[58:59], v[30:31], v[82:83]
	v_fma_f64 v[56:57], v[56:57], v[30:31], -v[32:33]
	scratch_load_b128 v[30:33], off, off offset:816
	v_add_f64 v[60:61], v[60:61], v[167:168]
	v_add_f64 v[62:63], v[62:63], v[165:166]
	v_fma_f64 v[167:168], v[4:5], v[38:39], v[169:170]
	v_fma_f64 v[169:170], v[2:3], v[38:39], -v[40:41]
	scratch_load_b128 v[38:41], off, off offset:832
	ds_load_b128 v[2:5], v1 offset:1648
	s_waitcnt vmcnt(9) lgkmcnt(1)
	v_mul_f64 v[82:83], v[48:49], v[54:55]
	v_mul_f64 v[165:166], v[50:51], v[54:55]
	v_add_f64 v[60:61], v[60:61], v[56:57]
	v_add_f64 v[58:59], v[62:63], v[58:59]
	ds_load_b128 v[54:57], v1 offset:1664
	v_fma_f64 v[82:83], v[50:51], v[52:53], v[82:83]
	v_fma_f64 v[52:53], v[48:49], v[52:53], -v[165:166]
	scratch_load_b128 v[48:51], off, off offset:848
	s_waitcnt vmcnt(9) lgkmcnt(1)
	v_mul_f64 v[62:63], v[2:3], v[36:37]
	v_mul_f64 v[36:37], v[4:5], v[36:37]
	v_add_f64 v[60:61], v[60:61], v[169:170]
	v_add_f64 v[58:59], v[58:59], v[167:168]
	s_delay_alu instid0(VALU_DEP_4) | instskip(NEXT) | instid1(VALU_DEP_4)
	v_fma_f64 v[62:63], v[4:5], v[34:35], v[62:63]
	v_fma_f64 v[167:168], v[2:3], v[34:35], -v[36:37]
	scratch_load_b128 v[34:37], off, off offset:864
	ds_load_b128 v[2:5], v1 offset:1680
	s_waitcnt vmcnt(9) lgkmcnt(1)
	v_mul_f64 v[165:166], v[54:55], v[8:9]
	v_mul_f64 v[8:9], v[56:57], v[8:9]
	s_waitcnt vmcnt(8) lgkmcnt(0)
	v_mul_f64 v[169:170], v[2:3], v[12:13]
	v_mul_f64 v[12:13], v[4:5], v[12:13]
	v_add_f64 v[52:53], v[60:61], v[52:53]
	v_add_f64 v[82:83], v[58:59], v[82:83]
	ds_load_b128 v[58:61], v1 offset:1696
	v_fma_f64 v[56:57], v[56:57], v[6:7], v[165:166]
	v_fma_f64 v[54:55], v[54:55], v[6:7], -v[8:9]
	scratch_load_b128 v[6:9], off, off offset:880
	v_fma_f64 v[165:166], v[4:5], v[10:11], v[169:170]
	v_add_f64 v[52:53], v[52:53], v[167:168]
	v_add_f64 v[62:63], v[82:83], v[62:63]
	v_fma_f64 v[167:168], v[2:3], v[10:11], -v[12:13]
	scratch_load_b128 v[10:13], off, off offset:896
	ds_load_b128 v[2:5], v1 offset:1712
	s_waitcnt vmcnt(9) lgkmcnt(1)
	v_mul_f64 v[82:83], v[58:59], v[16:17]
	v_mul_f64 v[16:17], v[60:61], v[16:17]
	v_add_f64 v[169:170], v[52:53], v[54:55]
	v_add_f64 v[56:57], v[62:63], v[56:57]
	s_waitcnt vmcnt(8) lgkmcnt(0)
	v_mul_f64 v[62:63], v[2:3], v[20:21]
	v_mul_f64 v[20:21], v[4:5], v[20:21]
	ds_load_b128 v[52:55], v1 offset:1728
	v_fma_f64 v[60:61], v[60:61], v[14:15], v[82:83]
	v_fma_f64 v[58:59], v[58:59], v[14:15], -v[16:17]
	scratch_load_b128 v[14:17], off, off offset:912
	v_add_f64 v[82:83], v[169:170], v[167:168]
	v_add_f64 v[56:57], v[56:57], v[165:166]
	v_fma_f64 v[62:63], v[4:5], v[18:19], v[62:63]
	v_fma_f64 v[167:168], v[2:3], v[18:19], -v[20:21]
	scratch_load_b128 v[18:21], off, off offset:928
	ds_load_b128 v[2:5], v1 offset:1744
	s_waitcnt vmcnt(9) lgkmcnt(1)
	v_mul_f64 v[165:166], v[52:53], v[24:25]
	v_mul_f64 v[24:25], v[54:55], v[24:25]
	s_waitcnt vmcnt(8) lgkmcnt(0)
	v_mul_f64 v[169:170], v[2:3], v[28:29]
	v_mul_f64 v[28:29], v[4:5], v[28:29]
	v_add_f64 v[82:83], v[82:83], v[58:59]
	v_add_f64 v[60:61], v[56:57], v[60:61]
	ds_load_b128 v[56:59], v1 offset:1760
	v_fma_f64 v[54:55], v[54:55], v[22:23], v[165:166]
	v_fma_f64 v[22:23], v[52:53], v[22:23], -v[24:25]
	v_add_f64 v[24:25], v[82:83], v[167:168]
	v_add_f64 v[52:53], v[60:61], v[62:63]
	s_waitcnt vmcnt(7) lgkmcnt(0)
	v_mul_f64 v[60:61], v[56:57], v[32:33]
	v_mul_f64 v[32:33], v[58:59], v[32:33]
	v_fma_f64 v[62:63], v[4:5], v[26:27], v[169:170]
	v_fma_f64 v[26:27], v[2:3], v[26:27], -v[28:29]
	v_add_f64 v[28:29], v[24:25], v[22:23]
	v_add_f64 v[52:53], v[52:53], v[54:55]
	ds_load_b128 v[2:5], v1 offset:1776
	ds_load_b128 v[22:25], v1 offset:1792
	v_fma_f64 v[58:59], v[58:59], v[30:31], v[60:61]
	v_fma_f64 v[30:31], v[56:57], v[30:31], -v[32:33]
	s_waitcnt vmcnt(6) lgkmcnt(1)
	v_mul_f64 v[54:55], v[2:3], v[40:41]
	v_mul_f64 v[40:41], v[4:5], v[40:41]
	s_waitcnt vmcnt(5) lgkmcnt(0)
	v_mul_f64 v[32:33], v[22:23], v[50:51]
	v_mul_f64 v[50:51], v[24:25], v[50:51]
	v_add_f64 v[26:27], v[28:29], v[26:27]
	v_add_f64 v[28:29], v[52:53], v[62:63]
	v_fma_f64 v[52:53], v[4:5], v[38:39], v[54:55]
	v_fma_f64 v[38:39], v[2:3], v[38:39], -v[40:41]
	v_fma_f64 v[24:25], v[24:25], v[48:49], v[32:33]
	v_fma_f64 v[22:23], v[22:23], v[48:49], -v[50:51]
	v_add_f64 v[30:31], v[26:27], v[30:31]
	v_add_f64 v[40:41], v[28:29], v[58:59]
	ds_load_b128 v[2:5], v1 offset:1808
	ds_load_b128 v[26:29], v1 offset:1824
	s_waitcnt vmcnt(4) lgkmcnt(1)
	v_mul_f64 v[54:55], v[2:3], v[36:37]
	v_mul_f64 v[36:37], v[4:5], v[36:37]
	v_add_f64 v[30:31], v[30:31], v[38:39]
	v_add_f64 v[32:33], v[40:41], v[52:53]
	s_waitcnt vmcnt(3) lgkmcnt(0)
	v_mul_f64 v[38:39], v[26:27], v[8:9]
	v_mul_f64 v[8:9], v[28:29], v[8:9]
	v_fma_f64 v[40:41], v[4:5], v[34:35], v[54:55]
	v_fma_f64 v[34:35], v[2:3], v[34:35], -v[36:37]
	v_add_f64 v[30:31], v[30:31], v[22:23]
	v_add_f64 v[32:33], v[32:33], v[24:25]
	ds_load_b128 v[2:5], v1 offset:1840
	ds_load_b128 v[22:25], v1 offset:1856
	v_fma_f64 v[28:29], v[28:29], v[6:7], v[38:39]
	v_fma_f64 v[6:7], v[26:27], v[6:7], -v[8:9]
	s_waitcnt vmcnt(2) lgkmcnt(1)
	v_mul_f64 v[36:37], v[2:3], v[12:13]
	v_mul_f64 v[12:13], v[4:5], v[12:13]
	v_add_f64 v[8:9], v[30:31], v[34:35]
	v_add_f64 v[26:27], v[32:33], v[40:41]
	s_waitcnt vmcnt(1) lgkmcnt(0)
	v_mul_f64 v[30:31], v[22:23], v[16:17]
	v_mul_f64 v[16:17], v[24:25], v[16:17]
	v_fma_f64 v[32:33], v[4:5], v[10:11], v[36:37]
	v_fma_f64 v[10:11], v[2:3], v[10:11], -v[12:13]
	ds_load_b128 v[2:5], v1 offset:1872
	v_add_f64 v[6:7], v[8:9], v[6:7]
	v_add_f64 v[8:9], v[26:27], v[28:29]
	v_fma_f64 v[24:25], v[24:25], v[14:15], v[30:31]
	v_fma_f64 v[14:15], v[22:23], v[14:15], -v[16:17]
	s_waitcnt vmcnt(0) lgkmcnt(0)
	v_mul_f64 v[12:13], v[2:3], v[20:21]
	v_mul_f64 v[20:21], v[4:5], v[20:21]
	v_add_f64 v[6:7], v[6:7], v[10:11]
	v_add_f64 v[8:9], v[8:9], v[32:33]
	s_delay_alu instid0(VALU_DEP_4) | instskip(NEXT) | instid1(VALU_DEP_4)
	v_fma_f64 v[4:5], v[4:5], v[18:19], v[12:13]
	v_fma_f64 v[2:3], v[2:3], v[18:19], -v[20:21]
	s_delay_alu instid0(VALU_DEP_4) | instskip(NEXT) | instid1(VALU_DEP_4)
	v_add_f64 v[6:7], v[6:7], v[14:15]
	v_add_f64 v[8:9], v[8:9], v[24:25]
	s_delay_alu instid0(VALU_DEP_2) | instskip(NEXT) | instid1(VALU_DEP_2)
	v_add_f64 v[2:3], v[6:7], v[2:3]
	v_add_f64 v[4:5], v[8:9], v[4:5]
	s_delay_alu instid0(VALU_DEP_2) | instskip(NEXT) | instid1(VALU_DEP_2)
	v_add_f64 v[2:3], v[42:43], -v[2:3]
	v_add_f64 v[4:5], v[44:45], -v[4:5]
	scratch_store_b128 off, v[2:5], off offset:528
	v_cmpx_lt_u32_e32 32, v164
	s_cbranch_execz .LBB122_303
; %bb.302:
	scratch_load_b32 v2, off, off offset:964 ; 4-byte Folded Reload
	v_mov_b32_e32 v3, v1
	v_mov_b32_e32 v4, v1
	s_waitcnt vmcnt(0)
	scratch_load_b128 v[5:8], v2, off
	v_mov_b32_e32 v2, v1
	scratch_store_b128 off, v[1:4], off offset:512
	s_waitcnt vmcnt(0)
	ds_store_b128 v223, v[5:8]
.LBB122_303:
	s_or_b32 exec_lo, exec_lo, s2
	s_waitcnt lgkmcnt(0)
	s_waitcnt_vscnt null, 0x0
	s_barrier
	buffer_gl0_inv
	s_clause 0x8
	scratch_load_b128 v[2:5], off, off offset:528
	scratch_load_b128 v[6:9], off, off offset:544
	scratch_load_b128 v[10:13], off, off offset:560
	scratch_load_b128 v[14:17], off, off offset:576
	scratch_load_b128 v[18:21], off, off offset:592
	scratch_load_b128 v[22:25], off, off offset:608
	scratch_load_b128 v[26:29], off, off offset:624
	scratch_load_b128 v[30:33], off, off offset:640
	scratch_load_b128 v[34:37], off, off offset:656
	ds_load_b128 v[38:41], v1 offset:1472
	ds_load_b128 v[42:45], v1 offset:1488
	s_clause 0x1
	scratch_load_b128 v[48:51], off, off offset:512
	scratch_load_b128 v[52:55], off, off offset:672
	s_mov_b32 s2, exec_lo
	ds_load_b128 v[197:200], v1 offset:1680
	s_waitcnt vmcnt(10) lgkmcnt(2)
	v_mul_f64 v[56:57], v[40:41], v[4:5]
	v_mul_f64 v[4:5], v[38:39], v[4:5]
	s_waitcnt vmcnt(9) lgkmcnt(1)
	v_mul_f64 v[60:61], v[42:43], v[8:9]
	v_mul_f64 v[8:9], v[44:45], v[8:9]
	s_delay_alu instid0(VALU_DEP_4) | instskip(NEXT) | instid1(VALU_DEP_4)
	v_fma_f64 v[62:63], v[38:39], v[2:3], -v[56:57]
	v_fma_f64 v[82:83], v[40:41], v[2:3], v[4:5]
	ds_load_b128 v[2:5], v1 offset:1504
	ds_load_b128 v[56:59], v1 offset:1520
	scratch_load_b128 v[38:41], off, off offset:688
	v_fma_f64 v[44:45], v[44:45], v[6:7], v[60:61]
	v_fma_f64 v[42:43], v[42:43], v[6:7], -v[8:9]
	scratch_load_b128 v[6:9], off, off offset:704
	s_waitcnt vmcnt(10) lgkmcnt(1)
	v_mul_f64 v[165:166], v[2:3], v[12:13]
	v_mul_f64 v[12:13], v[4:5], v[12:13]
	v_add_f64 v[60:61], v[62:63], 0
	v_add_f64 v[62:63], v[82:83], 0
	s_waitcnt vmcnt(9) lgkmcnt(0)
	v_mul_f64 v[82:83], v[56:57], v[16:17]
	v_mul_f64 v[16:17], v[58:59], v[16:17]
	v_fma_f64 v[165:166], v[4:5], v[10:11], v[165:166]
	v_fma_f64 v[167:168], v[2:3], v[10:11], -v[12:13]
	ds_load_b128 v[2:5], v1 offset:1536
	scratch_load_b128 v[10:13], off, off offset:720
	v_add_f64 v[60:61], v[60:61], v[42:43]
	v_add_f64 v[62:63], v[62:63], v[44:45]
	ds_load_b128 v[42:45], v1 offset:1552
	v_fma_f64 v[58:59], v[58:59], v[14:15], v[82:83]
	v_fma_f64 v[56:57], v[56:57], v[14:15], -v[16:17]
	scratch_load_b128 v[14:17], off, off offset:736
	s_waitcnt vmcnt(10) lgkmcnt(1)
	v_mul_f64 v[169:170], v[2:3], v[20:21]
	v_mul_f64 v[20:21], v[4:5], v[20:21]
	s_waitcnt vmcnt(9) lgkmcnt(0)
	v_mul_f64 v[82:83], v[42:43], v[24:25]
	v_mul_f64 v[24:25], v[44:45], v[24:25]
	v_add_f64 v[60:61], v[60:61], v[167:168]
	v_add_f64 v[62:63], v[62:63], v[165:166]
	v_fma_f64 v[165:166], v[4:5], v[18:19], v[169:170]
	v_fma_f64 v[167:168], v[2:3], v[18:19], -v[20:21]
	ds_load_b128 v[2:5], v1 offset:1568
	scratch_load_b128 v[18:21], off, off offset:752
	v_fma_f64 v[44:45], v[44:45], v[22:23], v[82:83]
	v_fma_f64 v[42:43], v[42:43], v[22:23], -v[24:25]
	scratch_load_b128 v[22:25], off, off offset:768
	v_add_f64 v[60:61], v[60:61], v[56:57]
	v_add_f64 v[62:63], v[62:63], v[58:59]
	ds_load_b128 v[56:59], v1 offset:1584
	s_waitcnt vmcnt(10) lgkmcnt(1)
	v_mul_f64 v[169:170], v[2:3], v[28:29]
	v_mul_f64 v[28:29], v[4:5], v[28:29]
	s_waitcnt vmcnt(9) lgkmcnt(0)
	v_mul_f64 v[82:83], v[56:57], v[32:33]
	v_mul_f64 v[32:33], v[58:59], v[32:33]
	v_add_f64 v[60:61], v[60:61], v[167:168]
	v_add_f64 v[62:63], v[62:63], v[165:166]
	v_fma_f64 v[165:166], v[4:5], v[26:27], v[169:170]
	v_fma_f64 v[167:168], v[2:3], v[26:27], -v[28:29]
	ds_load_b128 v[2:5], v1 offset:1600
	scratch_load_b128 v[26:29], off, off offset:784
	v_fma_f64 v[58:59], v[58:59], v[30:31], v[82:83]
	v_fma_f64 v[56:57], v[56:57], v[30:31], -v[32:33]
	scratch_load_b128 v[30:33], off, off offset:800
	v_add_f64 v[60:61], v[60:61], v[42:43]
	v_add_f64 v[62:63], v[62:63], v[44:45]
	ds_load_b128 v[42:45], v1 offset:1616
	s_waitcnt vmcnt(10) lgkmcnt(1)
	v_mul_f64 v[169:170], v[2:3], v[36:37]
	v_mul_f64 v[36:37], v[4:5], v[36:37]
	s_waitcnt vmcnt(8) lgkmcnt(0)
	v_mul_f64 v[82:83], v[42:43], v[54:55]
	v_add_f64 v[60:61], v[60:61], v[167:168]
	v_add_f64 v[62:63], v[62:63], v[165:166]
	v_mul_f64 v[165:166], v[44:45], v[54:55]
	v_fma_f64 v[167:168], v[4:5], v[34:35], v[169:170]
	v_fma_f64 v[169:170], v[2:3], v[34:35], -v[36:37]
	ds_load_b128 v[2:5], v1 offset:1632
	scratch_load_b128 v[34:37], off, off offset:816
	v_fma_f64 v[44:45], v[44:45], v[52:53], v[82:83]
	v_add_f64 v[60:61], v[60:61], v[56:57]
	v_add_f64 v[58:59], v[62:63], v[58:59]
	ds_load_b128 v[54:57], v1 offset:1648
	v_fma_f64 v[52:53], v[42:43], v[52:53], -v[165:166]
	s_waitcnt vmcnt(8) lgkmcnt(1)
	v_mul_f64 v[62:63], v[2:3], v[40:41]
	v_mul_f64 v[171:172], v[4:5], v[40:41]
	scratch_load_b128 v[40:43], off, off offset:832
	s_waitcnt vmcnt(8) lgkmcnt(0)
	v_mul_f64 v[82:83], v[54:55], v[8:9]
	v_mul_f64 v[8:9], v[56:57], v[8:9]
	v_add_f64 v[60:61], v[60:61], v[169:170]
	v_add_f64 v[58:59], v[58:59], v[167:168]
	v_fma_f64 v[62:63], v[4:5], v[38:39], v[62:63]
	v_fma_f64 v[38:39], v[2:3], v[38:39], -v[171:172]
	ds_load_b128 v[2:5], v1 offset:1664
	v_fma_f64 v[56:57], v[56:57], v[6:7], v[82:83]
	v_fma_f64 v[54:55], v[54:55], v[6:7], -v[8:9]
	scratch_load_b128 v[6:9], off, off offset:864
	v_add_f64 v[52:53], v[60:61], v[52:53]
	v_add_f64 v[44:45], v[58:59], v[44:45]
	scratch_load_b128 v[58:61], off, off offset:848
	s_waitcnt vmcnt(9) lgkmcnt(0)
	v_mul_f64 v[165:166], v[2:3], v[12:13]
	v_mul_f64 v[12:13], v[4:5], v[12:13]
	v_add_f64 v[38:39], v[52:53], v[38:39]
	v_add_f64 v[44:45], v[44:45], v[62:63]
	s_waitcnt vmcnt(8)
	v_mul_f64 v[62:63], v[197:198], v[16:17]
	v_mul_f64 v[16:17], v[199:200], v[16:17]
	v_fma_f64 v[82:83], v[4:5], v[10:11], v[165:166]
	v_fma_f64 v[165:166], v[2:3], v[10:11], -v[12:13]
	ds_load_b128 v[2:5], v1 offset:1696
	scratch_load_b128 v[10:13], off, off offset:880
	v_add_f64 v[38:39], v[38:39], v[54:55]
	v_add_f64 v[44:45], v[44:45], v[56:57]
	ds_load_b128 v[52:55], v1 offset:1712
	s_waitcnt vmcnt(8) lgkmcnt(1)
	v_mul_f64 v[56:57], v[2:3], v[20:21]
	v_mul_f64 v[20:21], v[4:5], v[20:21]
	v_fma_f64 v[62:63], v[199:200], v[14:15], v[62:63]
	v_fma_f64 v[167:168], v[197:198], v[14:15], -v[16:17]
	scratch_load_b128 v[14:17], off, off offset:896
	ds_load_b128 v[197:200], v1 offset:1744
	v_add_f64 v[38:39], v[38:39], v[165:166]
	v_add_f64 v[44:45], v[44:45], v[82:83]
	s_waitcnt vmcnt(8) lgkmcnt(1)
	v_mul_f64 v[82:83], v[52:53], v[24:25]
	v_mul_f64 v[24:25], v[54:55], v[24:25]
	v_fma_f64 v[56:57], v[4:5], v[18:19], v[56:57]
	v_fma_f64 v[165:166], v[2:3], v[18:19], -v[20:21]
	ds_load_b128 v[2:5], v1 offset:1728
	scratch_load_b128 v[18:21], off, off offset:912
	v_add_f64 v[38:39], v[38:39], v[167:168]
	v_add_f64 v[44:45], v[44:45], v[62:63]
	s_waitcnt vmcnt(8) lgkmcnt(0)
	v_mul_f64 v[62:63], v[2:3], v[28:29]
	v_mul_f64 v[28:29], v[4:5], v[28:29]
	v_fma_f64 v[54:55], v[54:55], v[22:23], v[82:83]
	v_fma_f64 v[52:53], v[52:53], v[22:23], -v[24:25]
	scratch_load_b128 v[22:25], off, off offset:928
	v_add_f64 v[38:39], v[38:39], v[165:166]
	v_add_f64 v[44:45], v[44:45], v[56:57]
	s_waitcnt vmcnt(8)
	v_mul_f64 v[56:57], v[197:198], v[32:33]
	v_mul_f64 v[32:33], v[199:200], v[32:33]
	v_fma_f64 v[62:63], v[4:5], v[26:27], v[62:63]
	v_fma_f64 v[82:83], v[2:3], v[26:27], -v[28:29]
	ds_load_b128 v[2:5], v1 offset:1760
	ds_load_b128 v[26:29], v1 offset:1776
	v_add_f64 v[38:39], v[38:39], v[52:53]
	v_add_f64 v[44:45], v[44:45], v[54:55]
	s_waitcnt vmcnt(7) lgkmcnt(1)
	v_mul_f64 v[52:53], v[2:3], v[36:37]
	v_mul_f64 v[36:37], v[4:5], v[36:37]
	v_fma_f64 v[54:55], v[199:200], v[30:31], v[56:57]
	v_fma_f64 v[30:31], v[197:198], v[30:31], -v[32:33]
	v_add_f64 v[32:33], v[38:39], v[82:83]
	v_add_f64 v[38:39], v[44:45], v[62:63]
	s_waitcnt vmcnt(6) lgkmcnt(0)
	v_mul_f64 v[44:45], v[26:27], v[42:43]
	v_mul_f64 v[42:43], v[28:29], v[42:43]
	v_fma_f64 v[52:53], v[4:5], v[34:35], v[52:53]
	v_fma_f64 v[34:35], v[2:3], v[34:35], -v[36:37]
	v_add_f64 v[36:37], v[32:33], v[30:31]
	v_add_f64 v[38:39], v[38:39], v[54:55]
	ds_load_b128 v[2:5], v1 offset:1792
	ds_load_b128 v[30:33], v1 offset:1808
	v_fma_f64 v[28:29], v[28:29], v[40:41], v[44:45]
	v_fma_f64 v[26:27], v[26:27], v[40:41], -v[42:43]
	s_waitcnt vmcnt(4) lgkmcnt(1)
	v_mul_f64 v[54:55], v[2:3], v[60:61]
	v_mul_f64 v[56:57], v[4:5], v[60:61]
	v_add_f64 v[34:35], v[36:37], v[34:35]
	v_add_f64 v[36:37], v[38:39], v[52:53]
	s_waitcnt lgkmcnt(0)
	v_mul_f64 v[38:39], v[30:31], v[8:9]
	v_mul_f64 v[8:9], v[32:33], v[8:9]
	v_fma_f64 v[40:41], v[4:5], v[58:59], v[54:55]
	v_fma_f64 v[42:43], v[2:3], v[58:59], -v[56:57]
	v_add_f64 v[34:35], v[34:35], v[26:27]
	v_add_f64 v[36:37], v[36:37], v[28:29]
	ds_load_b128 v[2:5], v1 offset:1824
	ds_load_b128 v[26:29], v1 offset:1840
	v_fma_f64 v[32:33], v[32:33], v[6:7], v[38:39]
	v_fma_f64 v[6:7], v[30:31], v[6:7], -v[8:9]
	s_waitcnt vmcnt(3) lgkmcnt(1)
	v_mul_f64 v[44:45], v[2:3], v[12:13]
	v_mul_f64 v[12:13], v[4:5], v[12:13]
	v_add_f64 v[8:9], v[34:35], v[42:43]
	v_add_f64 v[30:31], v[36:37], v[40:41]
	s_waitcnt vmcnt(2) lgkmcnt(0)
	v_mul_f64 v[34:35], v[26:27], v[16:17]
	v_mul_f64 v[16:17], v[28:29], v[16:17]
	v_fma_f64 v[36:37], v[4:5], v[10:11], v[44:45]
	v_fma_f64 v[10:11], v[2:3], v[10:11], -v[12:13]
	v_add_f64 v[12:13], v[8:9], v[6:7]
	v_add_f64 v[30:31], v[30:31], v[32:33]
	ds_load_b128 v[2:5], v1 offset:1856
	ds_load_b128 v[6:9], v1 offset:1872
	v_fma_f64 v[28:29], v[28:29], v[14:15], v[34:35]
	v_fma_f64 v[14:15], v[26:27], v[14:15], -v[16:17]
	s_waitcnt vmcnt(1) lgkmcnt(1)
	v_mul_f64 v[32:33], v[2:3], v[20:21]
	v_mul_f64 v[20:21], v[4:5], v[20:21]
	s_waitcnt vmcnt(0) lgkmcnt(0)
	v_mul_f64 v[16:17], v[6:7], v[24:25]
	v_mul_f64 v[24:25], v[8:9], v[24:25]
	v_add_f64 v[10:11], v[12:13], v[10:11]
	v_add_f64 v[12:13], v[30:31], v[36:37]
	v_fma_f64 v[4:5], v[4:5], v[18:19], v[32:33]
	v_fma_f64 v[1:2], v[2:3], v[18:19], -v[20:21]
	v_fma_f64 v[8:9], v[8:9], v[22:23], v[16:17]
	v_fma_f64 v[6:7], v[6:7], v[22:23], -v[24:25]
	v_add_f64 v[10:11], v[10:11], v[14:15]
	v_add_f64 v[12:13], v[12:13], v[28:29]
	s_delay_alu instid0(VALU_DEP_2) | instskip(NEXT) | instid1(VALU_DEP_2)
	v_add_f64 v[1:2], v[10:11], v[1:2]
	v_add_f64 v[3:4], v[12:13], v[4:5]
	s_delay_alu instid0(VALU_DEP_2) | instskip(NEXT) | instid1(VALU_DEP_2)
	;; [unrolled: 3-line block ×3, first 2 shown]
	v_add_f64 v[1:2], v[48:49], -v[1:2]
	v_add_f64 v[3:4], v[50:51], -v[3:4]
	scratch_store_b128 off, v[1:4], off offset:512
	v_cmpx_lt_u32_e32 31, v164
	s_cbranch_execz .LBB122_305
; %bb.304:
	scratch_load_b32 v1, off, off offset:968 ; 4-byte Folded Reload
	v_mov_b32_e32 v5, 0
	s_delay_alu instid0(VALU_DEP_1)
	v_mov_b32_e32 v6, v5
	v_mov_b32_e32 v7, v5
	;; [unrolled: 1-line block ×3, first 2 shown]
	s_waitcnt vmcnt(0)
	scratch_load_b128 v[1:4], v1, off
	scratch_store_b128 off, v[5:8], off offset:496
	s_waitcnt vmcnt(0)
	ds_store_b128 v223, v[1:4]
.LBB122_305:
	s_or_b32 exec_lo, exec_lo, s2
	s_waitcnt lgkmcnt(0)
	s_waitcnt_vscnt null, 0x0
	s_barrier
	buffer_gl0_inv
	s_clause 0x7
	scratch_load_b128 v[2:5], off, off offset:512
	scratch_load_b128 v[6:9], off, off offset:528
	;; [unrolled: 1-line block ×8, first 2 shown]
	v_mov_b32_e32 v1, 0
	s_mov_b32 s2, exec_lo
	ds_load_b128 v[38:41], v1 offset:1456
	s_clause 0x1
	scratch_load_b128 v[34:37], off, off offset:640
	scratch_load_b128 v[42:45], off, off offset:496
	ds_load_b128 v[48:51], v1 offset:1472
	scratch_load_b128 v[52:55], off, off offset:656
	s_waitcnt vmcnt(10) lgkmcnt(1)
	v_mul_f64 v[56:57], v[40:41], v[4:5]
	v_mul_f64 v[4:5], v[38:39], v[4:5]
	s_delay_alu instid0(VALU_DEP_2) | instskip(NEXT) | instid1(VALU_DEP_2)
	v_fma_f64 v[62:63], v[38:39], v[2:3], -v[56:57]
	v_fma_f64 v[82:83], v[40:41], v[2:3], v[4:5]
	scratch_load_b128 v[38:41], off, off offset:672
	ds_load_b128 v[2:5], v1 offset:1488
	s_waitcnt vmcnt(10) lgkmcnt(1)
	v_mul_f64 v[60:61], v[48:49], v[8:9]
	v_mul_f64 v[8:9], v[50:51], v[8:9]
	ds_load_b128 v[56:59], v1 offset:1504
	s_waitcnt vmcnt(9) lgkmcnt(1)
	v_mul_f64 v[165:166], v[2:3], v[12:13]
	v_mul_f64 v[12:13], v[4:5], v[12:13]
	v_fma_f64 v[50:51], v[50:51], v[6:7], v[60:61]
	v_fma_f64 v[48:49], v[48:49], v[6:7], -v[8:9]
	v_add_f64 v[60:61], v[62:63], 0
	v_add_f64 v[62:63], v[82:83], 0
	scratch_load_b128 v[6:9], off, off offset:688
	v_fma_f64 v[165:166], v[4:5], v[10:11], v[165:166]
	v_fma_f64 v[167:168], v[2:3], v[10:11], -v[12:13]
	scratch_load_b128 v[10:13], off, off offset:704
	ds_load_b128 v[2:5], v1 offset:1520
	s_waitcnt vmcnt(10) lgkmcnt(1)
	v_mul_f64 v[82:83], v[56:57], v[16:17]
	v_mul_f64 v[16:17], v[58:59], v[16:17]
	v_add_f64 v[60:61], v[60:61], v[48:49]
	v_add_f64 v[62:63], v[62:63], v[50:51]
	s_waitcnt vmcnt(9) lgkmcnt(0)
	v_mul_f64 v[169:170], v[2:3], v[20:21]
	v_mul_f64 v[20:21], v[4:5], v[20:21]
	ds_load_b128 v[48:51], v1 offset:1536
	v_fma_f64 v[58:59], v[58:59], v[14:15], v[82:83]
	v_fma_f64 v[56:57], v[56:57], v[14:15], -v[16:17]
	scratch_load_b128 v[14:17], off, off offset:720
	v_add_f64 v[60:61], v[60:61], v[167:168]
	v_add_f64 v[62:63], v[62:63], v[165:166]
	v_fma_f64 v[165:166], v[4:5], v[18:19], v[169:170]
	v_fma_f64 v[167:168], v[2:3], v[18:19], -v[20:21]
	scratch_load_b128 v[18:21], off, off offset:736
	ds_load_b128 v[2:5], v1 offset:1552
	s_waitcnt vmcnt(10) lgkmcnt(1)
	v_mul_f64 v[82:83], v[48:49], v[24:25]
	v_mul_f64 v[24:25], v[50:51], v[24:25]
	s_waitcnt vmcnt(9) lgkmcnt(0)
	v_mul_f64 v[169:170], v[2:3], v[28:29]
	v_mul_f64 v[28:29], v[4:5], v[28:29]
	v_add_f64 v[60:61], v[60:61], v[56:57]
	v_add_f64 v[62:63], v[62:63], v[58:59]
	ds_load_b128 v[56:59], v1 offset:1568
	v_fma_f64 v[50:51], v[50:51], v[22:23], v[82:83]
	v_fma_f64 v[48:49], v[48:49], v[22:23], -v[24:25]
	scratch_load_b128 v[22:25], off, off offset:752
	v_add_f64 v[60:61], v[60:61], v[167:168]
	v_add_f64 v[62:63], v[62:63], v[165:166]
	v_fma_f64 v[165:166], v[4:5], v[26:27], v[169:170]
	v_fma_f64 v[167:168], v[2:3], v[26:27], -v[28:29]
	scratch_load_b128 v[26:29], off, off offset:768
	ds_load_b128 v[2:5], v1 offset:1584
	s_waitcnt vmcnt(10) lgkmcnt(1)
	v_mul_f64 v[82:83], v[56:57], v[32:33]
	v_mul_f64 v[32:33], v[58:59], v[32:33]
	s_waitcnt vmcnt(9) lgkmcnt(0)
	v_mul_f64 v[169:170], v[2:3], v[36:37]
	v_mul_f64 v[36:37], v[4:5], v[36:37]
	v_add_f64 v[60:61], v[60:61], v[48:49]
	v_add_f64 v[62:63], v[62:63], v[50:51]
	ds_load_b128 v[48:51], v1 offset:1600
	v_fma_f64 v[58:59], v[58:59], v[30:31], v[82:83]
	v_fma_f64 v[56:57], v[56:57], v[30:31], -v[32:33]
	scratch_load_b128 v[30:33], off, off offset:784
	v_add_f64 v[60:61], v[60:61], v[167:168]
	v_add_f64 v[62:63], v[62:63], v[165:166]
	v_fma_f64 v[167:168], v[4:5], v[34:35], v[169:170]
	v_fma_f64 v[169:170], v[2:3], v[34:35], -v[36:37]
	scratch_load_b128 v[34:37], off, off offset:800
	ds_load_b128 v[2:5], v1 offset:1616
	s_waitcnt vmcnt(9) lgkmcnt(1)
	v_mul_f64 v[82:83], v[48:49], v[54:55]
	v_mul_f64 v[165:166], v[50:51], v[54:55]
	v_add_f64 v[60:61], v[60:61], v[56:57]
	v_add_f64 v[58:59], v[62:63], v[58:59]
	ds_load_b128 v[54:57], v1 offset:1632
	v_fma_f64 v[82:83], v[50:51], v[52:53], v[82:83]
	v_fma_f64 v[52:53], v[48:49], v[52:53], -v[165:166]
	scratch_load_b128 v[48:51], off, off offset:816
	s_waitcnt vmcnt(9) lgkmcnt(1)
	v_mul_f64 v[62:63], v[2:3], v[40:41]
	v_mul_f64 v[40:41], v[4:5], v[40:41]
	v_add_f64 v[60:61], v[60:61], v[169:170]
	v_add_f64 v[58:59], v[58:59], v[167:168]
	s_delay_alu instid0(VALU_DEP_4) | instskip(NEXT) | instid1(VALU_DEP_4)
	v_fma_f64 v[62:63], v[4:5], v[38:39], v[62:63]
	v_fma_f64 v[167:168], v[2:3], v[38:39], -v[40:41]
	scratch_load_b128 v[38:41], off, off offset:832
	ds_load_b128 v[2:5], v1 offset:1648
	s_waitcnt vmcnt(9) lgkmcnt(1)
	v_mul_f64 v[165:166], v[54:55], v[8:9]
	v_mul_f64 v[8:9], v[56:57], v[8:9]
	s_waitcnt vmcnt(8) lgkmcnt(0)
	v_mul_f64 v[169:170], v[2:3], v[12:13]
	v_mul_f64 v[12:13], v[4:5], v[12:13]
	v_add_f64 v[52:53], v[60:61], v[52:53]
	v_add_f64 v[82:83], v[58:59], v[82:83]
	ds_load_b128 v[58:61], v1 offset:1664
	v_fma_f64 v[56:57], v[56:57], v[6:7], v[165:166]
	v_fma_f64 v[54:55], v[54:55], v[6:7], -v[8:9]
	scratch_load_b128 v[6:9], off, off offset:848
	v_fma_f64 v[165:166], v[4:5], v[10:11], v[169:170]
	v_add_f64 v[52:53], v[52:53], v[167:168]
	v_add_f64 v[62:63], v[82:83], v[62:63]
	v_fma_f64 v[167:168], v[2:3], v[10:11], -v[12:13]
	scratch_load_b128 v[10:13], off, off offset:864
	ds_load_b128 v[2:5], v1 offset:1680
	s_waitcnt vmcnt(9) lgkmcnt(1)
	v_mul_f64 v[82:83], v[58:59], v[16:17]
	v_mul_f64 v[16:17], v[60:61], v[16:17]
	v_add_f64 v[169:170], v[52:53], v[54:55]
	v_add_f64 v[56:57], v[62:63], v[56:57]
	s_waitcnt vmcnt(8) lgkmcnt(0)
	v_mul_f64 v[62:63], v[2:3], v[20:21]
	v_mul_f64 v[20:21], v[4:5], v[20:21]
	ds_load_b128 v[52:55], v1 offset:1696
	v_fma_f64 v[60:61], v[60:61], v[14:15], v[82:83]
	v_fma_f64 v[58:59], v[58:59], v[14:15], -v[16:17]
	scratch_load_b128 v[14:17], off, off offset:880
	v_add_f64 v[82:83], v[169:170], v[167:168]
	v_add_f64 v[56:57], v[56:57], v[165:166]
	v_fma_f64 v[62:63], v[4:5], v[18:19], v[62:63]
	v_fma_f64 v[167:168], v[2:3], v[18:19], -v[20:21]
	scratch_load_b128 v[18:21], off, off offset:896
	ds_load_b128 v[2:5], v1 offset:1712
	s_waitcnt vmcnt(9) lgkmcnt(1)
	v_mul_f64 v[165:166], v[52:53], v[24:25]
	v_mul_f64 v[24:25], v[54:55], v[24:25]
	s_waitcnt vmcnt(8) lgkmcnt(0)
	v_mul_f64 v[169:170], v[2:3], v[28:29]
	v_mul_f64 v[28:29], v[4:5], v[28:29]
	v_add_f64 v[82:83], v[82:83], v[58:59]
	v_add_f64 v[60:61], v[56:57], v[60:61]
	ds_load_b128 v[56:59], v1 offset:1728
	v_fma_f64 v[54:55], v[54:55], v[22:23], v[165:166]
	v_fma_f64 v[52:53], v[52:53], v[22:23], -v[24:25]
	scratch_load_b128 v[22:25], off, off offset:912
	v_fma_f64 v[165:166], v[4:5], v[26:27], v[169:170]
	v_add_f64 v[82:83], v[82:83], v[167:168]
	v_add_f64 v[60:61], v[60:61], v[62:63]
	v_fma_f64 v[167:168], v[2:3], v[26:27], -v[28:29]
	scratch_load_b128 v[26:29], off, off offset:928
	ds_load_b128 v[2:5], v1 offset:1744
	s_waitcnt vmcnt(9) lgkmcnt(1)
	v_mul_f64 v[62:63], v[56:57], v[32:33]
	v_mul_f64 v[32:33], v[58:59], v[32:33]
	s_waitcnt vmcnt(8) lgkmcnt(0)
	v_mul_f64 v[169:170], v[2:3], v[36:37]
	v_mul_f64 v[36:37], v[4:5], v[36:37]
	v_add_f64 v[82:83], v[82:83], v[52:53]
	v_add_f64 v[60:61], v[60:61], v[54:55]
	ds_load_b128 v[52:55], v1 offset:1760
	v_fma_f64 v[58:59], v[58:59], v[30:31], v[62:63]
	v_fma_f64 v[30:31], v[56:57], v[30:31], -v[32:33]
	v_fma_f64 v[62:63], v[4:5], v[34:35], v[169:170]
	v_fma_f64 v[34:35], v[2:3], v[34:35], -v[36:37]
	v_add_f64 v[32:33], v[82:83], v[167:168]
	v_add_f64 v[56:57], v[60:61], v[165:166]
	s_waitcnt vmcnt(7) lgkmcnt(0)
	v_mul_f64 v[60:61], v[52:53], v[50:51]
	v_mul_f64 v[50:51], v[54:55], v[50:51]
	s_delay_alu instid0(VALU_DEP_4) | instskip(NEXT) | instid1(VALU_DEP_4)
	v_add_f64 v[36:37], v[32:33], v[30:31]
	v_add_f64 v[56:57], v[56:57], v[58:59]
	ds_load_b128 v[2:5], v1 offset:1776
	ds_load_b128 v[30:33], v1 offset:1792
	v_fma_f64 v[54:55], v[54:55], v[48:49], v[60:61]
	v_fma_f64 v[48:49], v[52:53], v[48:49], -v[50:51]
	s_waitcnt vmcnt(6) lgkmcnt(1)
	v_mul_f64 v[58:59], v[2:3], v[40:41]
	v_mul_f64 v[40:41], v[4:5], v[40:41]
	s_waitcnt vmcnt(5) lgkmcnt(0)
	v_mul_f64 v[50:51], v[30:31], v[8:9]
	v_mul_f64 v[8:9], v[32:33], v[8:9]
	v_add_f64 v[34:35], v[36:37], v[34:35]
	v_add_f64 v[36:37], v[56:57], v[62:63]
	v_fma_f64 v[52:53], v[4:5], v[38:39], v[58:59]
	v_fma_f64 v[38:39], v[2:3], v[38:39], -v[40:41]
	v_fma_f64 v[32:33], v[32:33], v[6:7], v[50:51]
	v_fma_f64 v[6:7], v[30:31], v[6:7], -v[8:9]
	v_add_f64 v[40:41], v[34:35], v[48:49]
	v_add_f64 v[48:49], v[36:37], v[54:55]
	ds_load_b128 v[2:5], v1 offset:1808
	ds_load_b128 v[34:37], v1 offset:1824
	s_waitcnt vmcnt(4) lgkmcnt(1)
	v_mul_f64 v[54:55], v[2:3], v[12:13]
	v_mul_f64 v[12:13], v[4:5], v[12:13]
	v_add_f64 v[8:9], v[40:41], v[38:39]
	v_add_f64 v[30:31], v[48:49], v[52:53]
	s_waitcnt vmcnt(3) lgkmcnt(0)
	v_mul_f64 v[38:39], v[34:35], v[16:17]
	v_mul_f64 v[16:17], v[36:37], v[16:17]
	v_fma_f64 v[40:41], v[4:5], v[10:11], v[54:55]
	v_fma_f64 v[10:11], v[2:3], v[10:11], -v[12:13]
	v_add_f64 v[12:13], v[8:9], v[6:7]
	v_add_f64 v[30:31], v[30:31], v[32:33]
	ds_load_b128 v[2:5], v1 offset:1840
	ds_load_b128 v[6:9], v1 offset:1856
	v_fma_f64 v[36:37], v[36:37], v[14:15], v[38:39]
	v_fma_f64 v[14:15], v[34:35], v[14:15], -v[16:17]
	s_waitcnt vmcnt(2) lgkmcnt(1)
	v_mul_f64 v[32:33], v[2:3], v[20:21]
	v_mul_f64 v[20:21], v[4:5], v[20:21]
	s_waitcnt vmcnt(1) lgkmcnt(0)
	v_mul_f64 v[16:17], v[6:7], v[24:25]
	v_mul_f64 v[24:25], v[8:9], v[24:25]
	v_add_f64 v[10:11], v[12:13], v[10:11]
	v_add_f64 v[12:13], v[30:31], v[40:41]
	v_fma_f64 v[30:31], v[4:5], v[18:19], v[32:33]
	v_fma_f64 v[18:19], v[2:3], v[18:19], -v[20:21]
	ds_load_b128 v[2:5], v1 offset:1872
	v_fma_f64 v[8:9], v[8:9], v[22:23], v[16:17]
	v_fma_f64 v[6:7], v[6:7], v[22:23], -v[24:25]
	v_add_f64 v[10:11], v[10:11], v[14:15]
	v_add_f64 v[12:13], v[12:13], v[36:37]
	s_waitcnt vmcnt(0) lgkmcnt(0)
	v_mul_f64 v[14:15], v[2:3], v[28:29]
	v_mul_f64 v[20:21], v[4:5], v[28:29]
	s_delay_alu instid0(VALU_DEP_4) | instskip(NEXT) | instid1(VALU_DEP_4)
	v_add_f64 v[10:11], v[10:11], v[18:19]
	v_add_f64 v[12:13], v[12:13], v[30:31]
	s_delay_alu instid0(VALU_DEP_4) | instskip(NEXT) | instid1(VALU_DEP_4)
	v_fma_f64 v[4:5], v[4:5], v[26:27], v[14:15]
	v_fma_f64 v[2:3], v[2:3], v[26:27], -v[20:21]
	s_delay_alu instid0(VALU_DEP_4) | instskip(NEXT) | instid1(VALU_DEP_4)
	v_add_f64 v[6:7], v[10:11], v[6:7]
	v_add_f64 v[8:9], v[12:13], v[8:9]
	s_delay_alu instid0(VALU_DEP_2) | instskip(NEXT) | instid1(VALU_DEP_2)
	v_add_f64 v[2:3], v[6:7], v[2:3]
	v_add_f64 v[4:5], v[8:9], v[4:5]
	s_delay_alu instid0(VALU_DEP_2) | instskip(NEXT) | instid1(VALU_DEP_2)
	v_add_f64 v[2:3], v[42:43], -v[2:3]
	v_add_f64 v[4:5], v[44:45], -v[4:5]
	scratch_store_b128 off, v[2:5], off offset:496
	v_cmpx_lt_u32_e32 30, v164
	s_cbranch_execz .LBB122_307
; %bb.306:
	scratch_load_b32 v2, off, off offset:972 ; 4-byte Folded Reload
	v_mov_b32_e32 v3, v1
	v_mov_b32_e32 v4, v1
	s_waitcnt vmcnt(0)
	scratch_load_b128 v[5:8], v2, off
	v_mov_b32_e32 v2, v1
	scratch_store_b128 off, v[1:4], off offset:480
	s_waitcnt vmcnt(0)
	ds_store_b128 v223, v[5:8]
.LBB122_307:
	s_or_b32 exec_lo, exec_lo, s2
	s_waitcnt lgkmcnt(0)
	s_waitcnt_vscnt null, 0x0
	s_barrier
	buffer_gl0_inv
	s_clause 0x8
	scratch_load_b128 v[2:5], off, off offset:496
	scratch_load_b128 v[6:9], off, off offset:512
	;; [unrolled: 1-line block ×9, first 2 shown]
	ds_load_b128 v[42:45], v1 offset:1440
	ds_load_b128 v[38:41], v1 offset:1456
	s_clause 0x1
	scratch_load_b128 v[48:51], off, off offset:480
	scratch_load_b128 v[52:55], off, off offset:640
	s_mov_b32 s2, exec_lo
	s_waitcnt vmcnt(10) lgkmcnt(1)
	v_mul_f64 v[56:57], v[44:45], v[4:5]
	v_mul_f64 v[4:5], v[42:43], v[4:5]
	s_waitcnt vmcnt(9) lgkmcnt(0)
	v_mul_f64 v[60:61], v[38:39], v[8:9]
	v_mul_f64 v[8:9], v[40:41], v[8:9]
	s_delay_alu instid0(VALU_DEP_4) | instskip(NEXT) | instid1(VALU_DEP_4)
	v_fma_f64 v[62:63], v[42:43], v[2:3], -v[56:57]
	v_fma_f64 v[82:83], v[44:45], v[2:3], v[4:5]
	ds_load_b128 v[2:5], v1 offset:1472
	ds_load_b128 v[56:59], v1 offset:1488
	scratch_load_b128 v[42:45], off, off offset:656
	v_fma_f64 v[40:41], v[40:41], v[6:7], v[60:61]
	v_fma_f64 v[38:39], v[38:39], v[6:7], -v[8:9]
	scratch_load_b128 v[6:9], off, off offset:672
	s_waitcnt vmcnt(10) lgkmcnt(1)
	v_mul_f64 v[165:166], v[2:3], v[12:13]
	v_mul_f64 v[12:13], v[4:5], v[12:13]
	v_add_f64 v[60:61], v[62:63], 0
	v_add_f64 v[62:63], v[82:83], 0
	s_waitcnt vmcnt(9) lgkmcnt(0)
	v_mul_f64 v[82:83], v[56:57], v[16:17]
	v_mul_f64 v[16:17], v[58:59], v[16:17]
	v_fma_f64 v[165:166], v[4:5], v[10:11], v[165:166]
	v_fma_f64 v[167:168], v[2:3], v[10:11], -v[12:13]
	ds_load_b128 v[2:5], v1 offset:1504
	scratch_load_b128 v[10:13], off, off offset:688
	v_add_f64 v[60:61], v[60:61], v[38:39]
	v_add_f64 v[62:63], v[62:63], v[40:41]
	ds_load_b128 v[38:41], v1 offset:1520
	v_fma_f64 v[58:59], v[58:59], v[14:15], v[82:83]
	v_fma_f64 v[56:57], v[56:57], v[14:15], -v[16:17]
	scratch_load_b128 v[14:17], off, off offset:704
	s_waitcnt vmcnt(10) lgkmcnt(1)
	v_mul_f64 v[169:170], v[2:3], v[20:21]
	v_mul_f64 v[20:21], v[4:5], v[20:21]
	s_waitcnt vmcnt(9) lgkmcnt(0)
	v_mul_f64 v[82:83], v[38:39], v[24:25]
	v_mul_f64 v[24:25], v[40:41], v[24:25]
	v_add_f64 v[60:61], v[60:61], v[167:168]
	v_add_f64 v[62:63], v[62:63], v[165:166]
	v_fma_f64 v[165:166], v[4:5], v[18:19], v[169:170]
	v_fma_f64 v[167:168], v[2:3], v[18:19], -v[20:21]
	ds_load_b128 v[2:5], v1 offset:1536
	scratch_load_b128 v[18:21], off, off offset:720
	v_fma_f64 v[40:41], v[40:41], v[22:23], v[82:83]
	v_fma_f64 v[38:39], v[38:39], v[22:23], -v[24:25]
	scratch_load_b128 v[22:25], off, off offset:736
	v_add_f64 v[60:61], v[60:61], v[56:57]
	v_add_f64 v[62:63], v[62:63], v[58:59]
	ds_load_b128 v[56:59], v1 offset:1552
	s_waitcnt vmcnt(10) lgkmcnt(1)
	v_mul_f64 v[169:170], v[2:3], v[28:29]
	v_mul_f64 v[28:29], v[4:5], v[28:29]
	s_waitcnt vmcnt(9) lgkmcnt(0)
	v_mul_f64 v[82:83], v[56:57], v[32:33]
	v_mul_f64 v[32:33], v[58:59], v[32:33]
	v_add_f64 v[60:61], v[60:61], v[167:168]
	v_add_f64 v[62:63], v[62:63], v[165:166]
	v_fma_f64 v[165:166], v[4:5], v[26:27], v[169:170]
	v_fma_f64 v[167:168], v[2:3], v[26:27], -v[28:29]
	ds_load_b128 v[2:5], v1 offset:1568
	scratch_load_b128 v[26:29], off, off offset:752
	v_fma_f64 v[58:59], v[58:59], v[30:31], v[82:83]
	v_fma_f64 v[56:57], v[56:57], v[30:31], -v[32:33]
	scratch_load_b128 v[30:33], off, off offset:768
	v_add_f64 v[60:61], v[60:61], v[38:39]
	v_add_f64 v[62:63], v[62:63], v[40:41]
	ds_load_b128 v[38:41], v1 offset:1584
	s_waitcnt vmcnt(10) lgkmcnt(1)
	v_mul_f64 v[169:170], v[2:3], v[36:37]
	v_mul_f64 v[36:37], v[4:5], v[36:37]
	s_waitcnt vmcnt(8) lgkmcnt(0)
	v_mul_f64 v[82:83], v[38:39], v[54:55]
	v_add_f64 v[60:61], v[60:61], v[167:168]
	v_add_f64 v[62:63], v[62:63], v[165:166]
	v_mul_f64 v[165:166], v[40:41], v[54:55]
	v_fma_f64 v[167:168], v[4:5], v[34:35], v[169:170]
	v_fma_f64 v[169:170], v[2:3], v[34:35], -v[36:37]
	ds_load_b128 v[2:5], v1 offset:1600
	scratch_load_b128 v[34:37], off, off offset:784
	v_fma_f64 v[82:83], v[40:41], v[52:53], v[82:83]
	v_add_f64 v[60:61], v[60:61], v[56:57]
	v_add_f64 v[58:59], v[62:63], v[58:59]
	ds_load_b128 v[54:57], v1 offset:1616
	v_fma_f64 v[52:53], v[38:39], v[52:53], -v[165:166]
	scratch_load_b128 v[38:41], off, off offset:800
	s_waitcnt vmcnt(9) lgkmcnt(1)
	v_mul_f64 v[62:63], v[2:3], v[44:45]
	v_mul_f64 v[44:45], v[4:5], v[44:45]
	s_waitcnt vmcnt(8) lgkmcnt(0)
	v_mul_f64 v[165:166], v[54:55], v[8:9]
	v_mul_f64 v[8:9], v[56:57], v[8:9]
	v_add_f64 v[60:61], v[60:61], v[169:170]
	v_add_f64 v[58:59], v[58:59], v[167:168]
	v_fma_f64 v[62:63], v[4:5], v[42:43], v[62:63]
	v_fma_f64 v[167:168], v[2:3], v[42:43], -v[44:45]
	ds_load_b128 v[2:5], v1 offset:1632
	scratch_load_b128 v[42:45], off, off offset:816
	v_fma_f64 v[56:57], v[56:57], v[6:7], v[165:166]
	v_fma_f64 v[54:55], v[54:55], v[6:7], -v[8:9]
	scratch_load_b128 v[6:9], off, off offset:832
	v_add_f64 v[52:53], v[60:61], v[52:53]
	v_add_f64 v[82:83], v[58:59], v[82:83]
	ds_load_b128 v[58:61], v1 offset:1648
	s_waitcnt vmcnt(9) lgkmcnt(1)
	v_mul_f64 v[169:170], v[2:3], v[12:13]
	v_mul_f64 v[12:13], v[4:5], v[12:13]
	v_add_f64 v[52:53], v[52:53], v[167:168]
	v_add_f64 v[62:63], v[82:83], v[62:63]
	s_waitcnt vmcnt(8) lgkmcnt(0)
	v_mul_f64 v[82:83], v[58:59], v[16:17]
	v_mul_f64 v[16:17], v[60:61], v[16:17]
	v_fma_f64 v[165:166], v[4:5], v[10:11], v[169:170]
	v_fma_f64 v[167:168], v[2:3], v[10:11], -v[12:13]
	ds_load_b128 v[2:5], v1 offset:1664
	scratch_load_b128 v[10:13], off, off offset:848
	v_add_f64 v[169:170], v[52:53], v[54:55]
	v_add_f64 v[56:57], v[62:63], v[56:57]
	ds_load_b128 v[52:55], v1 offset:1680
	s_waitcnt vmcnt(8) lgkmcnt(1)
	v_mul_f64 v[62:63], v[2:3], v[20:21]
	v_mul_f64 v[20:21], v[4:5], v[20:21]
	v_fma_f64 v[60:61], v[60:61], v[14:15], v[82:83]
	v_fma_f64 v[58:59], v[58:59], v[14:15], -v[16:17]
	scratch_load_b128 v[14:17], off, off offset:864
	v_add_f64 v[82:83], v[169:170], v[167:168]
	v_add_f64 v[56:57], v[56:57], v[165:166]
	s_waitcnt vmcnt(8) lgkmcnt(0)
	v_mul_f64 v[165:166], v[52:53], v[24:25]
	v_mul_f64 v[24:25], v[54:55], v[24:25]
	v_fma_f64 v[62:63], v[4:5], v[18:19], v[62:63]
	v_fma_f64 v[167:168], v[2:3], v[18:19], -v[20:21]
	ds_load_b128 v[2:5], v1 offset:1696
	scratch_load_b128 v[18:21], off, off offset:880
	v_add_f64 v[82:83], v[82:83], v[58:59]
	v_add_f64 v[60:61], v[56:57], v[60:61]
	ds_load_b128 v[56:59], v1 offset:1712
	s_waitcnt vmcnt(8) lgkmcnt(1)
	v_mul_f64 v[169:170], v[2:3], v[28:29]
	v_mul_f64 v[28:29], v[4:5], v[28:29]
	v_fma_f64 v[54:55], v[54:55], v[22:23], v[165:166]
	v_fma_f64 v[52:53], v[52:53], v[22:23], -v[24:25]
	scratch_load_b128 v[22:25], off, off offset:896
	;; [unrolled: 18-line block ×3, first 2 shown]
	v_add_f64 v[62:63], v[82:83], v[167:168]
	v_add_f64 v[60:61], v[60:61], v[165:166]
	s_waitcnt vmcnt(8) lgkmcnt(0)
	v_mul_f64 v[82:83], v[52:53], v[40:41]
	v_mul_f64 v[40:41], v[54:55], v[40:41]
	v_fma_f64 v[165:166], v[4:5], v[34:35], v[169:170]
	v_fma_f64 v[167:168], v[2:3], v[34:35], -v[36:37]
	ds_load_b128 v[2:5], v1 offset:1760
	ds_load_b128 v[34:37], v1 offset:1776
	v_add_f64 v[56:57], v[62:63], v[56:57]
	v_add_f64 v[58:59], v[60:61], v[58:59]
	s_waitcnt vmcnt(7) lgkmcnt(1)
	v_mul_f64 v[60:61], v[2:3], v[44:45]
	v_mul_f64 v[44:45], v[4:5], v[44:45]
	v_fma_f64 v[54:55], v[54:55], v[38:39], v[82:83]
	v_fma_f64 v[38:39], v[52:53], v[38:39], -v[40:41]
	v_add_f64 v[40:41], v[56:57], v[167:168]
	v_add_f64 v[52:53], v[58:59], v[165:166]
	s_waitcnt vmcnt(6) lgkmcnt(0)
	v_mul_f64 v[56:57], v[34:35], v[8:9]
	v_mul_f64 v[8:9], v[36:37], v[8:9]
	v_fma_f64 v[58:59], v[4:5], v[42:43], v[60:61]
	v_fma_f64 v[42:43], v[2:3], v[42:43], -v[44:45]
	v_add_f64 v[44:45], v[40:41], v[38:39]
	v_add_f64 v[52:53], v[52:53], v[54:55]
	ds_load_b128 v[2:5], v1 offset:1792
	ds_load_b128 v[38:41], v1 offset:1808
	v_fma_f64 v[36:37], v[36:37], v[6:7], v[56:57]
	v_fma_f64 v[6:7], v[34:35], v[6:7], -v[8:9]
	s_waitcnt vmcnt(5) lgkmcnt(1)
	v_mul_f64 v[54:55], v[2:3], v[12:13]
	v_mul_f64 v[12:13], v[4:5], v[12:13]
	v_add_f64 v[8:9], v[44:45], v[42:43]
	v_add_f64 v[34:35], v[52:53], v[58:59]
	s_waitcnt vmcnt(4) lgkmcnt(0)
	v_mul_f64 v[42:43], v[38:39], v[16:17]
	v_mul_f64 v[16:17], v[40:41], v[16:17]
	v_fma_f64 v[44:45], v[4:5], v[10:11], v[54:55]
	v_fma_f64 v[10:11], v[2:3], v[10:11], -v[12:13]
	v_add_f64 v[12:13], v[8:9], v[6:7]
	v_add_f64 v[34:35], v[34:35], v[36:37]
	ds_load_b128 v[2:5], v1 offset:1824
	ds_load_b128 v[6:9], v1 offset:1840
	v_fma_f64 v[40:41], v[40:41], v[14:15], v[42:43]
	v_fma_f64 v[14:15], v[38:39], v[14:15], -v[16:17]
	s_waitcnt vmcnt(3) lgkmcnt(1)
	v_mul_f64 v[36:37], v[2:3], v[20:21]
	v_mul_f64 v[20:21], v[4:5], v[20:21]
	s_waitcnt vmcnt(2) lgkmcnt(0)
	v_mul_f64 v[16:17], v[6:7], v[24:25]
	v_mul_f64 v[24:25], v[8:9], v[24:25]
	v_add_f64 v[10:11], v[12:13], v[10:11]
	v_add_f64 v[12:13], v[34:35], v[44:45]
	v_fma_f64 v[34:35], v[4:5], v[18:19], v[36:37]
	v_fma_f64 v[18:19], v[2:3], v[18:19], -v[20:21]
	v_fma_f64 v[8:9], v[8:9], v[22:23], v[16:17]
	v_fma_f64 v[6:7], v[6:7], v[22:23], -v[24:25]
	v_add_f64 v[14:15], v[10:11], v[14:15]
	v_add_f64 v[20:21], v[12:13], v[40:41]
	ds_load_b128 v[2:5], v1 offset:1856
	ds_load_b128 v[10:13], v1 offset:1872
	s_waitcnt vmcnt(1) lgkmcnt(1)
	v_mul_f64 v[36:37], v[2:3], v[28:29]
	v_mul_f64 v[28:29], v[4:5], v[28:29]
	v_add_f64 v[14:15], v[14:15], v[18:19]
	v_add_f64 v[16:17], v[20:21], v[34:35]
	s_waitcnt vmcnt(0) lgkmcnt(0)
	v_mul_f64 v[18:19], v[10:11], v[32:33]
	v_mul_f64 v[20:21], v[12:13], v[32:33]
	v_fma_f64 v[4:5], v[4:5], v[26:27], v[36:37]
	v_fma_f64 v[1:2], v[2:3], v[26:27], -v[28:29]
	v_add_f64 v[6:7], v[14:15], v[6:7]
	v_add_f64 v[8:9], v[16:17], v[8:9]
	v_fma_f64 v[12:13], v[12:13], v[30:31], v[18:19]
	v_fma_f64 v[10:11], v[10:11], v[30:31], -v[20:21]
	s_delay_alu instid0(VALU_DEP_4) | instskip(NEXT) | instid1(VALU_DEP_4)
	v_add_f64 v[1:2], v[6:7], v[1:2]
	v_add_f64 v[3:4], v[8:9], v[4:5]
	s_delay_alu instid0(VALU_DEP_2) | instskip(NEXT) | instid1(VALU_DEP_2)
	v_add_f64 v[1:2], v[1:2], v[10:11]
	v_add_f64 v[3:4], v[3:4], v[12:13]
	s_delay_alu instid0(VALU_DEP_2) | instskip(NEXT) | instid1(VALU_DEP_2)
	v_add_f64 v[1:2], v[48:49], -v[1:2]
	v_add_f64 v[3:4], v[50:51], -v[3:4]
	scratch_store_b128 off, v[1:4], off offset:480
	v_cmpx_lt_u32_e32 29, v164
	s_cbranch_execz .LBB122_309
; %bb.308:
	scratch_load_b32 v1, off, off offset:976 ; 4-byte Folded Reload
	v_mov_b32_e32 v5, 0
	s_delay_alu instid0(VALU_DEP_1)
	v_mov_b32_e32 v6, v5
	v_mov_b32_e32 v7, v5
	;; [unrolled: 1-line block ×3, first 2 shown]
	s_waitcnt vmcnt(0)
	scratch_load_b128 v[1:4], v1, off
	scratch_store_b128 off, v[5:8], off offset:464
	s_waitcnt vmcnt(0)
	ds_store_b128 v223, v[1:4]
.LBB122_309:
	s_or_b32 exec_lo, exec_lo, s2
	s_waitcnt lgkmcnt(0)
	s_waitcnt_vscnt null, 0x0
	s_barrier
	buffer_gl0_inv
	s_clause 0x7
	scratch_load_b128 v[2:5], off, off offset:480
	scratch_load_b128 v[6:9], off, off offset:496
	;; [unrolled: 1-line block ×8, first 2 shown]
	v_mov_b32_e32 v1, 0
	s_mov_b32 s2, exec_lo
	ds_load_b128 v[38:41], v1 offset:1424
	s_clause 0x1
	scratch_load_b128 v[34:37], off, off offset:608
	scratch_load_b128 v[42:45], off, off offset:464
	ds_load_b128 v[48:51], v1 offset:1440
	scratch_load_b128 v[52:55], off, off offset:624
	s_waitcnt vmcnt(10) lgkmcnt(1)
	v_mul_f64 v[56:57], v[40:41], v[4:5]
	v_mul_f64 v[4:5], v[38:39], v[4:5]
	s_delay_alu instid0(VALU_DEP_2) | instskip(NEXT) | instid1(VALU_DEP_2)
	v_fma_f64 v[62:63], v[38:39], v[2:3], -v[56:57]
	v_fma_f64 v[82:83], v[40:41], v[2:3], v[4:5]
	scratch_load_b128 v[38:41], off, off offset:640
	ds_load_b128 v[2:5], v1 offset:1456
	s_waitcnt vmcnt(10) lgkmcnt(1)
	v_mul_f64 v[60:61], v[48:49], v[8:9]
	v_mul_f64 v[8:9], v[50:51], v[8:9]
	ds_load_b128 v[56:59], v1 offset:1472
	s_waitcnt vmcnt(9) lgkmcnt(1)
	v_mul_f64 v[165:166], v[2:3], v[12:13]
	v_mul_f64 v[12:13], v[4:5], v[12:13]
	v_fma_f64 v[50:51], v[50:51], v[6:7], v[60:61]
	v_fma_f64 v[48:49], v[48:49], v[6:7], -v[8:9]
	v_add_f64 v[60:61], v[62:63], 0
	v_add_f64 v[62:63], v[82:83], 0
	scratch_load_b128 v[6:9], off, off offset:656
	v_fma_f64 v[165:166], v[4:5], v[10:11], v[165:166]
	v_fma_f64 v[167:168], v[2:3], v[10:11], -v[12:13]
	scratch_load_b128 v[10:13], off, off offset:672
	ds_load_b128 v[2:5], v1 offset:1488
	s_waitcnt vmcnt(10) lgkmcnt(1)
	v_mul_f64 v[82:83], v[56:57], v[16:17]
	v_mul_f64 v[16:17], v[58:59], v[16:17]
	v_add_f64 v[60:61], v[60:61], v[48:49]
	v_add_f64 v[62:63], v[62:63], v[50:51]
	s_waitcnt vmcnt(9) lgkmcnt(0)
	v_mul_f64 v[169:170], v[2:3], v[20:21]
	v_mul_f64 v[20:21], v[4:5], v[20:21]
	ds_load_b128 v[48:51], v1 offset:1504
	v_fma_f64 v[58:59], v[58:59], v[14:15], v[82:83]
	v_fma_f64 v[56:57], v[56:57], v[14:15], -v[16:17]
	scratch_load_b128 v[14:17], off, off offset:688
	v_add_f64 v[60:61], v[60:61], v[167:168]
	v_add_f64 v[62:63], v[62:63], v[165:166]
	v_fma_f64 v[165:166], v[4:5], v[18:19], v[169:170]
	v_fma_f64 v[167:168], v[2:3], v[18:19], -v[20:21]
	scratch_load_b128 v[18:21], off, off offset:704
	ds_load_b128 v[2:5], v1 offset:1520
	s_waitcnt vmcnt(10) lgkmcnt(1)
	v_mul_f64 v[82:83], v[48:49], v[24:25]
	v_mul_f64 v[24:25], v[50:51], v[24:25]
	s_waitcnt vmcnt(9) lgkmcnt(0)
	v_mul_f64 v[169:170], v[2:3], v[28:29]
	v_mul_f64 v[28:29], v[4:5], v[28:29]
	v_add_f64 v[60:61], v[60:61], v[56:57]
	v_add_f64 v[62:63], v[62:63], v[58:59]
	ds_load_b128 v[56:59], v1 offset:1536
	v_fma_f64 v[50:51], v[50:51], v[22:23], v[82:83]
	v_fma_f64 v[48:49], v[48:49], v[22:23], -v[24:25]
	scratch_load_b128 v[22:25], off, off offset:720
	v_add_f64 v[60:61], v[60:61], v[167:168]
	v_add_f64 v[62:63], v[62:63], v[165:166]
	v_fma_f64 v[165:166], v[4:5], v[26:27], v[169:170]
	v_fma_f64 v[167:168], v[2:3], v[26:27], -v[28:29]
	scratch_load_b128 v[26:29], off, off offset:736
	ds_load_b128 v[2:5], v1 offset:1552
	s_waitcnt vmcnt(10) lgkmcnt(1)
	v_mul_f64 v[82:83], v[56:57], v[32:33]
	v_mul_f64 v[32:33], v[58:59], v[32:33]
	s_waitcnt vmcnt(9) lgkmcnt(0)
	v_mul_f64 v[169:170], v[2:3], v[36:37]
	v_mul_f64 v[36:37], v[4:5], v[36:37]
	v_add_f64 v[60:61], v[60:61], v[48:49]
	v_add_f64 v[62:63], v[62:63], v[50:51]
	ds_load_b128 v[48:51], v1 offset:1568
	v_fma_f64 v[58:59], v[58:59], v[30:31], v[82:83]
	v_fma_f64 v[56:57], v[56:57], v[30:31], -v[32:33]
	scratch_load_b128 v[30:33], off, off offset:752
	v_add_f64 v[60:61], v[60:61], v[167:168]
	v_add_f64 v[62:63], v[62:63], v[165:166]
	v_fma_f64 v[167:168], v[4:5], v[34:35], v[169:170]
	v_fma_f64 v[169:170], v[2:3], v[34:35], -v[36:37]
	scratch_load_b128 v[34:37], off, off offset:768
	ds_load_b128 v[2:5], v1 offset:1584
	s_waitcnt vmcnt(9) lgkmcnt(1)
	v_mul_f64 v[82:83], v[48:49], v[54:55]
	v_mul_f64 v[165:166], v[50:51], v[54:55]
	v_add_f64 v[60:61], v[60:61], v[56:57]
	v_add_f64 v[58:59], v[62:63], v[58:59]
	ds_load_b128 v[54:57], v1 offset:1600
	v_fma_f64 v[82:83], v[50:51], v[52:53], v[82:83]
	v_fma_f64 v[52:53], v[48:49], v[52:53], -v[165:166]
	scratch_load_b128 v[48:51], off, off offset:784
	s_waitcnt vmcnt(9) lgkmcnt(1)
	v_mul_f64 v[62:63], v[2:3], v[40:41]
	v_mul_f64 v[40:41], v[4:5], v[40:41]
	v_add_f64 v[60:61], v[60:61], v[169:170]
	v_add_f64 v[58:59], v[58:59], v[167:168]
	s_delay_alu instid0(VALU_DEP_4) | instskip(NEXT) | instid1(VALU_DEP_4)
	v_fma_f64 v[62:63], v[4:5], v[38:39], v[62:63]
	v_fma_f64 v[167:168], v[2:3], v[38:39], -v[40:41]
	scratch_load_b128 v[38:41], off, off offset:800
	ds_load_b128 v[2:5], v1 offset:1616
	s_waitcnt vmcnt(9) lgkmcnt(1)
	v_mul_f64 v[165:166], v[54:55], v[8:9]
	v_mul_f64 v[8:9], v[56:57], v[8:9]
	s_waitcnt vmcnt(8) lgkmcnt(0)
	v_mul_f64 v[169:170], v[2:3], v[12:13]
	v_mul_f64 v[12:13], v[4:5], v[12:13]
	v_add_f64 v[52:53], v[60:61], v[52:53]
	v_add_f64 v[82:83], v[58:59], v[82:83]
	ds_load_b128 v[58:61], v1 offset:1632
	v_fma_f64 v[56:57], v[56:57], v[6:7], v[165:166]
	v_fma_f64 v[54:55], v[54:55], v[6:7], -v[8:9]
	scratch_load_b128 v[6:9], off, off offset:816
	v_fma_f64 v[165:166], v[4:5], v[10:11], v[169:170]
	v_add_f64 v[52:53], v[52:53], v[167:168]
	v_add_f64 v[62:63], v[82:83], v[62:63]
	v_fma_f64 v[167:168], v[2:3], v[10:11], -v[12:13]
	scratch_load_b128 v[10:13], off, off offset:832
	ds_load_b128 v[2:5], v1 offset:1648
	s_waitcnt vmcnt(9) lgkmcnt(1)
	v_mul_f64 v[82:83], v[58:59], v[16:17]
	v_mul_f64 v[16:17], v[60:61], v[16:17]
	v_add_f64 v[169:170], v[52:53], v[54:55]
	v_add_f64 v[56:57], v[62:63], v[56:57]
	s_waitcnt vmcnt(8) lgkmcnt(0)
	v_mul_f64 v[62:63], v[2:3], v[20:21]
	v_mul_f64 v[20:21], v[4:5], v[20:21]
	ds_load_b128 v[52:55], v1 offset:1664
	v_fma_f64 v[60:61], v[60:61], v[14:15], v[82:83]
	v_fma_f64 v[58:59], v[58:59], v[14:15], -v[16:17]
	scratch_load_b128 v[14:17], off, off offset:848
	v_add_f64 v[82:83], v[169:170], v[167:168]
	v_add_f64 v[56:57], v[56:57], v[165:166]
	v_fma_f64 v[62:63], v[4:5], v[18:19], v[62:63]
	v_fma_f64 v[167:168], v[2:3], v[18:19], -v[20:21]
	scratch_load_b128 v[18:21], off, off offset:864
	ds_load_b128 v[2:5], v1 offset:1680
	s_waitcnt vmcnt(9) lgkmcnt(1)
	v_mul_f64 v[165:166], v[52:53], v[24:25]
	v_mul_f64 v[24:25], v[54:55], v[24:25]
	s_waitcnt vmcnt(8) lgkmcnt(0)
	v_mul_f64 v[169:170], v[2:3], v[28:29]
	v_mul_f64 v[28:29], v[4:5], v[28:29]
	v_add_f64 v[82:83], v[82:83], v[58:59]
	v_add_f64 v[60:61], v[56:57], v[60:61]
	ds_load_b128 v[56:59], v1 offset:1696
	v_fma_f64 v[54:55], v[54:55], v[22:23], v[165:166]
	v_fma_f64 v[52:53], v[52:53], v[22:23], -v[24:25]
	scratch_load_b128 v[22:25], off, off offset:880
	v_fma_f64 v[165:166], v[4:5], v[26:27], v[169:170]
	v_add_f64 v[82:83], v[82:83], v[167:168]
	v_add_f64 v[60:61], v[60:61], v[62:63]
	v_fma_f64 v[167:168], v[2:3], v[26:27], -v[28:29]
	scratch_load_b128 v[26:29], off, off offset:896
	ds_load_b128 v[2:5], v1 offset:1712
	s_waitcnt vmcnt(9) lgkmcnt(1)
	v_mul_f64 v[62:63], v[56:57], v[32:33]
	v_mul_f64 v[32:33], v[58:59], v[32:33]
	s_waitcnt vmcnt(8) lgkmcnt(0)
	v_mul_f64 v[169:170], v[2:3], v[36:37]
	v_mul_f64 v[36:37], v[4:5], v[36:37]
	v_add_f64 v[82:83], v[82:83], v[52:53]
	v_add_f64 v[60:61], v[60:61], v[54:55]
	ds_load_b128 v[52:55], v1 offset:1728
	v_fma_f64 v[58:59], v[58:59], v[30:31], v[62:63]
	v_fma_f64 v[56:57], v[56:57], v[30:31], -v[32:33]
	scratch_load_b128 v[30:33], off, off offset:912
	v_add_f64 v[62:63], v[82:83], v[167:168]
	v_add_f64 v[60:61], v[60:61], v[165:166]
	v_fma_f64 v[165:166], v[4:5], v[34:35], v[169:170]
	v_fma_f64 v[167:168], v[2:3], v[34:35], -v[36:37]
	scratch_load_b128 v[34:37], off, off offset:928
	ds_load_b128 v[2:5], v1 offset:1744
	s_waitcnt vmcnt(9) lgkmcnt(1)
	v_mul_f64 v[82:83], v[52:53], v[50:51]
	v_mul_f64 v[50:51], v[54:55], v[50:51]
	s_waitcnt vmcnt(8) lgkmcnt(0)
	v_mul_f64 v[169:170], v[2:3], v[40:41]
	v_mul_f64 v[40:41], v[4:5], v[40:41]
	v_add_f64 v[62:63], v[62:63], v[56:57]
	v_add_f64 v[60:61], v[60:61], v[58:59]
	ds_load_b128 v[56:59], v1 offset:1760
	v_fma_f64 v[54:55], v[54:55], v[48:49], v[82:83]
	v_fma_f64 v[48:49], v[52:53], v[48:49], -v[50:51]
	v_fma_f64 v[82:83], v[2:3], v[38:39], -v[40:41]
	v_add_f64 v[50:51], v[62:63], v[167:168]
	v_add_f64 v[52:53], v[60:61], v[165:166]
	s_waitcnt vmcnt(7) lgkmcnt(0)
	v_mul_f64 v[60:61], v[56:57], v[8:9]
	v_mul_f64 v[8:9], v[58:59], v[8:9]
	v_fma_f64 v[62:63], v[4:5], v[38:39], v[169:170]
	ds_load_b128 v[2:5], v1 offset:1776
	ds_load_b128 v[38:41], v1 offset:1792
	v_add_f64 v[48:49], v[50:51], v[48:49]
	v_add_f64 v[50:51], v[52:53], v[54:55]
	s_waitcnt vmcnt(6) lgkmcnt(1)
	v_mul_f64 v[52:53], v[2:3], v[12:13]
	v_mul_f64 v[12:13], v[4:5], v[12:13]
	v_fma_f64 v[54:55], v[58:59], v[6:7], v[60:61]
	v_fma_f64 v[6:7], v[56:57], v[6:7], -v[8:9]
	v_add_f64 v[8:9], v[48:49], v[82:83]
	v_add_f64 v[48:49], v[50:51], v[62:63]
	s_waitcnt vmcnt(5) lgkmcnt(0)
	v_mul_f64 v[50:51], v[38:39], v[16:17]
	v_mul_f64 v[16:17], v[40:41], v[16:17]
	v_fma_f64 v[52:53], v[4:5], v[10:11], v[52:53]
	v_fma_f64 v[10:11], v[2:3], v[10:11], -v[12:13]
	v_add_f64 v[12:13], v[8:9], v[6:7]
	v_add_f64 v[48:49], v[48:49], v[54:55]
	ds_load_b128 v[2:5], v1 offset:1808
	ds_load_b128 v[6:9], v1 offset:1824
	v_fma_f64 v[40:41], v[40:41], v[14:15], v[50:51]
	v_fma_f64 v[14:15], v[38:39], v[14:15], -v[16:17]
	s_waitcnt vmcnt(4) lgkmcnt(1)
	v_mul_f64 v[54:55], v[2:3], v[20:21]
	v_mul_f64 v[20:21], v[4:5], v[20:21]
	s_waitcnt vmcnt(3) lgkmcnt(0)
	v_mul_f64 v[16:17], v[6:7], v[24:25]
	v_mul_f64 v[24:25], v[8:9], v[24:25]
	v_add_f64 v[10:11], v[12:13], v[10:11]
	v_add_f64 v[12:13], v[48:49], v[52:53]
	v_fma_f64 v[38:39], v[4:5], v[18:19], v[54:55]
	v_fma_f64 v[18:19], v[2:3], v[18:19], -v[20:21]
	v_fma_f64 v[8:9], v[8:9], v[22:23], v[16:17]
	v_fma_f64 v[6:7], v[6:7], v[22:23], -v[24:25]
	v_add_f64 v[14:15], v[10:11], v[14:15]
	v_add_f64 v[20:21], v[12:13], v[40:41]
	ds_load_b128 v[2:5], v1 offset:1840
	ds_load_b128 v[10:13], v1 offset:1856
	s_waitcnt vmcnt(2) lgkmcnt(1)
	v_mul_f64 v[40:41], v[2:3], v[28:29]
	v_mul_f64 v[28:29], v[4:5], v[28:29]
	v_add_f64 v[14:15], v[14:15], v[18:19]
	v_add_f64 v[16:17], v[20:21], v[38:39]
	s_waitcnt vmcnt(1) lgkmcnt(0)
	v_mul_f64 v[18:19], v[10:11], v[32:33]
	v_mul_f64 v[20:21], v[12:13], v[32:33]
	v_fma_f64 v[22:23], v[4:5], v[26:27], v[40:41]
	v_fma_f64 v[24:25], v[2:3], v[26:27], -v[28:29]
	ds_load_b128 v[2:5], v1 offset:1872
	v_add_f64 v[6:7], v[14:15], v[6:7]
	v_add_f64 v[8:9], v[16:17], v[8:9]
	v_fma_f64 v[12:13], v[12:13], v[30:31], v[18:19]
	v_fma_f64 v[10:11], v[10:11], v[30:31], -v[20:21]
	s_waitcnt vmcnt(0) lgkmcnt(0)
	v_mul_f64 v[14:15], v[2:3], v[36:37]
	v_mul_f64 v[16:17], v[4:5], v[36:37]
	v_add_f64 v[6:7], v[6:7], v[24:25]
	v_add_f64 v[8:9], v[8:9], v[22:23]
	s_delay_alu instid0(VALU_DEP_4) | instskip(NEXT) | instid1(VALU_DEP_4)
	v_fma_f64 v[4:5], v[4:5], v[34:35], v[14:15]
	v_fma_f64 v[2:3], v[2:3], v[34:35], -v[16:17]
	s_delay_alu instid0(VALU_DEP_4) | instskip(NEXT) | instid1(VALU_DEP_4)
	v_add_f64 v[6:7], v[6:7], v[10:11]
	v_add_f64 v[8:9], v[8:9], v[12:13]
	s_delay_alu instid0(VALU_DEP_2) | instskip(NEXT) | instid1(VALU_DEP_2)
	v_add_f64 v[2:3], v[6:7], v[2:3]
	v_add_f64 v[4:5], v[8:9], v[4:5]
	s_delay_alu instid0(VALU_DEP_2) | instskip(NEXT) | instid1(VALU_DEP_2)
	v_add_f64 v[2:3], v[42:43], -v[2:3]
	v_add_f64 v[4:5], v[44:45], -v[4:5]
	scratch_store_b128 off, v[2:5], off offset:464
	v_cmpx_lt_u32_e32 28, v164
	s_cbranch_execz .LBB122_311
; %bb.310:
	scratch_load_b32 v2, off, off offset:980 ; 4-byte Folded Reload
	v_mov_b32_e32 v3, v1
	v_mov_b32_e32 v4, v1
	s_waitcnt vmcnt(0)
	scratch_load_b128 v[5:8], v2, off
	v_mov_b32_e32 v2, v1
	scratch_store_b128 off, v[1:4], off offset:448
	s_waitcnt vmcnt(0)
	ds_store_b128 v223, v[5:8]
.LBB122_311:
	s_or_b32 exec_lo, exec_lo, s2
	s_waitcnt lgkmcnt(0)
	s_waitcnt_vscnt null, 0x0
	s_barrier
	buffer_gl0_inv
	s_clause 0x8
	scratch_load_b128 v[2:5], off, off offset:464
	scratch_load_b128 v[6:9], off, off offset:480
	;; [unrolled: 1-line block ×9, first 2 shown]
	ds_load_b128 v[42:45], v1 offset:1408
	ds_load_b128 v[38:41], v1 offset:1424
	s_clause 0x1
	scratch_load_b128 v[48:51], off, off offset:448
	scratch_load_b128 v[52:55], off, off offset:608
	s_mov_b32 s2, exec_lo
	s_waitcnt vmcnt(10) lgkmcnt(1)
	v_mul_f64 v[56:57], v[44:45], v[4:5]
	v_mul_f64 v[4:5], v[42:43], v[4:5]
	s_waitcnt vmcnt(9) lgkmcnt(0)
	v_mul_f64 v[60:61], v[38:39], v[8:9]
	v_mul_f64 v[8:9], v[40:41], v[8:9]
	s_delay_alu instid0(VALU_DEP_4) | instskip(NEXT) | instid1(VALU_DEP_4)
	v_fma_f64 v[62:63], v[42:43], v[2:3], -v[56:57]
	v_fma_f64 v[82:83], v[44:45], v[2:3], v[4:5]
	ds_load_b128 v[2:5], v1 offset:1440
	ds_load_b128 v[56:59], v1 offset:1456
	scratch_load_b128 v[42:45], off, off offset:624
	v_fma_f64 v[40:41], v[40:41], v[6:7], v[60:61]
	v_fma_f64 v[38:39], v[38:39], v[6:7], -v[8:9]
	scratch_load_b128 v[6:9], off, off offset:640
	s_waitcnt vmcnt(10) lgkmcnt(1)
	v_mul_f64 v[165:166], v[2:3], v[12:13]
	v_mul_f64 v[12:13], v[4:5], v[12:13]
	v_add_f64 v[60:61], v[62:63], 0
	v_add_f64 v[62:63], v[82:83], 0
	s_waitcnt vmcnt(9) lgkmcnt(0)
	v_mul_f64 v[82:83], v[56:57], v[16:17]
	v_mul_f64 v[16:17], v[58:59], v[16:17]
	v_fma_f64 v[165:166], v[4:5], v[10:11], v[165:166]
	v_fma_f64 v[167:168], v[2:3], v[10:11], -v[12:13]
	ds_load_b128 v[2:5], v1 offset:1472
	scratch_load_b128 v[10:13], off, off offset:656
	v_add_f64 v[60:61], v[60:61], v[38:39]
	v_add_f64 v[62:63], v[62:63], v[40:41]
	ds_load_b128 v[38:41], v1 offset:1488
	v_fma_f64 v[58:59], v[58:59], v[14:15], v[82:83]
	v_fma_f64 v[56:57], v[56:57], v[14:15], -v[16:17]
	scratch_load_b128 v[14:17], off, off offset:672
	s_waitcnt vmcnt(10) lgkmcnt(1)
	v_mul_f64 v[169:170], v[2:3], v[20:21]
	v_mul_f64 v[20:21], v[4:5], v[20:21]
	s_waitcnt vmcnt(9) lgkmcnt(0)
	v_mul_f64 v[82:83], v[38:39], v[24:25]
	v_mul_f64 v[24:25], v[40:41], v[24:25]
	v_add_f64 v[60:61], v[60:61], v[167:168]
	v_add_f64 v[62:63], v[62:63], v[165:166]
	v_fma_f64 v[165:166], v[4:5], v[18:19], v[169:170]
	v_fma_f64 v[167:168], v[2:3], v[18:19], -v[20:21]
	ds_load_b128 v[2:5], v1 offset:1504
	scratch_load_b128 v[18:21], off, off offset:688
	v_fma_f64 v[40:41], v[40:41], v[22:23], v[82:83]
	v_fma_f64 v[38:39], v[38:39], v[22:23], -v[24:25]
	scratch_load_b128 v[22:25], off, off offset:704
	v_add_f64 v[60:61], v[60:61], v[56:57]
	v_add_f64 v[62:63], v[62:63], v[58:59]
	ds_load_b128 v[56:59], v1 offset:1520
	s_waitcnt vmcnt(10) lgkmcnt(1)
	v_mul_f64 v[169:170], v[2:3], v[28:29]
	v_mul_f64 v[28:29], v[4:5], v[28:29]
	s_waitcnt vmcnt(9) lgkmcnt(0)
	v_mul_f64 v[82:83], v[56:57], v[32:33]
	v_mul_f64 v[32:33], v[58:59], v[32:33]
	v_add_f64 v[60:61], v[60:61], v[167:168]
	v_add_f64 v[62:63], v[62:63], v[165:166]
	v_fma_f64 v[165:166], v[4:5], v[26:27], v[169:170]
	v_fma_f64 v[167:168], v[2:3], v[26:27], -v[28:29]
	ds_load_b128 v[2:5], v1 offset:1536
	scratch_load_b128 v[26:29], off, off offset:720
	v_fma_f64 v[58:59], v[58:59], v[30:31], v[82:83]
	v_fma_f64 v[56:57], v[56:57], v[30:31], -v[32:33]
	scratch_load_b128 v[30:33], off, off offset:736
	v_add_f64 v[60:61], v[60:61], v[38:39]
	v_add_f64 v[62:63], v[62:63], v[40:41]
	ds_load_b128 v[38:41], v1 offset:1552
	s_waitcnt vmcnt(10) lgkmcnt(1)
	v_mul_f64 v[169:170], v[2:3], v[36:37]
	v_mul_f64 v[36:37], v[4:5], v[36:37]
	s_waitcnt vmcnt(8) lgkmcnt(0)
	v_mul_f64 v[82:83], v[38:39], v[54:55]
	v_add_f64 v[60:61], v[60:61], v[167:168]
	v_add_f64 v[62:63], v[62:63], v[165:166]
	v_mul_f64 v[165:166], v[40:41], v[54:55]
	v_fma_f64 v[167:168], v[4:5], v[34:35], v[169:170]
	v_fma_f64 v[169:170], v[2:3], v[34:35], -v[36:37]
	ds_load_b128 v[2:5], v1 offset:1568
	scratch_load_b128 v[34:37], off, off offset:752
	v_fma_f64 v[82:83], v[40:41], v[52:53], v[82:83]
	v_add_f64 v[60:61], v[60:61], v[56:57]
	v_add_f64 v[58:59], v[62:63], v[58:59]
	ds_load_b128 v[54:57], v1 offset:1584
	v_fma_f64 v[52:53], v[38:39], v[52:53], -v[165:166]
	scratch_load_b128 v[38:41], off, off offset:768
	s_waitcnt vmcnt(9) lgkmcnt(1)
	v_mul_f64 v[62:63], v[2:3], v[44:45]
	v_mul_f64 v[44:45], v[4:5], v[44:45]
	s_waitcnt vmcnt(8) lgkmcnt(0)
	v_mul_f64 v[165:166], v[54:55], v[8:9]
	v_mul_f64 v[8:9], v[56:57], v[8:9]
	v_add_f64 v[60:61], v[60:61], v[169:170]
	v_add_f64 v[58:59], v[58:59], v[167:168]
	v_fma_f64 v[62:63], v[4:5], v[42:43], v[62:63]
	v_fma_f64 v[167:168], v[2:3], v[42:43], -v[44:45]
	ds_load_b128 v[2:5], v1 offset:1600
	scratch_load_b128 v[42:45], off, off offset:784
	v_fma_f64 v[56:57], v[56:57], v[6:7], v[165:166]
	v_fma_f64 v[54:55], v[54:55], v[6:7], -v[8:9]
	scratch_load_b128 v[6:9], off, off offset:800
	v_add_f64 v[52:53], v[60:61], v[52:53]
	v_add_f64 v[82:83], v[58:59], v[82:83]
	ds_load_b128 v[58:61], v1 offset:1616
	s_waitcnt vmcnt(9) lgkmcnt(1)
	v_mul_f64 v[169:170], v[2:3], v[12:13]
	v_mul_f64 v[12:13], v[4:5], v[12:13]
	v_add_f64 v[52:53], v[52:53], v[167:168]
	v_add_f64 v[62:63], v[82:83], v[62:63]
	s_waitcnt vmcnt(8) lgkmcnt(0)
	v_mul_f64 v[82:83], v[58:59], v[16:17]
	v_mul_f64 v[16:17], v[60:61], v[16:17]
	v_fma_f64 v[165:166], v[4:5], v[10:11], v[169:170]
	v_fma_f64 v[167:168], v[2:3], v[10:11], -v[12:13]
	ds_load_b128 v[2:5], v1 offset:1632
	scratch_load_b128 v[10:13], off, off offset:816
	v_add_f64 v[169:170], v[52:53], v[54:55]
	v_add_f64 v[56:57], v[62:63], v[56:57]
	ds_load_b128 v[52:55], v1 offset:1648
	s_waitcnt vmcnt(8) lgkmcnt(1)
	v_mul_f64 v[62:63], v[2:3], v[20:21]
	v_mul_f64 v[20:21], v[4:5], v[20:21]
	v_fma_f64 v[60:61], v[60:61], v[14:15], v[82:83]
	v_fma_f64 v[58:59], v[58:59], v[14:15], -v[16:17]
	scratch_load_b128 v[14:17], off, off offset:832
	v_add_f64 v[82:83], v[169:170], v[167:168]
	v_add_f64 v[56:57], v[56:57], v[165:166]
	s_waitcnt vmcnt(8) lgkmcnt(0)
	v_mul_f64 v[165:166], v[52:53], v[24:25]
	v_mul_f64 v[24:25], v[54:55], v[24:25]
	v_fma_f64 v[62:63], v[4:5], v[18:19], v[62:63]
	v_fma_f64 v[167:168], v[2:3], v[18:19], -v[20:21]
	ds_load_b128 v[2:5], v1 offset:1664
	scratch_load_b128 v[18:21], off, off offset:848
	v_add_f64 v[82:83], v[82:83], v[58:59]
	v_add_f64 v[60:61], v[56:57], v[60:61]
	ds_load_b128 v[56:59], v1 offset:1680
	s_waitcnt vmcnt(8) lgkmcnt(1)
	v_mul_f64 v[169:170], v[2:3], v[28:29]
	v_mul_f64 v[28:29], v[4:5], v[28:29]
	v_fma_f64 v[54:55], v[54:55], v[22:23], v[165:166]
	v_fma_f64 v[52:53], v[52:53], v[22:23], -v[24:25]
	scratch_load_b128 v[22:25], off, off offset:864
	;; [unrolled: 18-line block ×4, first 2 shown]
	s_waitcnt vmcnt(8) lgkmcnt(0)
	v_mul_f64 v[82:83], v[56:57], v[8:9]
	v_mul_f64 v[8:9], v[58:59], v[8:9]
	v_add_f64 v[62:63], v[62:63], v[167:168]
	v_add_f64 v[60:61], v[60:61], v[165:166]
	v_fma_f64 v[165:166], v[4:5], v[42:43], v[169:170]
	v_fma_f64 v[167:168], v[2:3], v[42:43], -v[44:45]
	ds_load_b128 v[2:5], v1 offset:1760
	ds_load_b128 v[42:45], v1 offset:1776
	v_fma_f64 v[58:59], v[58:59], v[6:7], v[82:83]
	v_fma_f64 v[6:7], v[56:57], v[6:7], -v[8:9]
	v_add_f64 v[52:53], v[62:63], v[52:53]
	v_add_f64 v[54:55], v[60:61], v[54:55]
	s_waitcnt vmcnt(7) lgkmcnt(1)
	v_mul_f64 v[60:61], v[2:3], v[12:13]
	v_mul_f64 v[12:13], v[4:5], v[12:13]
	s_delay_alu instid0(VALU_DEP_4) | instskip(NEXT) | instid1(VALU_DEP_4)
	v_add_f64 v[8:9], v[52:53], v[167:168]
	v_add_f64 v[52:53], v[54:55], v[165:166]
	s_waitcnt vmcnt(6) lgkmcnt(0)
	v_mul_f64 v[54:55], v[42:43], v[16:17]
	v_mul_f64 v[16:17], v[44:45], v[16:17]
	v_fma_f64 v[56:57], v[4:5], v[10:11], v[60:61]
	v_fma_f64 v[10:11], v[2:3], v[10:11], -v[12:13]
	v_add_f64 v[12:13], v[8:9], v[6:7]
	v_add_f64 v[52:53], v[52:53], v[58:59]
	ds_load_b128 v[2:5], v1 offset:1792
	ds_load_b128 v[6:9], v1 offset:1808
	v_fma_f64 v[44:45], v[44:45], v[14:15], v[54:55]
	v_fma_f64 v[14:15], v[42:43], v[14:15], -v[16:17]
	s_waitcnt vmcnt(5) lgkmcnt(1)
	v_mul_f64 v[58:59], v[2:3], v[20:21]
	v_mul_f64 v[20:21], v[4:5], v[20:21]
	s_waitcnt vmcnt(4) lgkmcnt(0)
	v_mul_f64 v[16:17], v[6:7], v[24:25]
	v_mul_f64 v[24:25], v[8:9], v[24:25]
	v_add_f64 v[10:11], v[12:13], v[10:11]
	v_add_f64 v[12:13], v[52:53], v[56:57]
	v_fma_f64 v[42:43], v[4:5], v[18:19], v[58:59]
	v_fma_f64 v[18:19], v[2:3], v[18:19], -v[20:21]
	v_fma_f64 v[8:9], v[8:9], v[22:23], v[16:17]
	v_fma_f64 v[6:7], v[6:7], v[22:23], -v[24:25]
	v_add_f64 v[14:15], v[10:11], v[14:15]
	v_add_f64 v[20:21], v[12:13], v[44:45]
	ds_load_b128 v[2:5], v1 offset:1824
	ds_load_b128 v[10:13], v1 offset:1840
	s_waitcnt vmcnt(3) lgkmcnt(1)
	v_mul_f64 v[44:45], v[2:3], v[28:29]
	v_mul_f64 v[28:29], v[4:5], v[28:29]
	v_add_f64 v[14:15], v[14:15], v[18:19]
	v_add_f64 v[16:17], v[20:21], v[42:43]
	s_waitcnt vmcnt(2) lgkmcnt(0)
	v_mul_f64 v[18:19], v[10:11], v[32:33]
	v_mul_f64 v[20:21], v[12:13], v[32:33]
	v_fma_f64 v[22:23], v[4:5], v[26:27], v[44:45]
	v_fma_f64 v[24:25], v[2:3], v[26:27], -v[28:29]
	v_add_f64 v[14:15], v[14:15], v[6:7]
	v_add_f64 v[16:17], v[16:17], v[8:9]
	ds_load_b128 v[2:5], v1 offset:1856
	ds_load_b128 v[6:9], v1 offset:1872
	v_fma_f64 v[12:13], v[12:13], v[30:31], v[18:19]
	v_fma_f64 v[10:11], v[10:11], v[30:31], -v[20:21]
	s_waitcnt vmcnt(1) lgkmcnt(1)
	v_mul_f64 v[26:27], v[2:3], v[36:37]
	v_mul_f64 v[28:29], v[4:5], v[36:37]
	s_waitcnt vmcnt(0) lgkmcnt(0)
	v_mul_f64 v[18:19], v[6:7], v[40:41]
	v_mul_f64 v[20:21], v[8:9], v[40:41]
	v_add_f64 v[14:15], v[14:15], v[24:25]
	v_add_f64 v[16:17], v[16:17], v[22:23]
	v_fma_f64 v[4:5], v[4:5], v[34:35], v[26:27]
	v_fma_f64 v[1:2], v[2:3], v[34:35], -v[28:29]
	v_fma_f64 v[8:9], v[8:9], v[38:39], v[18:19]
	v_fma_f64 v[6:7], v[6:7], v[38:39], -v[20:21]
	v_add_f64 v[10:11], v[14:15], v[10:11]
	v_add_f64 v[12:13], v[16:17], v[12:13]
	s_delay_alu instid0(VALU_DEP_2) | instskip(NEXT) | instid1(VALU_DEP_2)
	v_add_f64 v[1:2], v[10:11], v[1:2]
	v_add_f64 v[3:4], v[12:13], v[4:5]
	s_delay_alu instid0(VALU_DEP_2) | instskip(NEXT) | instid1(VALU_DEP_2)
	;; [unrolled: 3-line block ×3, first 2 shown]
	v_add_f64 v[1:2], v[48:49], -v[1:2]
	v_add_f64 v[3:4], v[50:51], -v[3:4]
	scratch_store_b128 off, v[1:4], off offset:448
	v_cmpx_lt_u32_e32 27, v164
	s_cbranch_execz .LBB122_313
; %bb.312:
	scratch_load_b32 v1, off, off offset:984 ; 4-byte Folded Reload
	v_mov_b32_e32 v5, 0
	s_delay_alu instid0(VALU_DEP_1)
	v_mov_b32_e32 v6, v5
	v_mov_b32_e32 v7, v5
	;; [unrolled: 1-line block ×3, first 2 shown]
	s_waitcnt vmcnt(0)
	scratch_load_b128 v[1:4], v1, off
	scratch_store_b128 off, v[5:8], off offset:432
	s_waitcnt vmcnt(0)
	ds_store_b128 v223, v[1:4]
.LBB122_313:
	s_or_b32 exec_lo, exec_lo, s2
	s_waitcnt lgkmcnt(0)
	s_waitcnt_vscnt null, 0x0
	s_barrier
	buffer_gl0_inv
	s_clause 0x7
	scratch_load_b128 v[2:5], off, off offset:448
	scratch_load_b128 v[6:9], off, off offset:464
	;; [unrolled: 1-line block ×8, first 2 shown]
	v_mov_b32_e32 v1, 0
	s_mov_b32 s2, exec_lo
	ds_load_b128 v[38:41], v1 offset:1392
	s_clause 0x1
	scratch_load_b128 v[34:37], off, off offset:576
	scratch_load_b128 v[42:45], off, off offset:432
	ds_load_b128 v[48:51], v1 offset:1408
	scratch_load_b128 v[52:55], off, off offset:592
	s_waitcnt vmcnt(10) lgkmcnt(1)
	v_mul_f64 v[56:57], v[40:41], v[4:5]
	v_mul_f64 v[4:5], v[38:39], v[4:5]
	s_delay_alu instid0(VALU_DEP_2) | instskip(NEXT) | instid1(VALU_DEP_2)
	v_fma_f64 v[62:63], v[38:39], v[2:3], -v[56:57]
	v_fma_f64 v[82:83], v[40:41], v[2:3], v[4:5]
	scratch_load_b128 v[38:41], off, off offset:608
	ds_load_b128 v[2:5], v1 offset:1424
	s_waitcnt vmcnt(10) lgkmcnt(1)
	v_mul_f64 v[60:61], v[48:49], v[8:9]
	v_mul_f64 v[8:9], v[50:51], v[8:9]
	ds_load_b128 v[56:59], v1 offset:1440
	s_waitcnt vmcnt(9) lgkmcnt(1)
	v_mul_f64 v[165:166], v[2:3], v[12:13]
	v_mul_f64 v[12:13], v[4:5], v[12:13]
	v_fma_f64 v[50:51], v[50:51], v[6:7], v[60:61]
	v_fma_f64 v[48:49], v[48:49], v[6:7], -v[8:9]
	v_add_f64 v[60:61], v[62:63], 0
	v_add_f64 v[62:63], v[82:83], 0
	scratch_load_b128 v[6:9], off, off offset:624
	v_fma_f64 v[165:166], v[4:5], v[10:11], v[165:166]
	v_fma_f64 v[167:168], v[2:3], v[10:11], -v[12:13]
	scratch_load_b128 v[10:13], off, off offset:640
	ds_load_b128 v[2:5], v1 offset:1456
	s_waitcnt vmcnt(10) lgkmcnt(1)
	v_mul_f64 v[82:83], v[56:57], v[16:17]
	v_mul_f64 v[16:17], v[58:59], v[16:17]
	v_add_f64 v[60:61], v[60:61], v[48:49]
	v_add_f64 v[62:63], v[62:63], v[50:51]
	s_waitcnt vmcnt(9) lgkmcnt(0)
	v_mul_f64 v[169:170], v[2:3], v[20:21]
	v_mul_f64 v[20:21], v[4:5], v[20:21]
	ds_load_b128 v[48:51], v1 offset:1472
	v_fma_f64 v[58:59], v[58:59], v[14:15], v[82:83]
	v_fma_f64 v[56:57], v[56:57], v[14:15], -v[16:17]
	scratch_load_b128 v[14:17], off, off offset:656
	v_add_f64 v[60:61], v[60:61], v[167:168]
	v_add_f64 v[62:63], v[62:63], v[165:166]
	v_fma_f64 v[165:166], v[4:5], v[18:19], v[169:170]
	v_fma_f64 v[167:168], v[2:3], v[18:19], -v[20:21]
	scratch_load_b128 v[18:21], off, off offset:672
	ds_load_b128 v[2:5], v1 offset:1488
	s_waitcnt vmcnt(10) lgkmcnt(1)
	v_mul_f64 v[82:83], v[48:49], v[24:25]
	v_mul_f64 v[24:25], v[50:51], v[24:25]
	s_waitcnt vmcnt(9) lgkmcnt(0)
	v_mul_f64 v[169:170], v[2:3], v[28:29]
	v_mul_f64 v[28:29], v[4:5], v[28:29]
	v_add_f64 v[60:61], v[60:61], v[56:57]
	v_add_f64 v[62:63], v[62:63], v[58:59]
	ds_load_b128 v[56:59], v1 offset:1504
	v_fma_f64 v[50:51], v[50:51], v[22:23], v[82:83]
	v_fma_f64 v[48:49], v[48:49], v[22:23], -v[24:25]
	scratch_load_b128 v[22:25], off, off offset:688
	v_add_f64 v[60:61], v[60:61], v[167:168]
	v_add_f64 v[62:63], v[62:63], v[165:166]
	v_fma_f64 v[165:166], v[4:5], v[26:27], v[169:170]
	v_fma_f64 v[167:168], v[2:3], v[26:27], -v[28:29]
	scratch_load_b128 v[26:29], off, off offset:704
	ds_load_b128 v[2:5], v1 offset:1520
	s_waitcnt vmcnt(10) lgkmcnt(1)
	v_mul_f64 v[82:83], v[56:57], v[32:33]
	v_mul_f64 v[32:33], v[58:59], v[32:33]
	s_waitcnt vmcnt(9) lgkmcnt(0)
	v_mul_f64 v[169:170], v[2:3], v[36:37]
	v_mul_f64 v[36:37], v[4:5], v[36:37]
	v_add_f64 v[60:61], v[60:61], v[48:49]
	v_add_f64 v[62:63], v[62:63], v[50:51]
	ds_load_b128 v[48:51], v1 offset:1536
	v_fma_f64 v[58:59], v[58:59], v[30:31], v[82:83]
	v_fma_f64 v[56:57], v[56:57], v[30:31], -v[32:33]
	scratch_load_b128 v[30:33], off, off offset:720
	v_add_f64 v[60:61], v[60:61], v[167:168]
	v_add_f64 v[62:63], v[62:63], v[165:166]
	v_fma_f64 v[167:168], v[4:5], v[34:35], v[169:170]
	v_fma_f64 v[169:170], v[2:3], v[34:35], -v[36:37]
	scratch_load_b128 v[34:37], off, off offset:736
	ds_load_b128 v[2:5], v1 offset:1552
	s_waitcnt vmcnt(9) lgkmcnt(1)
	v_mul_f64 v[82:83], v[48:49], v[54:55]
	v_mul_f64 v[165:166], v[50:51], v[54:55]
	v_add_f64 v[60:61], v[60:61], v[56:57]
	v_add_f64 v[58:59], v[62:63], v[58:59]
	ds_load_b128 v[54:57], v1 offset:1568
	v_fma_f64 v[82:83], v[50:51], v[52:53], v[82:83]
	v_fma_f64 v[52:53], v[48:49], v[52:53], -v[165:166]
	scratch_load_b128 v[48:51], off, off offset:752
	s_waitcnt vmcnt(9) lgkmcnt(1)
	v_mul_f64 v[62:63], v[2:3], v[40:41]
	v_mul_f64 v[40:41], v[4:5], v[40:41]
	v_add_f64 v[60:61], v[60:61], v[169:170]
	v_add_f64 v[58:59], v[58:59], v[167:168]
	s_delay_alu instid0(VALU_DEP_4) | instskip(NEXT) | instid1(VALU_DEP_4)
	v_fma_f64 v[62:63], v[4:5], v[38:39], v[62:63]
	v_fma_f64 v[167:168], v[2:3], v[38:39], -v[40:41]
	scratch_load_b128 v[38:41], off, off offset:768
	ds_load_b128 v[2:5], v1 offset:1584
	s_waitcnt vmcnt(9) lgkmcnt(1)
	v_mul_f64 v[165:166], v[54:55], v[8:9]
	v_mul_f64 v[8:9], v[56:57], v[8:9]
	s_waitcnt vmcnt(8) lgkmcnt(0)
	v_mul_f64 v[169:170], v[2:3], v[12:13]
	v_mul_f64 v[12:13], v[4:5], v[12:13]
	v_add_f64 v[52:53], v[60:61], v[52:53]
	v_add_f64 v[82:83], v[58:59], v[82:83]
	ds_load_b128 v[58:61], v1 offset:1600
	v_fma_f64 v[56:57], v[56:57], v[6:7], v[165:166]
	v_fma_f64 v[54:55], v[54:55], v[6:7], -v[8:9]
	scratch_load_b128 v[6:9], off, off offset:784
	v_fma_f64 v[165:166], v[4:5], v[10:11], v[169:170]
	v_add_f64 v[52:53], v[52:53], v[167:168]
	v_add_f64 v[62:63], v[82:83], v[62:63]
	v_fma_f64 v[167:168], v[2:3], v[10:11], -v[12:13]
	scratch_load_b128 v[10:13], off, off offset:800
	ds_load_b128 v[2:5], v1 offset:1616
	s_waitcnt vmcnt(9) lgkmcnt(1)
	v_mul_f64 v[82:83], v[58:59], v[16:17]
	v_mul_f64 v[16:17], v[60:61], v[16:17]
	v_add_f64 v[169:170], v[52:53], v[54:55]
	v_add_f64 v[56:57], v[62:63], v[56:57]
	s_waitcnt vmcnt(8) lgkmcnt(0)
	v_mul_f64 v[62:63], v[2:3], v[20:21]
	v_mul_f64 v[20:21], v[4:5], v[20:21]
	ds_load_b128 v[52:55], v1 offset:1632
	v_fma_f64 v[60:61], v[60:61], v[14:15], v[82:83]
	v_fma_f64 v[58:59], v[58:59], v[14:15], -v[16:17]
	scratch_load_b128 v[14:17], off, off offset:816
	v_add_f64 v[82:83], v[169:170], v[167:168]
	v_add_f64 v[56:57], v[56:57], v[165:166]
	v_fma_f64 v[62:63], v[4:5], v[18:19], v[62:63]
	v_fma_f64 v[167:168], v[2:3], v[18:19], -v[20:21]
	scratch_load_b128 v[18:21], off, off offset:832
	ds_load_b128 v[2:5], v1 offset:1648
	s_waitcnt vmcnt(9) lgkmcnt(1)
	v_mul_f64 v[165:166], v[52:53], v[24:25]
	v_mul_f64 v[24:25], v[54:55], v[24:25]
	s_waitcnt vmcnt(8) lgkmcnt(0)
	v_mul_f64 v[169:170], v[2:3], v[28:29]
	v_mul_f64 v[28:29], v[4:5], v[28:29]
	v_add_f64 v[82:83], v[82:83], v[58:59]
	v_add_f64 v[60:61], v[56:57], v[60:61]
	ds_load_b128 v[56:59], v1 offset:1664
	v_fma_f64 v[54:55], v[54:55], v[22:23], v[165:166]
	v_fma_f64 v[52:53], v[52:53], v[22:23], -v[24:25]
	scratch_load_b128 v[22:25], off, off offset:848
	v_fma_f64 v[165:166], v[4:5], v[26:27], v[169:170]
	v_add_f64 v[82:83], v[82:83], v[167:168]
	v_add_f64 v[60:61], v[60:61], v[62:63]
	v_fma_f64 v[167:168], v[2:3], v[26:27], -v[28:29]
	scratch_load_b128 v[26:29], off, off offset:864
	ds_load_b128 v[2:5], v1 offset:1680
	s_waitcnt vmcnt(9) lgkmcnt(1)
	v_mul_f64 v[62:63], v[56:57], v[32:33]
	v_mul_f64 v[32:33], v[58:59], v[32:33]
	s_waitcnt vmcnt(8) lgkmcnt(0)
	v_mul_f64 v[169:170], v[2:3], v[36:37]
	v_mul_f64 v[36:37], v[4:5], v[36:37]
	v_add_f64 v[82:83], v[82:83], v[52:53]
	v_add_f64 v[60:61], v[60:61], v[54:55]
	ds_load_b128 v[52:55], v1 offset:1696
	v_fma_f64 v[58:59], v[58:59], v[30:31], v[62:63]
	v_fma_f64 v[56:57], v[56:57], v[30:31], -v[32:33]
	scratch_load_b128 v[30:33], off, off offset:880
	v_add_f64 v[62:63], v[82:83], v[167:168]
	v_add_f64 v[60:61], v[60:61], v[165:166]
	v_fma_f64 v[165:166], v[4:5], v[34:35], v[169:170]
	v_fma_f64 v[167:168], v[2:3], v[34:35], -v[36:37]
	scratch_load_b128 v[34:37], off, off offset:896
	ds_load_b128 v[2:5], v1 offset:1712
	s_waitcnt vmcnt(9) lgkmcnt(1)
	v_mul_f64 v[82:83], v[52:53], v[50:51]
	v_mul_f64 v[50:51], v[54:55], v[50:51]
	s_waitcnt vmcnt(8) lgkmcnt(0)
	v_mul_f64 v[169:170], v[2:3], v[40:41]
	v_mul_f64 v[40:41], v[4:5], v[40:41]
	v_add_f64 v[62:63], v[62:63], v[56:57]
	v_add_f64 v[60:61], v[60:61], v[58:59]
	ds_load_b128 v[56:59], v1 offset:1728
	v_fma_f64 v[54:55], v[54:55], v[48:49], v[82:83]
	v_fma_f64 v[52:53], v[52:53], v[48:49], -v[50:51]
	scratch_load_b128 v[48:51], off, off offset:912
	v_add_f64 v[62:63], v[62:63], v[167:168]
	v_add_f64 v[60:61], v[60:61], v[165:166]
	v_fma_f64 v[165:166], v[4:5], v[38:39], v[169:170]
	v_fma_f64 v[167:168], v[2:3], v[38:39], -v[40:41]
	scratch_load_b128 v[38:41], off, off offset:928
	ds_load_b128 v[2:5], v1 offset:1744
	s_waitcnt vmcnt(9) lgkmcnt(1)
	v_mul_f64 v[82:83], v[56:57], v[8:9]
	v_mul_f64 v[8:9], v[58:59], v[8:9]
	s_waitcnt vmcnt(8) lgkmcnt(0)
	v_mul_f64 v[169:170], v[2:3], v[12:13]
	v_mul_f64 v[12:13], v[4:5], v[12:13]
	v_add_f64 v[62:63], v[62:63], v[52:53]
	v_add_f64 v[60:61], v[60:61], v[54:55]
	ds_load_b128 v[52:55], v1 offset:1760
	v_fma_f64 v[58:59], v[58:59], v[6:7], v[82:83]
	v_fma_f64 v[6:7], v[56:57], v[6:7], -v[8:9]
	v_add_f64 v[8:9], v[62:63], v[167:168]
	v_add_f64 v[56:57], v[60:61], v[165:166]
	s_waitcnt vmcnt(7) lgkmcnt(0)
	v_mul_f64 v[60:61], v[52:53], v[16:17]
	v_mul_f64 v[16:17], v[54:55], v[16:17]
	v_fma_f64 v[62:63], v[4:5], v[10:11], v[169:170]
	v_fma_f64 v[10:11], v[2:3], v[10:11], -v[12:13]
	v_add_f64 v[12:13], v[8:9], v[6:7]
	v_add_f64 v[56:57], v[56:57], v[58:59]
	ds_load_b128 v[2:5], v1 offset:1776
	ds_load_b128 v[6:9], v1 offset:1792
	v_fma_f64 v[54:55], v[54:55], v[14:15], v[60:61]
	v_fma_f64 v[14:15], v[52:53], v[14:15], -v[16:17]
	s_waitcnt vmcnt(6) lgkmcnt(1)
	v_mul_f64 v[58:59], v[2:3], v[20:21]
	v_mul_f64 v[20:21], v[4:5], v[20:21]
	s_waitcnt vmcnt(5) lgkmcnt(0)
	v_mul_f64 v[16:17], v[6:7], v[24:25]
	v_mul_f64 v[24:25], v[8:9], v[24:25]
	v_add_f64 v[10:11], v[12:13], v[10:11]
	v_add_f64 v[12:13], v[56:57], v[62:63]
	v_fma_f64 v[52:53], v[4:5], v[18:19], v[58:59]
	v_fma_f64 v[18:19], v[2:3], v[18:19], -v[20:21]
	v_fma_f64 v[8:9], v[8:9], v[22:23], v[16:17]
	v_fma_f64 v[6:7], v[6:7], v[22:23], -v[24:25]
	v_add_f64 v[14:15], v[10:11], v[14:15]
	v_add_f64 v[20:21], v[12:13], v[54:55]
	ds_load_b128 v[2:5], v1 offset:1808
	ds_load_b128 v[10:13], v1 offset:1824
	s_waitcnt vmcnt(4) lgkmcnt(1)
	v_mul_f64 v[54:55], v[2:3], v[28:29]
	v_mul_f64 v[28:29], v[4:5], v[28:29]
	v_add_f64 v[14:15], v[14:15], v[18:19]
	v_add_f64 v[16:17], v[20:21], v[52:53]
	s_waitcnt vmcnt(3) lgkmcnt(0)
	v_mul_f64 v[18:19], v[10:11], v[32:33]
	v_mul_f64 v[20:21], v[12:13], v[32:33]
	v_fma_f64 v[22:23], v[4:5], v[26:27], v[54:55]
	v_fma_f64 v[24:25], v[2:3], v[26:27], -v[28:29]
	v_add_f64 v[14:15], v[14:15], v[6:7]
	v_add_f64 v[16:17], v[16:17], v[8:9]
	ds_load_b128 v[2:5], v1 offset:1840
	ds_load_b128 v[6:9], v1 offset:1856
	v_fma_f64 v[12:13], v[12:13], v[30:31], v[18:19]
	v_fma_f64 v[10:11], v[10:11], v[30:31], -v[20:21]
	s_waitcnt vmcnt(2) lgkmcnt(1)
	v_mul_f64 v[26:27], v[2:3], v[36:37]
	v_mul_f64 v[28:29], v[4:5], v[36:37]
	s_waitcnt vmcnt(1) lgkmcnt(0)
	v_mul_f64 v[18:19], v[6:7], v[50:51]
	v_mul_f64 v[20:21], v[8:9], v[50:51]
	v_add_f64 v[14:15], v[14:15], v[24:25]
	v_add_f64 v[16:17], v[16:17], v[22:23]
	v_fma_f64 v[22:23], v[4:5], v[34:35], v[26:27]
	v_fma_f64 v[24:25], v[2:3], v[34:35], -v[28:29]
	ds_load_b128 v[2:5], v1 offset:1872
	v_fma_f64 v[8:9], v[8:9], v[48:49], v[18:19]
	v_fma_f64 v[6:7], v[6:7], v[48:49], -v[20:21]
	v_add_f64 v[10:11], v[14:15], v[10:11]
	v_add_f64 v[12:13], v[16:17], v[12:13]
	s_waitcnt vmcnt(0) lgkmcnt(0)
	v_mul_f64 v[14:15], v[2:3], v[40:41]
	v_mul_f64 v[16:17], v[4:5], v[40:41]
	s_delay_alu instid0(VALU_DEP_4) | instskip(NEXT) | instid1(VALU_DEP_4)
	v_add_f64 v[10:11], v[10:11], v[24:25]
	v_add_f64 v[12:13], v[12:13], v[22:23]
	s_delay_alu instid0(VALU_DEP_4) | instskip(NEXT) | instid1(VALU_DEP_4)
	v_fma_f64 v[4:5], v[4:5], v[38:39], v[14:15]
	v_fma_f64 v[2:3], v[2:3], v[38:39], -v[16:17]
	s_delay_alu instid0(VALU_DEP_4) | instskip(NEXT) | instid1(VALU_DEP_4)
	v_add_f64 v[6:7], v[10:11], v[6:7]
	v_add_f64 v[8:9], v[12:13], v[8:9]
	s_delay_alu instid0(VALU_DEP_2) | instskip(NEXT) | instid1(VALU_DEP_2)
	v_add_f64 v[2:3], v[6:7], v[2:3]
	v_add_f64 v[4:5], v[8:9], v[4:5]
	s_delay_alu instid0(VALU_DEP_2) | instskip(NEXT) | instid1(VALU_DEP_2)
	v_add_f64 v[2:3], v[42:43], -v[2:3]
	v_add_f64 v[4:5], v[44:45], -v[4:5]
	scratch_store_b128 off, v[2:5], off offset:432
	v_cmpx_lt_u32_e32 26, v164
	s_cbranch_execz .LBB122_315
; %bb.314:
	scratch_load_b32 v2, off, off offset:988 ; 4-byte Folded Reload
	v_mov_b32_e32 v3, v1
	v_mov_b32_e32 v4, v1
	s_waitcnt vmcnt(0)
	scratch_load_b128 v[5:8], v2, off
	v_mov_b32_e32 v2, v1
	scratch_store_b128 off, v[1:4], off offset:416
	s_waitcnt vmcnt(0)
	ds_store_b128 v223, v[5:8]
.LBB122_315:
	s_or_b32 exec_lo, exec_lo, s2
	s_waitcnt lgkmcnt(0)
	s_waitcnt_vscnt null, 0x0
	s_barrier
	buffer_gl0_inv
	s_clause 0x8
	scratch_load_b128 v[2:5], off, off offset:432
	scratch_load_b128 v[6:9], off, off offset:448
	;; [unrolled: 1-line block ×9, first 2 shown]
	ds_load_b128 v[42:45], v1 offset:1376
	ds_load_b128 v[38:41], v1 offset:1392
	s_clause 0x1
	scratch_load_b128 v[48:51], off, off offset:416
	scratch_load_b128 v[52:55], off, off offset:576
	s_mov_b32 s2, exec_lo
	s_waitcnt vmcnt(10) lgkmcnt(1)
	v_mul_f64 v[56:57], v[44:45], v[4:5]
	v_mul_f64 v[4:5], v[42:43], v[4:5]
	s_waitcnt vmcnt(9) lgkmcnt(0)
	v_mul_f64 v[60:61], v[38:39], v[8:9]
	v_mul_f64 v[8:9], v[40:41], v[8:9]
	s_delay_alu instid0(VALU_DEP_4) | instskip(NEXT) | instid1(VALU_DEP_4)
	v_fma_f64 v[62:63], v[42:43], v[2:3], -v[56:57]
	v_fma_f64 v[82:83], v[44:45], v[2:3], v[4:5]
	ds_load_b128 v[2:5], v1 offset:1408
	ds_load_b128 v[56:59], v1 offset:1424
	scratch_load_b128 v[42:45], off, off offset:592
	v_fma_f64 v[40:41], v[40:41], v[6:7], v[60:61]
	v_fma_f64 v[38:39], v[38:39], v[6:7], -v[8:9]
	scratch_load_b128 v[6:9], off, off offset:608
	s_waitcnt vmcnt(10) lgkmcnt(1)
	v_mul_f64 v[165:166], v[2:3], v[12:13]
	v_mul_f64 v[12:13], v[4:5], v[12:13]
	v_add_f64 v[60:61], v[62:63], 0
	v_add_f64 v[62:63], v[82:83], 0
	s_waitcnt vmcnt(9) lgkmcnt(0)
	v_mul_f64 v[82:83], v[56:57], v[16:17]
	v_mul_f64 v[16:17], v[58:59], v[16:17]
	v_fma_f64 v[165:166], v[4:5], v[10:11], v[165:166]
	v_fma_f64 v[167:168], v[2:3], v[10:11], -v[12:13]
	ds_load_b128 v[2:5], v1 offset:1440
	scratch_load_b128 v[10:13], off, off offset:624
	v_add_f64 v[60:61], v[60:61], v[38:39]
	v_add_f64 v[62:63], v[62:63], v[40:41]
	ds_load_b128 v[38:41], v1 offset:1456
	v_fma_f64 v[58:59], v[58:59], v[14:15], v[82:83]
	v_fma_f64 v[56:57], v[56:57], v[14:15], -v[16:17]
	scratch_load_b128 v[14:17], off, off offset:640
	s_waitcnt vmcnt(10) lgkmcnt(1)
	v_mul_f64 v[169:170], v[2:3], v[20:21]
	v_mul_f64 v[20:21], v[4:5], v[20:21]
	s_waitcnt vmcnt(9) lgkmcnt(0)
	v_mul_f64 v[82:83], v[38:39], v[24:25]
	v_mul_f64 v[24:25], v[40:41], v[24:25]
	v_add_f64 v[60:61], v[60:61], v[167:168]
	v_add_f64 v[62:63], v[62:63], v[165:166]
	v_fma_f64 v[165:166], v[4:5], v[18:19], v[169:170]
	v_fma_f64 v[167:168], v[2:3], v[18:19], -v[20:21]
	ds_load_b128 v[2:5], v1 offset:1472
	scratch_load_b128 v[18:21], off, off offset:656
	v_fma_f64 v[40:41], v[40:41], v[22:23], v[82:83]
	v_fma_f64 v[38:39], v[38:39], v[22:23], -v[24:25]
	scratch_load_b128 v[22:25], off, off offset:672
	v_add_f64 v[60:61], v[60:61], v[56:57]
	v_add_f64 v[62:63], v[62:63], v[58:59]
	ds_load_b128 v[56:59], v1 offset:1488
	s_waitcnt vmcnt(10) lgkmcnt(1)
	v_mul_f64 v[169:170], v[2:3], v[28:29]
	v_mul_f64 v[28:29], v[4:5], v[28:29]
	s_waitcnt vmcnt(9) lgkmcnt(0)
	v_mul_f64 v[82:83], v[56:57], v[32:33]
	v_mul_f64 v[32:33], v[58:59], v[32:33]
	v_add_f64 v[60:61], v[60:61], v[167:168]
	v_add_f64 v[62:63], v[62:63], v[165:166]
	v_fma_f64 v[165:166], v[4:5], v[26:27], v[169:170]
	v_fma_f64 v[167:168], v[2:3], v[26:27], -v[28:29]
	ds_load_b128 v[2:5], v1 offset:1504
	scratch_load_b128 v[26:29], off, off offset:688
	v_fma_f64 v[58:59], v[58:59], v[30:31], v[82:83]
	v_fma_f64 v[56:57], v[56:57], v[30:31], -v[32:33]
	scratch_load_b128 v[30:33], off, off offset:704
	v_add_f64 v[60:61], v[60:61], v[38:39]
	v_add_f64 v[62:63], v[62:63], v[40:41]
	ds_load_b128 v[38:41], v1 offset:1520
	s_waitcnt vmcnt(10) lgkmcnt(1)
	v_mul_f64 v[169:170], v[2:3], v[36:37]
	v_mul_f64 v[36:37], v[4:5], v[36:37]
	s_waitcnt vmcnt(8) lgkmcnt(0)
	v_mul_f64 v[82:83], v[38:39], v[54:55]
	v_add_f64 v[60:61], v[60:61], v[167:168]
	v_add_f64 v[62:63], v[62:63], v[165:166]
	v_mul_f64 v[165:166], v[40:41], v[54:55]
	v_fma_f64 v[167:168], v[4:5], v[34:35], v[169:170]
	v_fma_f64 v[169:170], v[2:3], v[34:35], -v[36:37]
	ds_load_b128 v[2:5], v1 offset:1536
	scratch_load_b128 v[34:37], off, off offset:720
	v_fma_f64 v[82:83], v[40:41], v[52:53], v[82:83]
	v_add_f64 v[60:61], v[60:61], v[56:57]
	v_add_f64 v[58:59], v[62:63], v[58:59]
	ds_load_b128 v[54:57], v1 offset:1552
	v_fma_f64 v[52:53], v[38:39], v[52:53], -v[165:166]
	scratch_load_b128 v[38:41], off, off offset:736
	s_waitcnt vmcnt(9) lgkmcnt(1)
	v_mul_f64 v[62:63], v[2:3], v[44:45]
	v_mul_f64 v[44:45], v[4:5], v[44:45]
	s_waitcnt vmcnt(8) lgkmcnt(0)
	v_mul_f64 v[165:166], v[54:55], v[8:9]
	v_mul_f64 v[8:9], v[56:57], v[8:9]
	v_add_f64 v[60:61], v[60:61], v[169:170]
	v_add_f64 v[58:59], v[58:59], v[167:168]
	v_fma_f64 v[62:63], v[4:5], v[42:43], v[62:63]
	v_fma_f64 v[167:168], v[2:3], v[42:43], -v[44:45]
	ds_load_b128 v[2:5], v1 offset:1568
	scratch_load_b128 v[42:45], off, off offset:752
	v_fma_f64 v[56:57], v[56:57], v[6:7], v[165:166]
	v_fma_f64 v[54:55], v[54:55], v[6:7], -v[8:9]
	scratch_load_b128 v[6:9], off, off offset:768
	v_add_f64 v[52:53], v[60:61], v[52:53]
	v_add_f64 v[82:83], v[58:59], v[82:83]
	ds_load_b128 v[58:61], v1 offset:1584
	s_waitcnt vmcnt(9) lgkmcnt(1)
	v_mul_f64 v[169:170], v[2:3], v[12:13]
	v_mul_f64 v[12:13], v[4:5], v[12:13]
	v_add_f64 v[52:53], v[52:53], v[167:168]
	v_add_f64 v[62:63], v[82:83], v[62:63]
	s_waitcnt vmcnt(8) lgkmcnt(0)
	v_mul_f64 v[82:83], v[58:59], v[16:17]
	v_mul_f64 v[16:17], v[60:61], v[16:17]
	v_fma_f64 v[165:166], v[4:5], v[10:11], v[169:170]
	v_fma_f64 v[167:168], v[2:3], v[10:11], -v[12:13]
	ds_load_b128 v[2:5], v1 offset:1600
	scratch_load_b128 v[10:13], off, off offset:784
	v_add_f64 v[169:170], v[52:53], v[54:55]
	v_add_f64 v[56:57], v[62:63], v[56:57]
	ds_load_b128 v[52:55], v1 offset:1616
	s_waitcnt vmcnt(8) lgkmcnt(1)
	v_mul_f64 v[62:63], v[2:3], v[20:21]
	v_mul_f64 v[20:21], v[4:5], v[20:21]
	v_fma_f64 v[60:61], v[60:61], v[14:15], v[82:83]
	v_fma_f64 v[58:59], v[58:59], v[14:15], -v[16:17]
	scratch_load_b128 v[14:17], off, off offset:800
	v_add_f64 v[82:83], v[169:170], v[167:168]
	v_add_f64 v[56:57], v[56:57], v[165:166]
	s_waitcnt vmcnt(8) lgkmcnt(0)
	v_mul_f64 v[165:166], v[52:53], v[24:25]
	v_mul_f64 v[24:25], v[54:55], v[24:25]
	v_fma_f64 v[62:63], v[4:5], v[18:19], v[62:63]
	v_fma_f64 v[167:168], v[2:3], v[18:19], -v[20:21]
	ds_load_b128 v[2:5], v1 offset:1632
	scratch_load_b128 v[18:21], off, off offset:816
	v_add_f64 v[82:83], v[82:83], v[58:59]
	v_add_f64 v[60:61], v[56:57], v[60:61]
	ds_load_b128 v[56:59], v1 offset:1648
	s_waitcnt vmcnt(8) lgkmcnt(1)
	v_mul_f64 v[169:170], v[2:3], v[28:29]
	v_mul_f64 v[28:29], v[4:5], v[28:29]
	v_fma_f64 v[54:55], v[54:55], v[22:23], v[165:166]
	v_fma_f64 v[52:53], v[52:53], v[22:23], -v[24:25]
	scratch_load_b128 v[22:25], off, off offset:832
	;; [unrolled: 18-line block ×4, first 2 shown]
	s_waitcnt vmcnt(8) lgkmcnt(0)
	v_mul_f64 v[82:83], v[56:57], v[8:9]
	v_mul_f64 v[8:9], v[58:59], v[8:9]
	v_add_f64 v[62:63], v[62:63], v[167:168]
	v_add_f64 v[60:61], v[60:61], v[165:166]
	v_fma_f64 v[165:166], v[4:5], v[42:43], v[169:170]
	v_fma_f64 v[167:168], v[2:3], v[42:43], -v[44:45]
	ds_load_b128 v[2:5], v1 offset:1728
	scratch_load_b128 v[42:45], off, off offset:912
	v_fma_f64 v[58:59], v[58:59], v[6:7], v[82:83]
	v_fma_f64 v[56:57], v[56:57], v[6:7], -v[8:9]
	scratch_load_b128 v[6:9], off, off offset:928
	v_add_f64 v[62:63], v[62:63], v[52:53]
	v_add_f64 v[60:61], v[60:61], v[54:55]
	ds_load_b128 v[52:55], v1 offset:1744
	s_waitcnt vmcnt(9) lgkmcnt(1)
	v_mul_f64 v[169:170], v[2:3], v[12:13]
	v_mul_f64 v[12:13], v[4:5], v[12:13]
	s_waitcnt vmcnt(8) lgkmcnt(0)
	v_mul_f64 v[82:83], v[52:53], v[16:17]
	v_mul_f64 v[16:17], v[54:55], v[16:17]
	v_add_f64 v[62:63], v[62:63], v[167:168]
	v_add_f64 v[60:61], v[60:61], v[165:166]
	v_fma_f64 v[165:166], v[4:5], v[10:11], v[169:170]
	v_fma_f64 v[167:168], v[2:3], v[10:11], -v[12:13]
	ds_load_b128 v[2:5], v1 offset:1760
	ds_load_b128 v[10:13], v1 offset:1776
	v_fma_f64 v[54:55], v[54:55], v[14:15], v[82:83]
	v_fma_f64 v[14:15], v[52:53], v[14:15], -v[16:17]
	v_add_f64 v[56:57], v[62:63], v[56:57]
	v_add_f64 v[58:59], v[60:61], v[58:59]
	s_waitcnt vmcnt(7) lgkmcnt(1)
	v_mul_f64 v[60:61], v[2:3], v[20:21]
	v_mul_f64 v[20:21], v[4:5], v[20:21]
	s_delay_alu instid0(VALU_DEP_4) | instskip(NEXT) | instid1(VALU_DEP_4)
	v_add_f64 v[16:17], v[56:57], v[167:168]
	v_add_f64 v[52:53], v[58:59], v[165:166]
	s_waitcnt vmcnt(6) lgkmcnt(0)
	v_mul_f64 v[56:57], v[10:11], v[24:25]
	v_mul_f64 v[24:25], v[12:13], v[24:25]
	v_fma_f64 v[58:59], v[4:5], v[18:19], v[60:61]
	v_fma_f64 v[18:19], v[2:3], v[18:19], -v[20:21]
	v_add_f64 v[20:21], v[16:17], v[14:15]
	v_add_f64 v[52:53], v[52:53], v[54:55]
	ds_load_b128 v[2:5], v1 offset:1792
	ds_load_b128 v[14:17], v1 offset:1808
	v_fma_f64 v[12:13], v[12:13], v[22:23], v[56:57]
	v_fma_f64 v[10:11], v[10:11], v[22:23], -v[24:25]
	s_waitcnt vmcnt(5) lgkmcnt(1)
	v_mul_f64 v[54:55], v[2:3], v[28:29]
	v_mul_f64 v[28:29], v[4:5], v[28:29]
	s_waitcnt vmcnt(4) lgkmcnt(0)
	v_mul_f64 v[22:23], v[14:15], v[32:33]
	v_mul_f64 v[24:25], v[16:17], v[32:33]
	v_add_f64 v[18:19], v[20:21], v[18:19]
	v_add_f64 v[20:21], v[52:53], v[58:59]
	v_fma_f64 v[32:33], v[4:5], v[26:27], v[54:55]
	v_fma_f64 v[26:27], v[2:3], v[26:27], -v[28:29]
	v_fma_f64 v[16:17], v[16:17], v[30:31], v[22:23]
	v_fma_f64 v[14:15], v[14:15], v[30:31], -v[24:25]
	v_add_f64 v[18:19], v[18:19], v[10:11]
	v_add_f64 v[20:21], v[20:21], v[12:13]
	ds_load_b128 v[2:5], v1 offset:1824
	ds_load_b128 v[10:13], v1 offset:1840
	s_waitcnt vmcnt(3) lgkmcnt(1)
	v_mul_f64 v[28:29], v[2:3], v[36:37]
	v_mul_f64 v[36:37], v[4:5], v[36:37]
	s_waitcnt vmcnt(2) lgkmcnt(0)
	v_mul_f64 v[22:23], v[10:11], v[40:41]
	v_mul_f64 v[24:25], v[12:13], v[40:41]
	v_add_f64 v[18:19], v[18:19], v[26:27]
	v_add_f64 v[20:21], v[20:21], v[32:33]
	v_fma_f64 v[26:27], v[4:5], v[34:35], v[28:29]
	v_fma_f64 v[28:29], v[2:3], v[34:35], -v[36:37]
	v_fma_f64 v[12:13], v[12:13], v[38:39], v[22:23]
	v_fma_f64 v[10:11], v[10:11], v[38:39], -v[24:25]
	v_add_f64 v[18:19], v[18:19], v[14:15]
	v_add_f64 v[20:21], v[20:21], v[16:17]
	ds_load_b128 v[2:5], v1 offset:1856
	ds_load_b128 v[14:17], v1 offset:1872
	s_waitcnt vmcnt(1) lgkmcnt(1)
	v_mul_f64 v[30:31], v[2:3], v[44:45]
	v_mul_f64 v[32:33], v[4:5], v[44:45]
	s_waitcnt vmcnt(0) lgkmcnt(0)
	v_mul_f64 v[22:23], v[14:15], v[8:9]
	v_mul_f64 v[8:9], v[16:17], v[8:9]
	v_add_f64 v[18:19], v[18:19], v[28:29]
	v_add_f64 v[20:21], v[20:21], v[26:27]
	v_fma_f64 v[4:5], v[4:5], v[42:43], v[30:31]
	v_fma_f64 v[1:2], v[2:3], v[42:43], -v[32:33]
	v_fma_f64 v[16:17], v[16:17], v[6:7], v[22:23]
	v_fma_f64 v[6:7], v[14:15], v[6:7], -v[8:9]
	v_add_f64 v[10:11], v[18:19], v[10:11]
	v_add_f64 v[12:13], v[20:21], v[12:13]
	s_delay_alu instid0(VALU_DEP_2) | instskip(NEXT) | instid1(VALU_DEP_2)
	v_add_f64 v[1:2], v[10:11], v[1:2]
	v_add_f64 v[3:4], v[12:13], v[4:5]
	s_delay_alu instid0(VALU_DEP_2) | instskip(NEXT) | instid1(VALU_DEP_2)
	;; [unrolled: 3-line block ×3, first 2 shown]
	v_add_f64 v[1:2], v[48:49], -v[1:2]
	v_add_f64 v[3:4], v[50:51], -v[3:4]
	scratch_store_b128 off, v[1:4], off offset:416
	v_cmpx_lt_u32_e32 25, v164
	s_cbranch_execz .LBB122_317
; %bb.316:
	scratch_load_b32 v1, off, off offset:992 ; 4-byte Folded Reload
	v_mov_b32_e32 v5, 0
	s_delay_alu instid0(VALU_DEP_1)
	v_mov_b32_e32 v6, v5
	v_mov_b32_e32 v7, v5
	;; [unrolled: 1-line block ×3, first 2 shown]
	s_waitcnt vmcnt(0)
	scratch_load_b128 v[1:4], v1, off
	scratch_store_b128 off, v[5:8], off offset:400
	s_waitcnt vmcnt(0)
	ds_store_b128 v223, v[1:4]
.LBB122_317:
	s_or_b32 exec_lo, exec_lo, s2
	s_waitcnt lgkmcnt(0)
	s_waitcnt_vscnt null, 0x0
	s_barrier
	buffer_gl0_inv
	s_clause 0x7
	scratch_load_b128 v[2:5], off, off offset:416
	scratch_load_b128 v[6:9], off, off offset:432
	;; [unrolled: 1-line block ×8, first 2 shown]
	v_mov_b32_e32 v1, 0
	s_mov_b32 s2, exec_lo
	ds_load_b128 v[38:41], v1 offset:1360
	s_clause 0x1
	scratch_load_b128 v[34:37], off, off offset:544
	scratch_load_b128 v[42:45], off, off offset:400
	ds_load_b128 v[48:51], v1 offset:1376
	scratch_load_b128 v[52:55], off, off offset:560
	s_waitcnt vmcnt(10) lgkmcnt(1)
	v_mul_f64 v[56:57], v[40:41], v[4:5]
	v_mul_f64 v[4:5], v[38:39], v[4:5]
	s_delay_alu instid0(VALU_DEP_2) | instskip(NEXT) | instid1(VALU_DEP_2)
	v_fma_f64 v[62:63], v[38:39], v[2:3], -v[56:57]
	v_fma_f64 v[82:83], v[40:41], v[2:3], v[4:5]
	scratch_load_b128 v[38:41], off, off offset:576
	ds_load_b128 v[2:5], v1 offset:1392
	s_waitcnt vmcnt(10) lgkmcnt(1)
	v_mul_f64 v[60:61], v[48:49], v[8:9]
	v_mul_f64 v[8:9], v[50:51], v[8:9]
	ds_load_b128 v[56:59], v1 offset:1408
	s_waitcnt vmcnt(9) lgkmcnt(1)
	v_mul_f64 v[165:166], v[2:3], v[12:13]
	v_mul_f64 v[12:13], v[4:5], v[12:13]
	v_fma_f64 v[50:51], v[50:51], v[6:7], v[60:61]
	v_fma_f64 v[48:49], v[48:49], v[6:7], -v[8:9]
	v_add_f64 v[60:61], v[62:63], 0
	v_add_f64 v[62:63], v[82:83], 0
	scratch_load_b128 v[6:9], off, off offset:592
	v_fma_f64 v[165:166], v[4:5], v[10:11], v[165:166]
	v_fma_f64 v[167:168], v[2:3], v[10:11], -v[12:13]
	scratch_load_b128 v[10:13], off, off offset:608
	ds_load_b128 v[2:5], v1 offset:1424
	s_waitcnt vmcnt(10) lgkmcnt(1)
	v_mul_f64 v[82:83], v[56:57], v[16:17]
	v_mul_f64 v[16:17], v[58:59], v[16:17]
	v_add_f64 v[60:61], v[60:61], v[48:49]
	v_add_f64 v[62:63], v[62:63], v[50:51]
	s_waitcnt vmcnt(9) lgkmcnt(0)
	v_mul_f64 v[169:170], v[2:3], v[20:21]
	v_mul_f64 v[20:21], v[4:5], v[20:21]
	ds_load_b128 v[48:51], v1 offset:1440
	v_fma_f64 v[58:59], v[58:59], v[14:15], v[82:83]
	v_fma_f64 v[56:57], v[56:57], v[14:15], -v[16:17]
	scratch_load_b128 v[14:17], off, off offset:624
	v_add_f64 v[60:61], v[60:61], v[167:168]
	v_add_f64 v[62:63], v[62:63], v[165:166]
	v_fma_f64 v[165:166], v[4:5], v[18:19], v[169:170]
	v_fma_f64 v[167:168], v[2:3], v[18:19], -v[20:21]
	scratch_load_b128 v[18:21], off, off offset:640
	ds_load_b128 v[2:5], v1 offset:1456
	s_waitcnt vmcnt(10) lgkmcnt(1)
	v_mul_f64 v[82:83], v[48:49], v[24:25]
	v_mul_f64 v[24:25], v[50:51], v[24:25]
	s_waitcnt vmcnt(9) lgkmcnt(0)
	v_mul_f64 v[169:170], v[2:3], v[28:29]
	v_mul_f64 v[28:29], v[4:5], v[28:29]
	v_add_f64 v[60:61], v[60:61], v[56:57]
	v_add_f64 v[62:63], v[62:63], v[58:59]
	ds_load_b128 v[56:59], v1 offset:1472
	v_fma_f64 v[50:51], v[50:51], v[22:23], v[82:83]
	v_fma_f64 v[48:49], v[48:49], v[22:23], -v[24:25]
	scratch_load_b128 v[22:25], off, off offset:656
	v_add_f64 v[60:61], v[60:61], v[167:168]
	v_add_f64 v[62:63], v[62:63], v[165:166]
	v_fma_f64 v[165:166], v[4:5], v[26:27], v[169:170]
	v_fma_f64 v[167:168], v[2:3], v[26:27], -v[28:29]
	scratch_load_b128 v[26:29], off, off offset:672
	ds_load_b128 v[2:5], v1 offset:1488
	s_waitcnt vmcnt(10) lgkmcnt(1)
	v_mul_f64 v[82:83], v[56:57], v[32:33]
	v_mul_f64 v[32:33], v[58:59], v[32:33]
	s_waitcnt vmcnt(9) lgkmcnt(0)
	v_mul_f64 v[169:170], v[2:3], v[36:37]
	v_mul_f64 v[36:37], v[4:5], v[36:37]
	v_add_f64 v[60:61], v[60:61], v[48:49]
	v_add_f64 v[62:63], v[62:63], v[50:51]
	ds_load_b128 v[48:51], v1 offset:1504
	v_fma_f64 v[58:59], v[58:59], v[30:31], v[82:83]
	v_fma_f64 v[56:57], v[56:57], v[30:31], -v[32:33]
	scratch_load_b128 v[30:33], off, off offset:688
	v_add_f64 v[60:61], v[60:61], v[167:168]
	v_add_f64 v[62:63], v[62:63], v[165:166]
	v_fma_f64 v[167:168], v[4:5], v[34:35], v[169:170]
	v_fma_f64 v[169:170], v[2:3], v[34:35], -v[36:37]
	scratch_load_b128 v[34:37], off, off offset:704
	ds_load_b128 v[2:5], v1 offset:1520
	s_waitcnt vmcnt(9) lgkmcnt(1)
	v_mul_f64 v[82:83], v[48:49], v[54:55]
	v_mul_f64 v[165:166], v[50:51], v[54:55]
	v_add_f64 v[60:61], v[60:61], v[56:57]
	v_add_f64 v[58:59], v[62:63], v[58:59]
	ds_load_b128 v[54:57], v1 offset:1536
	v_fma_f64 v[82:83], v[50:51], v[52:53], v[82:83]
	v_fma_f64 v[52:53], v[48:49], v[52:53], -v[165:166]
	scratch_load_b128 v[48:51], off, off offset:720
	s_waitcnt vmcnt(9) lgkmcnt(1)
	v_mul_f64 v[62:63], v[2:3], v[40:41]
	v_mul_f64 v[40:41], v[4:5], v[40:41]
	v_add_f64 v[60:61], v[60:61], v[169:170]
	v_add_f64 v[58:59], v[58:59], v[167:168]
	s_delay_alu instid0(VALU_DEP_4) | instskip(NEXT) | instid1(VALU_DEP_4)
	v_fma_f64 v[62:63], v[4:5], v[38:39], v[62:63]
	v_fma_f64 v[167:168], v[2:3], v[38:39], -v[40:41]
	scratch_load_b128 v[38:41], off, off offset:736
	ds_load_b128 v[2:5], v1 offset:1552
	s_waitcnt vmcnt(9) lgkmcnt(1)
	v_mul_f64 v[165:166], v[54:55], v[8:9]
	v_mul_f64 v[8:9], v[56:57], v[8:9]
	s_waitcnt vmcnt(8) lgkmcnt(0)
	v_mul_f64 v[169:170], v[2:3], v[12:13]
	v_mul_f64 v[12:13], v[4:5], v[12:13]
	v_add_f64 v[52:53], v[60:61], v[52:53]
	v_add_f64 v[82:83], v[58:59], v[82:83]
	ds_load_b128 v[58:61], v1 offset:1568
	v_fma_f64 v[56:57], v[56:57], v[6:7], v[165:166]
	v_fma_f64 v[54:55], v[54:55], v[6:7], -v[8:9]
	scratch_load_b128 v[6:9], off, off offset:752
	v_fma_f64 v[165:166], v[4:5], v[10:11], v[169:170]
	v_add_f64 v[52:53], v[52:53], v[167:168]
	v_add_f64 v[62:63], v[82:83], v[62:63]
	v_fma_f64 v[167:168], v[2:3], v[10:11], -v[12:13]
	scratch_load_b128 v[10:13], off, off offset:768
	ds_load_b128 v[2:5], v1 offset:1584
	s_waitcnt vmcnt(9) lgkmcnt(1)
	v_mul_f64 v[82:83], v[58:59], v[16:17]
	v_mul_f64 v[16:17], v[60:61], v[16:17]
	v_add_f64 v[169:170], v[52:53], v[54:55]
	v_add_f64 v[56:57], v[62:63], v[56:57]
	s_waitcnt vmcnt(8) lgkmcnt(0)
	v_mul_f64 v[62:63], v[2:3], v[20:21]
	v_mul_f64 v[20:21], v[4:5], v[20:21]
	ds_load_b128 v[52:55], v1 offset:1600
	v_fma_f64 v[60:61], v[60:61], v[14:15], v[82:83]
	v_fma_f64 v[58:59], v[58:59], v[14:15], -v[16:17]
	scratch_load_b128 v[14:17], off, off offset:784
	v_add_f64 v[82:83], v[169:170], v[167:168]
	v_add_f64 v[56:57], v[56:57], v[165:166]
	v_fma_f64 v[62:63], v[4:5], v[18:19], v[62:63]
	v_fma_f64 v[167:168], v[2:3], v[18:19], -v[20:21]
	scratch_load_b128 v[18:21], off, off offset:800
	ds_load_b128 v[2:5], v1 offset:1616
	s_waitcnt vmcnt(9) lgkmcnt(1)
	v_mul_f64 v[165:166], v[52:53], v[24:25]
	v_mul_f64 v[24:25], v[54:55], v[24:25]
	s_waitcnt vmcnt(8) lgkmcnt(0)
	v_mul_f64 v[169:170], v[2:3], v[28:29]
	v_mul_f64 v[28:29], v[4:5], v[28:29]
	v_add_f64 v[82:83], v[82:83], v[58:59]
	v_add_f64 v[60:61], v[56:57], v[60:61]
	ds_load_b128 v[56:59], v1 offset:1632
	v_fma_f64 v[54:55], v[54:55], v[22:23], v[165:166]
	v_fma_f64 v[52:53], v[52:53], v[22:23], -v[24:25]
	scratch_load_b128 v[22:25], off, off offset:816
	v_fma_f64 v[165:166], v[4:5], v[26:27], v[169:170]
	v_add_f64 v[82:83], v[82:83], v[167:168]
	v_add_f64 v[60:61], v[60:61], v[62:63]
	v_fma_f64 v[167:168], v[2:3], v[26:27], -v[28:29]
	scratch_load_b128 v[26:29], off, off offset:832
	ds_load_b128 v[2:5], v1 offset:1648
	s_waitcnt vmcnt(9) lgkmcnt(1)
	v_mul_f64 v[62:63], v[56:57], v[32:33]
	v_mul_f64 v[32:33], v[58:59], v[32:33]
	s_waitcnt vmcnt(8) lgkmcnt(0)
	v_mul_f64 v[169:170], v[2:3], v[36:37]
	v_mul_f64 v[36:37], v[4:5], v[36:37]
	v_add_f64 v[82:83], v[82:83], v[52:53]
	v_add_f64 v[60:61], v[60:61], v[54:55]
	ds_load_b128 v[52:55], v1 offset:1664
	v_fma_f64 v[58:59], v[58:59], v[30:31], v[62:63]
	v_fma_f64 v[56:57], v[56:57], v[30:31], -v[32:33]
	scratch_load_b128 v[30:33], off, off offset:848
	v_add_f64 v[62:63], v[82:83], v[167:168]
	v_add_f64 v[60:61], v[60:61], v[165:166]
	v_fma_f64 v[165:166], v[4:5], v[34:35], v[169:170]
	v_fma_f64 v[167:168], v[2:3], v[34:35], -v[36:37]
	scratch_load_b128 v[34:37], off, off offset:864
	ds_load_b128 v[2:5], v1 offset:1680
	s_waitcnt vmcnt(9) lgkmcnt(1)
	v_mul_f64 v[82:83], v[52:53], v[50:51]
	v_mul_f64 v[50:51], v[54:55], v[50:51]
	s_waitcnt vmcnt(8) lgkmcnt(0)
	v_mul_f64 v[169:170], v[2:3], v[40:41]
	v_mul_f64 v[40:41], v[4:5], v[40:41]
	v_add_f64 v[62:63], v[62:63], v[56:57]
	v_add_f64 v[60:61], v[60:61], v[58:59]
	ds_load_b128 v[56:59], v1 offset:1696
	v_fma_f64 v[54:55], v[54:55], v[48:49], v[82:83]
	v_fma_f64 v[52:53], v[52:53], v[48:49], -v[50:51]
	scratch_load_b128 v[48:51], off, off offset:880
	v_add_f64 v[62:63], v[62:63], v[167:168]
	v_add_f64 v[60:61], v[60:61], v[165:166]
	v_fma_f64 v[165:166], v[4:5], v[38:39], v[169:170]
	;; [unrolled: 18-line block ×3, first 2 shown]
	v_fma_f64 v[167:168], v[2:3], v[10:11], -v[12:13]
	scratch_load_b128 v[10:13], off, off offset:928
	ds_load_b128 v[2:5], v1 offset:1744
	s_waitcnt vmcnt(9) lgkmcnt(1)
	v_mul_f64 v[82:83], v[52:53], v[16:17]
	v_mul_f64 v[16:17], v[54:55], v[16:17]
	s_waitcnt vmcnt(8) lgkmcnt(0)
	v_mul_f64 v[169:170], v[2:3], v[20:21]
	v_mul_f64 v[20:21], v[4:5], v[20:21]
	v_add_f64 v[62:63], v[62:63], v[56:57]
	v_add_f64 v[60:61], v[60:61], v[58:59]
	ds_load_b128 v[56:59], v1 offset:1760
	v_fma_f64 v[54:55], v[54:55], v[14:15], v[82:83]
	v_fma_f64 v[14:15], v[52:53], v[14:15], -v[16:17]
	v_add_f64 v[16:17], v[62:63], v[167:168]
	v_add_f64 v[52:53], v[60:61], v[165:166]
	s_waitcnt vmcnt(7) lgkmcnt(0)
	v_mul_f64 v[60:61], v[56:57], v[24:25]
	v_mul_f64 v[24:25], v[58:59], v[24:25]
	v_fma_f64 v[62:63], v[4:5], v[18:19], v[169:170]
	v_fma_f64 v[18:19], v[2:3], v[18:19], -v[20:21]
	v_add_f64 v[20:21], v[16:17], v[14:15]
	v_add_f64 v[52:53], v[52:53], v[54:55]
	ds_load_b128 v[2:5], v1 offset:1776
	ds_load_b128 v[14:17], v1 offset:1792
	v_fma_f64 v[58:59], v[58:59], v[22:23], v[60:61]
	v_fma_f64 v[22:23], v[56:57], v[22:23], -v[24:25]
	s_waitcnt vmcnt(6) lgkmcnt(1)
	v_mul_f64 v[54:55], v[2:3], v[28:29]
	v_mul_f64 v[28:29], v[4:5], v[28:29]
	s_waitcnt vmcnt(5) lgkmcnt(0)
	v_mul_f64 v[24:25], v[14:15], v[32:33]
	v_mul_f64 v[32:33], v[16:17], v[32:33]
	v_add_f64 v[18:19], v[20:21], v[18:19]
	v_add_f64 v[20:21], v[52:53], v[62:63]
	v_fma_f64 v[52:53], v[4:5], v[26:27], v[54:55]
	v_fma_f64 v[26:27], v[2:3], v[26:27], -v[28:29]
	v_fma_f64 v[16:17], v[16:17], v[30:31], v[24:25]
	v_fma_f64 v[14:15], v[14:15], v[30:31], -v[32:33]
	v_add_f64 v[22:23], v[18:19], v[22:23]
	v_add_f64 v[28:29], v[20:21], v[58:59]
	ds_load_b128 v[2:5], v1 offset:1808
	ds_load_b128 v[18:21], v1 offset:1824
	s_waitcnt vmcnt(4) lgkmcnt(1)
	v_mul_f64 v[54:55], v[2:3], v[36:37]
	v_mul_f64 v[36:37], v[4:5], v[36:37]
	v_add_f64 v[22:23], v[22:23], v[26:27]
	v_add_f64 v[24:25], v[28:29], v[52:53]
	s_waitcnt vmcnt(3) lgkmcnt(0)
	v_mul_f64 v[26:27], v[18:19], v[50:51]
	v_mul_f64 v[28:29], v[20:21], v[50:51]
	v_fma_f64 v[30:31], v[4:5], v[34:35], v[54:55]
	v_fma_f64 v[32:33], v[2:3], v[34:35], -v[36:37]
	v_add_f64 v[22:23], v[22:23], v[14:15]
	v_add_f64 v[24:25], v[24:25], v[16:17]
	ds_load_b128 v[2:5], v1 offset:1840
	ds_load_b128 v[14:17], v1 offset:1856
	v_fma_f64 v[20:21], v[20:21], v[48:49], v[26:27]
	v_fma_f64 v[18:19], v[18:19], v[48:49], -v[28:29]
	s_waitcnt vmcnt(2) lgkmcnt(1)
	v_mul_f64 v[34:35], v[2:3], v[40:41]
	v_mul_f64 v[36:37], v[4:5], v[40:41]
	s_waitcnt vmcnt(1) lgkmcnt(0)
	v_mul_f64 v[26:27], v[14:15], v[8:9]
	v_mul_f64 v[8:9], v[16:17], v[8:9]
	v_add_f64 v[22:23], v[22:23], v[32:33]
	v_add_f64 v[24:25], v[24:25], v[30:31]
	v_fma_f64 v[28:29], v[4:5], v[38:39], v[34:35]
	v_fma_f64 v[30:31], v[2:3], v[38:39], -v[36:37]
	ds_load_b128 v[2:5], v1 offset:1872
	v_fma_f64 v[16:17], v[16:17], v[6:7], v[26:27]
	v_fma_f64 v[6:7], v[14:15], v[6:7], -v[8:9]
	v_add_f64 v[18:19], v[22:23], v[18:19]
	v_add_f64 v[20:21], v[24:25], v[20:21]
	s_waitcnt vmcnt(0) lgkmcnt(0)
	v_mul_f64 v[22:23], v[2:3], v[12:13]
	v_mul_f64 v[12:13], v[4:5], v[12:13]
	s_delay_alu instid0(VALU_DEP_4) | instskip(NEXT) | instid1(VALU_DEP_4)
	v_add_f64 v[8:9], v[18:19], v[30:31]
	v_add_f64 v[14:15], v[20:21], v[28:29]
	s_delay_alu instid0(VALU_DEP_4) | instskip(NEXT) | instid1(VALU_DEP_4)
	v_fma_f64 v[4:5], v[4:5], v[10:11], v[22:23]
	v_fma_f64 v[2:3], v[2:3], v[10:11], -v[12:13]
	s_delay_alu instid0(VALU_DEP_4) | instskip(NEXT) | instid1(VALU_DEP_4)
	v_add_f64 v[6:7], v[8:9], v[6:7]
	v_add_f64 v[8:9], v[14:15], v[16:17]
	s_delay_alu instid0(VALU_DEP_2) | instskip(NEXT) | instid1(VALU_DEP_2)
	v_add_f64 v[2:3], v[6:7], v[2:3]
	v_add_f64 v[4:5], v[8:9], v[4:5]
	s_delay_alu instid0(VALU_DEP_2) | instskip(NEXT) | instid1(VALU_DEP_2)
	v_add_f64 v[2:3], v[42:43], -v[2:3]
	v_add_f64 v[4:5], v[44:45], -v[4:5]
	scratch_store_b128 off, v[2:5], off offset:400
	v_cmpx_lt_u32_e32 24, v164
	s_cbranch_execz .LBB122_319
; %bb.318:
	scratch_load_b32 v2, off, off offset:996 ; 4-byte Folded Reload
	v_mov_b32_e32 v3, v1
	v_mov_b32_e32 v4, v1
	s_waitcnt vmcnt(0)
	scratch_load_b128 v[5:8], v2, off
	v_mov_b32_e32 v2, v1
	scratch_store_b128 off, v[1:4], off offset:384
	s_waitcnt vmcnt(0)
	ds_store_b128 v223, v[5:8]
.LBB122_319:
	s_or_b32 exec_lo, exec_lo, s2
	s_waitcnt lgkmcnt(0)
	s_waitcnt_vscnt null, 0x0
	s_barrier
	buffer_gl0_inv
	s_clause 0x8
	scratch_load_b128 v[2:5], off, off offset:400
	scratch_load_b128 v[6:9], off, off offset:416
	;; [unrolled: 1-line block ×9, first 2 shown]
	ds_load_b128 v[42:45], v1 offset:1344
	ds_load_b128 v[38:41], v1 offset:1360
	s_clause 0x1
	scratch_load_b128 v[48:51], off, off offset:384
	scratch_load_b128 v[52:55], off, off offset:544
	s_mov_b32 s2, exec_lo
	s_waitcnt vmcnt(10) lgkmcnt(1)
	v_mul_f64 v[56:57], v[44:45], v[4:5]
	v_mul_f64 v[4:5], v[42:43], v[4:5]
	s_waitcnt vmcnt(9) lgkmcnt(0)
	v_mul_f64 v[60:61], v[38:39], v[8:9]
	v_mul_f64 v[8:9], v[40:41], v[8:9]
	s_delay_alu instid0(VALU_DEP_4) | instskip(NEXT) | instid1(VALU_DEP_4)
	v_fma_f64 v[62:63], v[42:43], v[2:3], -v[56:57]
	v_fma_f64 v[82:83], v[44:45], v[2:3], v[4:5]
	ds_load_b128 v[2:5], v1 offset:1376
	ds_load_b128 v[56:59], v1 offset:1392
	scratch_load_b128 v[42:45], off, off offset:560
	v_fma_f64 v[40:41], v[40:41], v[6:7], v[60:61]
	v_fma_f64 v[38:39], v[38:39], v[6:7], -v[8:9]
	scratch_load_b128 v[6:9], off, off offset:576
	s_waitcnt vmcnt(10) lgkmcnt(1)
	v_mul_f64 v[165:166], v[2:3], v[12:13]
	v_mul_f64 v[12:13], v[4:5], v[12:13]
	v_add_f64 v[60:61], v[62:63], 0
	v_add_f64 v[62:63], v[82:83], 0
	s_waitcnt vmcnt(9) lgkmcnt(0)
	v_mul_f64 v[82:83], v[56:57], v[16:17]
	v_mul_f64 v[16:17], v[58:59], v[16:17]
	v_fma_f64 v[165:166], v[4:5], v[10:11], v[165:166]
	v_fma_f64 v[167:168], v[2:3], v[10:11], -v[12:13]
	ds_load_b128 v[2:5], v1 offset:1408
	scratch_load_b128 v[10:13], off, off offset:592
	v_add_f64 v[60:61], v[60:61], v[38:39]
	v_add_f64 v[62:63], v[62:63], v[40:41]
	ds_load_b128 v[38:41], v1 offset:1424
	v_fma_f64 v[58:59], v[58:59], v[14:15], v[82:83]
	v_fma_f64 v[56:57], v[56:57], v[14:15], -v[16:17]
	scratch_load_b128 v[14:17], off, off offset:608
	s_waitcnt vmcnt(10) lgkmcnt(1)
	v_mul_f64 v[169:170], v[2:3], v[20:21]
	v_mul_f64 v[20:21], v[4:5], v[20:21]
	s_waitcnt vmcnt(9) lgkmcnt(0)
	v_mul_f64 v[82:83], v[38:39], v[24:25]
	v_mul_f64 v[24:25], v[40:41], v[24:25]
	v_add_f64 v[60:61], v[60:61], v[167:168]
	v_add_f64 v[62:63], v[62:63], v[165:166]
	v_fma_f64 v[165:166], v[4:5], v[18:19], v[169:170]
	v_fma_f64 v[167:168], v[2:3], v[18:19], -v[20:21]
	ds_load_b128 v[2:5], v1 offset:1440
	scratch_load_b128 v[18:21], off, off offset:624
	v_fma_f64 v[40:41], v[40:41], v[22:23], v[82:83]
	v_fma_f64 v[38:39], v[38:39], v[22:23], -v[24:25]
	scratch_load_b128 v[22:25], off, off offset:640
	v_add_f64 v[60:61], v[60:61], v[56:57]
	v_add_f64 v[62:63], v[62:63], v[58:59]
	ds_load_b128 v[56:59], v1 offset:1456
	s_waitcnt vmcnt(10) lgkmcnt(1)
	v_mul_f64 v[169:170], v[2:3], v[28:29]
	v_mul_f64 v[28:29], v[4:5], v[28:29]
	s_waitcnt vmcnt(9) lgkmcnt(0)
	v_mul_f64 v[82:83], v[56:57], v[32:33]
	v_mul_f64 v[32:33], v[58:59], v[32:33]
	v_add_f64 v[60:61], v[60:61], v[167:168]
	v_add_f64 v[62:63], v[62:63], v[165:166]
	v_fma_f64 v[165:166], v[4:5], v[26:27], v[169:170]
	v_fma_f64 v[167:168], v[2:3], v[26:27], -v[28:29]
	ds_load_b128 v[2:5], v1 offset:1472
	scratch_load_b128 v[26:29], off, off offset:656
	v_fma_f64 v[58:59], v[58:59], v[30:31], v[82:83]
	v_fma_f64 v[56:57], v[56:57], v[30:31], -v[32:33]
	scratch_load_b128 v[30:33], off, off offset:672
	v_add_f64 v[60:61], v[60:61], v[38:39]
	v_add_f64 v[62:63], v[62:63], v[40:41]
	ds_load_b128 v[38:41], v1 offset:1488
	s_waitcnt vmcnt(10) lgkmcnt(1)
	v_mul_f64 v[169:170], v[2:3], v[36:37]
	v_mul_f64 v[36:37], v[4:5], v[36:37]
	s_waitcnt vmcnt(8) lgkmcnt(0)
	v_mul_f64 v[82:83], v[38:39], v[54:55]
	v_add_f64 v[60:61], v[60:61], v[167:168]
	v_add_f64 v[62:63], v[62:63], v[165:166]
	v_mul_f64 v[165:166], v[40:41], v[54:55]
	v_fma_f64 v[167:168], v[4:5], v[34:35], v[169:170]
	v_fma_f64 v[169:170], v[2:3], v[34:35], -v[36:37]
	ds_load_b128 v[2:5], v1 offset:1504
	scratch_load_b128 v[34:37], off, off offset:688
	v_fma_f64 v[82:83], v[40:41], v[52:53], v[82:83]
	v_add_f64 v[60:61], v[60:61], v[56:57]
	v_add_f64 v[58:59], v[62:63], v[58:59]
	ds_load_b128 v[54:57], v1 offset:1520
	v_fma_f64 v[52:53], v[38:39], v[52:53], -v[165:166]
	scratch_load_b128 v[38:41], off, off offset:704
	s_waitcnt vmcnt(9) lgkmcnt(1)
	v_mul_f64 v[62:63], v[2:3], v[44:45]
	v_mul_f64 v[44:45], v[4:5], v[44:45]
	s_waitcnt vmcnt(8) lgkmcnt(0)
	v_mul_f64 v[165:166], v[54:55], v[8:9]
	v_mul_f64 v[8:9], v[56:57], v[8:9]
	v_add_f64 v[60:61], v[60:61], v[169:170]
	v_add_f64 v[58:59], v[58:59], v[167:168]
	v_fma_f64 v[62:63], v[4:5], v[42:43], v[62:63]
	v_fma_f64 v[167:168], v[2:3], v[42:43], -v[44:45]
	ds_load_b128 v[2:5], v1 offset:1536
	scratch_load_b128 v[42:45], off, off offset:720
	v_fma_f64 v[56:57], v[56:57], v[6:7], v[165:166]
	v_fma_f64 v[54:55], v[54:55], v[6:7], -v[8:9]
	scratch_load_b128 v[6:9], off, off offset:736
	v_add_f64 v[52:53], v[60:61], v[52:53]
	v_add_f64 v[82:83], v[58:59], v[82:83]
	ds_load_b128 v[58:61], v1 offset:1552
	s_waitcnt vmcnt(9) lgkmcnt(1)
	v_mul_f64 v[169:170], v[2:3], v[12:13]
	v_mul_f64 v[12:13], v[4:5], v[12:13]
	v_add_f64 v[52:53], v[52:53], v[167:168]
	v_add_f64 v[62:63], v[82:83], v[62:63]
	s_waitcnt vmcnt(8) lgkmcnt(0)
	v_mul_f64 v[82:83], v[58:59], v[16:17]
	v_mul_f64 v[16:17], v[60:61], v[16:17]
	v_fma_f64 v[165:166], v[4:5], v[10:11], v[169:170]
	v_fma_f64 v[167:168], v[2:3], v[10:11], -v[12:13]
	ds_load_b128 v[2:5], v1 offset:1568
	scratch_load_b128 v[10:13], off, off offset:752
	v_add_f64 v[169:170], v[52:53], v[54:55]
	v_add_f64 v[56:57], v[62:63], v[56:57]
	ds_load_b128 v[52:55], v1 offset:1584
	s_waitcnt vmcnt(8) lgkmcnt(1)
	v_mul_f64 v[62:63], v[2:3], v[20:21]
	v_mul_f64 v[20:21], v[4:5], v[20:21]
	v_fma_f64 v[60:61], v[60:61], v[14:15], v[82:83]
	v_fma_f64 v[58:59], v[58:59], v[14:15], -v[16:17]
	scratch_load_b128 v[14:17], off, off offset:768
	v_add_f64 v[82:83], v[169:170], v[167:168]
	v_add_f64 v[56:57], v[56:57], v[165:166]
	s_waitcnt vmcnt(8) lgkmcnt(0)
	v_mul_f64 v[165:166], v[52:53], v[24:25]
	v_mul_f64 v[24:25], v[54:55], v[24:25]
	v_fma_f64 v[62:63], v[4:5], v[18:19], v[62:63]
	v_fma_f64 v[167:168], v[2:3], v[18:19], -v[20:21]
	ds_load_b128 v[2:5], v1 offset:1600
	scratch_load_b128 v[18:21], off, off offset:784
	v_add_f64 v[82:83], v[82:83], v[58:59]
	v_add_f64 v[60:61], v[56:57], v[60:61]
	ds_load_b128 v[56:59], v1 offset:1616
	s_waitcnt vmcnt(8) lgkmcnt(1)
	v_mul_f64 v[169:170], v[2:3], v[28:29]
	v_mul_f64 v[28:29], v[4:5], v[28:29]
	v_fma_f64 v[54:55], v[54:55], v[22:23], v[165:166]
	v_fma_f64 v[52:53], v[52:53], v[22:23], -v[24:25]
	scratch_load_b128 v[22:25], off, off offset:800
	;; [unrolled: 18-line block ×4, first 2 shown]
	s_waitcnt vmcnt(8) lgkmcnt(0)
	v_mul_f64 v[82:83], v[56:57], v[8:9]
	v_mul_f64 v[8:9], v[58:59], v[8:9]
	v_add_f64 v[62:63], v[62:63], v[167:168]
	v_add_f64 v[60:61], v[60:61], v[165:166]
	v_fma_f64 v[165:166], v[4:5], v[42:43], v[169:170]
	v_fma_f64 v[167:168], v[2:3], v[42:43], -v[44:45]
	ds_load_b128 v[2:5], v1 offset:1696
	scratch_load_b128 v[42:45], off, off offset:880
	v_fma_f64 v[58:59], v[58:59], v[6:7], v[82:83]
	v_fma_f64 v[56:57], v[56:57], v[6:7], -v[8:9]
	scratch_load_b128 v[6:9], off, off offset:896
	v_add_f64 v[62:63], v[62:63], v[52:53]
	v_add_f64 v[60:61], v[60:61], v[54:55]
	ds_load_b128 v[52:55], v1 offset:1712
	s_waitcnt vmcnt(9) lgkmcnt(1)
	v_mul_f64 v[169:170], v[2:3], v[12:13]
	v_mul_f64 v[12:13], v[4:5], v[12:13]
	s_waitcnt vmcnt(8) lgkmcnt(0)
	v_mul_f64 v[82:83], v[52:53], v[16:17]
	v_mul_f64 v[16:17], v[54:55], v[16:17]
	v_add_f64 v[62:63], v[62:63], v[167:168]
	v_add_f64 v[60:61], v[60:61], v[165:166]
	v_fma_f64 v[165:166], v[4:5], v[10:11], v[169:170]
	v_fma_f64 v[167:168], v[2:3], v[10:11], -v[12:13]
	ds_load_b128 v[2:5], v1 offset:1728
	scratch_load_b128 v[10:13], off, off offset:912
	v_fma_f64 v[54:55], v[54:55], v[14:15], v[82:83]
	v_fma_f64 v[52:53], v[52:53], v[14:15], -v[16:17]
	scratch_load_b128 v[14:17], off, off offset:928
	v_add_f64 v[62:63], v[62:63], v[56:57]
	v_add_f64 v[60:61], v[60:61], v[58:59]
	ds_load_b128 v[56:59], v1 offset:1744
	s_waitcnt vmcnt(9) lgkmcnt(1)
	v_mul_f64 v[169:170], v[2:3], v[20:21]
	v_mul_f64 v[20:21], v[4:5], v[20:21]
	s_waitcnt vmcnt(8) lgkmcnt(0)
	v_mul_f64 v[82:83], v[56:57], v[24:25]
	v_mul_f64 v[24:25], v[58:59], v[24:25]
	v_add_f64 v[62:63], v[62:63], v[167:168]
	v_add_f64 v[60:61], v[60:61], v[165:166]
	v_fma_f64 v[165:166], v[4:5], v[18:19], v[169:170]
	v_fma_f64 v[167:168], v[2:3], v[18:19], -v[20:21]
	ds_load_b128 v[2:5], v1 offset:1760
	ds_load_b128 v[18:21], v1 offset:1776
	v_fma_f64 v[58:59], v[58:59], v[22:23], v[82:83]
	v_fma_f64 v[22:23], v[56:57], v[22:23], -v[24:25]
	v_add_f64 v[52:53], v[62:63], v[52:53]
	v_add_f64 v[54:55], v[60:61], v[54:55]
	s_waitcnt vmcnt(7) lgkmcnt(1)
	v_mul_f64 v[60:61], v[2:3], v[28:29]
	v_mul_f64 v[28:29], v[4:5], v[28:29]
	s_delay_alu instid0(VALU_DEP_4) | instskip(NEXT) | instid1(VALU_DEP_4)
	v_add_f64 v[24:25], v[52:53], v[167:168]
	v_add_f64 v[52:53], v[54:55], v[165:166]
	s_waitcnt vmcnt(6) lgkmcnt(0)
	v_mul_f64 v[54:55], v[18:19], v[32:33]
	v_mul_f64 v[32:33], v[20:21], v[32:33]
	v_fma_f64 v[56:57], v[4:5], v[26:27], v[60:61]
	v_fma_f64 v[26:27], v[2:3], v[26:27], -v[28:29]
	v_add_f64 v[28:29], v[24:25], v[22:23]
	v_add_f64 v[52:53], v[52:53], v[58:59]
	ds_load_b128 v[2:5], v1 offset:1792
	ds_load_b128 v[22:25], v1 offset:1808
	v_fma_f64 v[20:21], v[20:21], v[30:31], v[54:55]
	v_fma_f64 v[18:19], v[18:19], v[30:31], -v[32:33]
	s_waitcnt vmcnt(5) lgkmcnt(1)
	v_mul_f64 v[58:59], v[2:3], v[36:37]
	v_mul_f64 v[36:37], v[4:5], v[36:37]
	s_waitcnt vmcnt(4) lgkmcnt(0)
	v_mul_f64 v[30:31], v[22:23], v[40:41]
	v_mul_f64 v[32:33], v[24:25], v[40:41]
	v_add_f64 v[26:27], v[28:29], v[26:27]
	v_add_f64 v[28:29], v[52:53], v[56:57]
	v_fma_f64 v[40:41], v[4:5], v[34:35], v[58:59]
	v_fma_f64 v[34:35], v[2:3], v[34:35], -v[36:37]
	v_fma_f64 v[24:25], v[24:25], v[38:39], v[30:31]
	v_fma_f64 v[22:23], v[22:23], v[38:39], -v[32:33]
	v_add_f64 v[26:27], v[26:27], v[18:19]
	v_add_f64 v[28:29], v[28:29], v[20:21]
	ds_load_b128 v[2:5], v1 offset:1824
	ds_load_b128 v[18:21], v1 offset:1840
	s_waitcnt vmcnt(3) lgkmcnt(1)
	v_mul_f64 v[36:37], v[2:3], v[44:45]
	v_mul_f64 v[44:45], v[4:5], v[44:45]
	s_waitcnt vmcnt(2) lgkmcnt(0)
	v_mul_f64 v[30:31], v[18:19], v[8:9]
	v_mul_f64 v[8:9], v[20:21], v[8:9]
	v_add_f64 v[26:27], v[26:27], v[34:35]
	v_add_f64 v[28:29], v[28:29], v[40:41]
	v_fma_f64 v[32:33], v[4:5], v[42:43], v[36:37]
	v_fma_f64 v[34:35], v[2:3], v[42:43], -v[44:45]
	v_fma_f64 v[20:21], v[20:21], v[6:7], v[30:31]
	v_fma_f64 v[6:7], v[18:19], v[6:7], -v[8:9]
	v_add_f64 v[26:27], v[26:27], v[22:23]
	v_add_f64 v[28:29], v[28:29], v[24:25]
	ds_load_b128 v[2:5], v1 offset:1856
	ds_load_b128 v[22:25], v1 offset:1872
	s_waitcnt vmcnt(1) lgkmcnt(1)
	v_mul_f64 v[36:37], v[2:3], v[12:13]
	v_mul_f64 v[12:13], v[4:5], v[12:13]
	v_add_f64 v[8:9], v[26:27], v[34:35]
	v_add_f64 v[18:19], v[28:29], v[32:33]
	s_waitcnt vmcnt(0) lgkmcnt(0)
	v_mul_f64 v[26:27], v[22:23], v[16:17]
	v_mul_f64 v[16:17], v[24:25], v[16:17]
	v_fma_f64 v[4:5], v[4:5], v[10:11], v[36:37]
	v_fma_f64 v[1:2], v[2:3], v[10:11], -v[12:13]
	v_add_f64 v[6:7], v[8:9], v[6:7]
	v_add_f64 v[8:9], v[18:19], v[20:21]
	v_fma_f64 v[10:11], v[24:25], v[14:15], v[26:27]
	v_fma_f64 v[12:13], v[22:23], v[14:15], -v[16:17]
	s_delay_alu instid0(VALU_DEP_4) | instskip(NEXT) | instid1(VALU_DEP_4)
	v_add_f64 v[1:2], v[6:7], v[1:2]
	v_add_f64 v[3:4], v[8:9], v[4:5]
	s_delay_alu instid0(VALU_DEP_2) | instskip(NEXT) | instid1(VALU_DEP_2)
	v_add_f64 v[1:2], v[1:2], v[12:13]
	v_add_f64 v[3:4], v[3:4], v[10:11]
	s_delay_alu instid0(VALU_DEP_2) | instskip(NEXT) | instid1(VALU_DEP_2)
	v_add_f64 v[1:2], v[48:49], -v[1:2]
	v_add_f64 v[3:4], v[50:51], -v[3:4]
	scratch_store_b128 off, v[1:4], off offset:384
	v_cmpx_lt_u32_e32 23, v164
	s_cbranch_execz .LBB122_321
; %bb.320:
	scratch_load_b32 v1, off, off offset:1000 ; 4-byte Folded Reload
	v_mov_b32_e32 v5, 0
	s_delay_alu instid0(VALU_DEP_1)
	v_mov_b32_e32 v6, v5
	v_mov_b32_e32 v7, v5
	;; [unrolled: 1-line block ×3, first 2 shown]
	s_waitcnt vmcnt(0)
	scratch_load_b128 v[1:4], v1, off
	scratch_store_b128 off, v[5:8], off offset:368
	s_waitcnt vmcnt(0)
	ds_store_b128 v223, v[1:4]
.LBB122_321:
	s_or_b32 exec_lo, exec_lo, s2
	s_waitcnt lgkmcnt(0)
	s_waitcnt_vscnt null, 0x0
	s_barrier
	buffer_gl0_inv
	s_clause 0x7
	scratch_load_b128 v[2:5], off, off offset:384
	scratch_load_b128 v[6:9], off, off offset:400
	;; [unrolled: 1-line block ×8, first 2 shown]
	v_mov_b32_e32 v1, 0
	s_mov_b32 s2, exec_lo
	ds_load_b128 v[38:41], v1 offset:1328
	s_clause 0x1
	scratch_load_b128 v[34:37], off, off offset:512
	scratch_load_b128 v[42:45], off, off offset:368
	ds_load_b128 v[48:51], v1 offset:1344
	scratch_load_b128 v[52:55], off, off offset:528
	s_waitcnt vmcnt(10) lgkmcnt(1)
	v_mul_f64 v[56:57], v[40:41], v[4:5]
	v_mul_f64 v[4:5], v[38:39], v[4:5]
	s_delay_alu instid0(VALU_DEP_2) | instskip(NEXT) | instid1(VALU_DEP_2)
	v_fma_f64 v[62:63], v[38:39], v[2:3], -v[56:57]
	v_fma_f64 v[82:83], v[40:41], v[2:3], v[4:5]
	scratch_load_b128 v[38:41], off, off offset:544
	ds_load_b128 v[2:5], v1 offset:1360
	s_waitcnt vmcnt(10) lgkmcnt(1)
	v_mul_f64 v[60:61], v[48:49], v[8:9]
	v_mul_f64 v[8:9], v[50:51], v[8:9]
	ds_load_b128 v[56:59], v1 offset:1376
	s_waitcnt vmcnt(9) lgkmcnt(1)
	v_mul_f64 v[165:166], v[2:3], v[12:13]
	v_mul_f64 v[12:13], v[4:5], v[12:13]
	v_fma_f64 v[50:51], v[50:51], v[6:7], v[60:61]
	v_fma_f64 v[48:49], v[48:49], v[6:7], -v[8:9]
	v_add_f64 v[60:61], v[62:63], 0
	v_add_f64 v[62:63], v[82:83], 0
	scratch_load_b128 v[6:9], off, off offset:560
	v_fma_f64 v[165:166], v[4:5], v[10:11], v[165:166]
	v_fma_f64 v[167:168], v[2:3], v[10:11], -v[12:13]
	scratch_load_b128 v[10:13], off, off offset:576
	ds_load_b128 v[2:5], v1 offset:1392
	s_waitcnt vmcnt(10) lgkmcnt(1)
	v_mul_f64 v[82:83], v[56:57], v[16:17]
	v_mul_f64 v[16:17], v[58:59], v[16:17]
	v_add_f64 v[60:61], v[60:61], v[48:49]
	v_add_f64 v[62:63], v[62:63], v[50:51]
	s_waitcnt vmcnt(9) lgkmcnt(0)
	v_mul_f64 v[169:170], v[2:3], v[20:21]
	v_mul_f64 v[20:21], v[4:5], v[20:21]
	ds_load_b128 v[48:51], v1 offset:1408
	v_fma_f64 v[58:59], v[58:59], v[14:15], v[82:83]
	v_fma_f64 v[56:57], v[56:57], v[14:15], -v[16:17]
	scratch_load_b128 v[14:17], off, off offset:592
	v_add_f64 v[60:61], v[60:61], v[167:168]
	v_add_f64 v[62:63], v[62:63], v[165:166]
	v_fma_f64 v[165:166], v[4:5], v[18:19], v[169:170]
	v_fma_f64 v[167:168], v[2:3], v[18:19], -v[20:21]
	scratch_load_b128 v[18:21], off, off offset:608
	ds_load_b128 v[2:5], v1 offset:1424
	s_waitcnt vmcnt(10) lgkmcnt(1)
	v_mul_f64 v[82:83], v[48:49], v[24:25]
	v_mul_f64 v[24:25], v[50:51], v[24:25]
	s_waitcnt vmcnt(9) lgkmcnt(0)
	v_mul_f64 v[169:170], v[2:3], v[28:29]
	v_mul_f64 v[28:29], v[4:5], v[28:29]
	v_add_f64 v[60:61], v[60:61], v[56:57]
	v_add_f64 v[62:63], v[62:63], v[58:59]
	ds_load_b128 v[56:59], v1 offset:1440
	v_fma_f64 v[50:51], v[50:51], v[22:23], v[82:83]
	v_fma_f64 v[48:49], v[48:49], v[22:23], -v[24:25]
	scratch_load_b128 v[22:25], off, off offset:624
	v_add_f64 v[60:61], v[60:61], v[167:168]
	v_add_f64 v[62:63], v[62:63], v[165:166]
	v_fma_f64 v[165:166], v[4:5], v[26:27], v[169:170]
	v_fma_f64 v[167:168], v[2:3], v[26:27], -v[28:29]
	scratch_load_b128 v[26:29], off, off offset:640
	ds_load_b128 v[2:5], v1 offset:1456
	s_waitcnt vmcnt(10) lgkmcnt(1)
	v_mul_f64 v[82:83], v[56:57], v[32:33]
	v_mul_f64 v[32:33], v[58:59], v[32:33]
	s_waitcnt vmcnt(9) lgkmcnt(0)
	v_mul_f64 v[169:170], v[2:3], v[36:37]
	v_mul_f64 v[36:37], v[4:5], v[36:37]
	v_add_f64 v[60:61], v[60:61], v[48:49]
	v_add_f64 v[62:63], v[62:63], v[50:51]
	ds_load_b128 v[48:51], v1 offset:1472
	v_fma_f64 v[58:59], v[58:59], v[30:31], v[82:83]
	v_fma_f64 v[56:57], v[56:57], v[30:31], -v[32:33]
	scratch_load_b128 v[30:33], off, off offset:656
	v_add_f64 v[60:61], v[60:61], v[167:168]
	v_add_f64 v[62:63], v[62:63], v[165:166]
	v_fma_f64 v[167:168], v[4:5], v[34:35], v[169:170]
	v_fma_f64 v[169:170], v[2:3], v[34:35], -v[36:37]
	scratch_load_b128 v[34:37], off, off offset:672
	ds_load_b128 v[2:5], v1 offset:1488
	s_waitcnt vmcnt(9) lgkmcnt(1)
	v_mul_f64 v[82:83], v[48:49], v[54:55]
	v_mul_f64 v[165:166], v[50:51], v[54:55]
	v_add_f64 v[60:61], v[60:61], v[56:57]
	v_add_f64 v[58:59], v[62:63], v[58:59]
	ds_load_b128 v[54:57], v1 offset:1504
	v_fma_f64 v[82:83], v[50:51], v[52:53], v[82:83]
	v_fma_f64 v[52:53], v[48:49], v[52:53], -v[165:166]
	scratch_load_b128 v[48:51], off, off offset:688
	s_waitcnt vmcnt(9) lgkmcnt(1)
	v_mul_f64 v[62:63], v[2:3], v[40:41]
	v_mul_f64 v[40:41], v[4:5], v[40:41]
	v_add_f64 v[60:61], v[60:61], v[169:170]
	v_add_f64 v[58:59], v[58:59], v[167:168]
	s_delay_alu instid0(VALU_DEP_4) | instskip(NEXT) | instid1(VALU_DEP_4)
	v_fma_f64 v[62:63], v[4:5], v[38:39], v[62:63]
	v_fma_f64 v[167:168], v[2:3], v[38:39], -v[40:41]
	scratch_load_b128 v[38:41], off, off offset:704
	ds_load_b128 v[2:5], v1 offset:1520
	s_waitcnt vmcnt(9) lgkmcnt(1)
	v_mul_f64 v[165:166], v[54:55], v[8:9]
	v_mul_f64 v[8:9], v[56:57], v[8:9]
	s_waitcnt vmcnt(8) lgkmcnt(0)
	v_mul_f64 v[169:170], v[2:3], v[12:13]
	v_mul_f64 v[12:13], v[4:5], v[12:13]
	v_add_f64 v[52:53], v[60:61], v[52:53]
	v_add_f64 v[82:83], v[58:59], v[82:83]
	ds_load_b128 v[58:61], v1 offset:1536
	v_fma_f64 v[56:57], v[56:57], v[6:7], v[165:166]
	v_fma_f64 v[54:55], v[54:55], v[6:7], -v[8:9]
	scratch_load_b128 v[6:9], off, off offset:720
	v_fma_f64 v[165:166], v[4:5], v[10:11], v[169:170]
	v_add_f64 v[52:53], v[52:53], v[167:168]
	v_add_f64 v[62:63], v[82:83], v[62:63]
	v_fma_f64 v[167:168], v[2:3], v[10:11], -v[12:13]
	scratch_load_b128 v[10:13], off, off offset:736
	ds_load_b128 v[2:5], v1 offset:1552
	s_waitcnt vmcnt(9) lgkmcnt(1)
	v_mul_f64 v[82:83], v[58:59], v[16:17]
	v_mul_f64 v[16:17], v[60:61], v[16:17]
	v_add_f64 v[169:170], v[52:53], v[54:55]
	v_add_f64 v[56:57], v[62:63], v[56:57]
	s_waitcnt vmcnt(8) lgkmcnt(0)
	v_mul_f64 v[62:63], v[2:3], v[20:21]
	v_mul_f64 v[20:21], v[4:5], v[20:21]
	ds_load_b128 v[52:55], v1 offset:1568
	v_fma_f64 v[60:61], v[60:61], v[14:15], v[82:83]
	v_fma_f64 v[58:59], v[58:59], v[14:15], -v[16:17]
	scratch_load_b128 v[14:17], off, off offset:752
	v_add_f64 v[82:83], v[169:170], v[167:168]
	v_add_f64 v[56:57], v[56:57], v[165:166]
	v_fma_f64 v[62:63], v[4:5], v[18:19], v[62:63]
	v_fma_f64 v[167:168], v[2:3], v[18:19], -v[20:21]
	scratch_load_b128 v[18:21], off, off offset:768
	ds_load_b128 v[2:5], v1 offset:1584
	s_waitcnt vmcnt(9) lgkmcnt(1)
	v_mul_f64 v[165:166], v[52:53], v[24:25]
	v_mul_f64 v[24:25], v[54:55], v[24:25]
	s_waitcnt vmcnt(8) lgkmcnt(0)
	v_mul_f64 v[169:170], v[2:3], v[28:29]
	v_mul_f64 v[28:29], v[4:5], v[28:29]
	v_add_f64 v[82:83], v[82:83], v[58:59]
	v_add_f64 v[60:61], v[56:57], v[60:61]
	ds_load_b128 v[56:59], v1 offset:1600
	v_fma_f64 v[54:55], v[54:55], v[22:23], v[165:166]
	v_fma_f64 v[52:53], v[52:53], v[22:23], -v[24:25]
	scratch_load_b128 v[22:25], off, off offset:784
	v_fma_f64 v[165:166], v[4:5], v[26:27], v[169:170]
	v_add_f64 v[82:83], v[82:83], v[167:168]
	v_add_f64 v[60:61], v[60:61], v[62:63]
	v_fma_f64 v[167:168], v[2:3], v[26:27], -v[28:29]
	scratch_load_b128 v[26:29], off, off offset:800
	ds_load_b128 v[2:5], v1 offset:1616
	s_waitcnt vmcnt(9) lgkmcnt(1)
	v_mul_f64 v[62:63], v[56:57], v[32:33]
	v_mul_f64 v[32:33], v[58:59], v[32:33]
	s_waitcnt vmcnt(8) lgkmcnt(0)
	v_mul_f64 v[169:170], v[2:3], v[36:37]
	v_mul_f64 v[36:37], v[4:5], v[36:37]
	v_add_f64 v[82:83], v[82:83], v[52:53]
	v_add_f64 v[60:61], v[60:61], v[54:55]
	ds_load_b128 v[52:55], v1 offset:1632
	v_fma_f64 v[58:59], v[58:59], v[30:31], v[62:63]
	v_fma_f64 v[56:57], v[56:57], v[30:31], -v[32:33]
	scratch_load_b128 v[30:33], off, off offset:816
	v_add_f64 v[62:63], v[82:83], v[167:168]
	v_add_f64 v[60:61], v[60:61], v[165:166]
	v_fma_f64 v[165:166], v[4:5], v[34:35], v[169:170]
	v_fma_f64 v[167:168], v[2:3], v[34:35], -v[36:37]
	scratch_load_b128 v[34:37], off, off offset:832
	ds_load_b128 v[2:5], v1 offset:1648
	s_waitcnt vmcnt(9) lgkmcnt(1)
	v_mul_f64 v[82:83], v[52:53], v[50:51]
	v_mul_f64 v[50:51], v[54:55], v[50:51]
	s_waitcnt vmcnt(8) lgkmcnt(0)
	v_mul_f64 v[169:170], v[2:3], v[40:41]
	v_mul_f64 v[40:41], v[4:5], v[40:41]
	v_add_f64 v[62:63], v[62:63], v[56:57]
	v_add_f64 v[60:61], v[60:61], v[58:59]
	ds_load_b128 v[56:59], v1 offset:1664
	v_fma_f64 v[54:55], v[54:55], v[48:49], v[82:83]
	v_fma_f64 v[52:53], v[52:53], v[48:49], -v[50:51]
	scratch_load_b128 v[48:51], off, off offset:848
	v_add_f64 v[62:63], v[62:63], v[167:168]
	v_add_f64 v[60:61], v[60:61], v[165:166]
	v_fma_f64 v[165:166], v[4:5], v[38:39], v[169:170]
	;; [unrolled: 18-line block ×4, first 2 shown]
	v_fma_f64 v[167:168], v[2:3], v[18:19], -v[20:21]
	scratch_load_b128 v[18:21], off, off offset:928
	ds_load_b128 v[2:5], v1 offset:1744
	s_waitcnt vmcnt(9) lgkmcnt(1)
	v_mul_f64 v[82:83], v[56:57], v[24:25]
	v_mul_f64 v[24:25], v[58:59], v[24:25]
	s_waitcnt vmcnt(8) lgkmcnt(0)
	v_mul_f64 v[169:170], v[2:3], v[28:29]
	v_mul_f64 v[28:29], v[4:5], v[28:29]
	v_add_f64 v[62:63], v[62:63], v[52:53]
	v_add_f64 v[60:61], v[60:61], v[54:55]
	ds_load_b128 v[52:55], v1 offset:1760
	v_fma_f64 v[58:59], v[58:59], v[22:23], v[82:83]
	v_fma_f64 v[22:23], v[56:57], v[22:23], -v[24:25]
	v_add_f64 v[24:25], v[62:63], v[167:168]
	v_add_f64 v[56:57], v[60:61], v[165:166]
	s_waitcnt vmcnt(7) lgkmcnt(0)
	v_mul_f64 v[60:61], v[52:53], v[32:33]
	v_mul_f64 v[32:33], v[54:55], v[32:33]
	v_fma_f64 v[62:63], v[4:5], v[26:27], v[169:170]
	v_fma_f64 v[26:27], v[2:3], v[26:27], -v[28:29]
	v_add_f64 v[28:29], v[24:25], v[22:23]
	v_add_f64 v[56:57], v[56:57], v[58:59]
	ds_load_b128 v[2:5], v1 offset:1776
	ds_load_b128 v[22:25], v1 offset:1792
	v_fma_f64 v[54:55], v[54:55], v[30:31], v[60:61]
	v_fma_f64 v[30:31], v[52:53], v[30:31], -v[32:33]
	s_waitcnt vmcnt(6) lgkmcnt(1)
	v_mul_f64 v[58:59], v[2:3], v[36:37]
	v_mul_f64 v[36:37], v[4:5], v[36:37]
	s_waitcnt vmcnt(5) lgkmcnt(0)
	v_mul_f64 v[32:33], v[22:23], v[50:51]
	v_mul_f64 v[50:51], v[24:25], v[50:51]
	v_add_f64 v[26:27], v[28:29], v[26:27]
	v_add_f64 v[28:29], v[56:57], v[62:63]
	v_fma_f64 v[52:53], v[4:5], v[34:35], v[58:59]
	v_fma_f64 v[34:35], v[2:3], v[34:35], -v[36:37]
	v_fma_f64 v[24:25], v[24:25], v[48:49], v[32:33]
	v_fma_f64 v[22:23], v[22:23], v[48:49], -v[50:51]
	v_add_f64 v[30:31], v[26:27], v[30:31]
	v_add_f64 v[36:37], v[28:29], v[54:55]
	ds_load_b128 v[2:5], v1 offset:1808
	ds_load_b128 v[26:29], v1 offset:1824
	s_waitcnt vmcnt(4) lgkmcnt(1)
	v_mul_f64 v[54:55], v[2:3], v[40:41]
	v_mul_f64 v[40:41], v[4:5], v[40:41]
	v_add_f64 v[30:31], v[30:31], v[34:35]
	v_add_f64 v[32:33], v[36:37], v[52:53]
	s_waitcnt vmcnt(3) lgkmcnt(0)
	v_mul_f64 v[34:35], v[26:27], v[8:9]
	v_mul_f64 v[8:9], v[28:29], v[8:9]
	v_fma_f64 v[36:37], v[4:5], v[38:39], v[54:55]
	v_fma_f64 v[38:39], v[2:3], v[38:39], -v[40:41]
	v_add_f64 v[30:31], v[30:31], v[22:23]
	v_add_f64 v[32:33], v[32:33], v[24:25]
	ds_load_b128 v[2:5], v1 offset:1840
	ds_load_b128 v[22:25], v1 offset:1856
	v_fma_f64 v[28:29], v[28:29], v[6:7], v[34:35]
	v_fma_f64 v[6:7], v[26:27], v[6:7], -v[8:9]
	s_waitcnt vmcnt(2) lgkmcnt(1)
	v_mul_f64 v[40:41], v[2:3], v[12:13]
	v_mul_f64 v[12:13], v[4:5], v[12:13]
	v_add_f64 v[8:9], v[30:31], v[38:39]
	v_add_f64 v[26:27], v[32:33], v[36:37]
	s_waitcnt vmcnt(1) lgkmcnt(0)
	v_mul_f64 v[30:31], v[22:23], v[16:17]
	v_mul_f64 v[16:17], v[24:25], v[16:17]
	v_fma_f64 v[32:33], v[4:5], v[10:11], v[40:41]
	v_fma_f64 v[10:11], v[2:3], v[10:11], -v[12:13]
	ds_load_b128 v[2:5], v1 offset:1872
	v_add_f64 v[6:7], v[8:9], v[6:7]
	v_add_f64 v[8:9], v[26:27], v[28:29]
	v_fma_f64 v[24:25], v[24:25], v[14:15], v[30:31]
	v_fma_f64 v[14:15], v[22:23], v[14:15], -v[16:17]
	s_waitcnt vmcnt(0) lgkmcnt(0)
	v_mul_f64 v[12:13], v[2:3], v[20:21]
	v_mul_f64 v[20:21], v[4:5], v[20:21]
	v_add_f64 v[6:7], v[6:7], v[10:11]
	v_add_f64 v[8:9], v[8:9], v[32:33]
	s_delay_alu instid0(VALU_DEP_4) | instskip(NEXT) | instid1(VALU_DEP_4)
	v_fma_f64 v[4:5], v[4:5], v[18:19], v[12:13]
	v_fma_f64 v[2:3], v[2:3], v[18:19], -v[20:21]
	s_delay_alu instid0(VALU_DEP_4) | instskip(NEXT) | instid1(VALU_DEP_4)
	v_add_f64 v[6:7], v[6:7], v[14:15]
	v_add_f64 v[8:9], v[8:9], v[24:25]
	s_delay_alu instid0(VALU_DEP_2) | instskip(NEXT) | instid1(VALU_DEP_2)
	v_add_f64 v[2:3], v[6:7], v[2:3]
	v_add_f64 v[4:5], v[8:9], v[4:5]
	s_delay_alu instid0(VALU_DEP_2) | instskip(NEXT) | instid1(VALU_DEP_2)
	v_add_f64 v[2:3], v[42:43], -v[2:3]
	v_add_f64 v[4:5], v[44:45], -v[4:5]
	scratch_store_b128 off, v[2:5], off offset:368
	v_cmpx_lt_u32_e32 22, v164
	s_cbranch_execz .LBB122_323
; %bb.322:
	scratch_load_b32 v2, off, off offset:1004 ; 4-byte Folded Reload
	v_mov_b32_e32 v3, v1
	v_mov_b32_e32 v4, v1
	s_waitcnt vmcnt(0)
	scratch_load_b128 v[5:8], v2, off
	v_mov_b32_e32 v2, v1
	scratch_store_b128 off, v[1:4], off offset:352
	s_waitcnt vmcnt(0)
	ds_store_b128 v223, v[5:8]
.LBB122_323:
	s_or_b32 exec_lo, exec_lo, s2
	s_waitcnt lgkmcnt(0)
	s_waitcnt_vscnt null, 0x0
	s_barrier
	buffer_gl0_inv
	s_clause 0x8
	scratch_load_b128 v[2:5], off, off offset:368
	scratch_load_b128 v[6:9], off, off offset:384
	scratch_load_b128 v[10:13], off, off offset:400
	scratch_load_b128 v[14:17], off, off offset:416
	scratch_load_b128 v[18:21], off, off offset:432
	scratch_load_b128 v[22:25], off, off offset:448
	scratch_load_b128 v[26:29], off, off offset:464
	scratch_load_b128 v[30:33], off, off offset:480
	scratch_load_b128 v[34:37], off, off offset:496
	ds_load_b128 v[42:45], v1 offset:1312
	ds_load_b128 v[38:41], v1 offset:1328
	s_clause 0x1
	scratch_load_b128 v[48:51], off, off offset:352
	scratch_load_b128 v[52:55], off, off offset:512
	s_mov_b32 s2, exec_lo
	s_waitcnt vmcnt(10) lgkmcnt(1)
	v_mul_f64 v[56:57], v[44:45], v[4:5]
	v_mul_f64 v[4:5], v[42:43], v[4:5]
	s_waitcnt vmcnt(9) lgkmcnt(0)
	v_mul_f64 v[60:61], v[38:39], v[8:9]
	v_mul_f64 v[8:9], v[40:41], v[8:9]
	s_delay_alu instid0(VALU_DEP_4) | instskip(NEXT) | instid1(VALU_DEP_4)
	v_fma_f64 v[62:63], v[42:43], v[2:3], -v[56:57]
	v_fma_f64 v[82:83], v[44:45], v[2:3], v[4:5]
	ds_load_b128 v[2:5], v1 offset:1344
	ds_load_b128 v[56:59], v1 offset:1360
	scratch_load_b128 v[42:45], off, off offset:528
	v_fma_f64 v[40:41], v[40:41], v[6:7], v[60:61]
	v_fma_f64 v[38:39], v[38:39], v[6:7], -v[8:9]
	scratch_load_b128 v[6:9], off, off offset:544
	s_waitcnt vmcnt(10) lgkmcnt(1)
	v_mul_f64 v[165:166], v[2:3], v[12:13]
	v_mul_f64 v[12:13], v[4:5], v[12:13]
	v_add_f64 v[60:61], v[62:63], 0
	v_add_f64 v[62:63], v[82:83], 0
	s_waitcnt vmcnt(9) lgkmcnt(0)
	v_mul_f64 v[82:83], v[56:57], v[16:17]
	v_mul_f64 v[16:17], v[58:59], v[16:17]
	v_fma_f64 v[165:166], v[4:5], v[10:11], v[165:166]
	v_fma_f64 v[167:168], v[2:3], v[10:11], -v[12:13]
	ds_load_b128 v[2:5], v1 offset:1376
	scratch_load_b128 v[10:13], off, off offset:560
	v_add_f64 v[60:61], v[60:61], v[38:39]
	v_add_f64 v[62:63], v[62:63], v[40:41]
	ds_load_b128 v[38:41], v1 offset:1392
	v_fma_f64 v[58:59], v[58:59], v[14:15], v[82:83]
	v_fma_f64 v[56:57], v[56:57], v[14:15], -v[16:17]
	scratch_load_b128 v[14:17], off, off offset:576
	s_waitcnt vmcnt(10) lgkmcnt(1)
	v_mul_f64 v[169:170], v[2:3], v[20:21]
	v_mul_f64 v[20:21], v[4:5], v[20:21]
	s_waitcnt vmcnt(9) lgkmcnt(0)
	v_mul_f64 v[82:83], v[38:39], v[24:25]
	v_mul_f64 v[24:25], v[40:41], v[24:25]
	v_add_f64 v[60:61], v[60:61], v[167:168]
	v_add_f64 v[62:63], v[62:63], v[165:166]
	v_fma_f64 v[165:166], v[4:5], v[18:19], v[169:170]
	v_fma_f64 v[167:168], v[2:3], v[18:19], -v[20:21]
	ds_load_b128 v[2:5], v1 offset:1408
	scratch_load_b128 v[18:21], off, off offset:592
	v_fma_f64 v[40:41], v[40:41], v[22:23], v[82:83]
	v_fma_f64 v[38:39], v[38:39], v[22:23], -v[24:25]
	scratch_load_b128 v[22:25], off, off offset:608
	v_add_f64 v[60:61], v[60:61], v[56:57]
	v_add_f64 v[62:63], v[62:63], v[58:59]
	ds_load_b128 v[56:59], v1 offset:1424
	s_waitcnt vmcnt(10) lgkmcnt(1)
	v_mul_f64 v[169:170], v[2:3], v[28:29]
	v_mul_f64 v[28:29], v[4:5], v[28:29]
	s_waitcnt vmcnt(9) lgkmcnt(0)
	v_mul_f64 v[82:83], v[56:57], v[32:33]
	v_mul_f64 v[32:33], v[58:59], v[32:33]
	v_add_f64 v[60:61], v[60:61], v[167:168]
	v_add_f64 v[62:63], v[62:63], v[165:166]
	v_fma_f64 v[165:166], v[4:5], v[26:27], v[169:170]
	v_fma_f64 v[167:168], v[2:3], v[26:27], -v[28:29]
	ds_load_b128 v[2:5], v1 offset:1440
	scratch_load_b128 v[26:29], off, off offset:624
	v_fma_f64 v[58:59], v[58:59], v[30:31], v[82:83]
	v_fma_f64 v[56:57], v[56:57], v[30:31], -v[32:33]
	scratch_load_b128 v[30:33], off, off offset:640
	v_add_f64 v[60:61], v[60:61], v[38:39]
	v_add_f64 v[62:63], v[62:63], v[40:41]
	ds_load_b128 v[38:41], v1 offset:1456
	s_waitcnt vmcnt(10) lgkmcnt(1)
	v_mul_f64 v[169:170], v[2:3], v[36:37]
	v_mul_f64 v[36:37], v[4:5], v[36:37]
	s_waitcnt vmcnt(8) lgkmcnt(0)
	v_mul_f64 v[82:83], v[38:39], v[54:55]
	v_add_f64 v[60:61], v[60:61], v[167:168]
	v_add_f64 v[62:63], v[62:63], v[165:166]
	v_mul_f64 v[165:166], v[40:41], v[54:55]
	v_fma_f64 v[167:168], v[4:5], v[34:35], v[169:170]
	v_fma_f64 v[169:170], v[2:3], v[34:35], -v[36:37]
	ds_load_b128 v[2:5], v1 offset:1472
	scratch_load_b128 v[34:37], off, off offset:656
	v_fma_f64 v[82:83], v[40:41], v[52:53], v[82:83]
	v_add_f64 v[60:61], v[60:61], v[56:57]
	v_add_f64 v[58:59], v[62:63], v[58:59]
	ds_load_b128 v[54:57], v1 offset:1488
	v_fma_f64 v[52:53], v[38:39], v[52:53], -v[165:166]
	scratch_load_b128 v[38:41], off, off offset:672
	s_waitcnt vmcnt(9) lgkmcnt(1)
	v_mul_f64 v[62:63], v[2:3], v[44:45]
	v_mul_f64 v[44:45], v[4:5], v[44:45]
	s_waitcnt vmcnt(8) lgkmcnt(0)
	v_mul_f64 v[165:166], v[54:55], v[8:9]
	v_mul_f64 v[8:9], v[56:57], v[8:9]
	v_add_f64 v[60:61], v[60:61], v[169:170]
	v_add_f64 v[58:59], v[58:59], v[167:168]
	v_fma_f64 v[62:63], v[4:5], v[42:43], v[62:63]
	v_fma_f64 v[167:168], v[2:3], v[42:43], -v[44:45]
	ds_load_b128 v[2:5], v1 offset:1504
	scratch_load_b128 v[42:45], off, off offset:688
	v_fma_f64 v[56:57], v[56:57], v[6:7], v[165:166]
	v_fma_f64 v[54:55], v[54:55], v[6:7], -v[8:9]
	scratch_load_b128 v[6:9], off, off offset:704
	v_add_f64 v[52:53], v[60:61], v[52:53]
	v_add_f64 v[82:83], v[58:59], v[82:83]
	ds_load_b128 v[58:61], v1 offset:1520
	s_waitcnt vmcnt(9) lgkmcnt(1)
	v_mul_f64 v[169:170], v[2:3], v[12:13]
	v_mul_f64 v[12:13], v[4:5], v[12:13]
	v_add_f64 v[52:53], v[52:53], v[167:168]
	v_add_f64 v[62:63], v[82:83], v[62:63]
	s_waitcnt vmcnt(8) lgkmcnt(0)
	v_mul_f64 v[82:83], v[58:59], v[16:17]
	v_mul_f64 v[16:17], v[60:61], v[16:17]
	v_fma_f64 v[165:166], v[4:5], v[10:11], v[169:170]
	v_fma_f64 v[167:168], v[2:3], v[10:11], -v[12:13]
	ds_load_b128 v[2:5], v1 offset:1536
	scratch_load_b128 v[10:13], off, off offset:720
	v_add_f64 v[169:170], v[52:53], v[54:55]
	v_add_f64 v[56:57], v[62:63], v[56:57]
	ds_load_b128 v[52:55], v1 offset:1552
	s_waitcnt vmcnt(8) lgkmcnt(1)
	v_mul_f64 v[62:63], v[2:3], v[20:21]
	v_mul_f64 v[20:21], v[4:5], v[20:21]
	v_fma_f64 v[60:61], v[60:61], v[14:15], v[82:83]
	v_fma_f64 v[58:59], v[58:59], v[14:15], -v[16:17]
	scratch_load_b128 v[14:17], off, off offset:736
	v_add_f64 v[82:83], v[169:170], v[167:168]
	v_add_f64 v[56:57], v[56:57], v[165:166]
	s_waitcnt vmcnt(8) lgkmcnt(0)
	v_mul_f64 v[165:166], v[52:53], v[24:25]
	v_mul_f64 v[24:25], v[54:55], v[24:25]
	v_fma_f64 v[62:63], v[4:5], v[18:19], v[62:63]
	v_fma_f64 v[167:168], v[2:3], v[18:19], -v[20:21]
	ds_load_b128 v[2:5], v1 offset:1568
	scratch_load_b128 v[18:21], off, off offset:752
	v_add_f64 v[82:83], v[82:83], v[58:59]
	v_add_f64 v[60:61], v[56:57], v[60:61]
	ds_load_b128 v[56:59], v1 offset:1584
	s_waitcnt vmcnt(8) lgkmcnt(1)
	v_mul_f64 v[169:170], v[2:3], v[28:29]
	v_mul_f64 v[28:29], v[4:5], v[28:29]
	v_fma_f64 v[54:55], v[54:55], v[22:23], v[165:166]
	v_fma_f64 v[52:53], v[52:53], v[22:23], -v[24:25]
	scratch_load_b128 v[22:25], off, off offset:768
	;; [unrolled: 18-line block ×4, first 2 shown]
	s_waitcnt vmcnt(8) lgkmcnt(0)
	v_mul_f64 v[82:83], v[56:57], v[8:9]
	v_mul_f64 v[8:9], v[58:59], v[8:9]
	v_add_f64 v[62:63], v[62:63], v[167:168]
	v_add_f64 v[60:61], v[60:61], v[165:166]
	v_fma_f64 v[165:166], v[4:5], v[42:43], v[169:170]
	v_fma_f64 v[167:168], v[2:3], v[42:43], -v[44:45]
	ds_load_b128 v[2:5], v1 offset:1664
	scratch_load_b128 v[42:45], off, off offset:848
	v_fma_f64 v[58:59], v[58:59], v[6:7], v[82:83]
	v_fma_f64 v[56:57], v[56:57], v[6:7], -v[8:9]
	scratch_load_b128 v[6:9], off, off offset:864
	v_add_f64 v[62:63], v[62:63], v[52:53]
	v_add_f64 v[60:61], v[60:61], v[54:55]
	ds_load_b128 v[52:55], v1 offset:1680
	s_waitcnt vmcnt(9) lgkmcnt(1)
	v_mul_f64 v[169:170], v[2:3], v[12:13]
	v_mul_f64 v[12:13], v[4:5], v[12:13]
	s_waitcnt vmcnt(8) lgkmcnt(0)
	v_mul_f64 v[82:83], v[52:53], v[16:17]
	v_mul_f64 v[16:17], v[54:55], v[16:17]
	v_add_f64 v[62:63], v[62:63], v[167:168]
	v_add_f64 v[60:61], v[60:61], v[165:166]
	v_fma_f64 v[165:166], v[4:5], v[10:11], v[169:170]
	v_fma_f64 v[167:168], v[2:3], v[10:11], -v[12:13]
	ds_load_b128 v[2:5], v1 offset:1696
	scratch_load_b128 v[10:13], off, off offset:880
	v_fma_f64 v[54:55], v[54:55], v[14:15], v[82:83]
	v_fma_f64 v[52:53], v[52:53], v[14:15], -v[16:17]
	scratch_load_b128 v[14:17], off, off offset:896
	v_add_f64 v[62:63], v[62:63], v[56:57]
	v_add_f64 v[60:61], v[60:61], v[58:59]
	ds_load_b128 v[56:59], v1 offset:1712
	s_waitcnt vmcnt(9) lgkmcnt(1)
	v_mul_f64 v[169:170], v[2:3], v[20:21]
	v_mul_f64 v[20:21], v[4:5], v[20:21]
	;; [unrolled: 18-line block ×3, first 2 shown]
	s_waitcnt vmcnt(8) lgkmcnt(0)
	v_mul_f64 v[82:83], v[52:53], v[32:33]
	v_mul_f64 v[32:33], v[54:55], v[32:33]
	v_add_f64 v[62:63], v[62:63], v[167:168]
	v_add_f64 v[60:61], v[60:61], v[165:166]
	v_fma_f64 v[165:166], v[4:5], v[26:27], v[169:170]
	v_fma_f64 v[167:168], v[2:3], v[26:27], -v[28:29]
	ds_load_b128 v[2:5], v1 offset:1760
	ds_load_b128 v[26:29], v1 offset:1776
	v_fma_f64 v[54:55], v[54:55], v[30:31], v[82:83]
	v_fma_f64 v[30:31], v[52:53], v[30:31], -v[32:33]
	v_add_f64 v[56:57], v[62:63], v[56:57]
	v_add_f64 v[58:59], v[60:61], v[58:59]
	s_waitcnt vmcnt(7) lgkmcnt(1)
	v_mul_f64 v[60:61], v[2:3], v[36:37]
	v_mul_f64 v[36:37], v[4:5], v[36:37]
	s_delay_alu instid0(VALU_DEP_4) | instskip(NEXT) | instid1(VALU_DEP_4)
	v_add_f64 v[32:33], v[56:57], v[167:168]
	v_add_f64 v[52:53], v[58:59], v[165:166]
	s_waitcnt vmcnt(6) lgkmcnt(0)
	v_mul_f64 v[56:57], v[26:27], v[40:41]
	v_mul_f64 v[40:41], v[28:29], v[40:41]
	v_fma_f64 v[58:59], v[4:5], v[34:35], v[60:61]
	v_fma_f64 v[34:35], v[2:3], v[34:35], -v[36:37]
	v_add_f64 v[36:37], v[32:33], v[30:31]
	v_add_f64 v[52:53], v[52:53], v[54:55]
	ds_load_b128 v[2:5], v1 offset:1792
	ds_load_b128 v[30:33], v1 offset:1808
	v_fma_f64 v[28:29], v[28:29], v[38:39], v[56:57]
	v_fma_f64 v[26:27], v[26:27], v[38:39], -v[40:41]
	s_waitcnt vmcnt(5) lgkmcnt(1)
	v_mul_f64 v[54:55], v[2:3], v[44:45]
	v_mul_f64 v[44:45], v[4:5], v[44:45]
	s_waitcnt vmcnt(4) lgkmcnt(0)
	v_mul_f64 v[38:39], v[30:31], v[8:9]
	v_mul_f64 v[8:9], v[32:33], v[8:9]
	v_add_f64 v[34:35], v[36:37], v[34:35]
	v_add_f64 v[36:37], v[52:53], v[58:59]
	v_fma_f64 v[40:41], v[4:5], v[42:43], v[54:55]
	v_fma_f64 v[42:43], v[2:3], v[42:43], -v[44:45]
	v_fma_f64 v[32:33], v[32:33], v[6:7], v[38:39]
	v_fma_f64 v[6:7], v[30:31], v[6:7], -v[8:9]
	v_add_f64 v[34:35], v[34:35], v[26:27]
	v_add_f64 v[36:37], v[36:37], v[28:29]
	ds_load_b128 v[2:5], v1 offset:1824
	ds_load_b128 v[26:29], v1 offset:1840
	s_waitcnt vmcnt(3) lgkmcnt(1)
	v_mul_f64 v[44:45], v[2:3], v[12:13]
	v_mul_f64 v[12:13], v[4:5], v[12:13]
	v_add_f64 v[8:9], v[34:35], v[42:43]
	v_add_f64 v[30:31], v[36:37], v[40:41]
	s_waitcnt vmcnt(2) lgkmcnt(0)
	v_mul_f64 v[34:35], v[26:27], v[16:17]
	v_mul_f64 v[16:17], v[28:29], v[16:17]
	v_fma_f64 v[36:37], v[4:5], v[10:11], v[44:45]
	v_fma_f64 v[10:11], v[2:3], v[10:11], -v[12:13]
	v_add_f64 v[12:13], v[8:9], v[6:7]
	v_add_f64 v[30:31], v[30:31], v[32:33]
	ds_load_b128 v[2:5], v1 offset:1856
	ds_load_b128 v[6:9], v1 offset:1872
	v_fma_f64 v[28:29], v[28:29], v[14:15], v[34:35]
	v_fma_f64 v[14:15], v[26:27], v[14:15], -v[16:17]
	s_waitcnt vmcnt(1) lgkmcnt(1)
	v_mul_f64 v[32:33], v[2:3], v[20:21]
	v_mul_f64 v[20:21], v[4:5], v[20:21]
	s_waitcnt vmcnt(0) lgkmcnt(0)
	v_mul_f64 v[16:17], v[6:7], v[24:25]
	v_mul_f64 v[24:25], v[8:9], v[24:25]
	v_add_f64 v[10:11], v[12:13], v[10:11]
	v_add_f64 v[12:13], v[30:31], v[36:37]
	v_fma_f64 v[4:5], v[4:5], v[18:19], v[32:33]
	v_fma_f64 v[1:2], v[2:3], v[18:19], -v[20:21]
	v_fma_f64 v[8:9], v[8:9], v[22:23], v[16:17]
	v_fma_f64 v[6:7], v[6:7], v[22:23], -v[24:25]
	v_add_f64 v[10:11], v[10:11], v[14:15]
	v_add_f64 v[12:13], v[12:13], v[28:29]
	s_delay_alu instid0(VALU_DEP_2) | instskip(NEXT) | instid1(VALU_DEP_2)
	v_add_f64 v[1:2], v[10:11], v[1:2]
	v_add_f64 v[3:4], v[12:13], v[4:5]
	s_delay_alu instid0(VALU_DEP_2) | instskip(NEXT) | instid1(VALU_DEP_2)
	;; [unrolled: 3-line block ×3, first 2 shown]
	v_add_f64 v[1:2], v[48:49], -v[1:2]
	v_add_f64 v[3:4], v[50:51], -v[3:4]
	scratch_store_b128 off, v[1:4], off offset:352
	v_cmpx_lt_u32_e32 21, v164
	s_cbranch_execz .LBB122_325
; %bb.324:
	scratch_load_b32 v1, off, off offset:1008 ; 4-byte Folded Reload
	v_mov_b32_e32 v5, 0
	s_delay_alu instid0(VALU_DEP_1)
	v_mov_b32_e32 v6, v5
	v_mov_b32_e32 v7, v5
	;; [unrolled: 1-line block ×3, first 2 shown]
	s_waitcnt vmcnt(0)
	scratch_load_b128 v[1:4], v1, off
	scratch_store_b128 off, v[5:8], off offset:336
	s_waitcnt vmcnt(0)
	ds_store_b128 v223, v[1:4]
.LBB122_325:
	s_or_b32 exec_lo, exec_lo, s2
	s_waitcnt lgkmcnt(0)
	s_waitcnt_vscnt null, 0x0
	s_barrier
	buffer_gl0_inv
	s_clause 0x7
	scratch_load_b128 v[2:5], off, off offset:352
	scratch_load_b128 v[6:9], off, off offset:368
	;; [unrolled: 1-line block ×8, first 2 shown]
	v_mov_b32_e32 v1, 0
	s_mov_b32 s2, exec_lo
	ds_load_b128 v[38:41], v1 offset:1296
	s_clause 0x1
	scratch_load_b128 v[34:37], off, off offset:480
	scratch_load_b128 v[42:45], off, off offset:336
	ds_load_b128 v[48:51], v1 offset:1312
	scratch_load_b128 v[52:55], off, off offset:496
	s_waitcnt vmcnt(10) lgkmcnt(1)
	v_mul_f64 v[56:57], v[40:41], v[4:5]
	v_mul_f64 v[4:5], v[38:39], v[4:5]
	s_delay_alu instid0(VALU_DEP_2) | instskip(NEXT) | instid1(VALU_DEP_2)
	v_fma_f64 v[62:63], v[38:39], v[2:3], -v[56:57]
	v_fma_f64 v[82:83], v[40:41], v[2:3], v[4:5]
	scratch_load_b128 v[38:41], off, off offset:512
	ds_load_b128 v[2:5], v1 offset:1328
	s_waitcnt vmcnt(10) lgkmcnt(1)
	v_mul_f64 v[60:61], v[48:49], v[8:9]
	v_mul_f64 v[8:9], v[50:51], v[8:9]
	ds_load_b128 v[56:59], v1 offset:1344
	s_waitcnt vmcnt(9) lgkmcnt(1)
	v_mul_f64 v[165:166], v[2:3], v[12:13]
	v_mul_f64 v[12:13], v[4:5], v[12:13]
	v_fma_f64 v[50:51], v[50:51], v[6:7], v[60:61]
	v_fma_f64 v[48:49], v[48:49], v[6:7], -v[8:9]
	v_add_f64 v[60:61], v[62:63], 0
	v_add_f64 v[62:63], v[82:83], 0
	scratch_load_b128 v[6:9], off, off offset:528
	v_fma_f64 v[165:166], v[4:5], v[10:11], v[165:166]
	v_fma_f64 v[167:168], v[2:3], v[10:11], -v[12:13]
	scratch_load_b128 v[10:13], off, off offset:544
	ds_load_b128 v[2:5], v1 offset:1360
	s_waitcnt vmcnt(10) lgkmcnt(1)
	v_mul_f64 v[82:83], v[56:57], v[16:17]
	v_mul_f64 v[16:17], v[58:59], v[16:17]
	v_add_f64 v[60:61], v[60:61], v[48:49]
	v_add_f64 v[62:63], v[62:63], v[50:51]
	s_waitcnt vmcnt(9) lgkmcnt(0)
	v_mul_f64 v[169:170], v[2:3], v[20:21]
	v_mul_f64 v[20:21], v[4:5], v[20:21]
	ds_load_b128 v[48:51], v1 offset:1376
	v_fma_f64 v[58:59], v[58:59], v[14:15], v[82:83]
	v_fma_f64 v[56:57], v[56:57], v[14:15], -v[16:17]
	scratch_load_b128 v[14:17], off, off offset:560
	v_add_f64 v[60:61], v[60:61], v[167:168]
	v_add_f64 v[62:63], v[62:63], v[165:166]
	v_fma_f64 v[165:166], v[4:5], v[18:19], v[169:170]
	v_fma_f64 v[167:168], v[2:3], v[18:19], -v[20:21]
	scratch_load_b128 v[18:21], off, off offset:576
	ds_load_b128 v[2:5], v1 offset:1392
	s_waitcnt vmcnt(10) lgkmcnt(1)
	v_mul_f64 v[82:83], v[48:49], v[24:25]
	v_mul_f64 v[24:25], v[50:51], v[24:25]
	s_waitcnt vmcnt(9) lgkmcnt(0)
	v_mul_f64 v[169:170], v[2:3], v[28:29]
	v_mul_f64 v[28:29], v[4:5], v[28:29]
	v_add_f64 v[60:61], v[60:61], v[56:57]
	v_add_f64 v[62:63], v[62:63], v[58:59]
	ds_load_b128 v[56:59], v1 offset:1408
	v_fma_f64 v[50:51], v[50:51], v[22:23], v[82:83]
	v_fma_f64 v[48:49], v[48:49], v[22:23], -v[24:25]
	scratch_load_b128 v[22:25], off, off offset:592
	v_add_f64 v[60:61], v[60:61], v[167:168]
	v_add_f64 v[62:63], v[62:63], v[165:166]
	v_fma_f64 v[165:166], v[4:5], v[26:27], v[169:170]
	v_fma_f64 v[167:168], v[2:3], v[26:27], -v[28:29]
	scratch_load_b128 v[26:29], off, off offset:608
	ds_load_b128 v[2:5], v1 offset:1424
	s_waitcnt vmcnt(10) lgkmcnt(1)
	v_mul_f64 v[82:83], v[56:57], v[32:33]
	v_mul_f64 v[32:33], v[58:59], v[32:33]
	s_waitcnt vmcnt(9) lgkmcnt(0)
	v_mul_f64 v[169:170], v[2:3], v[36:37]
	v_mul_f64 v[36:37], v[4:5], v[36:37]
	v_add_f64 v[60:61], v[60:61], v[48:49]
	v_add_f64 v[62:63], v[62:63], v[50:51]
	ds_load_b128 v[48:51], v1 offset:1440
	v_fma_f64 v[58:59], v[58:59], v[30:31], v[82:83]
	v_fma_f64 v[56:57], v[56:57], v[30:31], -v[32:33]
	scratch_load_b128 v[30:33], off, off offset:624
	v_add_f64 v[60:61], v[60:61], v[167:168]
	v_add_f64 v[62:63], v[62:63], v[165:166]
	v_fma_f64 v[167:168], v[4:5], v[34:35], v[169:170]
	v_fma_f64 v[169:170], v[2:3], v[34:35], -v[36:37]
	scratch_load_b128 v[34:37], off, off offset:640
	ds_load_b128 v[2:5], v1 offset:1456
	s_waitcnt vmcnt(9) lgkmcnt(1)
	v_mul_f64 v[82:83], v[48:49], v[54:55]
	v_mul_f64 v[165:166], v[50:51], v[54:55]
	v_add_f64 v[60:61], v[60:61], v[56:57]
	v_add_f64 v[58:59], v[62:63], v[58:59]
	ds_load_b128 v[54:57], v1 offset:1472
	v_fma_f64 v[82:83], v[50:51], v[52:53], v[82:83]
	v_fma_f64 v[52:53], v[48:49], v[52:53], -v[165:166]
	scratch_load_b128 v[48:51], off, off offset:656
	s_waitcnt vmcnt(9) lgkmcnt(1)
	v_mul_f64 v[62:63], v[2:3], v[40:41]
	v_mul_f64 v[40:41], v[4:5], v[40:41]
	v_add_f64 v[60:61], v[60:61], v[169:170]
	v_add_f64 v[58:59], v[58:59], v[167:168]
	s_delay_alu instid0(VALU_DEP_4) | instskip(NEXT) | instid1(VALU_DEP_4)
	v_fma_f64 v[62:63], v[4:5], v[38:39], v[62:63]
	v_fma_f64 v[167:168], v[2:3], v[38:39], -v[40:41]
	scratch_load_b128 v[38:41], off, off offset:672
	ds_load_b128 v[2:5], v1 offset:1488
	s_waitcnt vmcnt(9) lgkmcnt(1)
	v_mul_f64 v[165:166], v[54:55], v[8:9]
	v_mul_f64 v[8:9], v[56:57], v[8:9]
	s_waitcnt vmcnt(8) lgkmcnt(0)
	v_mul_f64 v[169:170], v[2:3], v[12:13]
	v_mul_f64 v[12:13], v[4:5], v[12:13]
	v_add_f64 v[52:53], v[60:61], v[52:53]
	v_add_f64 v[82:83], v[58:59], v[82:83]
	ds_load_b128 v[58:61], v1 offset:1504
	v_fma_f64 v[56:57], v[56:57], v[6:7], v[165:166]
	v_fma_f64 v[54:55], v[54:55], v[6:7], -v[8:9]
	scratch_load_b128 v[6:9], off, off offset:688
	v_fma_f64 v[165:166], v[4:5], v[10:11], v[169:170]
	v_add_f64 v[52:53], v[52:53], v[167:168]
	v_add_f64 v[62:63], v[82:83], v[62:63]
	v_fma_f64 v[167:168], v[2:3], v[10:11], -v[12:13]
	scratch_load_b128 v[10:13], off, off offset:704
	ds_load_b128 v[2:5], v1 offset:1520
	s_waitcnt vmcnt(9) lgkmcnt(1)
	v_mul_f64 v[82:83], v[58:59], v[16:17]
	v_mul_f64 v[16:17], v[60:61], v[16:17]
	v_add_f64 v[169:170], v[52:53], v[54:55]
	v_add_f64 v[56:57], v[62:63], v[56:57]
	s_waitcnt vmcnt(8) lgkmcnt(0)
	v_mul_f64 v[62:63], v[2:3], v[20:21]
	v_mul_f64 v[20:21], v[4:5], v[20:21]
	ds_load_b128 v[52:55], v1 offset:1536
	v_fma_f64 v[60:61], v[60:61], v[14:15], v[82:83]
	v_fma_f64 v[58:59], v[58:59], v[14:15], -v[16:17]
	scratch_load_b128 v[14:17], off, off offset:720
	v_add_f64 v[82:83], v[169:170], v[167:168]
	v_add_f64 v[56:57], v[56:57], v[165:166]
	v_fma_f64 v[62:63], v[4:5], v[18:19], v[62:63]
	v_fma_f64 v[167:168], v[2:3], v[18:19], -v[20:21]
	scratch_load_b128 v[18:21], off, off offset:736
	ds_load_b128 v[2:5], v1 offset:1552
	s_waitcnt vmcnt(9) lgkmcnt(1)
	v_mul_f64 v[165:166], v[52:53], v[24:25]
	v_mul_f64 v[24:25], v[54:55], v[24:25]
	s_waitcnt vmcnt(8) lgkmcnt(0)
	v_mul_f64 v[169:170], v[2:3], v[28:29]
	v_mul_f64 v[28:29], v[4:5], v[28:29]
	v_add_f64 v[82:83], v[82:83], v[58:59]
	v_add_f64 v[60:61], v[56:57], v[60:61]
	ds_load_b128 v[56:59], v1 offset:1568
	v_fma_f64 v[54:55], v[54:55], v[22:23], v[165:166]
	v_fma_f64 v[52:53], v[52:53], v[22:23], -v[24:25]
	scratch_load_b128 v[22:25], off, off offset:752
	v_fma_f64 v[165:166], v[4:5], v[26:27], v[169:170]
	v_add_f64 v[82:83], v[82:83], v[167:168]
	v_add_f64 v[60:61], v[60:61], v[62:63]
	v_fma_f64 v[167:168], v[2:3], v[26:27], -v[28:29]
	scratch_load_b128 v[26:29], off, off offset:768
	ds_load_b128 v[2:5], v1 offset:1584
	s_waitcnt vmcnt(9) lgkmcnt(1)
	v_mul_f64 v[62:63], v[56:57], v[32:33]
	v_mul_f64 v[32:33], v[58:59], v[32:33]
	s_waitcnt vmcnt(8) lgkmcnt(0)
	v_mul_f64 v[169:170], v[2:3], v[36:37]
	v_mul_f64 v[36:37], v[4:5], v[36:37]
	v_add_f64 v[82:83], v[82:83], v[52:53]
	v_add_f64 v[60:61], v[60:61], v[54:55]
	ds_load_b128 v[52:55], v1 offset:1600
	v_fma_f64 v[58:59], v[58:59], v[30:31], v[62:63]
	v_fma_f64 v[56:57], v[56:57], v[30:31], -v[32:33]
	scratch_load_b128 v[30:33], off, off offset:784
	v_add_f64 v[62:63], v[82:83], v[167:168]
	v_add_f64 v[60:61], v[60:61], v[165:166]
	v_fma_f64 v[165:166], v[4:5], v[34:35], v[169:170]
	v_fma_f64 v[167:168], v[2:3], v[34:35], -v[36:37]
	scratch_load_b128 v[34:37], off, off offset:800
	ds_load_b128 v[2:5], v1 offset:1616
	s_waitcnt vmcnt(9) lgkmcnt(1)
	v_mul_f64 v[82:83], v[52:53], v[50:51]
	v_mul_f64 v[50:51], v[54:55], v[50:51]
	s_waitcnt vmcnt(8) lgkmcnt(0)
	v_mul_f64 v[169:170], v[2:3], v[40:41]
	v_mul_f64 v[40:41], v[4:5], v[40:41]
	v_add_f64 v[62:63], v[62:63], v[56:57]
	v_add_f64 v[60:61], v[60:61], v[58:59]
	ds_load_b128 v[56:59], v1 offset:1632
	v_fma_f64 v[54:55], v[54:55], v[48:49], v[82:83]
	v_fma_f64 v[52:53], v[52:53], v[48:49], -v[50:51]
	scratch_load_b128 v[48:51], off, off offset:816
	v_add_f64 v[62:63], v[62:63], v[167:168]
	v_add_f64 v[60:61], v[60:61], v[165:166]
	v_fma_f64 v[165:166], v[4:5], v[38:39], v[169:170]
	;; [unrolled: 18-line block ×5, first 2 shown]
	v_fma_f64 v[167:168], v[2:3], v[26:27], -v[28:29]
	scratch_load_b128 v[26:29], off, off offset:928
	ds_load_b128 v[2:5], v1 offset:1744
	s_waitcnt vmcnt(9) lgkmcnt(1)
	v_mul_f64 v[82:83], v[52:53], v[32:33]
	v_mul_f64 v[32:33], v[54:55], v[32:33]
	s_waitcnt vmcnt(8) lgkmcnt(0)
	v_mul_f64 v[169:170], v[2:3], v[36:37]
	v_mul_f64 v[36:37], v[4:5], v[36:37]
	v_add_f64 v[62:63], v[62:63], v[56:57]
	v_add_f64 v[60:61], v[60:61], v[58:59]
	ds_load_b128 v[56:59], v1 offset:1760
	v_fma_f64 v[54:55], v[54:55], v[30:31], v[82:83]
	v_fma_f64 v[30:31], v[52:53], v[30:31], -v[32:33]
	v_add_f64 v[32:33], v[62:63], v[167:168]
	v_add_f64 v[52:53], v[60:61], v[165:166]
	s_waitcnt vmcnt(7) lgkmcnt(0)
	v_mul_f64 v[60:61], v[56:57], v[50:51]
	v_mul_f64 v[50:51], v[58:59], v[50:51]
	v_fma_f64 v[62:63], v[4:5], v[34:35], v[169:170]
	v_fma_f64 v[34:35], v[2:3], v[34:35], -v[36:37]
	v_add_f64 v[36:37], v[32:33], v[30:31]
	v_add_f64 v[52:53], v[52:53], v[54:55]
	ds_load_b128 v[2:5], v1 offset:1776
	ds_load_b128 v[30:33], v1 offset:1792
	v_fma_f64 v[58:59], v[58:59], v[48:49], v[60:61]
	v_fma_f64 v[48:49], v[56:57], v[48:49], -v[50:51]
	s_waitcnt vmcnt(6) lgkmcnt(1)
	v_mul_f64 v[54:55], v[2:3], v[40:41]
	v_mul_f64 v[40:41], v[4:5], v[40:41]
	s_waitcnt vmcnt(5) lgkmcnt(0)
	v_mul_f64 v[50:51], v[30:31], v[8:9]
	v_mul_f64 v[8:9], v[32:33], v[8:9]
	v_add_f64 v[34:35], v[36:37], v[34:35]
	v_add_f64 v[36:37], v[52:53], v[62:63]
	v_fma_f64 v[52:53], v[4:5], v[38:39], v[54:55]
	v_fma_f64 v[38:39], v[2:3], v[38:39], -v[40:41]
	v_fma_f64 v[32:33], v[32:33], v[6:7], v[50:51]
	v_fma_f64 v[6:7], v[30:31], v[6:7], -v[8:9]
	v_add_f64 v[40:41], v[34:35], v[48:49]
	v_add_f64 v[48:49], v[36:37], v[58:59]
	ds_load_b128 v[2:5], v1 offset:1808
	ds_load_b128 v[34:37], v1 offset:1824
	s_waitcnt vmcnt(4) lgkmcnt(1)
	v_mul_f64 v[54:55], v[2:3], v[12:13]
	v_mul_f64 v[12:13], v[4:5], v[12:13]
	v_add_f64 v[8:9], v[40:41], v[38:39]
	v_add_f64 v[30:31], v[48:49], v[52:53]
	s_waitcnt vmcnt(3) lgkmcnt(0)
	v_mul_f64 v[38:39], v[34:35], v[16:17]
	v_mul_f64 v[16:17], v[36:37], v[16:17]
	v_fma_f64 v[40:41], v[4:5], v[10:11], v[54:55]
	v_fma_f64 v[10:11], v[2:3], v[10:11], -v[12:13]
	v_add_f64 v[12:13], v[8:9], v[6:7]
	v_add_f64 v[30:31], v[30:31], v[32:33]
	ds_load_b128 v[2:5], v1 offset:1840
	ds_load_b128 v[6:9], v1 offset:1856
	v_fma_f64 v[36:37], v[36:37], v[14:15], v[38:39]
	v_fma_f64 v[14:15], v[34:35], v[14:15], -v[16:17]
	s_waitcnt vmcnt(2) lgkmcnt(1)
	v_mul_f64 v[32:33], v[2:3], v[20:21]
	v_mul_f64 v[20:21], v[4:5], v[20:21]
	s_waitcnt vmcnt(1) lgkmcnt(0)
	v_mul_f64 v[16:17], v[6:7], v[24:25]
	v_mul_f64 v[24:25], v[8:9], v[24:25]
	v_add_f64 v[10:11], v[12:13], v[10:11]
	v_add_f64 v[12:13], v[30:31], v[40:41]
	v_fma_f64 v[30:31], v[4:5], v[18:19], v[32:33]
	v_fma_f64 v[18:19], v[2:3], v[18:19], -v[20:21]
	ds_load_b128 v[2:5], v1 offset:1872
	v_fma_f64 v[8:9], v[8:9], v[22:23], v[16:17]
	v_fma_f64 v[6:7], v[6:7], v[22:23], -v[24:25]
	v_add_f64 v[10:11], v[10:11], v[14:15]
	v_add_f64 v[12:13], v[12:13], v[36:37]
	s_waitcnt vmcnt(0) lgkmcnt(0)
	v_mul_f64 v[14:15], v[2:3], v[28:29]
	v_mul_f64 v[20:21], v[4:5], v[28:29]
	s_delay_alu instid0(VALU_DEP_4) | instskip(NEXT) | instid1(VALU_DEP_4)
	v_add_f64 v[10:11], v[10:11], v[18:19]
	v_add_f64 v[12:13], v[12:13], v[30:31]
	s_delay_alu instid0(VALU_DEP_4) | instskip(NEXT) | instid1(VALU_DEP_4)
	v_fma_f64 v[4:5], v[4:5], v[26:27], v[14:15]
	v_fma_f64 v[2:3], v[2:3], v[26:27], -v[20:21]
	s_delay_alu instid0(VALU_DEP_4) | instskip(NEXT) | instid1(VALU_DEP_4)
	v_add_f64 v[6:7], v[10:11], v[6:7]
	v_add_f64 v[8:9], v[12:13], v[8:9]
	s_delay_alu instid0(VALU_DEP_2) | instskip(NEXT) | instid1(VALU_DEP_2)
	v_add_f64 v[2:3], v[6:7], v[2:3]
	v_add_f64 v[4:5], v[8:9], v[4:5]
	s_delay_alu instid0(VALU_DEP_2) | instskip(NEXT) | instid1(VALU_DEP_2)
	v_add_f64 v[2:3], v[42:43], -v[2:3]
	v_add_f64 v[4:5], v[44:45], -v[4:5]
	scratch_store_b128 off, v[2:5], off offset:336
	v_cmpx_lt_u32_e32 20, v164
	s_cbranch_execz .LBB122_327
; %bb.326:
	scratch_load_b32 v2, off, off offset:1012 ; 4-byte Folded Reload
	v_mov_b32_e32 v3, v1
	v_mov_b32_e32 v4, v1
	s_waitcnt vmcnt(0)
	scratch_load_b128 v[5:8], v2, off
	v_mov_b32_e32 v2, v1
	scratch_store_b128 off, v[1:4], off offset:320
	s_waitcnt vmcnt(0)
	ds_store_b128 v223, v[5:8]
.LBB122_327:
	s_or_b32 exec_lo, exec_lo, s2
	s_waitcnt lgkmcnt(0)
	s_waitcnt_vscnt null, 0x0
	s_barrier
	buffer_gl0_inv
	s_clause 0x8
	scratch_load_b128 v[2:5], off, off offset:336
	scratch_load_b128 v[6:9], off, off offset:352
	;; [unrolled: 1-line block ×9, first 2 shown]
	ds_load_b128 v[42:45], v1 offset:1280
	ds_load_b128 v[38:41], v1 offset:1296
	s_clause 0x1
	scratch_load_b128 v[48:51], off, off offset:320
	scratch_load_b128 v[52:55], off, off offset:480
	s_mov_b32 s2, exec_lo
	s_waitcnt vmcnt(10) lgkmcnt(1)
	v_mul_f64 v[56:57], v[44:45], v[4:5]
	v_mul_f64 v[4:5], v[42:43], v[4:5]
	s_waitcnt vmcnt(9) lgkmcnt(0)
	v_mul_f64 v[60:61], v[38:39], v[8:9]
	v_mul_f64 v[8:9], v[40:41], v[8:9]
	s_delay_alu instid0(VALU_DEP_4) | instskip(NEXT) | instid1(VALU_DEP_4)
	v_fma_f64 v[62:63], v[42:43], v[2:3], -v[56:57]
	v_fma_f64 v[82:83], v[44:45], v[2:3], v[4:5]
	ds_load_b128 v[2:5], v1 offset:1312
	ds_load_b128 v[56:59], v1 offset:1328
	scratch_load_b128 v[42:45], off, off offset:496
	v_fma_f64 v[40:41], v[40:41], v[6:7], v[60:61]
	v_fma_f64 v[38:39], v[38:39], v[6:7], -v[8:9]
	scratch_load_b128 v[6:9], off, off offset:512
	s_waitcnt vmcnt(10) lgkmcnt(1)
	v_mul_f64 v[165:166], v[2:3], v[12:13]
	v_mul_f64 v[12:13], v[4:5], v[12:13]
	v_add_f64 v[60:61], v[62:63], 0
	v_add_f64 v[62:63], v[82:83], 0
	s_waitcnt vmcnt(9) lgkmcnt(0)
	v_mul_f64 v[82:83], v[56:57], v[16:17]
	v_mul_f64 v[16:17], v[58:59], v[16:17]
	v_fma_f64 v[165:166], v[4:5], v[10:11], v[165:166]
	v_fma_f64 v[167:168], v[2:3], v[10:11], -v[12:13]
	ds_load_b128 v[2:5], v1 offset:1344
	scratch_load_b128 v[10:13], off, off offset:528
	v_add_f64 v[60:61], v[60:61], v[38:39]
	v_add_f64 v[62:63], v[62:63], v[40:41]
	ds_load_b128 v[38:41], v1 offset:1360
	v_fma_f64 v[58:59], v[58:59], v[14:15], v[82:83]
	v_fma_f64 v[56:57], v[56:57], v[14:15], -v[16:17]
	scratch_load_b128 v[14:17], off, off offset:544
	s_waitcnt vmcnt(10) lgkmcnt(1)
	v_mul_f64 v[169:170], v[2:3], v[20:21]
	v_mul_f64 v[20:21], v[4:5], v[20:21]
	s_waitcnt vmcnt(9) lgkmcnt(0)
	v_mul_f64 v[82:83], v[38:39], v[24:25]
	v_mul_f64 v[24:25], v[40:41], v[24:25]
	v_add_f64 v[60:61], v[60:61], v[167:168]
	v_add_f64 v[62:63], v[62:63], v[165:166]
	v_fma_f64 v[165:166], v[4:5], v[18:19], v[169:170]
	v_fma_f64 v[167:168], v[2:3], v[18:19], -v[20:21]
	ds_load_b128 v[2:5], v1 offset:1376
	scratch_load_b128 v[18:21], off, off offset:560
	v_fma_f64 v[40:41], v[40:41], v[22:23], v[82:83]
	v_fma_f64 v[38:39], v[38:39], v[22:23], -v[24:25]
	scratch_load_b128 v[22:25], off, off offset:576
	v_add_f64 v[60:61], v[60:61], v[56:57]
	v_add_f64 v[62:63], v[62:63], v[58:59]
	ds_load_b128 v[56:59], v1 offset:1392
	s_waitcnt vmcnt(10) lgkmcnt(1)
	v_mul_f64 v[169:170], v[2:3], v[28:29]
	v_mul_f64 v[28:29], v[4:5], v[28:29]
	s_waitcnt vmcnt(9) lgkmcnt(0)
	v_mul_f64 v[82:83], v[56:57], v[32:33]
	v_mul_f64 v[32:33], v[58:59], v[32:33]
	v_add_f64 v[60:61], v[60:61], v[167:168]
	v_add_f64 v[62:63], v[62:63], v[165:166]
	v_fma_f64 v[165:166], v[4:5], v[26:27], v[169:170]
	v_fma_f64 v[167:168], v[2:3], v[26:27], -v[28:29]
	ds_load_b128 v[2:5], v1 offset:1408
	scratch_load_b128 v[26:29], off, off offset:592
	v_fma_f64 v[58:59], v[58:59], v[30:31], v[82:83]
	v_fma_f64 v[56:57], v[56:57], v[30:31], -v[32:33]
	scratch_load_b128 v[30:33], off, off offset:608
	v_add_f64 v[60:61], v[60:61], v[38:39]
	v_add_f64 v[62:63], v[62:63], v[40:41]
	ds_load_b128 v[38:41], v1 offset:1424
	s_waitcnt vmcnt(10) lgkmcnt(1)
	v_mul_f64 v[169:170], v[2:3], v[36:37]
	v_mul_f64 v[36:37], v[4:5], v[36:37]
	s_waitcnt vmcnt(8) lgkmcnt(0)
	v_mul_f64 v[82:83], v[38:39], v[54:55]
	v_add_f64 v[60:61], v[60:61], v[167:168]
	v_add_f64 v[62:63], v[62:63], v[165:166]
	v_mul_f64 v[165:166], v[40:41], v[54:55]
	v_fma_f64 v[167:168], v[4:5], v[34:35], v[169:170]
	v_fma_f64 v[169:170], v[2:3], v[34:35], -v[36:37]
	ds_load_b128 v[2:5], v1 offset:1440
	scratch_load_b128 v[34:37], off, off offset:624
	v_fma_f64 v[82:83], v[40:41], v[52:53], v[82:83]
	v_add_f64 v[60:61], v[60:61], v[56:57]
	v_add_f64 v[58:59], v[62:63], v[58:59]
	ds_load_b128 v[54:57], v1 offset:1456
	v_fma_f64 v[52:53], v[38:39], v[52:53], -v[165:166]
	scratch_load_b128 v[38:41], off, off offset:640
	s_waitcnt vmcnt(9) lgkmcnt(1)
	v_mul_f64 v[62:63], v[2:3], v[44:45]
	v_mul_f64 v[44:45], v[4:5], v[44:45]
	s_waitcnt vmcnt(8) lgkmcnt(0)
	v_mul_f64 v[165:166], v[54:55], v[8:9]
	v_mul_f64 v[8:9], v[56:57], v[8:9]
	v_add_f64 v[60:61], v[60:61], v[169:170]
	v_add_f64 v[58:59], v[58:59], v[167:168]
	v_fma_f64 v[62:63], v[4:5], v[42:43], v[62:63]
	v_fma_f64 v[167:168], v[2:3], v[42:43], -v[44:45]
	ds_load_b128 v[2:5], v1 offset:1472
	scratch_load_b128 v[42:45], off, off offset:656
	v_fma_f64 v[56:57], v[56:57], v[6:7], v[165:166]
	v_fma_f64 v[54:55], v[54:55], v[6:7], -v[8:9]
	scratch_load_b128 v[6:9], off, off offset:672
	v_add_f64 v[52:53], v[60:61], v[52:53]
	v_add_f64 v[82:83], v[58:59], v[82:83]
	ds_load_b128 v[58:61], v1 offset:1488
	s_waitcnt vmcnt(9) lgkmcnt(1)
	v_mul_f64 v[169:170], v[2:3], v[12:13]
	v_mul_f64 v[12:13], v[4:5], v[12:13]
	v_add_f64 v[52:53], v[52:53], v[167:168]
	v_add_f64 v[62:63], v[82:83], v[62:63]
	s_waitcnt vmcnt(8) lgkmcnt(0)
	v_mul_f64 v[82:83], v[58:59], v[16:17]
	v_mul_f64 v[16:17], v[60:61], v[16:17]
	v_fma_f64 v[165:166], v[4:5], v[10:11], v[169:170]
	v_fma_f64 v[167:168], v[2:3], v[10:11], -v[12:13]
	ds_load_b128 v[2:5], v1 offset:1504
	scratch_load_b128 v[10:13], off, off offset:688
	v_add_f64 v[169:170], v[52:53], v[54:55]
	v_add_f64 v[56:57], v[62:63], v[56:57]
	ds_load_b128 v[52:55], v1 offset:1520
	s_waitcnt vmcnt(8) lgkmcnt(1)
	v_mul_f64 v[62:63], v[2:3], v[20:21]
	v_mul_f64 v[20:21], v[4:5], v[20:21]
	v_fma_f64 v[60:61], v[60:61], v[14:15], v[82:83]
	v_fma_f64 v[58:59], v[58:59], v[14:15], -v[16:17]
	scratch_load_b128 v[14:17], off, off offset:704
	v_add_f64 v[82:83], v[169:170], v[167:168]
	v_add_f64 v[56:57], v[56:57], v[165:166]
	s_waitcnt vmcnt(8) lgkmcnt(0)
	v_mul_f64 v[165:166], v[52:53], v[24:25]
	v_mul_f64 v[24:25], v[54:55], v[24:25]
	v_fma_f64 v[62:63], v[4:5], v[18:19], v[62:63]
	v_fma_f64 v[167:168], v[2:3], v[18:19], -v[20:21]
	ds_load_b128 v[2:5], v1 offset:1536
	scratch_load_b128 v[18:21], off, off offset:720
	v_add_f64 v[82:83], v[82:83], v[58:59]
	v_add_f64 v[60:61], v[56:57], v[60:61]
	ds_load_b128 v[56:59], v1 offset:1552
	s_waitcnt vmcnt(8) lgkmcnt(1)
	v_mul_f64 v[169:170], v[2:3], v[28:29]
	v_mul_f64 v[28:29], v[4:5], v[28:29]
	v_fma_f64 v[54:55], v[54:55], v[22:23], v[165:166]
	v_fma_f64 v[52:53], v[52:53], v[22:23], -v[24:25]
	scratch_load_b128 v[22:25], off, off offset:736
	;; [unrolled: 18-line block ×4, first 2 shown]
	s_waitcnt vmcnt(8) lgkmcnt(0)
	v_mul_f64 v[82:83], v[56:57], v[8:9]
	v_mul_f64 v[8:9], v[58:59], v[8:9]
	v_add_f64 v[62:63], v[62:63], v[167:168]
	v_add_f64 v[60:61], v[60:61], v[165:166]
	v_fma_f64 v[165:166], v[4:5], v[42:43], v[169:170]
	v_fma_f64 v[167:168], v[2:3], v[42:43], -v[44:45]
	ds_load_b128 v[2:5], v1 offset:1632
	scratch_load_b128 v[42:45], off, off offset:816
	v_fma_f64 v[58:59], v[58:59], v[6:7], v[82:83]
	v_fma_f64 v[56:57], v[56:57], v[6:7], -v[8:9]
	scratch_load_b128 v[6:9], off, off offset:832
	v_add_f64 v[62:63], v[62:63], v[52:53]
	v_add_f64 v[60:61], v[60:61], v[54:55]
	ds_load_b128 v[52:55], v1 offset:1648
	s_waitcnt vmcnt(9) lgkmcnt(1)
	v_mul_f64 v[169:170], v[2:3], v[12:13]
	v_mul_f64 v[12:13], v[4:5], v[12:13]
	s_waitcnt vmcnt(8) lgkmcnt(0)
	v_mul_f64 v[82:83], v[52:53], v[16:17]
	v_mul_f64 v[16:17], v[54:55], v[16:17]
	v_add_f64 v[62:63], v[62:63], v[167:168]
	v_add_f64 v[60:61], v[60:61], v[165:166]
	v_fma_f64 v[165:166], v[4:5], v[10:11], v[169:170]
	v_fma_f64 v[167:168], v[2:3], v[10:11], -v[12:13]
	ds_load_b128 v[2:5], v1 offset:1664
	scratch_load_b128 v[10:13], off, off offset:848
	v_fma_f64 v[54:55], v[54:55], v[14:15], v[82:83]
	v_fma_f64 v[52:53], v[52:53], v[14:15], -v[16:17]
	scratch_load_b128 v[14:17], off, off offset:864
	v_add_f64 v[62:63], v[62:63], v[56:57]
	v_add_f64 v[60:61], v[60:61], v[58:59]
	ds_load_b128 v[56:59], v1 offset:1680
	s_waitcnt vmcnt(9) lgkmcnt(1)
	v_mul_f64 v[169:170], v[2:3], v[20:21]
	v_mul_f64 v[20:21], v[4:5], v[20:21]
	;; [unrolled: 18-line block ×4, first 2 shown]
	s_waitcnt vmcnt(8) lgkmcnt(0)
	v_mul_f64 v[82:83], v[56:57], v[40:41]
	v_mul_f64 v[40:41], v[58:59], v[40:41]
	v_add_f64 v[62:63], v[62:63], v[167:168]
	v_add_f64 v[60:61], v[60:61], v[165:166]
	v_fma_f64 v[165:166], v[4:5], v[34:35], v[169:170]
	v_fma_f64 v[167:168], v[2:3], v[34:35], -v[36:37]
	ds_load_b128 v[2:5], v1 offset:1760
	ds_load_b128 v[34:37], v1 offset:1776
	v_fma_f64 v[58:59], v[58:59], v[38:39], v[82:83]
	v_fma_f64 v[38:39], v[56:57], v[38:39], -v[40:41]
	v_add_f64 v[52:53], v[62:63], v[52:53]
	v_add_f64 v[54:55], v[60:61], v[54:55]
	s_waitcnt vmcnt(7) lgkmcnt(1)
	v_mul_f64 v[60:61], v[2:3], v[44:45]
	v_mul_f64 v[44:45], v[4:5], v[44:45]
	s_delay_alu instid0(VALU_DEP_4) | instskip(NEXT) | instid1(VALU_DEP_4)
	v_add_f64 v[40:41], v[52:53], v[167:168]
	v_add_f64 v[52:53], v[54:55], v[165:166]
	s_waitcnt vmcnt(6) lgkmcnt(0)
	v_mul_f64 v[54:55], v[34:35], v[8:9]
	v_mul_f64 v[8:9], v[36:37], v[8:9]
	v_fma_f64 v[56:57], v[4:5], v[42:43], v[60:61]
	v_fma_f64 v[42:43], v[2:3], v[42:43], -v[44:45]
	v_add_f64 v[44:45], v[40:41], v[38:39]
	v_add_f64 v[52:53], v[52:53], v[58:59]
	ds_load_b128 v[2:5], v1 offset:1792
	ds_load_b128 v[38:41], v1 offset:1808
	v_fma_f64 v[36:37], v[36:37], v[6:7], v[54:55]
	v_fma_f64 v[6:7], v[34:35], v[6:7], -v[8:9]
	s_waitcnt vmcnt(5) lgkmcnt(1)
	v_mul_f64 v[58:59], v[2:3], v[12:13]
	v_mul_f64 v[12:13], v[4:5], v[12:13]
	v_add_f64 v[8:9], v[44:45], v[42:43]
	v_add_f64 v[34:35], v[52:53], v[56:57]
	s_waitcnt vmcnt(4) lgkmcnt(0)
	v_mul_f64 v[42:43], v[38:39], v[16:17]
	v_mul_f64 v[16:17], v[40:41], v[16:17]
	v_fma_f64 v[44:45], v[4:5], v[10:11], v[58:59]
	v_fma_f64 v[10:11], v[2:3], v[10:11], -v[12:13]
	v_add_f64 v[12:13], v[8:9], v[6:7]
	v_add_f64 v[34:35], v[34:35], v[36:37]
	ds_load_b128 v[2:5], v1 offset:1824
	ds_load_b128 v[6:9], v1 offset:1840
	v_fma_f64 v[40:41], v[40:41], v[14:15], v[42:43]
	v_fma_f64 v[14:15], v[38:39], v[14:15], -v[16:17]
	s_waitcnt vmcnt(3) lgkmcnt(1)
	v_mul_f64 v[36:37], v[2:3], v[20:21]
	v_mul_f64 v[20:21], v[4:5], v[20:21]
	s_waitcnt vmcnt(2) lgkmcnt(0)
	v_mul_f64 v[16:17], v[6:7], v[24:25]
	v_mul_f64 v[24:25], v[8:9], v[24:25]
	v_add_f64 v[10:11], v[12:13], v[10:11]
	v_add_f64 v[12:13], v[34:35], v[44:45]
	v_fma_f64 v[34:35], v[4:5], v[18:19], v[36:37]
	v_fma_f64 v[18:19], v[2:3], v[18:19], -v[20:21]
	v_fma_f64 v[8:9], v[8:9], v[22:23], v[16:17]
	v_fma_f64 v[6:7], v[6:7], v[22:23], -v[24:25]
	v_add_f64 v[14:15], v[10:11], v[14:15]
	v_add_f64 v[20:21], v[12:13], v[40:41]
	ds_load_b128 v[2:5], v1 offset:1856
	ds_load_b128 v[10:13], v1 offset:1872
	s_waitcnt vmcnt(1) lgkmcnt(1)
	v_mul_f64 v[36:37], v[2:3], v[28:29]
	v_mul_f64 v[28:29], v[4:5], v[28:29]
	v_add_f64 v[14:15], v[14:15], v[18:19]
	v_add_f64 v[16:17], v[20:21], v[34:35]
	s_waitcnt vmcnt(0) lgkmcnt(0)
	v_mul_f64 v[18:19], v[10:11], v[32:33]
	v_mul_f64 v[20:21], v[12:13], v[32:33]
	v_fma_f64 v[4:5], v[4:5], v[26:27], v[36:37]
	v_fma_f64 v[1:2], v[2:3], v[26:27], -v[28:29]
	v_add_f64 v[6:7], v[14:15], v[6:7]
	v_add_f64 v[8:9], v[16:17], v[8:9]
	v_fma_f64 v[12:13], v[12:13], v[30:31], v[18:19]
	v_fma_f64 v[10:11], v[10:11], v[30:31], -v[20:21]
	s_delay_alu instid0(VALU_DEP_4) | instskip(NEXT) | instid1(VALU_DEP_4)
	v_add_f64 v[1:2], v[6:7], v[1:2]
	v_add_f64 v[3:4], v[8:9], v[4:5]
	s_delay_alu instid0(VALU_DEP_2) | instskip(NEXT) | instid1(VALU_DEP_2)
	v_add_f64 v[1:2], v[1:2], v[10:11]
	v_add_f64 v[3:4], v[3:4], v[12:13]
	s_delay_alu instid0(VALU_DEP_2) | instskip(NEXT) | instid1(VALU_DEP_2)
	v_add_f64 v[1:2], v[48:49], -v[1:2]
	v_add_f64 v[3:4], v[50:51], -v[3:4]
	scratch_store_b128 off, v[1:4], off offset:320
	v_cmpx_lt_u32_e32 19, v164
	s_cbranch_execz .LBB122_329
; %bb.328:
	scratch_load_b32 v1, off, off offset:1016 ; 4-byte Folded Reload
	v_mov_b32_e32 v5, 0
	s_delay_alu instid0(VALU_DEP_1)
	v_mov_b32_e32 v6, v5
	v_mov_b32_e32 v7, v5
	;; [unrolled: 1-line block ×3, first 2 shown]
	s_waitcnt vmcnt(0)
	scratch_load_b128 v[1:4], v1, off
	scratch_store_b128 off, v[5:8], off offset:304
	s_waitcnt vmcnt(0)
	ds_store_b128 v223, v[1:4]
.LBB122_329:
	s_or_b32 exec_lo, exec_lo, s2
	s_waitcnt lgkmcnt(0)
	s_waitcnt_vscnt null, 0x0
	s_barrier
	buffer_gl0_inv
	s_clause 0x7
	scratch_load_b128 v[2:5], off, off offset:320
	scratch_load_b128 v[6:9], off, off offset:336
	;; [unrolled: 1-line block ×8, first 2 shown]
	v_mov_b32_e32 v1, 0
	s_mov_b32 s2, exec_lo
	ds_load_b128 v[38:41], v1 offset:1264
	s_clause 0x1
	scratch_load_b128 v[34:37], off, off offset:448
	scratch_load_b128 v[42:45], off, off offset:304
	ds_load_b128 v[48:51], v1 offset:1280
	scratch_load_b128 v[52:55], off, off offset:464
	s_waitcnt vmcnt(10) lgkmcnt(1)
	v_mul_f64 v[56:57], v[40:41], v[4:5]
	v_mul_f64 v[4:5], v[38:39], v[4:5]
	s_delay_alu instid0(VALU_DEP_2) | instskip(NEXT) | instid1(VALU_DEP_2)
	v_fma_f64 v[62:63], v[38:39], v[2:3], -v[56:57]
	v_fma_f64 v[82:83], v[40:41], v[2:3], v[4:5]
	scratch_load_b128 v[38:41], off, off offset:480
	ds_load_b128 v[2:5], v1 offset:1296
	s_waitcnt vmcnt(10) lgkmcnt(1)
	v_mul_f64 v[60:61], v[48:49], v[8:9]
	v_mul_f64 v[8:9], v[50:51], v[8:9]
	ds_load_b128 v[56:59], v1 offset:1312
	s_waitcnt vmcnt(9) lgkmcnt(1)
	v_mul_f64 v[165:166], v[2:3], v[12:13]
	v_mul_f64 v[12:13], v[4:5], v[12:13]
	v_fma_f64 v[50:51], v[50:51], v[6:7], v[60:61]
	v_fma_f64 v[48:49], v[48:49], v[6:7], -v[8:9]
	v_add_f64 v[60:61], v[62:63], 0
	v_add_f64 v[62:63], v[82:83], 0
	scratch_load_b128 v[6:9], off, off offset:496
	v_fma_f64 v[165:166], v[4:5], v[10:11], v[165:166]
	v_fma_f64 v[167:168], v[2:3], v[10:11], -v[12:13]
	scratch_load_b128 v[10:13], off, off offset:512
	ds_load_b128 v[2:5], v1 offset:1328
	s_waitcnt vmcnt(10) lgkmcnt(1)
	v_mul_f64 v[82:83], v[56:57], v[16:17]
	v_mul_f64 v[16:17], v[58:59], v[16:17]
	v_add_f64 v[60:61], v[60:61], v[48:49]
	v_add_f64 v[62:63], v[62:63], v[50:51]
	s_waitcnt vmcnt(9) lgkmcnt(0)
	v_mul_f64 v[169:170], v[2:3], v[20:21]
	v_mul_f64 v[20:21], v[4:5], v[20:21]
	ds_load_b128 v[48:51], v1 offset:1344
	v_fma_f64 v[58:59], v[58:59], v[14:15], v[82:83]
	v_fma_f64 v[56:57], v[56:57], v[14:15], -v[16:17]
	scratch_load_b128 v[14:17], off, off offset:528
	v_add_f64 v[60:61], v[60:61], v[167:168]
	v_add_f64 v[62:63], v[62:63], v[165:166]
	v_fma_f64 v[165:166], v[4:5], v[18:19], v[169:170]
	v_fma_f64 v[167:168], v[2:3], v[18:19], -v[20:21]
	scratch_load_b128 v[18:21], off, off offset:544
	ds_load_b128 v[2:5], v1 offset:1360
	s_waitcnt vmcnt(10) lgkmcnt(1)
	v_mul_f64 v[82:83], v[48:49], v[24:25]
	v_mul_f64 v[24:25], v[50:51], v[24:25]
	s_waitcnt vmcnt(9) lgkmcnt(0)
	v_mul_f64 v[169:170], v[2:3], v[28:29]
	v_mul_f64 v[28:29], v[4:5], v[28:29]
	v_add_f64 v[60:61], v[60:61], v[56:57]
	v_add_f64 v[62:63], v[62:63], v[58:59]
	ds_load_b128 v[56:59], v1 offset:1376
	v_fma_f64 v[50:51], v[50:51], v[22:23], v[82:83]
	v_fma_f64 v[48:49], v[48:49], v[22:23], -v[24:25]
	scratch_load_b128 v[22:25], off, off offset:560
	v_add_f64 v[60:61], v[60:61], v[167:168]
	v_add_f64 v[62:63], v[62:63], v[165:166]
	v_fma_f64 v[165:166], v[4:5], v[26:27], v[169:170]
	v_fma_f64 v[167:168], v[2:3], v[26:27], -v[28:29]
	scratch_load_b128 v[26:29], off, off offset:576
	ds_load_b128 v[2:5], v1 offset:1392
	s_waitcnt vmcnt(10) lgkmcnt(1)
	v_mul_f64 v[82:83], v[56:57], v[32:33]
	v_mul_f64 v[32:33], v[58:59], v[32:33]
	s_waitcnt vmcnt(9) lgkmcnt(0)
	v_mul_f64 v[169:170], v[2:3], v[36:37]
	v_mul_f64 v[36:37], v[4:5], v[36:37]
	v_add_f64 v[60:61], v[60:61], v[48:49]
	v_add_f64 v[62:63], v[62:63], v[50:51]
	ds_load_b128 v[48:51], v1 offset:1408
	v_fma_f64 v[58:59], v[58:59], v[30:31], v[82:83]
	v_fma_f64 v[56:57], v[56:57], v[30:31], -v[32:33]
	scratch_load_b128 v[30:33], off, off offset:592
	v_add_f64 v[60:61], v[60:61], v[167:168]
	v_add_f64 v[62:63], v[62:63], v[165:166]
	v_fma_f64 v[167:168], v[4:5], v[34:35], v[169:170]
	v_fma_f64 v[169:170], v[2:3], v[34:35], -v[36:37]
	scratch_load_b128 v[34:37], off, off offset:608
	ds_load_b128 v[2:5], v1 offset:1424
	s_waitcnt vmcnt(9) lgkmcnt(1)
	v_mul_f64 v[82:83], v[48:49], v[54:55]
	v_mul_f64 v[165:166], v[50:51], v[54:55]
	v_add_f64 v[60:61], v[60:61], v[56:57]
	v_add_f64 v[58:59], v[62:63], v[58:59]
	ds_load_b128 v[54:57], v1 offset:1440
	v_fma_f64 v[82:83], v[50:51], v[52:53], v[82:83]
	v_fma_f64 v[52:53], v[48:49], v[52:53], -v[165:166]
	scratch_load_b128 v[48:51], off, off offset:624
	s_waitcnt vmcnt(9) lgkmcnt(1)
	v_mul_f64 v[62:63], v[2:3], v[40:41]
	v_mul_f64 v[40:41], v[4:5], v[40:41]
	v_add_f64 v[60:61], v[60:61], v[169:170]
	v_add_f64 v[58:59], v[58:59], v[167:168]
	s_delay_alu instid0(VALU_DEP_4) | instskip(NEXT) | instid1(VALU_DEP_4)
	v_fma_f64 v[62:63], v[4:5], v[38:39], v[62:63]
	v_fma_f64 v[167:168], v[2:3], v[38:39], -v[40:41]
	scratch_load_b128 v[38:41], off, off offset:640
	ds_load_b128 v[2:5], v1 offset:1456
	s_waitcnt vmcnt(9) lgkmcnt(1)
	v_mul_f64 v[165:166], v[54:55], v[8:9]
	v_mul_f64 v[8:9], v[56:57], v[8:9]
	s_waitcnt vmcnt(8) lgkmcnt(0)
	v_mul_f64 v[169:170], v[2:3], v[12:13]
	v_mul_f64 v[12:13], v[4:5], v[12:13]
	v_add_f64 v[52:53], v[60:61], v[52:53]
	v_add_f64 v[82:83], v[58:59], v[82:83]
	ds_load_b128 v[58:61], v1 offset:1472
	v_fma_f64 v[56:57], v[56:57], v[6:7], v[165:166]
	v_fma_f64 v[54:55], v[54:55], v[6:7], -v[8:9]
	scratch_load_b128 v[6:9], off, off offset:656
	v_fma_f64 v[165:166], v[4:5], v[10:11], v[169:170]
	v_add_f64 v[52:53], v[52:53], v[167:168]
	v_add_f64 v[62:63], v[82:83], v[62:63]
	v_fma_f64 v[167:168], v[2:3], v[10:11], -v[12:13]
	scratch_load_b128 v[10:13], off, off offset:672
	ds_load_b128 v[2:5], v1 offset:1488
	s_waitcnt vmcnt(9) lgkmcnt(1)
	v_mul_f64 v[82:83], v[58:59], v[16:17]
	v_mul_f64 v[16:17], v[60:61], v[16:17]
	v_add_f64 v[169:170], v[52:53], v[54:55]
	v_add_f64 v[56:57], v[62:63], v[56:57]
	s_waitcnt vmcnt(8) lgkmcnt(0)
	v_mul_f64 v[62:63], v[2:3], v[20:21]
	v_mul_f64 v[20:21], v[4:5], v[20:21]
	ds_load_b128 v[52:55], v1 offset:1504
	v_fma_f64 v[60:61], v[60:61], v[14:15], v[82:83]
	v_fma_f64 v[58:59], v[58:59], v[14:15], -v[16:17]
	scratch_load_b128 v[14:17], off, off offset:688
	v_add_f64 v[82:83], v[169:170], v[167:168]
	v_add_f64 v[56:57], v[56:57], v[165:166]
	v_fma_f64 v[62:63], v[4:5], v[18:19], v[62:63]
	v_fma_f64 v[167:168], v[2:3], v[18:19], -v[20:21]
	scratch_load_b128 v[18:21], off, off offset:704
	ds_load_b128 v[2:5], v1 offset:1520
	s_waitcnt vmcnt(9) lgkmcnt(1)
	v_mul_f64 v[165:166], v[52:53], v[24:25]
	v_mul_f64 v[24:25], v[54:55], v[24:25]
	s_waitcnt vmcnt(8) lgkmcnt(0)
	v_mul_f64 v[169:170], v[2:3], v[28:29]
	v_mul_f64 v[28:29], v[4:5], v[28:29]
	v_add_f64 v[82:83], v[82:83], v[58:59]
	v_add_f64 v[60:61], v[56:57], v[60:61]
	ds_load_b128 v[56:59], v1 offset:1536
	v_fma_f64 v[54:55], v[54:55], v[22:23], v[165:166]
	v_fma_f64 v[52:53], v[52:53], v[22:23], -v[24:25]
	scratch_load_b128 v[22:25], off, off offset:720
	v_fma_f64 v[165:166], v[4:5], v[26:27], v[169:170]
	v_add_f64 v[82:83], v[82:83], v[167:168]
	v_add_f64 v[60:61], v[60:61], v[62:63]
	v_fma_f64 v[167:168], v[2:3], v[26:27], -v[28:29]
	scratch_load_b128 v[26:29], off, off offset:736
	ds_load_b128 v[2:5], v1 offset:1552
	s_waitcnt vmcnt(9) lgkmcnt(1)
	v_mul_f64 v[62:63], v[56:57], v[32:33]
	v_mul_f64 v[32:33], v[58:59], v[32:33]
	s_waitcnt vmcnt(8) lgkmcnt(0)
	v_mul_f64 v[169:170], v[2:3], v[36:37]
	v_mul_f64 v[36:37], v[4:5], v[36:37]
	v_add_f64 v[82:83], v[82:83], v[52:53]
	v_add_f64 v[60:61], v[60:61], v[54:55]
	ds_load_b128 v[52:55], v1 offset:1568
	v_fma_f64 v[58:59], v[58:59], v[30:31], v[62:63]
	v_fma_f64 v[56:57], v[56:57], v[30:31], -v[32:33]
	scratch_load_b128 v[30:33], off, off offset:752
	v_add_f64 v[62:63], v[82:83], v[167:168]
	v_add_f64 v[60:61], v[60:61], v[165:166]
	v_fma_f64 v[165:166], v[4:5], v[34:35], v[169:170]
	v_fma_f64 v[167:168], v[2:3], v[34:35], -v[36:37]
	scratch_load_b128 v[34:37], off, off offset:768
	ds_load_b128 v[2:5], v1 offset:1584
	s_waitcnt vmcnt(9) lgkmcnt(1)
	v_mul_f64 v[82:83], v[52:53], v[50:51]
	v_mul_f64 v[50:51], v[54:55], v[50:51]
	s_waitcnt vmcnt(8) lgkmcnt(0)
	v_mul_f64 v[169:170], v[2:3], v[40:41]
	v_mul_f64 v[40:41], v[4:5], v[40:41]
	v_add_f64 v[62:63], v[62:63], v[56:57]
	v_add_f64 v[60:61], v[60:61], v[58:59]
	ds_load_b128 v[56:59], v1 offset:1600
	v_fma_f64 v[54:55], v[54:55], v[48:49], v[82:83]
	v_fma_f64 v[52:53], v[52:53], v[48:49], -v[50:51]
	scratch_load_b128 v[48:51], off, off offset:784
	v_add_f64 v[62:63], v[62:63], v[167:168]
	v_add_f64 v[60:61], v[60:61], v[165:166]
	v_fma_f64 v[165:166], v[4:5], v[38:39], v[169:170]
	;; [unrolled: 18-line block ×6, first 2 shown]
	v_fma_f64 v[169:170], v[2:3], v[34:35], -v[36:37]
	scratch_load_b128 v[34:37], off, off offset:928
	ds_load_b128 v[2:5], v1 offset:1744
	s_waitcnt vmcnt(9) lgkmcnt(1)
	v_mul_f64 v[82:83], v[56:57], v[50:51]
	v_mul_f64 v[165:166], v[58:59], v[50:51]
	v_add_f64 v[62:63], v[62:63], v[52:53]
	v_add_f64 v[54:55], v[60:61], v[54:55]
	s_waitcnt vmcnt(8) lgkmcnt(0)
	v_mul_f64 v[60:61], v[2:3], v[40:41]
	v_mul_f64 v[40:41], v[4:5], v[40:41]
	ds_load_b128 v[50:53], v1 offset:1760
	v_fma_f64 v[58:59], v[58:59], v[48:49], v[82:83]
	v_fma_f64 v[48:49], v[56:57], v[48:49], -v[165:166]
	v_add_f64 v[56:57], v[62:63], v[169:170]
	v_add_f64 v[54:55], v[54:55], v[167:168]
	s_waitcnt vmcnt(7) lgkmcnt(0)
	v_mul_f64 v[62:63], v[50:51], v[8:9]
	v_mul_f64 v[8:9], v[52:53], v[8:9]
	v_fma_f64 v[60:61], v[4:5], v[38:39], v[60:61]
	v_fma_f64 v[82:83], v[2:3], v[38:39], -v[40:41]
	ds_load_b128 v[2:5], v1 offset:1776
	ds_load_b128 v[38:41], v1 offset:1792
	v_add_f64 v[48:49], v[56:57], v[48:49]
	v_add_f64 v[54:55], v[54:55], v[58:59]
	s_waitcnt vmcnt(6) lgkmcnt(1)
	v_mul_f64 v[56:57], v[2:3], v[12:13]
	v_mul_f64 v[12:13], v[4:5], v[12:13]
	v_fma_f64 v[52:53], v[52:53], v[6:7], v[62:63]
	v_fma_f64 v[6:7], v[50:51], v[6:7], -v[8:9]
	s_waitcnt vmcnt(5) lgkmcnt(0)
	v_mul_f64 v[50:51], v[38:39], v[16:17]
	v_mul_f64 v[16:17], v[40:41], v[16:17]
	v_add_f64 v[8:9], v[48:49], v[82:83]
	v_add_f64 v[48:49], v[54:55], v[60:61]
	v_fma_f64 v[54:55], v[4:5], v[10:11], v[56:57]
	v_fma_f64 v[10:11], v[2:3], v[10:11], -v[12:13]
	v_fma_f64 v[40:41], v[40:41], v[14:15], v[50:51]
	v_fma_f64 v[14:15], v[38:39], v[14:15], -v[16:17]
	v_add_f64 v[12:13], v[8:9], v[6:7]
	v_add_f64 v[48:49], v[48:49], v[52:53]
	ds_load_b128 v[2:5], v1 offset:1808
	ds_load_b128 v[6:9], v1 offset:1824
	s_waitcnt vmcnt(4) lgkmcnt(1)
	v_mul_f64 v[52:53], v[2:3], v[20:21]
	v_mul_f64 v[20:21], v[4:5], v[20:21]
	s_waitcnt vmcnt(3) lgkmcnt(0)
	v_mul_f64 v[16:17], v[6:7], v[24:25]
	v_mul_f64 v[24:25], v[8:9], v[24:25]
	v_add_f64 v[10:11], v[12:13], v[10:11]
	v_add_f64 v[12:13], v[48:49], v[54:55]
	v_fma_f64 v[38:39], v[4:5], v[18:19], v[52:53]
	v_fma_f64 v[18:19], v[2:3], v[18:19], -v[20:21]
	v_fma_f64 v[8:9], v[8:9], v[22:23], v[16:17]
	v_fma_f64 v[6:7], v[6:7], v[22:23], -v[24:25]
	v_add_f64 v[14:15], v[10:11], v[14:15]
	v_add_f64 v[20:21], v[12:13], v[40:41]
	ds_load_b128 v[2:5], v1 offset:1840
	ds_load_b128 v[10:13], v1 offset:1856
	s_waitcnt vmcnt(2) lgkmcnt(1)
	v_mul_f64 v[40:41], v[2:3], v[28:29]
	v_mul_f64 v[28:29], v[4:5], v[28:29]
	v_add_f64 v[14:15], v[14:15], v[18:19]
	v_add_f64 v[16:17], v[20:21], v[38:39]
	s_waitcnt vmcnt(1) lgkmcnt(0)
	v_mul_f64 v[18:19], v[10:11], v[32:33]
	v_mul_f64 v[20:21], v[12:13], v[32:33]
	v_fma_f64 v[22:23], v[4:5], v[26:27], v[40:41]
	v_fma_f64 v[24:25], v[2:3], v[26:27], -v[28:29]
	ds_load_b128 v[2:5], v1 offset:1872
	v_add_f64 v[6:7], v[14:15], v[6:7]
	v_add_f64 v[8:9], v[16:17], v[8:9]
	v_fma_f64 v[12:13], v[12:13], v[30:31], v[18:19]
	v_fma_f64 v[10:11], v[10:11], v[30:31], -v[20:21]
	s_waitcnt vmcnt(0) lgkmcnt(0)
	v_mul_f64 v[14:15], v[2:3], v[36:37]
	v_mul_f64 v[16:17], v[4:5], v[36:37]
	v_add_f64 v[6:7], v[6:7], v[24:25]
	v_add_f64 v[8:9], v[8:9], v[22:23]
	s_delay_alu instid0(VALU_DEP_4) | instskip(NEXT) | instid1(VALU_DEP_4)
	v_fma_f64 v[4:5], v[4:5], v[34:35], v[14:15]
	v_fma_f64 v[2:3], v[2:3], v[34:35], -v[16:17]
	s_delay_alu instid0(VALU_DEP_4) | instskip(NEXT) | instid1(VALU_DEP_4)
	v_add_f64 v[6:7], v[6:7], v[10:11]
	v_add_f64 v[8:9], v[8:9], v[12:13]
	s_delay_alu instid0(VALU_DEP_2) | instskip(NEXT) | instid1(VALU_DEP_2)
	v_add_f64 v[2:3], v[6:7], v[2:3]
	v_add_f64 v[4:5], v[8:9], v[4:5]
	s_delay_alu instid0(VALU_DEP_2) | instskip(NEXT) | instid1(VALU_DEP_2)
	v_add_f64 v[2:3], v[42:43], -v[2:3]
	v_add_f64 v[4:5], v[44:45], -v[4:5]
	scratch_store_b128 off, v[2:5], off offset:304
	v_cmpx_lt_u32_e32 18, v164
	s_cbranch_execz .LBB122_331
; %bb.330:
	scratch_load_b128 v[5:8], v231, off
	v_mov_b32_e32 v2, v1
	v_mov_b32_e32 v3, v1
	;; [unrolled: 1-line block ×3, first 2 shown]
	scratch_store_b128 off, v[1:4], off offset:288
	s_waitcnt vmcnt(0)
	ds_store_b128 v223, v[5:8]
.LBB122_331:
	s_or_b32 exec_lo, exec_lo, s2
	s_waitcnt lgkmcnt(0)
	s_waitcnt_vscnt null, 0x0
	s_barrier
	buffer_gl0_inv
	s_clause 0x8
	scratch_load_b128 v[2:5], off, off offset:304
	scratch_load_b128 v[6:9], off, off offset:320
	;; [unrolled: 1-line block ×9, first 2 shown]
	ds_load_b128 v[42:45], v1 offset:1248
	ds_load_b128 v[38:41], v1 offset:1264
	s_clause 0x1
	scratch_load_b128 v[48:51], off, off offset:288
	scratch_load_b128 v[52:55], off, off offset:448
	s_mov_b32 s2, exec_lo
	s_waitcnt vmcnt(10) lgkmcnt(1)
	v_mul_f64 v[56:57], v[44:45], v[4:5]
	v_mul_f64 v[4:5], v[42:43], v[4:5]
	s_waitcnt vmcnt(9) lgkmcnt(0)
	v_mul_f64 v[60:61], v[38:39], v[8:9]
	v_mul_f64 v[8:9], v[40:41], v[8:9]
	s_delay_alu instid0(VALU_DEP_4) | instskip(NEXT) | instid1(VALU_DEP_4)
	v_fma_f64 v[62:63], v[42:43], v[2:3], -v[56:57]
	v_fma_f64 v[82:83], v[44:45], v[2:3], v[4:5]
	ds_load_b128 v[2:5], v1 offset:1280
	ds_load_b128 v[56:59], v1 offset:1296
	scratch_load_b128 v[42:45], off, off offset:464
	v_fma_f64 v[40:41], v[40:41], v[6:7], v[60:61]
	v_fma_f64 v[38:39], v[38:39], v[6:7], -v[8:9]
	scratch_load_b128 v[6:9], off, off offset:480
	s_waitcnt vmcnt(10) lgkmcnt(1)
	v_mul_f64 v[165:166], v[2:3], v[12:13]
	v_mul_f64 v[12:13], v[4:5], v[12:13]
	v_add_f64 v[60:61], v[62:63], 0
	v_add_f64 v[62:63], v[82:83], 0
	s_waitcnt vmcnt(9) lgkmcnt(0)
	v_mul_f64 v[82:83], v[56:57], v[16:17]
	v_mul_f64 v[16:17], v[58:59], v[16:17]
	v_fma_f64 v[165:166], v[4:5], v[10:11], v[165:166]
	v_fma_f64 v[167:168], v[2:3], v[10:11], -v[12:13]
	ds_load_b128 v[2:5], v1 offset:1312
	scratch_load_b128 v[10:13], off, off offset:496
	v_add_f64 v[60:61], v[60:61], v[38:39]
	v_add_f64 v[62:63], v[62:63], v[40:41]
	ds_load_b128 v[38:41], v1 offset:1328
	v_fma_f64 v[58:59], v[58:59], v[14:15], v[82:83]
	v_fma_f64 v[56:57], v[56:57], v[14:15], -v[16:17]
	scratch_load_b128 v[14:17], off, off offset:512
	s_waitcnt vmcnt(10) lgkmcnt(1)
	v_mul_f64 v[169:170], v[2:3], v[20:21]
	v_mul_f64 v[20:21], v[4:5], v[20:21]
	s_waitcnt vmcnt(9) lgkmcnt(0)
	v_mul_f64 v[82:83], v[38:39], v[24:25]
	v_mul_f64 v[24:25], v[40:41], v[24:25]
	v_add_f64 v[60:61], v[60:61], v[167:168]
	v_add_f64 v[62:63], v[62:63], v[165:166]
	v_fma_f64 v[165:166], v[4:5], v[18:19], v[169:170]
	v_fma_f64 v[167:168], v[2:3], v[18:19], -v[20:21]
	ds_load_b128 v[2:5], v1 offset:1344
	scratch_load_b128 v[18:21], off, off offset:528
	v_fma_f64 v[40:41], v[40:41], v[22:23], v[82:83]
	v_fma_f64 v[38:39], v[38:39], v[22:23], -v[24:25]
	scratch_load_b128 v[22:25], off, off offset:544
	v_add_f64 v[60:61], v[60:61], v[56:57]
	v_add_f64 v[62:63], v[62:63], v[58:59]
	ds_load_b128 v[56:59], v1 offset:1360
	s_waitcnt vmcnt(10) lgkmcnt(1)
	v_mul_f64 v[169:170], v[2:3], v[28:29]
	v_mul_f64 v[28:29], v[4:5], v[28:29]
	s_waitcnt vmcnt(9) lgkmcnt(0)
	v_mul_f64 v[82:83], v[56:57], v[32:33]
	v_mul_f64 v[32:33], v[58:59], v[32:33]
	v_add_f64 v[60:61], v[60:61], v[167:168]
	v_add_f64 v[62:63], v[62:63], v[165:166]
	v_fma_f64 v[165:166], v[4:5], v[26:27], v[169:170]
	v_fma_f64 v[167:168], v[2:3], v[26:27], -v[28:29]
	ds_load_b128 v[2:5], v1 offset:1376
	scratch_load_b128 v[26:29], off, off offset:560
	v_fma_f64 v[58:59], v[58:59], v[30:31], v[82:83]
	v_fma_f64 v[56:57], v[56:57], v[30:31], -v[32:33]
	scratch_load_b128 v[30:33], off, off offset:576
	v_add_f64 v[60:61], v[60:61], v[38:39]
	v_add_f64 v[62:63], v[62:63], v[40:41]
	ds_load_b128 v[38:41], v1 offset:1392
	s_waitcnt vmcnt(10) lgkmcnt(1)
	v_mul_f64 v[169:170], v[2:3], v[36:37]
	v_mul_f64 v[36:37], v[4:5], v[36:37]
	s_waitcnt vmcnt(8) lgkmcnt(0)
	v_mul_f64 v[82:83], v[38:39], v[54:55]
	v_add_f64 v[60:61], v[60:61], v[167:168]
	v_add_f64 v[62:63], v[62:63], v[165:166]
	v_mul_f64 v[165:166], v[40:41], v[54:55]
	v_fma_f64 v[167:168], v[4:5], v[34:35], v[169:170]
	v_fma_f64 v[169:170], v[2:3], v[34:35], -v[36:37]
	ds_load_b128 v[2:5], v1 offset:1408
	scratch_load_b128 v[34:37], off, off offset:592
	v_fma_f64 v[82:83], v[40:41], v[52:53], v[82:83]
	v_add_f64 v[60:61], v[60:61], v[56:57]
	v_add_f64 v[58:59], v[62:63], v[58:59]
	ds_load_b128 v[54:57], v1 offset:1424
	v_fma_f64 v[52:53], v[38:39], v[52:53], -v[165:166]
	scratch_load_b128 v[38:41], off, off offset:608
	s_waitcnt vmcnt(9) lgkmcnt(1)
	v_mul_f64 v[62:63], v[2:3], v[44:45]
	v_mul_f64 v[44:45], v[4:5], v[44:45]
	s_waitcnt vmcnt(8) lgkmcnt(0)
	v_mul_f64 v[165:166], v[54:55], v[8:9]
	v_mul_f64 v[8:9], v[56:57], v[8:9]
	v_add_f64 v[60:61], v[60:61], v[169:170]
	v_add_f64 v[58:59], v[58:59], v[167:168]
	v_fma_f64 v[62:63], v[4:5], v[42:43], v[62:63]
	v_fma_f64 v[167:168], v[2:3], v[42:43], -v[44:45]
	ds_load_b128 v[2:5], v1 offset:1440
	scratch_load_b128 v[42:45], off, off offset:624
	v_fma_f64 v[56:57], v[56:57], v[6:7], v[165:166]
	v_fma_f64 v[54:55], v[54:55], v[6:7], -v[8:9]
	scratch_load_b128 v[6:9], off, off offset:640
	v_add_f64 v[52:53], v[60:61], v[52:53]
	v_add_f64 v[82:83], v[58:59], v[82:83]
	ds_load_b128 v[58:61], v1 offset:1456
	s_waitcnt vmcnt(9) lgkmcnt(1)
	v_mul_f64 v[169:170], v[2:3], v[12:13]
	v_mul_f64 v[12:13], v[4:5], v[12:13]
	v_add_f64 v[52:53], v[52:53], v[167:168]
	v_add_f64 v[62:63], v[82:83], v[62:63]
	s_waitcnt vmcnt(8) lgkmcnt(0)
	v_mul_f64 v[82:83], v[58:59], v[16:17]
	v_mul_f64 v[16:17], v[60:61], v[16:17]
	v_fma_f64 v[165:166], v[4:5], v[10:11], v[169:170]
	v_fma_f64 v[167:168], v[2:3], v[10:11], -v[12:13]
	ds_load_b128 v[2:5], v1 offset:1472
	scratch_load_b128 v[10:13], off, off offset:656
	v_add_f64 v[169:170], v[52:53], v[54:55]
	v_add_f64 v[56:57], v[62:63], v[56:57]
	ds_load_b128 v[52:55], v1 offset:1488
	s_waitcnt vmcnt(8) lgkmcnt(1)
	v_mul_f64 v[62:63], v[2:3], v[20:21]
	v_mul_f64 v[20:21], v[4:5], v[20:21]
	v_fma_f64 v[60:61], v[60:61], v[14:15], v[82:83]
	v_fma_f64 v[58:59], v[58:59], v[14:15], -v[16:17]
	scratch_load_b128 v[14:17], off, off offset:672
	v_add_f64 v[82:83], v[169:170], v[167:168]
	v_add_f64 v[56:57], v[56:57], v[165:166]
	s_waitcnt vmcnt(8) lgkmcnt(0)
	v_mul_f64 v[165:166], v[52:53], v[24:25]
	v_mul_f64 v[24:25], v[54:55], v[24:25]
	v_fma_f64 v[62:63], v[4:5], v[18:19], v[62:63]
	v_fma_f64 v[167:168], v[2:3], v[18:19], -v[20:21]
	ds_load_b128 v[2:5], v1 offset:1504
	scratch_load_b128 v[18:21], off, off offset:688
	v_add_f64 v[82:83], v[82:83], v[58:59]
	v_add_f64 v[60:61], v[56:57], v[60:61]
	ds_load_b128 v[56:59], v1 offset:1520
	s_waitcnt vmcnt(8) lgkmcnt(1)
	v_mul_f64 v[169:170], v[2:3], v[28:29]
	v_mul_f64 v[28:29], v[4:5], v[28:29]
	v_fma_f64 v[54:55], v[54:55], v[22:23], v[165:166]
	v_fma_f64 v[52:53], v[52:53], v[22:23], -v[24:25]
	scratch_load_b128 v[22:25], off, off offset:704
	;; [unrolled: 18-line block ×4, first 2 shown]
	s_waitcnt vmcnt(8) lgkmcnt(0)
	v_mul_f64 v[82:83], v[56:57], v[8:9]
	v_mul_f64 v[8:9], v[58:59], v[8:9]
	v_add_f64 v[62:63], v[62:63], v[167:168]
	v_add_f64 v[60:61], v[60:61], v[165:166]
	v_fma_f64 v[165:166], v[4:5], v[42:43], v[169:170]
	v_fma_f64 v[167:168], v[2:3], v[42:43], -v[44:45]
	ds_load_b128 v[2:5], v1 offset:1600
	scratch_load_b128 v[42:45], off, off offset:784
	v_fma_f64 v[58:59], v[58:59], v[6:7], v[82:83]
	v_fma_f64 v[56:57], v[56:57], v[6:7], -v[8:9]
	scratch_load_b128 v[6:9], off, off offset:800
	v_add_f64 v[62:63], v[62:63], v[52:53]
	v_add_f64 v[60:61], v[60:61], v[54:55]
	ds_load_b128 v[52:55], v1 offset:1616
	s_waitcnt vmcnt(9) lgkmcnt(1)
	v_mul_f64 v[169:170], v[2:3], v[12:13]
	v_mul_f64 v[12:13], v[4:5], v[12:13]
	s_waitcnt vmcnt(8) lgkmcnt(0)
	v_mul_f64 v[82:83], v[52:53], v[16:17]
	v_mul_f64 v[16:17], v[54:55], v[16:17]
	v_add_f64 v[62:63], v[62:63], v[167:168]
	v_add_f64 v[60:61], v[60:61], v[165:166]
	v_fma_f64 v[165:166], v[4:5], v[10:11], v[169:170]
	v_fma_f64 v[167:168], v[2:3], v[10:11], -v[12:13]
	ds_load_b128 v[2:5], v1 offset:1632
	scratch_load_b128 v[10:13], off, off offset:816
	v_fma_f64 v[54:55], v[54:55], v[14:15], v[82:83]
	v_fma_f64 v[52:53], v[52:53], v[14:15], -v[16:17]
	scratch_load_b128 v[14:17], off, off offset:832
	v_add_f64 v[62:63], v[62:63], v[56:57]
	v_add_f64 v[60:61], v[60:61], v[58:59]
	ds_load_b128 v[56:59], v1 offset:1648
	s_waitcnt vmcnt(9) lgkmcnt(1)
	v_mul_f64 v[169:170], v[2:3], v[20:21]
	v_mul_f64 v[20:21], v[4:5], v[20:21]
	;; [unrolled: 18-line block ×5, first 2 shown]
	s_waitcnt vmcnt(8) lgkmcnt(0)
	v_mul_f64 v[82:83], v[52:53], v[8:9]
	v_mul_f64 v[8:9], v[54:55], v[8:9]
	v_add_f64 v[62:63], v[62:63], v[167:168]
	v_add_f64 v[60:61], v[60:61], v[165:166]
	v_fma_f64 v[165:166], v[4:5], v[42:43], v[169:170]
	v_fma_f64 v[167:168], v[2:3], v[42:43], -v[44:45]
	ds_load_b128 v[2:5], v1 offset:1760
	ds_load_b128 v[42:45], v1 offset:1776
	v_fma_f64 v[54:55], v[54:55], v[6:7], v[82:83]
	v_fma_f64 v[6:7], v[52:53], v[6:7], -v[8:9]
	v_add_f64 v[56:57], v[62:63], v[56:57]
	v_add_f64 v[58:59], v[60:61], v[58:59]
	s_waitcnt vmcnt(7) lgkmcnt(1)
	v_mul_f64 v[60:61], v[2:3], v[12:13]
	v_mul_f64 v[12:13], v[4:5], v[12:13]
	s_delay_alu instid0(VALU_DEP_4) | instskip(NEXT) | instid1(VALU_DEP_4)
	v_add_f64 v[8:9], v[56:57], v[167:168]
	v_add_f64 v[52:53], v[58:59], v[165:166]
	s_waitcnt vmcnt(6) lgkmcnt(0)
	v_mul_f64 v[56:57], v[42:43], v[16:17]
	v_mul_f64 v[16:17], v[44:45], v[16:17]
	v_fma_f64 v[58:59], v[4:5], v[10:11], v[60:61]
	v_fma_f64 v[10:11], v[2:3], v[10:11], -v[12:13]
	v_add_f64 v[12:13], v[8:9], v[6:7]
	v_add_f64 v[52:53], v[52:53], v[54:55]
	ds_load_b128 v[2:5], v1 offset:1792
	ds_load_b128 v[6:9], v1 offset:1808
	v_fma_f64 v[44:45], v[44:45], v[14:15], v[56:57]
	v_fma_f64 v[14:15], v[42:43], v[14:15], -v[16:17]
	s_waitcnt vmcnt(5) lgkmcnt(1)
	v_mul_f64 v[54:55], v[2:3], v[20:21]
	v_mul_f64 v[20:21], v[4:5], v[20:21]
	s_waitcnt vmcnt(4) lgkmcnt(0)
	v_mul_f64 v[16:17], v[6:7], v[24:25]
	v_mul_f64 v[24:25], v[8:9], v[24:25]
	v_add_f64 v[10:11], v[12:13], v[10:11]
	v_add_f64 v[12:13], v[52:53], v[58:59]
	v_fma_f64 v[42:43], v[4:5], v[18:19], v[54:55]
	v_fma_f64 v[18:19], v[2:3], v[18:19], -v[20:21]
	v_fma_f64 v[8:9], v[8:9], v[22:23], v[16:17]
	v_fma_f64 v[6:7], v[6:7], v[22:23], -v[24:25]
	v_add_f64 v[14:15], v[10:11], v[14:15]
	v_add_f64 v[20:21], v[12:13], v[44:45]
	ds_load_b128 v[2:5], v1 offset:1824
	ds_load_b128 v[10:13], v1 offset:1840
	s_waitcnt vmcnt(3) lgkmcnt(1)
	v_mul_f64 v[44:45], v[2:3], v[28:29]
	v_mul_f64 v[28:29], v[4:5], v[28:29]
	v_add_f64 v[14:15], v[14:15], v[18:19]
	v_add_f64 v[16:17], v[20:21], v[42:43]
	s_waitcnt vmcnt(2) lgkmcnt(0)
	v_mul_f64 v[18:19], v[10:11], v[32:33]
	v_mul_f64 v[20:21], v[12:13], v[32:33]
	v_fma_f64 v[22:23], v[4:5], v[26:27], v[44:45]
	v_fma_f64 v[24:25], v[2:3], v[26:27], -v[28:29]
	v_add_f64 v[14:15], v[14:15], v[6:7]
	v_add_f64 v[16:17], v[16:17], v[8:9]
	ds_load_b128 v[2:5], v1 offset:1856
	ds_load_b128 v[6:9], v1 offset:1872
	v_fma_f64 v[12:13], v[12:13], v[30:31], v[18:19]
	v_fma_f64 v[10:11], v[10:11], v[30:31], -v[20:21]
	s_waitcnt vmcnt(1) lgkmcnt(1)
	v_mul_f64 v[26:27], v[2:3], v[36:37]
	v_mul_f64 v[28:29], v[4:5], v[36:37]
	s_waitcnt vmcnt(0) lgkmcnt(0)
	v_mul_f64 v[18:19], v[6:7], v[40:41]
	v_mul_f64 v[20:21], v[8:9], v[40:41]
	v_add_f64 v[14:15], v[14:15], v[24:25]
	v_add_f64 v[16:17], v[16:17], v[22:23]
	v_fma_f64 v[4:5], v[4:5], v[34:35], v[26:27]
	v_fma_f64 v[1:2], v[2:3], v[34:35], -v[28:29]
	v_fma_f64 v[8:9], v[8:9], v[38:39], v[18:19]
	v_fma_f64 v[6:7], v[6:7], v[38:39], -v[20:21]
	v_add_f64 v[10:11], v[14:15], v[10:11]
	v_add_f64 v[12:13], v[16:17], v[12:13]
	s_delay_alu instid0(VALU_DEP_2) | instskip(NEXT) | instid1(VALU_DEP_2)
	v_add_f64 v[1:2], v[10:11], v[1:2]
	v_add_f64 v[3:4], v[12:13], v[4:5]
	s_delay_alu instid0(VALU_DEP_2) | instskip(NEXT) | instid1(VALU_DEP_2)
	;; [unrolled: 3-line block ×3, first 2 shown]
	v_add_f64 v[1:2], v[48:49], -v[1:2]
	v_add_f64 v[3:4], v[50:51], -v[3:4]
	scratch_store_b128 off, v[1:4], off offset:288
	v_cmpx_lt_u32_e32 17, v164
	s_cbranch_execz .LBB122_333
; %bb.332:
	scratch_load_b128 v[1:4], v232, off
	v_mov_b32_e32 v5, 0
	s_delay_alu instid0(VALU_DEP_1)
	v_mov_b32_e32 v6, v5
	v_mov_b32_e32 v7, v5
	;; [unrolled: 1-line block ×3, first 2 shown]
	scratch_store_b128 off, v[5:8], off offset:272
	s_waitcnt vmcnt(0)
	ds_store_b128 v223, v[1:4]
.LBB122_333:
	s_or_b32 exec_lo, exec_lo, s2
	s_waitcnt lgkmcnt(0)
	s_waitcnt_vscnt null, 0x0
	s_barrier
	buffer_gl0_inv
	s_clause 0x7
	scratch_load_b128 v[2:5], off, off offset:288
	scratch_load_b128 v[6:9], off, off offset:304
	;; [unrolled: 1-line block ×8, first 2 shown]
	v_mov_b32_e32 v1, 0
	s_mov_b32 s2, exec_lo
	ds_load_b128 v[38:41], v1 offset:1232
	s_clause 0x1
	scratch_load_b128 v[34:37], off, off offset:416
	scratch_load_b128 v[42:45], off, off offset:272
	ds_load_b128 v[48:51], v1 offset:1248
	scratch_load_b128 v[52:55], off, off offset:432
	s_waitcnt vmcnt(10) lgkmcnt(1)
	v_mul_f64 v[56:57], v[40:41], v[4:5]
	v_mul_f64 v[4:5], v[38:39], v[4:5]
	s_delay_alu instid0(VALU_DEP_2) | instskip(NEXT) | instid1(VALU_DEP_2)
	v_fma_f64 v[62:63], v[38:39], v[2:3], -v[56:57]
	v_fma_f64 v[82:83], v[40:41], v[2:3], v[4:5]
	scratch_load_b128 v[38:41], off, off offset:448
	ds_load_b128 v[2:5], v1 offset:1264
	s_waitcnt vmcnt(10) lgkmcnt(1)
	v_mul_f64 v[60:61], v[48:49], v[8:9]
	v_mul_f64 v[8:9], v[50:51], v[8:9]
	ds_load_b128 v[56:59], v1 offset:1280
	s_waitcnt vmcnt(9) lgkmcnt(1)
	v_mul_f64 v[165:166], v[2:3], v[12:13]
	v_mul_f64 v[12:13], v[4:5], v[12:13]
	v_fma_f64 v[50:51], v[50:51], v[6:7], v[60:61]
	v_fma_f64 v[48:49], v[48:49], v[6:7], -v[8:9]
	v_add_f64 v[60:61], v[62:63], 0
	v_add_f64 v[62:63], v[82:83], 0
	scratch_load_b128 v[6:9], off, off offset:464
	v_fma_f64 v[165:166], v[4:5], v[10:11], v[165:166]
	v_fma_f64 v[167:168], v[2:3], v[10:11], -v[12:13]
	scratch_load_b128 v[10:13], off, off offset:480
	ds_load_b128 v[2:5], v1 offset:1296
	s_waitcnt vmcnt(10) lgkmcnt(1)
	v_mul_f64 v[82:83], v[56:57], v[16:17]
	v_mul_f64 v[16:17], v[58:59], v[16:17]
	v_add_f64 v[60:61], v[60:61], v[48:49]
	v_add_f64 v[62:63], v[62:63], v[50:51]
	s_waitcnt vmcnt(9) lgkmcnt(0)
	v_mul_f64 v[169:170], v[2:3], v[20:21]
	v_mul_f64 v[20:21], v[4:5], v[20:21]
	ds_load_b128 v[48:51], v1 offset:1312
	v_fma_f64 v[58:59], v[58:59], v[14:15], v[82:83]
	v_fma_f64 v[56:57], v[56:57], v[14:15], -v[16:17]
	scratch_load_b128 v[14:17], off, off offset:496
	v_add_f64 v[60:61], v[60:61], v[167:168]
	v_add_f64 v[62:63], v[62:63], v[165:166]
	v_fma_f64 v[165:166], v[4:5], v[18:19], v[169:170]
	v_fma_f64 v[167:168], v[2:3], v[18:19], -v[20:21]
	scratch_load_b128 v[18:21], off, off offset:512
	ds_load_b128 v[2:5], v1 offset:1328
	s_waitcnt vmcnt(10) lgkmcnt(1)
	v_mul_f64 v[82:83], v[48:49], v[24:25]
	v_mul_f64 v[24:25], v[50:51], v[24:25]
	s_waitcnt vmcnt(9) lgkmcnt(0)
	v_mul_f64 v[169:170], v[2:3], v[28:29]
	v_mul_f64 v[28:29], v[4:5], v[28:29]
	v_add_f64 v[60:61], v[60:61], v[56:57]
	v_add_f64 v[62:63], v[62:63], v[58:59]
	ds_load_b128 v[56:59], v1 offset:1344
	v_fma_f64 v[50:51], v[50:51], v[22:23], v[82:83]
	v_fma_f64 v[48:49], v[48:49], v[22:23], -v[24:25]
	scratch_load_b128 v[22:25], off, off offset:528
	v_add_f64 v[60:61], v[60:61], v[167:168]
	v_add_f64 v[62:63], v[62:63], v[165:166]
	v_fma_f64 v[165:166], v[4:5], v[26:27], v[169:170]
	v_fma_f64 v[167:168], v[2:3], v[26:27], -v[28:29]
	scratch_load_b128 v[26:29], off, off offset:544
	ds_load_b128 v[2:5], v1 offset:1360
	s_waitcnt vmcnt(10) lgkmcnt(1)
	v_mul_f64 v[82:83], v[56:57], v[32:33]
	v_mul_f64 v[32:33], v[58:59], v[32:33]
	s_waitcnt vmcnt(9) lgkmcnt(0)
	v_mul_f64 v[169:170], v[2:3], v[36:37]
	v_mul_f64 v[36:37], v[4:5], v[36:37]
	v_add_f64 v[60:61], v[60:61], v[48:49]
	v_add_f64 v[62:63], v[62:63], v[50:51]
	ds_load_b128 v[48:51], v1 offset:1376
	v_fma_f64 v[58:59], v[58:59], v[30:31], v[82:83]
	v_fma_f64 v[56:57], v[56:57], v[30:31], -v[32:33]
	scratch_load_b128 v[30:33], off, off offset:560
	v_add_f64 v[60:61], v[60:61], v[167:168]
	v_add_f64 v[62:63], v[62:63], v[165:166]
	v_fma_f64 v[167:168], v[4:5], v[34:35], v[169:170]
	v_fma_f64 v[169:170], v[2:3], v[34:35], -v[36:37]
	scratch_load_b128 v[34:37], off, off offset:576
	ds_load_b128 v[2:5], v1 offset:1392
	s_waitcnt vmcnt(9) lgkmcnt(1)
	v_mul_f64 v[82:83], v[48:49], v[54:55]
	v_mul_f64 v[165:166], v[50:51], v[54:55]
	v_add_f64 v[60:61], v[60:61], v[56:57]
	v_add_f64 v[58:59], v[62:63], v[58:59]
	ds_load_b128 v[54:57], v1 offset:1408
	v_fma_f64 v[82:83], v[50:51], v[52:53], v[82:83]
	v_fma_f64 v[52:53], v[48:49], v[52:53], -v[165:166]
	scratch_load_b128 v[48:51], off, off offset:592
	s_waitcnt vmcnt(9) lgkmcnt(1)
	v_mul_f64 v[62:63], v[2:3], v[40:41]
	v_mul_f64 v[40:41], v[4:5], v[40:41]
	v_add_f64 v[60:61], v[60:61], v[169:170]
	v_add_f64 v[58:59], v[58:59], v[167:168]
	s_delay_alu instid0(VALU_DEP_4) | instskip(NEXT) | instid1(VALU_DEP_4)
	v_fma_f64 v[62:63], v[4:5], v[38:39], v[62:63]
	v_fma_f64 v[167:168], v[2:3], v[38:39], -v[40:41]
	scratch_load_b128 v[38:41], off, off offset:608
	ds_load_b128 v[2:5], v1 offset:1424
	s_waitcnt vmcnt(9) lgkmcnt(1)
	v_mul_f64 v[165:166], v[54:55], v[8:9]
	v_mul_f64 v[8:9], v[56:57], v[8:9]
	s_waitcnt vmcnt(8) lgkmcnt(0)
	v_mul_f64 v[169:170], v[2:3], v[12:13]
	v_mul_f64 v[12:13], v[4:5], v[12:13]
	v_add_f64 v[52:53], v[60:61], v[52:53]
	v_add_f64 v[82:83], v[58:59], v[82:83]
	ds_load_b128 v[58:61], v1 offset:1440
	v_fma_f64 v[56:57], v[56:57], v[6:7], v[165:166]
	v_fma_f64 v[54:55], v[54:55], v[6:7], -v[8:9]
	scratch_load_b128 v[6:9], off, off offset:624
	v_fma_f64 v[165:166], v[4:5], v[10:11], v[169:170]
	v_add_f64 v[52:53], v[52:53], v[167:168]
	v_add_f64 v[62:63], v[82:83], v[62:63]
	v_fma_f64 v[167:168], v[2:3], v[10:11], -v[12:13]
	scratch_load_b128 v[10:13], off, off offset:640
	ds_load_b128 v[2:5], v1 offset:1456
	s_waitcnt vmcnt(9) lgkmcnt(1)
	v_mul_f64 v[82:83], v[58:59], v[16:17]
	v_mul_f64 v[16:17], v[60:61], v[16:17]
	v_add_f64 v[169:170], v[52:53], v[54:55]
	v_add_f64 v[56:57], v[62:63], v[56:57]
	s_waitcnt vmcnt(8) lgkmcnt(0)
	v_mul_f64 v[62:63], v[2:3], v[20:21]
	v_mul_f64 v[20:21], v[4:5], v[20:21]
	ds_load_b128 v[52:55], v1 offset:1472
	v_fma_f64 v[60:61], v[60:61], v[14:15], v[82:83]
	v_fma_f64 v[58:59], v[58:59], v[14:15], -v[16:17]
	scratch_load_b128 v[14:17], off, off offset:656
	v_add_f64 v[82:83], v[169:170], v[167:168]
	v_add_f64 v[56:57], v[56:57], v[165:166]
	v_fma_f64 v[62:63], v[4:5], v[18:19], v[62:63]
	v_fma_f64 v[167:168], v[2:3], v[18:19], -v[20:21]
	scratch_load_b128 v[18:21], off, off offset:672
	ds_load_b128 v[2:5], v1 offset:1488
	s_waitcnt vmcnt(9) lgkmcnt(1)
	v_mul_f64 v[165:166], v[52:53], v[24:25]
	v_mul_f64 v[24:25], v[54:55], v[24:25]
	s_waitcnt vmcnt(8) lgkmcnt(0)
	v_mul_f64 v[169:170], v[2:3], v[28:29]
	v_mul_f64 v[28:29], v[4:5], v[28:29]
	v_add_f64 v[82:83], v[82:83], v[58:59]
	v_add_f64 v[60:61], v[56:57], v[60:61]
	ds_load_b128 v[56:59], v1 offset:1504
	v_fma_f64 v[54:55], v[54:55], v[22:23], v[165:166]
	v_fma_f64 v[52:53], v[52:53], v[22:23], -v[24:25]
	scratch_load_b128 v[22:25], off, off offset:688
	v_fma_f64 v[165:166], v[4:5], v[26:27], v[169:170]
	v_add_f64 v[82:83], v[82:83], v[167:168]
	v_add_f64 v[60:61], v[60:61], v[62:63]
	v_fma_f64 v[167:168], v[2:3], v[26:27], -v[28:29]
	scratch_load_b128 v[26:29], off, off offset:704
	ds_load_b128 v[2:5], v1 offset:1520
	s_waitcnt vmcnt(9) lgkmcnt(1)
	v_mul_f64 v[62:63], v[56:57], v[32:33]
	v_mul_f64 v[32:33], v[58:59], v[32:33]
	s_waitcnt vmcnt(8) lgkmcnt(0)
	v_mul_f64 v[169:170], v[2:3], v[36:37]
	v_mul_f64 v[36:37], v[4:5], v[36:37]
	v_add_f64 v[82:83], v[82:83], v[52:53]
	v_add_f64 v[60:61], v[60:61], v[54:55]
	ds_load_b128 v[52:55], v1 offset:1536
	v_fma_f64 v[58:59], v[58:59], v[30:31], v[62:63]
	v_fma_f64 v[56:57], v[56:57], v[30:31], -v[32:33]
	scratch_load_b128 v[30:33], off, off offset:720
	v_add_f64 v[62:63], v[82:83], v[167:168]
	v_add_f64 v[60:61], v[60:61], v[165:166]
	v_fma_f64 v[165:166], v[4:5], v[34:35], v[169:170]
	v_fma_f64 v[167:168], v[2:3], v[34:35], -v[36:37]
	scratch_load_b128 v[34:37], off, off offset:736
	ds_load_b128 v[2:5], v1 offset:1552
	s_waitcnt vmcnt(9) lgkmcnt(1)
	v_mul_f64 v[82:83], v[52:53], v[50:51]
	v_mul_f64 v[50:51], v[54:55], v[50:51]
	s_waitcnt vmcnt(8) lgkmcnt(0)
	v_mul_f64 v[169:170], v[2:3], v[40:41]
	v_mul_f64 v[40:41], v[4:5], v[40:41]
	v_add_f64 v[62:63], v[62:63], v[56:57]
	v_add_f64 v[60:61], v[60:61], v[58:59]
	ds_load_b128 v[56:59], v1 offset:1568
	v_fma_f64 v[54:55], v[54:55], v[48:49], v[82:83]
	v_fma_f64 v[52:53], v[52:53], v[48:49], -v[50:51]
	scratch_load_b128 v[48:51], off, off offset:752
	v_add_f64 v[62:63], v[62:63], v[167:168]
	v_add_f64 v[60:61], v[60:61], v[165:166]
	v_fma_f64 v[165:166], v[4:5], v[38:39], v[169:170]
	v_fma_f64 v[167:168], v[2:3], v[38:39], -v[40:41]
	scratch_load_b128 v[38:41], off, off offset:768
	ds_load_b128 v[2:5], v1 offset:1584
	s_waitcnt vmcnt(9) lgkmcnt(1)
	v_mul_f64 v[82:83], v[56:57], v[8:9]
	v_mul_f64 v[8:9], v[58:59], v[8:9]
	s_waitcnt vmcnt(8) lgkmcnt(0)
	v_mul_f64 v[169:170], v[2:3], v[12:13]
	v_mul_f64 v[12:13], v[4:5], v[12:13]
	v_add_f64 v[62:63], v[62:63], v[52:53]
	v_add_f64 v[60:61], v[60:61], v[54:55]
	ds_load_b128 v[52:55], v1 offset:1600
	v_fma_f64 v[58:59], v[58:59], v[6:7], v[82:83]
	v_fma_f64 v[56:57], v[56:57], v[6:7], -v[8:9]
	scratch_load_b128 v[6:9], off, off offset:784
	v_add_f64 v[62:63], v[62:63], v[167:168]
	v_add_f64 v[60:61], v[60:61], v[165:166]
	v_fma_f64 v[165:166], v[4:5], v[10:11], v[169:170]
	v_fma_f64 v[167:168], v[2:3], v[10:11], -v[12:13]
	scratch_load_b128 v[10:13], off, off offset:800
	ds_load_b128 v[2:5], v1 offset:1616
	s_waitcnt vmcnt(9) lgkmcnt(1)
	v_mul_f64 v[82:83], v[52:53], v[16:17]
	v_mul_f64 v[16:17], v[54:55], v[16:17]
	s_waitcnt vmcnt(8) lgkmcnt(0)
	v_mul_f64 v[169:170], v[2:3], v[20:21]
	v_mul_f64 v[20:21], v[4:5], v[20:21]
	v_add_f64 v[62:63], v[62:63], v[56:57]
	v_add_f64 v[60:61], v[60:61], v[58:59]
	ds_load_b128 v[56:59], v1 offset:1632
	v_fma_f64 v[54:55], v[54:55], v[14:15], v[82:83]
	v_fma_f64 v[52:53], v[52:53], v[14:15], -v[16:17]
	scratch_load_b128 v[14:17], off, off offset:816
	v_add_f64 v[62:63], v[62:63], v[167:168]
	v_add_f64 v[60:61], v[60:61], v[165:166]
	v_fma_f64 v[165:166], v[4:5], v[18:19], v[169:170]
	v_fma_f64 v[167:168], v[2:3], v[18:19], -v[20:21]
	scratch_load_b128 v[18:21], off, off offset:832
	ds_load_b128 v[2:5], v1 offset:1648
	s_waitcnt vmcnt(9) lgkmcnt(1)
	v_mul_f64 v[82:83], v[56:57], v[24:25]
	v_mul_f64 v[24:25], v[58:59], v[24:25]
	s_waitcnt vmcnt(8) lgkmcnt(0)
	v_mul_f64 v[169:170], v[2:3], v[28:29]
	v_mul_f64 v[28:29], v[4:5], v[28:29]
	v_add_f64 v[62:63], v[62:63], v[52:53]
	v_add_f64 v[60:61], v[60:61], v[54:55]
	ds_load_b128 v[52:55], v1 offset:1664
	v_fma_f64 v[58:59], v[58:59], v[22:23], v[82:83]
	v_fma_f64 v[56:57], v[56:57], v[22:23], -v[24:25]
	scratch_load_b128 v[22:25], off, off offset:848
	v_add_f64 v[62:63], v[62:63], v[167:168]
	v_add_f64 v[60:61], v[60:61], v[165:166]
	v_fma_f64 v[165:166], v[4:5], v[26:27], v[169:170]
	v_fma_f64 v[167:168], v[2:3], v[26:27], -v[28:29]
	scratch_load_b128 v[26:29], off, off offset:864
	ds_load_b128 v[2:5], v1 offset:1680
	s_waitcnt vmcnt(9) lgkmcnt(1)
	v_mul_f64 v[82:83], v[52:53], v[32:33]
	v_mul_f64 v[32:33], v[54:55], v[32:33]
	s_waitcnt vmcnt(8) lgkmcnt(0)
	v_mul_f64 v[169:170], v[2:3], v[36:37]
	v_mul_f64 v[36:37], v[4:5], v[36:37]
	v_add_f64 v[62:63], v[62:63], v[56:57]
	v_add_f64 v[60:61], v[60:61], v[58:59]
	ds_load_b128 v[56:59], v1 offset:1696
	v_fma_f64 v[54:55], v[54:55], v[30:31], v[82:83]
	v_fma_f64 v[52:53], v[52:53], v[30:31], -v[32:33]
	scratch_load_b128 v[30:33], off, off offset:880
	v_add_f64 v[62:63], v[62:63], v[167:168]
	v_add_f64 v[60:61], v[60:61], v[165:166]
	v_fma_f64 v[167:168], v[4:5], v[34:35], v[169:170]
	v_fma_f64 v[169:170], v[2:3], v[34:35], -v[36:37]
	scratch_load_b128 v[34:37], off, off offset:896
	ds_load_b128 v[2:5], v1 offset:1712
	s_waitcnt vmcnt(9) lgkmcnt(1)
	v_mul_f64 v[82:83], v[56:57], v[50:51]
	v_mul_f64 v[165:166], v[58:59], v[50:51]
	v_add_f64 v[62:63], v[62:63], v[52:53]
	v_add_f64 v[54:55], v[60:61], v[54:55]
	s_waitcnt vmcnt(8) lgkmcnt(0)
	v_mul_f64 v[60:61], v[2:3], v[40:41]
	v_mul_f64 v[40:41], v[4:5], v[40:41]
	ds_load_b128 v[50:53], v1 offset:1728
	v_fma_f64 v[58:59], v[58:59], v[48:49], v[82:83]
	v_fma_f64 v[48:49], v[56:57], v[48:49], -v[165:166]
	v_add_f64 v[62:63], v[62:63], v[169:170]
	v_add_f64 v[82:83], v[54:55], v[167:168]
	scratch_load_b128 v[54:57], off, off offset:912
	v_fma_f64 v[167:168], v[4:5], v[38:39], v[60:61]
	v_fma_f64 v[169:170], v[2:3], v[38:39], -v[40:41]
	scratch_load_b128 v[38:41], off, off offset:928
	ds_load_b128 v[2:5], v1 offset:1744
	s_waitcnt vmcnt(9) lgkmcnt(1)
	v_mul_f64 v[165:166], v[50:51], v[8:9]
	v_mul_f64 v[8:9], v[52:53], v[8:9]
	v_add_f64 v[48:49], v[62:63], v[48:49]
	v_add_f64 v[62:63], v[82:83], v[58:59]
	s_waitcnt vmcnt(8) lgkmcnt(0)
	v_mul_f64 v[82:83], v[2:3], v[12:13]
	v_mul_f64 v[12:13], v[4:5], v[12:13]
	ds_load_b128 v[58:61], v1 offset:1760
	v_fma_f64 v[52:53], v[52:53], v[6:7], v[165:166]
	v_fma_f64 v[6:7], v[50:51], v[6:7], -v[8:9]
	s_waitcnt vmcnt(7) lgkmcnt(0)
	v_mul_f64 v[50:51], v[58:59], v[16:17]
	v_mul_f64 v[16:17], v[60:61], v[16:17]
	v_add_f64 v[8:9], v[48:49], v[169:170]
	v_add_f64 v[48:49], v[62:63], v[167:168]
	v_fma_f64 v[62:63], v[4:5], v[10:11], v[82:83]
	v_fma_f64 v[10:11], v[2:3], v[10:11], -v[12:13]
	v_fma_f64 v[50:51], v[60:61], v[14:15], v[50:51]
	v_fma_f64 v[14:15], v[58:59], v[14:15], -v[16:17]
	v_add_f64 v[12:13], v[8:9], v[6:7]
	v_add_f64 v[48:49], v[48:49], v[52:53]
	ds_load_b128 v[2:5], v1 offset:1776
	ds_load_b128 v[6:9], v1 offset:1792
	s_waitcnt vmcnt(6) lgkmcnt(1)
	v_mul_f64 v[52:53], v[2:3], v[20:21]
	v_mul_f64 v[20:21], v[4:5], v[20:21]
	s_waitcnt vmcnt(5) lgkmcnt(0)
	v_mul_f64 v[16:17], v[6:7], v[24:25]
	v_mul_f64 v[24:25], v[8:9], v[24:25]
	v_add_f64 v[10:11], v[12:13], v[10:11]
	v_add_f64 v[12:13], v[48:49], v[62:63]
	v_fma_f64 v[48:49], v[4:5], v[18:19], v[52:53]
	v_fma_f64 v[18:19], v[2:3], v[18:19], -v[20:21]
	v_fma_f64 v[8:9], v[8:9], v[22:23], v[16:17]
	v_fma_f64 v[6:7], v[6:7], v[22:23], -v[24:25]
	v_add_f64 v[14:15], v[10:11], v[14:15]
	v_add_f64 v[20:21], v[12:13], v[50:51]
	ds_load_b128 v[2:5], v1 offset:1808
	ds_load_b128 v[10:13], v1 offset:1824
	s_waitcnt vmcnt(4) lgkmcnt(1)
	v_mul_f64 v[50:51], v[2:3], v[28:29]
	v_mul_f64 v[28:29], v[4:5], v[28:29]
	v_add_f64 v[14:15], v[14:15], v[18:19]
	v_add_f64 v[16:17], v[20:21], v[48:49]
	s_waitcnt vmcnt(3) lgkmcnt(0)
	v_mul_f64 v[18:19], v[10:11], v[32:33]
	v_mul_f64 v[20:21], v[12:13], v[32:33]
	v_fma_f64 v[22:23], v[4:5], v[26:27], v[50:51]
	v_fma_f64 v[24:25], v[2:3], v[26:27], -v[28:29]
	v_add_f64 v[14:15], v[14:15], v[6:7]
	v_add_f64 v[16:17], v[16:17], v[8:9]
	ds_load_b128 v[2:5], v1 offset:1840
	ds_load_b128 v[6:9], v1 offset:1856
	v_fma_f64 v[12:13], v[12:13], v[30:31], v[18:19]
	v_fma_f64 v[10:11], v[10:11], v[30:31], -v[20:21]
	s_waitcnt vmcnt(2) lgkmcnt(1)
	v_mul_f64 v[26:27], v[2:3], v[36:37]
	v_mul_f64 v[28:29], v[4:5], v[36:37]
	v_add_f64 v[14:15], v[14:15], v[24:25]
	v_add_f64 v[16:17], v[16:17], v[22:23]
	s_waitcnt vmcnt(1) lgkmcnt(0)
	v_mul_f64 v[18:19], v[6:7], v[56:57]
	v_mul_f64 v[20:21], v[8:9], v[56:57]
	v_fma_f64 v[22:23], v[4:5], v[34:35], v[26:27]
	v_fma_f64 v[24:25], v[2:3], v[34:35], -v[28:29]
	ds_load_b128 v[2:5], v1 offset:1872
	v_add_f64 v[10:11], v[14:15], v[10:11]
	v_add_f64 v[12:13], v[16:17], v[12:13]
	s_waitcnt vmcnt(0) lgkmcnt(0)
	v_mul_f64 v[14:15], v[2:3], v[40:41]
	v_mul_f64 v[16:17], v[4:5], v[40:41]
	v_fma_f64 v[8:9], v[8:9], v[54:55], v[18:19]
	v_fma_f64 v[6:7], v[6:7], v[54:55], -v[20:21]
	v_add_f64 v[10:11], v[10:11], v[24:25]
	v_add_f64 v[12:13], v[12:13], v[22:23]
	v_fma_f64 v[4:5], v[4:5], v[38:39], v[14:15]
	v_fma_f64 v[2:3], v[2:3], v[38:39], -v[16:17]
	s_delay_alu instid0(VALU_DEP_4) | instskip(NEXT) | instid1(VALU_DEP_4)
	v_add_f64 v[6:7], v[10:11], v[6:7]
	v_add_f64 v[8:9], v[12:13], v[8:9]
	s_delay_alu instid0(VALU_DEP_2) | instskip(NEXT) | instid1(VALU_DEP_2)
	v_add_f64 v[2:3], v[6:7], v[2:3]
	v_add_f64 v[4:5], v[8:9], v[4:5]
	s_delay_alu instid0(VALU_DEP_2) | instskip(NEXT) | instid1(VALU_DEP_2)
	v_add_f64 v[2:3], v[42:43], -v[2:3]
	v_add_f64 v[4:5], v[44:45], -v[4:5]
	scratch_store_b128 off, v[2:5], off offset:272
	v_cmpx_lt_u32_e32 16, v164
	s_cbranch_execz .LBB122_335
; %bb.334:
	scratch_load_b128 v[5:8], v253, off
	v_mov_b32_e32 v2, v1
	v_mov_b32_e32 v3, v1
	;; [unrolled: 1-line block ×3, first 2 shown]
	scratch_store_b128 off, v[1:4], off offset:256
	s_waitcnt vmcnt(0)
	ds_store_b128 v223, v[5:8]
.LBB122_335:
	s_or_b32 exec_lo, exec_lo, s2
	s_waitcnt lgkmcnt(0)
	s_waitcnt_vscnt null, 0x0
	s_barrier
	buffer_gl0_inv
	s_clause 0x8
	scratch_load_b128 v[2:5], off, off offset:272
	scratch_load_b128 v[6:9], off, off offset:288
	;; [unrolled: 1-line block ×9, first 2 shown]
	ds_load_b128 v[42:45], v1 offset:1216
	ds_load_b128 v[38:41], v1 offset:1232
	s_clause 0x1
	scratch_load_b128 v[48:51], off, off offset:256
	scratch_load_b128 v[52:55], off, off offset:416
	s_mov_b32 s2, exec_lo
	s_waitcnt vmcnt(10) lgkmcnt(1)
	v_mul_f64 v[56:57], v[44:45], v[4:5]
	v_mul_f64 v[4:5], v[42:43], v[4:5]
	s_waitcnt vmcnt(9) lgkmcnt(0)
	v_mul_f64 v[60:61], v[38:39], v[8:9]
	v_mul_f64 v[8:9], v[40:41], v[8:9]
	s_delay_alu instid0(VALU_DEP_4) | instskip(NEXT) | instid1(VALU_DEP_4)
	v_fma_f64 v[62:63], v[42:43], v[2:3], -v[56:57]
	v_fma_f64 v[82:83], v[44:45], v[2:3], v[4:5]
	ds_load_b128 v[2:5], v1 offset:1248
	ds_load_b128 v[56:59], v1 offset:1264
	scratch_load_b128 v[42:45], off, off offset:432
	v_fma_f64 v[40:41], v[40:41], v[6:7], v[60:61]
	v_fma_f64 v[38:39], v[38:39], v[6:7], -v[8:9]
	scratch_load_b128 v[6:9], off, off offset:448
	s_waitcnt vmcnt(10) lgkmcnt(1)
	v_mul_f64 v[165:166], v[2:3], v[12:13]
	v_mul_f64 v[12:13], v[4:5], v[12:13]
	v_add_f64 v[60:61], v[62:63], 0
	v_add_f64 v[62:63], v[82:83], 0
	s_waitcnt vmcnt(9) lgkmcnt(0)
	v_mul_f64 v[82:83], v[56:57], v[16:17]
	v_mul_f64 v[16:17], v[58:59], v[16:17]
	v_fma_f64 v[165:166], v[4:5], v[10:11], v[165:166]
	v_fma_f64 v[167:168], v[2:3], v[10:11], -v[12:13]
	ds_load_b128 v[2:5], v1 offset:1280
	scratch_load_b128 v[10:13], off, off offset:464
	v_add_f64 v[60:61], v[60:61], v[38:39]
	v_add_f64 v[62:63], v[62:63], v[40:41]
	ds_load_b128 v[38:41], v1 offset:1296
	v_fma_f64 v[58:59], v[58:59], v[14:15], v[82:83]
	v_fma_f64 v[56:57], v[56:57], v[14:15], -v[16:17]
	scratch_load_b128 v[14:17], off, off offset:480
	s_waitcnt vmcnt(10) lgkmcnt(1)
	v_mul_f64 v[169:170], v[2:3], v[20:21]
	v_mul_f64 v[20:21], v[4:5], v[20:21]
	s_waitcnt vmcnt(9) lgkmcnt(0)
	v_mul_f64 v[82:83], v[38:39], v[24:25]
	v_mul_f64 v[24:25], v[40:41], v[24:25]
	v_add_f64 v[60:61], v[60:61], v[167:168]
	v_add_f64 v[62:63], v[62:63], v[165:166]
	v_fma_f64 v[165:166], v[4:5], v[18:19], v[169:170]
	v_fma_f64 v[167:168], v[2:3], v[18:19], -v[20:21]
	ds_load_b128 v[2:5], v1 offset:1312
	scratch_load_b128 v[18:21], off, off offset:496
	v_fma_f64 v[40:41], v[40:41], v[22:23], v[82:83]
	v_fma_f64 v[38:39], v[38:39], v[22:23], -v[24:25]
	scratch_load_b128 v[22:25], off, off offset:512
	v_add_f64 v[60:61], v[60:61], v[56:57]
	v_add_f64 v[62:63], v[62:63], v[58:59]
	ds_load_b128 v[56:59], v1 offset:1328
	s_waitcnt vmcnt(10) lgkmcnt(1)
	v_mul_f64 v[169:170], v[2:3], v[28:29]
	v_mul_f64 v[28:29], v[4:5], v[28:29]
	s_waitcnt vmcnt(9) lgkmcnt(0)
	v_mul_f64 v[82:83], v[56:57], v[32:33]
	v_mul_f64 v[32:33], v[58:59], v[32:33]
	v_add_f64 v[60:61], v[60:61], v[167:168]
	v_add_f64 v[62:63], v[62:63], v[165:166]
	v_fma_f64 v[165:166], v[4:5], v[26:27], v[169:170]
	v_fma_f64 v[167:168], v[2:3], v[26:27], -v[28:29]
	ds_load_b128 v[2:5], v1 offset:1344
	scratch_load_b128 v[26:29], off, off offset:528
	v_fma_f64 v[58:59], v[58:59], v[30:31], v[82:83]
	v_fma_f64 v[56:57], v[56:57], v[30:31], -v[32:33]
	scratch_load_b128 v[30:33], off, off offset:544
	v_add_f64 v[60:61], v[60:61], v[38:39]
	v_add_f64 v[62:63], v[62:63], v[40:41]
	ds_load_b128 v[38:41], v1 offset:1360
	s_waitcnt vmcnt(10) lgkmcnt(1)
	v_mul_f64 v[169:170], v[2:3], v[36:37]
	v_mul_f64 v[36:37], v[4:5], v[36:37]
	s_waitcnt vmcnt(8) lgkmcnt(0)
	v_mul_f64 v[82:83], v[38:39], v[54:55]
	v_add_f64 v[60:61], v[60:61], v[167:168]
	v_add_f64 v[62:63], v[62:63], v[165:166]
	v_mul_f64 v[165:166], v[40:41], v[54:55]
	v_fma_f64 v[167:168], v[4:5], v[34:35], v[169:170]
	v_fma_f64 v[169:170], v[2:3], v[34:35], -v[36:37]
	ds_load_b128 v[2:5], v1 offset:1376
	scratch_load_b128 v[34:37], off, off offset:560
	v_fma_f64 v[82:83], v[40:41], v[52:53], v[82:83]
	v_add_f64 v[60:61], v[60:61], v[56:57]
	v_add_f64 v[58:59], v[62:63], v[58:59]
	ds_load_b128 v[54:57], v1 offset:1392
	v_fma_f64 v[52:53], v[38:39], v[52:53], -v[165:166]
	scratch_load_b128 v[38:41], off, off offset:576
	s_waitcnt vmcnt(9) lgkmcnt(1)
	v_mul_f64 v[62:63], v[2:3], v[44:45]
	v_mul_f64 v[44:45], v[4:5], v[44:45]
	s_waitcnt vmcnt(8) lgkmcnt(0)
	v_mul_f64 v[165:166], v[54:55], v[8:9]
	v_mul_f64 v[8:9], v[56:57], v[8:9]
	v_add_f64 v[60:61], v[60:61], v[169:170]
	v_add_f64 v[58:59], v[58:59], v[167:168]
	v_fma_f64 v[62:63], v[4:5], v[42:43], v[62:63]
	v_fma_f64 v[167:168], v[2:3], v[42:43], -v[44:45]
	ds_load_b128 v[2:5], v1 offset:1408
	scratch_load_b128 v[42:45], off, off offset:592
	v_fma_f64 v[56:57], v[56:57], v[6:7], v[165:166]
	v_fma_f64 v[54:55], v[54:55], v[6:7], -v[8:9]
	scratch_load_b128 v[6:9], off, off offset:608
	v_add_f64 v[52:53], v[60:61], v[52:53]
	v_add_f64 v[82:83], v[58:59], v[82:83]
	ds_load_b128 v[58:61], v1 offset:1424
	s_waitcnt vmcnt(9) lgkmcnt(1)
	v_mul_f64 v[169:170], v[2:3], v[12:13]
	v_mul_f64 v[12:13], v[4:5], v[12:13]
	v_add_f64 v[52:53], v[52:53], v[167:168]
	v_add_f64 v[62:63], v[82:83], v[62:63]
	s_waitcnt vmcnt(8) lgkmcnt(0)
	v_mul_f64 v[82:83], v[58:59], v[16:17]
	v_mul_f64 v[16:17], v[60:61], v[16:17]
	v_fma_f64 v[165:166], v[4:5], v[10:11], v[169:170]
	v_fma_f64 v[167:168], v[2:3], v[10:11], -v[12:13]
	ds_load_b128 v[2:5], v1 offset:1440
	scratch_load_b128 v[10:13], off, off offset:624
	v_add_f64 v[169:170], v[52:53], v[54:55]
	v_add_f64 v[56:57], v[62:63], v[56:57]
	ds_load_b128 v[52:55], v1 offset:1456
	s_waitcnt vmcnt(8) lgkmcnt(1)
	v_mul_f64 v[62:63], v[2:3], v[20:21]
	v_mul_f64 v[20:21], v[4:5], v[20:21]
	v_fma_f64 v[60:61], v[60:61], v[14:15], v[82:83]
	v_fma_f64 v[58:59], v[58:59], v[14:15], -v[16:17]
	scratch_load_b128 v[14:17], off, off offset:640
	v_add_f64 v[82:83], v[169:170], v[167:168]
	v_add_f64 v[56:57], v[56:57], v[165:166]
	s_waitcnt vmcnt(8) lgkmcnt(0)
	v_mul_f64 v[165:166], v[52:53], v[24:25]
	v_mul_f64 v[24:25], v[54:55], v[24:25]
	v_fma_f64 v[62:63], v[4:5], v[18:19], v[62:63]
	v_fma_f64 v[167:168], v[2:3], v[18:19], -v[20:21]
	ds_load_b128 v[2:5], v1 offset:1472
	scratch_load_b128 v[18:21], off, off offset:656
	v_add_f64 v[82:83], v[82:83], v[58:59]
	v_add_f64 v[60:61], v[56:57], v[60:61]
	ds_load_b128 v[56:59], v1 offset:1488
	s_waitcnt vmcnt(8) lgkmcnt(1)
	v_mul_f64 v[169:170], v[2:3], v[28:29]
	v_mul_f64 v[28:29], v[4:5], v[28:29]
	v_fma_f64 v[54:55], v[54:55], v[22:23], v[165:166]
	v_fma_f64 v[52:53], v[52:53], v[22:23], -v[24:25]
	scratch_load_b128 v[22:25], off, off offset:672
	;; [unrolled: 18-line block ×4, first 2 shown]
	s_waitcnt vmcnt(8) lgkmcnt(0)
	v_mul_f64 v[82:83], v[56:57], v[8:9]
	v_mul_f64 v[8:9], v[58:59], v[8:9]
	v_add_f64 v[62:63], v[62:63], v[167:168]
	v_add_f64 v[60:61], v[60:61], v[165:166]
	v_fma_f64 v[165:166], v[4:5], v[42:43], v[169:170]
	v_fma_f64 v[167:168], v[2:3], v[42:43], -v[44:45]
	ds_load_b128 v[2:5], v1 offset:1568
	scratch_load_b128 v[42:45], off, off offset:752
	v_fma_f64 v[58:59], v[58:59], v[6:7], v[82:83]
	v_fma_f64 v[56:57], v[56:57], v[6:7], -v[8:9]
	scratch_load_b128 v[6:9], off, off offset:768
	v_add_f64 v[62:63], v[62:63], v[52:53]
	v_add_f64 v[60:61], v[60:61], v[54:55]
	ds_load_b128 v[52:55], v1 offset:1584
	s_waitcnt vmcnt(9) lgkmcnt(1)
	v_mul_f64 v[169:170], v[2:3], v[12:13]
	v_mul_f64 v[12:13], v[4:5], v[12:13]
	s_waitcnt vmcnt(8) lgkmcnt(0)
	v_mul_f64 v[82:83], v[52:53], v[16:17]
	v_mul_f64 v[16:17], v[54:55], v[16:17]
	v_add_f64 v[62:63], v[62:63], v[167:168]
	v_add_f64 v[60:61], v[60:61], v[165:166]
	v_fma_f64 v[165:166], v[4:5], v[10:11], v[169:170]
	v_fma_f64 v[167:168], v[2:3], v[10:11], -v[12:13]
	ds_load_b128 v[2:5], v1 offset:1600
	scratch_load_b128 v[10:13], off, off offset:784
	v_fma_f64 v[54:55], v[54:55], v[14:15], v[82:83]
	v_fma_f64 v[52:53], v[52:53], v[14:15], -v[16:17]
	scratch_load_b128 v[14:17], off, off offset:800
	v_add_f64 v[62:63], v[62:63], v[56:57]
	v_add_f64 v[60:61], v[60:61], v[58:59]
	ds_load_b128 v[56:59], v1 offset:1616
	s_waitcnt vmcnt(9) lgkmcnt(1)
	v_mul_f64 v[169:170], v[2:3], v[20:21]
	v_mul_f64 v[20:21], v[4:5], v[20:21]
	;; [unrolled: 18-line block ×6, first 2 shown]
	s_waitcnt vmcnt(8) lgkmcnt(0)
	v_mul_f64 v[82:83], v[56:57], v[16:17]
	v_mul_f64 v[16:17], v[58:59], v[16:17]
	v_add_f64 v[62:63], v[62:63], v[167:168]
	v_add_f64 v[60:61], v[60:61], v[165:166]
	v_fma_f64 v[165:166], v[4:5], v[10:11], v[169:170]
	v_fma_f64 v[167:168], v[2:3], v[10:11], -v[12:13]
	ds_load_b128 v[2:5], v1 offset:1760
	ds_load_b128 v[10:13], v1 offset:1776
	v_fma_f64 v[58:59], v[58:59], v[14:15], v[82:83]
	v_fma_f64 v[14:15], v[56:57], v[14:15], -v[16:17]
	v_add_f64 v[52:53], v[62:63], v[52:53]
	v_add_f64 v[54:55], v[60:61], v[54:55]
	s_waitcnt vmcnt(7) lgkmcnt(1)
	v_mul_f64 v[60:61], v[2:3], v[20:21]
	v_mul_f64 v[20:21], v[4:5], v[20:21]
	s_delay_alu instid0(VALU_DEP_4) | instskip(NEXT) | instid1(VALU_DEP_4)
	v_add_f64 v[16:17], v[52:53], v[167:168]
	v_add_f64 v[52:53], v[54:55], v[165:166]
	s_waitcnt vmcnt(6) lgkmcnt(0)
	v_mul_f64 v[54:55], v[10:11], v[24:25]
	v_mul_f64 v[24:25], v[12:13], v[24:25]
	v_fma_f64 v[56:57], v[4:5], v[18:19], v[60:61]
	v_fma_f64 v[18:19], v[2:3], v[18:19], -v[20:21]
	v_add_f64 v[20:21], v[16:17], v[14:15]
	v_add_f64 v[52:53], v[52:53], v[58:59]
	ds_load_b128 v[2:5], v1 offset:1792
	ds_load_b128 v[14:17], v1 offset:1808
	v_fma_f64 v[12:13], v[12:13], v[22:23], v[54:55]
	v_fma_f64 v[10:11], v[10:11], v[22:23], -v[24:25]
	s_waitcnt vmcnt(5) lgkmcnt(1)
	v_mul_f64 v[58:59], v[2:3], v[28:29]
	v_mul_f64 v[28:29], v[4:5], v[28:29]
	s_waitcnt vmcnt(4) lgkmcnt(0)
	v_mul_f64 v[22:23], v[14:15], v[32:33]
	v_mul_f64 v[24:25], v[16:17], v[32:33]
	v_add_f64 v[18:19], v[20:21], v[18:19]
	v_add_f64 v[20:21], v[52:53], v[56:57]
	v_fma_f64 v[32:33], v[4:5], v[26:27], v[58:59]
	v_fma_f64 v[26:27], v[2:3], v[26:27], -v[28:29]
	v_fma_f64 v[16:17], v[16:17], v[30:31], v[22:23]
	v_fma_f64 v[14:15], v[14:15], v[30:31], -v[24:25]
	v_add_f64 v[18:19], v[18:19], v[10:11]
	v_add_f64 v[20:21], v[20:21], v[12:13]
	ds_load_b128 v[2:5], v1 offset:1824
	ds_load_b128 v[10:13], v1 offset:1840
	s_waitcnt vmcnt(3) lgkmcnt(1)
	v_mul_f64 v[28:29], v[2:3], v[36:37]
	v_mul_f64 v[36:37], v[4:5], v[36:37]
	s_waitcnt vmcnt(2) lgkmcnt(0)
	v_mul_f64 v[22:23], v[10:11], v[40:41]
	v_mul_f64 v[24:25], v[12:13], v[40:41]
	v_add_f64 v[18:19], v[18:19], v[26:27]
	v_add_f64 v[20:21], v[20:21], v[32:33]
	v_fma_f64 v[26:27], v[4:5], v[34:35], v[28:29]
	v_fma_f64 v[28:29], v[2:3], v[34:35], -v[36:37]
	v_fma_f64 v[12:13], v[12:13], v[38:39], v[22:23]
	v_fma_f64 v[10:11], v[10:11], v[38:39], -v[24:25]
	v_add_f64 v[18:19], v[18:19], v[14:15]
	v_add_f64 v[20:21], v[20:21], v[16:17]
	ds_load_b128 v[2:5], v1 offset:1856
	ds_load_b128 v[14:17], v1 offset:1872
	s_waitcnt vmcnt(1) lgkmcnt(1)
	v_mul_f64 v[30:31], v[2:3], v[44:45]
	v_mul_f64 v[32:33], v[4:5], v[44:45]
	s_waitcnt vmcnt(0) lgkmcnt(0)
	v_mul_f64 v[22:23], v[14:15], v[8:9]
	v_mul_f64 v[8:9], v[16:17], v[8:9]
	v_add_f64 v[18:19], v[18:19], v[28:29]
	v_add_f64 v[20:21], v[20:21], v[26:27]
	v_fma_f64 v[4:5], v[4:5], v[42:43], v[30:31]
	v_fma_f64 v[1:2], v[2:3], v[42:43], -v[32:33]
	v_fma_f64 v[16:17], v[16:17], v[6:7], v[22:23]
	v_fma_f64 v[6:7], v[14:15], v[6:7], -v[8:9]
	v_add_f64 v[10:11], v[18:19], v[10:11]
	v_add_f64 v[12:13], v[20:21], v[12:13]
	s_delay_alu instid0(VALU_DEP_2) | instskip(NEXT) | instid1(VALU_DEP_2)
	v_add_f64 v[1:2], v[10:11], v[1:2]
	v_add_f64 v[3:4], v[12:13], v[4:5]
	s_delay_alu instid0(VALU_DEP_2) | instskip(NEXT) | instid1(VALU_DEP_2)
	;; [unrolled: 3-line block ×3, first 2 shown]
	v_add_f64 v[1:2], v[48:49], -v[1:2]
	v_add_f64 v[3:4], v[50:51], -v[3:4]
	scratch_store_b128 off, v[1:4], off offset:256
	v_cmpx_lt_u32_e32 15, v164
	s_cbranch_execz .LBB122_337
; %bb.336:
	scratch_load_b32 v1, off, off offset:1020 ; 4-byte Folded Reload
	v_mov_b32_e32 v5, 0
	s_delay_alu instid0(VALU_DEP_1)
	v_mov_b32_e32 v6, v5
	v_mov_b32_e32 v7, v5
	;; [unrolled: 1-line block ×3, first 2 shown]
	s_waitcnt vmcnt(0)
	scratch_load_b128 v[1:4], v1, off
	scratch_store_b128 off, v[5:8], off offset:240
	s_waitcnt vmcnt(0)
	ds_store_b128 v223, v[1:4]
.LBB122_337:
	s_or_b32 exec_lo, exec_lo, s2
	s_waitcnt lgkmcnt(0)
	s_waitcnt_vscnt null, 0x0
	s_barrier
	buffer_gl0_inv
	s_clause 0x7
	scratch_load_b128 v[2:5], off, off offset:256
	scratch_load_b128 v[6:9], off, off offset:272
	;; [unrolled: 1-line block ×8, first 2 shown]
	v_mov_b32_e32 v1, 0
	s_mov_b32 s2, exec_lo
	ds_load_b128 v[38:41], v1 offset:1200
	s_clause 0x1
	scratch_load_b128 v[34:37], off, off offset:384
	scratch_load_b128 v[42:45], off, off offset:240
	ds_load_b128 v[48:51], v1 offset:1216
	scratch_load_b128 v[52:55], off, off offset:400
	s_waitcnt vmcnt(10) lgkmcnt(1)
	v_mul_f64 v[56:57], v[40:41], v[4:5]
	v_mul_f64 v[4:5], v[38:39], v[4:5]
	s_delay_alu instid0(VALU_DEP_2) | instskip(NEXT) | instid1(VALU_DEP_2)
	v_fma_f64 v[62:63], v[38:39], v[2:3], -v[56:57]
	v_fma_f64 v[82:83], v[40:41], v[2:3], v[4:5]
	scratch_load_b128 v[38:41], off, off offset:416
	ds_load_b128 v[2:5], v1 offset:1232
	s_waitcnt vmcnt(10) lgkmcnt(1)
	v_mul_f64 v[60:61], v[48:49], v[8:9]
	v_mul_f64 v[8:9], v[50:51], v[8:9]
	ds_load_b128 v[56:59], v1 offset:1248
	s_waitcnt vmcnt(9) lgkmcnt(1)
	v_mul_f64 v[165:166], v[2:3], v[12:13]
	v_mul_f64 v[12:13], v[4:5], v[12:13]
	v_fma_f64 v[50:51], v[50:51], v[6:7], v[60:61]
	v_fma_f64 v[48:49], v[48:49], v[6:7], -v[8:9]
	v_add_f64 v[60:61], v[62:63], 0
	v_add_f64 v[62:63], v[82:83], 0
	scratch_load_b128 v[6:9], off, off offset:432
	v_fma_f64 v[165:166], v[4:5], v[10:11], v[165:166]
	v_fma_f64 v[167:168], v[2:3], v[10:11], -v[12:13]
	scratch_load_b128 v[10:13], off, off offset:448
	ds_load_b128 v[2:5], v1 offset:1264
	s_waitcnt vmcnt(10) lgkmcnt(1)
	v_mul_f64 v[82:83], v[56:57], v[16:17]
	v_mul_f64 v[16:17], v[58:59], v[16:17]
	v_add_f64 v[60:61], v[60:61], v[48:49]
	v_add_f64 v[62:63], v[62:63], v[50:51]
	s_waitcnt vmcnt(9) lgkmcnt(0)
	v_mul_f64 v[169:170], v[2:3], v[20:21]
	v_mul_f64 v[20:21], v[4:5], v[20:21]
	ds_load_b128 v[48:51], v1 offset:1280
	v_fma_f64 v[58:59], v[58:59], v[14:15], v[82:83]
	v_fma_f64 v[56:57], v[56:57], v[14:15], -v[16:17]
	scratch_load_b128 v[14:17], off, off offset:464
	v_add_f64 v[60:61], v[60:61], v[167:168]
	v_add_f64 v[62:63], v[62:63], v[165:166]
	v_fma_f64 v[165:166], v[4:5], v[18:19], v[169:170]
	v_fma_f64 v[167:168], v[2:3], v[18:19], -v[20:21]
	scratch_load_b128 v[18:21], off, off offset:480
	ds_load_b128 v[2:5], v1 offset:1296
	s_waitcnt vmcnt(10) lgkmcnt(1)
	v_mul_f64 v[82:83], v[48:49], v[24:25]
	v_mul_f64 v[24:25], v[50:51], v[24:25]
	s_waitcnt vmcnt(9) lgkmcnt(0)
	v_mul_f64 v[169:170], v[2:3], v[28:29]
	v_mul_f64 v[28:29], v[4:5], v[28:29]
	v_add_f64 v[60:61], v[60:61], v[56:57]
	v_add_f64 v[62:63], v[62:63], v[58:59]
	ds_load_b128 v[56:59], v1 offset:1312
	v_fma_f64 v[50:51], v[50:51], v[22:23], v[82:83]
	v_fma_f64 v[48:49], v[48:49], v[22:23], -v[24:25]
	scratch_load_b128 v[22:25], off, off offset:496
	v_add_f64 v[60:61], v[60:61], v[167:168]
	v_add_f64 v[62:63], v[62:63], v[165:166]
	v_fma_f64 v[165:166], v[4:5], v[26:27], v[169:170]
	v_fma_f64 v[167:168], v[2:3], v[26:27], -v[28:29]
	scratch_load_b128 v[26:29], off, off offset:512
	ds_load_b128 v[2:5], v1 offset:1328
	s_waitcnt vmcnt(10) lgkmcnt(1)
	v_mul_f64 v[82:83], v[56:57], v[32:33]
	v_mul_f64 v[32:33], v[58:59], v[32:33]
	s_waitcnt vmcnt(9) lgkmcnt(0)
	v_mul_f64 v[169:170], v[2:3], v[36:37]
	v_mul_f64 v[36:37], v[4:5], v[36:37]
	v_add_f64 v[60:61], v[60:61], v[48:49]
	v_add_f64 v[62:63], v[62:63], v[50:51]
	ds_load_b128 v[48:51], v1 offset:1344
	v_fma_f64 v[58:59], v[58:59], v[30:31], v[82:83]
	v_fma_f64 v[56:57], v[56:57], v[30:31], -v[32:33]
	scratch_load_b128 v[30:33], off, off offset:528
	v_add_f64 v[60:61], v[60:61], v[167:168]
	v_add_f64 v[62:63], v[62:63], v[165:166]
	v_fma_f64 v[167:168], v[4:5], v[34:35], v[169:170]
	v_fma_f64 v[169:170], v[2:3], v[34:35], -v[36:37]
	scratch_load_b128 v[34:37], off, off offset:544
	ds_load_b128 v[2:5], v1 offset:1360
	s_waitcnt vmcnt(9) lgkmcnt(1)
	v_mul_f64 v[82:83], v[48:49], v[54:55]
	v_mul_f64 v[165:166], v[50:51], v[54:55]
	v_add_f64 v[60:61], v[60:61], v[56:57]
	v_add_f64 v[58:59], v[62:63], v[58:59]
	ds_load_b128 v[54:57], v1 offset:1376
	v_fma_f64 v[82:83], v[50:51], v[52:53], v[82:83]
	v_fma_f64 v[52:53], v[48:49], v[52:53], -v[165:166]
	scratch_load_b128 v[48:51], off, off offset:560
	s_waitcnt vmcnt(9) lgkmcnt(1)
	v_mul_f64 v[62:63], v[2:3], v[40:41]
	v_mul_f64 v[40:41], v[4:5], v[40:41]
	v_add_f64 v[60:61], v[60:61], v[169:170]
	v_add_f64 v[58:59], v[58:59], v[167:168]
	s_delay_alu instid0(VALU_DEP_4) | instskip(NEXT) | instid1(VALU_DEP_4)
	v_fma_f64 v[62:63], v[4:5], v[38:39], v[62:63]
	v_fma_f64 v[167:168], v[2:3], v[38:39], -v[40:41]
	scratch_load_b128 v[38:41], off, off offset:576
	ds_load_b128 v[2:5], v1 offset:1392
	s_waitcnt vmcnt(9) lgkmcnt(1)
	v_mul_f64 v[165:166], v[54:55], v[8:9]
	v_mul_f64 v[8:9], v[56:57], v[8:9]
	s_waitcnt vmcnt(8) lgkmcnt(0)
	v_mul_f64 v[169:170], v[2:3], v[12:13]
	v_mul_f64 v[12:13], v[4:5], v[12:13]
	v_add_f64 v[52:53], v[60:61], v[52:53]
	v_add_f64 v[82:83], v[58:59], v[82:83]
	ds_load_b128 v[58:61], v1 offset:1408
	v_fma_f64 v[56:57], v[56:57], v[6:7], v[165:166]
	v_fma_f64 v[54:55], v[54:55], v[6:7], -v[8:9]
	scratch_load_b128 v[6:9], off, off offset:592
	v_fma_f64 v[165:166], v[4:5], v[10:11], v[169:170]
	v_add_f64 v[52:53], v[52:53], v[167:168]
	v_add_f64 v[62:63], v[82:83], v[62:63]
	v_fma_f64 v[167:168], v[2:3], v[10:11], -v[12:13]
	scratch_load_b128 v[10:13], off, off offset:608
	ds_load_b128 v[2:5], v1 offset:1424
	s_waitcnt vmcnt(9) lgkmcnt(1)
	v_mul_f64 v[82:83], v[58:59], v[16:17]
	v_mul_f64 v[16:17], v[60:61], v[16:17]
	v_add_f64 v[169:170], v[52:53], v[54:55]
	v_add_f64 v[56:57], v[62:63], v[56:57]
	s_waitcnt vmcnt(8) lgkmcnt(0)
	v_mul_f64 v[62:63], v[2:3], v[20:21]
	v_mul_f64 v[20:21], v[4:5], v[20:21]
	ds_load_b128 v[52:55], v1 offset:1440
	v_fma_f64 v[60:61], v[60:61], v[14:15], v[82:83]
	v_fma_f64 v[58:59], v[58:59], v[14:15], -v[16:17]
	scratch_load_b128 v[14:17], off, off offset:624
	v_add_f64 v[82:83], v[169:170], v[167:168]
	v_add_f64 v[56:57], v[56:57], v[165:166]
	v_fma_f64 v[62:63], v[4:5], v[18:19], v[62:63]
	v_fma_f64 v[167:168], v[2:3], v[18:19], -v[20:21]
	scratch_load_b128 v[18:21], off, off offset:640
	ds_load_b128 v[2:5], v1 offset:1456
	s_waitcnt vmcnt(9) lgkmcnt(1)
	v_mul_f64 v[165:166], v[52:53], v[24:25]
	v_mul_f64 v[24:25], v[54:55], v[24:25]
	s_waitcnt vmcnt(8) lgkmcnt(0)
	v_mul_f64 v[169:170], v[2:3], v[28:29]
	v_mul_f64 v[28:29], v[4:5], v[28:29]
	v_add_f64 v[82:83], v[82:83], v[58:59]
	v_add_f64 v[60:61], v[56:57], v[60:61]
	ds_load_b128 v[56:59], v1 offset:1472
	v_fma_f64 v[54:55], v[54:55], v[22:23], v[165:166]
	v_fma_f64 v[52:53], v[52:53], v[22:23], -v[24:25]
	scratch_load_b128 v[22:25], off, off offset:656
	v_fma_f64 v[165:166], v[4:5], v[26:27], v[169:170]
	v_add_f64 v[82:83], v[82:83], v[167:168]
	v_add_f64 v[60:61], v[60:61], v[62:63]
	v_fma_f64 v[167:168], v[2:3], v[26:27], -v[28:29]
	scratch_load_b128 v[26:29], off, off offset:672
	ds_load_b128 v[2:5], v1 offset:1488
	s_waitcnt vmcnt(9) lgkmcnt(1)
	v_mul_f64 v[62:63], v[56:57], v[32:33]
	v_mul_f64 v[32:33], v[58:59], v[32:33]
	s_waitcnt vmcnt(8) lgkmcnt(0)
	v_mul_f64 v[169:170], v[2:3], v[36:37]
	v_mul_f64 v[36:37], v[4:5], v[36:37]
	v_add_f64 v[82:83], v[82:83], v[52:53]
	v_add_f64 v[60:61], v[60:61], v[54:55]
	ds_load_b128 v[52:55], v1 offset:1504
	v_fma_f64 v[58:59], v[58:59], v[30:31], v[62:63]
	v_fma_f64 v[56:57], v[56:57], v[30:31], -v[32:33]
	scratch_load_b128 v[30:33], off, off offset:688
	v_add_f64 v[62:63], v[82:83], v[167:168]
	v_add_f64 v[60:61], v[60:61], v[165:166]
	v_fma_f64 v[165:166], v[4:5], v[34:35], v[169:170]
	v_fma_f64 v[167:168], v[2:3], v[34:35], -v[36:37]
	scratch_load_b128 v[34:37], off, off offset:704
	ds_load_b128 v[2:5], v1 offset:1520
	s_waitcnt vmcnt(9) lgkmcnt(1)
	v_mul_f64 v[82:83], v[52:53], v[50:51]
	v_mul_f64 v[50:51], v[54:55], v[50:51]
	s_waitcnt vmcnt(8) lgkmcnt(0)
	v_mul_f64 v[169:170], v[2:3], v[40:41]
	v_mul_f64 v[40:41], v[4:5], v[40:41]
	v_add_f64 v[62:63], v[62:63], v[56:57]
	v_add_f64 v[60:61], v[60:61], v[58:59]
	ds_load_b128 v[56:59], v1 offset:1536
	v_fma_f64 v[54:55], v[54:55], v[48:49], v[82:83]
	v_fma_f64 v[52:53], v[52:53], v[48:49], -v[50:51]
	scratch_load_b128 v[48:51], off, off offset:720
	v_add_f64 v[62:63], v[62:63], v[167:168]
	v_add_f64 v[60:61], v[60:61], v[165:166]
	v_fma_f64 v[165:166], v[4:5], v[38:39], v[169:170]
	;; [unrolled: 18-line block ×6, first 2 shown]
	v_fma_f64 v[169:170], v[2:3], v[34:35], -v[36:37]
	scratch_load_b128 v[34:37], off, off offset:864
	ds_load_b128 v[2:5], v1 offset:1680
	s_waitcnt vmcnt(9) lgkmcnt(1)
	v_mul_f64 v[82:83], v[56:57], v[50:51]
	v_mul_f64 v[165:166], v[58:59], v[50:51]
	v_add_f64 v[62:63], v[62:63], v[52:53]
	v_add_f64 v[54:55], v[60:61], v[54:55]
	s_waitcnt vmcnt(8) lgkmcnt(0)
	v_mul_f64 v[60:61], v[2:3], v[40:41]
	v_mul_f64 v[40:41], v[4:5], v[40:41]
	ds_load_b128 v[50:53], v1 offset:1696
	v_fma_f64 v[58:59], v[58:59], v[48:49], v[82:83]
	v_fma_f64 v[48:49], v[56:57], v[48:49], -v[165:166]
	v_add_f64 v[62:63], v[62:63], v[169:170]
	v_add_f64 v[82:83], v[54:55], v[167:168]
	scratch_load_b128 v[54:57], off, off offset:880
	v_fma_f64 v[167:168], v[4:5], v[38:39], v[60:61]
	v_fma_f64 v[169:170], v[2:3], v[38:39], -v[40:41]
	scratch_load_b128 v[38:41], off, off offset:896
	ds_load_b128 v[2:5], v1 offset:1712
	s_waitcnt vmcnt(9) lgkmcnt(1)
	v_mul_f64 v[165:166], v[50:51], v[8:9]
	v_mul_f64 v[8:9], v[52:53], v[8:9]
	v_add_f64 v[48:49], v[62:63], v[48:49]
	v_add_f64 v[62:63], v[82:83], v[58:59]
	s_waitcnt vmcnt(8) lgkmcnt(0)
	v_mul_f64 v[82:83], v[2:3], v[12:13]
	v_mul_f64 v[12:13], v[4:5], v[12:13]
	ds_load_b128 v[58:61], v1 offset:1728
	v_fma_f64 v[52:53], v[52:53], v[6:7], v[165:166]
	v_fma_f64 v[50:51], v[50:51], v[6:7], -v[8:9]
	scratch_load_b128 v[6:9], off, off offset:912
	v_add_f64 v[48:49], v[48:49], v[169:170]
	v_add_f64 v[62:63], v[62:63], v[167:168]
	v_fma_f64 v[82:83], v[4:5], v[10:11], v[82:83]
	v_fma_f64 v[167:168], v[2:3], v[10:11], -v[12:13]
	scratch_load_b128 v[10:13], off, off offset:928
	ds_load_b128 v[2:5], v1 offset:1744
	s_waitcnt vmcnt(9) lgkmcnt(1)
	v_mul_f64 v[165:166], v[58:59], v[16:17]
	v_mul_f64 v[16:17], v[60:61], v[16:17]
	v_add_f64 v[169:170], v[48:49], v[50:51]
	v_add_f64 v[52:53], v[62:63], v[52:53]
	s_waitcnt vmcnt(8) lgkmcnt(0)
	v_mul_f64 v[62:63], v[2:3], v[20:21]
	v_mul_f64 v[20:21], v[4:5], v[20:21]
	ds_load_b128 v[48:51], v1 offset:1760
	v_fma_f64 v[60:61], v[60:61], v[14:15], v[165:166]
	v_fma_f64 v[14:15], v[58:59], v[14:15], -v[16:17]
	s_waitcnt vmcnt(7) lgkmcnt(0)
	v_mul_f64 v[58:59], v[48:49], v[24:25]
	v_mul_f64 v[24:25], v[50:51], v[24:25]
	v_add_f64 v[16:17], v[169:170], v[167:168]
	v_add_f64 v[52:53], v[52:53], v[82:83]
	v_fma_f64 v[62:63], v[4:5], v[18:19], v[62:63]
	v_fma_f64 v[18:19], v[2:3], v[18:19], -v[20:21]
	v_fma_f64 v[50:51], v[50:51], v[22:23], v[58:59]
	v_fma_f64 v[22:23], v[48:49], v[22:23], -v[24:25]
	v_add_f64 v[20:21], v[16:17], v[14:15]
	v_add_f64 v[52:53], v[52:53], v[60:61]
	ds_load_b128 v[2:5], v1 offset:1776
	ds_load_b128 v[14:17], v1 offset:1792
	s_waitcnt vmcnt(6) lgkmcnt(1)
	v_mul_f64 v[60:61], v[2:3], v[28:29]
	v_mul_f64 v[28:29], v[4:5], v[28:29]
	s_waitcnt vmcnt(5) lgkmcnt(0)
	v_mul_f64 v[24:25], v[14:15], v[32:33]
	v_mul_f64 v[32:33], v[16:17], v[32:33]
	v_add_f64 v[18:19], v[20:21], v[18:19]
	v_add_f64 v[20:21], v[52:53], v[62:63]
	v_fma_f64 v[48:49], v[4:5], v[26:27], v[60:61]
	v_fma_f64 v[26:27], v[2:3], v[26:27], -v[28:29]
	v_fma_f64 v[16:17], v[16:17], v[30:31], v[24:25]
	v_fma_f64 v[14:15], v[14:15], v[30:31], -v[32:33]
	v_add_f64 v[22:23], v[18:19], v[22:23]
	v_add_f64 v[28:29], v[20:21], v[50:51]
	ds_load_b128 v[2:5], v1 offset:1808
	ds_load_b128 v[18:21], v1 offset:1824
	s_waitcnt vmcnt(4) lgkmcnt(1)
	v_mul_f64 v[50:51], v[2:3], v[36:37]
	v_mul_f64 v[36:37], v[4:5], v[36:37]
	v_add_f64 v[22:23], v[22:23], v[26:27]
	v_add_f64 v[24:25], v[28:29], v[48:49]
	s_waitcnt vmcnt(3) lgkmcnt(0)
	v_mul_f64 v[26:27], v[18:19], v[56:57]
	v_mul_f64 v[28:29], v[20:21], v[56:57]
	v_fma_f64 v[30:31], v[4:5], v[34:35], v[50:51]
	v_fma_f64 v[32:33], v[2:3], v[34:35], -v[36:37]
	v_add_f64 v[22:23], v[22:23], v[14:15]
	v_add_f64 v[24:25], v[24:25], v[16:17]
	ds_load_b128 v[2:5], v1 offset:1840
	ds_load_b128 v[14:17], v1 offset:1856
	v_fma_f64 v[20:21], v[20:21], v[54:55], v[26:27]
	v_fma_f64 v[18:19], v[18:19], v[54:55], -v[28:29]
	s_waitcnt vmcnt(2) lgkmcnt(1)
	v_mul_f64 v[34:35], v[2:3], v[40:41]
	v_mul_f64 v[36:37], v[4:5], v[40:41]
	s_waitcnt vmcnt(1) lgkmcnt(0)
	v_mul_f64 v[26:27], v[14:15], v[8:9]
	v_mul_f64 v[8:9], v[16:17], v[8:9]
	v_add_f64 v[22:23], v[22:23], v[32:33]
	v_add_f64 v[24:25], v[24:25], v[30:31]
	v_fma_f64 v[28:29], v[4:5], v[38:39], v[34:35]
	v_fma_f64 v[30:31], v[2:3], v[38:39], -v[36:37]
	ds_load_b128 v[2:5], v1 offset:1872
	v_fma_f64 v[16:17], v[16:17], v[6:7], v[26:27]
	v_fma_f64 v[6:7], v[14:15], v[6:7], -v[8:9]
	v_add_f64 v[18:19], v[22:23], v[18:19]
	v_add_f64 v[20:21], v[24:25], v[20:21]
	s_waitcnt vmcnt(0) lgkmcnt(0)
	v_mul_f64 v[22:23], v[2:3], v[12:13]
	v_mul_f64 v[12:13], v[4:5], v[12:13]
	s_delay_alu instid0(VALU_DEP_4) | instskip(NEXT) | instid1(VALU_DEP_4)
	v_add_f64 v[8:9], v[18:19], v[30:31]
	v_add_f64 v[14:15], v[20:21], v[28:29]
	s_delay_alu instid0(VALU_DEP_4) | instskip(NEXT) | instid1(VALU_DEP_4)
	v_fma_f64 v[4:5], v[4:5], v[10:11], v[22:23]
	v_fma_f64 v[2:3], v[2:3], v[10:11], -v[12:13]
	s_delay_alu instid0(VALU_DEP_4) | instskip(NEXT) | instid1(VALU_DEP_4)
	v_add_f64 v[6:7], v[8:9], v[6:7]
	v_add_f64 v[8:9], v[14:15], v[16:17]
	s_delay_alu instid0(VALU_DEP_2) | instskip(NEXT) | instid1(VALU_DEP_2)
	v_add_f64 v[2:3], v[6:7], v[2:3]
	v_add_f64 v[4:5], v[8:9], v[4:5]
	s_delay_alu instid0(VALU_DEP_2) | instskip(NEXT) | instid1(VALU_DEP_2)
	v_add_f64 v[2:3], v[42:43], -v[2:3]
	v_add_f64 v[4:5], v[44:45], -v[4:5]
	scratch_store_b128 off, v[2:5], off offset:240
	v_cmpx_lt_u32_e32 14, v164
	s_cbranch_execz .LBB122_339
; %bb.338:
	scratch_load_b128 v[5:8], v209, off
	v_mov_b32_e32 v2, v1
	v_mov_b32_e32 v3, v1
	v_mov_b32_e32 v4, v1
	scratch_store_b128 off, v[1:4], off offset:224
	s_waitcnt vmcnt(0)
	ds_store_b128 v223, v[5:8]
.LBB122_339:
	s_or_b32 exec_lo, exec_lo, s2
	s_waitcnt lgkmcnt(0)
	s_waitcnt_vscnt null, 0x0
	s_barrier
	buffer_gl0_inv
	s_clause 0x8
	scratch_load_b128 v[2:5], off, off offset:240
	scratch_load_b128 v[6:9], off, off offset:256
	;; [unrolled: 1-line block ×9, first 2 shown]
	ds_load_b128 v[42:45], v1 offset:1184
	ds_load_b128 v[38:41], v1 offset:1200
	s_clause 0x1
	scratch_load_b128 v[48:51], off, off offset:224
	scratch_load_b128 v[52:55], off, off offset:384
	s_mov_b32 s2, exec_lo
	s_waitcnt vmcnt(10) lgkmcnt(1)
	v_mul_f64 v[56:57], v[44:45], v[4:5]
	v_mul_f64 v[4:5], v[42:43], v[4:5]
	s_waitcnt vmcnt(9) lgkmcnt(0)
	v_mul_f64 v[60:61], v[38:39], v[8:9]
	v_mul_f64 v[8:9], v[40:41], v[8:9]
	s_delay_alu instid0(VALU_DEP_4) | instskip(NEXT) | instid1(VALU_DEP_4)
	v_fma_f64 v[62:63], v[42:43], v[2:3], -v[56:57]
	v_fma_f64 v[82:83], v[44:45], v[2:3], v[4:5]
	ds_load_b128 v[2:5], v1 offset:1216
	ds_load_b128 v[56:59], v1 offset:1232
	scratch_load_b128 v[42:45], off, off offset:400
	v_fma_f64 v[40:41], v[40:41], v[6:7], v[60:61]
	v_fma_f64 v[38:39], v[38:39], v[6:7], -v[8:9]
	scratch_load_b128 v[6:9], off, off offset:416
	s_waitcnt vmcnt(10) lgkmcnt(1)
	v_mul_f64 v[165:166], v[2:3], v[12:13]
	v_mul_f64 v[12:13], v[4:5], v[12:13]
	v_add_f64 v[60:61], v[62:63], 0
	v_add_f64 v[62:63], v[82:83], 0
	s_waitcnt vmcnt(9) lgkmcnt(0)
	v_mul_f64 v[82:83], v[56:57], v[16:17]
	v_mul_f64 v[16:17], v[58:59], v[16:17]
	v_fma_f64 v[165:166], v[4:5], v[10:11], v[165:166]
	v_fma_f64 v[167:168], v[2:3], v[10:11], -v[12:13]
	ds_load_b128 v[2:5], v1 offset:1248
	scratch_load_b128 v[10:13], off, off offset:432
	v_add_f64 v[60:61], v[60:61], v[38:39]
	v_add_f64 v[62:63], v[62:63], v[40:41]
	ds_load_b128 v[38:41], v1 offset:1264
	v_fma_f64 v[58:59], v[58:59], v[14:15], v[82:83]
	v_fma_f64 v[56:57], v[56:57], v[14:15], -v[16:17]
	scratch_load_b128 v[14:17], off, off offset:448
	s_waitcnt vmcnt(10) lgkmcnt(1)
	v_mul_f64 v[169:170], v[2:3], v[20:21]
	v_mul_f64 v[20:21], v[4:5], v[20:21]
	s_waitcnt vmcnt(9) lgkmcnt(0)
	v_mul_f64 v[82:83], v[38:39], v[24:25]
	v_mul_f64 v[24:25], v[40:41], v[24:25]
	v_add_f64 v[60:61], v[60:61], v[167:168]
	v_add_f64 v[62:63], v[62:63], v[165:166]
	v_fma_f64 v[165:166], v[4:5], v[18:19], v[169:170]
	v_fma_f64 v[167:168], v[2:3], v[18:19], -v[20:21]
	ds_load_b128 v[2:5], v1 offset:1280
	scratch_load_b128 v[18:21], off, off offset:464
	v_fma_f64 v[40:41], v[40:41], v[22:23], v[82:83]
	v_fma_f64 v[38:39], v[38:39], v[22:23], -v[24:25]
	scratch_load_b128 v[22:25], off, off offset:480
	v_add_f64 v[60:61], v[60:61], v[56:57]
	v_add_f64 v[62:63], v[62:63], v[58:59]
	ds_load_b128 v[56:59], v1 offset:1296
	s_waitcnt vmcnt(10) lgkmcnt(1)
	v_mul_f64 v[169:170], v[2:3], v[28:29]
	v_mul_f64 v[28:29], v[4:5], v[28:29]
	s_waitcnt vmcnt(9) lgkmcnt(0)
	v_mul_f64 v[82:83], v[56:57], v[32:33]
	v_mul_f64 v[32:33], v[58:59], v[32:33]
	v_add_f64 v[60:61], v[60:61], v[167:168]
	v_add_f64 v[62:63], v[62:63], v[165:166]
	v_fma_f64 v[165:166], v[4:5], v[26:27], v[169:170]
	v_fma_f64 v[167:168], v[2:3], v[26:27], -v[28:29]
	ds_load_b128 v[2:5], v1 offset:1312
	scratch_load_b128 v[26:29], off, off offset:496
	v_fma_f64 v[58:59], v[58:59], v[30:31], v[82:83]
	v_fma_f64 v[56:57], v[56:57], v[30:31], -v[32:33]
	scratch_load_b128 v[30:33], off, off offset:512
	v_add_f64 v[60:61], v[60:61], v[38:39]
	v_add_f64 v[62:63], v[62:63], v[40:41]
	ds_load_b128 v[38:41], v1 offset:1328
	s_waitcnt vmcnt(10) lgkmcnt(1)
	v_mul_f64 v[169:170], v[2:3], v[36:37]
	v_mul_f64 v[36:37], v[4:5], v[36:37]
	s_waitcnt vmcnt(8) lgkmcnt(0)
	v_mul_f64 v[82:83], v[38:39], v[54:55]
	v_add_f64 v[60:61], v[60:61], v[167:168]
	v_add_f64 v[62:63], v[62:63], v[165:166]
	v_mul_f64 v[165:166], v[40:41], v[54:55]
	v_fma_f64 v[167:168], v[4:5], v[34:35], v[169:170]
	v_fma_f64 v[169:170], v[2:3], v[34:35], -v[36:37]
	ds_load_b128 v[2:5], v1 offset:1344
	scratch_load_b128 v[34:37], off, off offset:528
	v_fma_f64 v[82:83], v[40:41], v[52:53], v[82:83]
	v_add_f64 v[60:61], v[60:61], v[56:57]
	v_add_f64 v[58:59], v[62:63], v[58:59]
	ds_load_b128 v[54:57], v1 offset:1360
	v_fma_f64 v[52:53], v[38:39], v[52:53], -v[165:166]
	scratch_load_b128 v[38:41], off, off offset:544
	s_waitcnt vmcnt(9) lgkmcnt(1)
	v_mul_f64 v[62:63], v[2:3], v[44:45]
	v_mul_f64 v[44:45], v[4:5], v[44:45]
	s_waitcnt vmcnt(8) lgkmcnt(0)
	v_mul_f64 v[165:166], v[54:55], v[8:9]
	v_mul_f64 v[8:9], v[56:57], v[8:9]
	v_add_f64 v[60:61], v[60:61], v[169:170]
	v_add_f64 v[58:59], v[58:59], v[167:168]
	v_fma_f64 v[62:63], v[4:5], v[42:43], v[62:63]
	v_fma_f64 v[167:168], v[2:3], v[42:43], -v[44:45]
	ds_load_b128 v[2:5], v1 offset:1376
	scratch_load_b128 v[42:45], off, off offset:560
	v_fma_f64 v[56:57], v[56:57], v[6:7], v[165:166]
	v_fma_f64 v[54:55], v[54:55], v[6:7], -v[8:9]
	scratch_load_b128 v[6:9], off, off offset:576
	v_add_f64 v[52:53], v[60:61], v[52:53]
	v_add_f64 v[82:83], v[58:59], v[82:83]
	ds_load_b128 v[58:61], v1 offset:1392
	s_waitcnt vmcnt(9) lgkmcnt(1)
	v_mul_f64 v[169:170], v[2:3], v[12:13]
	v_mul_f64 v[12:13], v[4:5], v[12:13]
	v_add_f64 v[52:53], v[52:53], v[167:168]
	v_add_f64 v[62:63], v[82:83], v[62:63]
	s_waitcnt vmcnt(8) lgkmcnt(0)
	v_mul_f64 v[82:83], v[58:59], v[16:17]
	v_mul_f64 v[16:17], v[60:61], v[16:17]
	v_fma_f64 v[165:166], v[4:5], v[10:11], v[169:170]
	v_fma_f64 v[167:168], v[2:3], v[10:11], -v[12:13]
	ds_load_b128 v[2:5], v1 offset:1408
	scratch_load_b128 v[10:13], off, off offset:592
	v_add_f64 v[169:170], v[52:53], v[54:55]
	v_add_f64 v[56:57], v[62:63], v[56:57]
	ds_load_b128 v[52:55], v1 offset:1424
	s_waitcnt vmcnt(8) lgkmcnt(1)
	v_mul_f64 v[62:63], v[2:3], v[20:21]
	v_mul_f64 v[20:21], v[4:5], v[20:21]
	v_fma_f64 v[60:61], v[60:61], v[14:15], v[82:83]
	v_fma_f64 v[58:59], v[58:59], v[14:15], -v[16:17]
	scratch_load_b128 v[14:17], off, off offset:608
	v_add_f64 v[82:83], v[169:170], v[167:168]
	v_add_f64 v[56:57], v[56:57], v[165:166]
	s_waitcnt vmcnt(8) lgkmcnt(0)
	v_mul_f64 v[165:166], v[52:53], v[24:25]
	v_mul_f64 v[24:25], v[54:55], v[24:25]
	v_fma_f64 v[62:63], v[4:5], v[18:19], v[62:63]
	v_fma_f64 v[167:168], v[2:3], v[18:19], -v[20:21]
	ds_load_b128 v[2:5], v1 offset:1440
	scratch_load_b128 v[18:21], off, off offset:624
	v_add_f64 v[82:83], v[82:83], v[58:59]
	v_add_f64 v[60:61], v[56:57], v[60:61]
	ds_load_b128 v[56:59], v1 offset:1456
	s_waitcnt vmcnt(8) lgkmcnt(1)
	v_mul_f64 v[169:170], v[2:3], v[28:29]
	v_mul_f64 v[28:29], v[4:5], v[28:29]
	v_fma_f64 v[54:55], v[54:55], v[22:23], v[165:166]
	v_fma_f64 v[52:53], v[52:53], v[22:23], -v[24:25]
	scratch_load_b128 v[22:25], off, off offset:640
	;; [unrolled: 18-line block ×4, first 2 shown]
	s_waitcnt vmcnt(8) lgkmcnt(0)
	v_mul_f64 v[82:83], v[56:57], v[8:9]
	v_mul_f64 v[8:9], v[58:59], v[8:9]
	v_add_f64 v[62:63], v[62:63], v[167:168]
	v_add_f64 v[60:61], v[60:61], v[165:166]
	v_fma_f64 v[165:166], v[4:5], v[42:43], v[169:170]
	v_fma_f64 v[167:168], v[2:3], v[42:43], -v[44:45]
	ds_load_b128 v[2:5], v1 offset:1536
	scratch_load_b128 v[42:45], off, off offset:720
	v_fma_f64 v[58:59], v[58:59], v[6:7], v[82:83]
	v_fma_f64 v[56:57], v[56:57], v[6:7], -v[8:9]
	scratch_load_b128 v[6:9], off, off offset:736
	v_add_f64 v[62:63], v[62:63], v[52:53]
	v_add_f64 v[60:61], v[60:61], v[54:55]
	ds_load_b128 v[52:55], v1 offset:1552
	s_waitcnt vmcnt(9) lgkmcnt(1)
	v_mul_f64 v[169:170], v[2:3], v[12:13]
	v_mul_f64 v[12:13], v[4:5], v[12:13]
	s_waitcnt vmcnt(8) lgkmcnt(0)
	v_mul_f64 v[82:83], v[52:53], v[16:17]
	v_mul_f64 v[16:17], v[54:55], v[16:17]
	v_add_f64 v[62:63], v[62:63], v[167:168]
	v_add_f64 v[60:61], v[60:61], v[165:166]
	v_fma_f64 v[165:166], v[4:5], v[10:11], v[169:170]
	v_fma_f64 v[167:168], v[2:3], v[10:11], -v[12:13]
	ds_load_b128 v[2:5], v1 offset:1568
	scratch_load_b128 v[10:13], off, off offset:752
	v_fma_f64 v[54:55], v[54:55], v[14:15], v[82:83]
	v_fma_f64 v[52:53], v[52:53], v[14:15], -v[16:17]
	scratch_load_b128 v[14:17], off, off offset:768
	v_add_f64 v[62:63], v[62:63], v[56:57]
	v_add_f64 v[60:61], v[60:61], v[58:59]
	ds_load_b128 v[56:59], v1 offset:1584
	s_waitcnt vmcnt(9) lgkmcnt(1)
	v_mul_f64 v[169:170], v[2:3], v[20:21]
	v_mul_f64 v[20:21], v[4:5], v[20:21]
	;; [unrolled: 18-line block ×7, first 2 shown]
	s_waitcnt vmcnt(8) lgkmcnt(0)
	v_mul_f64 v[82:83], v[52:53], v[24:25]
	v_mul_f64 v[24:25], v[54:55], v[24:25]
	v_add_f64 v[62:63], v[62:63], v[167:168]
	v_add_f64 v[60:61], v[60:61], v[165:166]
	v_fma_f64 v[165:166], v[4:5], v[18:19], v[169:170]
	v_fma_f64 v[167:168], v[2:3], v[18:19], -v[20:21]
	ds_load_b128 v[2:5], v1 offset:1760
	ds_load_b128 v[18:21], v1 offset:1776
	v_fma_f64 v[54:55], v[54:55], v[22:23], v[82:83]
	v_fma_f64 v[22:23], v[52:53], v[22:23], -v[24:25]
	v_add_f64 v[56:57], v[62:63], v[56:57]
	v_add_f64 v[58:59], v[60:61], v[58:59]
	s_waitcnt vmcnt(7) lgkmcnt(1)
	v_mul_f64 v[60:61], v[2:3], v[28:29]
	v_mul_f64 v[28:29], v[4:5], v[28:29]
	s_delay_alu instid0(VALU_DEP_4) | instskip(NEXT) | instid1(VALU_DEP_4)
	v_add_f64 v[24:25], v[56:57], v[167:168]
	v_add_f64 v[52:53], v[58:59], v[165:166]
	s_waitcnt vmcnt(6) lgkmcnt(0)
	v_mul_f64 v[56:57], v[18:19], v[32:33]
	v_mul_f64 v[32:33], v[20:21], v[32:33]
	v_fma_f64 v[58:59], v[4:5], v[26:27], v[60:61]
	v_fma_f64 v[26:27], v[2:3], v[26:27], -v[28:29]
	v_add_f64 v[28:29], v[24:25], v[22:23]
	v_add_f64 v[52:53], v[52:53], v[54:55]
	ds_load_b128 v[2:5], v1 offset:1792
	ds_load_b128 v[22:25], v1 offset:1808
	v_fma_f64 v[20:21], v[20:21], v[30:31], v[56:57]
	v_fma_f64 v[18:19], v[18:19], v[30:31], -v[32:33]
	s_waitcnt vmcnt(5) lgkmcnt(1)
	v_mul_f64 v[54:55], v[2:3], v[36:37]
	v_mul_f64 v[36:37], v[4:5], v[36:37]
	s_waitcnt vmcnt(4) lgkmcnt(0)
	v_mul_f64 v[30:31], v[22:23], v[40:41]
	v_mul_f64 v[32:33], v[24:25], v[40:41]
	v_add_f64 v[26:27], v[28:29], v[26:27]
	v_add_f64 v[28:29], v[52:53], v[58:59]
	v_fma_f64 v[40:41], v[4:5], v[34:35], v[54:55]
	v_fma_f64 v[34:35], v[2:3], v[34:35], -v[36:37]
	v_fma_f64 v[24:25], v[24:25], v[38:39], v[30:31]
	v_fma_f64 v[22:23], v[22:23], v[38:39], -v[32:33]
	v_add_f64 v[26:27], v[26:27], v[18:19]
	v_add_f64 v[28:29], v[28:29], v[20:21]
	ds_load_b128 v[2:5], v1 offset:1824
	ds_load_b128 v[18:21], v1 offset:1840
	s_waitcnt vmcnt(3) lgkmcnt(1)
	v_mul_f64 v[36:37], v[2:3], v[44:45]
	v_mul_f64 v[44:45], v[4:5], v[44:45]
	s_waitcnt vmcnt(2) lgkmcnt(0)
	v_mul_f64 v[30:31], v[18:19], v[8:9]
	v_mul_f64 v[8:9], v[20:21], v[8:9]
	v_add_f64 v[26:27], v[26:27], v[34:35]
	v_add_f64 v[28:29], v[28:29], v[40:41]
	v_fma_f64 v[32:33], v[4:5], v[42:43], v[36:37]
	v_fma_f64 v[34:35], v[2:3], v[42:43], -v[44:45]
	v_fma_f64 v[20:21], v[20:21], v[6:7], v[30:31]
	v_fma_f64 v[6:7], v[18:19], v[6:7], -v[8:9]
	v_add_f64 v[26:27], v[26:27], v[22:23]
	v_add_f64 v[28:29], v[28:29], v[24:25]
	ds_load_b128 v[2:5], v1 offset:1856
	ds_load_b128 v[22:25], v1 offset:1872
	s_waitcnt vmcnt(1) lgkmcnt(1)
	v_mul_f64 v[36:37], v[2:3], v[12:13]
	v_mul_f64 v[12:13], v[4:5], v[12:13]
	v_add_f64 v[8:9], v[26:27], v[34:35]
	v_add_f64 v[18:19], v[28:29], v[32:33]
	s_waitcnt vmcnt(0) lgkmcnt(0)
	v_mul_f64 v[26:27], v[22:23], v[16:17]
	v_mul_f64 v[16:17], v[24:25], v[16:17]
	v_fma_f64 v[4:5], v[4:5], v[10:11], v[36:37]
	v_fma_f64 v[1:2], v[2:3], v[10:11], -v[12:13]
	v_add_f64 v[6:7], v[8:9], v[6:7]
	v_add_f64 v[8:9], v[18:19], v[20:21]
	v_fma_f64 v[10:11], v[24:25], v[14:15], v[26:27]
	v_fma_f64 v[12:13], v[22:23], v[14:15], -v[16:17]
	s_delay_alu instid0(VALU_DEP_4) | instskip(NEXT) | instid1(VALU_DEP_4)
	v_add_f64 v[1:2], v[6:7], v[1:2]
	v_add_f64 v[3:4], v[8:9], v[4:5]
	s_delay_alu instid0(VALU_DEP_2) | instskip(NEXT) | instid1(VALU_DEP_2)
	v_add_f64 v[1:2], v[1:2], v[12:13]
	v_add_f64 v[3:4], v[3:4], v[10:11]
	s_delay_alu instid0(VALU_DEP_2) | instskip(NEXT) | instid1(VALU_DEP_2)
	v_add_f64 v[1:2], v[48:49], -v[1:2]
	v_add_f64 v[3:4], v[50:51], -v[3:4]
	scratch_store_b128 off, v[1:4], off offset:224
	v_cmpx_lt_u32_e32 13, v164
	s_cbranch_execz .LBB122_341
; %bb.340:
	scratch_load_b128 v[1:4], v210, off
	v_mov_b32_e32 v5, 0
	s_delay_alu instid0(VALU_DEP_1)
	v_mov_b32_e32 v6, v5
	v_mov_b32_e32 v7, v5
	;; [unrolled: 1-line block ×3, first 2 shown]
	scratch_store_b128 off, v[5:8], off offset:208
	s_waitcnt vmcnt(0)
	ds_store_b128 v223, v[1:4]
.LBB122_341:
	s_or_b32 exec_lo, exec_lo, s2
	s_waitcnt lgkmcnt(0)
	s_waitcnt_vscnt null, 0x0
	s_barrier
	buffer_gl0_inv
	s_clause 0x7
	scratch_load_b128 v[2:5], off, off offset:224
	scratch_load_b128 v[6:9], off, off offset:240
	;; [unrolled: 1-line block ×8, first 2 shown]
	v_mov_b32_e32 v1, 0
	s_mov_b32 s2, exec_lo
	ds_load_b128 v[38:41], v1 offset:1168
	s_clause 0x1
	scratch_load_b128 v[34:37], off, off offset:352
	scratch_load_b128 v[42:45], off, off offset:208
	ds_load_b128 v[48:51], v1 offset:1184
	scratch_load_b128 v[52:55], off, off offset:368
	s_waitcnt vmcnt(10) lgkmcnt(1)
	v_mul_f64 v[56:57], v[40:41], v[4:5]
	v_mul_f64 v[4:5], v[38:39], v[4:5]
	s_delay_alu instid0(VALU_DEP_2) | instskip(NEXT) | instid1(VALU_DEP_2)
	v_fma_f64 v[62:63], v[38:39], v[2:3], -v[56:57]
	v_fma_f64 v[82:83], v[40:41], v[2:3], v[4:5]
	scratch_load_b128 v[38:41], off, off offset:384
	ds_load_b128 v[2:5], v1 offset:1200
	s_waitcnt vmcnt(10) lgkmcnt(1)
	v_mul_f64 v[60:61], v[48:49], v[8:9]
	v_mul_f64 v[8:9], v[50:51], v[8:9]
	ds_load_b128 v[56:59], v1 offset:1216
	s_waitcnt vmcnt(9) lgkmcnt(1)
	v_mul_f64 v[165:166], v[2:3], v[12:13]
	v_mul_f64 v[12:13], v[4:5], v[12:13]
	v_fma_f64 v[50:51], v[50:51], v[6:7], v[60:61]
	v_fma_f64 v[48:49], v[48:49], v[6:7], -v[8:9]
	v_add_f64 v[60:61], v[62:63], 0
	v_add_f64 v[62:63], v[82:83], 0
	scratch_load_b128 v[6:9], off, off offset:400
	v_fma_f64 v[165:166], v[4:5], v[10:11], v[165:166]
	v_fma_f64 v[167:168], v[2:3], v[10:11], -v[12:13]
	scratch_load_b128 v[10:13], off, off offset:416
	ds_load_b128 v[2:5], v1 offset:1232
	s_waitcnt vmcnt(10) lgkmcnt(1)
	v_mul_f64 v[82:83], v[56:57], v[16:17]
	v_mul_f64 v[16:17], v[58:59], v[16:17]
	v_add_f64 v[60:61], v[60:61], v[48:49]
	v_add_f64 v[62:63], v[62:63], v[50:51]
	s_waitcnt vmcnt(9) lgkmcnt(0)
	v_mul_f64 v[169:170], v[2:3], v[20:21]
	v_mul_f64 v[20:21], v[4:5], v[20:21]
	ds_load_b128 v[48:51], v1 offset:1248
	v_fma_f64 v[58:59], v[58:59], v[14:15], v[82:83]
	v_fma_f64 v[56:57], v[56:57], v[14:15], -v[16:17]
	scratch_load_b128 v[14:17], off, off offset:432
	v_add_f64 v[60:61], v[60:61], v[167:168]
	v_add_f64 v[62:63], v[62:63], v[165:166]
	v_fma_f64 v[165:166], v[4:5], v[18:19], v[169:170]
	v_fma_f64 v[167:168], v[2:3], v[18:19], -v[20:21]
	scratch_load_b128 v[18:21], off, off offset:448
	ds_load_b128 v[2:5], v1 offset:1264
	s_waitcnt vmcnt(10) lgkmcnt(1)
	v_mul_f64 v[82:83], v[48:49], v[24:25]
	v_mul_f64 v[24:25], v[50:51], v[24:25]
	s_waitcnt vmcnt(9) lgkmcnt(0)
	v_mul_f64 v[169:170], v[2:3], v[28:29]
	v_mul_f64 v[28:29], v[4:5], v[28:29]
	v_add_f64 v[60:61], v[60:61], v[56:57]
	v_add_f64 v[62:63], v[62:63], v[58:59]
	ds_load_b128 v[56:59], v1 offset:1280
	v_fma_f64 v[50:51], v[50:51], v[22:23], v[82:83]
	v_fma_f64 v[48:49], v[48:49], v[22:23], -v[24:25]
	scratch_load_b128 v[22:25], off, off offset:464
	v_add_f64 v[60:61], v[60:61], v[167:168]
	v_add_f64 v[62:63], v[62:63], v[165:166]
	v_fma_f64 v[165:166], v[4:5], v[26:27], v[169:170]
	v_fma_f64 v[167:168], v[2:3], v[26:27], -v[28:29]
	scratch_load_b128 v[26:29], off, off offset:480
	ds_load_b128 v[2:5], v1 offset:1296
	s_waitcnt vmcnt(10) lgkmcnt(1)
	v_mul_f64 v[82:83], v[56:57], v[32:33]
	v_mul_f64 v[32:33], v[58:59], v[32:33]
	s_waitcnt vmcnt(9) lgkmcnt(0)
	v_mul_f64 v[169:170], v[2:3], v[36:37]
	v_mul_f64 v[36:37], v[4:5], v[36:37]
	v_add_f64 v[60:61], v[60:61], v[48:49]
	v_add_f64 v[62:63], v[62:63], v[50:51]
	ds_load_b128 v[48:51], v1 offset:1312
	v_fma_f64 v[58:59], v[58:59], v[30:31], v[82:83]
	v_fma_f64 v[56:57], v[56:57], v[30:31], -v[32:33]
	scratch_load_b128 v[30:33], off, off offset:496
	v_add_f64 v[60:61], v[60:61], v[167:168]
	v_add_f64 v[62:63], v[62:63], v[165:166]
	v_fma_f64 v[167:168], v[4:5], v[34:35], v[169:170]
	v_fma_f64 v[169:170], v[2:3], v[34:35], -v[36:37]
	scratch_load_b128 v[34:37], off, off offset:512
	ds_load_b128 v[2:5], v1 offset:1328
	s_waitcnt vmcnt(9) lgkmcnt(1)
	v_mul_f64 v[82:83], v[48:49], v[54:55]
	v_mul_f64 v[165:166], v[50:51], v[54:55]
	v_add_f64 v[60:61], v[60:61], v[56:57]
	v_add_f64 v[58:59], v[62:63], v[58:59]
	ds_load_b128 v[54:57], v1 offset:1344
	v_fma_f64 v[82:83], v[50:51], v[52:53], v[82:83]
	v_fma_f64 v[52:53], v[48:49], v[52:53], -v[165:166]
	scratch_load_b128 v[48:51], off, off offset:528
	s_waitcnt vmcnt(9) lgkmcnt(1)
	v_mul_f64 v[62:63], v[2:3], v[40:41]
	v_mul_f64 v[40:41], v[4:5], v[40:41]
	v_add_f64 v[60:61], v[60:61], v[169:170]
	v_add_f64 v[58:59], v[58:59], v[167:168]
	s_delay_alu instid0(VALU_DEP_4) | instskip(NEXT) | instid1(VALU_DEP_4)
	v_fma_f64 v[62:63], v[4:5], v[38:39], v[62:63]
	v_fma_f64 v[167:168], v[2:3], v[38:39], -v[40:41]
	scratch_load_b128 v[38:41], off, off offset:544
	ds_load_b128 v[2:5], v1 offset:1360
	s_waitcnt vmcnt(9) lgkmcnt(1)
	v_mul_f64 v[165:166], v[54:55], v[8:9]
	v_mul_f64 v[8:9], v[56:57], v[8:9]
	s_waitcnt vmcnt(8) lgkmcnt(0)
	v_mul_f64 v[169:170], v[2:3], v[12:13]
	v_mul_f64 v[12:13], v[4:5], v[12:13]
	v_add_f64 v[52:53], v[60:61], v[52:53]
	v_add_f64 v[82:83], v[58:59], v[82:83]
	ds_load_b128 v[58:61], v1 offset:1376
	v_fma_f64 v[56:57], v[56:57], v[6:7], v[165:166]
	v_fma_f64 v[54:55], v[54:55], v[6:7], -v[8:9]
	scratch_load_b128 v[6:9], off, off offset:560
	v_fma_f64 v[165:166], v[4:5], v[10:11], v[169:170]
	v_add_f64 v[52:53], v[52:53], v[167:168]
	v_add_f64 v[62:63], v[82:83], v[62:63]
	v_fma_f64 v[167:168], v[2:3], v[10:11], -v[12:13]
	scratch_load_b128 v[10:13], off, off offset:576
	ds_load_b128 v[2:5], v1 offset:1392
	s_waitcnt vmcnt(9) lgkmcnt(1)
	v_mul_f64 v[82:83], v[58:59], v[16:17]
	v_mul_f64 v[16:17], v[60:61], v[16:17]
	v_add_f64 v[169:170], v[52:53], v[54:55]
	v_add_f64 v[56:57], v[62:63], v[56:57]
	s_waitcnt vmcnt(8) lgkmcnt(0)
	v_mul_f64 v[62:63], v[2:3], v[20:21]
	v_mul_f64 v[20:21], v[4:5], v[20:21]
	ds_load_b128 v[52:55], v1 offset:1408
	v_fma_f64 v[60:61], v[60:61], v[14:15], v[82:83]
	v_fma_f64 v[58:59], v[58:59], v[14:15], -v[16:17]
	scratch_load_b128 v[14:17], off, off offset:592
	v_add_f64 v[82:83], v[169:170], v[167:168]
	v_add_f64 v[56:57], v[56:57], v[165:166]
	v_fma_f64 v[62:63], v[4:5], v[18:19], v[62:63]
	v_fma_f64 v[167:168], v[2:3], v[18:19], -v[20:21]
	scratch_load_b128 v[18:21], off, off offset:608
	ds_load_b128 v[2:5], v1 offset:1424
	s_waitcnt vmcnt(9) lgkmcnt(1)
	v_mul_f64 v[165:166], v[52:53], v[24:25]
	v_mul_f64 v[24:25], v[54:55], v[24:25]
	s_waitcnt vmcnt(8) lgkmcnt(0)
	v_mul_f64 v[169:170], v[2:3], v[28:29]
	v_mul_f64 v[28:29], v[4:5], v[28:29]
	v_add_f64 v[82:83], v[82:83], v[58:59]
	v_add_f64 v[60:61], v[56:57], v[60:61]
	ds_load_b128 v[56:59], v1 offset:1440
	v_fma_f64 v[54:55], v[54:55], v[22:23], v[165:166]
	v_fma_f64 v[52:53], v[52:53], v[22:23], -v[24:25]
	scratch_load_b128 v[22:25], off, off offset:624
	v_fma_f64 v[165:166], v[4:5], v[26:27], v[169:170]
	v_add_f64 v[82:83], v[82:83], v[167:168]
	v_add_f64 v[60:61], v[60:61], v[62:63]
	v_fma_f64 v[167:168], v[2:3], v[26:27], -v[28:29]
	scratch_load_b128 v[26:29], off, off offset:640
	ds_load_b128 v[2:5], v1 offset:1456
	s_waitcnt vmcnt(9) lgkmcnt(1)
	v_mul_f64 v[62:63], v[56:57], v[32:33]
	v_mul_f64 v[32:33], v[58:59], v[32:33]
	s_waitcnt vmcnt(8) lgkmcnt(0)
	v_mul_f64 v[169:170], v[2:3], v[36:37]
	v_mul_f64 v[36:37], v[4:5], v[36:37]
	v_add_f64 v[82:83], v[82:83], v[52:53]
	v_add_f64 v[60:61], v[60:61], v[54:55]
	ds_load_b128 v[52:55], v1 offset:1472
	v_fma_f64 v[58:59], v[58:59], v[30:31], v[62:63]
	v_fma_f64 v[56:57], v[56:57], v[30:31], -v[32:33]
	scratch_load_b128 v[30:33], off, off offset:656
	v_add_f64 v[62:63], v[82:83], v[167:168]
	v_add_f64 v[60:61], v[60:61], v[165:166]
	v_fma_f64 v[165:166], v[4:5], v[34:35], v[169:170]
	v_fma_f64 v[167:168], v[2:3], v[34:35], -v[36:37]
	scratch_load_b128 v[34:37], off, off offset:672
	ds_load_b128 v[2:5], v1 offset:1488
	s_waitcnt vmcnt(9) lgkmcnt(1)
	v_mul_f64 v[82:83], v[52:53], v[50:51]
	v_mul_f64 v[50:51], v[54:55], v[50:51]
	s_waitcnt vmcnt(8) lgkmcnt(0)
	v_mul_f64 v[169:170], v[2:3], v[40:41]
	v_mul_f64 v[40:41], v[4:5], v[40:41]
	v_add_f64 v[62:63], v[62:63], v[56:57]
	v_add_f64 v[60:61], v[60:61], v[58:59]
	ds_load_b128 v[56:59], v1 offset:1504
	v_fma_f64 v[54:55], v[54:55], v[48:49], v[82:83]
	v_fma_f64 v[52:53], v[52:53], v[48:49], -v[50:51]
	scratch_load_b128 v[48:51], off, off offset:688
	v_add_f64 v[62:63], v[62:63], v[167:168]
	v_add_f64 v[60:61], v[60:61], v[165:166]
	v_fma_f64 v[165:166], v[4:5], v[38:39], v[169:170]
	;; [unrolled: 18-line block ×6, first 2 shown]
	v_fma_f64 v[169:170], v[2:3], v[34:35], -v[36:37]
	scratch_load_b128 v[34:37], off, off offset:832
	ds_load_b128 v[2:5], v1 offset:1648
	s_waitcnt vmcnt(9) lgkmcnt(1)
	v_mul_f64 v[82:83], v[56:57], v[50:51]
	v_mul_f64 v[165:166], v[58:59], v[50:51]
	v_add_f64 v[62:63], v[62:63], v[52:53]
	v_add_f64 v[54:55], v[60:61], v[54:55]
	s_waitcnt vmcnt(8) lgkmcnt(0)
	v_mul_f64 v[60:61], v[2:3], v[40:41]
	v_mul_f64 v[40:41], v[4:5], v[40:41]
	ds_load_b128 v[50:53], v1 offset:1664
	v_fma_f64 v[58:59], v[58:59], v[48:49], v[82:83]
	v_fma_f64 v[48:49], v[56:57], v[48:49], -v[165:166]
	v_add_f64 v[62:63], v[62:63], v[169:170]
	v_add_f64 v[82:83], v[54:55], v[167:168]
	scratch_load_b128 v[54:57], off, off offset:848
	v_fma_f64 v[167:168], v[4:5], v[38:39], v[60:61]
	v_fma_f64 v[169:170], v[2:3], v[38:39], -v[40:41]
	scratch_load_b128 v[38:41], off, off offset:864
	ds_load_b128 v[2:5], v1 offset:1680
	s_waitcnt vmcnt(9) lgkmcnt(1)
	v_mul_f64 v[165:166], v[50:51], v[8:9]
	v_mul_f64 v[8:9], v[52:53], v[8:9]
	v_add_f64 v[48:49], v[62:63], v[48:49]
	v_add_f64 v[62:63], v[82:83], v[58:59]
	s_waitcnt vmcnt(8) lgkmcnt(0)
	v_mul_f64 v[82:83], v[2:3], v[12:13]
	v_mul_f64 v[12:13], v[4:5], v[12:13]
	ds_load_b128 v[58:61], v1 offset:1696
	v_fma_f64 v[52:53], v[52:53], v[6:7], v[165:166]
	v_fma_f64 v[50:51], v[50:51], v[6:7], -v[8:9]
	scratch_load_b128 v[6:9], off, off offset:880
	v_add_f64 v[48:49], v[48:49], v[169:170]
	v_add_f64 v[62:63], v[62:63], v[167:168]
	v_fma_f64 v[82:83], v[4:5], v[10:11], v[82:83]
	v_fma_f64 v[167:168], v[2:3], v[10:11], -v[12:13]
	scratch_load_b128 v[10:13], off, off offset:896
	ds_load_b128 v[2:5], v1 offset:1712
	s_waitcnt vmcnt(9) lgkmcnt(1)
	v_mul_f64 v[165:166], v[58:59], v[16:17]
	v_mul_f64 v[16:17], v[60:61], v[16:17]
	v_add_f64 v[169:170], v[48:49], v[50:51]
	v_add_f64 v[52:53], v[62:63], v[52:53]
	s_waitcnt vmcnt(8) lgkmcnt(0)
	v_mul_f64 v[62:63], v[2:3], v[20:21]
	v_mul_f64 v[20:21], v[4:5], v[20:21]
	ds_load_b128 v[48:51], v1 offset:1728
	v_fma_f64 v[60:61], v[60:61], v[14:15], v[165:166]
	v_fma_f64 v[58:59], v[58:59], v[14:15], -v[16:17]
	scratch_load_b128 v[14:17], off, off offset:912
	v_add_f64 v[165:166], v[169:170], v[167:168]
	v_add_f64 v[52:53], v[52:53], v[82:83]
	v_fma_f64 v[62:63], v[4:5], v[18:19], v[62:63]
	v_fma_f64 v[167:168], v[2:3], v[18:19], -v[20:21]
	scratch_load_b128 v[18:21], off, off offset:928
	ds_load_b128 v[2:5], v1 offset:1744
	s_waitcnt vmcnt(9) lgkmcnt(1)
	v_mul_f64 v[82:83], v[48:49], v[24:25]
	v_mul_f64 v[24:25], v[50:51], v[24:25]
	s_waitcnt vmcnt(8) lgkmcnt(0)
	v_mul_f64 v[169:170], v[2:3], v[28:29]
	v_mul_f64 v[28:29], v[4:5], v[28:29]
	v_add_f64 v[165:166], v[165:166], v[58:59]
	v_add_f64 v[52:53], v[52:53], v[60:61]
	ds_load_b128 v[58:61], v1 offset:1760
	v_fma_f64 v[50:51], v[50:51], v[22:23], v[82:83]
	v_fma_f64 v[22:23], v[48:49], v[22:23], -v[24:25]
	v_add_f64 v[24:25], v[165:166], v[167:168]
	v_add_f64 v[48:49], v[52:53], v[62:63]
	s_waitcnt vmcnt(7) lgkmcnt(0)
	v_mul_f64 v[52:53], v[58:59], v[32:33]
	v_mul_f64 v[32:33], v[60:61], v[32:33]
	v_fma_f64 v[62:63], v[4:5], v[26:27], v[169:170]
	v_fma_f64 v[26:27], v[2:3], v[26:27], -v[28:29]
	v_add_f64 v[28:29], v[24:25], v[22:23]
	v_add_f64 v[48:49], v[48:49], v[50:51]
	ds_load_b128 v[2:5], v1 offset:1776
	ds_load_b128 v[22:25], v1 offset:1792
	v_fma_f64 v[52:53], v[60:61], v[30:31], v[52:53]
	v_fma_f64 v[30:31], v[58:59], v[30:31], -v[32:33]
	s_waitcnt vmcnt(6) lgkmcnt(1)
	v_mul_f64 v[50:51], v[2:3], v[36:37]
	v_mul_f64 v[36:37], v[4:5], v[36:37]
	v_add_f64 v[26:27], v[28:29], v[26:27]
	v_add_f64 v[28:29], v[48:49], v[62:63]
	s_waitcnt vmcnt(5) lgkmcnt(0)
	v_mul_f64 v[32:33], v[22:23], v[56:57]
	v_mul_f64 v[48:49], v[24:25], v[56:57]
	v_fma_f64 v[50:51], v[4:5], v[34:35], v[50:51]
	v_fma_f64 v[34:35], v[2:3], v[34:35], -v[36:37]
	v_add_f64 v[30:31], v[26:27], v[30:31]
	v_add_f64 v[36:37], v[28:29], v[52:53]
	ds_load_b128 v[2:5], v1 offset:1808
	ds_load_b128 v[26:29], v1 offset:1824
	v_fma_f64 v[24:25], v[24:25], v[54:55], v[32:33]
	v_fma_f64 v[22:23], v[22:23], v[54:55], -v[48:49]
	s_waitcnt vmcnt(4) lgkmcnt(1)
	v_mul_f64 v[52:53], v[2:3], v[40:41]
	v_mul_f64 v[40:41], v[4:5], v[40:41]
	;; [unrolled: 16-line block ×3, first 2 shown]
	v_add_f64 v[8:9], v[30:31], v[38:39]
	v_add_f64 v[26:27], v[32:33], v[36:37]
	s_waitcnt vmcnt(1) lgkmcnt(0)
	v_mul_f64 v[30:31], v[22:23], v[16:17]
	v_mul_f64 v[16:17], v[24:25], v[16:17]
	v_fma_f64 v[32:33], v[4:5], v[10:11], v[40:41]
	v_fma_f64 v[10:11], v[2:3], v[10:11], -v[12:13]
	ds_load_b128 v[2:5], v1 offset:1872
	v_add_f64 v[6:7], v[8:9], v[6:7]
	v_add_f64 v[8:9], v[26:27], v[28:29]
	v_fma_f64 v[24:25], v[24:25], v[14:15], v[30:31]
	v_fma_f64 v[14:15], v[22:23], v[14:15], -v[16:17]
	s_waitcnt vmcnt(0) lgkmcnt(0)
	v_mul_f64 v[12:13], v[2:3], v[20:21]
	v_mul_f64 v[20:21], v[4:5], v[20:21]
	v_add_f64 v[6:7], v[6:7], v[10:11]
	v_add_f64 v[8:9], v[8:9], v[32:33]
	s_delay_alu instid0(VALU_DEP_4) | instskip(NEXT) | instid1(VALU_DEP_4)
	v_fma_f64 v[4:5], v[4:5], v[18:19], v[12:13]
	v_fma_f64 v[2:3], v[2:3], v[18:19], -v[20:21]
	s_delay_alu instid0(VALU_DEP_4) | instskip(NEXT) | instid1(VALU_DEP_4)
	v_add_f64 v[6:7], v[6:7], v[14:15]
	v_add_f64 v[8:9], v[8:9], v[24:25]
	s_delay_alu instid0(VALU_DEP_2) | instskip(NEXT) | instid1(VALU_DEP_2)
	v_add_f64 v[2:3], v[6:7], v[2:3]
	v_add_f64 v[4:5], v[8:9], v[4:5]
	s_delay_alu instid0(VALU_DEP_2) | instskip(NEXT) | instid1(VALU_DEP_2)
	v_add_f64 v[2:3], v[42:43], -v[2:3]
	v_add_f64 v[4:5], v[44:45], -v[4:5]
	scratch_store_b128 off, v[2:5], off offset:208
	v_cmpx_lt_u32_e32 12, v164
	s_cbranch_execz .LBB122_343
; %bb.342:
	scratch_load_b128 v[5:8], v211, off
	v_mov_b32_e32 v2, v1
	v_mov_b32_e32 v3, v1
	;; [unrolled: 1-line block ×3, first 2 shown]
	scratch_store_b128 off, v[1:4], off offset:192
	s_waitcnt vmcnt(0)
	ds_store_b128 v223, v[5:8]
.LBB122_343:
	s_or_b32 exec_lo, exec_lo, s2
	s_waitcnt lgkmcnt(0)
	s_waitcnt_vscnt null, 0x0
	s_barrier
	buffer_gl0_inv
	s_clause 0x8
	scratch_load_b128 v[2:5], off, off offset:208
	scratch_load_b128 v[6:9], off, off offset:224
	;; [unrolled: 1-line block ×9, first 2 shown]
	ds_load_b128 v[42:45], v1 offset:1152
	ds_load_b128 v[38:41], v1 offset:1168
	s_clause 0x1
	scratch_load_b128 v[48:51], off, off offset:192
	scratch_load_b128 v[52:55], off, off offset:352
	s_mov_b32 s2, exec_lo
	s_waitcnt vmcnt(10) lgkmcnt(1)
	v_mul_f64 v[56:57], v[44:45], v[4:5]
	v_mul_f64 v[4:5], v[42:43], v[4:5]
	s_waitcnt vmcnt(9) lgkmcnt(0)
	v_mul_f64 v[60:61], v[38:39], v[8:9]
	v_mul_f64 v[8:9], v[40:41], v[8:9]
	s_delay_alu instid0(VALU_DEP_4) | instskip(NEXT) | instid1(VALU_DEP_4)
	v_fma_f64 v[62:63], v[42:43], v[2:3], -v[56:57]
	v_fma_f64 v[82:83], v[44:45], v[2:3], v[4:5]
	ds_load_b128 v[2:5], v1 offset:1184
	ds_load_b128 v[56:59], v1 offset:1200
	scratch_load_b128 v[42:45], off, off offset:368
	v_fma_f64 v[40:41], v[40:41], v[6:7], v[60:61]
	v_fma_f64 v[38:39], v[38:39], v[6:7], -v[8:9]
	scratch_load_b128 v[6:9], off, off offset:384
	s_waitcnt vmcnt(10) lgkmcnt(1)
	v_mul_f64 v[165:166], v[2:3], v[12:13]
	v_mul_f64 v[12:13], v[4:5], v[12:13]
	v_add_f64 v[60:61], v[62:63], 0
	v_add_f64 v[62:63], v[82:83], 0
	s_waitcnt vmcnt(9) lgkmcnt(0)
	v_mul_f64 v[82:83], v[56:57], v[16:17]
	v_mul_f64 v[16:17], v[58:59], v[16:17]
	v_fma_f64 v[165:166], v[4:5], v[10:11], v[165:166]
	v_fma_f64 v[167:168], v[2:3], v[10:11], -v[12:13]
	ds_load_b128 v[2:5], v1 offset:1216
	scratch_load_b128 v[10:13], off, off offset:400
	v_add_f64 v[60:61], v[60:61], v[38:39]
	v_add_f64 v[62:63], v[62:63], v[40:41]
	ds_load_b128 v[38:41], v1 offset:1232
	v_fma_f64 v[58:59], v[58:59], v[14:15], v[82:83]
	v_fma_f64 v[56:57], v[56:57], v[14:15], -v[16:17]
	scratch_load_b128 v[14:17], off, off offset:416
	s_waitcnt vmcnt(10) lgkmcnt(1)
	v_mul_f64 v[169:170], v[2:3], v[20:21]
	v_mul_f64 v[20:21], v[4:5], v[20:21]
	s_waitcnt vmcnt(9) lgkmcnt(0)
	v_mul_f64 v[82:83], v[38:39], v[24:25]
	v_mul_f64 v[24:25], v[40:41], v[24:25]
	v_add_f64 v[60:61], v[60:61], v[167:168]
	v_add_f64 v[62:63], v[62:63], v[165:166]
	v_fma_f64 v[165:166], v[4:5], v[18:19], v[169:170]
	v_fma_f64 v[167:168], v[2:3], v[18:19], -v[20:21]
	ds_load_b128 v[2:5], v1 offset:1248
	scratch_load_b128 v[18:21], off, off offset:432
	v_fma_f64 v[40:41], v[40:41], v[22:23], v[82:83]
	v_fma_f64 v[38:39], v[38:39], v[22:23], -v[24:25]
	scratch_load_b128 v[22:25], off, off offset:448
	v_add_f64 v[60:61], v[60:61], v[56:57]
	v_add_f64 v[62:63], v[62:63], v[58:59]
	ds_load_b128 v[56:59], v1 offset:1264
	s_waitcnt vmcnt(10) lgkmcnt(1)
	v_mul_f64 v[169:170], v[2:3], v[28:29]
	v_mul_f64 v[28:29], v[4:5], v[28:29]
	s_waitcnt vmcnt(9) lgkmcnt(0)
	v_mul_f64 v[82:83], v[56:57], v[32:33]
	v_mul_f64 v[32:33], v[58:59], v[32:33]
	v_add_f64 v[60:61], v[60:61], v[167:168]
	v_add_f64 v[62:63], v[62:63], v[165:166]
	v_fma_f64 v[165:166], v[4:5], v[26:27], v[169:170]
	v_fma_f64 v[167:168], v[2:3], v[26:27], -v[28:29]
	ds_load_b128 v[2:5], v1 offset:1280
	scratch_load_b128 v[26:29], off, off offset:464
	v_fma_f64 v[58:59], v[58:59], v[30:31], v[82:83]
	v_fma_f64 v[56:57], v[56:57], v[30:31], -v[32:33]
	scratch_load_b128 v[30:33], off, off offset:480
	v_add_f64 v[60:61], v[60:61], v[38:39]
	v_add_f64 v[62:63], v[62:63], v[40:41]
	ds_load_b128 v[38:41], v1 offset:1296
	s_waitcnt vmcnt(10) lgkmcnt(1)
	v_mul_f64 v[169:170], v[2:3], v[36:37]
	v_mul_f64 v[36:37], v[4:5], v[36:37]
	s_waitcnt vmcnt(8) lgkmcnt(0)
	v_mul_f64 v[82:83], v[38:39], v[54:55]
	v_add_f64 v[60:61], v[60:61], v[167:168]
	v_add_f64 v[62:63], v[62:63], v[165:166]
	v_mul_f64 v[165:166], v[40:41], v[54:55]
	v_fma_f64 v[167:168], v[4:5], v[34:35], v[169:170]
	v_fma_f64 v[169:170], v[2:3], v[34:35], -v[36:37]
	ds_load_b128 v[2:5], v1 offset:1312
	scratch_load_b128 v[34:37], off, off offset:496
	v_fma_f64 v[82:83], v[40:41], v[52:53], v[82:83]
	v_add_f64 v[60:61], v[60:61], v[56:57]
	v_add_f64 v[58:59], v[62:63], v[58:59]
	ds_load_b128 v[54:57], v1 offset:1328
	v_fma_f64 v[52:53], v[38:39], v[52:53], -v[165:166]
	scratch_load_b128 v[38:41], off, off offset:512
	s_waitcnt vmcnt(9) lgkmcnt(1)
	v_mul_f64 v[62:63], v[2:3], v[44:45]
	v_mul_f64 v[44:45], v[4:5], v[44:45]
	s_waitcnt vmcnt(8) lgkmcnt(0)
	v_mul_f64 v[165:166], v[54:55], v[8:9]
	v_mul_f64 v[8:9], v[56:57], v[8:9]
	v_add_f64 v[60:61], v[60:61], v[169:170]
	v_add_f64 v[58:59], v[58:59], v[167:168]
	v_fma_f64 v[62:63], v[4:5], v[42:43], v[62:63]
	v_fma_f64 v[167:168], v[2:3], v[42:43], -v[44:45]
	ds_load_b128 v[2:5], v1 offset:1344
	scratch_load_b128 v[42:45], off, off offset:528
	v_fma_f64 v[56:57], v[56:57], v[6:7], v[165:166]
	v_fma_f64 v[54:55], v[54:55], v[6:7], -v[8:9]
	scratch_load_b128 v[6:9], off, off offset:544
	v_add_f64 v[52:53], v[60:61], v[52:53]
	v_add_f64 v[82:83], v[58:59], v[82:83]
	ds_load_b128 v[58:61], v1 offset:1360
	s_waitcnt vmcnt(9) lgkmcnt(1)
	v_mul_f64 v[169:170], v[2:3], v[12:13]
	v_mul_f64 v[12:13], v[4:5], v[12:13]
	v_add_f64 v[52:53], v[52:53], v[167:168]
	v_add_f64 v[62:63], v[82:83], v[62:63]
	s_waitcnt vmcnt(8) lgkmcnt(0)
	v_mul_f64 v[82:83], v[58:59], v[16:17]
	v_mul_f64 v[16:17], v[60:61], v[16:17]
	v_fma_f64 v[165:166], v[4:5], v[10:11], v[169:170]
	v_fma_f64 v[167:168], v[2:3], v[10:11], -v[12:13]
	ds_load_b128 v[2:5], v1 offset:1376
	scratch_load_b128 v[10:13], off, off offset:560
	v_add_f64 v[169:170], v[52:53], v[54:55]
	v_add_f64 v[56:57], v[62:63], v[56:57]
	ds_load_b128 v[52:55], v1 offset:1392
	s_waitcnt vmcnt(8) lgkmcnt(1)
	v_mul_f64 v[62:63], v[2:3], v[20:21]
	v_mul_f64 v[20:21], v[4:5], v[20:21]
	v_fma_f64 v[60:61], v[60:61], v[14:15], v[82:83]
	v_fma_f64 v[58:59], v[58:59], v[14:15], -v[16:17]
	scratch_load_b128 v[14:17], off, off offset:576
	v_add_f64 v[82:83], v[169:170], v[167:168]
	v_add_f64 v[56:57], v[56:57], v[165:166]
	s_waitcnt vmcnt(8) lgkmcnt(0)
	v_mul_f64 v[165:166], v[52:53], v[24:25]
	v_mul_f64 v[24:25], v[54:55], v[24:25]
	v_fma_f64 v[62:63], v[4:5], v[18:19], v[62:63]
	v_fma_f64 v[167:168], v[2:3], v[18:19], -v[20:21]
	ds_load_b128 v[2:5], v1 offset:1408
	scratch_load_b128 v[18:21], off, off offset:592
	v_add_f64 v[82:83], v[82:83], v[58:59]
	v_add_f64 v[60:61], v[56:57], v[60:61]
	ds_load_b128 v[56:59], v1 offset:1424
	s_waitcnt vmcnt(8) lgkmcnt(1)
	v_mul_f64 v[169:170], v[2:3], v[28:29]
	v_mul_f64 v[28:29], v[4:5], v[28:29]
	v_fma_f64 v[54:55], v[54:55], v[22:23], v[165:166]
	v_fma_f64 v[52:53], v[52:53], v[22:23], -v[24:25]
	scratch_load_b128 v[22:25], off, off offset:608
	;; [unrolled: 18-line block ×4, first 2 shown]
	s_waitcnt vmcnt(8) lgkmcnt(0)
	v_mul_f64 v[82:83], v[56:57], v[8:9]
	v_mul_f64 v[8:9], v[58:59], v[8:9]
	v_add_f64 v[62:63], v[62:63], v[167:168]
	v_add_f64 v[60:61], v[60:61], v[165:166]
	v_fma_f64 v[165:166], v[4:5], v[42:43], v[169:170]
	v_fma_f64 v[167:168], v[2:3], v[42:43], -v[44:45]
	ds_load_b128 v[2:5], v1 offset:1504
	scratch_load_b128 v[42:45], off, off offset:688
	v_fma_f64 v[58:59], v[58:59], v[6:7], v[82:83]
	v_fma_f64 v[56:57], v[56:57], v[6:7], -v[8:9]
	scratch_load_b128 v[6:9], off, off offset:704
	v_add_f64 v[62:63], v[62:63], v[52:53]
	v_add_f64 v[60:61], v[60:61], v[54:55]
	ds_load_b128 v[52:55], v1 offset:1520
	s_waitcnt vmcnt(9) lgkmcnt(1)
	v_mul_f64 v[169:170], v[2:3], v[12:13]
	v_mul_f64 v[12:13], v[4:5], v[12:13]
	s_waitcnt vmcnt(8) lgkmcnt(0)
	v_mul_f64 v[82:83], v[52:53], v[16:17]
	v_mul_f64 v[16:17], v[54:55], v[16:17]
	v_add_f64 v[62:63], v[62:63], v[167:168]
	v_add_f64 v[60:61], v[60:61], v[165:166]
	v_fma_f64 v[165:166], v[4:5], v[10:11], v[169:170]
	v_fma_f64 v[167:168], v[2:3], v[10:11], -v[12:13]
	ds_load_b128 v[2:5], v1 offset:1536
	scratch_load_b128 v[10:13], off, off offset:720
	v_fma_f64 v[54:55], v[54:55], v[14:15], v[82:83]
	v_fma_f64 v[52:53], v[52:53], v[14:15], -v[16:17]
	scratch_load_b128 v[14:17], off, off offset:736
	v_add_f64 v[62:63], v[62:63], v[56:57]
	v_add_f64 v[60:61], v[60:61], v[58:59]
	ds_load_b128 v[56:59], v1 offset:1552
	s_waitcnt vmcnt(9) lgkmcnt(1)
	v_mul_f64 v[169:170], v[2:3], v[20:21]
	v_mul_f64 v[20:21], v[4:5], v[20:21]
	;; [unrolled: 18-line block ×8, first 2 shown]
	s_waitcnt vmcnt(8) lgkmcnt(0)
	v_mul_f64 v[82:83], v[56:57], v[32:33]
	v_mul_f64 v[32:33], v[58:59], v[32:33]
	v_add_f64 v[62:63], v[62:63], v[167:168]
	v_add_f64 v[60:61], v[60:61], v[165:166]
	v_fma_f64 v[165:166], v[4:5], v[26:27], v[169:170]
	v_fma_f64 v[167:168], v[2:3], v[26:27], -v[28:29]
	ds_load_b128 v[2:5], v1 offset:1760
	ds_load_b128 v[26:29], v1 offset:1776
	v_fma_f64 v[58:59], v[58:59], v[30:31], v[82:83]
	v_fma_f64 v[30:31], v[56:57], v[30:31], -v[32:33]
	v_add_f64 v[52:53], v[62:63], v[52:53]
	v_add_f64 v[54:55], v[60:61], v[54:55]
	s_waitcnt vmcnt(7) lgkmcnt(1)
	v_mul_f64 v[60:61], v[2:3], v[36:37]
	v_mul_f64 v[36:37], v[4:5], v[36:37]
	s_delay_alu instid0(VALU_DEP_4) | instskip(NEXT) | instid1(VALU_DEP_4)
	v_add_f64 v[32:33], v[52:53], v[167:168]
	v_add_f64 v[52:53], v[54:55], v[165:166]
	s_waitcnt vmcnt(6) lgkmcnt(0)
	v_mul_f64 v[54:55], v[26:27], v[40:41]
	v_mul_f64 v[40:41], v[28:29], v[40:41]
	v_fma_f64 v[56:57], v[4:5], v[34:35], v[60:61]
	v_fma_f64 v[34:35], v[2:3], v[34:35], -v[36:37]
	v_add_f64 v[36:37], v[32:33], v[30:31]
	v_add_f64 v[52:53], v[52:53], v[58:59]
	ds_load_b128 v[2:5], v1 offset:1792
	ds_load_b128 v[30:33], v1 offset:1808
	v_fma_f64 v[28:29], v[28:29], v[38:39], v[54:55]
	v_fma_f64 v[26:27], v[26:27], v[38:39], -v[40:41]
	s_waitcnt vmcnt(5) lgkmcnt(1)
	v_mul_f64 v[58:59], v[2:3], v[44:45]
	v_mul_f64 v[44:45], v[4:5], v[44:45]
	s_waitcnt vmcnt(4) lgkmcnt(0)
	v_mul_f64 v[38:39], v[30:31], v[8:9]
	v_mul_f64 v[8:9], v[32:33], v[8:9]
	v_add_f64 v[34:35], v[36:37], v[34:35]
	v_add_f64 v[36:37], v[52:53], v[56:57]
	v_fma_f64 v[40:41], v[4:5], v[42:43], v[58:59]
	v_fma_f64 v[42:43], v[2:3], v[42:43], -v[44:45]
	v_fma_f64 v[32:33], v[32:33], v[6:7], v[38:39]
	v_fma_f64 v[6:7], v[30:31], v[6:7], -v[8:9]
	v_add_f64 v[34:35], v[34:35], v[26:27]
	v_add_f64 v[36:37], v[36:37], v[28:29]
	ds_load_b128 v[2:5], v1 offset:1824
	ds_load_b128 v[26:29], v1 offset:1840
	s_waitcnt vmcnt(3) lgkmcnt(1)
	v_mul_f64 v[44:45], v[2:3], v[12:13]
	v_mul_f64 v[12:13], v[4:5], v[12:13]
	v_add_f64 v[8:9], v[34:35], v[42:43]
	v_add_f64 v[30:31], v[36:37], v[40:41]
	s_waitcnt vmcnt(2) lgkmcnt(0)
	v_mul_f64 v[34:35], v[26:27], v[16:17]
	v_mul_f64 v[16:17], v[28:29], v[16:17]
	v_fma_f64 v[36:37], v[4:5], v[10:11], v[44:45]
	v_fma_f64 v[10:11], v[2:3], v[10:11], -v[12:13]
	v_add_f64 v[12:13], v[8:9], v[6:7]
	v_add_f64 v[30:31], v[30:31], v[32:33]
	ds_load_b128 v[2:5], v1 offset:1856
	ds_load_b128 v[6:9], v1 offset:1872
	v_fma_f64 v[28:29], v[28:29], v[14:15], v[34:35]
	v_fma_f64 v[14:15], v[26:27], v[14:15], -v[16:17]
	s_waitcnt vmcnt(1) lgkmcnt(1)
	v_mul_f64 v[32:33], v[2:3], v[20:21]
	v_mul_f64 v[20:21], v[4:5], v[20:21]
	s_waitcnt vmcnt(0) lgkmcnt(0)
	v_mul_f64 v[16:17], v[6:7], v[24:25]
	v_mul_f64 v[24:25], v[8:9], v[24:25]
	v_add_f64 v[10:11], v[12:13], v[10:11]
	v_add_f64 v[12:13], v[30:31], v[36:37]
	v_fma_f64 v[4:5], v[4:5], v[18:19], v[32:33]
	v_fma_f64 v[1:2], v[2:3], v[18:19], -v[20:21]
	v_fma_f64 v[8:9], v[8:9], v[22:23], v[16:17]
	v_fma_f64 v[6:7], v[6:7], v[22:23], -v[24:25]
	v_add_f64 v[10:11], v[10:11], v[14:15]
	v_add_f64 v[12:13], v[12:13], v[28:29]
	s_delay_alu instid0(VALU_DEP_2) | instskip(NEXT) | instid1(VALU_DEP_2)
	v_add_f64 v[1:2], v[10:11], v[1:2]
	v_add_f64 v[3:4], v[12:13], v[4:5]
	s_delay_alu instid0(VALU_DEP_2) | instskip(NEXT) | instid1(VALU_DEP_2)
	v_add_f64 v[1:2], v[1:2], v[6:7]
	v_add_f64 v[3:4], v[3:4], v[8:9]
	s_delay_alu instid0(VALU_DEP_2) | instskip(NEXT) | instid1(VALU_DEP_2)
	v_add_f64 v[1:2], v[48:49], -v[1:2]
	v_add_f64 v[3:4], v[50:51], -v[3:4]
	scratch_store_b128 off, v[1:4], off offset:192
	v_cmpx_lt_u32_e32 11, v164
	s_cbranch_execz .LBB122_345
; %bb.344:
	scratch_load_b128 v[1:4], v212, off
	v_mov_b32_e32 v5, 0
	s_delay_alu instid0(VALU_DEP_1)
	v_mov_b32_e32 v6, v5
	v_mov_b32_e32 v7, v5
	;; [unrolled: 1-line block ×3, first 2 shown]
	scratch_store_b128 off, v[5:8], off offset:176
	s_waitcnt vmcnt(0)
	ds_store_b128 v223, v[1:4]
.LBB122_345:
	s_or_b32 exec_lo, exec_lo, s2
	s_waitcnt lgkmcnt(0)
	s_waitcnt_vscnt null, 0x0
	s_barrier
	buffer_gl0_inv
	s_clause 0x7
	scratch_load_b128 v[2:5], off, off offset:192
	scratch_load_b128 v[6:9], off, off offset:208
	;; [unrolled: 1-line block ×8, first 2 shown]
	v_mov_b32_e32 v1, 0
	s_mov_b32 s2, exec_lo
	ds_load_b128 v[38:41], v1 offset:1136
	s_clause 0x1
	scratch_load_b128 v[34:37], off, off offset:320
	scratch_load_b128 v[42:45], off, off offset:176
	ds_load_b128 v[48:51], v1 offset:1152
	scratch_load_b128 v[52:55], off, off offset:336
	s_waitcnt vmcnt(10) lgkmcnt(1)
	v_mul_f64 v[56:57], v[40:41], v[4:5]
	v_mul_f64 v[4:5], v[38:39], v[4:5]
	s_delay_alu instid0(VALU_DEP_2) | instskip(NEXT) | instid1(VALU_DEP_2)
	v_fma_f64 v[62:63], v[38:39], v[2:3], -v[56:57]
	v_fma_f64 v[82:83], v[40:41], v[2:3], v[4:5]
	scratch_load_b128 v[38:41], off, off offset:352
	ds_load_b128 v[2:5], v1 offset:1168
	s_waitcnt vmcnt(10) lgkmcnt(1)
	v_mul_f64 v[60:61], v[48:49], v[8:9]
	v_mul_f64 v[8:9], v[50:51], v[8:9]
	ds_load_b128 v[56:59], v1 offset:1184
	s_waitcnt vmcnt(9) lgkmcnt(1)
	v_mul_f64 v[165:166], v[2:3], v[12:13]
	v_mul_f64 v[12:13], v[4:5], v[12:13]
	v_fma_f64 v[50:51], v[50:51], v[6:7], v[60:61]
	v_fma_f64 v[48:49], v[48:49], v[6:7], -v[8:9]
	v_add_f64 v[60:61], v[62:63], 0
	v_add_f64 v[62:63], v[82:83], 0
	scratch_load_b128 v[6:9], off, off offset:368
	v_fma_f64 v[165:166], v[4:5], v[10:11], v[165:166]
	v_fma_f64 v[167:168], v[2:3], v[10:11], -v[12:13]
	scratch_load_b128 v[10:13], off, off offset:384
	ds_load_b128 v[2:5], v1 offset:1200
	s_waitcnt vmcnt(10) lgkmcnt(1)
	v_mul_f64 v[82:83], v[56:57], v[16:17]
	v_mul_f64 v[16:17], v[58:59], v[16:17]
	v_add_f64 v[60:61], v[60:61], v[48:49]
	v_add_f64 v[62:63], v[62:63], v[50:51]
	s_waitcnt vmcnt(9) lgkmcnt(0)
	v_mul_f64 v[169:170], v[2:3], v[20:21]
	v_mul_f64 v[20:21], v[4:5], v[20:21]
	ds_load_b128 v[48:51], v1 offset:1216
	v_fma_f64 v[58:59], v[58:59], v[14:15], v[82:83]
	v_fma_f64 v[56:57], v[56:57], v[14:15], -v[16:17]
	scratch_load_b128 v[14:17], off, off offset:400
	v_add_f64 v[60:61], v[60:61], v[167:168]
	v_add_f64 v[62:63], v[62:63], v[165:166]
	v_fma_f64 v[165:166], v[4:5], v[18:19], v[169:170]
	v_fma_f64 v[167:168], v[2:3], v[18:19], -v[20:21]
	scratch_load_b128 v[18:21], off, off offset:416
	ds_load_b128 v[2:5], v1 offset:1232
	s_waitcnt vmcnt(10) lgkmcnt(1)
	v_mul_f64 v[82:83], v[48:49], v[24:25]
	v_mul_f64 v[24:25], v[50:51], v[24:25]
	s_waitcnt vmcnt(9) lgkmcnt(0)
	v_mul_f64 v[169:170], v[2:3], v[28:29]
	v_mul_f64 v[28:29], v[4:5], v[28:29]
	v_add_f64 v[60:61], v[60:61], v[56:57]
	v_add_f64 v[62:63], v[62:63], v[58:59]
	ds_load_b128 v[56:59], v1 offset:1248
	v_fma_f64 v[50:51], v[50:51], v[22:23], v[82:83]
	v_fma_f64 v[48:49], v[48:49], v[22:23], -v[24:25]
	scratch_load_b128 v[22:25], off, off offset:432
	v_add_f64 v[60:61], v[60:61], v[167:168]
	v_add_f64 v[62:63], v[62:63], v[165:166]
	v_fma_f64 v[165:166], v[4:5], v[26:27], v[169:170]
	v_fma_f64 v[167:168], v[2:3], v[26:27], -v[28:29]
	scratch_load_b128 v[26:29], off, off offset:448
	ds_load_b128 v[2:5], v1 offset:1264
	s_waitcnt vmcnt(10) lgkmcnt(1)
	v_mul_f64 v[82:83], v[56:57], v[32:33]
	v_mul_f64 v[32:33], v[58:59], v[32:33]
	s_waitcnt vmcnt(9) lgkmcnt(0)
	v_mul_f64 v[169:170], v[2:3], v[36:37]
	v_mul_f64 v[36:37], v[4:5], v[36:37]
	v_add_f64 v[60:61], v[60:61], v[48:49]
	v_add_f64 v[62:63], v[62:63], v[50:51]
	ds_load_b128 v[48:51], v1 offset:1280
	v_fma_f64 v[58:59], v[58:59], v[30:31], v[82:83]
	v_fma_f64 v[56:57], v[56:57], v[30:31], -v[32:33]
	scratch_load_b128 v[30:33], off, off offset:464
	v_add_f64 v[60:61], v[60:61], v[167:168]
	v_add_f64 v[62:63], v[62:63], v[165:166]
	v_fma_f64 v[167:168], v[4:5], v[34:35], v[169:170]
	v_fma_f64 v[169:170], v[2:3], v[34:35], -v[36:37]
	scratch_load_b128 v[34:37], off, off offset:480
	ds_load_b128 v[2:5], v1 offset:1296
	s_waitcnt vmcnt(9) lgkmcnt(1)
	v_mul_f64 v[82:83], v[48:49], v[54:55]
	v_mul_f64 v[165:166], v[50:51], v[54:55]
	v_add_f64 v[60:61], v[60:61], v[56:57]
	v_add_f64 v[58:59], v[62:63], v[58:59]
	ds_load_b128 v[54:57], v1 offset:1312
	v_fma_f64 v[82:83], v[50:51], v[52:53], v[82:83]
	v_fma_f64 v[52:53], v[48:49], v[52:53], -v[165:166]
	scratch_load_b128 v[48:51], off, off offset:496
	s_waitcnt vmcnt(9) lgkmcnt(1)
	v_mul_f64 v[62:63], v[2:3], v[40:41]
	v_mul_f64 v[40:41], v[4:5], v[40:41]
	v_add_f64 v[60:61], v[60:61], v[169:170]
	v_add_f64 v[58:59], v[58:59], v[167:168]
	s_delay_alu instid0(VALU_DEP_4) | instskip(NEXT) | instid1(VALU_DEP_4)
	v_fma_f64 v[62:63], v[4:5], v[38:39], v[62:63]
	v_fma_f64 v[167:168], v[2:3], v[38:39], -v[40:41]
	scratch_load_b128 v[38:41], off, off offset:512
	ds_load_b128 v[2:5], v1 offset:1328
	s_waitcnt vmcnt(9) lgkmcnt(1)
	v_mul_f64 v[165:166], v[54:55], v[8:9]
	v_mul_f64 v[8:9], v[56:57], v[8:9]
	s_waitcnt vmcnt(8) lgkmcnt(0)
	v_mul_f64 v[169:170], v[2:3], v[12:13]
	v_mul_f64 v[12:13], v[4:5], v[12:13]
	v_add_f64 v[52:53], v[60:61], v[52:53]
	v_add_f64 v[82:83], v[58:59], v[82:83]
	ds_load_b128 v[58:61], v1 offset:1344
	v_fma_f64 v[56:57], v[56:57], v[6:7], v[165:166]
	v_fma_f64 v[54:55], v[54:55], v[6:7], -v[8:9]
	scratch_load_b128 v[6:9], off, off offset:528
	v_fma_f64 v[165:166], v[4:5], v[10:11], v[169:170]
	v_add_f64 v[52:53], v[52:53], v[167:168]
	v_add_f64 v[62:63], v[82:83], v[62:63]
	v_fma_f64 v[167:168], v[2:3], v[10:11], -v[12:13]
	scratch_load_b128 v[10:13], off, off offset:544
	ds_load_b128 v[2:5], v1 offset:1360
	s_waitcnt vmcnt(9) lgkmcnt(1)
	v_mul_f64 v[82:83], v[58:59], v[16:17]
	v_mul_f64 v[16:17], v[60:61], v[16:17]
	v_add_f64 v[169:170], v[52:53], v[54:55]
	v_add_f64 v[56:57], v[62:63], v[56:57]
	s_waitcnt vmcnt(8) lgkmcnt(0)
	v_mul_f64 v[62:63], v[2:3], v[20:21]
	v_mul_f64 v[20:21], v[4:5], v[20:21]
	ds_load_b128 v[52:55], v1 offset:1376
	v_fma_f64 v[60:61], v[60:61], v[14:15], v[82:83]
	v_fma_f64 v[58:59], v[58:59], v[14:15], -v[16:17]
	scratch_load_b128 v[14:17], off, off offset:560
	v_add_f64 v[82:83], v[169:170], v[167:168]
	v_add_f64 v[56:57], v[56:57], v[165:166]
	v_fma_f64 v[62:63], v[4:5], v[18:19], v[62:63]
	v_fma_f64 v[167:168], v[2:3], v[18:19], -v[20:21]
	scratch_load_b128 v[18:21], off, off offset:576
	ds_load_b128 v[2:5], v1 offset:1392
	s_waitcnt vmcnt(9) lgkmcnt(1)
	v_mul_f64 v[165:166], v[52:53], v[24:25]
	v_mul_f64 v[24:25], v[54:55], v[24:25]
	s_waitcnt vmcnt(8) lgkmcnt(0)
	v_mul_f64 v[169:170], v[2:3], v[28:29]
	v_mul_f64 v[28:29], v[4:5], v[28:29]
	v_add_f64 v[82:83], v[82:83], v[58:59]
	v_add_f64 v[60:61], v[56:57], v[60:61]
	ds_load_b128 v[56:59], v1 offset:1408
	v_fma_f64 v[54:55], v[54:55], v[22:23], v[165:166]
	v_fma_f64 v[52:53], v[52:53], v[22:23], -v[24:25]
	scratch_load_b128 v[22:25], off, off offset:592
	v_fma_f64 v[165:166], v[4:5], v[26:27], v[169:170]
	v_add_f64 v[82:83], v[82:83], v[167:168]
	v_add_f64 v[60:61], v[60:61], v[62:63]
	v_fma_f64 v[167:168], v[2:3], v[26:27], -v[28:29]
	scratch_load_b128 v[26:29], off, off offset:608
	ds_load_b128 v[2:5], v1 offset:1424
	s_waitcnt vmcnt(9) lgkmcnt(1)
	v_mul_f64 v[62:63], v[56:57], v[32:33]
	v_mul_f64 v[32:33], v[58:59], v[32:33]
	s_waitcnt vmcnt(8) lgkmcnt(0)
	v_mul_f64 v[169:170], v[2:3], v[36:37]
	v_mul_f64 v[36:37], v[4:5], v[36:37]
	v_add_f64 v[82:83], v[82:83], v[52:53]
	v_add_f64 v[60:61], v[60:61], v[54:55]
	ds_load_b128 v[52:55], v1 offset:1440
	v_fma_f64 v[58:59], v[58:59], v[30:31], v[62:63]
	v_fma_f64 v[56:57], v[56:57], v[30:31], -v[32:33]
	scratch_load_b128 v[30:33], off, off offset:624
	v_add_f64 v[62:63], v[82:83], v[167:168]
	v_add_f64 v[60:61], v[60:61], v[165:166]
	v_fma_f64 v[165:166], v[4:5], v[34:35], v[169:170]
	v_fma_f64 v[167:168], v[2:3], v[34:35], -v[36:37]
	scratch_load_b128 v[34:37], off, off offset:640
	ds_load_b128 v[2:5], v1 offset:1456
	s_waitcnt vmcnt(9) lgkmcnt(1)
	v_mul_f64 v[82:83], v[52:53], v[50:51]
	v_mul_f64 v[50:51], v[54:55], v[50:51]
	s_waitcnt vmcnt(8) lgkmcnt(0)
	v_mul_f64 v[169:170], v[2:3], v[40:41]
	v_mul_f64 v[40:41], v[4:5], v[40:41]
	v_add_f64 v[62:63], v[62:63], v[56:57]
	v_add_f64 v[60:61], v[60:61], v[58:59]
	ds_load_b128 v[56:59], v1 offset:1472
	v_fma_f64 v[54:55], v[54:55], v[48:49], v[82:83]
	v_fma_f64 v[52:53], v[52:53], v[48:49], -v[50:51]
	scratch_load_b128 v[48:51], off, off offset:656
	v_add_f64 v[62:63], v[62:63], v[167:168]
	v_add_f64 v[60:61], v[60:61], v[165:166]
	v_fma_f64 v[165:166], v[4:5], v[38:39], v[169:170]
	;; [unrolled: 18-line block ×6, first 2 shown]
	v_fma_f64 v[169:170], v[2:3], v[34:35], -v[36:37]
	scratch_load_b128 v[34:37], off, off offset:800
	ds_load_b128 v[2:5], v1 offset:1616
	s_waitcnt vmcnt(9) lgkmcnt(1)
	v_mul_f64 v[82:83], v[56:57], v[50:51]
	v_mul_f64 v[165:166], v[58:59], v[50:51]
	v_add_f64 v[62:63], v[62:63], v[52:53]
	v_add_f64 v[54:55], v[60:61], v[54:55]
	s_waitcnt vmcnt(8) lgkmcnt(0)
	v_mul_f64 v[60:61], v[2:3], v[40:41]
	v_mul_f64 v[40:41], v[4:5], v[40:41]
	ds_load_b128 v[50:53], v1 offset:1632
	v_fma_f64 v[58:59], v[58:59], v[48:49], v[82:83]
	v_fma_f64 v[48:49], v[56:57], v[48:49], -v[165:166]
	v_add_f64 v[62:63], v[62:63], v[169:170]
	v_add_f64 v[82:83], v[54:55], v[167:168]
	scratch_load_b128 v[54:57], off, off offset:816
	v_fma_f64 v[167:168], v[4:5], v[38:39], v[60:61]
	v_fma_f64 v[169:170], v[2:3], v[38:39], -v[40:41]
	scratch_load_b128 v[38:41], off, off offset:832
	ds_load_b128 v[2:5], v1 offset:1648
	s_waitcnt vmcnt(9) lgkmcnt(1)
	v_mul_f64 v[165:166], v[50:51], v[8:9]
	v_mul_f64 v[8:9], v[52:53], v[8:9]
	v_add_f64 v[48:49], v[62:63], v[48:49]
	v_add_f64 v[62:63], v[82:83], v[58:59]
	s_waitcnt vmcnt(8) lgkmcnt(0)
	v_mul_f64 v[82:83], v[2:3], v[12:13]
	v_mul_f64 v[12:13], v[4:5], v[12:13]
	ds_load_b128 v[58:61], v1 offset:1664
	v_fma_f64 v[52:53], v[52:53], v[6:7], v[165:166]
	v_fma_f64 v[50:51], v[50:51], v[6:7], -v[8:9]
	scratch_load_b128 v[6:9], off, off offset:848
	v_add_f64 v[48:49], v[48:49], v[169:170]
	v_add_f64 v[62:63], v[62:63], v[167:168]
	v_fma_f64 v[82:83], v[4:5], v[10:11], v[82:83]
	v_fma_f64 v[167:168], v[2:3], v[10:11], -v[12:13]
	scratch_load_b128 v[10:13], off, off offset:864
	ds_load_b128 v[2:5], v1 offset:1680
	s_waitcnt vmcnt(9) lgkmcnt(1)
	v_mul_f64 v[165:166], v[58:59], v[16:17]
	v_mul_f64 v[16:17], v[60:61], v[16:17]
	v_add_f64 v[169:170], v[48:49], v[50:51]
	v_add_f64 v[52:53], v[62:63], v[52:53]
	s_waitcnt vmcnt(8) lgkmcnt(0)
	v_mul_f64 v[62:63], v[2:3], v[20:21]
	v_mul_f64 v[20:21], v[4:5], v[20:21]
	ds_load_b128 v[48:51], v1 offset:1696
	v_fma_f64 v[60:61], v[60:61], v[14:15], v[165:166]
	v_fma_f64 v[58:59], v[58:59], v[14:15], -v[16:17]
	scratch_load_b128 v[14:17], off, off offset:880
	v_add_f64 v[165:166], v[169:170], v[167:168]
	v_add_f64 v[52:53], v[52:53], v[82:83]
	v_fma_f64 v[62:63], v[4:5], v[18:19], v[62:63]
	v_fma_f64 v[167:168], v[2:3], v[18:19], -v[20:21]
	scratch_load_b128 v[18:21], off, off offset:896
	ds_load_b128 v[2:5], v1 offset:1712
	s_waitcnt vmcnt(9) lgkmcnt(1)
	v_mul_f64 v[82:83], v[48:49], v[24:25]
	v_mul_f64 v[24:25], v[50:51], v[24:25]
	s_waitcnt vmcnt(8) lgkmcnt(0)
	v_mul_f64 v[169:170], v[2:3], v[28:29]
	v_mul_f64 v[28:29], v[4:5], v[28:29]
	v_add_f64 v[165:166], v[165:166], v[58:59]
	v_add_f64 v[52:53], v[52:53], v[60:61]
	ds_load_b128 v[58:61], v1 offset:1728
	v_fma_f64 v[50:51], v[50:51], v[22:23], v[82:83]
	v_fma_f64 v[48:49], v[48:49], v[22:23], -v[24:25]
	scratch_load_b128 v[22:25], off, off offset:912
	v_add_f64 v[82:83], v[165:166], v[167:168]
	v_add_f64 v[52:53], v[52:53], v[62:63]
	v_fma_f64 v[165:166], v[4:5], v[26:27], v[169:170]
	v_fma_f64 v[167:168], v[2:3], v[26:27], -v[28:29]
	scratch_load_b128 v[26:29], off, off offset:928
	ds_load_b128 v[2:5], v1 offset:1744
	s_waitcnt vmcnt(9) lgkmcnt(1)
	v_mul_f64 v[62:63], v[58:59], v[32:33]
	v_mul_f64 v[32:33], v[60:61], v[32:33]
	s_waitcnt vmcnt(8) lgkmcnt(0)
	v_mul_f64 v[169:170], v[2:3], v[36:37]
	v_mul_f64 v[36:37], v[4:5], v[36:37]
	v_add_f64 v[82:83], v[82:83], v[48:49]
	v_add_f64 v[52:53], v[52:53], v[50:51]
	ds_load_b128 v[48:51], v1 offset:1760
	v_fma_f64 v[60:61], v[60:61], v[30:31], v[62:63]
	v_fma_f64 v[30:31], v[58:59], v[30:31], -v[32:33]
	v_fma_f64 v[62:63], v[4:5], v[34:35], v[169:170]
	v_fma_f64 v[34:35], v[2:3], v[34:35], -v[36:37]
	v_add_f64 v[32:33], v[82:83], v[167:168]
	v_add_f64 v[52:53], v[52:53], v[165:166]
	s_waitcnt vmcnt(7) lgkmcnt(0)
	v_mul_f64 v[58:59], v[48:49], v[56:57]
	v_mul_f64 v[56:57], v[50:51], v[56:57]
	s_delay_alu instid0(VALU_DEP_4) | instskip(NEXT) | instid1(VALU_DEP_4)
	v_add_f64 v[36:37], v[32:33], v[30:31]
	v_add_f64 v[52:53], v[52:53], v[60:61]
	ds_load_b128 v[2:5], v1 offset:1776
	ds_load_b128 v[30:33], v1 offset:1792
	v_fma_f64 v[50:51], v[50:51], v[54:55], v[58:59]
	v_fma_f64 v[48:49], v[48:49], v[54:55], -v[56:57]
	s_waitcnt vmcnt(6) lgkmcnt(1)
	v_mul_f64 v[60:61], v[2:3], v[40:41]
	v_mul_f64 v[40:41], v[4:5], v[40:41]
	v_add_f64 v[34:35], v[36:37], v[34:35]
	v_add_f64 v[36:37], v[52:53], v[62:63]
	s_waitcnt vmcnt(5) lgkmcnt(0)
	v_mul_f64 v[52:53], v[30:31], v[8:9]
	v_mul_f64 v[8:9], v[32:33], v[8:9]
	v_fma_f64 v[54:55], v[4:5], v[38:39], v[60:61]
	v_fma_f64 v[38:39], v[2:3], v[38:39], -v[40:41]
	v_add_f64 v[40:41], v[34:35], v[48:49]
	v_add_f64 v[48:49], v[36:37], v[50:51]
	ds_load_b128 v[2:5], v1 offset:1808
	ds_load_b128 v[34:37], v1 offset:1824
	v_fma_f64 v[32:33], v[32:33], v[6:7], v[52:53]
	v_fma_f64 v[6:7], v[30:31], v[6:7], -v[8:9]
	s_waitcnt vmcnt(4) lgkmcnt(1)
	v_mul_f64 v[50:51], v[2:3], v[12:13]
	v_mul_f64 v[12:13], v[4:5], v[12:13]
	v_add_f64 v[8:9], v[40:41], v[38:39]
	v_add_f64 v[30:31], v[48:49], v[54:55]
	s_waitcnt vmcnt(3) lgkmcnt(0)
	v_mul_f64 v[38:39], v[34:35], v[16:17]
	v_mul_f64 v[16:17], v[36:37], v[16:17]
	v_fma_f64 v[40:41], v[4:5], v[10:11], v[50:51]
	v_fma_f64 v[10:11], v[2:3], v[10:11], -v[12:13]
	v_add_f64 v[12:13], v[8:9], v[6:7]
	v_add_f64 v[30:31], v[30:31], v[32:33]
	ds_load_b128 v[2:5], v1 offset:1840
	ds_load_b128 v[6:9], v1 offset:1856
	v_fma_f64 v[36:37], v[36:37], v[14:15], v[38:39]
	v_fma_f64 v[14:15], v[34:35], v[14:15], -v[16:17]
	s_waitcnt vmcnt(2) lgkmcnt(1)
	v_mul_f64 v[32:33], v[2:3], v[20:21]
	v_mul_f64 v[20:21], v[4:5], v[20:21]
	s_waitcnt vmcnt(1) lgkmcnt(0)
	v_mul_f64 v[16:17], v[6:7], v[24:25]
	v_mul_f64 v[24:25], v[8:9], v[24:25]
	v_add_f64 v[10:11], v[12:13], v[10:11]
	v_add_f64 v[12:13], v[30:31], v[40:41]
	v_fma_f64 v[30:31], v[4:5], v[18:19], v[32:33]
	v_fma_f64 v[18:19], v[2:3], v[18:19], -v[20:21]
	ds_load_b128 v[2:5], v1 offset:1872
	v_fma_f64 v[8:9], v[8:9], v[22:23], v[16:17]
	v_fma_f64 v[6:7], v[6:7], v[22:23], -v[24:25]
	v_add_f64 v[10:11], v[10:11], v[14:15]
	v_add_f64 v[12:13], v[12:13], v[36:37]
	s_waitcnt vmcnt(0) lgkmcnt(0)
	v_mul_f64 v[14:15], v[2:3], v[28:29]
	v_mul_f64 v[20:21], v[4:5], v[28:29]
	s_delay_alu instid0(VALU_DEP_4) | instskip(NEXT) | instid1(VALU_DEP_4)
	v_add_f64 v[10:11], v[10:11], v[18:19]
	v_add_f64 v[12:13], v[12:13], v[30:31]
	s_delay_alu instid0(VALU_DEP_4) | instskip(NEXT) | instid1(VALU_DEP_4)
	v_fma_f64 v[4:5], v[4:5], v[26:27], v[14:15]
	v_fma_f64 v[2:3], v[2:3], v[26:27], -v[20:21]
	s_delay_alu instid0(VALU_DEP_4) | instskip(NEXT) | instid1(VALU_DEP_4)
	v_add_f64 v[6:7], v[10:11], v[6:7]
	v_add_f64 v[8:9], v[12:13], v[8:9]
	s_delay_alu instid0(VALU_DEP_2) | instskip(NEXT) | instid1(VALU_DEP_2)
	v_add_f64 v[2:3], v[6:7], v[2:3]
	v_add_f64 v[4:5], v[8:9], v[4:5]
	s_delay_alu instid0(VALU_DEP_2) | instskip(NEXT) | instid1(VALU_DEP_2)
	v_add_f64 v[2:3], v[42:43], -v[2:3]
	v_add_f64 v[4:5], v[44:45], -v[4:5]
	scratch_store_b128 off, v[2:5], off offset:176
	v_cmpx_lt_u32_e32 10, v164
	s_cbranch_execz .LBB122_347
; %bb.346:
	scratch_load_b128 v[5:8], v213, off
	v_mov_b32_e32 v2, v1
	v_mov_b32_e32 v3, v1
	v_mov_b32_e32 v4, v1
	scratch_store_b128 off, v[1:4], off offset:160
	s_waitcnt vmcnt(0)
	ds_store_b128 v223, v[5:8]
.LBB122_347:
	s_or_b32 exec_lo, exec_lo, s2
	s_waitcnt lgkmcnt(0)
	s_waitcnt_vscnt null, 0x0
	s_barrier
	buffer_gl0_inv
	s_clause 0x8
	scratch_load_b128 v[2:5], off, off offset:176
	scratch_load_b128 v[6:9], off, off offset:192
	;; [unrolled: 1-line block ×9, first 2 shown]
	ds_load_b128 v[42:45], v1 offset:1120
	ds_load_b128 v[38:41], v1 offset:1136
	s_clause 0x1
	scratch_load_b128 v[48:51], off, off offset:160
	scratch_load_b128 v[52:55], off, off offset:320
	s_mov_b32 s2, exec_lo
	s_waitcnt vmcnt(10) lgkmcnt(1)
	v_mul_f64 v[56:57], v[44:45], v[4:5]
	v_mul_f64 v[4:5], v[42:43], v[4:5]
	s_waitcnt vmcnt(9) lgkmcnt(0)
	v_mul_f64 v[60:61], v[38:39], v[8:9]
	v_mul_f64 v[8:9], v[40:41], v[8:9]
	s_delay_alu instid0(VALU_DEP_4) | instskip(NEXT) | instid1(VALU_DEP_4)
	v_fma_f64 v[62:63], v[42:43], v[2:3], -v[56:57]
	v_fma_f64 v[82:83], v[44:45], v[2:3], v[4:5]
	ds_load_b128 v[2:5], v1 offset:1152
	ds_load_b128 v[56:59], v1 offset:1168
	scratch_load_b128 v[42:45], off, off offset:336
	v_fma_f64 v[40:41], v[40:41], v[6:7], v[60:61]
	v_fma_f64 v[38:39], v[38:39], v[6:7], -v[8:9]
	scratch_load_b128 v[6:9], off, off offset:352
	s_waitcnt vmcnt(10) lgkmcnt(1)
	v_mul_f64 v[165:166], v[2:3], v[12:13]
	v_mul_f64 v[12:13], v[4:5], v[12:13]
	v_add_f64 v[60:61], v[62:63], 0
	v_add_f64 v[62:63], v[82:83], 0
	s_waitcnt vmcnt(9) lgkmcnt(0)
	v_mul_f64 v[82:83], v[56:57], v[16:17]
	v_mul_f64 v[16:17], v[58:59], v[16:17]
	v_fma_f64 v[165:166], v[4:5], v[10:11], v[165:166]
	v_fma_f64 v[167:168], v[2:3], v[10:11], -v[12:13]
	ds_load_b128 v[2:5], v1 offset:1184
	scratch_load_b128 v[10:13], off, off offset:368
	v_add_f64 v[60:61], v[60:61], v[38:39]
	v_add_f64 v[62:63], v[62:63], v[40:41]
	ds_load_b128 v[38:41], v1 offset:1200
	v_fma_f64 v[58:59], v[58:59], v[14:15], v[82:83]
	v_fma_f64 v[56:57], v[56:57], v[14:15], -v[16:17]
	scratch_load_b128 v[14:17], off, off offset:384
	s_waitcnt vmcnt(10) lgkmcnt(1)
	v_mul_f64 v[169:170], v[2:3], v[20:21]
	v_mul_f64 v[20:21], v[4:5], v[20:21]
	s_waitcnt vmcnt(9) lgkmcnt(0)
	v_mul_f64 v[82:83], v[38:39], v[24:25]
	v_mul_f64 v[24:25], v[40:41], v[24:25]
	v_add_f64 v[60:61], v[60:61], v[167:168]
	v_add_f64 v[62:63], v[62:63], v[165:166]
	v_fma_f64 v[165:166], v[4:5], v[18:19], v[169:170]
	v_fma_f64 v[167:168], v[2:3], v[18:19], -v[20:21]
	ds_load_b128 v[2:5], v1 offset:1216
	scratch_load_b128 v[18:21], off, off offset:400
	v_fma_f64 v[40:41], v[40:41], v[22:23], v[82:83]
	v_fma_f64 v[38:39], v[38:39], v[22:23], -v[24:25]
	scratch_load_b128 v[22:25], off, off offset:416
	v_add_f64 v[60:61], v[60:61], v[56:57]
	v_add_f64 v[62:63], v[62:63], v[58:59]
	ds_load_b128 v[56:59], v1 offset:1232
	s_waitcnt vmcnt(10) lgkmcnt(1)
	v_mul_f64 v[169:170], v[2:3], v[28:29]
	v_mul_f64 v[28:29], v[4:5], v[28:29]
	s_waitcnt vmcnt(9) lgkmcnt(0)
	v_mul_f64 v[82:83], v[56:57], v[32:33]
	v_mul_f64 v[32:33], v[58:59], v[32:33]
	v_add_f64 v[60:61], v[60:61], v[167:168]
	v_add_f64 v[62:63], v[62:63], v[165:166]
	v_fma_f64 v[165:166], v[4:5], v[26:27], v[169:170]
	v_fma_f64 v[167:168], v[2:3], v[26:27], -v[28:29]
	ds_load_b128 v[2:5], v1 offset:1248
	scratch_load_b128 v[26:29], off, off offset:432
	v_fma_f64 v[58:59], v[58:59], v[30:31], v[82:83]
	v_fma_f64 v[56:57], v[56:57], v[30:31], -v[32:33]
	scratch_load_b128 v[30:33], off, off offset:448
	v_add_f64 v[60:61], v[60:61], v[38:39]
	v_add_f64 v[62:63], v[62:63], v[40:41]
	ds_load_b128 v[38:41], v1 offset:1264
	s_waitcnt vmcnt(10) lgkmcnt(1)
	v_mul_f64 v[169:170], v[2:3], v[36:37]
	v_mul_f64 v[36:37], v[4:5], v[36:37]
	s_waitcnt vmcnt(8) lgkmcnt(0)
	v_mul_f64 v[82:83], v[38:39], v[54:55]
	v_add_f64 v[60:61], v[60:61], v[167:168]
	v_add_f64 v[62:63], v[62:63], v[165:166]
	v_mul_f64 v[165:166], v[40:41], v[54:55]
	v_fma_f64 v[167:168], v[4:5], v[34:35], v[169:170]
	v_fma_f64 v[169:170], v[2:3], v[34:35], -v[36:37]
	ds_load_b128 v[2:5], v1 offset:1280
	scratch_load_b128 v[34:37], off, off offset:464
	v_fma_f64 v[82:83], v[40:41], v[52:53], v[82:83]
	v_add_f64 v[60:61], v[60:61], v[56:57]
	v_add_f64 v[58:59], v[62:63], v[58:59]
	ds_load_b128 v[54:57], v1 offset:1296
	v_fma_f64 v[52:53], v[38:39], v[52:53], -v[165:166]
	scratch_load_b128 v[38:41], off, off offset:480
	s_waitcnt vmcnt(9) lgkmcnt(1)
	v_mul_f64 v[62:63], v[2:3], v[44:45]
	v_mul_f64 v[44:45], v[4:5], v[44:45]
	s_waitcnt vmcnt(8) lgkmcnt(0)
	v_mul_f64 v[165:166], v[54:55], v[8:9]
	v_mul_f64 v[8:9], v[56:57], v[8:9]
	v_add_f64 v[60:61], v[60:61], v[169:170]
	v_add_f64 v[58:59], v[58:59], v[167:168]
	v_fma_f64 v[62:63], v[4:5], v[42:43], v[62:63]
	v_fma_f64 v[167:168], v[2:3], v[42:43], -v[44:45]
	ds_load_b128 v[2:5], v1 offset:1312
	scratch_load_b128 v[42:45], off, off offset:496
	v_fma_f64 v[56:57], v[56:57], v[6:7], v[165:166]
	v_fma_f64 v[54:55], v[54:55], v[6:7], -v[8:9]
	scratch_load_b128 v[6:9], off, off offset:512
	v_add_f64 v[52:53], v[60:61], v[52:53]
	v_add_f64 v[82:83], v[58:59], v[82:83]
	ds_load_b128 v[58:61], v1 offset:1328
	s_waitcnt vmcnt(9) lgkmcnt(1)
	v_mul_f64 v[169:170], v[2:3], v[12:13]
	v_mul_f64 v[12:13], v[4:5], v[12:13]
	v_add_f64 v[52:53], v[52:53], v[167:168]
	v_add_f64 v[62:63], v[82:83], v[62:63]
	s_waitcnt vmcnt(8) lgkmcnt(0)
	v_mul_f64 v[82:83], v[58:59], v[16:17]
	v_mul_f64 v[16:17], v[60:61], v[16:17]
	v_fma_f64 v[165:166], v[4:5], v[10:11], v[169:170]
	v_fma_f64 v[167:168], v[2:3], v[10:11], -v[12:13]
	ds_load_b128 v[2:5], v1 offset:1344
	scratch_load_b128 v[10:13], off, off offset:528
	v_add_f64 v[169:170], v[52:53], v[54:55]
	v_add_f64 v[56:57], v[62:63], v[56:57]
	ds_load_b128 v[52:55], v1 offset:1360
	s_waitcnt vmcnt(8) lgkmcnt(1)
	v_mul_f64 v[62:63], v[2:3], v[20:21]
	v_mul_f64 v[20:21], v[4:5], v[20:21]
	v_fma_f64 v[60:61], v[60:61], v[14:15], v[82:83]
	v_fma_f64 v[58:59], v[58:59], v[14:15], -v[16:17]
	scratch_load_b128 v[14:17], off, off offset:544
	v_add_f64 v[82:83], v[169:170], v[167:168]
	v_add_f64 v[56:57], v[56:57], v[165:166]
	s_waitcnt vmcnt(8) lgkmcnt(0)
	v_mul_f64 v[165:166], v[52:53], v[24:25]
	v_mul_f64 v[24:25], v[54:55], v[24:25]
	v_fma_f64 v[62:63], v[4:5], v[18:19], v[62:63]
	v_fma_f64 v[167:168], v[2:3], v[18:19], -v[20:21]
	ds_load_b128 v[2:5], v1 offset:1376
	scratch_load_b128 v[18:21], off, off offset:560
	v_add_f64 v[82:83], v[82:83], v[58:59]
	v_add_f64 v[60:61], v[56:57], v[60:61]
	ds_load_b128 v[56:59], v1 offset:1392
	s_waitcnt vmcnt(8) lgkmcnt(1)
	v_mul_f64 v[169:170], v[2:3], v[28:29]
	v_mul_f64 v[28:29], v[4:5], v[28:29]
	v_fma_f64 v[54:55], v[54:55], v[22:23], v[165:166]
	v_fma_f64 v[52:53], v[52:53], v[22:23], -v[24:25]
	scratch_load_b128 v[22:25], off, off offset:576
	;; [unrolled: 18-line block ×4, first 2 shown]
	s_waitcnt vmcnt(8) lgkmcnt(0)
	v_mul_f64 v[82:83], v[56:57], v[8:9]
	v_mul_f64 v[8:9], v[58:59], v[8:9]
	v_add_f64 v[62:63], v[62:63], v[167:168]
	v_add_f64 v[60:61], v[60:61], v[165:166]
	v_fma_f64 v[165:166], v[4:5], v[42:43], v[169:170]
	v_fma_f64 v[167:168], v[2:3], v[42:43], -v[44:45]
	ds_load_b128 v[2:5], v1 offset:1472
	scratch_load_b128 v[42:45], off, off offset:656
	v_fma_f64 v[58:59], v[58:59], v[6:7], v[82:83]
	v_fma_f64 v[56:57], v[56:57], v[6:7], -v[8:9]
	scratch_load_b128 v[6:9], off, off offset:672
	v_add_f64 v[62:63], v[62:63], v[52:53]
	v_add_f64 v[60:61], v[60:61], v[54:55]
	ds_load_b128 v[52:55], v1 offset:1488
	s_waitcnt vmcnt(9) lgkmcnt(1)
	v_mul_f64 v[169:170], v[2:3], v[12:13]
	v_mul_f64 v[12:13], v[4:5], v[12:13]
	s_waitcnt vmcnt(8) lgkmcnt(0)
	v_mul_f64 v[82:83], v[52:53], v[16:17]
	v_mul_f64 v[16:17], v[54:55], v[16:17]
	v_add_f64 v[62:63], v[62:63], v[167:168]
	v_add_f64 v[60:61], v[60:61], v[165:166]
	v_fma_f64 v[165:166], v[4:5], v[10:11], v[169:170]
	v_fma_f64 v[167:168], v[2:3], v[10:11], -v[12:13]
	ds_load_b128 v[2:5], v1 offset:1504
	scratch_load_b128 v[10:13], off, off offset:688
	v_fma_f64 v[54:55], v[54:55], v[14:15], v[82:83]
	v_fma_f64 v[52:53], v[52:53], v[14:15], -v[16:17]
	scratch_load_b128 v[14:17], off, off offset:704
	v_add_f64 v[62:63], v[62:63], v[56:57]
	v_add_f64 v[60:61], v[60:61], v[58:59]
	ds_load_b128 v[56:59], v1 offset:1520
	s_waitcnt vmcnt(9) lgkmcnt(1)
	v_mul_f64 v[169:170], v[2:3], v[20:21]
	v_mul_f64 v[20:21], v[4:5], v[20:21]
	;; [unrolled: 18-line block ×9, first 2 shown]
	s_waitcnt vmcnt(8) lgkmcnt(0)
	v_mul_f64 v[82:83], v[52:53], v[40:41]
	v_mul_f64 v[40:41], v[54:55], v[40:41]
	v_add_f64 v[62:63], v[62:63], v[167:168]
	v_add_f64 v[60:61], v[60:61], v[165:166]
	v_fma_f64 v[165:166], v[4:5], v[34:35], v[169:170]
	v_fma_f64 v[167:168], v[2:3], v[34:35], -v[36:37]
	ds_load_b128 v[2:5], v1 offset:1760
	ds_load_b128 v[34:37], v1 offset:1776
	v_fma_f64 v[54:55], v[54:55], v[38:39], v[82:83]
	v_fma_f64 v[38:39], v[52:53], v[38:39], -v[40:41]
	v_add_f64 v[56:57], v[62:63], v[56:57]
	v_add_f64 v[58:59], v[60:61], v[58:59]
	s_waitcnt vmcnt(7) lgkmcnt(1)
	v_mul_f64 v[60:61], v[2:3], v[44:45]
	v_mul_f64 v[44:45], v[4:5], v[44:45]
	s_delay_alu instid0(VALU_DEP_4) | instskip(NEXT) | instid1(VALU_DEP_4)
	v_add_f64 v[40:41], v[56:57], v[167:168]
	v_add_f64 v[52:53], v[58:59], v[165:166]
	s_waitcnt vmcnt(6) lgkmcnt(0)
	v_mul_f64 v[56:57], v[34:35], v[8:9]
	v_mul_f64 v[8:9], v[36:37], v[8:9]
	v_fma_f64 v[58:59], v[4:5], v[42:43], v[60:61]
	v_fma_f64 v[42:43], v[2:3], v[42:43], -v[44:45]
	v_add_f64 v[44:45], v[40:41], v[38:39]
	v_add_f64 v[52:53], v[52:53], v[54:55]
	ds_load_b128 v[2:5], v1 offset:1792
	ds_load_b128 v[38:41], v1 offset:1808
	v_fma_f64 v[36:37], v[36:37], v[6:7], v[56:57]
	v_fma_f64 v[6:7], v[34:35], v[6:7], -v[8:9]
	s_waitcnt vmcnt(5) lgkmcnt(1)
	v_mul_f64 v[54:55], v[2:3], v[12:13]
	v_mul_f64 v[12:13], v[4:5], v[12:13]
	v_add_f64 v[8:9], v[44:45], v[42:43]
	v_add_f64 v[34:35], v[52:53], v[58:59]
	s_waitcnt vmcnt(4) lgkmcnt(0)
	v_mul_f64 v[42:43], v[38:39], v[16:17]
	v_mul_f64 v[16:17], v[40:41], v[16:17]
	v_fma_f64 v[44:45], v[4:5], v[10:11], v[54:55]
	v_fma_f64 v[10:11], v[2:3], v[10:11], -v[12:13]
	v_add_f64 v[12:13], v[8:9], v[6:7]
	v_add_f64 v[34:35], v[34:35], v[36:37]
	ds_load_b128 v[2:5], v1 offset:1824
	ds_load_b128 v[6:9], v1 offset:1840
	v_fma_f64 v[40:41], v[40:41], v[14:15], v[42:43]
	v_fma_f64 v[14:15], v[38:39], v[14:15], -v[16:17]
	s_waitcnt vmcnt(3) lgkmcnt(1)
	v_mul_f64 v[36:37], v[2:3], v[20:21]
	v_mul_f64 v[20:21], v[4:5], v[20:21]
	s_waitcnt vmcnt(2) lgkmcnt(0)
	v_mul_f64 v[16:17], v[6:7], v[24:25]
	v_mul_f64 v[24:25], v[8:9], v[24:25]
	v_add_f64 v[10:11], v[12:13], v[10:11]
	v_add_f64 v[12:13], v[34:35], v[44:45]
	v_fma_f64 v[34:35], v[4:5], v[18:19], v[36:37]
	v_fma_f64 v[18:19], v[2:3], v[18:19], -v[20:21]
	v_fma_f64 v[8:9], v[8:9], v[22:23], v[16:17]
	v_fma_f64 v[6:7], v[6:7], v[22:23], -v[24:25]
	v_add_f64 v[14:15], v[10:11], v[14:15]
	v_add_f64 v[20:21], v[12:13], v[40:41]
	ds_load_b128 v[2:5], v1 offset:1856
	ds_load_b128 v[10:13], v1 offset:1872
	s_waitcnt vmcnt(1) lgkmcnt(1)
	v_mul_f64 v[36:37], v[2:3], v[28:29]
	v_mul_f64 v[28:29], v[4:5], v[28:29]
	v_add_f64 v[14:15], v[14:15], v[18:19]
	v_add_f64 v[16:17], v[20:21], v[34:35]
	s_waitcnt vmcnt(0) lgkmcnt(0)
	v_mul_f64 v[18:19], v[10:11], v[32:33]
	v_mul_f64 v[20:21], v[12:13], v[32:33]
	v_fma_f64 v[4:5], v[4:5], v[26:27], v[36:37]
	v_fma_f64 v[1:2], v[2:3], v[26:27], -v[28:29]
	v_add_f64 v[6:7], v[14:15], v[6:7]
	v_add_f64 v[8:9], v[16:17], v[8:9]
	v_fma_f64 v[12:13], v[12:13], v[30:31], v[18:19]
	v_fma_f64 v[10:11], v[10:11], v[30:31], -v[20:21]
	s_delay_alu instid0(VALU_DEP_4) | instskip(NEXT) | instid1(VALU_DEP_4)
	v_add_f64 v[1:2], v[6:7], v[1:2]
	v_add_f64 v[3:4], v[8:9], v[4:5]
	s_delay_alu instid0(VALU_DEP_2) | instskip(NEXT) | instid1(VALU_DEP_2)
	v_add_f64 v[1:2], v[1:2], v[10:11]
	v_add_f64 v[3:4], v[3:4], v[12:13]
	s_delay_alu instid0(VALU_DEP_2) | instskip(NEXT) | instid1(VALU_DEP_2)
	v_add_f64 v[1:2], v[48:49], -v[1:2]
	v_add_f64 v[3:4], v[50:51], -v[3:4]
	scratch_store_b128 off, v[1:4], off offset:160
	v_cmpx_lt_u32_e32 9, v164
	s_cbranch_execz .LBB122_349
; %bb.348:
	scratch_load_b128 v[1:4], v214, off
	v_mov_b32_e32 v5, 0
	s_delay_alu instid0(VALU_DEP_1)
	v_mov_b32_e32 v6, v5
	v_mov_b32_e32 v7, v5
	;; [unrolled: 1-line block ×3, first 2 shown]
	scratch_store_b128 off, v[5:8], off offset:144
	s_waitcnt vmcnt(0)
	ds_store_b128 v223, v[1:4]
.LBB122_349:
	s_or_b32 exec_lo, exec_lo, s2
	s_waitcnt lgkmcnt(0)
	s_waitcnt_vscnt null, 0x0
	s_barrier
	buffer_gl0_inv
	s_clause 0x7
	scratch_load_b128 v[2:5], off, off offset:160
	scratch_load_b128 v[6:9], off, off offset:176
	scratch_load_b128 v[10:13], off, off offset:192
	scratch_load_b128 v[14:17], off, off offset:208
	scratch_load_b128 v[18:21], off, off offset:224
	scratch_load_b128 v[22:25], off, off offset:240
	scratch_load_b128 v[26:29], off, off offset:256
	scratch_load_b128 v[30:33], off, off offset:272
	v_mov_b32_e32 v1, 0
	s_mov_b32 s2, exec_lo
	ds_load_b128 v[38:41], v1 offset:1104
	s_clause 0x1
	scratch_load_b128 v[34:37], off, off offset:288
	scratch_load_b128 v[42:45], off, off offset:144
	ds_load_b128 v[48:51], v1 offset:1120
	scratch_load_b128 v[52:55], off, off offset:304
	s_waitcnt vmcnt(10) lgkmcnt(1)
	v_mul_f64 v[56:57], v[40:41], v[4:5]
	v_mul_f64 v[4:5], v[38:39], v[4:5]
	s_delay_alu instid0(VALU_DEP_2) | instskip(NEXT) | instid1(VALU_DEP_2)
	v_fma_f64 v[62:63], v[38:39], v[2:3], -v[56:57]
	v_fma_f64 v[82:83], v[40:41], v[2:3], v[4:5]
	scratch_load_b128 v[38:41], off, off offset:320
	ds_load_b128 v[2:5], v1 offset:1136
	s_waitcnt vmcnt(10) lgkmcnt(1)
	v_mul_f64 v[60:61], v[48:49], v[8:9]
	v_mul_f64 v[8:9], v[50:51], v[8:9]
	ds_load_b128 v[56:59], v1 offset:1152
	s_waitcnt vmcnt(9) lgkmcnt(1)
	v_mul_f64 v[165:166], v[2:3], v[12:13]
	v_mul_f64 v[12:13], v[4:5], v[12:13]
	v_fma_f64 v[50:51], v[50:51], v[6:7], v[60:61]
	v_fma_f64 v[48:49], v[48:49], v[6:7], -v[8:9]
	v_add_f64 v[60:61], v[62:63], 0
	v_add_f64 v[62:63], v[82:83], 0
	scratch_load_b128 v[6:9], off, off offset:336
	v_fma_f64 v[165:166], v[4:5], v[10:11], v[165:166]
	v_fma_f64 v[167:168], v[2:3], v[10:11], -v[12:13]
	scratch_load_b128 v[10:13], off, off offset:352
	ds_load_b128 v[2:5], v1 offset:1168
	s_waitcnt vmcnt(10) lgkmcnt(1)
	v_mul_f64 v[82:83], v[56:57], v[16:17]
	v_mul_f64 v[16:17], v[58:59], v[16:17]
	v_add_f64 v[60:61], v[60:61], v[48:49]
	v_add_f64 v[62:63], v[62:63], v[50:51]
	s_waitcnt vmcnt(9) lgkmcnt(0)
	v_mul_f64 v[169:170], v[2:3], v[20:21]
	v_mul_f64 v[20:21], v[4:5], v[20:21]
	ds_load_b128 v[48:51], v1 offset:1184
	v_fma_f64 v[58:59], v[58:59], v[14:15], v[82:83]
	v_fma_f64 v[56:57], v[56:57], v[14:15], -v[16:17]
	scratch_load_b128 v[14:17], off, off offset:368
	v_add_f64 v[60:61], v[60:61], v[167:168]
	v_add_f64 v[62:63], v[62:63], v[165:166]
	v_fma_f64 v[165:166], v[4:5], v[18:19], v[169:170]
	v_fma_f64 v[167:168], v[2:3], v[18:19], -v[20:21]
	scratch_load_b128 v[18:21], off, off offset:384
	ds_load_b128 v[2:5], v1 offset:1200
	s_waitcnt vmcnt(10) lgkmcnt(1)
	v_mul_f64 v[82:83], v[48:49], v[24:25]
	v_mul_f64 v[24:25], v[50:51], v[24:25]
	s_waitcnt vmcnt(9) lgkmcnt(0)
	v_mul_f64 v[169:170], v[2:3], v[28:29]
	v_mul_f64 v[28:29], v[4:5], v[28:29]
	v_add_f64 v[60:61], v[60:61], v[56:57]
	v_add_f64 v[62:63], v[62:63], v[58:59]
	ds_load_b128 v[56:59], v1 offset:1216
	v_fma_f64 v[50:51], v[50:51], v[22:23], v[82:83]
	v_fma_f64 v[48:49], v[48:49], v[22:23], -v[24:25]
	scratch_load_b128 v[22:25], off, off offset:400
	v_add_f64 v[60:61], v[60:61], v[167:168]
	v_add_f64 v[62:63], v[62:63], v[165:166]
	v_fma_f64 v[165:166], v[4:5], v[26:27], v[169:170]
	v_fma_f64 v[167:168], v[2:3], v[26:27], -v[28:29]
	scratch_load_b128 v[26:29], off, off offset:416
	ds_load_b128 v[2:5], v1 offset:1232
	s_waitcnt vmcnt(10) lgkmcnt(1)
	v_mul_f64 v[82:83], v[56:57], v[32:33]
	v_mul_f64 v[32:33], v[58:59], v[32:33]
	s_waitcnt vmcnt(9) lgkmcnt(0)
	v_mul_f64 v[169:170], v[2:3], v[36:37]
	v_mul_f64 v[36:37], v[4:5], v[36:37]
	v_add_f64 v[60:61], v[60:61], v[48:49]
	v_add_f64 v[62:63], v[62:63], v[50:51]
	ds_load_b128 v[48:51], v1 offset:1248
	v_fma_f64 v[58:59], v[58:59], v[30:31], v[82:83]
	v_fma_f64 v[56:57], v[56:57], v[30:31], -v[32:33]
	scratch_load_b128 v[30:33], off, off offset:432
	v_add_f64 v[60:61], v[60:61], v[167:168]
	v_add_f64 v[62:63], v[62:63], v[165:166]
	v_fma_f64 v[167:168], v[4:5], v[34:35], v[169:170]
	v_fma_f64 v[169:170], v[2:3], v[34:35], -v[36:37]
	scratch_load_b128 v[34:37], off, off offset:448
	ds_load_b128 v[2:5], v1 offset:1264
	s_waitcnt vmcnt(9) lgkmcnt(1)
	v_mul_f64 v[82:83], v[48:49], v[54:55]
	v_mul_f64 v[165:166], v[50:51], v[54:55]
	v_add_f64 v[60:61], v[60:61], v[56:57]
	v_add_f64 v[58:59], v[62:63], v[58:59]
	ds_load_b128 v[54:57], v1 offset:1280
	v_fma_f64 v[82:83], v[50:51], v[52:53], v[82:83]
	v_fma_f64 v[52:53], v[48:49], v[52:53], -v[165:166]
	scratch_load_b128 v[48:51], off, off offset:464
	s_waitcnt vmcnt(9) lgkmcnt(1)
	v_mul_f64 v[62:63], v[2:3], v[40:41]
	v_mul_f64 v[40:41], v[4:5], v[40:41]
	v_add_f64 v[60:61], v[60:61], v[169:170]
	v_add_f64 v[58:59], v[58:59], v[167:168]
	s_delay_alu instid0(VALU_DEP_4) | instskip(NEXT) | instid1(VALU_DEP_4)
	v_fma_f64 v[62:63], v[4:5], v[38:39], v[62:63]
	v_fma_f64 v[167:168], v[2:3], v[38:39], -v[40:41]
	scratch_load_b128 v[38:41], off, off offset:480
	ds_load_b128 v[2:5], v1 offset:1296
	s_waitcnt vmcnt(9) lgkmcnt(1)
	v_mul_f64 v[165:166], v[54:55], v[8:9]
	v_mul_f64 v[8:9], v[56:57], v[8:9]
	s_waitcnt vmcnt(8) lgkmcnt(0)
	v_mul_f64 v[169:170], v[2:3], v[12:13]
	v_mul_f64 v[12:13], v[4:5], v[12:13]
	v_add_f64 v[52:53], v[60:61], v[52:53]
	v_add_f64 v[82:83], v[58:59], v[82:83]
	ds_load_b128 v[58:61], v1 offset:1312
	v_fma_f64 v[56:57], v[56:57], v[6:7], v[165:166]
	v_fma_f64 v[54:55], v[54:55], v[6:7], -v[8:9]
	scratch_load_b128 v[6:9], off, off offset:496
	v_fma_f64 v[165:166], v[4:5], v[10:11], v[169:170]
	v_add_f64 v[52:53], v[52:53], v[167:168]
	v_add_f64 v[62:63], v[82:83], v[62:63]
	v_fma_f64 v[167:168], v[2:3], v[10:11], -v[12:13]
	scratch_load_b128 v[10:13], off, off offset:512
	ds_load_b128 v[2:5], v1 offset:1328
	s_waitcnt vmcnt(9) lgkmcnt(1)
	v_mul_f64 v[82:83], v[58:59], v[16:17]
	v_mul_f64 v[16:17], v[60:61], v[16:17]
	v_add_f64 v[169:170], v[52:53], v[54:55]
	v_add_f64 v[56:57], v[62:63], v[56:57]
	s_waitcnt vmcnt(8) lgkmcnt(0)
	v_mul_f64 v[62:63], v[2:3], v[20:21]
	v_mul_f64 v[20:21], v[4:5], v[20:21]
	ds_load_b128 v[52:55], v1 offset:1344
	v_fma_f64 v[60:61], v[60:61], v[14:15], v[82:83]
	v_fma_f64 v[58:59], v[58:59], v[14:15], -v[16:17]
	scratch_load_b128 v[14:17], off, off offset:528
	v_add_f64 v[82:83], v[169:170], v[167:168]
	v_add_f64 v[56:57], v[56:57], v[165:166]
	v_fma_f64 v[62:63], v[4:5], v[18:19], v[62:63]
	v_fma_f64 v[167:168], v[2:3], v[18:19], -v[20:21]
	scratch_load_b128 v[18:21], off, off offset:544
	ds_load_b128 v[2:5], v1 offset:1360
	s_waitcnt vmcnt(9) lgkmcnt(1)
	v_mul_f64 v[165:166], v[52:53], v[24:25]
	v_mul_f64 v[24:25], v[54:55], v[24:25]
	s_waitcnt vmcnt(8) lgkmcnt(0)
	v_mul_f64 v[169:170], v[2:3], v[28:29]
	v_mul_f64 v[28:29], v[4:5], v[28:29]
	v_add_f64 v[82:83], v[82:83], v[58:59]
	v_add_f64 v[60:61], v[56:57], v[60:61]
	ds_load_b128 v[56:59], v1 offset:1376
	v_fma_f64 v[54:55], v[54:55], v[22:23], v[165:166]
	v_fma_f64 v[52:53], v[52:53], v[22:23], -v[24:25]
	scratch_load_b128 v[22:25], off, off offset:560
	v_fma_f64 v[165:166], v[4:5], v[26:27], v[169:170]
	v_add_f64 v[82:83], v[82:83], v[167:168]
	v_add_f64 v[60:61], v[60:61], v[62:63]
	v_fma_f64 v[167:168], v[2:3], v[26:27], -v[28:29]
	scratch_load_b128 v[26:29], off, off offset:576
	ds_load_b128 v[2:5], v1 offset:1392
	s_waitcnt vmcnt(9) lgkmcnt(1)
	v_mul_f64 v[62:63], v[56:57], v[32:33]
	v_mul_f64 v[32:33], v[58:59], v[32:33]
	s_waitcnt vmcnt(8) lgkmcnt(0)
	v_mul_f64 v[169:170], v[2:3], v[36:37]
	v_mul_f64 v[36:37], v[4:5], v[36:37]
	v_add_f64 v[82:83], v[82:83], v[52:53]
	v_add_f64 v[60:61], v[60:61], v[54:55]
	ds_load_b128 v[52:55], v1 offset:1408
	v_fma_f64 v[58:59], v[58:59], v[30:31], v[62:63]
	v_fma_f64 v[56:57], v[56:57], v[30:31], -v[32:33]
	scratch_load_b128 v[30:33], off, off offset:592
	v_add_f64 v[62:63], v[82:83], v[167:168]
	v_add_f64 v[60:61], v[60:61], v[165:166]
	v_fma_f64 v[165:166], v[4:5], v[34:35], v[169:170]
	v_fma_f64 v[167:168], v[2:3], v[34:35], -v[36:37]
	scratch_load_b128 v[34:37], off, off offset:608
	ds_load_b128 v[2:5], v1 offset:1424
	s_waitcnt vmcnt(9) lgkmcnt(1)
	v_mul_f64 v[82:83], v[52:53], v[50:51]
	v_mul_f64 v[50:51], v[54:55], v[50:51]
	s_waitcnt vmcnt(8) lgkmcnt(0)
	v_mul_f64 v[169:170], v[2:3], v[40:41]
	v_mul_f64 v[40:41], v[4:5], v[40:41]
	v_add_f64 v[62:63], v[62:63], v[56:57]
	v_add_f64 v[60:61], v[60:61], v[58:59]
	ds_load_b128 v[56:59], v1 offset:1440
	v_fma_f64 v[54:55], v[54:55], v[48:49], v[82:83]
	v_fma_f64 v[52:53], v[52:53], v[48:49], -v[50:51]
	scratch_load_b128 v[48:51], off, off offset:624
	v_add_f64 v[62:63], v[62:63], v[167:168]
	v_add_f64 v[60:61], v[60:61], v[165:166]
	v_fma_f64 v[165:166], v[4:5], v[38:39], v[169:170]
	;; [unrolled: 18-line block ×6, first 2 shown]
	v_fma_f64 v[169:170], v[2:3], v[34:35], -v[36:37]
	scratch_load_b128 v[34:37], off, off offset:768
	ds_load_b128 v[2:5], v1 offset:1584
	s_waitcnt vmcnt(9) lgkmcnt(1)
	v_mul_f64 v[82:83], v[56:57], v[50:51]
	v_mul_f64 v[165:166], v[58:59], v[50:51]
	v_add_f64 v[62:63], v[62:63], v[52:53]
	v_add_f64 v[54:55], v[60:61], v[54:55]
	s_waitcnt vmcnt(8) lgkmcnt(0)
	v_mul_f64 v[60:61], v[2:3], v[40:41]
	v_mul_f64 v[40:41], v[4:5], v[40:41]
	ds_load_b128 v[50:53], v1 offset:1600
	v_fma_f64 v[58:59], v[58:59], v[48:49], v[82:83]
	v_fma_f64 v[48:49], v[56:57], v[48:49], -v[165:166]
	v_add_f64 v[62:63], v[62:63], v[169:170]
	v_add_f64 v[82:83], v[54:55], v[167:168]
	scratch_load_b128 v[54:57], off, off offset:784
	v_fma_f64 v[167:168], v[4:5], v[38:39], v[60:61]
	v_fma_f64 v[169:170], v[2:3], v[38:39], -v[40:41]
	scratch_load_b128 v[38:41], off, off offset:800
	ds_load_b128 v[2:5], v1 offset:1616
	s_waitcnt vmcnt(9) lgkmcnt(1)
	v_mul_f64 v[165:166], v[50:51], v[8:9]
	v_mul_f64 v[8:9], v[52:53], v[8:9]
	v_add_f64 v[48:49], v[62:63], v[48:49]
	v_add_f64 v[62:63], v[82:83], v[58:59]
	s_waitcnt vmcnt(8) lgkmcnt(0)
	v_mul_f64 v[82:83], v[2:3], v[12:13]
	v_mul_f64 v[12:13], v[4:5], v[12:13]
	ds_load_b128 v[58:61], v1 offset:1632
	v_fma_f64 v[52:53], v[52:53], v[6:7], v[165:166]
	v_fma_f64 v[50:51], v[50:51], v[6:7], -v[8:9]
	scratch_load_b128 v[6:9], off, off offset:816
	v_add_f64 v[48:49], v[48:49], v[169:170]
	v_add_f64 v[62:63], v[62:63], v[167:168]
	v_fma_f64 v[82:83], v[4:5], v[10:11], v[82:83]
	v_fma_f64 v[167:168], v[2:3], v[10:11], -v[12:13]
	scratch_load_b128 v[10:13], off, off offset:832
	ds_load_b128 v[2:5], v1 offset:1648
	s_waitcnt vmcnt(9) lgkmcnt(1)
	v_mul_f64 v[165:166], v[58:59], v[16:17]
	v_mul_f64 v[16:17], v[60:61], v[16:17]
	v_add_f64 v[169:170], v[48:49], v[50:51]
	v_add_f64 v[52:53], v[62:63], v[52:53]
	s_waitcnt vmcnt(8) lgkmcnt(0)
	v_mul_f64 v[62:63], v[2:3], v[20:21]
	v_mul_f64 v[20:21], v[4:5], v[20:21]
	ds_load_b128 v[48:51], v1 offset:1664
	v_fma_f64 v[60:61], v[60:61], v[14:15], v[165:166]
	v_fma_f64 v[58:59], v[58:59], v[14:15], -v[16:17]
	scratch_load_b128 v[14:17], off, off offset:848
	v_add_f64 v[165:166], v[169:170], v[167:168]
	v_add_f64 v[52:53], v[52:53], v[82:83]
	v_fma_f64 v[62:63], v[4:5], v[18:19], v[62:63]
	v_fma_f64 v[167:168], v[2:3], v[18:19], -v[20:21]
	scratch_load_b128 v[18:21], off, off offset:864
	ds_load_b128 v[2:5], v1 offset:1680
	s_waitcnt vmcnt(9) lgkmcnt(1)
	v_mul_f64 v[82:83], v[48:49], v[24:25]
	v_mul_f64 v[24:25], v[50:51], v[24:25]
	s_waitcnt vmcnt(8) lgkmcnt(0)
	v_mul_f64 v[169:170], v[2:3], v[28:29]
	v_mul_f64 v[28:29], v[4:5], v[28:29]
	v_add_f64 v[165:166], v[165:166], v[58:59]
	v_add_f64 v[52:53], v[52:53], v[60:61]
	ds_load_b128 v[58:61], v1 offset:1696
	v_fma_f64 v[50:51], v[50:51], v[22:23], v[82:83]
	v_fma_f64 v[48:49], v[48:49], v[22:23], -v[24:25]
	scratch_load_b128 v[22:25], off, off offset:880
	v_add_f64 v[82:83], v[165:166], v[167:168]
	v_add_f64 v[52:53], v[52:53], v[62:63]
	v_fma_f64 v[165:166], v[4:5], v[26:27], v[169:170]
	v_fma_f64 v[167:168], v[2:3], v[26:27], -v[28:29]
	scratch_load_b128 v[26:29], off, off offset:896
	ds_load_b128 v[2:5], v1 offset:1712
	s_waitcnt vmcnt(9) lgkmcnt(1)
	v_mul_f64 v[62:63], v[58:59], v[32:33]
	v_mul_f64 v[32:33], v[60:61], v[32:33]
	s_waitcnt vmcnt(8) lgkmcnt(0)
	v_mul_f64 v[169:170], v[2:3], v[36:37]
	v_mul_f64 v[36:37], v[4:5], v[36:37]
	v_add_f64 v[82:83], v[82:83], v[48:49]
	v_add_f64 v[52:53], v[52:53], v[50:51]
	ds_load_b128 v[48:51], v1 offset:1728
	v_fma_f64 v[60:61], v[60:61], v[30:31], v[62:63]
	v_fma_f64 v[58:59], v[58:59], v[30:31], -v[32:33]
	scratch_load_b128 v[30:33], off, off offset:912
	v_add_f64 v[62:63], v[82:83], v[167:168]
	v_add_f64 v[52:53], v[52:53], v[165:166]
	v_fma_f64 v[167:168], v[4:5], v[34:35], v[169:170]
	v_fma_f64 v[169:170], v[2:3], v[34:35], -v[36:37]
	scratch_load_b128 v[34:37], off, off offset:928
	ds_load_b128 v[2:5], v1 offset:1744
	s_waitcnt vmcnt(9) lgkmcnt(1)
	v_mul_f64 v[82:83], v[48:49], v[56:57]
	v_mul_f64 v[165:166], v[50:51], v[56:57]
	v_add_f64 v[62:63], v[62:63], v[58:59]
	v_add_f64 v[52:53], v[52:53], v[60:61]
	s_waitcnt vmcnt(8) lgkmcnt(0)
	v_mul_f64 v[60:61], v[2:3], v[40:41]
	v_mul_f64 v[40:41], v[4:5], v[40:41]
	ds_load_b128 v[56:59], v1 offset:1760
	v_fma_f64 v[50:51], v[50:51], v[54:55], v[82:83]
	v_fma_f64 v[48:49], v[48:49], v[54:55], -v[165:166]
	v_add_f64 v[54:55], v[62:63], v[169:170]
	v_add_f64 v[52:53], v[52:53], v[167:168]
	s_waitcnt vmcnt(7) lgkmcnt(0)
	v_mul_f64 v[62:63], v[56:57], v[8:9]
	v_mul_f64 v[8:9], v[58:59], v[8:9]
	v_fma_f64 v[60:61], v[4:5], v[38:39], v[60:61]
	v_fma_f64 v[82:83], v[2:3], v[38:39], -v[40:41]
	ds_load_b128 v[2:5], v1 offset:1776
	ds_load_b128 v[38:41], v1 offset:1792
	v_add_f64 v[48:49], v[54:55], v[48:49]
	v_add_f64 v[50:51], v[52:53], v[50:51]
	s_waitcnt vmcnt(6) lgkmcnt(1)
	v_mul_f64 v[52:53], v[2:3], v[12:13]
	v_mul_f64 v[12:13], v[4:5], v[12:13]
	v_fma_f64 v[54:55], v[58:59], v[6:7], v[62:63]
	v_fma_f64 v[6:7], v[56:57], v[6:7], -v[8:9]
	v_add_f64 v[8:9], v[48:49], v[82:83]
	v_add_f64 v[48:49], v[50:51], v[60:61]
	s_waitcnt vmcnt(5) lgkmcnt(0)
	v_mul_f64 v[50:51], v[38:39], v[16:17]
	v_mul_f64 v[16:17], v[40:41], v[16:17]
	v_fma_f64 v[52:53], v[4:5], v[10:11], v[52:53]
	v_fma_f64 v[10:11], v[2:3], v[10:11], -v[12:13]
	v_add_f64 v[12:13], v[8:9], v[6:7]
	v_add_f64 v[48:49], v[48:49], v[54:55]
	ds_load_b128 v[2:5], v1 offset:1808
	ds_load_b128 v[6:9], v1 offset:1824
	v_fma_f64 v[40:41], v[40:41], v[14:15], v[50:51]
	v_fma_f64 v[14:15], v[38:39], v[14:15], -v[16:17]
	s_waitcnt vmcnt(4) lgkmcnt(1)
	v_mul_f64 v[54:55], v[2:3], v[20:21]
	v_mul_f64 v[20:21], v[4:5], v[20:21]
	s_waitcnt vmcnt(3) lgkmcnt(0)
	v_mul_f64 v[16:17], v[6:7], v[24:25]
	v_mul_f64 v[24:25], v[8:9], v[24:25]
	v_add_f64 v[10:11], v[12:13], v[10:11]
	v_add_f64 v[12:13], v[48:49], v[52:53]
	v_fma_f64 v[38:39], v[4:5], v[18:19], v[54:55]
	v_fma_f64 v[18:19], v[2:3], v[18:19], -v[20:21]
	v_fma_f64 v[8:9], v[8:9], v[22:23], v[16:17]
	v_fma_f64 v[6:7], v[6:7], v[22:23], -v[24:25]
	v_add_f64 v[14:15], v[10:11], v[14:15]
	v_add_f64 v[20:21], v[12:13], v[40:41]
	ds_load_b128 v[2:5], v1 offset:1840
	ds_load_b128 v[10:13], v1 offset:1856
	s_waitcnt vmcnt(2) lgkmcnt(1)
	v_mul_f64 v[40:41], v[2:3], v[28:29]
	v_mul_f64 v[28:29], v[4:5], v[28:29]
	v_add_f64 v[14:15], v[14:15], v[18:19]
	v_add_f64 v[16:17], v[20:21], v[38:39]
	s_waitcnt vmcnt(1) lgkmcnt(0)
	v_mul_f64 v[18:19], v[10:11], v[32:33]
	v_mul_f64 v[20:21], v[12:13], v[32:33]
	v_fma_f64 v[22:23], v[4:5], v[26:27], v[40:41]
	v_fma_f64 v[24:25], v[2:3], v[26:27], -v[28:29]
	ds_load_b128 v[2:5], v1 offset:1872
	v_add_f64 v[6:7], v[14:15], v[6:7]
	v_add_f64 v[8:9], v[16:17], v[8:9]
	v_fma_f64 v[12:13], v[12:13], v[30:31], v[18:19]
	v_fma_f64 v[10:11], v[10:11], v[30:31], -v[20:21]
	s_waitcnt vmcnt(0) lgkmcnt(0)
	v_mul_f64 v[14:15], v[2:3], v[36:37]
	v_mul_f64 v[16:17], v[4:5], v[36:37]
	v_add_f64 v[6:7], v[6:7], v[24:25]
	v_add_f64 v[8:9], v[8:9], v[22:23]
	s_delay_alu instid0(VALU_DEP_4) | instskip(NEXT) | instid1(VALU_DEP_4)
	v_fma_f64 v[4:5], v[4:5], v[34:35], v[14:15]
	v_fma_f64 v[2:3], v[2:3], v[34:35], -v[16:17]
	s_delay_alu instid0(VALU_DEP_4) | instskip(NEXT) | instid1(VALU_DEP_4)
	v_add_f64 v[6:7], v[6:7], v[10:11]
	v_add_f64 v[8:9], v[8:9], v[12:13]
	s_delay_alu instid0(VALU_DEP_2) | instskip(NEXT) | instid1(VALU_DEP_2)
	v_add_f64 v[2:3], v[6:7], v[2:3]
	v_add_f64 v[4:5], v[8:9], v[4:5]
	s_delay_alu instid0(VALU_DEP_2) | instskip(NEXT) | instid1(VALU_DEP_2)
	v_add_f64 v[2:3], v[42:43], -v[2:3]
	v_add_f64 v[4:5], v[44:45], -v[4:5]
	scratch_store_b128 off, v[2:5], off offset:144
	v_cmpx_lt_u32_e32 8, v164
	s_cbranch_execz .LBB122_351
; %bb.350:
	scratch_load_b128 v[5:8], v215, off
	v_mov_b32_e32 v2, v1
	v_mov_b32_e32 v3, v1
	;; [unrolled: 1-line block ×3, first 2 shown]
	scratch_store_b128 off, v[1:4], off offset:128
	s_waitcnt vmcnt(0)
	ds_store_b128 v223, v[5:8]
.LBB122_351:
	s_or_b32 exec_lo, exec_lo, s2
	s_waitcnt lgkmcnt(0)
	s_waitcnt_vscnt null, 0x0
	s_barrier
	buffer_gl0_inv
	s_clause 0x8
	scratch_load_b128 v[2:5], off, off offset:144
	scratch_load_b128 v[6:9], off, off offset:160
	;; [unrolled: 1-line block ×9, first 2 shown]
	ds_load_b128 v[42:45], v1 offset:1088
	ds_load_b128 v[38:41], v1 offset:1104
	s_clause 0x1
	scratch_load_b128 v[48:51], off, off offset:128
	scratch_load_b128 v[52:55], off, off offset:288
	s_mov_b32 s2, exec_lo
	s_waitcnt vmcnt(10) lgkmcnt(1)
	v_mul_f64 v[56:57], v[44:45], v[4:5]
	v_mul_f64 v[4:5], v[42:43], v[4:5]
	s_waitcnt vmcnt(9) lgkmcnt(0)
	v_mul_f64 v[60:61], v[38:39], v[8:9]
	v_mul_f64 v[8:9], v[40:41], v[8:9]
	s_delay_alu instid0(VALU_DEP_4) | instskip(NEXT) | instid1(VALU_DEP_4)
	v_fma_f64 v[62:63], v[42:43], v[2:3], -v[56:57]
	v_fma_f64 v[82:83], v[44:45], v[2:3], v[4:5]
	ds_load_b128 v[2:5], v1 offset:1120
	ds_load_b128 v[56:59], v1 offset:1136
	scratch_load_b128 v[42:45], off, off offset:304
	v_fma_f64 v[40:41], v[40:41], v[6:7], v[60:61]
	v_fma_f64 v[38:39], v[38:39], v[6:7], -v[8:9]
	scratch_load_b128 v[6:9], off, off offset:320
	s_waitcnt vmcnt(10) lgkmcnt(1)
	v_mul_f64 v[165:166], v[2:3], v[12:13]
	v_mul_f64 v[12:13], v[4:5], v[12:13]
	v_add_f64 v[60:61], v[62:63], 0
	v_add_f64 v[62:63], v[82:83], 0
	s_waitcnt vmcnt(9) lgkmcnt(0)
	v_mul_f64 v[82:83], v[56:57], v[16:17]
	v_mul_f64 v[16:17], v[58:59], v[16:17]
	v_fma_f64 v[165:166], v[4:5], v[10:11], v[165:166]
	v_fma_f64 v[167:168], v[2:3], v[10:11], -v[12:13]
	ds_load_b128 v[2:5], v1 offset:1152
	scratch_load_b128 v[10:13], off, off offset:336
	v_add_f64 v[60:61], v[60:61], v[38:39]
	v_add_f64 v[62:63], v[62:63], v[40:41]
	ds_load_b128 v[38:41], v1 offset:1168
	v_fma_f64 v[58:59], v[58:59], v[14:15], v[82:83]
	v_fma_f64 v[56:57], v[56:57], v[14:15], -v[16:17]
	scratch_load_b128 v[14:17], off, off offset:352
	s_waitcnt vmcnt(10) lgkmcnt(1)
	v_mul_f64 v[169:170], v[2:3], v[20:21]
	v_mul_f64 v[20:21], v[4:5], v[20:21]
	s_waitcnt vmcnt(9) lgkmcnt(0)
	v_mul_f64 v[82:83], v[38:39], v[24:25]
	v_mul_f64 v[24:25], v[40:41], v[24:25]
	v_add_f64 v[60:61], v[60:61], v[167:168]
	v_add_f64 v[62:63], v[62:63], v[165:166]
	v_fma_f64 v[165:166], v[4:5], v[18:19], v[169:170]
	v_fma_f64 v[167:168], v[2:3], v[18:19], -v[20:21]
	ds_load_b128 v[2:5], v1 offset:1184
	scratch_load_b128 v[18:21], off, off offset:368
	v_fma_f64 v[40:41], v[40:41], v[22:23], v[82:83]
	v_fma_f64 v[38:39], v[38:39], v[22:23], -v[24:25]
	scratch_load_b128 v[22:25], off, off offset:384
	v_add_f64 v[60:61], v[60:61], v[56:57]
	v_add_f64 v[62:63], v[62:63], v[58:59]
	ds_load_b128 v[56:59], v1 offset:1200
	s_waitcnt vmcnt(10) lgkmcnt(1)
	v_mul_f64 v[169:170], v[2:3], v[28:29]
	v_mul_f64 v[28:29], v[4:5], v[28:29]
	s_waitcnt vmcnt(9) lgkmcnt(0)
	v_mul_f64 v[82:83], v[56:57], v[32:33]
	v_mul_f64 v[32:33], v[58:59], v[32:33]
	v_add_f64 v[60:61], v[60:61], v[167:168]
	v_add_f64 v[62:63], v[62:63], v[165:166]
	v_fma_f64 v[165:166], v[4:5], v[26:27], v[169:170]
	v_fma_f64 v[167:168], v[2:3], v[26:27], -v[28:29]
	ds_load_b128 v[2:5], v1 offset:1216
	scratch_load_b128 v[26:29], off, off offset:400
	v_fma_f64 v[58:59], v[58:59], v[30:31], v[82:83]
	v_fma_f64 v[56:57], v[56:57], v[30:31], -v[32:33]
	scratch_load_b128 v[30:33], off, off offset:416
	v_add_f64 v[60:61], v[60:61], v[38:39]
	v_add_f64 v[62:63], v[62:63], v[40:41]
	ds_load_b128 v[38:41], v1 offset:1232
	s_waitcnt vmcnt(10) lgkmcnt(1)
	v_mul_f64 v[169:170], v[2:3], v[36:37]
	v_mul_f64 v[36:37], v[4:5], v[36:37]
	s_waitcnt vmcnt(8) lgkmcnt(0)
	v_mul_f64 v[82:83], v[38:39], v[54:55]
	v_add_f64 v[60:61], v[60:61], v[167:168]
	v_add_f64 v[62:63], v[62:63], v[165:166]
	v_mul_f64 v[165:166], v[40:41], v[54:55]
	v_fma_f64 v[167:168], v[4:5], v[34:35], v[169:170]
	v_fma_f64 v[169:170], v[2:3], v[34:35], -v[36:37]
	ds_load_b128 v[2:5], v1 offset:1248
	scratch_load_b128 v[34:37], off, off offset:432
	v_fma_f64 v[82:83], v[40:41], v[52:53], v[82:83]
	v_add_f64 v[60:61], v[60:61], v[56:57]
	v_add_f64 v[58:59], v[62:63], v[58:59]
	ds_load_b128 v[54:57], v1 offset:1264
	v_fma_f64 v[52:53], v[38:39], v[52:53], -v[165:166]
	scratch_load_b128 v[38:41], off, off offset:448
	s_waitcnt vmcnt(9) lgkmcnt(1)
	v_mul_f64 v[62:63], v[2:3], v[44:45]
	v_mul_f64 v[44:45], v[4:5], v[44:45]
	s_waitcnt vmcnt(8) lgkmcnt(0)
	v_mul_f64 v[165:166], v[54:55], v[8:9]
	v_mul_f64 v[8:9], v[56:57], v[8:9]
	v_add_f64 v[60:61], v[60:61], v[169:170]
	v_add_f64 v[58:59], v[58:59], v[167:168]
	v_fma_f64 v[62:63], v[4:5], v[42:43], v[62:63]
	v_fma_f64 v[167:168], v[2:3], v[42:43], -v[44:45]
	ds_load_b128 v[2:5], v1 offset:1280
	scratch_load_b128 v[42:45], off, off offset:464
	v_fma_f64 v[56:57], v[56:57], v[6:7], v[165:166]
	v_fma_f64 v[54:55], v[54:55], v[6:7], -v[8:9]
	scratch_load_b128 v[6:9], off, off offset:480
	v_add_f64 v[52:53], v[60:61], v[52:53]
	v_add_f64 v[82:83], v[58:59], v[82:83]
	ds_load_b128 v[58:61], v1 offset:1296
	s_waitcnt vmcnt(9) lgkmcnt(1)
	v_mul_f64 v[169:170], v[2:3], v[12:13]
	v_mul_f64 v[12:13], v[4:5], v[12:13]
	v_add_f64 v[52:53], v[52:53], v[167:168]
	v_add_f64 v[62:63], v[82:83], v[62:63]
	s_waitcnt vmcnt(8) lgkmcnt(0)
	v_mul_f64 v[82:83], v[58:59], v[16:17]
	v_mul_f64 v[16:17], v[60:61], v[16:17]
	v_fma_f64 v[165:166], v[4:5], v[10:11], v[169:170]
	v_fma_f64 v[167:168], v[2:3], v[10:11], -v[12:13]
	ds_load_b128 v[2:5], v1 offset:1312
	scratch_load_b128 v[10:13], off, off offset:496
	v_add_f64 v[169:170], v[52:53], v[54:55]
	v_add_f64 v[56:57], v[62:63], v[56:57]
	ds_load_b128 v[52:55], v1 offset:1328
	s_waitcnt vmcnt(8) lgkmcnt(1)
	v_mul_f64 v[62:63], v[2:3], v[20:21]
	v_mul_f64 v[20:21], v[4:5], v[20:21]
	v_fma_f64 v[60:61], v[60:61], v[14:15], v[82:83]
	v_fma_f64 v[58:59], v[58:59], v[14:15], -v[16:17]
	scratch_load_b128 v[14:17], off, off offset:512
	v_add_f64 v[82:83], v[169:170], v[167:168]
	v_add_f64 v[56:57], v[56:57], v[165:166]
	s_waitcnt vmcnt(8) lgkmcnt(0)
	v_mul_f64 v[165:166], v[52:53], v[24:25]
	v_mul_f64 v[24:25], v[54:55], v[24:25]
	v_fma_f64 v[62:63], v[4:5], v[18:19], v[62:63]
	v_fma_f64 v[167:168], v[2:3], v[18:19], -v[20:21]
	ds_load_b128 v[2:5], v1 offset:1344
	scratch_load_b128 v[18:21], off, off offset:528
	v_add_f64 v[82:83], v[82:83], v[58:59]
	v_add_f64 v[60:61], v[56:57], v[60:61]
	ds_load_b128 v[56:59], v1 offset:1360
	s_waitcnt vmcnt(8) lgkmcnt(1)
	v_mul_f64 v[169:170], v[2:3], v[28:29]
	v_mul_f64 v[28:29], v[4:5], v[28:29]
	v_fma_f64 v[54:55], v[54:55], v[22:23], v[165:166]
	v_fma_f64 v[52:53], v[52:53], v[22:23], -v[24:25]
	scratch_load_b128 v[22:25], off, off offset:544
	;; [unrolled: 18-line block ×4, first 2 shown]
	s_waitcnt vmcnt(8) lgkmcnt(0)
	v_mul_f64 v[82:83], v[56:57], v[8:9]
	v_mul_f64 v[8:9], v[58:59], v[8:9]
	v_add_f64 v[62:63], v[62:63], v[167:168]
	v_add_f64 v[60:61], v[60:61], v[165:166]
	v_fma_f64 v[165:166], v[4:5], v[42:43], v[169:170]
	v_fma_f64 v[167:168], v[2:3], v[42:43], -v[44:45]
	ds_load_b128 v[2:5], v1 offset:1440
	scratch_load_b128 v[42:45], off, off offset:624
	v_fma_f64 v[58:59], v[58:59], v[6:7], v[82:83]
	v_fma_f64 v[56:57], v[56:57], v[6:7], -v[8:9]
	scratch_load_b128 v[6:9], off, off offset:640
	v_add_f64 v[62:63], v[62:63], v[52:53]
	v_add_f64 v[60:61], v[60:61], v[54:55]
	ds_load_b128 v[52:55], v1 offset:1456
	s_waitcnt vmcnt(9) lgkmcnt(1)
	v_mul_f64 v[169:170], v[2:3], v[12:13]
	v_mul_f64 v[12:13], v[4:5], v[12:13]
	s_waitcnt vmcnt(8) lgkmcnt(0)
	v_mul_f64 v[82:83], v[52:53], v[16:17]
	v_mul_f64 v[16:17], v[54:55], v[16:17]
	v_add_f64 v[62:63], v[62:63], v[167:168]
	v_add_f64 v[60:61], v[60:61], v[165:166]
	v_fma_f64 v[165:166], v[4:5], v[10:11], v[169:170]
	v_fma_f64 v[167:168], v[2:3], v[10:11], -v[12:13]
	ds_load_b128 v[2:5], v1 offset:1472
	scratch_load_b128 v[10:13], off, off offset:656
	v_fma_f64 v[54:55], v[54:55], v[14:15], v[82:83]
	v_fma_f64 v[52:53], v[52:53], v[14:15], -v[16:17]
	scratch_load_b128 v[14:17], off, off offset:672
	v_add_f64 v[62:63], v[62:63], v[56:57]
	v_add_f64 v[60:61], v[60:61], v[58:59]
	ds_load_b128 v[56:59], v1 offset:1488
	s_waitcnt vmcnt(9) lgkmcnt(1)
	v_mul_f64 v[169:170], v[2:3], v[20:21]
	v_mul_f64 v[20:21], v[4:5], v[20:21]
	;; [unrolled: 18-line block ×10, first 2 shown]
	s_waitcnt vmcnt(8) lgkmcnt(0)
	v_mul_f64 v[82:83], v[56:57], v[8:9]
	v_mul_f64 v[8:9], v[58:59], v[8:9]
	v_add_f64 v[62:63], v[62:63], v[167:168]
	v_add_f64 v[60:61], v[60:61], v[165:166]
	v_fma_f64 v[165:166], v[4:5], v[42:43], v[169:170]
	v_fma_f64 v[167:168], v[2:3], v[42:43], -v[44:45]
	ds_load_b128 v[2:5], v1 offset:1760
	ds_load_b128 v[42:45], v1 offset:1776
	v_fma_f64 v[58:59], v[58:59], v[6:7], v[82:83]
	v_fma_f64 v[6:7], v[56:57], v[6:7], -v[8:9]
	v_add_f64 v[52:53], v[62:63], v[52:53]
	v_add_f64 v[54:55], v[60:61], v[54:55]
	s_waitcnt vmcnt(7) lgkmcnt(1)
	v_mul_f64 v[60:61], v[2:3], v[12:13]
	v_mul_f64 v[12:13], v[4:5], v[12:13]
	s_delay_alu instid0(VALU_DEP_4) | instskip(NEXT) | instid1(VALU_DEP_4)
	v_add_f64 v[8:9], v[52:53], v[167:168]
	v_add_f64 v[52:53], v[54:55], v[165:166]
	s_waitcnt vmcnt(6) lgkmcnt(0)
	v_mul_f64 v[54:55], v[42:43], v[16:17]
	v_mul_f64 v[16:17], v[44:45], v[16:17]
	v_fma_f64 v[56:57], v[4:5], v[10:11], v[60:61]
	v_fma_f64 v[10:11], v[2:3], v[10:11], -v[12:13]
	v_add_f64 v[12:13], v[8:9], v[6:7]
	v_add_f64 v[52:53], v[52:53], v[58:59]
	ds_load_b128 v[2:5], v1 offset:1792
	ds_load_b128 v[6:9], v1 offset:1808
	v_fma_f64 v[44:45], v[44:45], v[14:15], v[54:55]
	v_fma_f64 v[14:15], v[42:43], v[14:15], -v[16:17]
	s_waitcnt vmcnt(5) lgkmcnt(1)
	v_mul_f64 v[58:59], v[2:3], v[20:21]
	v_mul_f64 v[20:21], v[4:5], v[20:21]
	s_waitcnt vmcnt(4) lgkmcnt(0)
	v_mul_f64 v[16:17], v[6:7], v[24:25]
	v_mul_f64 v[24:25], v[8:9], v[24:25]
	v_add_f64 v[10:11], v[12:13], v[10:11]
	v_add_f64 v[12:13], v[52:53], v[56:57]
	v_fma_f64 v[42:43], v[4:5], v[18:19], v[58:59]
	v_fma_f64 v[18:19], v[2:3], v[18:19], -v[20:21]
	v_fma_f64 v[8:9], v[8:9], v[22:23], v[16:17]
	v_fma_f64 v[6:7], v[6:7], v[22:23], -v[24:25]
	v_add_f64 v[14:15], v[10:11], v[14:15]
	v_add_f64 v[20:21], v[12:13], v[44:45]
	ds_load_b128 v[2:5], v1 offset:1824
	ds_load_b128 v[10:13], v1 offset:1840
	s_waitcnt vmcnt(3) lgkmcnt(1)
	v_mul_f64 v[44:45], v[2:3], v[28:29]
	v_mul_f64 v[28:29], v[4:5], v[28:29]
	v_add_f64 v[14:15], v[14:15], v[18:19]
	v_add_f64 v[16:17], v[20:21], v[42:43]
	s_waitcnt vmcnt(2) lgkmcnt(0)
	v_mul_f64 v[18:19], v[10:11], v[32:33]
	v_mul_f64 v[20:21], v[12:13], v[32:33]
	v_fma_f64 v[22:23], v[4:5], v[26:27], v[44:45]
	v_fma_f64 v[24:25], v[2:3], v[26:27], -v[28:29]
	v_add_f64 v[14:15], v[14:15], v[6:7]
	v_add_f64 v[16:17], v[16:17], v[8:9]
	ds_load_b128 v[2:5], v1 offset:1856
	ds_load_b128 v[6:9], v1 offset:1872
	v_fma_f64 v[12:13], v[12:13], v[30:31], v[18:19]
	v_fma_f64 v[10:11], v[10:11], v[30:31], -v[20:21]
	s_waitcnt vmcnt(1) lgkmcnt(1)
	v_mul_f64 v[26:27], v[2:3], v[36:37]
	v_mul_f64 v[28:29], v[4:5], v[36:37]
	s_waitcnt vmcnt(0) lgkmcnt(0)
	v_mul_f64 v[18:19], v[6:7], v[40:41]
	v_mul_f64 v[20:21], v[8:9], v[40:41]
	v_add_f64 v[14:15], v[14:15], v[24:25]
	v_add_f64 v[16:17], v[16:17], v[22:23]
	v_fma_f64 v[4:5], v[4:5], v[34:35], v[26:27]
	v_fma_f64 v[1:2], v[2:3], v[34:35], -v[28:29]
	v_fma_f64 v[8:9], v[8:9], v[38:39], v[18:19]
	v_fma_f64 v[6:7], v[6:7], v[38:39], -v[20:21]
	v_add_f64 v[10:11], v[14:15], v[10:11]
	v_add_f64 v[12:13], v[16:17], v[12:13]
	s_delay_alu instid0(VALU_DEP_2) | instskip(NEXT) | instid1(VALU_DEP_2)
	v_add_f64 v[1:2], v[10:11], v[1:2]
	v_add_f64 v[3:4], v[12:13], v[4:5]
	s_delay_alu instid0(VALU_DEP_2) | instskip(NEXT) | instid1(VALU_DEP_2)
	v_add_f64 v[1:2], v[1:2], v[6:7]
	v_add_f64 v[3:4], v[3:4], v[8:9]
	s_delay_alu instid0(VALU_DEP_2) | instskip(NEXT) | instid1(VALU_DEP_2)
	v_add_f64 v[1:2], v[48:49], -v[1:2]
	v_add_f64 v[3:4], v[50:51], -v[3:4]
	scratch_store_b128 off, v[1:4], off offset:128
	v_cmpx_lt_u32_e32 7, v164
	s_cbranch_execz .LBB122_353
; %bb.352:
	scratch_load_b128 v[1:4], v216, off
	v_mov_b32_e32 v5, 0
	s_delay_alu instid0(VALU_DEP_1)
	v_mov_b32_e32 v6, v5
	v_mov_b32_e32 v7, v5
	v_mov_b32_e32 v8, v5
	scratch_store_b128 off, v[5:8], off offset:112
	s_waitcnt vmcnt(0)
	ds_store_b128 v223, v[1:4]
.LBB122_353:
	s_or_b32 exec_lo, exec_lo, s2
	s_waitcnt lgkmcnt(0)
	s_waitcnt_vscnt null, 0x0
	s_barrier
	buffer_gl0_inv
	s_clause 0x7
	scratch_load_b128 v[2:5], off, off offset:128
	scratch_load_b128 v[6:9], off, off offset:144
	;; [unrolled: 1-line block ×8, first 2 shown]
	v_mov_b32_e32 v1, 0
	s_mov_b32 s2, exec_lo
	ds_load_b128 v[38:41], v1 offset:1072
	s_clause 0x1
	scratch_load_b128 v[34:37], off, off offset:256
	scratch_load_b128 v[42:45], off, off offset:112
	ds_load_b128 v[48:51], v1 offset:1088
	scratch_load_b128 v[52:55], off, off offset:272
	s_waitcnt vmcnt(10) lgkmcnt(1)
	v_mul_f64 v[56:57], v[40:41], v[4:5]
	v_mul_f64 v[4:5], v[38:39], v[4:5]
	s_delay_alu instid0(VALU_DEP_2) | instskip(NEXT) | instid1(VALU_DEP_2)
	v_fma_f64 v[62:63], v[38:39], v[2:3], -v[56:57]
	v_fma_f64 v[82:83], v[40:41], v[2:3], v[4:5]
	scratch_load_b128 v[38:41], off, off offset:288
	ds_load_b128 v[2:5], v1 offset:1104
	s_waitcnt vmcnt(10) lgkmcnt(1)
	v_mul_f64 v[60:61], v[48:49], v[8:9]
	v_mul_f64 v[8:9], v[50:51], v[8:9]
	ds_load_b128 v[56:59], v1 offset:1120
	s_waitcnt vmcnt(9) lgkmcnt(1)
	v_mul_f64 v[165:166], v[2:3], v[12:13]
	v_mul_f64 v[12:13], v[4:5], v[12:13]
	v_fma_f64 v[50:51], v[50:51], v[6:7], v[60:61]
	v_fma_f64 v[48:49], v[48:49], v[6:7], -v[8:9]
	v_add_f64 v[60:61], v[62:63], 0
	v_add_f64 v[62:63], v[82:83], 0
	scratch_load_b128 v[6:9], off, off offset:304
	v_fma_f64 v[165:166], v[4:5], v[10:11], v[165:166]
	v_fma_f64 v[167:168], v[2:3], v[10:11], -v[12:13]
	scratch_load_b128 v[10:13], off, off offset:320
	ds_load_b128 v[2:5], v1 offset:1136
	s_waitcnt vmcnt(10) lgkmcnt(1)
	v_mul_f64 v[82:83], v[56:57], v[16:17]
	v_mul_f64 v[16:17], v[58:59], v[16:17]
	v_add_f64 v[60:61], v[60:61], v[48:49]
	v_add_f64 v[62:63], v[62:63], v[50:51]
	s_waitcnt vmcnt(9) lgkmcnt(0)
	v_mul_f64 v[169:170], v[2:3], v[20:21]
	v_mul_f64 v[20:21], v[4:5], v[20:21]
	ds_load_b128 v[48:51], v1 offset:1152
	v_fma_f64 v[58:59], v[58:59], v[14:15], v[82:83]
	v_fma_f64 v[56:57], v[56:57], v[14:15], -v[16:17]
	scratch_load_b128 v[14:17], off, off offset:336
	v_add_f64 v[60:61], v[60:61], v[167:168]
	v_add_f64 v[62:63], v[62:63], v[165:166]
	v_fma_f64 v[165:166], v[4:5], v[18:19], v[169:170]
	v_fma_f64 v[167:168], v[2:3], v[18:19], -v[20:21]
	scratch_load_b128 v[18:21], off, off offset:352
	ds_load_b128 v[2:5], v1 offset:1168
	s_waitcnt vmcnt(10) lgkmcnt(1)
	v_mul_f64 v[82:83], v[48:49], v[24:25]
	v_mul_f64 v[24:25], v[50:51], v[24:25]
	s_waitcnt vmcnt(9) lgkmcnt(0)
	v_mul_f64 v[169:170], v[2:3], v[28:29]
	v_mul_f64 v[28:29], v[4:5], v[28:29]
	v_add_f64 v[60:61], v[60:61], v[56:57]
	v_add_f64 v[62:63], v[62:63], v[58:59]
	ds_load_b128 v[56:59], v1 offset:1184
	v_fma_f64 v[50:51], v[50:51], v[22:23], v[82:83]
	v_fma_f64 v[48:49], v[48:49], v[22:23], -v[24:25]
	scratch_load_b128 v[22:25], off, off offset:368
	v_add_f64 v[60:61], v[60:61], v[167:168]
	v_add_f64 v[62:63], v[62:63], v[165:166]
	v_fma_f64 v[165:166], v[4:5], v[26:27], v[169:170]
	v_fma_f64 v[167:168], v[2:3], v[26:27], -v[28:29]
	scratch_load_b128 v[26:29], off, off offset:384
	ds_load_b128 v[2:5], v1 offset:1200
	s_waitcnt vmcnt(10) lgkmcnt(1)
	v_mul_f64 v[82:83], v[56:57], v[32:33]
	v_mul_f64 v[32:33], v[58:59], v[32:33]
	s_waitcnt vmcnt(9) lgkmcnt(0)
	v_mul_f64 v[169:170], v[2:3], v[36:37]
	v_mul_f64 v[36:37], v[4:5], v[36:37]
	v_add_f64 v[60:61], v[60:61], v[48:49]
	v_add_f64 v[62:63], v[62:63], v[50:51]
	ds_load_b128 v[48:51], v1 offset:1216
	v_fma_f64 v[58:59], v[58:59], v[30:31], v[82:83]
	v_fma_f64 v[56:57], v[56:57], v[30:31], -v[32:33]
	scratch_load_b128 v[30:33], off, off offset:400
	v_add_f64 v[60:61], v[60:61], v[167:168]
	v_add_f64 v[62:63], v[62:63], v[165:166]
	v_fma_f64 v[167:168], v[4:5], v[34:35], v[169:170]
	v_fma_f64 v[169:170], v[2:3], v[34:35], -v[36:37]
	scratch_load_b128 v[34:37], off, off offset:416
	ds_load_b128 v[2:5], v1 offset:1232
	s_waitcnt vmcnt(9) lgkmcnt(1)
	v_mul_f64 v[82:83], v[48:49], v[54:55]
	v_mul_f64 v[165:166], v[50:51], v[54:55]
	v_add_f64 v[60:61], v[60:61], v[56:57]
	v_add_f64 v[58:59], v[62:63], v[58:59]
	ds_load_b128 v[54:57], v1 offset:1248
	v_fma_f64 v[82:83], v[50:51], v[52:53], v[82:83]
	v_fma_f64 v[52:53], v[48:49], v[52:53], -v[165:166]
	scratch_load_b128 v[48:51], off, off offset:432
	s_waitcnt vmcnt(9) lgkmcnt(1)
	v_mul_f64 v[62:63], v[2:3], v[40:41]
	v_mul_f64 v[40:41], v[4:5], v[40:41]
	v_add_f64 v[60:61], v[60:61], v[169:170]
	v_add_f64 v[58:59], v[58:59], v[167:168]
	s_delay_alu instid0(VALU_DEP_4) | instskip(NEXT) | instid1(VALU_DEP_4)
	v_fma_f64 v[62:63], v[4:5], v[38:39], v[62:63]
	v_fma_f64 v[167:168], v[2:3], v[38:39], -v[40:41]
	scratch_load_b128 v[38:41], off, off offset:448
	ds_load_b128 v[2:5], v1 offset:1264
	s_waitcnt vmcnt(9) lgkmcnt(1)
	v_mul_f64 v[165:166], v[54:55], v[8:9]
	v_mul_f64 v[8:9], v[56:57], v[8:9]
	s_waitcnt vmcnt(8) lgkmcnt(0)
	v_mul_f64 v[169:170], v[2:3], v[12:13]
	v_mul_f64 v[12:13], v[4:5], v[12:13]
	v_add_f64 v[52:53], v[60:61], v[52:53]
	v_add_f64 v[82:83], v[58:59], v[82:83]
	ds_load_b128 v[58:61], v1 offset:1280
	v_fma_f64 v[56:57], v[56:57], v[6:7], v[165:166]
	v_fma_f64 v[54:55], v[54:55], v[6:7], -v[8:9]
	scratch_load_b128 v[6:9], off, off offset:464
	v_fma_f64 v[165:166], v[4:5], v[10:11], v[169:170]
	v_add_f64 v[52:53], v[52:53], v[167:168]
	v_add_f64 v[62:63], v[82:83], v[62:63]
	v_fma_f64 v[167:168], v[2:3], v[10:11], -v[12:13]
	scratch_load_b128 v[10:13], off, off offset:480
	ds_load_b128 v[2:5], v1 offset:1296
	s_waitcnt vmcnt(9) lgkmcnt(1)
	v_mul_f64 v[82:83], v[58:59], v[16:17]
	v_mul_f64 v[16:17], v[60:61], v[16:17]
	v_add_f64 v[169:170], v[52:53], v[54:55]
	v_add_f64 v[56:57], v[62:63], v[56:57]
	s_waitcnt vmcnt(8) lgkmcnt(0)
	v_mul_f64 v[62:63], v[2:3], v[20:21]
	v_mul_f64 v[20:21], v[4:5], v[20:21]
	ds_load_b128 v[52:55], v1 offset:1312
	v_fma_f64 v[60:61], v[60:61], v[14:15], v[82:83]
	v_fma_f64 v[58:59], v[58:59], v[14:15], -v[16:17]
	scratch_load_b128 v[14:17], off, off offset:496
	v_add_f64 v[82:83], v[169:170], v[167:168]
	v_add_f64 v[56:57], v[56:57], v[165:166]
	v_fma_f64 v[62:63], v[4:5], v[18:19], v[62:63]
	v_fma_f64 v[167:168], v[2:3], v[18:19], -v[20:21]
	scratch_load_b128 v[18:21], off, off offset:512
	ds_load_b128 v[2:5], v1 offset:1328
	s_waitcnt vmcnt(9) lgkmcnt(1)
	v_mul_f64 v[165:166], v[52:53], v[24:25]
	v_mul_f64 v[24:25], v[54:55], v[24:25]
	s_waitcnt vmcnt(8) lgkmcnt(0)
	v_mul_f64 v[169:170], v[2:3], v[28:29]
	v_mul_f64 v[28:29], v[4:5], v[28:29]
	v_add_f64 v[82:83], v[82:83], v[58:59]
	v_add_f64 v[60:61], v[56:57], v[60:61]
	ds_load_b128 v[56:59], v1 offset:1344
	v_fma_f64 v[54:55], v[54:55], v[22:23], v[165:166]
	v_fma_f64 v[52:53], v[52:53], v[22:23], -v[24:25]
	scratch_load_b128 v[22:25], off, off offset:528
	v_fma_f64 v[165:166], v[4:5], v[26:27], v[169:170]
	v_add_f64 v[82:83], v[82:83], v[167:168]
	v_add_f64 v[60:61], v[60:61], v[62:63]
	v_fma_f64 v[167:168], v[2:3], v[26:27], -v[28:29]
	scratch_load_b128 v[26:29], off, off offset:544
	ds_load_b128 v[2:5], v1 offset:1360
	s_waitcnt vmcnt(9) lgkmcnt(1)
	v_mul_f64 v[62:63], v[56:57], v[32:33]
	v_mul_f64 v[32:33], v[58:59], v[32:33]
	s_waitcnt vmcnt(8) lgkmcnt(0)
	v_mul_f64 v[169:170], v[2:3], v[36:37]
	v_mul_f64 v[36:37], v[4:5], v[36:37]
	v_add_f64 v[82:83], v[82:83], v[52:53]
	v_add_f64 v[60:61], v[60:61], v[54:55]
	ds_load_b128 v[52:55], v1 offset:1376
	v_fma_f64 v[58:59], v[58:59], v[30:31], v[62:63]
	v_fma_f64 v[56:57], v[56:57], v[30:31], -v[32:33]
	scratch_load_b128 v[30:33], off, off offset:560
	v_add_f64 v[62:63], v[82:83], v[167:168]
	v_add_f64 v[60:61], v[60:61], v[165:166]
	v_fma_f64 v[165:166], v[4:5], v[34:35], v[169:170]
	v_fma_f64 v[167:168], v[2:3], v[34:35], -v[36:37]
	scratch_load_b128 v[34:37], off, off offset:576
	ds_load_b128 v[2:5], v1 offset:1392
	s_waitcnt vmcnt(9) lgkmcnt(1)
	v_mul_f64 v[82:83], v[52:53], v[50:51]
	v_mul_f64 v[50:51], v[54:55], v[50:51]
	s_waitcnt vmcnt(8) lgkmcnt(0)
	v_mul_f64 v[169:170], v[2:3], v[40:41]
	v_mul_f64 v[40:41], v[4:5], v[40:41]
	v_add_f64 v[62:63], v[62:63], v[56:57]
	v_add_f64 v[60:61], v[60:61], v[58:59]
	ds_load_b128 v[56:59], v1 offset:1408
	v_fma_f64 v[54:55], v[54:55], v[48:49], v[82:83]
	v_fma_f64 v[52:53], v[52:53], v[48:49], -v[50:51]
	scratch_load_b128 v[48:51], off, off offset:592
	v_add_f64 v[62:63], v[62:63], v[167:168]
	v_add_f64 v[60:61], v[60:61], v[165:166]
	v_fma_f64 v[165:166], v[4:5], v[38:39], v[169:170]
	;; [unrolled: 18-line block ×6, first 2 shown]
	v_fma_f64 v[169:170], v[2:3], v[34:35], -v[36:37]
	scratch_load_b128 v[34:37], off, off offset:736
	ds_load_b128 v[2:5], v1 offset:1552
	s_waitcnt vmcnt(9) lgkmcnt(1)
	v_mul_f64 v[82:83], v[56:57], v[50:51]
	v_mul_f64 v[165:166], v[58:59], v[50:51]
	v_add_f64 v[62:63], v[62:63], v[52:53]
	v_add_f64 v[54:55], v[60:61], v[54:55]
	s_waitcnt vmcnt(8) lgkmcnt(0)
	v_mul_f64 v[60:61], v[2:3], v[40:41]
	v_mul_f64 v[40:41], v[4:5], v[40:41]
	ds_load_b128 v[50:53], v1 offset:1568
	v_fma_f64 v[58:59], v[58:59], v[48:49], v[82:83]
	v_fma_f64 v[48:49], v[56:57], v[48:49], -v[165:166]
	v_add_f64 v[62:63], v[62:63], v[169:170]
	v_add_f64 v[82:83], v[54:55], v[167:168]
	scratch_load_b128 v[54:57], off, off offset:752
	v_fma_f64 v[167:168], v[4:5], v[38:39], v[60:61]
	v_fma_f64 v[169:170], v[2:3], v[38:39], -v[40:41]
	scratch_load_b128 v[38:41], off, off offset:768
	ds_load_b128 v[2:5], v1 offset:1584
	s_waitcnt vmcnt(9) lgkmcnt(1)
	v_mul_f64 v[165:166], v[50:51], v[8:9]
	v_mul_f64 v[8:9], v[52:53], v[8:9]
	v_add_f64 v[48:49], v[62:63], v[48:49]
	v_add_f64 v[62:63], v[82:83], v[58:59]
	s_waitcnt vmcnt(8) lgkmcnt(0)
	v_mul_f64 v[82:83], v[2:3], v[12:13]
	v_mul_f64 v[12:13], v[4:5], v[12:13]
	ds_load_b128 v[58:61], v1 offset:1600
	v_fma_f64 v[52:53], v[52:53], v[6:7], v[165:166]
	v_fma_f64 v[50:51], v[50:51], v[6:7], -v[8:9]
	scratch_load_b128 v[6:9], off, off offset:784
	v_add_f64 v[48:49], v[48:49], v[169:170]
	v_add_f64 v[62:63], v[62:63], v[167:168]
	v_fma_f64 v[82:83], v[4:5], v[10:11], v[82:83]
	v_fma_f64 v[167:168], v[2:3], v[10:11], -v[12:13]
	scratch_load_b128 v[10:13], off, off offset:800
	ds_load_b128 v[2:5], v1 offset:1616
	s_waitcnt vmcnt(9) lgkmcnt(1)
	v_mul_f64 v[165:166], v[58:59], v[16:17]
	v_mul_f64 v[16:17], v[60:61], v[16:17]
	v_add_f64 v[169:170], v[48:49], v[50:51]
	v_add_f64 v[52:53], v[62:63], v[52:53]
	s_waitcnt vmcnt(8) lgkmcnt(0)
	v_mul_f64 v[62:63], v[2:3], v[20:21]
	v_mul_f64 v[20:21], v[4:5], v[20:21]
	ds_load_b128 v[48:51], v1 offset:1632
	v_fma_f64 v[60:61], v[60:61], v[14:15], v[165:166]
	v_fma_f64 v[58:59], v[58:59], v[14:15], -v[16:17]
	scratch_load_b128 v[14:17], off, off offset:816
	v_add_f64 v[165:166], v[169:170], v[167:168]
	v_add_f64 v[52:53], v[52:53], v[82:83]
	v_fma_f64 v[62:63], v[4:5], v[18:19], v[62:63]
	v_fma_f64 v[167:168], v[2:3], v[18:19], -v[20:21]
	scratch_load_b128 v[18:21], off, off offset:832
	ds_load_b128 v[2:5], v1 offset:1648
	s_waitcnt vmcnt(9) lgkmcnt(1)
	v_mul_f64 v[82:83], v[48:49], v[24:25]
	v_mul_f64 v[24:25], v[50:51], v[24:25]
	s_waitcnt vmcnt(8) lgkmcnt(0)
	v_mul_f64 v[169:170], v[2:3], v[28:29]
	v_mul_f64 v[28:29], v[4:5], v[28:29]
	v_add_f64 v[165:166], v[165:166], v[58:59]
	v_add_f64 v[52:53], v[52:53], v[60:61]
	ds_load_b128 v[58:61], v1 offset:1664
	v_fma_f64 v[50:51], v[50:51], v[22:23], v[82:83]
	v_fma_f64 v[48:49], v[48:49], v[22:23], -v[24:25]
	scratch_load_b128 v[22:25], off, off offset:848
	v_add_f64 v[82:83], v[165:166], v[167:168]
	v_add_f64 v[52:53], v[52:53], v[62:63]
	v_fma_f64 v[165:166], v[4:5], v[26:27], v[169:170]
	v_fma_f64 v[167:168], v[2:3], v[26:27], -v[28:29]
	scratch_load_b128 v[26:29], off, off offset:864
	ds_load_b128 v[2:5], v1 offset:1680
	s_waitcnt vmcnt(9) lgkmcnt(1)
	v_mul_f64 v[62:63], v[58:59], v[32:33]
	v_mul_f64 v[32:33], v[60:61], v[32:33]
	s_waitcnt vmcnt(8) lgkmcnt(0)
	v_mul_f64 v[169:170], v[2:3], v[36:37]
	v_mul_f64 v[36:37], v[4:5], v[36:37]
	v_add_f64 v[82:83], v[82:83], v[48:49]
	v_add_f64 v[52:53], v[52:53], v[50:51]
	ds_load_b128 v[48:51], v1 offset:1696
	v_fma_f64 v[60:61], v[60:61], v[30:31], v[62:63]
	v_fma_f64 v[58:59], v[58:59], v[30:31], -v[32:33]
	scratch_load_b128 v[30:33], off, off offset:880
	v_add_f64 v[62:63], v[82:83], v[167:168]
	v_add_f64 v[52:53], v[52:53], v[165:166]
	v_fma_f64 v[167:168], v[4:5], v[34:35], v[169:170]
	v_fma_f64 v[169:170], v[2:3], v[34:35], -v[36:37]
	scratch_load_b128 v[34:37], off, off offset:896
	ds_load_b128 v[2:5], v1 offset:1712
	s_waitcnt vmcnt(9) lgkmcnt(1)
	v_mul_f64 v[82:83], v[48:49], v[56:57]
	v_mul_f64 v[165:166], v[50:51], v[56:57]
	v_add_f64 v[62:63], v[62:63], v[58:59]
	v_add_f64 v[52:53], v[52:53], v[60:61]
	s_waitcnt vmcnt(8) lgkmcnt(0)
	v_mul_f64 v[60:61], v[2:3], v[40:41]
	v_mul_f64 v[40:41], v[4:5], v[40:41]
	ds_load_b128 v[56:59], v1 offset:1728
	v_fma_f64 v[82:83], v[50:51], v[54:55], v[82:83]
	v_fma_f64 v[54:55], v[48:49], v[54:55], -v[165:166]
	scratch_load_b128 v[48:51], off, off offset:912
	v_add_f64 v[62:63], v[62:63], v[169:170]
	v_add_f64 v[52:53], v[52:53], v[167:168]
	v_fma_f64 v[60:61], v[4:5], v[38:39], v[60:61]
	v_fma_f64 v[167:168], v[2:3], v[38:39], -v[40:41]
	scratch_load_b128 v[38:41], off, off offset:928
	ds_load_b128 v[2:5], v1 offset:1744
	s_waitcnt vmcnt(9) lgkmcnt(1)
	v_mul_f64 v[165:166], v[56:57], v[8:9]
	v_mul_f64 v[8:9], v[58:59], v[8:9]
	s_waitcnt vmcnt(8) lgkmcnt(0)
	v_mul_f64 v[169:170], v[2:3], v[12:13]
	v_mul_f64 v[12:13], v[4:5], v[12:13]
	v_add_f64 v[62:63], v[62:63], v[54:55]
	v_add_f64 v[82:83], v[52:53], v[82:83]
	ds_load_b128 v[52:55], v1 offset:1760
	v_fma_f64 v[58:59], v[58:59], v[6:7], v[165:166]
	v_fma_f64 v[6:7], v[56:57], v[6:7], -v[8:9]
	v_add_f64 v[8:9], v[62:63], v[167:168]
	v_add_f64 v[56:57], v[82:83], v[60:61]
	s_waitcnt vmcnt(7) lgkmcnt(0)
	v_mul_f64 v[60:61], v[52:53], v[16:17]
	v_mul_f64 v[16:17], v[54:55], v[16:17]
	v_fma_f64 v[62:63], v[4:5], v[10:11], v[169:170]
	v_fma_f64 v[10:11], v[2:3], v[10:11], -v[12:13]
	v_add_f64 v[12:13], v[8:9], v[6:7]
	v_add_f64 v[56:57], v[56:57], v[58:59]
	ds_load_b128 v[2:5], v1 offset:1776
	ds_load_b128 v[6:9], v1 offset:1792
	v_fma_f64 v[54:55], v[54:55], v[14:15], v[60:61]
	v_fma_f64 v[14:15], v[52:53], v[14:15], -v[16:17]
	s_waitcnt vmcnt(6) lgkmcnt(1)
	v_mul_f64 v[58:59], v[2:3], v[20:21]
	v_mul_f64 v[20:21], v[4:5], v[20:21]
	s_waitcnt vmcnt(5) lgkmcnt(0)
	v_mul_f64 v[16:17], v[6:7], v[24:25]
	v_mul_f64 v[24:25], v[8:9], v[24:25]
	v_add_f64 v[10:11], v[12:13], v[10:11]
	v_add_f64 v[12:13], v[56:57], v[62:63]
	v_fma_f64 v[52:53], v[4:5], v[18:19], v[58:59]
	v_fma_f64 v[18:19], v[2:3], v[18:19], -v[20:21]
	v_fma_f64 v[8:9], v[8:9], v[22:23], v[16:17]
	v_fma_f64 v[6:7], v[6:7], v[22:23], -v[24:25]
	v_add_f64 v[14:15], v[10:11], v[14:15]
	v_add_f64 v[20:21], v[12:13], v[54:55]
	ds_load_b128 v[2:5], v1 offset:1808
	ds_load_b128 v[10:13], v1 offset:1824
	s_waitcnt vmcnt(4) lgkmcnt(1)
	v_mul_f64 v[54:55], v[2:3], v[28:29]
	v_mul_f64 v[28:29], v[4:5], v[28:29]
	v_add_f64 v[14:15], v[14:15], v[18:19]
	v_add_f64 v[16:17], v[20:21], v[52:53]
	s_waitcnt vmcnt(3) lgkmcnt(0)
	v_mul_f64 v[18:19], v[10:11], v[32:33]
	v_mul_f64 v[20:21], v[12:13], v[32:33]
	v_fma_f64 v[22:23], v[4:5], v[26:27], v[54:55]
	v_fma_f64 v[24:25], v[2:3], v[26:27], -v[28:29]
	v_add_f64 v[14:15], v[14:15], v[6:7]
	v_add_f64 v[16:17], v[16:17], v[8:9]
	ds_load_b128 v[2:5], v1 offset:1840
	ds_load_b128 v[6:9], v1 offset:1856
	v_fma_f64 v[12:13], v[12:13], v[30:31], v[18:19]
	v_fma_f64 v[10:11], v[10:11], v[30:31], -v[20:21]
	s_waitcnt vmcnt(2) lgkmcnt(1)
	v_mul_f64 v[26:27], v[2:3], v[36:37]
	v_mul_f64 v[28:29], v[4:5], v[36:37]
	s_waitcnt vmcnt(1) lgkmcnt(0)
	v_mul_f64 v[18:19], v[6:7], v[50:51]
	v_mul_f64 v[20:21], v[8:9], v[50:51]
	v_add_f64 v[14:15], v[14:15], v[24:25]
	v_add_f64 v[16:17], v[16:17], v[22:23]
	v_fma_f64 v[22:23], v[4:5], v[34:35], v[26:27]
	v_fma_f64 v[24:25], v[2:3], v[34:35], -v[28:29]
	ds_load_b128 v[2:5], v1 offset:1872
	v_fma_f64 v[8:9], v[8:9], v[48:49], v[18:19]
	v_fma_f64 v[6:7], v[6:7], v[48:49], -v[20:21]
	v_add_f64 v[10:11], v[14:15], v[10:11]
	v_add_f64 v[12:13], v[16:17], v[12:13]
	s_waitcnt vmcnt(0) lgkmcnt(0)
	v_mul_f64 v[14:15], v[2:3], v[40:41]
	v_mul_f64 v[16:17], v[4:5], v[40:41]
	s_delay_alu instid0(VALU_DEP_4) | instskip(NEXT) | instid1(VALU_DEP_4)
	v_add_f64 v[10:11], v[10:11], v[24:25]
	v_add_f64 v[12:13], v[12:13], v[22:23]
	s_delay_alu instid0(VALU_DEP_4) | instskip(NEXT) | instid1(VALU_DEP_4)
	v_fma_f64 v[4:5], v[4:5], v[38:39], v[14:15]
	v_fma_f64 v[2:3], v[2:3], v[38:39], -v[16:17]
	s_delay_alu instid0(VALU_DEP_4) | instskip(NEXT) | instid1(VALU_DEP_4)
	v_add_f64 v[6:7], v[10:11], v[6:7]
	v_add_f64 v[8:9], v[12:13], v[8:9]
	s_delay_alu instid0(VALU_DEP_2) | instskip(NEXT) | instid1(VALU_DEP_2)
	v_add_f64 v[2:3], v[6:7], v[2:3]
	v_add_f64 v[4:5], v[8:9], v[4:5]
	s_delay_alu instid0(VALU_DEP_2) | instskip(NEXT) | instid1(VALU_DEP_2)
	v_add_f64 v[2:3], v[42:43], -v[2:3]
	v_add_f64 v[4:5], v[44:45], -v[4:5]
	scratch_store_b128 off, v[2:5], off offset:112
	v_cmpx_lt_u32_e32 6, v164
	s_cbranch_execz .LBB122_355
; %bb.354:
	scratch_load_b128 v[5:8], v217, off
	v_mov_b32_e32 v2, v1
	v_mov_b32_e32 v3, v1
	;; [unrolled: 1-line block ×3, first 2 shown]
	scratch_store_b128 off, v[1:4], off offset:96
	s_waitcnt vmcnt(0)
	ds_store_b128 v223, v[5:8]
.LBB122_355:
	s_or_b32 exec_lo, exec_lo, s2
	s_waitcnt lgkmcnt(0)
	s_waitcnt_vscnt null, 0x0
	s_barrier
	buffer_gl0_inv
	s_clause 0x8
	scratch_load_b128 v[2:5], off, off offset:112
	scratch_load_b128 v[6:9], off, off offset:128
	;; [unrolled: 1-line block ×9, first 2 shown]
	ds_load_b128 v[42:45], v1 offset:1056
	ds_load_b128 v[38:41], v1 offset:1072
	s_clause 0x1
	scratch_load_b128 v[48:51], off, off offset:96
	scratch_load_b128 v[52:55], off, off offset:256
	s_mov_b32 s2, exec_lo
	s_waitcnt vmcnt(10) lgkmcnt(1)
	v_mul_f64 v[56:57], v[44:45], v[4:5]
	v_mul_f64 v[4:5], v[42:43], v[4:5]
	s_waitcnt vmcnt(9) lgkmcnt(0)
	v_mul_f64 v[60:61], v[38:39], v[8:9]
	v_mul_f64 v[8:9], v[40:41], v[8:9]
	s_delay_alu instid0(VALU_DEP_4) | instskip(NEXT) | instid1(VALU_DEP_4)
	v_fma_f64 v[62:63], v[42:43], v[2:3], -v[56:57]
	v_fma_f64 v[82:83], v[44:45], v[2:3], v[4:5]
	ds_load_b128 v[2:5], v1 offset:1088
	ds_load_b128 v[56:59], v1 offset:1104
	scratch_load_b128 v[42:45], off, off offset:272
	v_fma_f64 v[40:41], v[40:41], v[6:7], v[60:61]
	v_fma_f64 v[38:39], v[38:39], v[6:7], -v[8:9]
	scratch_load_b128 v[6:9], off, off offset:288
	s_waitcnt vmcnt(10) lgkmcnt(1)
	v_mul_f64 v[165:166], v[2:3], v[12:13]
	v_mul_f64 v[12:13], v[4:5], v[12:13]
	v_add_f64 v[60:61], v[62:63], 0
	v_add_f64 v[62:63], v[82:83], 0
	s_waitcnt vmcnt(9) lgkmcnt(0)
	v_mul_f64 v[82:83], v[56:57], v[16:17]
	v_mul_f64 v[16:17], v[58:59], v[16:17]
	v_fma_f64 v[165:166], v[4:5], v[10:11], v[165:166]
	v_fma_f64 v[167:168], v[2:3], v[10:11], -v[12:13]
	ds_load_b128 v[2:5], v1 offset:1120
	scratch_load_b128 v[10:13], off, off offset:304
	v_add_f64 v[60:61], v[60:61], v[38:39]
	v_add_f64 v[62:63], v[62:63], v[40:41]
	ds_load_b128 v[38:41], v1 offset:1136
	v_fma_f64 v[58:59], v[58:59], v[14:15], v[82:83]
	v_fma_f64 v[56:57], v[56:57], v[14:15], -v[16:17]
	scratch_load_b128 v[14:17], off, off offset:320
	s_waitcnt vmcnt(10) lgkmcnt(1)
	v_mul_f64 v[169:170], v[2:3], v[20:21]
	v_mul_f64 v[20:21], v[4:5], v[20:21]
	s_waitcnt vmcnt(9) lgkmcnt(0)
	v_mul_f64 v[82:83], v[38:39], v[24:25]
	v_mul_f64 v[24:25], v[40:41], v[24:25]
	v_add_f64 v[60:61], v[60:61], v[167:168]
	v_add_f64 v[62:63], v[62:63], v[165:166]
	v_fma_f64 v[165:166], v[4:5], v[18:19], v[169:170]
	v_fma_f64 v[167:168], v[2:3], v[18:19], -v[20:21]
	ds_load_b128 v[2:5], v1 offset:1152
	scratch_load_b128 v[18:21], off, off offset:336
	v_fma_f64 v[40:41], v[40:41], v[22:23], v[82:83]
	v_fma_f64 v[38:39], v[38:39], v[22:23], -v[24:25]
	scratch_load_b128 v[22:25], off, off offset:352
	v_add_f64 v[60:61], v[60:61], v[56:57]
	v_add_f64 v[62:63], v[62:63], v[58:59]
	ds_load_b128 v[56:59], v1 offset:1168
	s_waitcnt vmcnt(10) lgkmcnt(1)
	v_mul_f64 v[169:170], v[2:3], v[28:29]
	v_mul_f64 v[28:29], v[4:5], v[28:29]
	s_waitcnt vmcnt(9) lgkmcnt(0)
	v_mul_f64 v[82:83], v[56:57], v[32:33]
	v_mul_f64 v[32:33], v[58:59], v[32:33]
	v_add_f64 v[60:61], v[60:61], v[167:168]
	v_add_f64 v[62:63], v[62:63], v[165:166]
	v_fma_f64 v[165:166], v[4:5], v[26:27], v[169:170]
	v_fma_f64 v[167:168], v[2:3], v[26:27], -v[28:29]
	ds_load_b128 v[2:5], v1 offset:1184
	scratch_load_b128 v[26:29], off, off offset:368
	v_fma_f64 v[58:59], v[58:59], v[30:31], v[82:83]
	v_fma_f64 v[56:57], v[56:57], v[30:31], -v[32:33]
	scratch_load_b128 v[30:33], off, off offset:384
	v_add_f64 v[60:61], v[60:61], v[38:39]
	v_add_f64 v[62:63], v[62:63], v[40:41]
	ds_load_b128 v[38:41], v1 offset:1200
	s_waitcnt vmcnt(10) lgkmcnt(1)
	v_mul_f64 v[169:170], v[2:3], v[36:37]
	v_mul_f64 v[36:37], v[4:5], v[36:37]
	s_waitcnt vmcnt(8) lgkmcnt(0)
	v_mul_f64 v[82:83], v[38:39], v[54:55]
	v_add_f64 v[60:61], v[60:61], v[167:168]
	v_add_f64 v[62:63], v[62:63], v[165:166]
	v_mul_f64 v[165:166], v[40:41], v[54:55]
	v_fma_f64 v[167:168], v[4:5], v[34:35], v[169:170]
	v_fma_f64 v[169:170], v[2:3], v[34:35], -v[36:37]
	ds_load_b128 v[2:5], v1 offset:1216
	scratch_load_b128 v[34:37], off, off offset:400
	v_fma_f64 v[82:83], v[40:41], v[52:53], v[82:83]
	v_add_f64 v[60:61], v[60:61], v[56:57]
	v_add_f64 v[58:59], v[62:63], v[58:59]
	ds_load_b128 v[54:57], v1 offset:1232
	v_fma_f64 v[52:53], v[38:39], v[52:53], -v[165:166]
	scratch_load_b128 v[38:41], off, off offset:416
	s_waitcnt vmcnt(9) lgkmcnt(1)
	v_mul_f64 v[62:63], v[2:3], v[44:45]
	v_mul_f64 v[44:45], v[4:5], v[44:45]
	s_waitcnt vmcnt(8) lgkmcnt(0)
	v_mul_f64 v[165:166], v[54:55], v[8:9]
	v_mul_f64 v[8:9], v[56:57], v[8:9]
	v_add_f64 v[60:61], v[60:61], v[169:170]
	v_add_f64 v[58:59], v[58:59], v[167:168]
	v_fma_f64 v[62:63], v[4:5], v[42:43], v[62:63]
	v_fma_f64 v[167:168], v[2:3], v[42:43], -v[44:45]
	ds_load_b128 v[2:5], v1 offset:1248
	scratch_load_b128 v[42:45], off, off offset:432
	v_fma_f64 v[56:57], v[56:57], v[6:7], v[165:166]
	v_fma_f64 v[54:55], v[54:55], v[6:7], -v[8:9]
	scratch_load_b128 v[6:9], off, off offset:448
	v_add_f64 v[52:53], v[60:61], v[52:53]
	v_add_f64 v[82:83], v[58:59], v[82:83]
	ds_load_b128 v[58:61], v1 offset:1264
	s_waitcnt vmcnt(9) lgkmcnt(1)
	v_mul_f64 v[169:170], v[2:3], v[12:13]
	v_mul_f64 v[12:13], v[4:5], v[12:13]
	v_add_f64 v[52:53], v[52:53], v[167:168]
	v_add_f64 v[62:63], v[82:83], v[62:63]
	s_waitcnt vmcnt(8) lgkmcnt(0)
	v_mul_f64 v[82:83], v[58:59], v[16:17]
	v_mul_f64 v[16:17], v[60:61], v[16:17]
	v_fma_f64 v[165:166], v[4:5], v[10:11], v[169:170]
	v_fma_f64 v[167:168], v[2:3], v[10:11], -v[12:13]
	ds_load_b128 v[2:5], v1 offset:1280
	scratch_load_b128 v[10:13], off, off offset:464
	v_add_f64 v[169:170], v[52:53], v[54:55]
	v_add_f64 v[56:57], v[62:63], v[56:57]
	ds_load_b128 v[52:55], v1 offset:1296
	s_waitcnt vmcnt(8) lgkmcnt(1)
	v_mul_f64 v[62:63], v[2:3], v[20:21]
	v_mul_f64 v[20:21], v[4:5], v[20:21]
	v_fma_f64 v[60:61], v[60:61], v[14:15], v[82:83]
	v_fma_f64 v[58:59], v[58:59], v[14:15], -v[16:17]
	scratch_load_b128 v[14:17], off, off offset:480
	v_add_f64 v[82:83], v[169:170], v[167:168]
	v_add_f64 v[56:57], v[56:57], v[165:166]
	s_waitcnt vmcnt(8) lgkmcnt(0)
	v_mul_f64 v[165:166], v[52:53], v[24:25]
	v_mul_f64 v[24:25], v[54:55], v[24:25]
	v_fma_f64 v[62:63], v[4:5], v[18:19], v[62:63]
	v_fma_f64 v[167:168], v[2:3], v[18:19], -v[20:21]
	ds_load_b128 v[2:5], v1 offset:1312
	scratch_load_b128 v[18:21], off, off offset:496
	v_add_f64 v[82:83], v[82:83], v[58:59]
	v_add_f64 v[60:61], v[56:57], v[60:61]
	ds_load_b128 v[56:59], v1 offset:1328
	s_waitcnt vmcnt(8) lgkmcnt(1)
	v_mul_f64 v[169:170], v[2:3], v[28:29]
	v_mul_f64 v[28:29], v[4:5], v[28:29]
	v_fma_f64 v[54:55], v[54:55], v[22:23], v[165:166]
	v_fma_f64 v[52:53], v[52:53], v[22:23], -v[24:25]
	scratch_load_b128 v[22:25], off, off offset:512
	;; [unrolled: 18-line block ×4, first 2 shown]
	s_waitcnt vmcnt(8) lgkmcnt(0)
	v_mul_f64 v[82:83], v[56:57], v[8:9]
	v_mul_f64 v[8:9], v[58:59], v[8:9]
	v_add_f64 v[62:63], v[62:63], v[167:168]
	v_add_f64 v[60:61], v[60:61], v[165:166]
	v_fma_f64 v[165:166], v[4:5], v[42:43], v[169:170]
	v_fma_f64 v[167:168], v[2:3], v[42:43], -v[44:45]
	ds_load_b128 v[2:5], v1 offset:1408
	scratch_load_b128 v[42:45], off, off offset:592
	v_fma_f64 v[58:59], v[58:59], v[6:7], v[82:83]
	v_fma_f64 v[56:57], v[56:57], v[6:7], -v[8:9]
	scratch_load_b128 v[6:9], off, off offset:608
	v_add_f64 v[62:63], v[62:63], v[52:53]
	v_add_f64 v[60:61], v[60:61], v[54:55]
	ds_load_b128 v[52:55], v1 offset:1424
	s_waitcnt vmcnt(9) lgkmcnt(1)
	v_mul_f64 v[169:170], v[2:3], v[12:13]
	v_mul_f64 v[12:13], v[4:5], v[12:13]
	s_waitcnt vmcnt(8) lgkmcnt(0)
	v_mul_f64 v[82:83], v[52:53], v[16:17]
	v_mul_f64 v[16:17], v[54:55], v[16:17]
	v_add_f64 v[62:63], v[62:63], v[167:168]
	v_add_f64 v[60:61], v[60:61], v[165:166]
	v_fma_f64 v[165:166], v[4:5], v[10:11], v[169:170]
	v_fma_f64 v[167:168], v[2:3], v[10:11], -v[12:13]
	ds_load_b128 v[2:5], v1 offset:1440
	scratch_load_b128 v[10:13], off, off offset:624
	v_fma_f64 v[54:55], v[54:55], v[14:15], v[82:83]
	v_fma_f64 v[52:53], v[52:53], v[14:15], -v[16:17]
	scratch_load_b128 v[14:17], off, off offset:640
	v_add_f64 v[62:63], v[62:63], v[56:57]
	v_add_f64 v[60:61], v[60:61], v[58:59]
	ds_load_b128 v[56:59], v1 offset:1456
	s_waitcnt vmcnt(9) lgkmcnt(1)
	v_mul_f64 v[169:170], v[2:3], v[20:21]
	v_mul_f64 v[20:21], v[4:5], v[20:21]
	;; [unrolled: 18-line block ×11, first 2 shown]
	s_waitcnt vmcnt(8) lgkmcnt(0)
	v_mul_f64 v[82:83], v[52:53], v[16:17]
	v_mul_f64 v[16:17], v[54:55], v[16:17]
	v_add_f64 v[62:63], v[62:63], v[167:168]
	v_add_f64 v[60:61], v[60:61], v[165:166]
	v_fma_f64 v[165:166], v[4:5], v[10:11], v[169:170]
	v_fma_f64 v[167:168], v[2:3], v[10:11], -v[12:13]
	ds_load_b128 v[2:5], v1 offset:1760
	ds_load_b128 v[10:13], v1 offset:1776
	v_fma_f64 v[54:55], v[54:55], v[14:15], v[82:83]
	v_fma_f64 v[14:15], v[52:53], v[14:15], -v[16:17]
	v_add_f64 v[56:57], v[62:63], v[56:57]
	v_add_f64 v[58:59], v[60:61], v[58:59]
	s_waitcnt vmcnt(7) lgkmcnt(1)
	v_mul_f64 v[60:61], v[2:3], v[20:21]
	v_mul_f64 v[20:21], v[4:5], v[20:21]
	s_delay_alu instid0(VALU_DEP_4) | instskip(NEXT) | instid1(VALU_DEP_4)
	v_add_f64 v[16:17], v[56:57], v[167:168]
	v_add_f64 v[52:53], v[58:59], v[165:166]
	s_waitcnt vmcnt(6) lgkmcnt(0)
	v_mul_f64 v[56:57], v[10:11], v[24:25]
	v_mul_f64 v[24:25], v[12:13], v[24:25]
	v_fma_f64 v[58:59], v[4:5], v[18:19], v[60:61]
	v_fma_f64 v[18:19], v[2:3], v[18:19], -v[20:21]
	v_add_f64 v[20:21], v[16:17], v[14:15]
	v_add_f64 v[52:53], v[52:53], v[54:55]
	ds_load_b128 v[2:5], v1 offset:1792
	ds_load_b128 v[14:17], v1 offset:1808
	v_fma_f64 v[12:13], v[12:13], v[22:23], v[56:57]
	v_fma_f64 v[10:11], v[10:11], v[22:23], -v[24:25]
	s_waitcnt vmcnt(5) lgkmcnt(1)
	v_mul_f64 v[54:55], v[2:3], v[28:29]
	v_mul_f64 v[28:29], v[4:5], v[28:29]
	s_waitcnt vmcnt(4) lgkmcnt(0)
	v_mul_f64 v[22:23], v[14:15], v[32:33]
	v_mul_f64 v[24:25], v[16:17], v[32:33]
	v_add_f64 v[18:19], v[20:21], v[18:19]
	v_add_f64 v[20:21], v[52:53], v[58:59]
	v_fma_f64 v[32:33], v[4:5], v[26:27], v[54:55]
	v_fma_f64 v[26:27], v[2:3], v[26:27], -v[28:29]
	v_fma_f64 v[16:17], v[16:17], v[30:31], v[22:23]
	v_fma_f64 v[14:15], v[14:15], v[30:31], -v[24:25]
	v_add_f64 v[18:19], v[18:19], v[10:11]
	v_add_f64 v[20:21], v[20:21], v[12:13]
	ds_load_b128 v[2:5], v1 offset:1824
	ds_load_b128 v[10:13], v1 offset:1840
	s_waitcnt vmcnt(3) lgkmcnt(1)
	v_mul_f64 v[28:29], v[2:3], v[36:37]
	v_mul_f64 v[36:37], v[4:5], v[36:37]
	s_waitcnt vmcnt(2) lgkmcnt(0)
	v_mul_f64 v[22:23], v[10:11], v[40:41]
	v_mul_f64 v[24:25], v[12:13], v[40:41]
	v_add_f64 v[18:19], v[18:19], v[26:27]
	v_add_f64 v[20:21], v[20:21], v[32:33]
	v_fma_f64 v[26:27], v[4:5], v[34:35], v[28:29]
	v_fma_f64 v[28:29], v[2:3], v[34:35], -v[36:37]
	v_fma_f64 v[12:13], v[12:13], v[38:39], v[22:23]
	v_fma_f64 v[10:11], v[10:11], v[38:39], -v[24:25]
	v_add_f64 v[18:19], v[18:19], v[14:15]
	v_add_f64 v[20:21], v[20:21], v[16:17]
	ds_load_b128 v[2:5], v1 offset:1856
	ds_load_b128 v[14:17], v1 offset:1872
	s_waitcnt vmcnt(1) lgkmcnt(1)
	v_mul_f64 v[30:31], v[2:3], v[44:45]
	v_mul_f64 v[32:33], v[4:5], v[44:45]
	s_waitcnt vmcnt(0) lgkmcnt(0)
	v_mul_f64 v[22:23], v[14:15], v[8:9]
	v_mul_f64 v[8:9], v[16:17], v[8:9]
	v_add_f64 v[18:19], v[18:19], v[28:29]
	v_add_f64 v[20:21], v[20:21], v[26:27]
	v_fma_f64 v[4:5], v[4:5], v[42:43], v[30:31]
	v_fma_f64 v[1:2], v[2:3], v[42:43], -v[32:33]
	v_fma_f64 v[16:17], v[16:17], v[6:7], v[22:23]
	v_fma_f64 v[6:7], v[14:15], v[6:7], -v[8:9]
	v_add_f64 v[10:11], v[18:19], v[10:11]
	v_add_f64 v[12:13], v[20:21], v[12:13]
	s_delay_alu instid0(VALU_DEP_2) | instskip(NEXT) | instid1(VALU_DEP_2)
	v_add_f64 v[1:2], v[10:11], v[1:2]
	v_add_f64 v[3:4], v[12:13], v[4:5]
	s_delay_alu instid0(VALU_DEP_2) | instskip(NEXT) | instid1(VALU_DEP_2)
	;; [unrolled: 3-line block ×3, first 2 shown]
	v_add_f64 v[1:2], v[48:49], -v[1:2]
	v_add_f64 v[3:4], v[50:51], -v[3:4]
	scratch_store_b128 off, v[1:4], off offset:96
	v_cmpx_lt_u32_e32 5, v164
	s_cbranch_execz .LBB122_357
; %bb.356:
	scratch_load_b128 v[1:4], v218, off
	v_mov_b32_e32 v5, 0
	s_delay_alu instid0(VALU_DEP_1)
	v_mov_b32_e32 v6, v5
	v_mov_b32_e32 v7, v5
	;; [unrolled: 1-line block ×3, first 2 shown]
	scratch_store_b128 off, v[5:8], off offset:80
	s_waitcnt vmcnt(0)
	ds_store_b128 v223, v[1:4]
.LBB122_357:
	s_or_b32 exec_lo, exec_lo, s2
	s_waitcnt lgkmcnt(0)
	s_waitcnt_vscnt null, 0x0
	s_barrier
	buffer_gl0_inv
	s_clause 0x7
	scratch_load_b128 v[2:5], off, off offset:96
	scratch_load_b128 v[6:9], off, off offset:112
	;; [unrolled: 1-line block ×8, first 2 shown]
	v_mov_b32_e32 v1, 0
	s_mov_b32 s2, exec_lo
	ds_load_b128 v[38:41], v1 offset:1040
	s_clause 0x1
	scratch_load_b128 v[34:37], off, off offset:224
	scratch_load_b128 v[42:45], off, off offset:80
	ds_load_b128 v[48:51], v1 offset:1056
	scratch_load_b128 v[52:55], off, off offset:240
	s_waitcnt vmcnt(10) lgkmcnt(1)
	v_mul_f64 v[56:57], v[40:41], v[4:5]
	v_mul_f64 v[4:5], v[38:39], v[4:5]
	s_delay_alu instid0(VALU_DEP_2) | instskip(NEXT) | instid1(VALU_DEP_2)
	v_fma_f64 v[62:63], v[38:39], v[2:3], -v[56:57]
	v_fma_f64 v[82:83], v[40:41], v[2:3], v[4:5]
	scratch_load_b128 v[38:41], off, off offset:256
	ds_load_b128 v[2:5], v1 offset:1072
	s_waitcnt vmcnt(10) lgkmcnt(1)
	v_mul_f64 v[60:61], v[48:49], v[8:9]
	v_mul_f64 v[8:9], v[50:51], v[8:9]
	ds_load_b128 v[56:59], v1 offset:1088
	s_waitcnt vmcnt(9) lgkmcnt(1)
	v_mul_f64 v[165:166], v[2:3], v[12:13]
	v_mul_f64 v[12:13], v[4:5], v[12:13]
	v_fma_f64 v[50:51], v[50:51], v[6:7], v[60:61]
	v_fma_f64 v[48:49], v[48:49], v[6:7], -v[8:9]
	v_add_f64 v[60:61], v[62:63], 0
	v_add_f64 v[62:63], v[82:83], 0
	scratch_load_b128 v[6:9], off, off offset:272
	v_fma_f64 v[165:166], v[4:5], v[10:11], v[165:166]
	v_fma_f64 v[167:168], v[2:3], v[10:11], -v[12:13]
	scratch_load_b128 v[10:13], off, off offset:288
	ds_load_b128 v[2:5], v1 offset:1104
	s_waitcnt vmcnt(10) lgkmcnt(1)
	v_mul_f64 v[82:83], v[56:57], v[16:17]
	v_mul_f64 v[16:17], v[58:59], v[16:17]
	v_add_f64 v[60:61], v[60:61], v[48:49]
	v_add_f64 v[62:63], v[62:63], v[50:51]
	s_waitcnt vmcnt(9) lgkmcnt(0)
	v_mul_f64 v[169:170], v[2:3], v[20:21]
	v_mul_f64 v[20:21], v[4:5], v[20:21]
	ds_load_b128 v[48:51], v1 offset:1120
	v_fma_f64 v[58:59], v[58:59], v[14:15], v[82:83]
	v_fma_f64 v[56:57], v[56:57], v[14:15], -v[16:17]
	scratch_load_b128 v[14:17], off, off offset:304
	v_add_f64 v[60:61], v[60:61], v[167:168]
	v_add_f64 v[62:63], v[62:63], v[165:166]
	v_fma_f64 v[165:166], v[4:5], v[18:19], v[169:170]
	v_fma_f64 v[167:168], v[2:3], v[18:19], -v[20:21]
	scratch_load_b128 v[18:21], off, off offset:320
	ds_load_b128 v[2:5], v1 offset:1136
	s_waitcnt vmcnt(10) lgkmcnt(1)
	v_mul_f64 v[82:83], v[48:49], v[24:25]
	v_mul_f64 v[24:25], v[50:51], v[24:25]
	s_waitcnt vmcnt(9) lgkmcnt(0)
	v_mul_f64 v[169:170], v[2:3], v[28:29]
	v_mul_f64 v[28:29], v[4:5], v[28:29]
	v_add_f64 v[60:61], v[60:61], v[56:57]
	v_add_f64 v[62:63], v[62:63], v[58:59]
	ds_load_b128 v[56:59], v1 offset:1152
	v_fma_f64 v[50:51], v[50:51], v[22:23], v[82:83]
	v_fma_f64 v[48:49], v[48:49], v[22:23], -v[24:25]
	scratch_load_b128 v[22:25], off, off offset:336
	v_add_f64 v[60:61], v[60:61], v[167:168]
	v_add_f64 v[62:63], v[62:63], v[165:166]
	v_fma_f64 v[165:166], v[4:5], v[26:27], v[169:170]
	v_fma_f64 v[167:168], v[2:3], v[26:27], -v[28:29]
	scratch_load_b128 v[26:29], off, off offset:352
	ds_load_b128 v[2:5], v1 offset:1168
	s_waitcnt vmcnt(10) lgkmcnt(1)
	v_mul_f64 v[82:83], v[56:57], v[32:33]
	v_mul_f64 v[32:33], v[58:59], v[32:33]
	s_waitcnt vmcnt(9) lgkmcnt(0)
	v_mul_f64 v[169:170], v[2:3], v[36:37]
	v_mul_f64 v[36:37], v[4:5], v[36:37]
	v_add_f64 v[60:61], v[60:61], v[48:49]
	v_add_f64 v[62:63], v[62:63], v[50:51]
	ds_load_b128 v[48:51], v1 offset:1184
	v_fma_f64 v[58:59], v[58:59], v[30:31], v[82:83]
	v_fma_f64 v[56:57], v[56:57], v[30:31], -v[32:33]
	scratch_load_b128 v[30:33], off, off offset:368
	v_add_f64 v[60:61], v[60:61], v[167:168]
	v_add_f64 v[62:63], v[62:63], v[165:166]
	v_fma_f64 v[167:168], v[4:5], v[34:35], v[169:170]
	v_fma_f64 v[169:170], v[2:3], v[34:35], -v[36:37]
	scratch_load_b128 v[34:37], off, off offset:384
	ds_load_b128 v[2:5], v1 offset:1200
	s_waitcnt vmcnt(9) lgkmcnt(1)
	v_mul_f64 v[82:83], v[48:49], v[54:55]
	v_mul_f64 v[165:166], v[50:51], v[54:55]
	v_add_f64 v[60:61], v[60:61], v[56:57]
	v_add_f64 v[58:59], v[62:63], v[58:59]
	ds_load_b128 v[54:57], v1 offset:1216
	v_fma_f64 v[82:83], v[50:51], v[52:53], v[82:83]
	v_fma_f64 v[52:53], v[48:49], v[52:53], -v[165:166]
	scratch_load_b128 v[48:51], off, off offset:400
	s_waitcnt vmcnt(9) lgkmcnt(1)
	v_mul_f64 v[62:63], v[2:3], v[40:41]
	v_mul_f64 v[40:41], v[4:5], v[40:41]
	v_add_f64 v[60:61], v[60:61], v[169:170]
	v_add_f64 v[58:59], v[58:59], v[167:168]
	s_delay_alu instid0(VALU_DEP_4) | instskip(NEXT) | instid1(VALU_DEP_4)
	v_fma_f64 v[62:63], v[4:5], v[38:39], v[62:63]
	v_fma_f64 v[167:168], v[2:3], v[38:39], -v[40:41]
	scratch_load_b128 v[38:41], off, off offset:416
	ds_load_b128 v[2:5], v1 offset:1232
	s_waitcnt vmcnt(9) lgkmcnt(1)
	v_mul_f64 v[165:166], v[54:55], v[8:9]
	v_mul_f64 v[8:9], v[56:57], v[8:9]
	s_waitcnt vmcnt(8) lgkmcnt(0)
	v_mul_f64 v[169:170], v[2:3], v[12:13]
	v_mul_f64 v[12:13], v[4:5], v[12:13]
	v_add_f64 v[52:53], v[60:61], v[52:53]
	v_add_f64 v[82:83], v[58:59], v[82:83]
	ds_load_b128 v[58:61], v1 offset:1248
	v_fma_f64 v[56:57], v[56:57], v[6:7], v[165:166]
	v_fma_f64 v[54:55], v[54:55], v[6:7], -v[8:9]
	scratch_load_b128 v[6:9], off, off offset:432
	v_fma_f64 v[165:166], v[4:5], v[10:11], v[169:170]
	v_add_f64 v[52:53], v[52:53], v[167:168]
	v_add_f64 v[62:63], v[82:83], v[62:63]
	v_fma_f64 v[167:168], v[2:3], v[10:11], -v[12:13]
	scratch_load_b128 v[10:13], off, off offset:448
	ds_load_b128 v[2:5], v1 offset:1264
	s_waitcnt vmcnt(9) lgkmcnt(1)
	v_mul_f64 v[82:83], v[58:59], v[16:17]
	v_mul_f64 v[16:17], v[60:61], v[16:17]
	v_add_f64 v[169:170], v[52:53], v[54:55]
	v_add_f64 v[56:57], v[62:63], v[56:57]
	s_waitcnt vmcnt(8) lgkmcnt(0)
	v_mul_f64 v[62:63], v[2:3], v[20:21]
	v_mul_f64 v[20:21], v[4:5], v[20:21]
	ds_load_b128 v[52:55], v1 offset:1280
	v_fma_f64 v[60:61], v[60:61], v[14:15], v[82:83]
	v_fma_f64 v[58:59], v[58:59], v[14:15], -v[16:17]
	scratch_load_b128 v[14:17], off, off offset:464
	v_add_f64 v[82:83], v[169:170], v[167:168]
	v_add_f64 v[56:57], v[56:57], v[165:166]
	v_fma_f64 v[62:63], v[4:5], v[18:19], v[62:63]
	v_fma_f64 v[167:168], v[2:3], v[18:19], -v[20:21]
	scratch_load_b128 v[18:21], off, off offset:480
	ds_load_b128 v[2:5], v1 offset:1296
	s_waitcnt vmcnt(9) lgkmcnt(1)
	v_mul_f64 v[165:166], v[52:53], v[24:25]
	v_mul_f64 v[24:25], v[54:55], v[24:25]
	s_waitcnt vmcnt(8) lgkmcnt(0)
	v_mul_f64 v[169:170], v[2:3], v[28:29]
	v_mul_f64 v[28:29], v[4:5], v[28:29]
	v_add_f64 v[82:83], v[82:83], v[58:59]
	v_add_f64 v[60:61], v[56:57], v[60:61]
	ds_load_b128 v[56:59], v1 offset:1312
	v_fma_f64 v[54:55], v[54:55], v[22:23], v[165:166]
	v_fma_f64 v[52:53], v[52:53], v[22:23], -v[24:25]
	scratch_load_b128 v[22:25], off, off offset:496
	v_fma_f64 v[165:166], v[4:5], v[26:27], v[169:170]
	v_add_f64 v[82:83], v[82:83], v[167:168]
	v_add_f64 v[60:61], v[60:61], v[62:63]
	v_fma_f64 v[167:168], v[2:3], v[26:27], -v[28:29]
	scratch_load_b128 v[26:29], off, off offset:512
	ds_load_b128 v[2:5], v1 offset:1328
	s_waitcnt vmcnt(9) lgkmcnt(1)
	v_mul_f64 v[62:63], v[56:57], v[32:33]
	v_mul_f64 v[32:33], v[58:59], v[32:33]
	s_waitcnt vmcnt(8) lgkmcnt(0)
	v_mul_f64 v[169:170], v[2:3], v[36:37]
	v_mul_f64 v[36:37], v[4:5], v[36:37]
	v_add_f64 v[82:83], v[82:83], v[52:53]
	v_add_f64 v[60:61], v[60:61], v[54:55]
	ds_load_b128 v[52:55], v1 offset:1344
	v_fma_f64 v[58:59], v[58:59], v[30:31], v[62:63]
	v_fma_f64 v[56:57], v[56:57], v[30:31], -v[32:33]
	scratch_load_b128 v[30:33], off, off offset:528
	v_add_f64 v[62:63], v[82:83], v[167:168]
	v_add_f64 v[60:61], v[60:61], v[165:166]
	v_fma_f64 v[165:166], v[4:5], v[34:35], v[169:170]
	v_fma_f64 v[167:168], v[2:3], v[34:35], -v[36:37]
	scratch_load_b128 v[34:37], off, off offset:544
	ds_load_b128 v[2:5], v1 offset:1360
	s_waitcnt vmcnt(9) lgkmcnt(1)
	v_mul_f64 v[82:83], v[52:53], v[50:51]
	v_mul_f64 v[50:51], v[54:55], v[50:51]
	s_waitcnt vmcnt(8) lgkmcnt(0)
	v_mul_f64 v[169:170], v[2:3], v[40:41]
	v_mul_f64 v[40:41], v[4:5], v[40:41]
	v_add_f64 v[62:63], v[62:63], v[56:57]
	v_add_f64 v[60:61], v[60:61], v[58:59]
	ds_load_b128 v[56:59], v1 offset:1376
	v_fma_f64 v[54:55], v[54:55], v[48:49], v[82:83]
	v_fma_f64 v[52:53], v[52:53], v[48:49], -v[50:51]
	scratch_load_b128 v[48:51], off, off offset:560
	v_add_f64 v[62:63], v[62:63], v[167:168]
	v_add_f64 v[60:61], v[60:61], v[165:166]
	v_fma_f64 v[165:166], v[4:5], v[38:39], v[169:170]
	;; [unrolled: 18-line block ×6, first 2 shown]
	v_fma_f64 v[169:170], v[2:3], v[34:35], -v[36:37]
	scratch_load_b128 v[34:37], off, off offset:704
	ds_load_b128 v[2:5], v1 offset:1520
	s_waitcnt vmcnt(9) lgkmcnt(1)
	v_mul_f64 v[82:83], v[56:57], v[50:51]
	v_mul_f64 v[165:166], v[58:59], v[50:51]
	v_add_f64 v[62:63], v[62:63], v[52:53]
	v_add_f64 v[54:55], v[60:61], v[54:55]
	s_waitcnt vmcnt(8) lgkmcnt(0)
	v_mul_f64 v[60:61], v[2:3], v[40:41]
	v_mul_f64 v[40:41], v[4:5], v[40:41]
	ds_load_b128 v[50:53], v1 offset:1536
	v_fma_f64 v[58:59], v[58:59], v[48:49], v[82:83]
	v_fma_f64 v[48:49], v[56:57], v[48:49], -v[165:166]
	v_add_f64 v[62:63], v[62:63], v[169:170]
	v_add_f64 v[82:83], v[54:55], v[167:168]
	scratch_load_b128 v[54:57], off, off offset:720
	v_fma_f64 v[167:168], v[4:5], v[38:39], v[60:61]
	v_fma_f64 v[169:170], v[2:3], v[38:39], -v[40:41]
	scratch_load_b128 v[38:41], off, off offset:736
	ds_load_b128 v[2:5], v1 offset:1552
	s_waitcnt vmcnt(9) lgkmcnt(1)
	v_mul_f64 v[165:166], v[50:51], v[8:9]
	v_mul_f64 v[8:9], v[52:53], v[8:9]
	v_add_f64 v[48:49], v[62:63], v[48:49]
	v_add_f64 v[62:63], v[82:83], v[58:59]
	s_waitcnt vmcnt(8) lgkmcnt(0)
	v_mul_f64 v[82:83], v[2:3], v[12:13]
	v_mul_f64 v[12:13], v[4:5], v[12:13]
	ds_load_b128 v[58:61], v1 offset:1568
	v_fma_f64 v[52:53], v[52:53], v[6:7], v[165:166]
	v_fma_f64 v[50:51], v[50:51], v[6:7], -v[8:9]
	scratch_load_b128 v[6:9], off, off offset:752
	v_add_f64 v[48:49], v[48:49], v[169:170]
	v_add_f64 v[62:63], v[62:63], v[167:168]
	v_fma_f64 v[82:83], v[4:5], v[10:11], v[82:83]
	v_fma_f64 v[167:168], v[2:3], v[10:11], -v[12:13]
	scratch_load_b128 v[10:13], off, off offset:768
	ds_load_b128 v[2:5], v1 offset:1584
	s_waitcnt vmcnt(9) lgkmcnt(1)
	v_mul_f64 v[165:166], v[58:59], v[16:17]
	v_mul_f64 v[16:17], v[60:61], v[16:17]
	v_add_f64 v[169:170], v[48:49], v[50:51]
	v_add_f64 v[52:53], v[62:63], v[52:53]
	s_waitcnt vmcnt(8) lgkmcnt(0)
	v_mul_f64 v[62:63], v[2:3], v[20:21]
	v_mul_f64 v[20:21], v[4:5], v[20:21]
	ds_load_b128 v[48:51], v1 offset:1600
	v_fma_f64 v[60:61], v[60:61], v[14:15], v[165:166]
	v_fma_f64 v[58:59], v[58:59], v[14:15], -v[16:17]
	scratch_load_b128 v[14:17], off, off offset:784
	v_add_f64 v[165:166], v[169:170], v[167:168]
	v_add_f64 v[52:53], v[52:53], v[82:83]
	v_fma_f64 v[62:63], v[4:5], v[18:19], v[62:63]
	v_fma_f64 v[167:168], v[2:3], v[18:19], -v[20:21]
	scratch_load_b128 v[18:21], off, off offset:800
	ds_load_b128 v[2:5], v1 offset:1616
	s_waitcnt vmcnt(9) lgkmcnt(1)
	v_mul_f64 v[82:83], v[48:49], v[24:25]
	v_mul_f64 v[24:25], v[50:51], v[24:25]
	s_waitcnt vmcnt(8) lgkmcnt(0)
	v_mul_f64 v[169:170], v[2:3], v[28:29]
	v_mul_f64 v[28:29], v[4:5], v[28:29]
	v_add_f64 v[165:166], v[165:166], v[58:59]
	v_add_f64 v[52:53], v[52:53], v[60:61]
	ds_load_b128 v[58:61], v1 offset:1632
	v_fma_f64 v[50:51], v[50:51], v[22:23], v[82:83]
	v_fma_f64 v[48:49], v[48:49], v[22:23], -v[24:25]
	scratch_load_b128 v[22:25], off, off offset:816
	v_add_f64 v[82:83], v[165:166], v[167:168]
	v_add_f64 v[52:53], v[52:53], v[62:63]
	v_fma_f64 v[165:166], v[4:5], v[26:27], v[169:170]
	v_fma_f64 v[167:168], v[2:3], v[26:27], -v[28:29]
	scratch_load_b128 v[26:29], off, off offset:832
	ds_load_b128 v[2:5], v1 offset:1648
	s_waitcnt vmcnt(9) lgkmcnt(1)
	v_mul_f64 v[62:63], v[58:59], v[32:33]
	v_mul_f64 v[32:33], v[60:61], v[32:33]
	s_waitcnt vmcnt(8) lgkmcnt(0)
	v_mul_f64 v[169:170], v[2:3], v[36:37]
	v_mul_f64 v[36:37], v[4:5], v[36:37]
	v_add_f64 v[82:83], v[82:83], v[48:49]
	v_add_f64 v[52:53], v[52:53], v[50:51]
	ds_load_b128 v[48:51], v1 offset:1664
	v_fma_f64 v[60:61], v[60:61], v[30:31], v[62:63]
	v_fma_f64 v[58:59], v[58:59], v[30:31], -v[32:33]
	scratch_load_b128 v[30:33], off, off offset:848
	v_add_f64 v[62:63], v[82:83], v[167:168]
	v_add_f64 v[52:53], v[52:53], v[165:166]
	v_fma_f64 v[167:168], v[4:5], v[34:35], v[169:170]
	v_fma_f64 v[169:170], v[2:3], v[34:35], -v[36:37]
	scratch_load_b128 v[34:37], off, off offset:864
	ds_load_b128 v[2:5], v1 offset:1680
	s_waitcnt vmcnt(9) lgkmcnt(1)
	v_mul_f64 v[82:83], v[48:49], v[56:57]
	v_mul_f64 v[165:166], v[50:51], v[56:57]
	v_add_f64 v[62:63], v[62:63], v[58:59]
	v_add_f64 v[52:53], v[52:53], v[60:61]
	s_waitcnt vmcnt(8) lgkmcnt(0)
	v_mul_f64 v[60:61], v[2:3], v[40:41]
	v_mul_f64 v[40:41], v[4:5], v[40:41]
	ds_load_b128 v[56:59], v1 offset:1696
	v_fma_f64 v[82:83], v[50:51], v[54:55], v[82:83]
	v_fma_f64 v[54:55], v[48:49], v[54:55], -v[165:166]
	scratch_load_b128 v[48:51], off, off offset:880
	v_add_f64 v[62:63], v[62:63], v[169:170]
	v_add_f64 v[52:53], v[52:53], v[167:168]
	v_fma_f64 v[60:61], v[4:5], v[38:39], v[60:61]
	v_fma_f64 v[167:168], v[2:3], v[38:39], -v[40:41]
	scratch_load_b128 v[38:41], off, off offset:896
	ds_load_b128 v[2:5], v1 offset:1712
	s_waitcnt vmcnt(9) lgkmcnt(1)
	v_mul_f64 v[165:166], v[56:57], v[8:9]
	v_mul_f64 v[8:9], v[58:59], v[8:9]
	s_waitcnt vmcnt(8) lgkmcnt(0)
	v_mul_f64 v[169:170], v[2:3], v[12:13]
	v_mul_f64 v[12:13], v[4:5], v[12:13]
	v_add_f64 v[62:63], v[62:63], v[54:55]
	v_add_f64 v[82:83], v[52:53], v[82:83]
	ds_load_b128 v[52:55], v1 offset:1728
	v_fma_f64 v[58:59], v[58:59], v[6:7], v[165:166]
	v_fma_f64 v[56:57], v[56:57], v[6:7], -v[8:9]
	scratch_load_b128 v[6:9], off, off offset:912
	v_fma_f64 v[165:166], v[4:5], v[10:11], v[169:170]
	v_add_f64 v[62:63], v[62:63], v[167:168]
	v_add_f64 v[60:61], v[82:83], v[60:61]
	v_fma_f64 v[167:168], v[2:3], v[10:11], -v[12:13]
	scratch_load_b128 v[10:13], off, off offset:928
	ds_load_b128 v[2:5], v1 offset:1744
	s_waitcnt vmcnt(9) lgkmcnt(1)
	v_mul_f64 v[82:83], v[52:53], v[16:17]
	v_mul_f64 v[16:17], v[54:55], v[16:17]
	s_waitcnt vmcnt(8) lgkmcnt(0)
	v_mul_f64 v[169:170], v[2:3], v[20:21]
	v_mul_f64 v[20:21], v[4:5], v[20:21]
	v_add_f64 v[62:63], v[62:63], v[56:57]
	v_add_f64 v[60:61], v[60:61], v[58:59]
	ds_load_b128 v[56:59], v1 offset:1760
	v_fma_f64 v[54:55], v[54:55], v[14:15], v[82:83]
	v_fma_f64 v[14:15], v[52:53], v[14:15], -v[16:17]
	v_add_f64 v[16:17], v[62:63], v[167:168]
	v_add_f64 v[52:53], v[60:61], v[165:166]
	s_waitcnt vmcnt(7) lgkmcnt(0)
	v_mul_f64 v[60:61], v[56:57], v[24:25]
	v_mul_f64 v[24:25], v[58:59], v[24:25]
	v_fma_f64 v[62:63], v[4:5], v[18:19], v[169:170]
	v_fma_f64 v[18:19], v[2:3], v[18:19], -v[20:21]
	v_add_f64 v[20:21], v[16:17], v[14:15]
	v_add_f64 v[52:53], v[52:53], v[54:55]
	ds_load_b128 v[2:5], v1 offset:1776
	ds_load_b128 v[14:17], v1 offset:1792
	v_fma_f64 v[58:59], v[58:59], v[22:23], v[60:61]
	v_fma_f64 v[22:23], v[56:57], v[22:23], -v[24:25]
	s_waitcnt vmcnt(6) lgkmcnt(1)
	v_mul_f64 v[54:55], v[2:3], v[28:29]
	v_mul_f64 v[28:29], v[4:5], v[28:29]
	s_waitcnt vmcnt(5) lgkmcnt(0)
	v_mul_f64 v[24:25], v[14:15], v[32:33]
	v_mul_f64 v[32:33], v[16:17], v[32:33]
	v_add_f64 v[18:19], v[20:21], v[18:19]
	v_add_f64 v[20:21], v[52:53], v[62:63]
	v_fma_f64 v[52:53], v[4:5], v[26:27], v[54:55]
	v_fma_f64 v[26:27], v[2:3], v[26:27], -v[28:29]
	v_fma_f64 v[16:17], v[16:17], v[30:31], v[24:25]
	v_fma_f64 v[14:15], v[14:15], v[30:31], -v[32:33]
	v_add_f64 v[22:23], v[18:19], v[22:23]
	v_add_f64 v[28:29], v[20:21], v[58:59]
	ds_load_b128 v[2:5], v1 offset:1808
	ds_load_b128 v[18:21], v1 offset:1824
	s_waitcnt vmcnt(4) lgkmcnt(1)
	v_mul_f64 v[54:55], v[2:3], v[36:37]
	v_mul_f64 v[36:37], v[4:5], v[36:37]
	v_add_f64 v[22:23], v[22:23], v[26:27]
	v_add_f64 v[24:25], v[28:29], v[52:53]
	s_waitcnt vmcnt(3) lgkmcnt(0)
	v_mul_f64 v[26:27], v[18:19], v[50:51]
	v_mul_f64 v[28:29], v[20:21], v[50:51]
	v_fma_f64 v[30:31], v[4:5], v[34:35], v[54:55]
	v_fma_f64 v[32:33], v[2:3], v[34:35], -v[36:37]
	v_add_f64 v[22:23], v[22:23], v[14:15]
	v_add_f64 v[24:25], v[24:25], v[16:17]
	ds_load_b128 v[2:5], v1 offset:1840
	ds_load_b128 v[14:17], v1 offset:1856
	v_fma_f64 v[20:21], v[20:21], v[48:49], v[26:27]
	v_fma_f64 v[18:19], v[18:19], v[48:49], -v[28:29]
	s_waitcnt vmcnt(2) lgkmcnt(1)
	v_mul_f64 v[34:35], v[2:3], v[40:41]
	v_mul_f64 v[36:37], v[4:5], v[40:41]
	s_waitcnt vmcnt(1) lgkmcnt(0)
	v_mul_f64 v[26:27], v[14:15], v[8:9]
	v_mul_f64 v[8:9], v[16:17], v[8:9]
	v_add_f64 v[22:23], v[22:23], v[32:33]
	v_add_f64 v[24:25], v[24:25], v[30:31]
	v_fma_f64 v[28:29], v[4:5], v[38:39], v[34:35]
	v_fma_f64 v[30:31], v[2:3], v[38:39], -v[36:37]
	ds_load_b128 v[2:5], v1 offset:1872
	v_fma_f64 v[16:17], v[16:17], v[6:7], v[26:27]
	v_fma_f64 v[6:7], v[14:15], v[6:7], -v[8:9]
	v_add_f64 v[18:19], v[22:23], v[18:19]
	v_add_f64 v[20:21], v[24:25], v[20:21]
	s_waitcnt vmcnt(0) lgkmcnt(0)
	v_mul_f64 v[22:23], v[2:3], v[12:13]
	v_mul_f64 v[12:13], v[4:5], v[12:13]
	s_delay_alu instid0(VALU_DEP_4) | instskip(NEXT) | instid1(VALU_DEP_4)
	v_add_f64 v[8:9], v[18:19], v[30:31]
	v_add_f64 v[14:15], v[20:21], v[28:29]
	s_delay_alu instid0(VALU_DEP_4) | instskip(NEXT) | instid1(VALU_DEP_4)
	v_fma_f64 v[4:5], v[4:5], v[10:11], v[22:23]
	v_fma_f64 v[2:3], v[2:3], v[10:11], -v[12:13]
	s_delay_alu instid0(VALU_DEP_4) | instskip(NEXT) | instid1(VALU_DEP_4)
	v_add_f64 v[6:7], v[8:9], v[6:7]
	v_add_f64 v[8:9], v[14:15], v[16:17]
	s_delay_alu instid0(VALU_DEP_2) | instskip(NEXT) | instid1(VALU_DEP_2)
	v_add_f64 v[2:3], v[6:7], v[2:3]
	v_add_f64 v[4:5], v[8:9], v[4:5]
	s_delay_alu instid0(VALU_DEP_2) | instskip(NEXT) | instid1(VALU_DEP_2)
	v_add_f64 v[2:3], v[42:43], -v[2:3]
	v_add_f64 v[4:5], v[44:45], -v[4:5]
	scratch_store_b128 off, v[2:5], off offset:80
	v_cmpx_lt_u32_e32 4, v164
	s_cbranch_execz .LBB122_359
; %bb.358:
	scratch_load_b128 v[5:8], v219, off
	v_mov_b32_e32 v2, v1
	v_mov_b32_e32 v3, v1
	;; [unrolled: 1-line block ×3, first 2 shown]
	scratch_store_b128 off, v[1:4], off offset:64
	s_waitcnt vmcnt(0)
	ds_store_b128 v223, v[5:8]
.LBB122_359:
	s_or_b32 exec_lo, exec_lo, s2
	s_waitcnt lgkmcnt(0)
	s_waitcnt_vscnt null, 0x0
	s_barrier
	buffer_gl0_inv
	s_clause 0x8
	scratch_load_b128 v[2:5], off, off offset:80
	scratch_load_b128 v[6:9], off, off offset:96
	;; [unrolled: 1-line block ×9, first 2 shown]
	ds_load_b128 v[42:45], v1 offset:1024
	ds_load_b128 v[38:41], v1 offset:1040
	s_clause 0x1
	scratch_load_b128 v[48:51], off, off offset:64
	scratch_load_b128 v[52:55], off, off offset:224
	s_mov_b32 s2, exec_lo
	s_waitcnt vmcnt(10) lgkmcnt(1)
	v_mul_f64 v[56:57], v[44:45], v[4:5]
	v_mul_f64 v[4:5], v[42:43], v[4:5]
	s_waitcnt vmcnt(9) lgkmcnt(0)
	v_mul_f64 v[60:61], v[38:39], v[8:9]
	v_mul_f64 v[8:9], v[40:41], v[8:9]
	s_delay_alu instid0(VALU_DEP_4) | instskip(NEXT) | instid1(VALU_DEP_4)
	v_fma_f64 v[62:63], v[42:43], v[2:3], -v[56:57]
	v_fma_f64 v[82:83], v[44:45], v[2:3], v[4:5]
	ds_load_b128 v[2:5], v1 offset:1056
	ds_load_b128 v[56:59], v1 offset:1072
	scratch_load_b128 v[42:45], off, off offset:240
	v_fma_f64 v[40:41], v[40:41], v[6:7], v[60:61]
	v_fma_f64 v[38:39], v[38:39], v[6:7], -v[8:9]
	scratch_load_b128 v[6:9], off, off offset:256
	s_waitcnt vmcnt(10) lgkmcnt(1)
	v_mul_f64 v[165:166], v[2:3], v[12:13]
	v_mul_f64 v[12:13], v[4:5], v[12:13]
	v_add_f64 v[60:61], v[62:63], 0
	v_add_f64 v[62:63], v[82:83], 0
	s_waitcnt vmcnt(9) lgkmcnt(0)
	v_mul_f64 v[82:83], v[56:57], v[16:17]
	v_mul_f64 v[16:17], v[58:59], v[16:17]
	v_fma_f64 v[165:166], v[4:5], v[10:11], v[165:166]
	v_fma_f64 v[167:168], v[2:3], v[10:11], -v[12:13]
	ds_load_b128 v[2:5], v1 offset:1088
	scratch_load_b128 v[10:13], off, off offset:272
	v_add_f64 v[60:61], v[60:61], v[38:39]
	v_add_f64 v[62:63], v[62:63], v[40:41]
	ds_load_b128 v[38:41], v1 offset:1104
	v_fma_f64 v[58:59], v[58:59], v[14:15], v[82:83]
	v_fma_f64 v[56:57], v[56:57], v[14:15], -v[16:17]
	scratch_load_b128 v[14:17], off, off offset:288
	s_waitcnt vmcnt(10) lgkmcnt(1)
	v_mul_f64 v[169:170], v[2:3], v[20:21]
	v_mul_f64 v[20:21], v[4:5], v[20:21]
	s_waitcnt vmcnt(9) lgkmcnt(0)
	v_mul_f64 v[82:83], v[38:39], v[24:25]
	v_mul_f64 v[24:25], v[40:41], v[24:25]
	v_add_f64 v[60:61], v[60:61], v[167:168]
	v_add_f64 v[62:63], v[62:63], v[165:166]
	v_fma_f64 v[165:166], v[4:5], v[18:19], v[169:170]
	v_fma_f64 v[167:168], v[2:3], v[18:19], -v[20:21]
	ds_load_b128 v[2:5], v1 offset:1120
	scratch_load_b128 v[18:21], off, off offset:304
	v_fma_f64 v[40:41], v[40:41], v[22:23], v[82:83]
	v_fma_f64 v[38:39], v[38:39], v[22:23], -v[24:25]
	scratch_load_b128 v[22:25], off, off offset:320
	v_add_f64 v[60:61], v[60:61], v[56:57]
	v_add_f64 v[62:63], v[62:63], v[58:59]
	ds_load_b128 v[56:59], v1 offset:1136
	s_waitcnt vmcnt(10) lgkmcnt(1)
	v_mul_f64 v[169:170], v[2:3], v[28:29]
	v_mul_f64 v[28:29], v[4:5], v[28:29]
	s_waitcnt vmcnt(9) lgkmcnt(0)
	v_mul_f64 v[82:83], v[56:57], v[32:33]
	v_mul_f64 v[32:33], v[58:59], v[32:33]
	v_add_f64 v[60:61], v[60:61], v[167:168]
	v_add_f64 v[62:63], v[62:63], v[165:166]
	v_fma_f64 v[165:166], v[4:5], v[26:27], v[169:170]
	v_fma_f64 v[167:168], v[2:3], v[26:27], -v[28:29]
	ds_load_b128 v[2:5], v1 offset:1152
	scratch_load_b128 v[26:29], off, off offset:336
	v_fma_f64 v[58:59], v[58:59], v[30:31], v[82:83]
	v_fma_f64 v[56:57], v[56:57], v[30:31], -v[32:33]
	scratch_load_b128 v[30:33], off, off offset:352
	v_add_f64 v[60:61], v[60:61], v[38:39]
	v_add_f64 v[62:63], v[62:63], v[40:41]
	ds_load_b128 v[38:41], v1 offset:1168
	s_waitcnt vmcnt(10) lgkmcnt(1)
	v_mul_f64 v[169:170], v[2:3], v[36:37]
	v_mul_f64 v[36:37], v[4:5], v[36:37]
	s_waitcnt vmcnt(8) lgkmcnt(0)
	v_mul_f64 v[82:83], v[38:39], v[54:55]
	v_add_f64 v[60:61], v[60:61], v[167:168]
	v_add_f64 v[62:63], v[62:63], v[165:166]
	v_mul_f64 v[165:166], v[40:41], v[54:55]
	v_fma_f64 v[167:168], v[4:5], v[34:35], v[169:170]
	v_fma_f64 v[169:170], v[2:3], v[34:35], -v[36:37]
	ds_load_b128 v[2:5], v1 offset:1184
	scratch_load_b128 v[34:37], off, off offset:368
	v_fma_f64 v[82:83], v[40:41], v[52:53], v[82:83]
	v_add_f64 v[60:61], v[60:61], v[56:57]
	v_add_f64 v[58:59], v[62:63], v[58:59]
	ds_load_b128 v[54:57], v1 offset:1200
	v_fma_f64 v[52:53], v[38:39], v[52:53], -v[165:166]
	scratch_load_b128 v[38:41], off, off offset:384
	s_waitcnt vmcnt(9) lgkmcnt(1)
	v_mul_f64 v[62:63], v[2:3], v[44:45]
	v_mul_f64 v[44:45], v[4:5], v[44:45]
	s_waitcnt vmcnt(8) lgkmcnt(0)
	v_mul_f64 v[165:166], v[54:55], v[8:9]
	v_mul_f64 v[8:9], v[56:57], v[8:9]
	v_add_f64 v[60:61], v[60:61], v[169:170]
	v_add_f64 v[58:59], v[58:59], v[167:168]
	v_fma_f64 v[62:63], v[4:5], v[42:43], v[62:63]
	v_fma_f64 v[167:168], v[2:3], v[42:43], -v[44:45]
	ds_load_b128 v[2:5], v1 offset:1216
	scratch_load_b128 v[42:45], off, off offset:400
	v_fma_f64 v[56:57], v[56:57], v[6:7], v[165:166]
	v_fma_f64 v[54:55], v[54:55], v[6:7], -v[8:9]
	scratch_load_b128 v[6:9], off, off offset:416
	v_add_f64 v[52:53], v[60:61], v[52:53]
	v_add_f64 v[82:83], v[58:59], v[82:83]
	ds_load_b128 v[58:61], v1 offset:1232
	s_waitcnt vmcnt(9) lgkmcnt(1)
	v_mul_f64 v[169:170], v[2:3], v[12:13]
	v_mul_f64 v[12:13], v[4:5], v[12:13]
	v_add_f64 v[52:53], v[52:53], v[167:168]
	v_add_f64 v[62:63], v[82:83], v[62:63]
	s_waitcnt vmcnt(8) lgkmcnt(0)
	v_mul_f64 v[82:83], v[58:59], v[16:17]
	v_mul_f64 v[16:17], v[60:61], v[16:17]
	v_fma_f64 v[165:166], v[4:5], v[10:11], v[169:170]
	v_fma_f64 v[167:168], v[2:3], v[10:11], -v[12:13]
	ds_load_b128 v[2:5], v1 offset:1248
	scratch_load_b128 v[10:13], off, off offset:432
	v_add_f64 v[169:170], v[52:53], v[54:55]
	v_add_f64 v[56:57], v[62:63], v[56:57]
	ds_load_b128 v[52:55], v1 offset:1264
	s_waitcnt vmcnt(8) lgkmcnt(1)
	v_mul_f64 v[62:63], v[2:3], v[20:21]
	v_mul_f64 v[20:21], v[4:5], v[20:21]
	v_fma_f64 v[60:61], v[60:61], v[14:15], v[82:83]
	v_fma_f64 v[58:59], v[58:59], v[14:15], -v[16:17]
	scratch_load_b128 v[14:17], off, off offset:448
	v_add_f64 v[82:83], v[169:170], v[167:168]
	v_add_f64 v[56:57], v[56:57], v[165:166]
	s_waitcnt vmcnt(8) lgkmcnt(0)
	v_mul_f64 v[165:166], v[52:53], v[24:25]
	v_mul_f64 v[24:25], v[54:55], v[24:25]
	v_fma_f64 v[62:63], v[4:5], v[18:19], v[62:63]
	v_fma_f64 v[167:168], v[2:3], v[18:19], -v[20:21]
	ds_load_b128 v[2:5], v1 offset:1280
	scratch_load_b128 v[18:21], off, off offset:464
	v_add_f64 v[82:83], v[82:83], v[58:59]
	v_add_f64 v[60:61], v[56:57], v[60:61]
	ds_load_b128 v[56:59], v1 offset:1296
	s_waitcnt vmcnt(8) lgkmcnt(1)
	v_mul_f64 v[169:170], v[2:3], v[28:29]
	v_mul_f64 v[28:29], v[4:5], v[28:29]
	v_fma_f64 v[54:55], v[54:55], v[22:23], v[165:166]
	v_fma_f64 v[52:53], v[52:53], v[22:23], -v[24:25]
	scratch_load_b128 v[22:25], off, off offset:480
	;; [unrolled: 18-line block ×4, first 2 shown]
	s_waitcnt vmcnt(8) lgkmcnt(0)
	v_mul_f64 v[82:83], v[56:57], v[8:9]
	v_mul_f64 v[8:9], v[58:59], v[8:9]
	v_add_f64 v[62:63], v[62:63], v[167:168]
	v_add_f64 v[60:61], v[60:61], v[165:166]
	v_fma_f64 v[165:166], v[4:5], v[42:43], v[169:170]
	v_fma_f64 v[167:168], v[2:3], v[42:43], -v[44:45]
	ds_load_b128 v[2:5], v1 offset:1376
	scratch_load_b128 v[42:45], off, off offset:560
	v_fma_f64 v[58:59], v[58:59], v[6:7], v[82:83]
	v_fma_f64 v[56:57], v[56:57], v[6:7], -v[8:9]
	scratch_load_b128 v[6:9], off, off offset:576
	v_add_f64 v[62:63], v[62:63], v[52:53]
	v_add_f64 v[60:61], v[60:61], v[54:55]
	ds_load_b128 v[52:55], v1 offset:1392
	s_waitcnt vmcnt(9) lgkmcnt(1)
	v_mul_f64 v[169:170], v[2:3], v[12:13]
	v_mul_f64 v[12:13], v[4:5], v[12:13]
	s_waitcnt vmcnt(8) lgkmcnt(0)
	v_mul_f64 v[82:83], v[52:53], v[16:17]
	v_mul_f64 v[16:17], v[54:55], v[16:17]
	v_add_f64 v[62:63], v[62:63], v[167:168]
	v_add_f64 v[60:61], v[60:61], v[165:166]
	v_fma_f64 v[165:166], v[4:5], v[10:11], v[169:170]
	v_fma_f64 v[167:168], v[2:3], v[10:11], -v[12:13]
	ds_load_b128 v[2:5], v1 offset:1408
	scratch_load_b128 v[10:13], off, off offset:592
	v_fma_f64 v[54:55], v[54:55], v[14:15], v[82:83]
	v_fma_f64 v[52:53], v[52:53], v[14:15], -v[16:17]
	scratch_load_b128 v[14:17], off, off offset:608
	v_add_f64 v[62:63], v[62:63], v[56:57]
	v_add_f64 v[60:61], v[60:61], v[58:59]
	ds_load_b128 v[56:59], v1 offset:1424
	s_waitcnt vmcnt(9) lgkmcnt(1)
	v_mul_f64 v[169:170], v[2:3], v[20:21]
	v_mul_f64 v[20:21], v[4:5], v[20:21]
	;; [unrolled: 18-line block ×12, first 2 shown]
	s_waitcnt vmcnt(8) lgkmcnt(0)
	v_mul_f64 v[82:83], v[56:57], v[24:25]
	v_mul_f64 v[24:25], v[58:59], v[24:25]
	v_add_f64 v[62:63], v[62:63], v[167:168]
	v_add_f64 v[60:61], v[60:61], v[165:166]
	v_fma_f64 v[165:166], v[4:5], v[18:19], v[169:170]
	v_fma_f64 v[167:168], v[2:3], v[18:19], -v[20:21]
	ds_load_b128 v[2:5], v1 offset:1760
	ds_load_b128 v[18:21], v1 offset:1776
	v_fma_f64 v[58:59], v[58:59], v[22:23], v[82:83]
	v_fma_f64 v[22:23], v[56:57], v[22:23], -v[24:25]
	v_add_f64 v[52:53], v[62:63], v[52:53]
	v_add_f64 v[54:55], v[60:61], v[54:55]
	s_waitcnt vmcnt(7) lgkmcnt(1)
	v_mul_f64 v[60:61], v[2:3], v[28:29]
	v_mul_f64 v[28:29], v[4:5], v[28:29]
	s_delay_alu instid0(VALU_DEP_4) | instskip(NEXT) | instid1(VALU_DEP_4)
	v_add_f64 v[24:25], v[52:53], v[167:168]
	v_add_f64 v[52:53], v[54:55], v[165:166]
	s_waitcnt vmcnt(6) lgkmcnt(0)
	v_mul_f64 v[54:55], v[18:19], v[32:33]
	v_mul_f64 v[32:33], v[20:21], v[32:33]
	v_fma_f64 v[56:57], v[4:5], v[26:27], v[60:61]
	v_fma_f64 v[26:27], v[2:3], v[26:27], -v[28:29]
	v_add_f64 v[28:29], v[24:25], v[22:23]
	v_add_f64 v[52:53], v[52:53], v[58:59]
	ds_load_b128 v[2:5], v1 offset:1792
	ds_load_b128 v[22:25], v1 offset:1808
	v_fma_f64 v[20:21], v[20:21], v[30:31], v[54:55]
	v_fma_f64 v[18:19], v[18:19], v[30:31], -v[32:33]
	s_waitcnt vmcnt(5) lgkmcnt(1)
	v_mul_f64 v[58:59], v[2:3], v[36:37]
	v_mul_f64 v[36:37], v[4:5], v[36:37]
	s_waitcnt vmcnt(4) lgkmcnt(0)
	v_mul_f64 v[30:31], v[22:23], v[40:41]
	v_mul_f64 v[32:33], v[24:25], v[40:41]
	v_add_f64 v[26:27], v[28:29], v[26:27]
	v_add_f64 v[28:29], v[52:53], v[56:57]
	v_fma_f64 v[40:41], v[4:5], v[34:35], v[58:59]
	v_fma_f64 v[34:35], v[2:3], v[34:35], -v[36:37]
	v_fma_f64 v[24:25], v[24:25], v[38:39], v[30:31]
	v_fma_f64 v[22:23], v[22:23], v[38:39], -v[32:33]
	v_add_f64 v[26:27], v[26:27], v[18:19]
	v_add_f64 v[28:29], v[28:29], v[20:21]
	ds_load_b128 v[2:5], v1 offset:1824
	ds_load_b128 v[18:21], v1 offset:1840
	s_waitcnt vmcnt(3) lgkmcnt(1)
	v_mul_f64 v[36:37], v[2:3], v[44:45]
	v_mul_f64 v[44:45], v[4:5], v[44:45]
	s_waitcnt vmcnt(2) lgkmcnt(0)
	v_mul_f64 v[30:31], v[18:19], v[8:9]
	v_mul_f64 v[8:9], v[20:21], v[8:9]
	v_add_f64 v[26:27], v[26:27], v[34:35]
	v_add_f64 v[28:29], v[28:29], v[40:41]
	v_fma_f64 v[32:33], v[4:5], v[42:43], v[36:37]
	v_fma_f64 v[34:35], v[2:3], v[42:43], -v[44:45]
	v_fma_f64 v[20:21], v[20:21], v[6:7], v[30:31]
	v_fma_f64 v[6:7], v[18:19], v[6:7], -v[8:9]
	v_add_f64 v[26:27], v[26:27], v[22:23]
	v_add_f64 v[28:29], v[28:29], v[24:25]
	ds_load_b128 v[2:5], v1 offset:1856
	ds_load_b128 v[22:25], v1 offset:1872
	s_waitcnt vmcnt(1) lgkmcnt(1)
	v_mul_f64 v[36:37], v[2:3], v[12:13]
	v_mul_f64 v[12:13], v[4:5], v[12:13]
	v_add_f64 v[8:9], v[26:27], v[34:35]
	v_add_f64 v[18:19], v[28:29], v[32:33]
	s_waitcnt vmcnt(0) lgkmcnt(0)
	v_mul_f64 v[26:27], v[22:23], v[16:17]
	v_mul_f64 v[16:17], v[24:25], v[16:17]
	v_fma_f64 v[4:5], v[4:5], v[10:11], v[36:37]
	v_fma_f64 v[1:2], v[2:3], v[10:11], -v[12:13]
	v_add_f64 v[6:7], v[8:9], v[6:7]
	v_add_f64 v[8:9], v[18:19], v[20:21]
	v_fma_f64 v[10:11], v[24:25], v[14:15], v[26:27]
	v_fma_f64 v[12:13], v[22:23], v[14:15], -v[16:17]
	s_delay_alu instid0(VALU_DEP_4) | instskip(NEXT) | instid1(VALU_DEP_4)
	v_add_f64 v[1:2], v[6:7], v[1:2]
	v_add_f64 v[3:4], v[8:9], v[4:5]
	s_delay_alu instid0(VALU_DEP_2) | instskip(NEXT) | instid1(VALU_DEP_2)
	v_add_f64 v[1:2], v[1:2], v[12:13]
	v_add_f64 v[3:4], v[3:4], v[10:11]
	s_delay_alu instid0(VALU_DEP_2) | instskip(NEXT) | instid1(VALU_DEP_2)
	v_add_f64 v[1:2], v[48:49], -v[1:2]
	v_add_f64 v[3:4], v[50:51], -v[3:4]
	scratch_store_b128 off, v[1:4], off offset:64
	v_cmpx_lt_u32_e32 3, v164
	s_cbranch_execz .LBB122_361
; %bb.360:
	scratch_load_b128 v[1:4], v220, off
	v_mov_b32_e32 v5, 0
	s_delay_alu instid0(VALU_DEP_1)
	v_mov_b32_e32 v6, v5
	v_mov_b32_e32 v7, v5
	v_mov_b32_e32 v8, v5
	scratch_store_b128 off, v[5:8], off offset:48
	s_waitcnt vmcnt(0)
	ds_store_b128 v223, v[1:4]
.LBB122_361:
	s_or_b32 exec_lo, exec_lo, s2
	s_waitcnt lgkmcnt(0)
	s_waitcnt_vscnt null, 0x0
	s_barrier
	buffer_gl0_inv
	s_clause 0x7
	scratch_load_b128 v[2:5], off, off offset:64
	scratch_load_b128 v[6:9], off, off offset:80
	;; [unrolled: 1-line block ×8, first 2 shown]
	v_mov_b32_e32 v1, 0
	s_mov_b32 s2, exec_lo
	ds_load_b128 v[38:41], v1 offset:1008
	s_clause 0x1
	scratch_load_b128 v[34:37], off, off offset:192
	scratch_load_b128 v[42:45], off, off offset:48
	ds_load_b128 v[48:51], v1 offset:1024
	scratch_load_b128 v[52:55], off, off offset:208
	s_waitcnt vmcnt(10) lgkmcnt(1)
	v_mul_f64 v[56:57], v[40:41], v[4:5]
	v_mul_f64 v[4:5], v[38:39], v[4:5]
	s_delay_alu instid0(VALU_DEP_2) | instskip(NEXT) | instid1(VALU_DEP_2)
	v_fma_f64 v[62:63], v[38:39], v[2:3], -v[56:57]
	v_fma_f64 v[82:83], v[40:41], v[2:3], v[4:5]
	scratch_load_b128 v[38:41], off, off offset:224
	ds_load_b128 v[2:5], v1 offset:1040
	s_waitcnt vmcnt(10) lgkmcnt(1)
	v_mul_f64 v[60:61], v[48:49], v[8:9]
	v_mul_f64 v[8:9], v[50:51], v[8:9]
	ds_load_b128 v[56:59], v1 offset:1056
	s_waitcnt vmcnt(9) lgkmcnt(1)
	v_mul_f64 v[165:166], v[2:3], v[12:13]
	v_mul_f64 v[12:13], v[4:5], v[12:13]
	v_fma_f64 v[50:51], v[50:51], v[6:7], v[60:61]
	v_fma_f64 v[48:49], v[48:49], v[6:7], -v[8:9]
	v_add_f64 v[60:61], v[62:63], 0
	v_add_f64 v[62:63], v[82:83], 0
	scratch_load_b128 v[6:9], off, off offset:240
	v_fma_f64 v[165:166], v[4:5], v[10:11], v[165:166]
	v_fma_f64 v[167:168], v[2:3], v[10:11], -v[12:13]
	scratch_load_b128 v[10:13], off, off offset:256
	ds_load_b128 v[2:5], v1 offset:1072
	s_waitcnt vmcnt(10) lgkmcnt(1)
	v_mul_f64 v[82:83], v[56:57], v[16:17]
	v_mul_f64 v[16:17], v[58:59], v[16:17]
	v_add_f64 v[60:61], v[60:61], v[48:49]
	v_add_f64 v[62:63], v[62:63], v[50:51]
	s_waitcnt vmcnt(9) lgkmcnt(0)
	v_mul_f64 v[169:170], v[2:3], v[20:21]
	v_mul_f64 v[20:21], v[4:5], v[20:21]
	ds_load_b128 v[48:51], v1 offset:1088
	v_fma_f64 v[58:59], v[58:59], v[14:15], v[82:83]
	v_fma_f64 v[56:57], v[56:57], v[14:15], -v[16:17]
	scratch_load_b128 v[14:17], off, off offset:272
	v_add_f64 v[60:61], v[60:61], v[167:168]
	v_add_f64 v[62:63], v[62:63], v[165:166]
	v_fma_f64 v[165:166], v[4:5], v[18:19], v[169:170]
	v_fma_f64 v[167:168], v[2:3], v[18:19], -v[20:21]
	scratch_load_b128 v[18:21], off, off offset:288
	ds_load_b128 v[2:5], v1 offset:1104
	s_waitcnt vmcnt(10) lgkmcnt(1)
	v_mul_f64 v[82:83], v[48:49], v[24:25]
	v_mul_f64 v[24:25], v[50:51], v[24:25]
	s_waitcnt vmcnt(9) lgkmcnt(0)
	v_mul_f64 v[169:170], v[2:3], v[28:29]
	v_mul_f64 v[28:29], v[4:5], v[28:29]
	v_add_f64 v[60:61], v[60:61], v[56:57]
	v_add_f64 v[62:63], v[62:63], v[58:59]
	ds_load_b128 v[56:59], v1 offset:1120
	v_fma_f64 v[50:51], v[50:51], v[22:23], v[82:83]
	v_fma_f64 v[48:49], v[48:49], v[22:23], -v[24:25]
	scratch_load_b128 v[22:25], off, off offset:304
	v_add_f64 v[60:61], v[60:61], v[167:168]
	v_add_f64 v[62:63], v[62:63], v[165:166]
	v_fma_f64 v[165:166], v[4:5], v[26:27], v[169:170]
	v_fma_f64 v[167:168], v[2:3], v[26:27], -v[28:29]
	scratch_load_b128 v[26:29], off, off offset:320
	ds_load_b128 v[2:5], v1 offset:1136
	s_waitcnt vmcnt(10) lgkmcnt(1)
	v_mul_f64 v[82:83], v[56:57], v[32:33]
	v_mul_f64 v[32:33], v[58:59], v[32:33]
	s_waitcnt vmcnt(9) lgkmcnt(0)
	v_mul_f64 v[169:170], v[2:3], v[36:37]
	v_mul_f64 v[36:37], v[4:5], v[36:37]
	v_add_f64 v[60:61], v[60:61], v[48:49]
	v_add_f64 v[62:63], v[62:63], v[50:51]
	ds_load_b128 v[48:51], v1 offset:1152
	v_fma_f64 v[58:59], v[58:59], v[30:31], v[82:83]
	v_fma_f64 v[56:57], v[56:57], v[30:31], -v[32:33]
	scratch_load_b128 v[30:33], off, off offset:336
	v_add_f64 v[60:61], v[60:61], v[167:168]
	v_add_f64 v[62:63], v[62:63], v[165:166]
	v_fma_f64 v[167:168], v[4:5], v[34:35], v[169:170]
	v_fma_f64 v[169:170], v[2:3], v[34:35], -v[36:37]
	scratch_load_b128 v[34:37], off, off offset:352
	ds_load_b128 v[2:5], v1 offset:1168
	s_waitcnt vmcnt(9) lgkmcnt(1)
	v_mul_f64 v[82:83], v[48:49], v[54:55]
	v_mul_f64 v[165:166], v[50:51], v[54:55]
	v_add_f64 v[60:61], v[60:61], v[56:57]
	v_add_f64 v[58:59], v[62:63], v[58:59]
	ds_load_b128 v[54:57], v1 offset:1184
	v_fma_f64 v[82:83], v[50:51], v[52:53], v[82:83]
	v_fma_f64 v[52:53], v[48:49], v[52:53], -v[165:166]
	scratch_load_b128 v[48:51], off, off offset:368
	s_waitcnt vmcnt(9) lgkmcnt(1)
	v_mul_f64 v[62:63], v[2:3], v[40:41]
	v_mul_f64 v[40:41], v[4:5], v[40:41]
	v_add_f64 v[60:61], v[60:61], v[169:170]
	v_add_f64 v[58:59], v[58:59], v[167:168]
	s_delay_alu instid0(VALU_DEP_4) | instskip(NEXT) | instid1(VALU_DEP_4)
	v_fma_f64 v[62:63], v[4:5], v[38:39], v[62:63]
	v_fma_f64 v[167:168], v[2:3], v[38:39], -v[40:41]
	scratch_load_b128 v[38:41], off, off offset:384
	ds_load_b128 v[2:5], v1 offset:1200
	s_waitcnt vmcnt(9) lgkmcnt(1)
	v_mul_f64 v[165:166], v[54:55], v[8:9]
	v_mul_f64 v[8:9], v[56:57], v[8:9]
	s_waitcnt vmcnt(8) lgkmcnt(0)
	v_mul_f64 v[169:170], v[2:3], v[12:13]
	v_mul_f64 v[12:13], v[4:5], v[12:13]
	v_add_f64 v[52:53], v[60:61], v[52:53]
	v_add_f64 v[82:83], v[58:59], v[82:83]
	ds_load_b128 v[58:61], v1 offset:1216
	v_fma_f64 v[56:57], v[56:57], v[6:7], v[165:166]
	v_fma_f64 v[54:55], v[54:55], v[6:7], -v[8:9]
	scratch_load_b128 v[6:9], off, off offset:400
	v_fma_f64 v[165:166], v[4:5], v[10:11], v[169:170]
	v_add_f64 v[52:53], v[52:53], v[167:168]
	v_add_f64 v[62:63], v[82:83], v[62:63]
	v_fma_f64 v[167:168], v[2:3], v[10:11], -v[12:13]
	scratch_load_b128 v[10:13], off, off offset:416
	ds_load_b128 v[2:5], v1 offset:1232
	s_waitcnt vmcnt(9) lgkmcnt(1)
	v_mul_f64 v[82:83], v[58:59], v[16:17]
	v_mul_f64 v[16:17], v[60:61], v[16:17]
	v_add_f64 v[169:170], v[52:53], v[54:55]
	v_add_f64 v[56:57], v[62:63], v[56:57]
	s_waitcnt vmcnt(8) lgkmcnt(0)
	v_mul_f64 v[62:63], v[2:3], v[20:21]
	v_mul_f64 v[20:21], v[4:5], v[20:21]
	ds_load_b128 v[52:55], v1 offset:1248
	v_fma_f64 v[60:61], v[60:61], v[14:15], v[82:83]
	v_fma_f64 v[58:59], v[58:59], v[14:15], -v[16:17]
	scratch_load_b128 v[14:17], off, off offset:432
	v_add_f64 v[82:83], v[169:170], v[167:168]
	v_add_f64 v[56:57], v[56:57], v[165:166]
	v_fma_f64 v[62:63], v[4:5], v[18:19], v[62:63]
	v_fma_f64 v[167:168], v[2:3], v[18:19], -v[20:21]
	scratch_load_b128 v[18:21], off, off offset:448
	ds_load_b128 v[2:5], v1 offset:1264
	s_waitcnt vmcnt(9) lgkmcnt(1)
	v_mul_f64 v[165:166], v[52:53], v[24:25]
	v_mul_f64 v[24:25], v[54:55], v[24:25]
	s_waitcnt vmcnt(8) lgkmcnt(0)
	v_mul_f64 v[169:170], v[2:3], v[28:29]
	v_mul_f64 v[28:29], v[4:5], v[28:29]
	v_add_f64 v[82:83], v[82:83], v[58:59]
	v_add_f64 v[60:61], v[56:57], v[60:61]
	ds_load_b128 v[56:59], v1 offset:1280
	v_fma_f64 v[54:55], v[54:55], v[22:23], v[165:166]
	v_fma_f64 v[52:53], v[52:53], v[22:23], -v[24:25]
	scratch_load_b128 v[22:25], off, off offset:464
	v_fma_f64 v[165:166], v[4:5], v[26:27], v[169:170]
	v_add_f64 v[82:83], v[82:83], v[167:168]
	v_add_f64 v[60:61], v[60:61], v[62:63]
	v_fma_f64 v[167:168], v[2:3], v[26:27], -v[28:29]
	scratch_load_b128 v[26:29], off, off offset:480
	ds_load_b128 v[2:5], v1 offset:1296
	s_waitcnt vmcnt(9) lgkmcnt(1)
	v_mul_f64 v[62:63], v[56:57], v[32:33]
	v_mul_f64 v[32:33], v[58:59], v[32:33]
	s_waitcnt vmcnt(8) lgkmcnt(0)
	v_mul_f64 v[169:170], v[2:3], v[36:37]
	v_mul_f64 v[36:37], v[4:5], v[36:37]
	v_add_f64 v[82:83], v[82:83], v[52:53]
	v_add_f64 v[60:61], v[60:61], v[54:55]
	ds_load_b128 v[52:55], v1 offset:1312
	v_fma_f64 v[58:59], v[58:59], v[30:31], v[62:63]
	v_fma_f64 v[56:57], v[56:57], v[30:31], -v[32:33]
	scratch_load_b128 v[30:33], off, off offset:496
	v_add_f64 v[62:63], v[82:83], v[167:168]
	v_add_f64 v[60:61], v[60:61], v[165:166]
	v_fma_f64 v[165:166], v[4:5], v[34:35], v[169:170]
	v_fma_f64 v[167:168], v[2:3], v[34:35], -v[36:37]
	scratch_load_b128 v[34:37], off, off offset:512
	ds_load_b128 v[2:5], v1 offset:1328
	s_waitcnt vmcnt(9) lgkmcnt(1)
	v_mul_f64 v[82:83], v[52:53], v[50:51]
	v_mul_f64 v[50:51], v[54:55], v[50:51]
	s_waitcnt vmcnt(8) lgkmcnt(0)
	v_mul_f64 v[169:170], v[2:3], v[40:41]
	v_mul_f64 v[40:41], v[4:5], v[40:41]
	v_add_f64 v[62:63], v[62:63], v[56:57]
	v_add_f64 v[60:61], v[60:61], v[58:59]
	ds_load_b128 v[56:59], v1 offset:1344
	v_fma_f64 v[54:55], v[54:55], v[48:49], v[82:83]
	v_fma_f64 v[52:53], v[52:53], v[48:49], -v[50:51]
	scratch_load_b128 v[48:51], off, off offset:528
	v_add_f64 v[62:63], v[62:63], v[167:168]
	v_add_f64 v[60:61], v[60:61], v[165:166]
	v_fma_f64 v[165:166], v[4:5], v[38:39], v[169:170]
	;; [unrolled: 18-line block ×6, first 2 shown]
	v_fma_f64 v[169:170], v[2:3], v[34:35], -v[36:37]
	scratch_load_b128 v[34:37], off, off offset:672
	ds_load_b128 v[2:5], v1 offset:1488
	s_waitcnt vmcnt(9) lgkmcnt(1)
	v_mul_f64 v[82:83], v[56:57], v[50:51]
	v_mul_f64 v[165:166], v[58:59], v[50:51]
	v_add_f64 v[62:63], v[62:63], v[52:53]
	v_add_f64 v[54:55], v[60:61], v[54:55]
	s_waitcnt vmcnt(8) lgkmcnt(0)
	v_mul_f64 v[60:61], v[2:3], v[40:41]
	v_mul_f64 v[40:41], v[4:5], v[40:41]
	ds_load_b128 v[50:53], v1 offset:1504
	v_fma_f64 v[58:59], v[58:59], v[48:49], v[82:83]
	v_fma_f64 v[48:49], v[56:57], v[48:49], -v[165:166]
	v_add_f64 v[62:63], v[62:63], v[169:170]
	v_add_f64 v[82:83], v[54:55], v[167:168]
	scratch_load_b128 v[54:57], off, off offset:688
	v_fma_f64 v[167:168], v[4:5], v[38:39], v[60:61]
	v_fma_f64 v[169:170], v[2:3], v[38:39], -v[40:41]
	scratch_load_b128 v[38:41], off, off offset:704
	ds_load_b128 v[2:5], v1 offset:1520
	s_waitcnt vmcnt(9) lgkmcnt(1)
	v_mul_f64 v[165:166], v[50:51], v[8:9]
	v_mul_f64 v[8:9], v[52:53], v[8:9]
	v_add_f64 v[48:49], v[62:63], v[48:49]
	v_add_f64 v[62:63], v[82:83], v[58:59]
	s_waitcnt vmcnt(8) lgkmcnt(0)
	v_mul_f64 v[82:83], v[2:3], v[12:13]
	v_mul_f64 v[12:13], v[4:5], v[12:13]
	ds_load_b128 v[58:61], v1 offset:1536
	v_fma_f64 v[52:53], v[52:53], v[6:7], v[165:166]
	v_fma_f64 v[50:51], v[50:51], v[6:7], -v[8:9]
	scratch_load_b128 v[6:9], off, off offset:720
	v_add_f64 v[48:49], v[48:49], v[169:170]
	v_add_f64 v[62:63], v[62:63], v[167:168]
	v_fma_f64 v[82:83], v[4:5], v[10:11], v[82:83]
	v_fma_f64 v[167:168], v[2:3], v[10:11], -v[12:13]
	scratch_load_b128 v[10:13], off, off offset:736
	ds_load_b128 v[2:5], v1 offset:1552
	s_waitcnt vmcnt(9) lgkmcnt(1)
	v_mul_f64 v[165:166], v[58:59], v[16:17]
	v_mul_f64 v[16:17], v[60:61], v[16:17]
	v_add_f64 v[169:170], v[48:49], v[50:51]
	v_add_f64 v[52:53], v[62:63], v[52:53]
	s_waitcnt vmcnt(8) lgkmcnt(0)
	v_mul_f64 v[62:63], v[2:3], v[20:21]
	v_mul_f64 v[20:21], v[4:5], v[20:21]
	ds_load_b128 v[48:51], v1 offset:1568
	v_fma_f64 v[60:61], v[60:61], v[14:15], v[165:166]
	v_fma_f64 v[58:59], v[58:59], v[14:15], -v[16:17]
	scratch_load_b128 v[14:17], off, off offset:752
	v_add_f64 v[165:166], v[169:170], v[167:168]
	v_add_f64 v[52:53], v[52:53], v[82:83]
	v_fma_f64 v[62:63], v[4:5], v[18:19], v[62:63]
	v_fma_f64 v[167:168], v[2:3], v[18:19], -v[20:21]
	scratch_load_b128 v[18:21], off, off offset:768
	ds_load_b128 v[2:5], v1 offset:1584
	s_waitcnt vmcnt(9) lgkmcnt(1)
	v_mul_f64 v[82:83], v[48:49], v[24:25]
	v_mul_f64 v[24:25], v[50:51], v[24:25]
	s_waitcnt vmcnt(8) lgkmcnt(0)
	v_mul_f64 v[169:170], v[2:3], v[28:29]
	v_mul_f64 v[28:29], v[4:5], v[28:29]
	v_add_f64 v[165:166], v[165:166], v[58:59]
	v_add_f64 v[52:53], v[52:53], v[60:61]
	ds_load_b128 v[58:61], v1 offset:1600
	v_fma_f64 v[50:51], v[50:51], v[22:23], v[82:83]
	v_fma_f64 v[48:49], v[48:49], v[22:23], -v[24:25]
	scratch_load_b128 v[22:25], off, off offset:784
	v_add_f64 v[82:83], v[165:166], v[167:168]
	v_add_f64 v[52:53], v[52:53], v[62:63]
	v_fma_f64 v[165:166], v[4:5], v[26:27], v[169:170]
	v_fma_f64 v[167:168], v[2:3], v[26:27], -v[28:29]
	scratch_load_b128 v[26:29], off, off offset:800
	ds_load_b128 v[2:5], v1 offset:1616
	s_waitcnt vmcnt(9) lgkmcnt(1)
	v_mul_f64 v[62:63], v[58:59], v[32:33]
	v_mul_f64 v[32:33], v[60:61], v[32:33]
	s_waitcnt vmcnt(8) lgkmcnt(0)
	v_mul_f64 v[169:170], v[2:3], v[36:37]
	v_mul_f64 v[36:37], v[4:5], v[36:37]
	v_add_f64 v[82:83], v[82:83], v[48:49]
	v_add_f64 v[52:53], v[52:53], v[50:51]
	ds_load_b128 v[48:51], v1 offset:1632
	v_fma_f64 v[60:61], v[60:61], v[30:31], v[62:63]
	v_fma_f64 v[58:59], v[58:59], v[30:31], -v[32:33]
	scratch_load_b128 v[30:33], off, off offset:816
	v_add_f64 v[62:63], v[82:83], v[167:168]
	v_add_f64 v[52:53], v[52:53], v[165:166]
	v_fma_f64 v[167:168], v[4:5], v[34:35], v[169:170]
	v_fma_f64 v[169:170], v[2:3], v[34:35], -v[36:37]
	scratch_load_b128 v[34:37], off, off offset:832
	ds_load_b128 v[2:5], v1 offset:1648
	s_waitcnt vmcnt(9) lgkmcnt(1)
	v_mul_f64 v[82:83], v[48:49], v[56:57]
	v_mul_f64 v[165:166], v[50:51], v[56:57]
	v_add_f64 v[62:63], v[62:63], v[58:59]
	v_add_f64 v[52:53], v[52:53], v[60:61]
	s_waitcnt vmcnt(8) lgkmcnt(0)
	v_mul_f64 v[60:61], v[2:3], v[40:41]
	v_mul_f64 v[40:41], v[4:5], v[40:41]
	ds_load_b128 v[56:59], v1 offset:1664
	v_fma_f64 v[82:83], v[50:51], v[54:55], v[82:83]
	v_fma_f64 v[54:55], v[48:49], v[54:55], -v[165:166]
	scratch_load_b128 v[48:51], off, off offset:848
	v_add_f64 v[62:63], v[62:63], v[169:170]
	v_add_f64 v[52:53], v[52:53], v[167:168]
	v_fma_f64 v[60:61], v[4:5], v[38:39], v[60:61]
	v_fma_f64 v[167:168], v[2:3], v[38:39], -v[40:41]
	scratch_load_b128 v[38:41], off, off offset:864
	ds_load_b128 v[2:5], v1 offset:1680
	s_waitcnt vmcnt(9) lgkmcnt(1)
	v_mul_f64 v[165:166], v[56:57], v[8:9]
	v_mul_f64 v[8:9], v[58:59], v[8:9]
	s_waitcnt vmcnt(8) lgkmcnt(0)
	v_mul_f64 v[169:170], v[2:3], v[12:13]
	v_mul_f64 v[12:13], v[4:5], v[12:13]
	v_add_f64 v[62:63], v[62:63], v[54:55]
	v_add_f64 v[82:83], v[52:53], v[82:83]
	ds_load_b128 v[52:55], v1 offset:1696
	v_fma_f64 v[58:59], v[58:59], v[6:7], v[165:166]
	v_fma_f64 v[56:57], v[56:57], v[6:7], -v[8:9]
	scratch_load_b128 v[6:9], off, off offset:880
	v_fma_f64 v[165:166], v[4:5], v[10:11], v[169:170]
	v_add_f64 v[62:63], v[62:63], v[167:168]
	v_add_f64 v[60:61], v[82:83], v[60:61]
	v_fma_f64 v[167:168], v[2:3], v[10:11], -v[12:13]
	scratch_load_b128 v[10:13], off, off offset:896
	ds_load_b128 v[2:5], v1 offset:1712
	s_waitcnt vmcnt(9) lgkmcnt(1)
	v_mul_f64 v[82:83], v[52:53], v[16:17]
	v_mul_f64 v[16:17], v[54:55], v[16:17]
	s_waitcnt vmcnt(8) lgkmcnt(0)
	v_mul_f64 v[169:170], v[2:3], v[20:21]
	v_mul_f64 v[20:21], v[4:5], v[20:21]
	v_add_f64 v[62:63], v[62:63], v[56:57]
	v_add_f64 v[60:61], v[60:61], v[58:59]
	ds_load_b128 v[56:59], v1 offset:1728
	v_fma_f64 v[54:55], v[54:55], v[14:15], v[82:83]
	v_fma_f64 v[52:53], v[52:53], v[14:15], -v[16:17]
	scratch_load_b128 v[14:17], off, off offset:912
	v_add_f64 v[62:63], v[62:63], v[167:168]
	v_add_f64 v[60:61], v[60:61], v[165:166]
	v_fma_f64 v[165:166], v[4:5], v[18:19], v[169:170]
	v_fma_f64 v[167:168], v[2:3], v[18:19], -v[20:21]
	scratch_load_b128 v[18:21], off, off offset:928
	ds_load_b128 v[2:5], v1 offset:1744
	s_waitcnt vmcnt(9) lgkmcnt(1)
	v_mul_f64 v[82:83], v[56:57], v[24:25]
	v_mul_f64 v[24:25], v[58:59], v[24:25]
	s_waitcnt vmcnt(8) lgkmcnt(0)
	v_mul_f64 v[169:170], v[2:3], v[28:29]
	v_mul_f64 v[28:29], v[4:5], v[28:29]
	v_add_f64 v[62:63], v[62:63], v[52:53]
	v_add_f64 v[60:61], v[60:61], v[54:55]
	ds_load_b128 v[52:55], v1 offset:1760
	v_fma_f64 v[58:59], v[58:59], v[22:23], v[82:83]
	v_fma_f64 v[22:23], v[56:57], v[22:23], -v[24:25]
	v_add_f64 v[24:25], v[62:63], v[167:168]
	v_add_f64 v[56:57], v[60:61], v[165:166]
	s_waitcnt vmcnt(7) lgkmcnt(0)
	v_mul_f64 v[60:61], v[52:53], v[32:33]
	v_mul_f64 v[32:33], v[54:55], v[32:33]
	v_fma_f64 v[62:63], v[4:5], v[26:27], v[169:170]
	v_fma_f64 v[26:27], v[2:3], v[26:27], -v[28:29]
	v_add_f64 v[28:29], v[24:25], v[22:23]
	v_add_f64 v[56:57], v[56:57], v[58:59]
	ds_load_b128 v[2:5], v1 offset:1776
	ds_load_b128 v[22:25], v1 offset:1792
	v_fma_f64 v[54:55], v[54:55], v[30:31], v[60:61]
	v_fma_f64 v[30:31], v[52:53], v[30:31], -v[32:33]
	s_waitcnt vmcnt(6) lgkmcnt(1)
	v_mul_f64 v[58:59], v[2:3], v[36:37]
	v_mul_f64 v[36:37], v[4:5], v[36:37]
	s_waitcnt vmcnt(5) lgkmcnt(0)
	v_mul_f64 v[32:33], v[22:23], v[50:51]
	v_mul_f64 v[50:51], v[24:25], v[50:51]
	v_add_f64 v[26:27], v[28:29], v[26:27]
	v_add_f64 v[28:29], v[56:57], v[62:63]
	v_fma_f64 v[52:53], v[4:5], v[34:35], v[58:59]
	v_fma_f64 v[34:35], v[2:3], v[34:35], -v[36:37]
	v_fma_f64 v[24:25], v[24:25], v[48:49], v[32:33]
	v_fma_f64 v[22:23], v[22:23], v[48:49], -v[50:51]
	v_add_f64 v[30:31], v[26:27], v[30:31]
	v_add_f64 v[36:37], v[28:29], v[54:55]
	ds_load_b128 v[2:5], v1 offset:1808
	ds_load_b128 v[26:29], v1 offset:1824
	s_waitcnt vmcnt(4) lgkmcnt(1)
	v_mul_f64 v[54:55], v[2:3], v[40:41]
	v_mul_f64 v[40:41], v[4:5], v[40:41]
	v_add_f64 v[30:31], v[30:31], v[34:35]
	v_add_f64 v[32:33], v[36:37], v[52:53]
	s_waitcnt vmcnt(3) lgkmcnt(0)
	v_mul_f64 v[34:35], v[26:27], v[8:9]
	v_mul_f64 v[8:9], v[28:29], v[8:9]
	v_fma_f64 v[36:37], v[4:5], v[38:39], v[54:55]
	v_fma_f64 v[38:39], v[2:3], v[38:39], -v[40:41]
	v_add_f64 v[30:31], v[30:31], v[22:23]
	v_add_f64 v[32:33], v[32:33], v[24:25]
	ds_load_b128 v[2:5], v1 offset:1840
	ds_load_b128 v[22:25], v1 offset:1856
	v_fma_f64 v[28:29], v[28:29], v[6:7], v[34:35]
	v_fma_f64 v[6:7], v[26:27], v[6:7], -v[8:9]
	s_waitcnt vmcnt(2) lgkmcnt(1)
	v_mul_f64 v[40:41], v[2:3], v[12:13]
	v_mul_f64 v[12:13], v[4:5], v[12:13]
	v_add_f64 v[8:9], v[30:31], v[38:39]
	v_add_f64 v[26:27], v[32:33], v[36:37]
	s_waitcnt vmcnt(1) lgkmcnt(0)
	v_mul_f64 v[30:31], v[22:23], v[16:17]
	v_mul_f64 v[16:17], v[24:25], v[16:17]
	v_fma_f64 v[32:33], v[4:5], v[10:11], v[40:41]
	v_fma_f64 v[10:11], v[2:3], v[10:11], -v[12:13]
	ds_load_b128 v[2:5], v1 offset:1872
	v_add_f64 v[6:7], v[8:9], v[6:7]
	v_add_f64 v[8:9], v[26:27], v[28:29]
	v_fma_f64 v[24:25], v[24:25], v[14:15], v[30:31]
	v_fma_f64 v[14:15], v[22:23], v[14:15], -v[16:17]
	s_waitcnt vmcnt(0) lgkmcnt(0)
	v_mul_f64 v[12:13], v[2:3], v[20:21]
	v_mul_f64 v[20:21], v[4:5], v[20:21]
	v_add_f64 v[6:7], v[6:7], v[10:11]
	v_add_f64 v[8:9], v[8:9], v[32:33]
	s_delay_alu instid0(VALU_DEP_4) | instskip(NEXT) | instid1(VALU_DEP_4)
	v_fma_f64 v[4:5], v[4:5], v[18:19], v[12:13]
	v_fma_f64 v[2:3], v[2:3], v[18:19], -v[20:21]
	s_delay_alu instid0(VALU_DEP_4) | instskip(NEXT) | instid1(VALU_DEP_4)
	v_add_f64 v[6:7], v[6:7], v[14:15]
	v_add_f64 v[8:9], v[8:9], v[24:25]
	s_delay_alu instid0(VALU_DEP_2) | instskip(NEXT) | instid1(VALU_DEP_2)
	v_add_f64 v[2:3], v[6:7], v[2:3]
	v_add_f64 v[4:5], v[8:9], v[4:5]
	s_delay_alu instid0(VALU_DEP_2) | instskip(NEXT) | instid1(VALU_DEP_2)
	v_add_f64 v[2:3], v[42:43], -v[2:3]
	v_add_f64 v[4:5], v[44:45], -v[4:5]
	scratch_store_b128 off, v[2:5], off offset:48
	v_cmpx_lt_u32_e32 2, v164
	s_cbranch_execz .LBB122_363
; %bb.362:
	scratch_load_b128 v[5:8], v221, off
	v_mov_b32_e32 v2, v1
	v_mov_b32_e32 v3, v1
	;; [unrolled: 1-line block ×3, first 2 shown]
	scratch_store_b128 off, v[1:4], off offset:32
	s_waitcnt vmcnt(0)
	ds_store_b128 v223, v[5:8]
.LBB122_363:
	s_or_b32 exec_lo, exec_lo, s2
	s_waitcnt lgkmcnt(0)
	s_waitcnt_vscnt null, 0x0
	s_barrier
	buffer_gl0_inv
	s_clause 0x8
	scratch_load_b128 v[2:5], off, off offset:48
	scratch_load_b128 v[6:9], off, off offset:64
	;; [unrolled: 1-line block ×9, first 2 shown]
	ds_load_b128 v[42:45], v1 offset:992
	ds_load_b128 v[38:41], v1 offset:1008
	s_clause 0x1
	scratch_load_b128 v[48:51], off, off offset:32
	scratch_load_b128 v[52:55], off, off offset:192
	s_mov_b32 s2, exec_lo
	s_waitcnt vmcnt(10) lgkmcnt(1)
	v_mul_f64 v[56:57], v[44:45], v[4:5]
	v_mul_f64 v[4:5], v[42:43], v[4:5]
	s_waitcnt vmcnt(9) lgkmcnt(0)
	v_mul_f64 v[60:61], v[38:39], v[8:9]
	v_mul_f64 v[8:9], v[40:41], v[8:9]
	s_delay_alu instid0(VALU_DEP_4) | instskip(NEXT) | instid1(VALU_DEP_4)
	v_fma_f64 v[62:63], v[42:43], v[2:3], -v[56:57]
	v_fma_f64 v[82:83], v[44:45], v[2:3], v[4:5]
	ds_load_b128 v[2:5], v1 offset:1024
	ds_load_b128 v[56:59], v1 offset:1040
	scratch_load_b128 v[42:45], off, off offset:208
	v_fma_f64 v[40:41], v[40:41], v[6:7], v[60:61]
	v_fma_f64 v[38:39], v[38:39], v[6:7], -v[8:9]
	scratch_load_b128 v[6:9], off, off offset:224
	s_waitcnt vmcnt(10) lgkmcnt(1)
	v_mul_f64 v[165:166], v[2:3], v[12:13]
	v_mul_f64 v[12:13], v[4:5], v[12:13]
	v_add_f64 v[60:61], v[62:63], 0
	v_add_f64 v[62:63], v[82:83], 0
	s_waitcnt vmcnt(9) lgkmcnt(0)
	v_mul_f64 v[82:83], v[56:57], v[16:17]
	v_mul_f64 v[16:17], v[58:59], v[16:17]
	v_fma_f64 v[165:166], v[4:5], v[10:11], v[165:166]
	v_fma_f64 v[167:168], v[2:3], v[10:11], -v[12:13]
	ds_load_b128 v[2:5], v1 offset:1056
	scratch_load_b128 v[10:13], off, off offset:240
	v_add_f64 v[60:61], v[60:61], v[38:39]
	v_add_f64 v[62:63], v[62:63], v[40:41]
	ds_load_b128 v[38:41], v1 offset:1072
	v_fma_f64 v[58:59], v[58:59], v[14:15], v[82:83]
	v_fma_f64 v[56:57], v[56:57], v[14:15], -v[16:17]
	scratch_load_b128 v[14:17], off, off offset:256
	s_waitcnt vmcnt(10) lgkmcnt(1)
	v_mul_f64 v[169:170], v[2:3], v[20:21]
	v_mul_f64 v[20:21], v[4:5], v[20:21]
	s_waitcnt vmcnt(9) lgkmcnt(0)
	v_mul_f64 v[82:83], v[38:39], v[24:25]
	v_mul_f64 v[24:25], v[40:41], v[24:25]
	v_add_f64 v[60:61], v[60:61], v[167:168]
	v_add_f64 v[62:63], v[62:63], v[165:166]
	v_fma_f64 v[165:166], v[4:5], v[18:19], v[169:170]
	v_fma_f64 v[167:168], v[2:3], v[18:19], -v[20:21]
	ds_load_b128 v[2:5], v1 offset:1088
	scratch_load_b128 v[18:21], off, off offset:272
	v_fma_f64 v[40:41], v[40:41], v[22:23], v[82:83]
	v_fma_f64 v[38:39], v[38:39], v[22:23], -v[24:25]
	scratch_load_b128 v[22:25], off, off offset:288
	v_add_f64 v[60:61], v[60:61], v[56:57]
	v_add_f64 v[62:63], v[62:63], v[58:59]
	ds_load_b128 v[56:59], v1 offset:1104
	s_waitcnt vmcnt(10) lgkmcnt(1)
	v_mul_f64 v[169:170], v[2:3], v[28:29]
	v_mul_f64 v[28:29], v[4:5], v[28:29]
	s_waitcnt vmcnt(9) lgkmcnt(0)
	v_mul_f64 v[82:83], v[56:57], v[32:33]
	v_mul_f64 v[32:33], v[58:59], v[32:33]
	v_add_f64 v[60:61], v[60:61], v[167:168]
	v_add_f64 v[62:63], v[62:63], v[165:166]
	v_fma_f64 v[165:166], v[4:5], v[26:27], v[169:170]
	v_fma_f64 v[167:168], v[2:3], v[26:27], -v[28:29]
	ds_load_b128 v[2:5], v1 offset:1120
	scratch_load_b128 v[26:29], off, off offset:304
	v_fma_f64 v[58:59], v[58:59], v[30:31], v[82:83]
	v_fma_f64 v[56:57], v[56:57], v[30:31], -v[32:33]
	scratch_load_b128 v[30:33], off, off offset:320
	v_add_f64 v[60:61], v[60:61], v[38:39]
	v_add_f64 v[62:63], v[62:63], v[40:41]
	ds_load_b128 v[38:41], v1 offset:1136
	s_waitcnt vmcnt(10) lgkmcnt(1)
	v_mul_f64 v[169:170], v[2:3], v[36:37]
	v_mul_f64 v[36:37], v[4:5], v[36:37]
	s_waitcnt vmcnt(8) lgkmcnt(0)
	v_mul_f64 v[82:83], v[38:39], v[54:55]
	v_add_f64 v[60:61], v[60:61], v[167:168]
	v_add_f64 v[62:63], v[62:63], v[165:166]
	v_mul_f64 v[165:166], v[40:41], v[54:55]
	v_fma_f64 v[167:168], v[4:5], v[34:35], v[169:170]
	v_fma_f64 v[169:170], v[2:3], v[34:35], -v[36:37]
	ds_load_b128 v[2:5], v1 offset:1152
	scratch_load_b128 v[34:37], off, off offset:336
	v_fma_f64 v[82:83], v[40:41], v[52:53], v[82:83]
	v_add_f64 v[60:61], v[60:61], v[56:57]
	v_add_f64 v[58:59], v[62:63], v[58:59]
	ds_load_b128 v[54:57], v1 offset:1168
	v_fma_f64 v[52:53], v[38:39], v[52:53], -v[165:166]
	scratch_load_b128 v[38:41], off, off offset:352
	s_waitcnt vmcnt(9) lgkmcnt(1)
	v_mul_f64 v[62:63], v[2:3], v[44:45]
	v_mul_f64 v[44:45], v[4:5], v[44:45]
	s_waitcnt vmcnt(8) lgkmcnt(0)
	v_mul_f64 v[165:166], v[54:55], v[8:9]
	v_mul_f64 v[8:9], v[56:57], v[8:9]
	v_add_f64 v[60:61], v[60:61], v[169:170]
	v_add_f64 v[58:59], v[58:59], v[167:168]
	v_fma_f64 v[62:63], v[4:5], v[42:43], v[62:63]
	v_fma_f64 v[167:168], v[2:3], v[42:43], -v[44:45]
	ds_load_b128 v[2:5], v1 offset:1184
	scratch_load_b128 v[42:45], off, off offset:368
	v_fma_f64 v[56:57], v[56:57], v[6:7], v[165:166]
	v_fma_f64 v[54:55], v[54:55], v[6:7], -v[8:9]
	scratch_load_b128 v[6:9], off, off offset:384
	v_add_f64 v[52:53], v[60:61], v[52:53]
	v_add_f64 v[82:83], v[58:59], v[82:83]
	ds_load_b128 v[58:61], v1 offset:1200
	s_waitcnt vmcnt(9) lgkmcnt(1)
	v_mul_f64 v[169:170], v[2:3], v[12:13]
	v_mul_f64 v[12:13], v[4:5], v[12:13]
	v_add_f64 v[52:53], v[52:53], v[167:168]
	v_add_f64 v[62:63], v[82:83], v[62:63]
	s_waitcnt vmcnt(8) lgkmcnt(0)
	v_mul_f64 v[82:83], v[58:59], v[16:17]
	v_mul_f64 v[16:17], v[60:61], v[16:17]
	v_fma_f64 v[165:166], v[4:5], v[10:11], v[169:170]
	v_fma_f64 v[167:168], v[2:3], v[10:11], -v[12:13]
	ds_load_b128 v[2:5], v1 offset:1216
	scratch_load_b128 v[10:13], off, off offset:400
	v_add_f64 v[169:170], v[52:53], v[54:55]
	v_add_f64 v[56:57], v[62:63], v[56:57]
	ds_load_b128 v[52:55], v1 offset:1232
	s_waitcnt vmcnt(8) lgkmcnt(1)
	v_mul_f64 v[62:63], v[2:3], v[20:21]
	v_mul_f64 v[20:21], v[4:5], v[20:21]
	v_fma_f64 v[60:61], v[60:61], v[14:15], v[82:83]
	v_fma_f64 v[58:59], v[58:59], v[14:15], -v[16:17]
	scratch_load_b128 v[14:17], off, off offset:416
	v_add_f64 v[82:83], v[169:170], v[167:168]
	v_add_f64 v[56:57], v[56:57], v[165:166]
	s_waitcnt vmcnt(8) lgkmcnt(0)
	v_mul_f64 v[165:166], v[52:53], v[24:25]
	v_mul_f64 v[24:25], v[54:55], v[24:25]
	v_fma_f64 v[62:63], v[4:5], v[18:19], v[62:63]
	v_fma_f64 v[167:168], v[2:3], v[18:19], -v[20:21]
	ds_load_b128 v[2:5], v1 offset:1248
	scratch_load_b128 v[18:21], off, off offset:432
	v_add_f64 v[82:83], v[82:83], v[58:59]
	v_add_f64 v[60:61], v[56:57], v[60:61]
	ds_load_b128 v[56:59], v1 offset:1264
	s_waitcnt vmcnt(8) lgkmcnt(1)
	v_mul_f64 v[169:170], v[2:3], v[28:29]
	v_mul_f64 v[28:29], v[4:5], v[28:29]
	v_fma_f64 v[54:55], v[54:55], v[22:23], v[165:166]
	v_fma_f64 v[52:53], v[52:53], v[22:23], -v[24:25]
	scratch_load_b128 v[22:25], off, off offset:448
	;; [unrolled: 18-line block ×4, first 2 shown]
	s_waitcnt vmcnt(8) lgkmcnt(0)
	v_mul_f64 v[82:83], v[56:57], v[8:9]
	v_mul_f64 v[8:9], v[58:59], v[8:9]
	v_add_f64 v[62:63], v[62:63], v[167:168]
	v_add_f64 v[60:61], v[60:61], v[165:166]
	v_fma_f64 v[165:166], v[4:5], v[42:43], v[169:170]
	v_fma_f64 v[167:168], v[2:3], v[42:43], -v[44:45]
	ds_load_b128 v[2:5], v1 offset:1344
	scratch_load_b128 v[42:45], off, off offset:528
	v_fma_f64 v[58:59], v[58:59], v[6:7], v[82:83]
	v_fma_f64 v[56:57], v[56:57], v[6:7], -v[8:9]
	scratch_load_b128 v[6:9], off, off offset:544
	v_add_f64 v[62:63], v[62:63], v[52:53]
	v_add_f64 v[60:61], v[60:61], v[54:55]
	ds_load_b128 v[52:55], v1 offset:1360
	s_waitcnt vmcnt(9) lgkmcnt(1)
	v_mul_f64 v[169:170], v[2:3], v[12:13]
	v_mul_f64 v[12:13], v[4:5], v[12:13]
	s_waitcnt vmcnt(8) lgkmcnt(0)
	v_mul_f64 v[82:83], v[52:53], v[16:17]
	v_mul_f64 v[16:17], v[54:55], v[16:17]
	v_add_f64 v[62:63], v[62:63], v[167:168]
	v_add_f64 v[60:61], v[60:61], v[165:166]
	v_fma_f64 v[165:166], v[4:5], v[10:11], v[169:170]
	v_fma_f64 v[167:168], v[2:3], v[10:11], -v[12:13]
	ds_load_b128 v[2:5], v1 offset:1376
	scratch_load_b128 v[10:13], off, off offset:560
	v_fma_f64 v[54:55], v[54:55], v[14:15], v[82:83]
	v_fma_f64 v[52:53], v[52:53], v[14:15], -v[16:17]
	scratch_load_b128 v[14:17], off, off offset:576
	v_add_f64 v[62:63], v[62:63], v[56:57]
	v_add_f64 v[60:61], v[60:61], v[58:59]
	ds_load_b128 v[56:59], v1 offset:1392
	s_waitcnt vmcnt(9) lgkmcnt(1)
	v_mul_f64 v[169:170], v[2:3], v[20:21]
	v_mul_f64 v[20:21], v[4:5], v[20:21]
	;; [unrolled: 18-line block ×13, first 2 shown]
	s_waitcnt vmcnt(8) lgkmcnt(0)
	v_mul_f64 v[82:83], v[52:53], v[32:33]
	v_mul_f64 v[32:33], v[54:55], v[32:33]
	v_add_f64 v[62:63], v[62:63], v[167:168]
	v_add_f64 v[60:61], v[60:61], v[165:166]
	v_fma_f64 v[165:166], v[4:5], v[26:27], v[169:170]
	v_fma_f64 v[167:168], v[2:3], v[26:27], -v[28:29]
	ds_load_b128 v[2:5], v1 offset:1760
	ds_load_b128 v[26:29], v1 offset:1776
	v_fma_f64 v[54:55], v[54:55], v[30:31], v[82:83]
	v_fma_f64 v[30:31], v[52:53], v[30:31], -v[32:33]
	v_add_f64 v[56:57], v[62:63], v[56:57]
	v_add_f64 v[58:59], v[60:61], v[58:59]
	s_waitcnt vmcnt(7) lgkmcnt(1)
	v_mul_f64 v[60:61], v[2:3], v[36:37]
	v_mul_f64 v[36:37], v[4:5], v[36:37]
	s_delay_alu instid0(VALU_DEP_4) | instskip(NEXT) | instid1(VALU_DEP_4)
	v_add_f64 v[32:33], v[56:57], v[167:168]
	v_add_f64 v[52:53], v[58:59], v[165:166]
	s_waitcnt vmcnt(6) lgkmcnt(0)
	v_mul_f64 v[56:57], v[26:27], v[40:41]
	v_mul_f64 v[40:41], v[28:29], v[40:41]
	v_fma_f64 v[58:59], v[4:5], v[34:35], v[60:61]
	v_fma_f64 v[34:35], v[2:3], v[34:35], -v[36:37]
	v_add_f64 v[36:37], v[32:33], v[30:31]
	v_add_f64 v[52:53], v[52:53], v[54:55]
	ds_load_b128 v[2:5], v1 offset:1792
	ds_load_b128 v[30:33], v1 offset:1808
	v_fma_f64 v[28:29], v[28:29], v[38:39], v[56:57]
	v_fma_f64 v[26:27], v[26:27], v[38:39], -v[40:41]
	s_waitcnt vmcnt(5) lgkmcnt(1)
	v_mul_f64 v[54:55], v[2:3], v[44:45]
	v_mul_f64 v[44:45], v[4:5], v[44:45]
	s_waitcnt vmcnt(4) lgkmcnt(0)
	v_mul_f64 v[38:39], v[30:31], v[8:9]
	v_mul_f64 v[8:9], v[32:33], v[8:9]
	v_add_f64 v[34:35], v[36:37], v[34:35]
	v_add_f64 v[36:37], v[52:53], v[58:59]
	v_fma_f64 v[40:41], v[4:5], v[42:43], v[54:55]
	v_fma_f64 v[42:43], v[2:3], v[42:43], -v[44:45]
	v_fma_f64 v[32:33], v[32:33], v[6:7], v[38:39]
	v_fma_f64 v[6:7], v[30:31], v[6:7], -v[8:9]
	v_add_f64 v[34:35], v[34:35], v[26:27]
	v_add_f64 v[36:37], v[36:37], v[28:29]
	ds_load_b128 v[2:5], v1 offset:1824
	ds_load_b128 v[26:29], v1 offset:1840
	s_waitcnt vmcnt(3) lgkmcnt(1)
	v_mul_f64 v[44:45], v[2:3], v[12:13]
	v_mul_f64 v[12:13], v[4:5], v[12:13]
	v_add_f64 v[8:9], v[34:35], v[42:43]
	v_add_f64 v[30:31], v[36:37], v[40:41]
	s_waitcnt vmcnt(2) lgkmcnt(0)
	v_mul_f64 v[34:35], v[26:27], v[16:17]
	v_mul_f64 v[16:17], v[28:29], v[16:17]
	v_fma_f64 v[36:37], v[4:5], v[10:11], v[44:45]
	v_fma_f64 v[10:11], v[2:3], v[10:11], -v[12:13]
	v_add_f64 v[12:13], v[8:9], v[6:7]
	v_add_f64 v[30:31], v[30:31], v[32:33]
	ds_load_b128 v[2:5], v1 offset:1856
	ds_load_b128 v[6:9], v1 offset:1872
	v_fma_f64 v[28:29], v[28:29], v[14:15], v[34:35]
	v_fma_f64 v[14:15], v[26:27], v[14:15], -v[16:17]
	s_waitcnt vmcnt(1) lgkmcnt(1)
	v_mul_f64 v[32:33], v[2:3], v[20:21]
	v_mul_f64 v[20:21], v[4:5], v[20:21]
	s_waitcnt vmcnt(0) lgkmcnt(0)
	v_mul_f64 v[16:17], v[6:7], v[24:25]
	v_mul_f64 v[24:25], v[8:9], v[24:25]
	v_add_f64 v[10:11], v[12:13], v[10:11]
	v_add_f64 v[12:13], v[30:31], v[36:37]
	v_fma_f64 v[4:5], v[4:5], v[18:19], v[32:33]
	v_fma_f64 v[1:2], v[2:3], v[18:19], -v[20:21]
	v_fma_f64 v[8:9], v[8:9], v[22:23], v[16:17]
	v_fma_f64 v[6:7], v[6:7], v[22:23], -v[24:25]
	v_add_f64 v[10:11], v[10:11], v[14:15]
	v_add_f64 v[12:13], v[12:13], v[28:29]
	s_delay_alu instid0(VALU_DEP_2) | instskip(NEXT) | instid1(VALU_DEP_2)
	v_add_f64 v[1:2], v[10:11], v[1:2]
	v_add_f64 v[3:4], v[12:13], v[4:5]
	s_delay_alu instid0(VALU_DEP_2) | instskip(NEXT) | instid1(VALU_DEP_2)
	v_add_f64 v[1:2], v[1:2], v[6:7]
	v_add_f64 v[3:4], v[3:4], v[8:9]
	s_delay_alu instid0(VALU_DEP_2) | instskip(NEXT) | instid1(VALU_DEP_2)
	v_add_f64 v[1:2], v[48:49], -v[1:2]
	v_add_f64 v[3:4], v[50:51], -v[3:4]
	scratch_store_b128 off, v[1:4], off offset:32
	v_cmpx_lt_u32_e32 1, v164
	s_cbranch_execz .LBB122_365
; %bb.364:
	scratch_load_b128 v[1:4], v222, off
	v_mov_b32_e32 v5, 0
	s_delay_alu instid0(VALU_DEP_1)
	v_mov_b32_e32 v6, v5
	v_mov_b32_e32 v7, v5
	v_mov_b32_e32 v8, v5
	scratch_store_b128 off, v[5:8], off offset:16
	s_waitcnt vmcnt(0)
	ds_store_b128 v223, v[1:4]
.LBB122_365:
	s_or_b32 exec_lo, exec_lo, s2
	scratch_store_b32 off, v174, off offset:1088 ; 4-byte Folded Spill
	s_waitcnt lgkmcnt(0)
	s_waitcnt_vscnt null, 0x0
	s_barrier
	buffer_gl0_inv
	s_clause 0x7
	scratch_load_b128 v[2:5], off, off offset:32
	scratch_load_b128 v[6:9], off, off offset:48
	scratch_load_b128 v[10:13], off, off offset:64
	scratch_load_b128 v[14:17], off, off offset:80
	scratch_load_b128 v[18:21], off, off offset:96
	scratch_load_b128 v[22:25], off, off offset:112
	scratch_load_b128 v[26:29], off, off offset:128
	scratch_load_b128 v[30:33], off, off offset:144
	v_dual_mov_b32 v178, v234 :: v_dual_mov_b32 v1, 0
	s_mov_b32 s2, exec_lo
	ds_load_b128 v[38:41], v1 offset:976
	s_clause 0x1
	scratch_load_b128 v[34:37], off, off offset:160
	scratch_load_b128 v[42:45], off, off offset:16
	ds_load_b128 v[48:51], v1 offset:992
	scratch_load_b128 v[52:55], off, off offset:176
	s_waitcnt vmcnt(10) lgkmcnt(1)
	v_mul_f64 v[56:57], v[40:41], v[4:5]
	v_mul_f64 v[4:5], v[38:39], v[4:5]
	s_delay_alu instid0(VALU_DEP_2) | instskip(NEXT) | instid1(VALU_DEP_2)
	v_fma_f64 v[62:63], v[38:39], v[2:3], -v[56:57]
	v_fma_f64 v[82:83], v[40:41], v[2:3], v[4:5]
	scratch_load_b128 v[38:41], off, off offset:192
	ds_load_b128 v[2:5], v1 offset:1008
	s_waitcnt vmcnt(10) lgkmcnt(1)
	v_mul_f64 v[60:61], v[48:49], v[8:9]
	v_mul_f64 v[8:9], v[50:51], v[8:9]
	ds_load_b128 v[56:59], v1 offset:1024
	s_waitcnt vmcnt(9) lgkmcnt(1)
	v_mul_f64 v[165:166], v[2:3], v[12:13]
	v_mul_f64 v[12:13], v[4:5], v[12:13]
	v_fma_f64 v[50:51], v[50:51], v[6:7], v[60:61]
	v_fma_f64 v[48:49], v[48:49], v[6:7], -v[8:9]
	v_add_f64 v[60:61], v[62:63], 0
	v_add_f64 v[62:63], v[82:83], 0
	scratch_load_b128 v[6:9], off, off offset:208
	v_fma_f64 v[165:166], v[4:5], v[10:11], v[165:166]
	v_fma_f64 v[167:168], v[2:3], v[10:11], -v[12:13]
	scratch_load_b128 v[10:13], off, off offset:224
	ds_load_b128 v[2:5], v1 offset:1040
	s_waitcnt vmcnt(10) lgkmcnt(1)
	v_mul_f64 v[82:83], v[56:57], v[16:17]
	v_mul_f64 v[16:17], v[58:59], v[16:17]
	v_add_f64 v[60:61], v[60:61], v[48:49]
	v_add_f64 v[62:63], v[62:63], v[50:51]
	s_waitcnt vmcnt(9) lgkmcnt(0)
	v_mul_f64 v[169:170], v[2:3], v[20:21]
	v_mul_f64 v[20:21], v[4:5], v[20:21]
	ds_load_b128 v[48:51], v1 offset:1056
	v_fma_f64 v[58:59], v[58:59], v[14:15], v[82:83]
	v_fma_f64 v[56:57], v[56:57], v[14:15], -v[16:17]
	scratch_load_b128 v[14:17], off, off offset:240
	v_add_f64 v[60:61], v[60:61], v[167:168]
	v_add_f64 v[62:63], v[62:63], v[165:166]
	v_fma_f64 v[165:166], v[4:5], v[18:19], v[169:170]
	v_fma_f64 v[167:168], v[2:3], v[18:19], -v[20:21]
	scratch_load_b128 v[18:21], off, off offset:256
	ds_load_b128 v[2:5], v1 offset:1072
	s_waitcnt vmcnt(10) lgkmcnt(1)
	v_mul_f64 v[82:83], v[48:49], v[24:25]
	v_mul_f64 v[24:25], v[50:51], v[24:25]
	s_waitcnt vmcnt(9) lgkmcnt(0)
	v_mul_f64 v[169:170], v[2:3], v[28:29]
	v_mul_f64 v[28:29], v[4:5], v[28:29]
	v_add_f64 v[60:61], v[60:61], v[56:57]
	v_add_f64 v[62:63], v[62:63], v[58:59]
	ds_load_b128 v[56:59], v1 offset:1088
	v_fma_f64 v[50:51], v[50:51], v[22:23], v[82:83]
	v_fma_f64 v[48:49], v[48:49], v[22:23], -v[24:25]
	scratch_load_b128 v[22:25], off, off offset:272
	v_add_f64 v[60:61], v[60:61], v[167:168]
	v_add_f64 v[62:63], v[62:63], v[165:166]
	v_fma_f64 v[165:166], v[4:5], v[26:27], v[169:170]
	v_fma_f64 v[167:168], v[2:3], v[26:27], -v[28:29]
	scratch_load_b128 v[26:29], off, off offset:288
	ds_load_b128 v[2:5], v1 offset:1104
	s_waitcnt vmcnt(10) lgkmcnt(1)
	v_mul_f64 v[82:83], v[56:57], v[32:33]
	v_mul_f64 v[32:33], v[58:59], v[32:33]
	s_waitcnt vmcnt(9) lgkmcnt(0)
	v_mul_f64 v[169:170], v[2:3], v[36:37]
	v_mul_f64 v[36:37], v[4:5], v[36:37]
	v_add_f64 v[60:61], v[60:61], v[48:49]
	v_add_f64 v[62:63], v[62:63], v[50:51]
	ds_load_b128 v[48:51], v1 offset:1120
	v_fma_f64 v[58:59], v[58:59], v[30:31], v[82:83]
	v_fma_f64 v[56:57], v[56:57], v[30:31], -v[32:33]
	scratch_load_b128 v[30:33], off, off offset:304
	v_add_f64 v[60:61], v[60:61], v[167:168]
	v_add_f64 v[62:63], v[62:63], v[165:166]
	v_fma_f64 v[167:168], v[4:5], v[34:35], v[169:170]
	v_fma_f64 v[169:170], v[2:3], v[34:35], -v[36:37]
	scratch_load_b128 v[34:37], off, off offset:320
	ds_load_b128 v[2:5], v1 offset:1136
	s_waitcnt vmcnt(9) lgkmcnt(1)
	v_mul_f64 v[82:83], v[48:49], v[54:55]
	v_mul_f64 v[165:166], v[50:51], v[54:55]
	v_add_f64 v[60:61], v[60:61], v[56:57]
	v_add_f64 v[58:59], v[62:63], v[58:59]
	ds_load_b128 v[54:57], v1 offset:1152
	v_fma_f64 v[82:83], v[50:51], v[52:53], v[82:83]
	v_fma_f64 v[52:53], v[48:49], v[52:53], -v[165:166]
	scratch_load_b128 v[48:51], off, off offset:336
	s_waitcnt vmcnt(9) lgkmcnt(1)
	v_mul_f64 v[62:63], v[2:3], v[40:41]
	v_mul_f64 v[40:41], v[4:5], v[40:41]
	v_add_f64 v[60:61], v[60:61], v[169:170]
	v_add_f64 v[58:59], v[58:59], v[167:168]
	s_delay_alu instid0(VALU_DEP_4) | instskip(NEXT) | instid1(VALU_DEP_4)
	v_fma_f64 v[62:63], v[4:5], v[38:39], v[62:63]
	v_fma_f64 v[167:168], v[2:3], v[38:39], -v[40:41]
	scratch_load_b128 v[38:41], off, off offset:352
	ds_load_b128 v[2:5], v1 offset:1168
	s_waitcnt vmcnt(9) lgkmcnt(1)
	v_mul_f64 v[165:166], v[54:55], v[8:9]
	v_mul_f64 v[8:9], v[56:57], v[8:9]
	s_waitcnt vmcnt(8) lgkmcnt(0)
	v_mul_f64 v[169:170], v[2:3], v[12:13]
	v_mul_f64 v[12:13], v[4:5], v[12:13]
	v_add_f64 v[52:53], v[60:61], v[52:53]
	v_add_f64 v[82:83], v[58:59], v[82:83]
	ds_load_b128 v[58:61], v1 offset:1184
	v_fma_f64 v[56:57], v[56:57], v[6:7], v[165:166]
	v_fma_f64 v[54:55], v[54:55], v[6:7], -v[8:9]
	scratch_load_b128 v[6:9], off, off offset:368
	v_fma_f64 v[165:166], v[4:5], v[10:11], v[169:170]
	v_add_f64 v[52:53], v[52:53], v[167:168]
	v_add_f64 v[62:63], v[82:83], v[62:63]
	v_fma_f64 v[167:168], v[2:3], v[10:11], -v[12:13]
	scratch_load_b128 v[10:13], off, off offset:384
	ds_load_b128 v[2:5], v1 offset:1200
	s_waitcnt vmcnt(9) lgkmcnt(1)
	v_mul_f64 v[82:83], v[58:59], v[16:17]
	v_mul_f64 v[16:17], v[60:61], v[16:17]
	v_add_f64 v[169:170], v[52:53], v[54:55]
	v_add_f64 v[56:57], v[62:63], v[56:57]
	s_waitcnt vmcnt(8) lgkmcnt(0)
	v_mul_f64 v[62:63], v[2:3], v[20:21]
	v_mul_f64 v[20:21], v[4:5], v[20:21]
	ds_load_b128 v[52:55], v1 offset:1216
	v_fma_f64 v[60:61], v[60:61], v[14:15], v[82:83]
	v_fma_f64 v[58:59], v[58:59], v[14:15], -v[16:17]
	scratch_load_b128 v[14:17], off, off offset:400
	v_add_f64 v[82:83], v[169:170], v[167:168]
	v_add_f64 v[56:57], v[56:57], v[165:166]
	v_fma_f64 v[62:63], v[4:5], v[18:19], v[62:63]
	v_fma_f64 v[167:168], v[2:3], v[18:19], -v[20:21]
	scratch_load_b128 v[18:21], off, off offset:416
	ds_load_b128 v[2:5], v1 offset:1232
	s_waitcnt vmcnt(9) lgkmcnt(1)
	v_mul_f64 v[165:166], v[52:53], v[24:25]
	v_mul_f64 v[24:25], v[54:55], v[24:25]
	s_waitcnt vmcnt(8) lgkmcnt(0)
	v_mul_f64 v[169:170], v[2:3], v[28:29]
	v_mul_f64 v[28:29], v[4:5], v[28:29]
	v_add_f64 v[82:83], v[82:83], v[58:59]
	v_add_f64 v[60:61], v[56:57], v[60:61]
	ds_load_b128 v[56:59], v1 offset:1248
	v_fma_f64 v[54:55], v[54:55], v[22:23], v[165:166]
	v_fma_f64 v[52:53], v[52:53], v[22:23], -v[24:25]
	scratch_load_b128 v[22:25], off, off offset:432
	v_fma_f64 v[165:166], v[4:5], v[26:27], v[169:170]
	v_add_f64 v[82:83], v[82:83], v[167:168]
	v_add_f64 v[60:61], v[60:61], v[62:63]
	v_fma_f64 v[167:168], v[2:3], v[26:27], -v[28:29]
	scratch_load_b128 v[26:29], off, off offset:448
	ds_load_b128 v[2:5], v1 offset:1264
	s_waitcnt vmcnt(9) lgkmcnt(1)
	v_mul_f64 v[62:63], v[56:57], v[32:33]
	v_mul_f64 v[32:33], v[58:59], v[32:33]
	s_waitcnt vmcnt(8) lgkmcnt(0)
	v_mul_f64 v[169:170], v[2:3], v[36:37]
	v_mul_f64 v[36:37], v[4:5], v[36:37]
	v_add_f64 v[82:83], v[82:83], v[52:53]
	v_add_f64 v[60:61], v[60:61], v[54:55]
	ds_load_b128 v[52:55], v1 offset:1280
	v_fma_f64 v[58:59], v[58:59], v[30:31], v[62:63]
	v_fma_f64 v[56:57], v[56:57], v[30:31], -v[32:33]
	scratch_load_b128 v[30:33], off, off offset:464
	v_add_f64 v[62:63], v[82:83], v[167:168]
	v_add_f64 v[60:61], v[60:61], v[165:166]
	v_fma_f64 v[165:166], v[4:5], v[34:35], v[169:170]
	v_fma_f64 v[167:168], v[2:3], v[34:35], -v[36:37]
	scratch_load_b128 v[34:37], off, off offset:480
	ds_load_b128 v[2:5], v1 offset:1296
	s_waitcnt vmcnt(9) lgkmcnt(1)
	v_mul_f64 v[82:83], v[52:53], v[50:51]
	v_mul_f64 v[50:51], v[54:55], v[50:51]
	s_waitcnt vmcnt(8) lgkmcnt(0)
	v_mul_f64 v[169:170], v[2:3], v[40:41]
	v_mul_f64 v[40:41], v[4:5], v[40:41]
	v_add_f64 v[62:63], v[62:63], v[56:57]
	v_add_f64 v[60:61], v[60:61], v[58:59]
	ds_load_b128 v[56:59], v1 offset:1312
	v_fma_f64 v[54:55], v[54:55], v[48:49], v[82:83]
	v_fma_f64 v[52:53], v[52:53], v[48:49], -v[50:51]
	scratch_load_b128 v[48:51], off, off offset:496
	v_add_f64 v[62:63], v[62:63], v[167:168]
	v_add_f64 v[60:61], v[60:61], v[165:166]
	v_fma_f64 v[165:166], v[4:5], v[38:39], v[169:170]
	;; [unrolled: 18-line block ×6, first 2 shown]
	v_fma_f64 v[169:170], v[2:3], v[34:35], -v[36:37]
	scratch_load_b128 v[34:37], off, off offset:640
	ds_load_b128 v[2:5], v1 offset:1456
	s_waitcnt vmcnt(9) lgkmcnt(1)
	v_mul_f64 v[82:83], v[56:57], v[50:51]
	v_mul_f64 v[165:166], v[58:59], v[50:51]
	v_add_f64 v[62:63], v[62:63], v[52:53]
	v_add_f64 v[54:55], v[60:61], v[54:55]
	s_waitcnt vmcnt(8) lgkmcnt(0)
	v_mul_f64 v[60:61], v[2:3], v[40:41]
	v_mul_f64 v[40:41], v[4:5], v[40:41]
	ds_load_b128 v[50:53], v1 offset:1472
	v_fma_f64 v[58:59], v[58:59], v[48:49], v[82:83]
	v_fma_f64 v[48:49], v[56:57], v[48:49], -v[165:166]
	v_add_f64 v[62:63], v[62:63], v[169:170]
	v_add_f64 v[82:83], v[54:55], v[167:168]
	scratch_load_b128 v[54:57], off, off offset:656
	v_fma_f64 v[167:168], v[4:5], v[38:39], v[60:61]
	v_fma_f64 v[169:170], v[2:3], v[38:39], -v[40:41]
	scratch_load_b128 v[38:41], off, off offset:672
	ds_load_b128 v[2:5], v1 offset:1488
	s_waitcnt vmcnt(9) lgkmcnt(1)
	v_mul_f64 v[165:166], v[50:51], v[8:9]
	v_mul_f64 v[8:9], v[52:53], v[8:9]
	v_add_f64 v[48:49], v[62:63], v[48:49]
	v_add_f64 v[62:63], v[82:83], v[58:59]
	s_waitcnt vmcnt(8) lgkmcnt(0)
	v_mul_f64 v[82:83], v[2:3], v[12:13]
	v_mul_f64 v[12:13], v[4:5], v[12:13]
	ds_load_b128 v[58:61], v1 offset:1504
	v_fma_f64 v[52:53], v[52:53], v[6:7], v[165:166]
	v_fma_f64 v[50:51], v[50:51], v[6:7], -v[8:9]
	scratch_load_b128 v[6:9], off, off offset:688
	v_add_f64 v[48:49], v[48:49], v[169:170]
	v_add_f64 v[62:63], v[62:63], v[167:168]
	v_fma_f64 v[82:83], v[4:5], v[10:11], v[82:83]
	v_fma_f64 v[167:168], v[2:3], v[10:11], -v[12:13]
	scratch_load_b128 v[10:13], off, off offset:704
	ds_load_b128 v[2:5], v1 offset:1520
	s_waitcnt vmcnt(9) lgkmcnt(1)
	v_mul_f64 v[165:166], v[58:59], v[16:17]
	v_mul_f64 v[16:17], v[60:61], v[16:17]
	v_add_f64 v[169:170], v[48:49], v[50:51]
	v_add_f64 v[52:53], v[62:63], v[52:53]
	s_waitcnt vmcnt(8) lgkmcnt(0)
	v_mul_f64 v[62:63], v[2:3], v[20:21]
	v_mul_f64 v[20:21], v[4:5], v[20:21]
	ds_load_b128 v[48:51], v1 offset:1536
	v_fma_f64 v[60:61], v[60:61], v[14:15], v[165:166]
	v_fma_f64 v[58:59], v[58:59], v[14:15], -v[16:17]
	scratch_load_b128 v[14:17], off, off offset:720
	v_add_f64 v[165:166], v[169:170], v[167:168]
	v_add_f64 v[52:53], v[52:53], v[82:83]
	v_fma_f64 v[62:63], v[4:5], v[18:19], v[62:63]
	v_fma_f64 v[167:168], v[2:3], v[18:19], -v[20:21]
	scratch_load_b128 v[18:21], off, off offset:736
	ds_load_b128 v[2:5], v1 offset:1552
	s_waitcnt vmcnt(9) lgkmcnt(1)
	v_mul_f64 v[82:83], v[48:49], v[24:25]
	v_mul_f64 v[24:25], v[50:51], v[24:25]
	s_waitcnt vmcnt(8) lgkmcnt(0)
	v_mul_f64 v[169:170], v[2:3], v[28:29]
	v_mul_f64 v[28:29], v[4:5], v[28:29]
	v_add_f64 v[165:166], v[165:166], v[58:59]
	v_add_f64 v[52:53], v[52:53], v[60:61]
	ds_load_b128 v[58:61], v1 offset:1568
	v_fma_f64 v[50:51], v[50:51], v[22:23], v[82:83]
	v_fma_f64 v[48:49], v[48:49], v[22:23], -v[24:25]
	scratch_load_b128 v[22:25], off, off offset:752
	v_add_f64 v[82:83], v[165:166], v[167:168]
	v_add_f64 v[52:53], v[52:53], v[62:63]
	v_fma_f64 v[165:166], v[4:5], v[26:27], v[169:170]
	v_fma_f64 v[167:168], v[2:3], v[26:27], -v[28:29]
	scratch_load_b128 v[26:29], off, off offset:768
	ds_load_b128 v[2:5], v1 offset:1584
	s_waitcnt vmcnt(9) lgkmcnt(1)
	v_mul_f64 v[62:63], v[58:59], v[32:33]
	v_mul_f64 v[32:33], v[60:61], v[32:33]
	s_waitcnt vmcnt(8) lgkmcnt(0)
	v_mul_f64 v[169:170], v[2:3], v[36:37]
	v_mul_f64 v[36:37], v[4:5], v[36:37]
	v_add_f64 v[82:83], v[82:83], v[48:49]
	v_add_f64 v[52:53], v[52:53], v[50:51]
	ds_load_b128 v[48:51], v1 offset:1600
	v_fma_f64 v[60:61], v[60:61], v[30:31], v[62:63]
	v_fma_f64 v[58:59], v[58:59], v[30:31], -v[32:33]
	scratch_load_b128 v[30:33], off, off offset:784
	v_add_f64 v[62:63], v[82:83], v[167:168]
	v_add_f64 v[52:53], v[52:53], v[165:166]
	v_fma_f64 v[167:168], v[4:5], v[34:35], v[169:170]
	v_fma_f64 v[169:170], v[2:3], v[34:35], -v[36:37]
	scratch_load_b128 v[34:37], off, off offset:800
	ds_load_b128 v[2:5], v1 offset:1616
	s_waitcnt vmcnt(9) lgkmcnt(1)
	v_mul_f64 v[82:83], v[48:49], v[56:57]
	v_mul_f64 v[165:166], v[50:51], v[56:57]
	v_add_f64 v[62:63], v[62:63], v[58:59]
	v_add_f64 v[52:53], v[52:53], v[60:61]
	s_waitcnt vmcnt(8) lgkmcnt(0)
	v_mul_f64 v[60:61], v[2:3], v[40:41]
	v_mul_f64 v[40:41], v[4:5], v[40:41]
	ds_load_b128 v[56:59], v1 offset:1632
	v_fma_f64 v[82:83], v[50:51], v[54:55], v[82:83]
	v_fma_f64 v[54:55], v[48:49], v[54:55], -v[165:166]
	scratch_load_b128 v[48:51], off, off offset:816
	v_add_f64 v[62:63], v[62:63], v[169:170]
	v_add_f64 v[52:53], v[52:53], v[167:168]
	v_fma_f64 v[60:61], v[4:5], v[38:39], v[60:61]
	v_fma_f64 v[167:168], v[2:3], v[38:39], -v[40:41]
	scratch_load_b128 v[38:41], off, off offset:832
	ds_load_b128 v[2:5], v1 offset:1648
	s_waitcnt vmcnt(9) lgkmcnt(1)
	v_mul_f64 v[165:166], v[56:57], v[8:9]
	v_mul_f64 v[8:9], v[58:59], v[8:9]
	s_waitcnt vmcnt(8) lgkmcnt(0)
	v_mul_f64 v[169:170], v[2:3], v[12:13]
	v_mul_f64 v[12:13], v[4:5], v[12:13]
	v_add_f64 v[62:63], v[62:63], v[54:55]
	v_add_f64 v[82:83], v[52:53], v[82:83]
	ds_load_b128 v[52:55], v1 offset:1664
	v_fma_f64 v[58:59], v[58:59], v[6:7], v[165:166]
	v_fma_f64 v[56:57], v[56:57], v[6:7], -v[8:9]
	scratch_load_b128 v[6:9], off, off offset:848
	v_fma_f64 v[165:166], v[4:5], v[10:11], v[169:170]
	v_add_f64 v[62:63], v[62:63], v[167:168]
	v_add_f64 v[60:61], v[82:83], v[60:61]
	v_fma_f64 v[167:168], v[2:3], v[10:11], -v[12:13]
	scratch_load_b128 v[10:13], off, off offset:864
	ds_load_b128 v[2:5], v1 offset:1680
	s_waitcnt vmcnt(9) lgkmcnt(1)
	v_mul_f64 v[82:83], v[52:53], v[16:17]
	v_mul_f64 v[16:17], v[54:55], v[16:17]
	s_waitcnt vmcnt(8) lgkmcnt(0)
	v_mul_f64 v[169:170], v[2:3], v[20:21]
	v_mul_f64 v[20:21], v[4:5], v[20:21]
	v_add_f64 v[62:63], v[62:63], v[56:57]
	v_add_f64 v[60:61], v[60:61], v[58:59]
	ds_load_b128 v[56:59], v1 offset:1696
	v_fma_f64 v[54:55], v[54:55], v[14:15], v[82:83]
	v_fma_f64 v[52:53], v[52:53], v[14:15], -v[16:17]
	scratch_load_b128 v[14:17], off, off offset:880
	v_add_f64 v[62:63], v[62:63], v[167:168]
	v_add_f64 v[60:61], v[60:61], v[165:166]
	v_fma_f64 v[165:166], v[4:5], v[18:19], v[169:170]
	v_fma_f64 v[167:168], v[2:3], v[18:19], -v[20:21]
	scratch_load_b128 v[18:21], off, off offset:896
	ds_load_b128 v[2:5], v1 offset:1712
	s_waitcnt vmcnt(9) lgkmcnt(1)
	v_mul_f64 v[82:83], v[56:57], v[24:25]
	v_mul_f64 v[24:25], v[58:59], v[24:25]
	s_waitcnt vmcnt(8) lgkmcnt(0)
	v_mul_f64 v[169:170], v[2:3], v[28:29]
	v_mul_f64 v[28:29], v[4:5], v[28:29]
	v_add_f64 v[62:63], v[62:63], v[52:53]
	v_add_f64 v[60:61], v[60:61], v[54:55]
	ds_load_b128 v[52:55], v1 offset:1728
	v_fma_f64 v[58:59], v[58:59], v[22:23], v[82:83]
	v_fma_f64 v[56:57], v[56:57], v[22:23], -v[24:25]
	scratch_load_b128 v[22:25], off, off offset:912
	v_add_f64 v[62:63], v[62:63], v[167:168]
	v_add_f64 v[60:61], v[60:61], v[165:166]
	v_fma_f64 v[165:166], v[4:5], v[26:27], v[169:170]
	v_fma_f64 v[167:168], v[2:3], v[26:27], -v[28:29]
	scratch_load_b128 v[26:29], off, off offset:928
	ds_load_b128 v[2:5], v1 offset:1744
	s_waitcnt vmcnt(9) lgkmcnt(1)
	v_mul_f64 v[82:83], v[52:53], v[32:33]
	v_mul_f64 v[32:33], v[54:55], v[32:33]
	s_waitcnt vmcnt(8) lgkmcnt(0)
	v_mul_f64 v[169:170], v[2:3], v[36:37]
	v_mul_f64 v[36:37], v[4:5], v[36:37]
	v_add_f64 v[62:63], v[62:63], v[56:57]
	v_add_f64 v[60:61], v[60:61], v[58:59]
	ds_load_b128 v[56:59], v1 offset:1760
	v_fma_f64 v[54:55], v[54:55], v[30:31], v[82:83]
	v_fma_f64 v[30:31], v[52:53], v[30:31], -v[32:33]
	v_add_f64 v[32:33], v[62:63], v[167:168]
	v_add_f64 v[52:53], v[60:61], v[165:166]
	s_waitcnt vmcnt(7) lgkmcnt(0)
	v_mul_f64 v[60:61], v[56:57], v[50:51]
	v_mul_f64 v[50:51], v[58:59], v[50:51]
	v_fma_f64 v[62:63], v[4:5], v[34:35], v[169:170]
	v_fma_f64 v[34:35], v[2:3], v[34:35], -v[36:37]
	v_add_f64 v[36:37], v[32:33], v[30:31]
	v_add_f64 v[52:53], v[52:53], v[54:55]
	ds_load_b128 v[2:5], v1 offset:1776
	ds_load_b128 v[30:33], v1 offset:1792
	v_fma_f64 v[58:59], v[58:59], v[48:49], v[60:61]
	v_fma_f64 v[48:49], v[56:57], v[48:49], -v[50:51]
	s_waitcnt vmcnt(6) lgkmcnt(1)
	v_mul_f64 v[54:55], v[2:3], v[40:41]
	v_mul_f64 v[40:41], v[4:5], v[40:41]
	s_waitcnt vmcnt(5) lgkmcnt(0)
	v_mul_f64 v[50:51], v[30:31], v[8:9]
	v_mul_f64 v[8:9], v[32:33], v[8:9]
	v_add_f64 v[34:35], v[36:37], v[34:35]
	v_add_f64 v[36:37], v[52:53], v[62:63]
	v_fma_f64 v[52:53], v[4:5], v[38:39], v[54:55]
	v_fma_f64 v[38:39], v[2:3], v[38:39], -v[40:41]
	v_fma_f64 v[32:33], v[32:33], v[6:7], v[50:51]
	v_fma_f64 v[6:7], v[30:31], v[6:7], -v[8:9]
	v_add_f64 v[40:41], v[34:35], v[48:49]
	v_add_f64 v[48:49], v[36:37], v[58:59]
	ds_load_b128 v[2:5], v1 offset:1808
	ds_load_b128 v[34:37], v1 offset:1824
	s_waitcnt vmcnt(4) lgkmcnt(1)
	v_mul_f64 v[54:55], v[2:3], v[12:13]
	v_mul_f64 v[12:13], v[4:5], v[12:13]
	v_add_f64 v[8:9], v[40:41], v[38:39]
	v_add_f64 v[30:31], v[48:49], v[52:53]
	s_waitcnt vmcnt(3) lgkmcnt(0)
	v_mul_f64 v[38:39], v[34:35], v[16:17]
	v_mul_f64 v[16:17], v[36:37], v[16:17]
	v_fma_f64 v[40:41], v[4:5], v[10:11], v[54:55]
	v_fma_f64 v[10:11], v[2:3], v[10:11], -v[12:13]
	v_add_f64 v[12:13], v[8:9], v[6:7]
	v_add_f64 v[30:31], v[30:31], v[32:33]
	ds_load_b128 v[2:5], v1 offset:1840
	ds_load_b128 v[6:9], v1 offset:1856
	v_fma_f64 v[36:37], v[36:37], v[14:15], v[38:39]
	v_fma_f64 v[14:15], v[34:35], v[14:15], -v[16:17]
	s_waitcnt vmcnt(2) lgkmcnt(1)
	v_mul_f64 v[32:33], v[2:3], v[20:21]
	v_mul_f64 v[20:21], v[4:5], v[20:21]
	s_waitcnt vmcnt(1) lgkmcnt(0)
	v_mul_f64 v[16:17], v[6:7], v[24:25]
	v_mul_f64 v[24:25], v[8:9], v[24:25]
	v_add_f64 v[10:11], v[12:13], v[10:11]
	v_add_f64 v[12:13], v[30:31], v[40:41]
	v_fma_f64 v[30:31], v[4:5], v[18:19], v[32:33]
	v_fma_f64 v[18:19], v[2:3], v[18:19], -v[20:21]
	ds_load_b128 v[2:5], v1 offset:1872
	v_fma_f64 v[8:9], v[8:9], v[22:23], v[16:17]
	v_fma_f64 v[6:7], v[6:7], v[22:23], -v[24:25]
	v_add_f64 v[10:11], v[10:11], v[14:15]
	v_add_f64 v[12:13], v[12:13], v[36:37]
	s_waitcnt vmcnt(0) lgkmcnt(0)
	v_mul_f64 v[14:15], v[2:3], v[28:29]
	v_mul_f64 v[20:21], v[4:5], v[28:29]
	s_delay_alu instid0(VALU_DEP_4) | instskip(NEXT) | instid1(VALU_DEP_4)
	v_add_f64 v[10:11], v[10:11], v[18:19]
	v_add_f64 v[12:13], v[12:13], v[30:31]
	s_delay_alu instid0(VALU_DEP_4) | instskip(NEXT) | instid1(VALU_DEP_4)
	v_fma_f64 v[4:5], v[4:5], v[26:27], v[14:15]
	v_fma_f64 v[2:3], v[2:3], v[26:27], -v[20:21]
	s_delay_alu instid0(VALU_DEP_4) | instskip(NEXT) | instid1(VALU_DEP_4)
	v_add_f64 v[6:7], v[10:11], v[6:7]
	v_add_f64 v[8:9], v[12:13], v[8:9]
	s_delay_alu instid0(VALU_DEP_2) | instskip(NEXT) | instid1(VALU_DEP_2)
	v_add_f64 v[2:3], v[6:7], v[2:3]
	v_add_f64 v[4:5], v[8:9], v[4:5]
	s_delay_alu instid0(VALU_DEP_2) | instskip(NEXT) | instid1(VALU_DEP_2)
	v_add_f64 v[2:3], v[42:43], -v[2:3]
	v_add_f64 v[4:5], v[44:45], -v[4:5]
	scratch_store_b128 off, v[2:5], off offset:16
	v_cmpx_ne_u32_e32 0, v164
	s_cbranch_execz .LBB122_367
; %bb.366:
	scratch_load_b128 v[5:8], off, off
	v_mov_b32_e32 v2, v1
	v_mov_b32_e32 v3, v1
	;; [unrolled: 1-line block ×3, first 2 shown]
	scratch_store_b128 off, v[1:4], off
	s_waitcnt vmcnt(0)
	ds_store_b128 v223, v[5:8]
.LBB122_367:
	s_or_b32 exec_lo, exec_lo, s2
	s_waitcnt lgkmcnt(0)
	s_waitcnt_vscnt null, 0x0
	s_barrier
	buffer_gl0_inv
	s_clause 0x8
	scratch_load_b128 v[2:5], off, off offset:16
	scratch_load_b128 v[6:9], off, off offset:32
	;; [unrolled: 1-line block ×9, first 2 shown]
	ds_load_b128 v[42:45], v1 offset:960
	ds_load_b128 v[38:41], v1 offset:976
	s_clause 0x1
	scratch_load_b128 v[48:51], off, off
	scratch_load_b128 v[52:55], off, off offset:160
	v_mov_b32_e32 v176, v235
	v_mov_b32_e32 v181, v175
	s_and_b32 vcc_lo, exec_lo, s14
	s_waitcnt vmcnt(10) lgkmcnt(1)
	v_mul_f64 v[56:57], v[44:45], v[4:5]
	v_mul_f64 v[4:5], v[42:43], v[4:5]
	s_waitcnt vmcnt(9) lgkmcnt(0)
	v_mul_f64 v[60:61], v[38:39], v[8:9]
	v_mul_f64 v[8:9], v[40:41], v[8:9]
	s_delay_alu instid0(VALU_DEP_4) | instskip(NEXT) | instid1(VALU_DEP_4)
	v_fma_f64 v[62:63], v[42:43], v[2:3], -v[56:57]
	v_fma_f64 v[82:83], v[44:45], v[2:3], v[4:5]
	ds_load_b128 v[2:5], v1 offset:992
	ds_load_b128 v[56:59], v1 offset:1008
	scratch_load_b128 v[42:45], off, off offset:176
	v_fma_f64 v[40:41], v[40:41], v[6:7], v[60:61]
	v_fma_f64 v[38:39], v[38:39], v[6:7], -v[8:9]
	scratch_load_b128 v[6:9], off, off offset:192
	s_waitcnt vmcnt(10) lgkmcnt(1)
	v_mul_f64 v[165:166], v[2:3], v[12:13]
	v_mul_f64 v[12:13], v[4:5], v[12:13]
	v_add_f64 v[60:61], v[62:63], 0
	v_add_f64 v[62:63], v[82:83], 0
	s_waitcnt vmcnt(9) lgkmcnt(0)
	v_mul_f64 v[82:83], v[56:57], v[16:17]
	v_mul_f64 v[16:17], v[58:59], v[16:17]
	v_fma_f64 v[165:166], v[4:5], v[10:11], v[165:166]
	v_fma_f64 v[167:168], v[2:3], v[10:11], -v[12:13]
	ds_load_b128 v[2:5], v1 offset:1024
	scratch_load_b128 v[10:13], off, off offset:208
	v_add_f64 v[60:61], v[60:61], v[38:39]
	v_add_f64 v[62:63], v[62:63], v[40:41]
	ds_load_b128 v[38:41], v1 offset:1040
	v_fma_f64 v[58:59], v[58:59], v[14:15], v[82:83]
	v_fma_f64 v[56:57], v[56:57], v[14:15], -v[16:17]
	scratch_load_b128 v[14:17], off, off offset:224
	s_waitcnt vmcnt(10) lgkmcnt(1)
	v_mul_f64 v[169:170], v[2:3], v[20:21]
	v_mul_f64 v[20:21], v[4:5], v[20:21]
	s_waitcnt vmcnt(9) lgkmcnt(0)
	v_mul_f64 v[82:83], v[38:39], v[24:25]
	v_mul_f64 v[24:25], v[40:41], v[24:25]
	v_add_f64 v[60:61], v[60:61], v[167:168]
	v_add_f64 v[62:63], v[62:63], v[165:166]
	v_fma_f64 v[165:166], v[4:5], v[18:19], v[169:170]
	v_fma_f64 v[167:168], v[2:3], v[18:19], -v[20:21]
	ds_load_b128 v[2:5], v1 offset:1056
	scratch_load_b128 v[18:21], off, off offset:240
	v_fma_f64 v[40:41], v[40:41], v[22:23], v[82:83]
	v_fma_f64 v[38:39], v[38:39], v[22:23], -v[24:25]
	scratch_load_b128 v[22:25], off, off offset:256
	v_add_f64 v[60:61], v[60:61], v[56:57]
	v_add_f64 v[62:63], v[62:63], v[58:59]
	ds_load_b128 v[56:59], v1 offset:1072
	s_waitcnt vmcnt(10) lgkmcnt(1)
	v_mul_f64 v[169:170], v[2:3], v[28:29]
	v_mul_f64 v[28:29], v[4:5], v[28:29]
	s_waitcnt vmcnt(9) lgkmcnt(0)
	v_mul_f64 v[82:83], v[56:57], v[32:33]
	v_mul_f64 v[32:33], v[58:59], v[32:33]
	v_add_f64 v[60:61], v[60:61], v[167:168]
	v_add_f64 v[62:63], v[62:63], v[165:166]
	v_fma_f64 v[165:166], v[4:5], v[26:27], v[169:170]
	v_fma_f64 v[167:168], v[2:3], v[26:27], -v[28:29]
	ds_load_b128 v[2:5], v1 offset:1088
	scratch_load_b128 v[26:29], off, off offset:272
	v_fma_f64 v[58:59], v[58:59], v[30:31], v[82:83]
	v_fma_f64 v[56:57], v[56:57], v[30:31], -v[32:33]
	scratch_load_b128 v[30:33], off, off offset:288
	v_add_f64 v[60:61], v[60:61], v[38:39]
	v_add_f64 v[62:63], v[62:63], v[40:41]
	ds_load_b128 v[38:41], v1 offset:1104
	s_waitcnt vmcnt(10) lgkmcnt(1)
	v_mul_f64 v[169:170], v[2:3], v[36:37]
	v_mul_f64 v[36:37], v[4:5], v[36:37]
	s_waitcnt vmcnt(8) lgkmcnt(0)
	v_mul_f64 v[82:83], v[38:39], v[54:55]
	v_add_f64 v[60:61], v[60:61], v[167:168]
	v_add_f64 v[62:63], v[62:63], v[165:166]
	v_mul_f64 v[165:166], v[40:41], v[54:55]
	v_fma_f64 v[167:168], v[4:5], v[34:35], v[169:170]
	v_fma_f64 v[169:170], v[2:3], v[34:35], -v[36:37]
	ds_load_b128 v[2:5], v1 offset:1120
	scratch_load_b128 v[34:37], off, off offset:304
	v_fma_f64 v[82:83], v[40:41], v[52:53], v[82:83]
	v_add_f64 v[60:61], v[60:61], v[56:57]
	v_add_f64 v[58:59], v[62:63], v[58:59]
	ds_load_b128 v[54:57], v1 offset:1136
	v_fma_f64 v[52:53], v[38:39], v[52:53], -v[165:166]
	scratch_load_b128 v[38:41], off, off offset:320
	s_waitcnt vmcnt(9) lgkmcnt(1)
	v_mul_f64 v[62:63], v[2:3], v[44:45]
	v_mul_f64 v[44:45], v[4:5], v[44:45]
	s_waitcnt vmcnt(8) lgkmcnt(0)
	v_mul_f64 v[165:166], v[54:55], v[8:9]
	v_mul_f64 v[8:9], v[56:57], v[8:9]
	v_add_f64 v[60:61], v[60:61], v[169:170]
	v_add_f64 v[58:59], v[58:59], v[167:168]
	v_fma_f64 v[62:63], v[4:5], v[42:43], v[62:63]
	v_fma_f64 v[167:168], v[2:3], v[42:43], -v[44:45]
	ds_load_b128 v[2:5], v1 offset:1152
	scratch_load_b128 v[42:45], off, off offset:336
	v_fma_f64 v[56:57], v[56:57], v[6:7], v[165:166]
	v_fma_f64 v[54:55], v[54:55], v[6:7], -v[8:9]
	scratch_load_b128 v[6:9], off, off offset:352
	v_add_f64 v[52:53], v[60:61], v[52:53]
	v_add_f64 v[82:83], v[58:59], v[82:83]
	ds_load_b128 v[58:61], v1 offset:1168
	s_waitcnt vmcnt(9) lgkmcnt(1)
	v_mul_f64 v[169:170], v[2:3], v[12:13]
	v_mul_f64 v[12:13], v[4:5], v[12:13]
	v_add_f64 v[52:53], v[52:53], v[167:168]
	v_add_f64 v[62:63], v[82:83], v[62:63]
	s_waitcnt vmcnt(8) lgkmcnt(0)
	v_mul_f64 v[82:83], v[58:59], v[16:17]
	v_mul_f64 v[16:17], v[60:61], v[16:17]
	v_fma_f64 v[165:166], v[4:5], v[10:11], v[169:170]
	v_fma_f64 v[167:168], v[2:3], v[10:11], -v[12:13]
	ds_load_b128 v[2:5], v1 offset:1184
	scratch_load_b128 v[10:13], off, off offset:368
	v_add_f64 v[169:170], v[52:53], v[54:55]
	v_add_f64 v[56:57], v[62:63], v[56:57]
	ds_load_b128 v[52:55], v1 offset:1200
	s_waitcnt vmcnt(8) lgkmcnt(1)
	v_mul_f64 v[62:63], v[2:3], v[20:21]
	v_mul_f64 v[20:21], v[4:5], v[20:21]
	v_fma_f64 v[60:61], v[60:61], v[14:15], v[82:83]
	v_fma_f64 v[58:59], v[58:59], v[14:15], -v[16:17]
	scratch_load_b128 v[14:17], off, off offset:384
	v_add_f64 v[82:83], v[169:170], v[167:168]
	v_add_f64 v[56:57], v[56:57], v[165:166]
	s_waitcnt vmcnt(8) lgkmcnt(0)
	v_mul_f64 v[165:166], v[52:53], v[24:25]
	v_mul_f64 v[24:25], v[54:55], v[24:25]
	v_fma_f64 v[62:63], v[4:5], v[18:19], v[62:63]
	v_fma_f64 v[167:168], v[2:3], v[18:19], -v[20:21]
	ds_load_b128 v[2:5], v1 offset:1216
	scratch_load_b128 v[18:21], off, off offset:400
	v_add_f64 v[82:83], v[82:83], v[58:59]
	v_add_f64 v[60:61], v[56:57], v[60:61]
	ds_load_b128 v[56:59], v1 offset:1232
	s_waitcnt vmcnt(8) lgkmcnt(1)
	v_mul_f64 v[169:170], v[2:3], v[28:29]
	v_mul_f64 v[28:29], v[4:5], v[28:29]
	v_fma_f64 v[54:55], v[54:55], v[22:23], v[165:166]
	v_fma_f64 v[52:53], v[52:53], v[22:23], -v[24:25]
	scratch_load_b128 v[22:25], off, off offset:416
	;; [unrolled: 18-line block ×4, first 2 shown]
	s_waitcnt vmcnt(8) lgkmcnt(0)
	v_mul_f64 v[82:83], v[56:57], v[8:9]
	v_mul_f64 v[8:9], v[58:59], v[8:9]
	v_add_f64 v[62:63], v[62:63], v[167:168]
	v_add_f64 v[60:61], v[60:61], v[165:166]
	v_fma_f64 v[165:166], v[4:5], v[42:43], v[169:170]
	v_fma_f64 v[167:168], v[2:3], v[42:43], -v[44:45]
	ds_load_b128 v[2:5], v1 offset:1312
	scratch_load_b128 v[42:45], off, off offset:496
	v_fma_f64 v[58:59], v[58:59], v[6:7], v[82:83]
	v_fma_f64 v[56:57], v[56:57], v[6:7], -v[8:9]
	scratch_load_b128 v[6:9], off, off offset:512
	v_add_f64 v[62:63], v[62:63], v[52:53]
	v_add_f64 v[60:61], v[60:61], v[54:55]
	ds_load_b128 v[52:55], v1 offset:1328
	s_waitcnt vmcnt(9) lgkmcnt(1)
	v_mul_f64 v[169:170], v[2:3], v[12:13]
	v_mul_f64 v[12:13], v[4:5], v[12:13]
	s_waitcnt vmcnt(8) lgkmcnt(0)
	v_mul_f64 v[82:83], v[52:53], v[16:17]
	v_mul_f64 v[16:17], v[54:55], v[16:17]
	v_add_f64 v[62:63], v[62:63], v[167:168]
	v_add_f64 v[60:61], v[60:61], v[165:166]
	v_fma_f64 v[165:166], v[4:5], v[10:11], v[169:170]
	v_fma_f64 v[167:168], v[2:3], v[10:11], -v[12:13]
	ds_load_b128 v[2:5], v1 offset:1344
	scratch_load_b128 v[10:13], off, off offset:528
	v_fma_f64 v[54:55], v[54:55], v[14:15], v[82:83]
	v_fma_f64 v[52:53], v[52:53], v[14:15], -v[16:17]
	scratch_load_b128 v[14:17], off, off offset:544
	v_add_f64 v[62:63], v[62:63], v[56:57]
	v_add_f64 v[60:61], v[60:61], v[58:59]
	ds_load_b128 v[56:59], v1 offset:1360
	s_waitcnt vmcnt(9) lgkmcnt(1)
	v_mul_f64 v[169:170], v[2:3], v[20:21]
	v_mul_f64 v[20:21], v[4:5], v[20:21]
	;; [unrolled: 18-line block ×14, first 2 shown]
	s_waitcnt vmcnt(8) lgkmcnt(0)
	v_mul_f64 v[82:83], v[56:57], v[40:41]
	v_mul_f64 v[40:41], v[58:59], v[40:41]
	v_add_f64 v[62:63], v[62:63], v[167:168]
	v_add_f64 v[60:61], v[60:61], v[165:166]
	v_fma_f64 v[165:166], v[4:5], v[34:35], v[169:170]
	v_fma_f64 v[167:168], v[2:3], v[34:35], -v[36:37]
	ds_load_b128 v[2:5], v1 offset:1760
	ds_load_b128 v[34:37], v1 offset:1776
	v_fma_f64 v[58:59], v[58:59], v[38:39], v[82:83]
	v_fma_f64 v[38:39], v[56:57], v[38:39], -v[40:41]
	v_add_f64 v[52:53], v[62:63], v[52:53]
	v_add_f64 v[54:55], v[60:61], v[54:55]
	s_waitcnt vmcnt(7) lgkmcnt(1)
	v_mul_f64 v[60:61], v[2:3], v[44:45]
	v_mul_f64 v[44:45], v[4:5], v[44:45]
	s_delay_alu instid0(VALU_DEP_4) | instskip(NEXT) | instid1(VALU_DEP_4)
	v_add_f64 v[40:41], v[52:53], v[167:168]
	v_add_f64 v[52:53], v[54:55], v[165:166]
	s_waitcnt vmcnt(6) lgkmcnt(0)
	v_mul_f64 v[54:55], v[34:35], v[8:9]
	v_mul_f64 v[8:9], v[36:37], v[8:9]
	v_fma_f64 v[56:57], v[4:5], v[42:43], v[60:61]
	v_fma_f64 v[42:43], v[2:3], v[42:43], -v[44:45]
	v_add_f64 v[44:45], v[40:41], v[38:39]
	v_add_f64 v[52:53], v[52:53], v[58:59]
	ds_load_b128 v[2:5], v1 offset:1792
	ds_load_b128 v[38:41], v1 offset:1808
	v_fma_f64 v[36:37], v[36:37], v[6:7], v[54:55]
	v_fma_f64 v[6:7], v[34:35], v[6:7], -v[8:9]
	s_waitcnt vmcnt(5) lgkmcnt(1)
	v_mul_f64 v[58:59], v[2:3], v[12:13]
	v_mul_f64 v[12:13], v[4:5], v[12:13]
	v_add_f64 v[8:9], v[44:45], v[42:43]
	v_add_f64 v[34:35], v[52:53], v[56:57]
	s_waitcnt vmcnt(4) lgkmcnt(0)
	v_mul_f64 v[42:43], v[38:39], v[16:17]
	v_mul_f64 v[16:17], v[40:41], v[16:17]
	v_fma_f64 v[44:45], v[4:5], v[10:11], v[58:59]
	v_fma_f64 v[10:11], v[2:3], v[10:11], -v[12:13]
	v_add_f64 v[12:13], v[8:9], v[6:7]
	v_add_f64 v[34:35], v[34:35], v[36:37]
	ds_load_b128 v[2:5], v1 offset:1824
	ds_load_b128 v[6:9], v1 offset:1840
	v_fma_f64 v[40:41], v[40:41], v[14:15], v[42:43]
	v_fma_f64 v[14:15], v[38:39], v[14:15], -v[16:17]
	s_waitcnt vmcnt(3) lgkmcnt(1)
	v_mul_f64 v[36:37], v[2:3], v[20:21]
	v_mul_f64 v[20:21], v[4:5], v[20:21]
	s_waitcnt vmcnt(2) lgkmcnt(0)
	v_mul_f64 v[16:17], v[6:7], v[24:25]
	v_mul_f64 v[24:25], v[8:9], v[24:25]
	v_add_f64 v[10:11], v[12:13], v[10:11]
	v_add_f64 v[12:13], v[34:35], v[44:45]
	v_fma_f64 v[34:35], v[4:5], v[18:19], v[36:37]
	v_fma_f64 v[18:19], v[2:3], v[18:19], -v[20:21]
	v_fma_f64 v[8:9], v[8:9], v[22:23], v[16:17]
	v_fma_f64 v[6:7], v[6:7], v[22:23], -v[24:25]
	v_add_f64 v[14:15], v[10:11], v[14:15]
	v_add_f64 v[20:21], v[12:13], v[40:41]
	ds_load_b128 v[2:5], v1 offset:1856
	ds_load_b128 v[10:13], v1 offset:1872
	s_waitcnt vmcnt(1) lgkmcnt(1)
	v_mul_f64 v[36:37], v[2:3], v[28:29]
	v_mul_f64 v[28:29], v[4:5], v[28:29]
	v_add_f64 v[14:15], v[14:15], v[18:19]
	v_add_f64 v[16:17], v[20:21], v[34:35]
	s_waitcnt vmcnt(0) lgkmcnt(0)
	v_mul_f64 v[18:19], v[10:11], v[32:33]
	v_mul_f64 v[20:21], v[12:13], v[32:33]
	v_fma_f64 v[4:5], v[4:5], v[26:27], v[36:37]
	v_fma_f64 v[1:2], v[2:3], v[26:27], -v[28:29]
	v_add_f64 v[6:7], v[14:15], v[6:7]
	v_add_f64 v[8:9], v[16:17], v[8:9]
	v_fma_f64 v[12:13], v[12:13], v[30:31], v[18:19]
	v_fma_f64 v[10:11], v[10:11], v[30:31], -v[20:21]
	s_delay_alu instid0(VALU_DEP_4) | instskip(NEXT) | instid1(VALU_DEP_4)
	v_add_f64 v[1:2], v[6:7], v[1:2]
	v_add_f64 v[3:4], v[8:9], v[4:5]
	s_delay_alu instid0(VALU_DEP_2) | instskip(NEXT) | instid1(VALU_DEP_2)
	v_add_f64 v[1:2], v[1:2], v[10:11]
	v_add_f64 v[3:4], v[3:4], v[12:13]
	s_delay_alu instid0(VALU_DEP_2) | instskip(NEXT) | instid1(VALU_DEP_2)
	v_add_f64 v[1:2], v[48:49], -v[1:2]
	v_add_f64 v[3:4], v[50:51], -v[3:4]
	scratch_store_b128 off, v[1:4], off
	s_cbranch_vccz .LBB122_485
; %bb.368:
	v_dual_mov_b32 v1, s8 :: v_dual_mov_b32 v2, s9
	s_load_b64 s[0:1], s[0:1], 0x4
	flat_load_b32 v1, v[1:2] offset:228
	v_bfe_u32 v2, v0, 10, 10
	v_bfe_u32 v0, v0, 20, 10
	s_waitcnt lgkmcnt(0)
	s_lshr_b32 s0, s0, 16
	s_delay_alu instid0(VALU_DEP_2) | instskip(SKIP_1) | instid1(SALU_CYCLE_1)
	v_mul_u32_u24_e32 v2, s1, v2
	s_mul_i32 s0, s0, s1
	v_mul_u32_u24_e32 v3, s0, v164
	s_delay_alu instid0(VALU_DEP_1) | instskip(NEXT) | instid1(VALU_DEP_1)
	v_add3_u32 v0, v3, v2, v0
	v_lshl_add_u32 v0, v0, 4, 0x768
	s_waitcnt vmcnt(0)
	v_cmp_ne_u32_e32 vcc_lo, 58, v1
	s_mov_b32 s0, exec_lo
	scratch_load_b32 v10, off, off offset:1088 ; 4-byte Folded Reload
	s_and_b32 s1, s0, vcc_lo
	s_delay_alu instid0(SALU_CYCLE_1)
	s_mov_b32 exec_lo, s1
	s_cbranch_execz .LBB122_370
; %bb.369:
	v_lshl_add_u32 v9, v1, 4, 0
	s_waitcnt vmcnt(0)
	s_clause 0x1
	scratch_load_b128 v[1:4], v10, off
	scratch_load_b128 v[5:8], v9, off offset:-16
	s_waitcnt vmcnt(1)
	ds_store_2addr_b64 v0, v[1:2], v[3:4] offset1:1
	s_waitcnt vmcnt(0)
	s_clause 0x1
	scratch_store_b128 v10, v[5:8], off
	scratch_store_b128 v9, v[1:4], off offset:-16
.LBB122_370:
	s_or_b32 exec_lo, exec_lo, s0
	v_dual_mov_b32 v1, s8 :: v_dual_mov_b32 v2, s9
	flat_load_b32 v1, v[1:2] offset:224
	s_waitcnt vmcnt(0) lgkmcnt(0)
	v_cmp_ne_u32_e32 vcc_lo, 57, v1
	s_mov_b32 s0, exec_lo
	v_dual_mov_b32 v10, v181 :: v_dual_mov_b32 v11, v195
	v_dual_mov_b32 v12, v194 :: v_dual_mov_b32 v15, v176
	;; [unrolled: 1-line block ×5, first 2 shown]
	s_and_b32 s1, s0, vcc_lo
	s_delay_alu instid0(SALU_CYCLE_1)
	s_mov_b32 exec_lo, s1
	s_cbranch_execz .LBB122_372
; %bb.371:
	v_lshl_add_u32 v9, v1, 4, 0
	s_clause 0x1
	scratch_load_b128 v[1:4], v10, off
	scratch_load_b128 v[5:8], v9, off offset:-16
	s_waitcnt vmcnt(1)
	ds_store_2addr_b64 v0, v[1:2], v[3:4] offset1:1
	s_waitcnt vmcnt(0)
	s_clause 0x1
	scratch_store_b128 v10, v[5:8], off
	scratch_store_b128 v9, v[1:4], off offset:-16
.LBB122_372:
	s_or_b32 exec_lo, exec_lo, s0
	v_dual_mov_b32 v1, s8 :: v_dual_mov_b32 v2, s9
	s_mov_b32 s0, exec_lo
	flat_load_b32 v1, v[1:2] offset:220
	s_waitcnt vmcnt(0) lgkmcnt(0)
	v_cmpx_ne_u32_e32 56, v1
	s_cbranch_execz .LBB122_374
; %bb.373:
	v_lshl_add_u32 v9, v1, 4, 0
	s_clause 0x1
	scratch_load_b128 v[1:4], v11, off
	scratch_load_b128 v[5:8], v9, off offset:-16
	s_waitcnt vmcnt(1)
	ds_store_2addr_b64 v0, v[1:2], v[3:4] offset1:1
	s_waitcnt vmcnt(0)
	s_clause 0x1
	scratch_store_b128 v11, v[5:8], off
	scratch_store_b128 v9, v[1:4], off offset:-16
.LBB122_374:
	s_or_b32 exec_lo, exec_lo, s0
	v_dual_mov_b32 v1, s8 :: v_dual_mov_b32 v2, s9
	s_mov_b32 s0, exec_lo
	flat_load_b32 v1, v[1:2] offset:216
	s_waitcnt vmcnt(0) lgkmcnt(0)
	v_cmpx_ne_u32_e32 55, v1
	;; [unrolled: 19-line block ×17, first 2 shown]
	s_cbranch_execz .LBB122_406
; %bb.405:
	scratch_load_b32 v10, off, off offset:944 ; 4-byte Folded Reload
	v_lshl_add_u32 v9, v1, 4, 0
	s_waitcnt vmcnt(0)
	s_clause 0x1
	scratch_load_b128 v[1:4], v10, off
	scratch_load_b128 v[5:8], v9, off offset:-16
	s_waitcnt vmcnt(1)
	ds_store_2addr_b64 v0, v[1:2], v[3:4] offset1:1
	s_waitcnt vmcnt(0)
	s_clause 0x1
	scratch_store_b128 v10, v[5:8], off
	scratch_store_b128 v9, v[1:4], off offset:-16
.LBB122_406:
	s_or_b32 exec_lo, exec_lo, s0
	v_dual_mov_b32 v1, s8 :: v_dual_mov_b32 v2, s9
	s_mov_b32 s0, exec_lo
	flat_load_b32 v1, v[1:2] offset:152
	s_waitcnt vmcnt(0) lgkmcnt(0)
	v_cmpx_ne_u32_e32 39, v1
	s_cbranch_execz .LBB122_408
; %bb.407:
	v_lshl_add_u32 v9, v1, 4, 0
	s_clause 0x1
	scratch_load_b128 v[1:4], v236, off
	scratch_load_b128 v[5:8], v9, off offset:-16
	s_waitcnt vmcnt(1)
	ds_store_2addr_b64 v0, v[1:2], v[3:4] offset1:1
	s_waitcnt vmcnt(0)
	s_clause 0x1
	scratch_store_b128 v236, v[5:8], off
	scratch_store_b128 v9, v[1:4], off offset:-16
.LBB122_408:
	s_or_b32 exec_lo, exec_lo, s0
	v_dual_mov_b32 v1, s8 :: v_dual_mov_b32 v2, s9
	s_mov_b32 s0, exec_lo
	flat_load_b32 v1, v[1:2] offset:148
	s_waitcnt vmcnt(0) lgkmcnt(0)
	v_cmpx_ne_u32_e32 38, v1
	s_cbranch_execz .LBB122_410
; %bb.409:
	v_lshl_add_u32 v9, v1, 4, 0
	s_clause 0x1
	scratch_load_b128 v[1:4], v233, off
	scratch_load_b128 v[5:8], v9, off offset:-16
	s_waitcnt vmcnt(1)
	ds_store_2addr_b64 v0, v[1:2], v[3:4] offset1:1
	s_waitcnt vmcnt(0)
	s_clause 0x1
	scratch_store_b128 v233, v[5:8], off
	scratch_store_b128 v9, v[1:4], off offset:-16
.LBB122_410:
	s_or_b32 exec_lo, exec_lo, s0
	v_dual_mov_b32 v1, s8 :: v_dual_mov_b32 v2, s9
	s_mov_b32 s0, exec_lo
	flat_load_b32 v1, v[1:2] offset:144
	s_waitcnt vmcnt(0) lgkmcnt(0)
	v_cmpx_ne_u32_e32 37, v1
	s_cbranch_execz .LBB122_412
; %bb.411:
	scratch_load_b32 v10, off, off offset:948 ; 4-byte Folded Reload
	v_lshl_add_u32 v9, v1, 4, 0
	s_waitcnt vmcnt(0)
	s_clause 0x1
	scratch_load_b128 v[1:4], v10, off
	scratch_load_b128 v[5:8], v9, off offset:-16
	s_waitcnt vmcnt(1)
	ds_store_2addr_b64 v0, v[1:2], v[3:4] offset1:1
	s_waitcnt vmcnt(0)
	s_clause 0x1
	scratch_store_b128 v10, v[5:8], off
	scratch_store_b128 v9, v[1:4], off offset:-16
.LBB122_412:
	s_or_b32 exec_lo, exec_lo, s0
	v_dual_mov_b32 v1, s8 :: v_dual_mov_b32 v2, s9
	s_mov_b32 s0, exec_lo
	flat_load_b32 v1, v[1:2] offset:140
	s_waitcnt vmcnt(0) lgkmcnt(0)
	v_cmpx_ne_u32_e32 36, v1
	s_cbranch_execz .LBB122_414
; %bb.413:
	scratch_load_b32 v10, off, off offset:952 ; 4-byte Folded Reload
	v_lshl_add_u32 v9, v1, 4, 0
	s_waitcnt vmcnt(0)
	s_clause 0x1
	scratch_load_b128 v[1:4], v10, off
	scratch_load_b128 v[5:8], v9, off offset:-16
	s_waitcnt vmcnt(1)
	ds_store_2addr_b64 v0, v[1:2], v[3:4] offset1:1
	s_waitcnt vmcnt(0)
	s_clause 0x1
	scratch_store_b128 v10, v[5:8], off
	scratch_store_b128 v9, v[1:4], off offset:-16
.LBB122_414:
	s_or_b32 exec_lo, exec_lo, s0
	v_dual_mov_b32 v1, s8 :: v_dual_mov_b32 v2, s9
	s_mov_b32 s0, exec_lo
	flat_load_b32 v1, v[1:2] offset:136
	s_waitcnt vmcnt(0) lgkmcnt(0)
	v_cmpx_ne_u32_e32 35, v1
	s_cbranch_execz .LBB122_416
; %bb.415:
	scratch_load_b32 v10, off, off offset:956 ; 4-byte Folded Reload
	v_lshl_add_u32 v9, v1, 4, 0
	s_waitcnt vmcnt(0)
	s_clause 0x1
	scratch_load_b128 v[1:4], v10, off
	scratch_load_b128 v[5:8], v9, off offset:-16
	s_waitcnt vmcnt(1)
	ds_store_2addr_b64 v0, v[1:2], v[3:4] offset1:1
	s_waitcnt vmcnt(0)
	s_clause 0x1
	scratch_store_b128 v10, v[5:8], off
	scratch_store_b128 v9, v[1:4], off offset:-16
.LBB122_416:
	s_or_b32 exec_lo, exec_lo, s0
	v_dual_mov_b32 v1, s8 :: v_dual_mov_b32 v2, s9
	s_mov_b32 s0, exec_lo
	flat_load_b32 v1, v[1:2] offset:132
	s_waitcnt vmcnt(0) lgkmcnt(0)
	v_cmpx_ne_u32_e32 34, v1
	s_cbranch_execz .LBB122_418
; %bb.417:
	scratch_load_b32 v10, off, off offset:960 ; 4-byte Folded Reload
	v_lshl_add_u32 v9, v1, 4, 0
	s_waitcnt vmcnt(0)
	s_clause 0x1
	scratch_load_b128 v[1:4], v10, off
	scratch_load_b128 v[5:8], v9, off offset:-16
	s_waitcnt vmcnt(1)
	ds_store_2addr_b64 v0, v[1:2], v[3:4] offset1:1
	s_waitcnt vmcnt(0)
	s_clause 0x1
	scratch_store_b128 v10, v[5:8], off
	scratch_store_b128 v9, v[1:4], off offset:-16
.LBB122_418:
	s_or_b32 exec_lo, exec_lo, s0
	v_dual_mov_b32 v1, s8 :: v_dual_mov_b32 v2, s9
	s_mov_b32 s0, exec_lo
	flat_load_b32 v1, v[1:2] offset:128
	s_waitcnt vmcnt(0) lgkmcnt(0)
	v_cmpx_ne_u32_e32 33, v1
	s_cbranch_execz .LBB122_420
; %bb.419:
	scratch_load_b32 v10, off, off offset:964 ; 4-byte Folded Reload
	v_lshl_add_u32 v9, v1, 4, 0
	s_waitcnt vmcnt(0)
	s_clause 0x1
	scratch_load_b128 v[1:4], v10, off
	scratch_load_b128 v[5:8], v9, off offset:-16
	s_waitcnt vmcnt(1)
	ds_store_2addr_b64 v0, v[1:2], v[3:4] offset1:1
	s_waitcnt vmcnt(0)
	s_clause 0x1
	scratch_store_b128 v10, v[5:8], off
	scratch_store_b128 v9, v[1:4], off offset:-16
.LBB122_420:
	s_or_b32 exec_lo, exec_lo, s0
	v_dual_mov_b32 v1, s8 :: v_dual_mov_b32 v2, s9
	s_mov_b32 s0, exec_lo
	flat_load_b32 v1, v[1:2] offset:124
	s_waitcnt vmcnt(0) lgkmcnt(0)
	v_cmpx_ne_u32_e32 32, v1
	s_cbranch_execz .LBB122_422
; %bb.421:
	scratch_load_b32 v10, off, off offset:968 ; 4-byte Folded Reload
	v_lshl_add_u32 v9, v1, 4, 0
	s_waitcnt vmcnt(0)
	s_clause 0x1
	scratch_load_b128 v[1:4], v10, off
	scratch_load_b128 v[5:8], v9, off offset:-16
	s_waitcnt vmcnt(1)
	ds_store_2addr_b64 v0, v[1:2], v[3:4] offset1:1
	s_waitcnt vmcnt(0)
	s_clause 0x1
	scratch_store_b128 v10, v[5:8], off
	scratch_store_b128 v9, v[1:4], off offset:-16
.LBB122_422:
	s_or_b32 exec_lo, exec_lo, s0
	v_dual_mov_b32 v1, s8 :: v_dual_mov_b32 v2, s9
	s_mov_b32 s0, exec_lo
	flat_load_b32 v1, v[1:2] offset:120
	s_waitcnt vmcnt(0) lgkmcnt(0)
	v_cmpx_ne_u32_e32 31, v1
	s_cbranch_execz .LBB122_424
; %bb.423:
	scratch_load_b32 v10, off, off offset:972 ; 4-byte Folded Reload
	v_lshl_add_u32 v9, v1, 4, 0
	s_waitcnt vmcnt(0)
	s_clause 0x1
	scratch_load_b128 v[1:4], v10, off
	scratch_load_b128 v[5:8], v9, off offset:-16
	s_waitcnt vmcnt(1)
	ds_store_2addr_b64 v0, v[1:2], v[3:4] offset1:1
	s_waitcnt vmcnt(0)
	s_clause 0x1
	scratch_store_b128 v10, v[5:8], off
	scratch_store_b128 v9, v[1:4], off offset:-16
.LBB122_424:
	s_or_b32 exec_lo, exec_lo, s0
	v_dual_mov_b32 v1, s8 :: v_dual_mov_b32 v2, s9
	s_mov_b32 s0, exec_lo
	flat_load_b32 v1, v[1:2] offset:116
	s_waitcnt vmcnt(0) lgkmcnt(0)
	v_cmpx_ne_u32_e32 30, v1
	s_cbranch_execz .LBB122_426
; %bb.425:
	scratch_load_b32 v10, off, off offset:976 ; 4-byte Folded Reload
	v_lshl_add_u32 v9, v1, 4, 0
	s_waitcnt vmcnt(0)
	s_clause 0x1
	scratch_load_b128 v[1:4], v10, off
	scratch_load_b128 v[5:8], v9, off offset:-16
	s_waitcnt vmcnt(1)
	ds_store_2addr_b64 v0, v[1:2], v[3:4] offset1:1
	s_waitcnt vmcnt(0)
	s_clause 0x1
	scratch_store_b128 v10, v[5:8], off
	scratch_store_b128 v9, v[1:4], off offset:-16
.LBB122_426:
	s_or_b32 exec_lo, exec_lo, s0
	v_dual_mov_b32 v1, s8 :: v_dual_mov_b32 v2, s9
	s_mov_b32 s0, exec_lo
	flat_load_b32 v1, v[1:2] offset:112
	s_waitcnt vmcnt(0) lgkmcnt(0)
	v_cmpx_ne_u32_e32 29, v1
	s_cbranch_execz .LBB122_428
; %bb.427:
	scratch_load_b32 v10, off, off offset:980 ; 4-byte Folded Reload
	v_lshl_add_u32 v9, v1, 4, 0
	s_waitcnt vmcnt(0)
	s_clause 0x1
	scratch_load_b128 v[1:4], v10, off
	scratch_load_b128 v[5:8], v9, off offset:-16
	s_waitcnt vmcnt(1)
	ds_store_2addr_b64 v0, v[1:2], v[3:4] offset1:1
	s_waitcnt vmcnt(0)
	s_clause 0x1
	scratch_store_b128 v10, v[5:8], off
	scratch_store_b128 v9, v[1:4], off offset:-16
.LBB122_428:
	s_or_b32 exec_lo, exec_lo, s0
	v_dual_mov_b32 v1, s8 :: v_dual_mov_b32 v2, s9
	s_mov_b32 s0, exec_lo
	flat_load_b32 v1, v[1:2] offset:108
	s_waitcnt vmcnt(0) lgkmcnt(0)
	v_cmpx_ne_u32_e32 28, v1
	s_cbranch_execz .LBB122_430
; %bb.429:
	scratch_load_b32 v10, off, off offset:984 ; 4-byte Folded Reload
	v_lshl_add_u32 v9, v1, 4, 0
	s_waitcnt vmcnt(0)
	s_clause 0x1
	scratch_load_b128 v[1:4], v10, off
	scratch_load_b128 v[5:8], v9, off offset:-16
	s_waitcnt vmcnt(1)
	ds_store_2addr_b64 v0, v[1:2], v[3:4] offset1:1
	s_waitcnt vmcnt(0)
	s_clause 0x1
	scratch_store_b128 v10, v[5:8], off
	scratch_store_b128 v9, v[1:4], off offset:-16
.LBB122_430:
	s_or_b32 exec_lo, exec_lo, s0
	v_dual_mov_b32 v1, s8 :: v_dual_mov_b32 v2, s9
	s_mov_b32 s0, exec_lo
	flat_load_b32 v1, v[1:2] offset:104
	s_waitcnt vmcnt(0) lgkmcnt(0)
	v_cmpx_ne_u32_e32 27, v1
	s_cbranch_execz .LBB122_432
; %bb.431:
	scratch_load_b32 v10, off, off offset:988 ; 4-byte Folded Reload
	v_lshl_add_u32 v9, v1, 4, 0
	s_waitcnt vmcnt(0)
	s_clause 0x1
	scratch_load_b128 v[1:4], v10, off
	scratch_load_b128 v[5:8], v9, off offset:-16
	s_waitcnt vmcnt(1)
	ds_store_2addr_b64 v0, v[1:2], v[3:4] offset1:1
	s_waitcnt vmcnt(0)
	s_clause 0x1
	scratch_store_b128 v10, v[5:8], off
	scratch_store_b128 v9, v[1:4], off offset:-16
.LBB122_432:
	s_or_b32 exec_lo, exec_lo, s0
	v_dual_mov_b32 v1, s8 :: v_dual_mov_b32 v2, s9
	s_mov_b32 s0, exec_lo
	flat_load_b32 v1, v[1:2] offset:100
	s_waitcnt vmcnt(0) lgkmcnt(0)
	v_cmpx_ne_u32_e32 26, v1
	s_cbranch_execz .LBB122_434
; %bb.433:
	scratch_load_b32 v10, off, off offset:992 ; 4-byte Folded Reload
	v_lshl_add_u32 v9, v1, 4, 0
	s_waitcnt vmcnt(0)
	s_clause 0x1
	scratch_load_b128 v[1:4], v10, off
	scratch_load_b128 v[5:8], v9, off offset:-16
	s_waitcnt vmcnt(1)
	ds_store_2addr_b64 v0, v[1:2], v[3:4] offset1:1
	s_waitcnt vmcnt(0)
	s_clause 0x1
	scratch_store_b128 v10, v[5:8], off
	scratch_store_b128 v9, v[1:4], off offset:-16
.LBB122_434:
	s_or_b32 exec_lo, exec_lo, s0
	v_dual_mov_b32 v1, s8 :: v_dual_mov_b32 v2, s9
	s_mov_b32 s0, exec_lo
	flat_load_b32 v1, v[1:2] offset:96
	s_waitcnt vmcnt(0) lgkmcnt(0)
	v_cmpx_ne_u32_e32 25, v1
	s_cbranch_execz .LBB122_436
; %bb.435:
	scratch_load_b32 v10, off, off offset:996 ; 4-byte Folded Reload
	v_lshl_add_u32 v9, v1, 4, 0
	s_waitcnt vmcnt(0)
	s_clause 0x1
	scratch_load_b128 v[1:4], v10, off
	scratch_load_b128 v[5:8], v9, off offset:-16
	s_waitcnt vmcnt(1)
	ds_store_2addr_b64 v0, v[1:2], v[3:4] offset1:1
	s_waitcnt vmcnt(0)
	s_clause 0x1
	scratch_store_b128 v10, v[5:8], off
	scratch_store_b128 v9, v[1:4], off offset:-16
.LBB122_436:
	s_or_b32 exec_lo, exec_lo, s0
	v_dual_mov_b32 v1, s8 :: v_dual_mov_b32 v2, s9
	s_mov_b32 s0, exec_lo
	flat_load_b32 v1, v[1:2] offset:92
	s_waitcnt vmcnt(0) lgkmcnt(0)
	v_cmpx_ne_u32_e32 24, v1
	s_cbranch_execz .LBB122_438
; %bb.437:
	scratch_load_b32 v10, off, off offset:1000 ; 4-byte Folded Reload
	v_lshl_add_u32 v9, v1, 4, 0
	s_waitcnt vmcnt(0)
	s_clause 0x1
	scratch_load_b128 v[1:4], v10, off
	scratch_load_b128 v[5:8], v9, off offset:-16
	s_waitcnt vmcnt(1)
	ds_store_2addr_b64 v0, v[1:2], v[3:4] offset1:1
	s_waitcnt vmcnt(0)
	s_clause 0x1
	scratch_store_b128 v10, v[5:8], off
	scratch_store_b128 v9, v[1:4], off offset:-16
.LBB122_438:
	s_or_b32 exec_lo, exec_lo, s0
	v_dual_mov_b32 v1, s8 :: v_dual_mov_b32 v2, s9
	s_mov_b32 s0, exec_lo
	flat_load_b32 v1, v[1:2] offset:88
	s_waitcnt vmcnt(0) lgkmcnt(0)
	v_cmpx_ne_u32_e32 23, v1
	s_cbranch_execz .LBB122_440
; %bb.439:
	scratch_load_b32 v10, off, off offset:1004 ; 4-byte Folded Reload
	v_lshl_add_u32 v9, v1, 4, 0
	s_waitcnt vmcnt(0)
	s_clause 0x1
	scratch_load_b128 v[1:4], v10, off
	scratch_load_b128 v[5:8], v9, off offset:-16
	s_waitcnt vmcnt(1)
	ds_store_2addr_b64 v0, v[1:2], v[3:4] offset1:1
	s_waitcnt vmcnt(0)
	s_clause 0x1
	scratch_store_b128 v10, v[5:8], off
	scratch_store_b128 v9, v[1:4], off offset:-16
.LBB122_440:
	s_or_b32 exec_lo, exec_lo, s0
	v_dual_mov_b32 v1, s8 :: v_dual_mov_b32 v2, s9
	s_mov_b32 s0, exec_lo
	flat_load_b32 v1, v[1:2] offset:84
	s_waitcnt vmcnt(0) lgkmcnt(0)
	v_cmpx_ne_u32_e32 22, v1
	s_cbranch_execz .LBB122_442
; %bb.441:
	scratch_load_b32 v10, off, off offset:1008 ; 4-byte Folded Reload
	v_lshl_add_u32 v9, v1, 4, 0
	s_waitcnt vmcnt(0)
	s_clause 0x1
	scratch_load_b128 v[1:4], v10, off
	scratch_load_b128 v[5:8], v9, off offset:-16
	s_waitcnt vmcnt(1)
	ds_store_2addr_b64 v0, v[1:2], v[3:4] offset1:1
	s_waitcnt vmcnt(0)
	s_clause 0x1
	scratch_store_b128 v10, v[5:8], off
	scratch_store_b128 v9, v[1:4], off offset:-16
.LBB122_442:
	s_or_b32 exec_lo, exec_lo, s0
	v_dual_mov_b32 v1, s8 :: v_dual_mov_b32 v2, s9
	s_mov_b32 s0, exec_lo
	flat_load_b32 v1, v[1:2] offset:80
	s_waitcnt vmcnt(0) lgkmcnt(0)
	v_cmpx_ne_u32_e32 21, v1
	s_cbranch_execz .LBB122_444
; %bb.443:
	scratch_load_b32 v10, off, off offset:1012 ; 4-byte Folded Reload
	v_lshl_add_u32 v9, v1, 4, 0
	s_waitcnt vmcnt(0)
	s_clause 0x1
	scratch_load_b128 v[1:4], v10, off
	scratch_load_b128 v[5:8], v9, off offset:-16
	s_waitcnt vmcnt(1)
	ds_store_2addr_b64 v0, v[1:2], v[3:4] offset1:1
	s_waitcnt vmcnt(0)
	s_clause 0x1
	scratch_store_b128 v10, v[5:8], off
	scratch_store_b128 v9, v[1:4], off offset:-16
.LBB122_444:
	s_or_b32 exec_lo, exec_lo, s0
	v_dual_mov_b32 v1, s8 :: v_dual_mov_b32 v2, s9
	s_mov_b32 s0, exec_lo
	flat_load_b32 v1, v[1:2] offset:76
	s_waitcnt vmcnt(0) lgkmcnt(0)
	v_cmpx_ne_u32_e32 20, v1
	s_cbranch_execz .LBB122_446
; %bb.445:
	scratch_load_b32 v10, off, off offset:1016 ; 4-byte Folded Reload
	v_lshl_add_u32 v9, v1, 4, 0
	s_waitcnt vmcnt(0)
	s_clause 0x1
	scratch_load_b128 v[1:4], v10, off
	scratch_load_b128 v[5:8], v9, off offset:-16
	s_waitcnt vmcnt(1)
	ds_store_2addr_b64 v0, v[1:2], v[3:4] offset1:1
	s_waitcnt vmcnt(0)
	s_clause 0x1
	scratch_store_b128 v10, v[5:8], off
	scratch_store_b128 v9, v[1:4], off offset:-16
.LBB122_446:
	s_or_b32 exec_lo, exec_lo, s0
	v_dual_mov_b32 v1, s8 :: v_dual_mov_b32 v2, s9
	s_mov_b32 s0, exec_lo
	flat_load_b32 v1, v[1:2] offset:72
	s_waitcnt vmcnt(0) lgkmcnt(0)
	v_cmpx_ne_u32_e32 19, v1
	s_cbranch_execz .LBB122_448
; %bb.447:
	v_lshl_add_u32 v9, v1, 4, 0
	s_clause 0x1
	scratch_load_b128 v[1:4], v231, off
	scratch_load_b128 v[5:8], v9, off offset:-16
	s_waitcnt vmcnt(1)
	ds_store_2addr_b64 v0, v[1:2], v[3:4] offset1:1
	s_waitcnt vmcnt(0)
	s_clause 0x1
	scratch_store_b128 v231, v[5:8], off
	scratch_store_b128 v9, v[1:4], off offset:-16
.LBB122_448:
	s_or_b32 exec_lo, exec_lo, s0
	v_dual_mov_b32 v1, s8 :: v_dual_mov_b32 v2, s9
	s_mov_b32 s0, exec_lo
	flat_load_b32 v1, v[1:2] offset:68
	s_waitcnt vmcnt(0) lgkmcnt(0)
	v_cmpx_ne_u32_e32 18, v1
	s_cbranch_execz .LBB122_450
; %bb.449:
	v_lshl_add_u32 v9, v1, 4, 0
	s_clause 0x1
	scratch_load_b128 v[1:4], v232, off
	scratch_load_b128 v[5:8], v9, off offset:-16
	s_waitcnt vmcnt(1)
	ds_store_2addr_b64 v0, v[1:2], v[3:4] offset1:1
	s_waitcnt vmcnt(0)
	s_clause 0x1
	scratch_store_b128 v232, v[5:8], off
	scratch_store_b128 v9, v[1:4], off offset:-16
.LBB122_450:
	;; [unrolled: 19-line block ×3, first 2 shown]
	s_or_b32 exec_lo, exec_lo, s0
	v_dual_mov_b32 v1, s8 :: v_dual_mov_b32 v2, s9
	s_mov_b32 s0, exec_lo
	flat_load_b32 v1, v[1:2] offset:60
	s_waitcnt vmcnt(0) lgkmcnt(0)
	v_cmpx_ne_u32_e32 16, v1
	s_cbranch_execz .LBB122_454
; %bb.453:
	scratch_load_b32 v10, off, off offset:1020 ; 4-byte Folded Reload
	v_lshl_add_u32 v9, v1, 4, 0
	s_waitcnt vmcnt(0)
	s_clause 0x1
	scratch_load_b128 v[1:4], v10, off
	scratch_load_b128 v[5:8], v9, off offset:-16
	s_waitcnt vmcnt(1)
	ds_store_2addr_b64 v0, v[1:2], v[3:4] offset1:1
	s_waitcnt vmcnt(0)
	s_clause 0x1
	scratch_store_b128 v10, v[5:8], off
	scratch_store_b128 v9, v[1:4], off offset:-16
.LBB122_454:
	s_or_b32 exec_lo, exec_lo, s0
	v_dual_mov_b32 v1, s8 :: v_dual_mov_b32 v2, s9
	s_mov_b32 s0, exec_lo
	flat_load_b32 v1, v[1:2] offset:56
	s_waitcnt vmcnt(0) lgkmcnt(0)
	v_cmpx_ne_u32_e32 15, v1
	s_cbranch_execz .LBB122_456
; %bb.455:
	v_lshl_add_u32 v9, v1, 4, 0
	s_clause 0x1
	scratch_load_b128 v[1:4], v209, off
	scratch_load_b128 v[5:8], v9, off offset:-16
	s_waitcnt vmcnt(1)
	ds_store_2addr_b64 v0, v[1:2], v[3:4] offset1:1
	s_waitcnt vmcnt(0)
	s_clause 0x1
	scratch_store_b128 v209, v[5:8], off
	scratch_store_b128 v9, v[1:4], off offset:-16
.LBB122_456:
	s_or_b32 exec_lo, exec_lo, s0
	v_dual_mov_b32 v1, s8 :: v_dual_mov_b32 v2, s9
	s_mov_b32 s0, exec_lo
	flat_load_b32 v1, v[1:2] offset:52
	s_waitcnt vmcnt(0) lgkmcnt(0)
	v_cmpx_ne_u32_e32 14, v1
	s_cbranch_execz .LBB122_458
; %bb.457:
	v_lshl_add_u32 v9, v1, 4, 0
	s_clause 0x1
	scratch_load_b128 v[1:4], v210, off
	scratch_load_b128 v[5:8], v9, off offset:-16
	s_waitcnt vmcnt(1)
	ds_store_2addr_b64 v0, v[1:2], v[3:4] offset1:1
	s_waitcnt vmcnt(0)
	s_clause 0x1
	scratch_store_b128 v210, v[5:8], off
	scratch_store_b128 v9, v[1:4], off offset:-16
.LBB122_458:
	;; [unrolled: 19-line block ×14, first 2 shown]
	s_or_b32 exec_lo, exec_lo, s0
	v_dual_mov_b32 v1, s8 :: v_dual_mov_b32 v2, s9
	s_mov_b32 s0, exec_lo
	flat_load_b32 v1, v[1:2]
	s_waitcnt vmcnt(0) lgkmcnt(0)
	v_cmpx_ne_u32_e32 1, v1
	s_cbranch_execz .LBB122_484
; %bb.483:
	v_lshl_add_u32 v9, v1, 4, 0
	scratch_load_b128 v[1:4], off, off
	scratch_load_b128 v[5:8], v9, off offset:-16
	s_waitcnt vmcnt(1)
	ds_store_2addr_b64 v0, v[1:2], v[3:4] offset1:1
	s_waitcnt vmcnt(0)
	scratch_store_b128 off, v[5:8], off
	scratch_store_b128 v9, v[1:4], off offset:-16
.LBB122_484:
	s_or_b32 exec_lo, exec_lo, s0
.LBB122_485:
	scratch_load_b128 v[0:3], off, off
	s_clause 0xd
	scratch_load_b128 v[4:7], v222, off
	scratch_load_b128 v[8:11], v221, off
	;; [unrolled: 1-line block ×14, first 2 shown]
	scratch_load_b32 v44, off, off offset:1020 ; 4-byte Folded Reload
	s_waitcnt vmcnt(0)
	s_clause 0x3
	scratch_load_b128 v[197:200], v44, off
	scratch_load_b128 v[201:204], v253, off
	;; [unrolled: 1-line block ×4, first 2 shown]
	scratch_load_b32 v44, off, off offset:1016 ; 4-byte Folded Reload
	s_waitcnt vmcnt(0)
	scratch_load_b128 v[213:216], v44, off
	scratch_load_b32 v44, off, off offset:1012 ; 4-byte Folded Reload
	s_waitcnt vmcnt(0)
	scratch_load_b128 v[217:220], v44, off
	;; [unrolled: 3-line block ×5, first 2 shown]
	scratch_load_b32 v44, off, off offset:996 ; 4-byte Folded Reload
	global_store_b128 v[46:47], v[0:3], off
	scratch_load_b32 v0, off, off offset:992 ; 4-byte Folded Reload
	s_waitcnt vmcnt(1)
	scratch_load_b128 v[238:241], v44, off
	s_waitcnt vmcnt(1)
	scratch_load_b128 v[0:3], v0, off
	scratch_load_b32 v44, off, off offset:988 ; 4-byte Folded Reload
	s_waitcnt vmcnt(0)
	scratch_load_b128 v[44:47], v44, off
	scratch_load_b64 v[82:83], off, off offset:1024 ; 8-byte Folded Reload
	s_waitcnt vmcnt(0)
	global_store_b128 v[82:83], v[4:7], off
	scratch_load_b32 v4, off, off offset:984 ; 4-byte Folded Reload
	s_waitcnt vmcnt(0)
	scratch_load_b128 v[4:7], v4, off
	scratch_load_b32 v82, off, off offset:980 ; 4-byte Folded Reload
	s_waitcnt vmcnt(0)
	scratch_load_b128 v[242:245], v82, off
	scratch_load_b64 v[82:83], off, off offset:1032 ; 8-byte Folded Reload
	s_waitcnt vmcnt(0)
	global_store_b128 v[82:83], v[8:11], off
	scratch_load_b32 v8, off, off offset:976 ; 4-byte Folded Reload
	;; [unrolled: 9-line block ×5, first 2 shown]
	s_waitcnt vmcnt(0)
	scratch_load_b128 v[20:23], v20, off
	scratch_load_b32 v82, off, off offset:948 ; 4-byte Folded Reload
	s_waitcnt vmcnt(0)
	scratch_load_b128 v[172:175], v82, off
	scratch_load_b64 v[82:83], off, off offset:1064 ; 8-byte Folded Reload
	s_waitcnt vmcnt(0)
	global_store_b128 v[82:83], v[24:27], off
	s_clause 0x1
	scratch_load_b128 v[24:27], v233, off
	scratch_load_b128 v[233:236], v236, off
	global_store_b128 v[78:79], v[28:31], off
	scratch_load_b32 v28, off, off offset:944 ; 4-byte Folded Reload
	s_waitcnt vmcnt(0)
	s_clause 0x1
	scratch_load_b128 v[28:31], v28, off
	scratch_load_b128 v[250:253], v176, off
	scratch_load_b64 v[78:79], off, off offset:1072 ; 8-byte Folded Reload
	s_waitcnt vmcnt(0)
	global_store_b128 v[78:79], v[32:35], off
	s_clause 0x1
	scratch_load_b128 v[32:35], v178, off
	scratch_load_b128 v[176:179], v179, off
	global_store_b128 v[64:65], v[36:39], off
	s_clause 0x1
	scratch_load_b128 v[36:39], v193, off
	scratch_load_b128 v[190:193], v191, off
	;; [unrolled: 4-line block ×8, first 2 shown]
	global_store_b128 v[80:81], v[201:204], off
	scratch_load_b32 v80, off, off offset:1088 ; 4-byte Folded Reload
	s_waitcnt vmcnt(0)
	s_clause 0x1
	scratch_load_b128 v[198:201], v80, off
	scratch_load_b128 v[80:83], v237, off
	scratch_load_b64 v[180:181], off, off offset:1080 ; 8-byte Folded Reload
	global_store_b128 v[254:255], v[205:208], off
	s_waitcnt vmcnt(0)
	s_clause 0x1f
	global_store_b128 v[180:181], v[209:212], off
	global_store_b128 v[84:85], v[213:216], off
	;; [unrolled: 1-line block ×32, first 2 shown]
	s_clause 0x8
	global_store_b128 v[146:147], v[68:71], off
	global_store_b128 v[148:149], v[56:59], off
	;; [unrolled: 1-line block ×9, first 2 shown]
	s_endpgm
	.section	.rodata,"a",@progbits
	.p2align	6, 0x0
	.amdhsa_kernel _ZN9rocsolver6v33100L18getri_kernel_smallILi59E19rocblas_complex_numIdEPKPS3_EEvT1_iilPiilS8_bb
		.amdhsa_group_segment_fixed_size 2920
		.amdhsa_private_segment_fixed_size 1104
		.amdhsa_kernarg_size 60
		.amdhsa_user_sgpr_count 15
		.amdhsa_user_sgpr_dispatch_ptr 1
		.amdhsa_user_sgpr_queue_ptr 0
		.amdhsa_user_sgpr_kernarg_segment_ptr 1
		.amdhsa_user_sgpr_dispatch_id 0
		.amdhsa_user_sgpr_private_segment_size 0
		.amdhsa_wavefront_size32 1
		.amdhsa_uses_dynamic_stack 0
		.amdhsa_enable_private_segment 1
		.amdhsa_system_sgpr_workgroup_id_x 1
		.amdhsa_system_sgpr_workgroup_id_y 0
		.amdhsa_system_sgpr_workgroup_id_z 0
		.amdhsa_system_sgpr_workgroup_info 0
		.amdhsa_system_vgpr_workitem_id 2
		.amdhsa_next_free_vgpr 256
		.amdhsa_next_free_sgpr 65
		.amdhsa_reserve_vcc 1
		.amdhsa_float_round_mode_32 0
		.amdhsa_float_round_mode_16_64 0
		.amdhsa_float_denorm_mode_32 3
		.amdhsa_float_denorm_mode_16_64 3
		.amdhsa_dx10_clamp 1
		.amdhsa_ieee_mode 1
		.amdhsa_fp16_overflow 0
		.amdhsa_workgroup_processor_mode 1
		.amdhsa_memory_ordered 1
		.amdhsa_forward_progress 0
		.amdhsa_shared_vgpr_count 0
		.amdhsa_exception_fp_ieee_invalid_op 0
		.amdhsa_exception_fp_denorm_src 0
		.amdhsa_exception_fp_ieee_div_zero 0
		.amdhsa_exception_fp_ieee_overflow 0
		.amdhsa_exception_fp_ieee_underflow 0
		.amdhsa_exception_fp_ieee_inexact 0
		.amdhsa_exception_int_div_zero 0
	.end_amdhsa_kernel
	.section	.text._ZN9rocsolver6v33100L18getri_kernel_smallILi59E19rocblas_complex_numIdEPKPS3_EEvT1_iilPiilS8_bb,"axG",@progbits,_ZN9rocsolver6v33100L18getri_kernel_smallILi59E19rocblas_complex_numIdEPKPS3_EEvT1_iilPiilS8_bb,comdat
.Lfunc_end122:
	.size	_ZN9rocsolver6v33100L18getri_kernel_smallILi59E19rocblas_complex_numIdEPKPS3_EEvT1_iilPiilS8_bb, .Lfunc_end122-_ZN9rocsolver6v33100L18getri_kernel_smallILi59E19rocblas_complex_numIdEPKPS3_EEvT1_iilPiilS8_bb
                                        ; -- End function
	.section	.AMDGPU.csdata,"",@progbits
; Kernel info:
; codeLenInByte = 154060
; NumSgprs: 67
; NumVgprs: 256
; ScratchSize: 1104
; MemoryBound: 0
; FloatMode: 240
; IeeeMode: 1
; LDSByteSize: 2920 bytes/workgroup (compile time only)
; SGPRBlocks: 8
; VGPRBlocks: 31
; NumSGPRsForWavesPerEU: 67
; NumVGPRsForWavesPerEU: 256
; Occupancy: 5
; WaveLimiterHint : 1
; COMPUTE_PGM_RSRC2:SCRATCH_EN: 1
; COMPUTE_PGM_RSRC2:USER_SGPR: 15
; COMPUTE_PGM_RSRC2:TRAP_HANDLER: 0
; COMPUTE_PGM_RSRC2:TGID_X_EN: 1
; COMPUTE_PGM_RSRC2:TGID_Y_EN: 0
; COMPUTE_PGM_RSRC2:TGID_Z_EN: 0
; COMPUTE_PGM_RSRC2:TIDIG_COMP_CNT: 2
	.section	.text._ZN9rocsolver6v33100L18getri_kernel_smallILi60E19rocblas_complex_numIdEPKPS3_EEvT1_iilPiilS8_bb,"axG",@progbits,_ZN9rocsolver6v33100L18getri_kernel_smallILi60E19rocblas_complex_numIdEPKPS3_EEvT1_iilPiilS8_bb,comdat
	.globl	_ZN9rocsolver6v33100L18getri_kernel_smallILi60E19rocblas_complex_numIdEPKPS3_EEvT1_iilPiilS8_bb ; -- Begin function _ZN9rocsolver6v33100L18getri_kernel_smallILi60E19rocblas_complex_numIdEPKPS3_EEvT1_iilPiilS8_bb
	.p2align	8
	.type	_ZN9rocsolver6v33100L18getri_kernel_smallILi60E19rocblas_complex_numIdEPKPS3_EEvT1_iilPiilS8_bb,@function
_ZN9rocsolver6v33100L18getri_kernel_smallILi60E19rocblas_complex_numIdEPKPS3_EEvT1_iilPiilS8_bb: ; @_ZN9rocsolver6v33100L18getri_kernel_smallILi60E19rocblas_complex_numIdEPKPS3_EEvT1_iilPiilS8_bb
; %bb.0:
	v_and_b32_e32 v166, 0x3ff, v0
	s_mov_b32 s4, exec_lo
	s_delay_alu instid0(VALU_DEP_1)
	v_cmpx_gt_u32_e32 60, v166
	s_cbranch_execz .LBB123_254
; %bb.1:
	s_mov_b32 s10, s15
	s_clause 0x2
	s_load_b32 s15, s[2:3], 0x38
	s_load_b64 s[8:9], s[2:3], 0x0
	s_load_b128 s[4:7], s[2:3], 0x28
	s_waitcnt lgkmcnt(0)
	s_bitcmp1_b32 s15, 8
	s_cselect_b32 s14, -1, 0
	s_ashr_i32 s11, s10, 31
	s_delay_alu instid0(SALU_CYCLE_1) | instskip(NEXT) | instid1(SALU_CYCLE_1)
	s_lshl_b64 s[12:13], s[10:11], 3
	s_add_u32 s8, s8, s12
	s_addc_u32 s9, s9, s13
	s_load_b64 s[12:13], s[8:9], 0x0
	s_bfe_u32 s8, s15, 0x10008
	s_delay_alu instid0(SALU_CYCLE_1)
	s_cmp_eq_u32 s8, 0
                                        ; implicit-def: $sgpr8_sgpr9
	s_cbranch_scc1 .LBB123_3
; %bb.2:
	s_clause 0x1
	s_load_b32 s8, s[2:3], 0x20
	s_load_b64 s[16:17], s[2:3], 0x18
	s_mul_i32 s5, s10, s5
	s_mul_hi_u32 s9, s10, s4
	s_mul_i32 s18, s11, s4
	s_add_i32 s5, s9, s5
	s_mul_i32 s4, s10, s4
	s_add_i32 s5, s5, s18
	s_delay_alu instid0(SALU_CYCLE_1)
	s_lshl_b64 s[4:5], s[4:5], 2
	s_waitcnt lgkmcnt(0)
	s_ashr_i32 s9, s8, 31
	s_add_u32 s16, s16, s4
	s_addc_u32 s17, s17, s5
	s_lshl_b64 s[4:5], s[8:9], 2
	s_delay_alu instid0(SALU_CYCLE_1)
	s_add_u32 s8, s16, s4
	s_addc_u32 s9, s17, s5
.LBB123_3:
	s_load_b64 s[2:3], s[2:3], 0x8
	v_lshlrev_b32_e32 v13, 4, v166
	s_movk_i32 s21, 0x100
	s_movk_i32 s24, 0x130
	;; [unrolled: 1-line block ×18, first 2 shown]
	s_waitcnt lgkmcnt(0)
	v_add3_u32 v1, s3, s3, v166
	s_ashr_i32 s5, s2, 31
	s_mov_b32 s4, s2
	s_mov_b32 s16, s3
	s_lshl_b64 s[4:5], s[4:5], 4
	v_add_nc_u32_e32 v7, s3, v1
	v_ashrrev_i32_e32 v2, 31, v1
	s_add_u32 s4, s12, s4
	s_addc_u32 s5, s13, s5
	v_add_co_u32 v46, s2, s4, v13
	v_add_nc_u32_e32 v9, s3, v7
	s_ashr_i32 s17, s3, 31
	v_add_co_ci_u32_e64 v47, null, s5, 0, s2
	v_lshlrev_b64 v[1:2], 4, v[1:2]
	s_delay_alu instid0(VALU_DEP_3) | instskip(SKIP_3) | instid1(VALU_DEP_3)
	v_add_nc_u32_e32 v11, s3, v9
	s_lshl_b64 s[12:13], s[16:17], 4
	v_ashrrev_i32_e32 v8, 31, v7
	v_add_co_u32 v14, vcc_lo, v46, s12
	v_add_nc_u32_e32 v18, s3, v11
	v_add_co_ci_u32_e32 v15, vcc_lo, s13, v47, vcc_lo
	v_add_co_u32 v16, vcc_lo, s4, v1
	s_delay_alu instid0(VALU_DEP_3) | instskip(SKIP_3) | instid1(VALU_DEP_4)
	v_add_nc_u32_e32 v26, s3, v18
	v_ashrrev_i32_e32 v10, 31, v9
	v_lshlrev_b64 v[19:20], 4, v[7:8]
	v_add_co_ci_u32_e32 v17, vcc_lo, s5, v2, vcc_lo
	v_add_nc_u32_e32 v28, s3, v26
	s_delay_alu instid0(VALU_DEP_4) | instskip(SKIP_2) | instid1(VALU_DEP_4)
	v_lshlrev_b64 v[21:22], 4, v[9:10]
	v_ashrrev_i32_e32 v12, 31, v11
	v_add_co_u32 v23, vcc_lo, s4, v19
	v_add_nc_u32_e32 v1, s3, v28
	v_add_co_ci_u32_e32 v24, vcc_lo, s5, v20, vcc_lo
	v_add_co_u32 v32, vcc_lo, s4, v21
	s_delay_alu instid0(VALU_DEP_3) | instskip(SKIP_3) | instid1(VALU_DEP_4)
	v_add_nc_u32_e32 v34, s3, v1
	v_lshlrev_b64 v[11:12], 4, v[11:12]
	v_ashrrev_i32_e32 v19, 31, v18
	v_add_co_ci_u32_e32 v33, vcc_lo, s5, v22, vcc_lo
	v_add_nc_u32_e32 v42, s3, v34
	v_ashrrev_i32_e32 v27, 31, v26
	s_delay_alu instid0(VALU_DEP_4)
	v_lshlrev_b64 v[30:31], 4, v[18:19]
	s_clause 0x1
	global_load_b128 v[3:6], v13, s[4:5]
	global_load_b128 v[7:10], v[14:15], off
	v_add_nc_u32_e32 v44, s3, v42
	s_clause 0x3
	scratch_store_b64 off, v[14:15], off offset:968
	scratch_store_b64 off, v[16:17], off offset:976
	scratch_store_b64 off, v[23:24], off offset:984
	scratch_store_b64 off, v[32:33], off offset:992
	s_clause 0x2
	global_load_b128 v[14:17], v[16:17], off
	global_load_b128 v[18:21], v[23:24], off
	;; [unrolled: 1-line block ×3, first 2 shown]
	v_add_co_u32 v32, vcc_lo, s4, v11
	v_ashrrev_i32_e32 v29, 31, v28
	v_add_nc_u32_e32 v48, s3, v44
	v_add_co_ci_u32_e32 v33, vcc_lo, s5, v12, vcc_lo
	v_lshlrev_b64 v[11:12], 4, v[26:27]
	v_ashrrev_i32_e32 v2, 31, v1
	v_add_co_u32 v30, vcc_lo, s4, v30
	v_lshlrev_b64 v[36:37], 4, v[28:29]
	v_add_nc_u32_e32 v50, s3, v48
	v_add_co_ci_u32_e32 v31, vcc_lo, s5, v31, vcc_lo
	v_add_co_u32 v38, vcc_lo, s4, v11
	v_lshlrev_b64 v[1:2], 4, v[1:2]
	v_ashrrev_i32_e32 v35, 31, v34
	v_add_co_ci_u32_e32 v39, vcc_lo, s5, v12, vcc_lo
	v_add_nc_u32_e32 v74, s3, v50
	v_add_co_u32 v40, vcc_lo, s4, v36
	v_ashrrev_i32_e32 v43, 31, v42
	v_add_co_ci_u32_e32 v41, vcc_lo, s5, v37, vcc_lo
	v_lshlrev_b64 v[66:67], 4, v[34:35]
	v_add_co_u32 v51, vcc_lo, s4, v1
	v_ashrrev_i32_e32 v45, 31, v44
	v_add_nc_u32_e32 v76, s3, v74
	v_add_co_ci_u32_e32 v52, vcc_lo, s5, v2, vcc_lo
	v_lshlrev_b64 v[1:2], 4, v[42:43]
	v_add_co_u32 v53, vcc_lo, s4, v66
	v_lshlrev_b64 v[70:71], 4, v[44:45]
	v_add_nc_u32_e32 v11, s3, v76
	v_add_co_ci_u32_e32 v54, vcc_lo, s5, v67, vcc_lo
	v_add_co_u32 v68, vcc_lo, s4, v1
	v_ashrrev_i32_e32 v49, 31, v48
	v_add_co_ci_u32_e32 v69, vcc_lo, s5, v2, vcc_lo
	v_add_co_u32 v70, vcc_lo, s4, v70
	v_add_nc_u32_e32 v82, s3, v11
	v_add_co_ci_u32_e32 v71, vcc_lo, s5, v71, vcc_lo
	s_clause 0x3
	scratch_store_b64 off, v[32:33], off offset:1000
	scratch_store_b64 off, v[30:31], off offset:1008
	scratch_store_b64 off, v[38:39], off offset:1016
	scratch_store_b64 off, v[40:41], off offset:1024
	s_clause 0x3
	global_load_b128 v[26:29], v[32:33], off
	global_load_b128 v[42:45], v[51:52], off
	;; [unrolled: 1-line block ×4, first 2 shown]
	s_clause 0x1
	scratch_store_b64 off, v[51:52], off offset:1032
	scratch_store_b64 off, v[53:54], off offset:1040
	v_ashrrev_i32_e32 v51, 31, v50
	s_clause 0x1
	global_load_b128 v[38:41], v[40:41], off
	global_load_b128 v[134:137], v[53:54], off
	v_lshlrev_b64 v[1:2], 4, v[48:49]
	v_add_nc_u32_e32 v86, s3, v82
	s_clause 0x1
	global_load_b128 v[138:141], v[68:69], off
	global_load_b128 v[142:145], v[70:71], off
	v_ashrrev_i32_e32 v75, 31, v74
	v_lshlrev_b64 v[49:50], 4, v[50:51]
	v_ashrrev_i32_e32 v77, 31, v76
	v_add_co_u32 v72, vcc_lo, s4, v1
	v_add_nc_u32_e32 v88, s3, v86
	v_add_co_ci_u32_e32 v73, vcc_lo, s5, v2, vcc_lo
	v_lshlrev_b64 v[1:2], 4, v[74:75]
	v_add_co_u32 v74, vcc_lo, s4, v49
	v_ashrrev_i32_e32 v12, 31, v11
	v_add_nc_u32_e32 v90, s3, v88
	v_add_co_ci_u32_e32 v75, vcc_lo, s5, v50, vcc_lo
	v_lshlrev_b64 v[80:81], 4, v[76:77]
	v_add_co_u32 v76, vcc_lo, s4, v1
	v_ashrrev_i32_e32 v83, 31, v82
	s_clause 0x1
	global_load_b128 v[146:149], v[72:73], off
	global_load_b128 v[150:153], v[74:75], off
	v_add_co_ci_u32_e32 v77, vcc_lo, s5, v2, vcc_lo
	v_lshlrev_b64 v[1:2], 4, v[11:12]
	v_add_nc_u32_e32 v92, s3, v90
	v_add_co_u32 v80, vcc_lo, s4, v80
	v_lshlrev_b64 v[82:83], 4, v[82:83]
	v_ashrrev_i32_e32 v87, 31, v86
	v_add_co_ci_u32_e32 v81, vcc_lo, s5, v81, vcc_lo
	v_add_nc_u32_e32 v48, s3, v92
	v_add_co_u32 v84, vcc_lo, s4, v1
	v_ashrrev_i32_e32 v89, 31, v88
	v_add_co_ci_u32_e32 v85, vcc_lo, s5, v2, vcc_lo
	v_lshlrev_b64 v[1:2], 4, v[86:87]
	v_add_co_u32 v51, vcc_lo, s4, v82
	v_ashrrev_i32_e32 v91, 31, v90
	v_add_nc_u32_e32 v94, s3, v48
	v_add_co_ci_u32_e32 v52, vcc_lo, s5, v83, vcc_lo
	v_lshlrev_b64 v[82:83], 4, v[88:89]
	v_ashrrev_i32_e32 v93, 31, v92
	v_add_co_u32 v254, vcc_lo, s4, v1
	v_lshlrev_b64 v[88:89], 4, v[90:91]
	v_ashrrev_i32_e32 v49, 31, v48
	v_add_nc_u32_e32 v96, s3, v94
	s_clause 0x1
	global_load_b128 v[154:157], v[76:77], off
	global_load_b128 v[158:161], v[80:81], off
	v_add_co_ci_u32_e32 v255, vcc_lo, s5, v2, vcc_lo
	v_add_co_u32 v53, vcc_lo, s4, v82
	v_lshlrev_b64 v[90:91], 4, v[92:93]
	v_add_co_ci_u32_e32 v54, vcc_lo, s5, v83, vcc_lo
	v_add_co_u32 v88, vcc_lo, s4, v88
	v_lshlrev_b64 v[48:49], 4, v[48:49]
	v_ashrrev_i32_e32 v95, 31, v94
	v_add_nc_u32_e32 v98, s3, v96
	v_add_co_ci_u32_e32 v89, vcc_lo, s5, v89, vcc_lo
	v_add_co_u32 v90, vcc_lo, s4, v90
	v_ashrrev_i32_e32 v97, 31, v96
	v_add_co_ci_u32_e32 v91, vcc_lo, s5, v91, vcc_lo
	v_lshlrev_b64 v[94:95], 4, v[94:95]
	v_add_nc_u32_e32 v50, s3, v98
	v_add_co_u32 v92, vcc_lo, s4, v48
	v_add_co_ci_u32_e32 v93, vcc_lo, s5, v49, vcc_lo
	v_lshlrev_b64 v[48:49], 4, v[96:97]
	v_ashrrev_i32_e32 v99, 31, v98
	s_clause 0x1
	scratch_store_b64 off, v[51:52], off offset:1048
	scratch_store_b64 off, v[53:54], off offset:1056
	s_clause 0x1
	global_load_b128 v[167:170], v[51:52], off
	global_load_b128 v[175:178], v[53:54], off
	v_add_co_u32 v94, vcc_lo, s4, v94
	v_ashrrev_i32_e32 v51, 31, v50
	s_clause 0x1
	global_load_b128 v[162:165], v[84:85], off
	global_load_b128 v[179:182], v[88:89], off
	v_add_co_ci_u32_e32 v95, vcc_lo, s5, v95, vcc_lo
	v_lshlrev_b64 v[98:99], 4, v[98:99]
	v_add_co_u32 v96, vcc_lo, s4, v48
	v_add_nc_u32_e32 v102, s3, v50
	v_add_co_ci_u32_e32 v97, vcc_lo, s5, v49, vcc_lo
	v_lshlrev_b64 v[49:50], 4, v[50:51]
	v_add_co_u32 v98, vcc_lo, s4, v98
	v_add_co_ci_u32_e32 v99, vcc_lo, s5, v99, vcc_lo
	global_load_b128 v[171:174], v[254:255], off
	v_add_co_u32 v100, vcc_lo, s4, v49
	s_clause 0x4
	global_load_b128 v[183:186], v[90:91], off
	global_load_b128 v[187:190], v[92:93], off
	;; [unrolled: 1-line block ×5, first 2 shown]
	v_add_co_ci_u32_e32 v101, vcc_lo, s5, v50, vcc_lo
	v_add_nc_u32_e32 v11, s3, v102
	v_ashrrev_i32_e32 v103, 31, v102
	s_movk_i32 s2, 0x50
	global_load_b128 v[203:206], v[100:101], off
	s_movk_i32 s12, 0x90
	v_add_nc_u32_e32 v104, s3, v11
	v_ashrrev_i32_e32 v12, 31, v11
	v_lshlrev_b64 v[102:103], 4, v[102:103]
	s_movk_i32 s13, 0xa0
	s_movk_i32 s16, 0xb0
	v_add_nc_u32_e32 v108, s3, v104
	v_ashrrev_i32_e32 v105, 31, v104
	v_lshlrev_b64 v[11:12], 4, v[11:12]
	v_add_co_u32 v102, vcc_lo, s4, v102
	s_delay_alu instid0(VALU_DEP_4) | instskip(NEXT) | instid1(VALU_DEP_4)
	v_add_nc_u32_e32 v86, s3, v108
	v_lshlrev_b64 v[104:105], 4, v[104:105]
	v_ashrrev_i32_e32 v109, 31, v108
	v_add_co_ci_u32_e32 v103, vcc_lo, s5, v103, vcc_lo
	s_delay_alu instid0(VALU_DEP_4)
	v_add_nc_u32_e32 v112, s3, v86
	v_add_co_u32 v106, vcc_lo, s4, v11
	global_load_b128 v[207:210], v[102:103], off
	v_add_co_ci_u32_e32 v107, vcc_lo, s5, v12, vcc_lo
	v_add_nc_u32_e32 v1, s3, v112
	v_lshlrev_b64 v[11:12], 4, v[108:109]
	v_ashrrev_i32_e32 v87, 31, v86
	v_add_co_u32 v108, vcc_lo, s4, v104
	s_delay_alu instid0(VALU_DEP_4) | instskip(SKIP_1) | instid1(VALU_DEP_4)
	v_add_nc_u32_e32 v82, s3, v1
	v_add_co_ci_u32_e32 v109, vcc_lo, s5, v105, vcc_lo
	v_lshlrev_b64 v[86:87], 4, v[86:87]
	v_ashrrev_i32_e32 v113, 31, v112
	s_delay_alu instid0(VALU_DEP_4)
	v_add_nc_u32_e32 v48, s3, v82
	v_ashrrev_i32_e32 v2, 31, v1
	v_ashrrev_i32_e32 v83, 31, v82
	s_clause 0x1
	global_load_b128 v[211:214], v[106:107], off
	global_load_b128 v[226:229], v[108:109], off
	s_movk_i32 s17, 0xc0
	v_add_nc_u32_e32 v120, s3, v48
	v_ashrrev_i32_e32 v49, 31, v48
	v_lshlrev_b64 v[82:83], 4, v[82:83]
	s_movk_i32 s37, 0x1f0
	s_movk_i32 s38, 0x200
	v_add_nc_u32_e32 v122, s3, v120
	v_lshlrev_b64 v[48:49], 4, v[48:49]
	v_ashrrev_i32_e32 v121, 31, v120
	s_movk_i32 s39, 0x210
	s_movk_i32 s40, 0x220
	v_add_nc_u32_e32 v124, s3, v122
	v_ashrrev_i32_e32 v123, 31, v122
	s_movk_i32 s41, 0x230
	s_movk_i32 s42, 0x240
	s_movk_i32 s43, 0x250
	v_add_nc_u32_e32 v126, s3, v124
	v_ashrrev_i32_e32 v125, 31, v124
	s_movk_i32 s44, 0x260
	;; [unrolled: 5-line block ×9, first 2 shown]
	v_add_nc_u32_e64 v225, 0, 16
	s_bitcmp0_b32 s15, 0
	v_add_nc_u32_e32 v221, s3, v219
	v_ashrrev_i32_e32 v220, 31, v219
	s_delay_alu instid0(VALU_DEP_2) | instskip(SKIP_1) | instid1(VALU_DEP_2)
	v_add_nc_u32_e32 v78, s3, v221
	v_ashrrev_i32_e32 v222, 31, v221
	v_add_nc_u32_e32 v223, s3, v78
	v_ashrrev_i32_e32 v79, 31, v78
	s_delay_alu instid0(VALU_DEP_2) | instskip(SKIP_1) | instid1(VALU_DEP_2)
	v_add_nc_u32_e32 v52, s3, v223
	v_ashrrev_i32_e32 v224, 31, v223
	;; [unrolled: 5-line block ×5, first 2 shown]
	v_add_nc_u32_e32 v66, s3, v64
	v_ashrrev_i32_e32 v65, 31, v64
	s_delay_alu instid0(VALU_DEP_2) | instskip(SKIP_2) | instid1(VALU_DEP_2)
	v_add_nc_u32_e32 v110, s3, v66
	v_ashrrev_i32_e32 v67, 31, v66
	s_movk_i32 s3, 0x60
	v_ashrrev_i32_e32 v111, 31, v110
	s_delay_alu instid0(VALU_DEP_1) | instskip(SKIP_3) | instid1(VALU_DEP_4)
	v_lshlrev_b64 v[104:105], 4, v[110:111]
	v_add_co_u32 v110, vcc_lo, s4, v11
	v_add_co_ci_u32_e32 v111, vcc_lo, s5, v12, vcc_lo
	v_lshlrev_b64 v[11:12], 4, v[112:113]
	v_add_co_u32 v104, vcc_lo, s4, v104
	v_add_co_ci_u32_e32 v105, vcc_lo, s5, v105, vcc_lo
	v_add_co_u32 v112, vcc_lo, s4, v86
	v_add_co_ci_u32_e32 v113, vcc_lo, s5, v87, vcc_lo
	v_lshlrev_b64 v[86:87], 4, v[1:2]
	v_add_co_u32 v114, vcc_lo, s4, v11
	v_add_co_ci_u32_e32 v115, vcc_lo, s5, v12, vcc_lo
	global_load_b128 v[230:233], v[104:105], off
	v_add_co_u32 v116, vcc_lo, s4, v86
	v_add_co_ci_u32_e32 v117, vcc_lo, s5, v87, vcc_lo
	v_add_co_u32 v118, vcc_lo, s4, v82
	v_add_co_ci_u32_e32 v119, vcc_lo, s5, v83, vcc_lo
	v_lshlrev_b64 v[82:83], 4, v[120:121]
	v_add_co_u32 v120, vcc_lo, s4, v48
	v_add_co_ci_u32_e32 v121, vcc_lo, s5, v49, vcc_lo
	v_lshlrev_b64 v[48:49], 4, v[122:123]
	s_delay_alu instid0(VALU_DEP_4) | instskip(SKIP_2) | instid1(VALU_DEP_4)
	v_add_co_u32 v122, vcc_lo, s4, v82
	v_add_co_ci_u32_e32 v123, vcc_lo, s5, v83, vcc_lo
	v_lshlrev_b64 v[82:83], 4, v[124:125]
	v_add_co_u32 v124, vcc_lo, s4, v48
	v_add_co_ci_u32_e32 v125, vcc_lo, s5, v49, vcc_lo
	v_lshlrev_b64 v[48:49], 4, v[126:127]
	s_delay_alu instid0(VALU_DEP_4) | instskip(SKIP_2) | instid1(VALU_DEP_4)
	v_add_co_u32 v126, vcc_lo, s4, v82
	v_add_co_ci_u32_e32 v127, vcc_lo, s5, v83, vcc_lo
	v_lshlrev_b64 v[82:83], 4, v[128:129]
	v_add_co_u32 v128, vcc_lo, s4, v48
	v_add_co_ci_u32_e32 v129, vcc_lo, s5, v49, vcc_lo
	v_lshlrev_b64 v[48:49], 4, v[130:131]
	s_delay_alu instid0(VALU_DEP_4)
	v_add_co_u32 v130, vcc_lo, s4, v82
	v_add_co_ci_u32_e32 v131, vcc_lo, s5, v83, vcc_lo
	v_lshlrev_b64 v[82:83], 4, v[132:133]
	s_waitcnt vmcnt(31)
	scratch_store_b128 off, v[3:6], off
	s_waitcnt vmcnt(30)
	scratch_store_b128 off, v[7:10], off offset:16
	v_add_co_u32 v132, vcc_lo, s4, v48
	s_clause 0x1
	global_load_b128 v[1:4], v[110:111], off
	global_load_b128 v[5:8], v[112:113], off
	s_waitcnt vmcnt(31)
	scratch_store_b128 off, v[14:17], off offset:32
	s_waitcnt vmcnt(30)
	scratch_store_b128 off, v[18:21], off offset:48
	s_clause 0x1
	global_load_b128 v[9:12], v[114:115], off
	global_load_b128 v[14:17], v[116:117], off
	s_waitcnt vmcnt(31)
	scratch_store_b128 off, v[22:25], off offset:64
	s_waitcnt vmcnt(30)
	scratch_store_b128 off, v[26:29], off offset:80
	v_add_co_ci_u32_e32 v133, vcc_lo, s5, v49, vcc_lo
	v_lshlrev_b64 v[48:49], 4, v[50:51]
	s_clause 0x1
	global_load_b128 v[18:21], v[118:119], off
	global_load_b128 v[22:25], v[120:121], off
	s_waitcnt vmcnt(30)
	scratch_store_b128 off, v[30:33], off offset:96
	s_waitcnt vmcnt(29)
	scratch_store_b128 off, v[34:37], off offset:112
	s_clause 0x1
	global_load_b128 v[26:29], v[122:123], off
	global_load_b128 v[30:33], v[124:125], off
	s_waitcnt vmcnt(30)
	s_clause 0x1
	scratch_store_b128 off, v[38:41], off offset:128
	scratch_store_b128 off, v[42:45], off offset:144
	s_clause 0x1
	global_load_b128 v[34:37], v[126:127], off
	global_load_b128 v[38:41], v[128:129], off
	s_waitcnt vmcnt(31)
	scratch_store_b128 off, v[134:137], off offset:160
	s_waitcnt vmcnt(30)
	scratch_store_b128 off, v[138:141], off offset:176
	v_add_co_u32 v134, vcc_lo, s4, v82
	v_lshlrev_b64 v[50:51], 4, v[215:216]
	v_add_co_ci_u32_e32 v135, vcc_lo, s5, v83, vcc_lo
	v_add_co_u32 v136, vcc_lo, s4, v48
	v_add_co_ci_u32_e32 v137, vcc_lo, s5, v49, vcc_lo
	v_lshlrev_b64 v[48:49], 4, v[217:218]
	v_add_co_u32 v138, vcc_lo, s4, v50
	v_add_co_ci_u32_e32 v139, vcc_lo, s5, v51, vcc_lo
	v_lshlrev_b64 v[50:51], 4, v[219:220]
	s_delay_alu instid0(VALU_DEP_4)
	v_add_co_u32 v140, vcc_lo, s4, v48
	v_add_co_ci_u32_e32 v141, vcc_lo, s5, v49, vcc_lo
	v_lshlrev_b64 v[48:49], 4, v[221:222]
	s_clause 0x1
	global_load_b128 v[42:45], v[130:131], off
	global_load_b128 v[234:237], v[132:133], off
	s_waitcnt vmcnt(31)
	scratch_store_b128 off, v[142:145], off offset:192
	s_waitcnt vmcnt(30)
	scratch_store_b128 off, v[146:149], off offset:208
	v_add_co_u32 v142, vcc_lo, s4, v50
	v_add_co_ci_u32_e32 v143, vcc_lo, s5, v51, vcc_lo
	v_lshlrev_b64 v[50:51], 4, v[78:79]
	v_add_co_u32 v144, vcc_lo, s4, v48
	v_add_co_ci_u32_e32 v145, vcc_lo, s5, v49, vcc_lo
	v_lshlrev_b64 v[48:49], 4, v[223:224]
	s_delay_alu instid0(VALU_DEP_4) | instskip(SKIP_2) | instid1(VALU_DEP_4)
	v_add_co_u32 v146, vcc_lo, s4, v50
	v_add_co_ci_u32_e32 v147, vcc_lo, s5, v51, vcc_lo
	v_lshlrev_b64 v[50:51], 4, v[52:53]
	v_add_co_u32 v148, vcc_lo, s4, v48
	v_add_co_ci_u32_e32 v149, vcc_lo, s5, v49, vcc_lo
	v_lshlrev_b64 v[48:49], 4, v[54:55]
	s_clause 0x1
	global_load_b128 v[238:241], v[134:135], off
	global_load_b128 v[242:245], v[136:137], off
	s_waitcnt vmcnt(31)
	scratch_store_b128 off, v[150:153], off offset:224
	s_waitcnt vmcnt(30)
	scratch_store_b128 off, v[154:157], off offset:240
	v_add_co_u32 v150, vcc_lo, s4, v50
	v_add_co_ci_u32_e32 v151, vcc_lo, s5, v51, vcc_lo
	v_lshlrev_b64 v[50:51], 4, v[56:57]
	v_add_co_u32 v152, vcc_lo, s4, v48
	v_add_co_ci_u32_e32 v153, vcc_lo, s5, v49, vcc_lo
	v_lshlrev_b64 v[48:49], 4, v[58:59]
	s_delay_alu instid0(VALU_DEP_4) | instskip(SKIP_2) | instid1(VALU_DEP_4)
	v_add_co_u32 v154, vcc_lo, s4, v50
	v_add_co_ci_u32_e32 v155, vcc_lo, s5, v51, vcc_lo
	v_lshlrev_b64 v[50:51], 4, v[60:61]
	v_add_co_u32 v156, vcc_lo, s4, v48
	v_add_co_ci_u32_e32 v157, vcc_lo, s5, v49, vcc_lo
	v_lshlrev_b64 v[48:49], 4, v[62:63]
	s_clause 0x1
	global_load_b128 v[246:249], v[138:139], off
	global_load_b128 v[250:253], v[140:141], off
	s_waitcnt vmcnt(31)
	scratch_store_b128 off, v[158:161], off offset:256
	s_waitcnt vmcnt(28)
	scratch_store_b128 off, v[162:165], off offset:272
	v_add_co_u32 v158, vcc_lo, s4, v50
	v_add_co_ci_u32_e32 v159, vcc_lo, s5, v51, vcc_lo
	v_lshlrev_b64 v[50:51], 4, v[64:65]
	v_add_co_u32 v160, vcc_lo, s4, v48
	v_lshlrev_b64 v[52:53], 4, v[66:67]
	v_add_co_ci_u32_e32 v161, vcc_lo, s5, v49, vcc_lo
	s_delay_alu instid0(VALU_DEP_4)
	v_add_co_u32 v162, vcc_lo, s4, v50
	s_clause 0x1
	global_load_b128 v[215:218], v[142:143], off
	global_load_b128 v[219:222], v[144:145], off
	scratch_store_b128 off, v[167:170], off offset:288
	s_waitcnt vmcnt(28)
	scratch_store_b128 off, v[171:174], off offset:304
	v_add_co_ci_u32_e32 v163, vcc_lo, s5, v51, vcc_lo
	s_clause 0x1
	global_load_b128 v[167:170], v[146:147], off
	global_load_b128 v[171:174], v[148:149], off
	s_clause 0x1
	scratch_store_b128 off, v[175:178], off offset:320
	scratch_store_b128 off, v[179:182], off offset:336
	v_add_co_u32 v164, vcc_lo, s4, v52
	s_clause 0x1
	global_load_b128 v[175:178], v[150:151], off
	global_load_b128 v[179:182], v[152:153], off
	s_waitcnt vmcnt(31)
	scratch_store_b128 off, v[183:186], off offset:352
	s_waitcnt vmcnt(30)
	scratch_store_b128 off, v[187:190], off offset:368
	;; [unrolled: 2-line block ×5, first 2 shown]
	s_clause 0x4
	global_load_b128 v[188:191], v[154:155], off
	global_load_b128 v[192:195], v[156:157], off
	;; [unrolled: 1-line block ×5, first 2 shown]
	v_add_co_ci_u32_e32 v165, vcc_lo, s5, v53, vcc_lo
	s_waitcnt vmcnt(31)
	scratch_store_b128 off, v[203:206], off offset:432
	s_movk_i32 s4, 0x70
	s_movk_i32 s5, 0x80
	global_load_b128 v[201:204], v[164:165], off
	v_add_nc_u32_e64 v200, 0, 32
	v_add_nc_u32_e64 v206, 0, 48
	;; [unrolled: 1-line block ×12, first 2 shown]
	s_waitcnt vmcnt(31)
	scratch_store_b128 off, v[207:210], off offset:448
	v_add_nc_u32_e64 v210, s3, 0
	v_add_nc_u32_e64 v209, s4, 0
	;; [unrolled: 1-line block ×14, first 2 shown]
	s_waitcnt vmcnt(30)
	scratch_store_b128 off, v[211:214], off offset:464
	s_waitcnt vmcnt(29)
	scratch_store_b128 off, v[226:229], off offset:480
	v_add_nc_u32_e64 v211, s12, 0
	v_add_nc_u32_e64 v227, s16, 0
	;; [unrolled: 1-line block ×12, first 2 shown]
	s_mov_b32 s3, -1
	s_waitcnt vmcnt(27)
	scratch_store_b128 off, v[1:4], off offset:496
	s_waitcnt vmcnt(26)
	scratch_store_b128 off, v[5:8], off offset:512
	v_add_nc_u32_e64 v1, s21, 0
	s_waitcnt vmcnt(25)
	scratch_store_b128 off, v[9:12], off offset:528
	s_waitcnt vmcnt(24)
	s_clause 0x1
	scratch_store_b128 off, v[14:17], off offset:544
	scratch_store_b32 off, v1, off offset:964
	v_add_nc_u32_e64 v1, s24, 0
	s_waitcnt vmcnt(23)
	scratch_store_b128 off, v[18:21], off offset:560
	s_waitcnt vmcnt(22)
	scratch_store_b128 off, v[22:25], off offset:576
	v_add_nc_u32_e64 v25, s41, 0
	v_add_nc_u32_e64 v24, s42, 0
	scratch_store_b32 off, v1, off offset:960 ; 4-byte Folded Spill
	s_waitcnt vmcnt(21)
	scratch_store_b128 off, v[26:29], off offset:592
	v_add_nc_u32_e64 v23, s43, 0
	s_waitcnt vmcnt(20)
	scratch_store_b128 off, v[30:33], off offset:608
	s_waitcnt vmcnt(19)
	scratch_store_b128 off, v[34:37], off offset:624
	;; [unrolled: 2-line block ×20, first 2 shown]
	v_add_nc_u32_e64 v175, s47, 0
	v_add_nc_u32_e64 v197, s48, 0
	;; [unrolled: 1-line block ×15, first 2 shown]
	s_waitcnt vmcnt(0)
	s_clause 0x1
	scratch_store_b128 off, v[201:204], off offset:928
	scratch_store_b128 off, v[230:233], off offset:944
	s_cbranch_scc1 .LBB123_252
; %bb.4:
	v_cmp_eq_u32_e64 s2, 0, v166
	s_delay_alu instid0(VALU_DEP_1)
	s_and_saveexec_b32 s3, s2
	s_cbranch_execz .LBB123_6
; %bb.5:
	v_mov_b32_e32 v1, 0
	ds_store_b32 v1, v1 offset:1920
.LBB123_6:
	s_or_b32 exec_lo, exec_lo, s3
	s_waitcnt lgkmcnt(0)
	s_waitcnt_vscnt null, 0x0
	s_barrier
	buffer_gl0_inv
	scratch_load_b128 v[1:4], v13, off
	s_waitcnt vmcnt(0)
	v_cmp_eq_f64_e32 vcc_lo, 0, v[1:2]
	v_cmp_eq_f64_e64 s3, 0, v[3:4]
	s_delay_alu instid0(VALU_DEP_1) | instskip(NEXT) | instid1(SALU_CYCLE_1)
	s_and_b32 s3, vcc_lo, s3
	s_and_saveexec_b32 s4, s3
	s_cbranch_execz .LBB123_10
; %bb.7:
	v_mov_b32_e32 v1, 0
	s_mov_b32 s5, 0
	ds_load_b32 v2, v1 offset:1920
	s_waitcnt lgkmcnt(0)
	v_readfirstlane_b32 s3, v2
	v_add_nc_u32_e32 v2, 1, v166
	s_delay_alu instid0(VALU_DEP_2) | instskip(NEXT) | instid1(VALU_DEP_1)
	s_cmp_eq_u32 s3, 0
	v_cmp_gt_i32_e32 vcc_lo, s3, v2
	s_cselect_b32 s12, -1, 0
	s_delay_alu instid0(SALU_CYCLE_1) | instskip(NEXT) | instid1(SALU_CYCLE_1)
	s_or_b32 s12, s12, vcc_lo
	s_and_b32 exec_lo, exec_lo, s12
	s_cbranch_execz .LBB123_10
; %bb.8:
	v_mov_b32_e32 v3, s3
.LBB123_9:                              ; =>This Inner Loop Header: Depth=1
	ds_cmpstore_rtn_b32 v3, v1, v2, v3 offset:1920
	s_waitcnt lgkmcnt(0)
	v_cmp_ne_u32_e32 vcc_lo, 0, v3
	v_cmp_le_i32_e64 s3, v3, v2
	s_delay_alu instid0(VALU_DEP_1) | instskip(NEXT) | instid1(SALU_CYCLE_1)
	s_and_b32 s3, vcc_lo, s3
	s_and_b32 s3, exec_lo, s3
	s_delay_alu instid0(SALU_CYCLE_1) | instskip(NEXT) | instid1(SALU_CYCLE_1)
	s_or_b32 s5, s3, s5
	s_and_not1_b32 exec_lo, exec_lo, s5
	s_cbranch_execnz .LBB123_9
.LBB123_10:
	s_or_b32 exec_lo, exec_lo, s4
	v_mov_b32_e32 v1, 0
	s_barrier
	buffer_gl0_inv
	ds_load_b32 v2, v1 offset:1920
	s_and_saveexec_b32 s3, s2
	s_cbranch_execz .LBB123_12
; %bb.11:
	s_lshl_b64 s[4:5], s[10:11], 2
	s_delay_alu instid0(SALU_CYCLE_1)
	s_add_u32 s4, s6, s4
	s_addc_u32 s5, s7, s5
	s_waitcnt lgkmcnt(0)
	global_store_b32 v1, v2, s[4:5]
.LBB123_12:
	s_or_b32 exec_lo, exec_lo, s3
	s_waitcnt lgkmcnt(0)
	v_cmp_ne_u32_e32 vcc_lo, 0, v2
	s_mov_b32 s3, 0
	s_cbranch_vccnz .LBB123_252
; %bb.13:
	v_add_nc_u32_e32 v14, 0, v13
                                        ; implicit-def: $vgpr9_vgpr10
	scratch_load_b128 v[1:4], v14, off
	s_waitcnt vmcnt(0)
	v_mov_b32_e32 v5, v1
	v_cmp_gt_f64_e32 vcc_lo, 0, v[1:2]
	v_xor_b32_e32 v6, 0x80000000, v2
	v_xor_b32_e32 v7, 0x80000000, v4
	s_delay_alu instid0(VALU_DEP_2) | instskip(SKIP_1) | instid1(VALU_DEP_3)
	v_cndmask_b32_e32 v6, v2, v6, vcc_lo
	v_cmp_gt_f64_e32 vcc_lo, 0, v[3:4]
	v_dual_cndmask_b32 v8, v4, v7 :: v_dual_mov_b32 v7, v3
	s_delay_alu instid0(VALU_DEP_1) | instskip(SKIP_1) | instid1(SALU_CYCLE_1)
	v_cmp_ngt_f64_e32 vcc_lo, v[5:6], v[7:8]
                                        ; implicit-def: $vgpr5_vgpr6
	s_and_saveexec_b32 s3, vcc_lo
	s_xor_b32 s3, exec_lo, s3
	s_cbranch_execz .LBB123_15
; %bb.14:
	v_div_scale_f64 v[5:6], null, v[3:4], v[3:4], v[1:2]
	v_div_scale_f64 v[11:12], vcc_lo, v[1:2], v[3:4], v[1:2]
	s_delay_alu instid0(VALU_DEP_2) | instskip(SKIP_2) | instid1(VALU_DEP_1)
	v_rcp_f64_e32 v[7:8], v[5:6]
	s_waitcnt_depctr 0xfff
	v_fma_f64 v[9:10], -v[5:6], v[7:8], 1.0
	v_fma_f64 v[7:8], v[7:8], v[9:10], v[7:8]
	s_delay_alu instid0(VALU_DEP_1) | instskip(NEXT) | instid1(VALU_DEP_1)
	v_fma_f64 v[9:10], -v[5:6], v[7:8], 1.0
	v_fma_f64 v[7:8], v[7:8], v[9:10], v[7:8]
	s_delay_alu instid0(VALU_DEP_1) | instskip(NEXT) | instid1(VALU_DEP_1)
	v_mul_f64 v[9:10], v[11:12], v[7:8]
	v_fma_f64 v[5:6], -v[5:6], v[9:10], v[11:12]
	s_delay_alu instid0(VALU_DEP_1) | instskip(NEXT) | instid1(VALU_DEP_1)
	v_div_fmas_f64 v[5:6], v[5:6], v[7:8], v[9:10]
	v_div_fixup_f64 v[5:6], v[5:6], v[3:4], v[1:2]
	s_delay_alu instid0(VALU_DEP_1) | instskip(NEXT) | instid1(VALU_DEP_1)
	v_fma_f64 v[1:2], v[1:2], v[5:6], v[3:4]
	v_div_scale_f64 v[3:4], null, v[1:2], v[1:2], 1.0
	v_div_scale_f64 v[11:12], vcc_lo, 1.0, v[1:2], 1.0
	s_delay_alu instid0(VALU_DEP_2) | instskip(SKIP_2) | instid1(VALU_DEP_1)
	v_rcp_f64_e32 v[7:8], v[3:4]
	s_waitcnt_depctr 0xfff
	v_fma_f64 v[9:10], -v[3:4], v[7:8], 1.0
	v_fma_f64 v[7:8], v[7:8], v[9:10], v[7:8]
	s_delay_alu instid0(VALU_DEP_1) | instskip(NEXT) | instid1(VALU_DEP_1)
	v_fma_f64 v[9:10], -v[3:4], v[7:8], 1.0
	v_fma_f64 v[7:8], v[7:8], v[9:10], v[7:8]
	s_delay_alu instid0(VALU_DEP_1) | instskip(NEXT) | instid1(VALU_DEP_1)
	v_mul_f64 v[9:10], v[11:12], v[7:8]
	v_fma_f64 v[3:4], -v[3:4], v[9:10], v[11:12]
	s_delay_alu instid0(VALU_DEP_1) | instskip(NEXT) | instid1(VALU_DEP_1)
	v_div_fmas_f64 v[3:4], v[3:4], v[7:8], v[9:10]
	v_div_fixup_f64 v[7:8], v[3:4], v[1:2], 1.0
                                        ; implicit-def: $vgpr1_vgpr2
	s_delay_alu instid0(VALU_DEP_1) | instskip(SKIP_1) | instid1(VALU_DEP_2)
	v_mul_f64 v[5:6], v[5:6], v[7:8]
	v_xor_b32_e32 v8, 0x80000000, v8
	v_xor_b32_e32 v10, 0x80000000, v6
	s_delay_alu instid0(VALU_DEP_3)
	v_mov_b32_e32 v9, v5
.LBB123_15:
	s_and_not1_saveexec_b32 s3, s3
	s_cbranch_execz .LBB123_17
; %bb.16:
	v_div_scale_f64 v[5:6], null, v[1:2], v[1:2], v[3:4]
	v_div_scale_f64 v[11:12], vcc_lo, v[3:4], v[1:2], v[3:4]
	s_delay_alu instid0(VALU_DEP_2) | instskip(SKIP_2) | instid1(VALU_DEP_1)
	v_rcp_f64_e32 v[7:8], v[5:6]
	s_waitcnt_depctr 0xfff
	v_fma_f64 v[9:10], -v[5:6], v[7:8], 1.0
	v_fma_f64 v[7:8], v[7:8], v[9:10], v[7:8]
	s_delay_alu instid0(VALU_DEP_1) | instskip(NEXT) | instid1(VALU_DEP_1)
	v_fma_f64 v[9:10], -v[5:6], v[7:8], 1.0
	v_fma_f64 v[7:8], v[7:8], v[9:10], v[7:8]
	s_delay_alu instid0(VALU_DEP_1) | instskip(NEXT) | instid1(VALU_DEP_1)
	v_mul_f64 v[9:10], v[11:12], v[7:8]
	v_fma_f64 v[5:6], -v[5:6], v[9:10], v[11:12]
	s_delay_alu instid0(VALU_DEP_1) | instskip(NEXT) | instid1(VALU_DEP_1)
	v_div_fmas_f64 v[5:6], v[5:6], v[7:8], v[9:10]
	v_div_fixup_f64 v[7:8], v[5:6], v[1:2], v[3:4]
	s_delay_alu instid0(VALU_DEP_1) | instskip(NEXT) | instid1(VALU_DEP_1)
	v_fma_f64 v[1:2], v[3:4], v[7:8], v[1:2]
	v_div_scale_f64 v[3:4], null, v[1:2], v[1:2], 1.0
	s_delay_alu instid0(VALU_DEP_1) | instskip(SKIP_2) | instid1(VALU_DEP_1)
	v_rcp_f64_e32 v[5:6], v[3:4]
	s_waitcnt_depctr 0xfff
	v_fma_f64 v[9:10], -v[3:4], v[5:6], 1.0
	v_fma_f64 v[5:6], v[5:6], v[9:10], v[5:6]
	s_delay_alu instid0(VALU_DEP_1) | instskip(NEXT) | instid1(VALU_DEP_1)
	v_fma_f64 v[9:10], -v[3:4], v[5:6], 1.0
	v_fma_f64 v[5:6], v[5:6], v[9:10], v[5:6]
	v_div_scale_f64 v[9:10], vcc_lo, 1.0, v[1:2], 1.0
	s_delay_alu instid0(VALU_DEP_1) | instskip(NEXT) | instid1(VALU_DEP_1)
	v_mul_f64 v[11:12], v[9:10], v[5:6]
	v_fma_f64 v[3:4], -v[3:4], v[11:12], v[9:10]
	s_delay_alu instid0(VALU_DEP_1) | instskip(NEXT) | instid1(VALU_DEP_1)
	v_div_fmas_f64 v[3:4], v[3:4], v[5:6], v[11:12]
	v_div_fixup_f64 v[5:6], v[3:4], v[1:2], 1.0
	s_delay_alu instid0(VALU_DEP_1)
	v_mul_f64 v[7:8], v[7:8], -v[5:6]
	v_xor_b32_e32 v10, 0x80000000, v6
	v_mov_b32_e32 v9, v5
.LBB123_17:
	s_or_b32 exec_lo, exec_lo, s3
	scratch_store_b128 v14, v[5:8], off
	scratch_load_b128 v[1:4], v225, off
	v_xor_b32_e32 v12, 0x80000000, v8
	v_mov_b32_e32 v11, v7
	v_add_nc_u32_e32 v5, 0x3c0, v13
	ds_store_b128 v13, v[9:12]
	s_waitcnt vmcnt(0)
	ds_store_b128 v13, v[1:4] offset:960
	s_waitcnt lgkmcnt(0)
	s_waitcnt_vscnt null, 0x0
	s_barrier
	buffer_gl0_inv
	s_and_saveexec_b32 s3, s2
	s_cbranch_execz .LBB123_19
; %bb.18:
	scratch_load_b128 v[1:4], v14, off
	ds_load_b128 v[6:9], v5
	v_mov_b32_e32 v10, 0
	ds_load_b128 v[15:18], v10 offset:16
	s_waitcnt vmcnt(0) lgkmcnt(1)
	v_mul_f64 v[10:11], v[6:7], v[3:4]
	v_mul_f64 v[3:4], v[8:9], v[3:4]
	s_delay_alu instid0(VALU_DEP_2) | instskip(NEXT) | instid1(VALU_DEP_2)
	v_fma_f64 v[8:9], v[8:9], v[1:2], v[10:11]
	v_fma_f64 v[1:2], v[6:7], v[1:2], -v[3:4]
	s_delay_alu instid0(VALU_DEP_2) | instskip(NEXT) | instid1(VALU_DEP_2)
	v_add_f64 v[3:4], v[8:9], 0
	v_add_f64 v[1:2], v[1:2], 0
	s_waitcnt lgkmcnt(0)
	s_delay_alu instid0(VALU_DEP_2) | instskip(NEXT) | instid1(VALU_DEP_2)
	v_mul_f64 v[6:7], v[3:4], v[17:18]
	v_mul_f64 v[8:9], v[1:2], v[17:18]
	s_delay_alu instid0(VALU_DEP_2) | instskip(NEXT) | instid1(VALU_DEP_2)
	v_fma_f64 v[1:2], v[1:2], v[15:16], -v[6:7]
	v_fma_f64 v[3:4], v[3:4], v[15:16], v[8:9]
	scratch_store_b128 off, v[1:4], off offset:16
.LBB123_19:
	s_or_b32 exec_lo, exec_lo, s3
	s_waitcnt_vscnt null, 0x0
	s_barrier
	buffer_gl0_inv
	scratch_load_b128 v[1:4], v200, off
	s_mov_b32 s3, exec_lo
	s_waitcnt vmcnt(0)
	ds_store_b128 v5, v[1:4]
	s_waitcnt lgkmcnt(0)
	s_barrier
	buffer_gl0_inv
	v_cmpx_gt_u32_e32 2, v166
	s_cbranch_execz .LBB123_23
; %bb.20:
	scratch_load_b128 v[1:4], v14, off
	ds_load_b128 v[6:9], v5
	s_waitcnt vmcnt(0) lgkmcnt(0)
	v_mul_f64 v[10:11], v[8:9], v[3:4]
	v_mul_f64 v[3:4], v[6:7], v[3:4]
	s_delay_alu instid0(VALU_DEP_2) | instskip(NEXT) | instid1(VALU_DEP_2)
	v_fma_f64 v[6:7], v[6:7], v[1:2], -v[10:11]
	v_fma_f64 v[3:4], v[8:9], v[1:2], v[3:4]
	s_delay_alu instid0(VALU_DEP_2) | instskip(NEXT) | instid1(VALU_DEP_2)
	v_add_f64 v[1:2], v[6:7], 0
	v_add_f64 v[3:4], v[3:4], 0
	s_and_saveexec_b32 s4, s2
	s_cbranch_execz .LBB123_22
; %bb.21:
	scratch_load_b128 v[6:9], off, off offset:16
	v_mov_b32_e32 v10, 0
	ds_load_b128 v[15:18], v10 offset:976
	s_waitcnt vmcnt(0) lgkmcnt(0)
	v_mul_f64 v[10:11], v[15:16], v[8:9]
	v_mul_f64 v[8:9], v[17:18], v[8:9]
	s_delay_alu instid0(VALU_DEP_2) | instskip(NEXT) | instid1(VALU_DEP_2)
	v_fma_f64 v[10:11], v[17:18], v[6:7], v[10:11]
	v_fma_f64 v[6:7], v[15:16], v[6:7], -v[8:9]
	s_delay_alu instid0(VALU_DEP_2) | instskip(NEXT) | instid1(VALU_DEP_2)
	v_add_f64 v[3:4], v[3:4], v[10:11]
	v_add_f64 v[1:2], v[1:2], v[6:7]
.LBB123_22:
	s_or_b32 exec_lo, exec_lo, s4
	v_mov_b32_e32 v6, 0
	ds_load_b128 v[6:9], v6 offset:32
	s_waitcnt lgkmcnt(0)
	v_mul_f64 v[10:11], v[3:4], v[8:9]
	v_mul_f64 v[8:9], v[1:2], v[8:9]
	s_delay_alu instid0(VALU_DEP_2) | instskip(NEXT) | instid1(VALU_DEP_2)
	v_fma_f64 v[1:2], v[1:2], v[6:7], -v[10:11]
	v_fma_f64 v[3:4], v[3:4], v[6:7], v[8:9]
	scratch_store_b128 off, v[1:4], off offset:32
.LBB123_23:
	s_or_b32 exec_lo, exec_lo, s3
	s_waitcnt_vscnt null, 0x0
	s_barrier
	buffer_gl0_inv
	scratch_load_b128 v[1:4], v206, off
	v_add_nc_u32_e32 v6, -1, v166
	s_mov_b32 s2, exec_lo
	s_waitcnt vmcnt(0)
	ds_store_b128 v5, v[1:4]
	s_waitcnt lgkmcnt(0)
	s_barrier
	buffer_gl0_inv
	v_cmpx_gt_u32_e32 3, v166
	s_cbranch_execz .LBB123_27
; %bb.24:
	v_dual_mov_b32 v1, 0 :: v_dual_add_nc_u32 v8, 0x3c0, v13
	v_dual_mov_b32 v2, 0 :: v_dual_add_nc_u32 v7, -1, v166
	v_or_b32_e32 v9, 8, v14
	s_mov_b32 s3, 0
	s_delay_alu instid0(VALU_DEP_2)
	v_dual_mov_b32 v4, v2 :: v_dual_mov_b32 v3, v1
	.p2align	6
.LBB123_25:                             ; =>This Inner Loop Header: Depth=1
	scratch_load_b128 v[15:18], v9, off offset:-8
	ds_load_b128 v[19:22], v8
	v_add_nc_u32_e32 v7, 1, v7
	v_add_nc_u32_e32 v8, 16, v8
	;; [unrolled: 1-line block ×3, first 2 shown]
	s_delay_alu instid0(VALU_DEP_3) | instskip(SKIP_4) | instid1(VALU_DEP_2)
	v_cmp_lt_u32_e32 vcc_lo, 1, v7
	s_or_b32 s3, vcc_lo, s3
	s_waitcnt vmcnt(0) lgkmcnt(0)
	v_mul_f64 v[10:11], v[21:22], v[17:18]
	v_mul_f64 v[17:18], v[19:20], v[17:18]
	v_fma_f64 v[10:11], v[19:20], v[15:16], -v[10:11]
	s_delay_alu instid0(VALU_DEP_2) | instskip(NEXT) | instid1(VALU_DEP_2)
	v_fma_f64 v[15:16], v[21:22], v[15:16], v[17:18]
	v_add_f64 v[3:4], v[3:4], v[10:11]
	s_delay_alu instid0(VALU_DEP_2)
	v_add_f64 v[1:2], v[1:2], v[15:16]
	s_and_not1_b32 exec_lo, exec_lo, s3
	s_cbranch_execnz .LBB123_25
; %bb.26:
	s_or_b32 exec_lo, exec_lo, s3
	v_mov_b32_e32 v7, 0
	ds_load_b128 v[7:10], v7 offset:48
	s_waitcnt lgkmcnt(0)
	v_mul_f64 v[11:12], v[1:2], v[9:10]
	v_mul_f64 v[15:16], v[3:4], v[9:10]
	s_delay_alu instid0(VALU_DEP_2) | instskip(NEXT) | instid1(VALU_DEP_2)
	v_fma_f64 v[9:10], v[3:4], v[7:8], -v[11:12]
	v_fma_f64 v[11:12], v[1:2], v[7:8], v[15:16]
	scratch_store_b128 off, v[9:12], off offset:48
.LBB123_27:
	s_or_b32 exec_lo, exec_lo, s2
	s_waitcnt_vscnt null, 0x0
	s_barrier
	buffer_gl0_inv
	scratch_load_b128 v[1:4], v187, off
	s_mov_b32 s2, exec_lo
	s_waitcnt vmcnt(0)
	ds_store_b128 v5, v[1:4]
	s_waitcnt lgkmcnt(0)
	s_barrier
	buffer_gl0_inv
	v_cmpx_gt_u32_e32 4, v166
	s_cbranch_execz .LBB123_31
; %bb.28:
	v_dual_mov_b32 v1, 0 :: v_dual_add_nc_u32 v8, 0x3c0, v13
	v_dual_mov_b32 v2, 0 :: v_dual_add_nc_u32 v7, -1, v166
	v_or_b32_e32 v9, 8, v14
	s_mov_b32 s3, 0
	s_delay_alu instid0(VALU_DEP_2)
	v_dual_mov_b32 v4, v2 :: v_dual_mov_b32 v3, v1
	.p2align	6
.LBB123_29:                             ; =>This Inner Loop Header: Depth=1
	scratch_load_b128 v[15:18], v9, off offset:-8
	ds_load_b128 v[19:22], v8
	v_add_nc_u32_e32 v7, 1, v7
	v_add_nc_u32_e32 v8, 16, v8
	;; [unrolled: 1-line block ×3, first 2 shown]
	s_delay_alu instid0(VALU_DEP_3) | instskip(SKIP_4) | instid1(VALU_DEP_2)
	v_cmp_lt_u32_e32 vcc_lo, 2, v7
	s_or_b32 s3, vcc_lo, s3
	s_waitcnt vmcnt(0) lgkmcnt(0)
	v_mul_f64 v[10:11], v[21:22], v[17:18]
	v_mul_f64 v[17:18], v[19:20], v[17:18]
	v_fma_f64 v[10:11], v[19:20], v[15:16], -v[10:11]
	s_delay_alu instid0(VALU_DEP_2) | instskip(NEXT) | instid1(VALU_DEP_2)
	v_fma_f64 v[15:16], v[21:22], v[15:16], v[17:18]
	v_add_f64 v[3:4], v[3:4], v[10:11]
	s_delay_alu instid0(VALU_DEP_2)
	v_add_f64 v[1:2], v[1:2], v[15:16]
	s_and_not1_b32 exec_lo, exec_lo, s3
	s_cbranch_execnz .LBB123_29
; %bb.30:
	s_or_b32 exec_lo, exec_lo, s3
	v_mov_b32_e32 v7, 0
	ds_load_b128 v[7:10], v7 offset:64
	s_waitcnt lgkmcnt(0)
	v_mul_f64 v[11:12], v[1:2], v[9:10]
	v_mul_f64 v[15:16], v[3:4], v[9:10]
	s_delay_alu instid0(VALU_DEP_2) | instskip(NEXT) | instid1(VALU_DEP_2)
	v_fma_f64 v[9:10], v[3:4], v[7:8], -v[11:12]
	v_fma_f64 v[11:12], v[1:2], v[7:8], v[15:16]
	scratch_store_b128 off, v[9:12], off offset:64
.LBB123_31:
	s_or_b32 exec_lo, exec_lo, s2
	s_waitcnt_vscnt null, 0x0
	s_barrier
	buffer_gl0_inv
	scratch_load_b128 v[1:4], v205, off
	s_mov_b32 s2, exec_lo
	s_waitcnt vmcnt(0)
	ds_store_b128 v5, v[1:4]
	s_waitcnt lgkmcnt(0)
	s_barrier
	buffer_gl0_inv
	v_cmpx_gt_u32_e32 5, v166
	s_cbranch_execz .LBB123_35
; %bb.32:
	v_dual_mov_b32 v1, 0 :: v_dual_add_nc_u32 v8, 0x3c0, v13
	v_dual_mov_b32 v2, 0 :: v_dual_add_nc_u32 v7, -1, v166
	v_or_b32_e32 v9, 8, v14
	s_mov_b32 s3, 0
	s_delay_alu instid0(VALU_DEP_2)
	v_dual_mov_b32 v4, v2 :: v_dual_mov_b32 v3, v1
	.p2align	6
.LBB123_33:                             ; =>This Inner Loop Header: Depth=1
	scratch_load_b128 v[15:18], v9, off offset:-8
	ds_load_b128 v[19:22], v8
	v_add_nc_u32_e32 v7, 1, v7
	v_add_nc_u32_e32 v8, 16, v8
	;; [unrolled: 1-line block ×3, first 2 shown]
	s_delay_alu instid0(VALU_DEP_3) | instskip(SKIP_4) | instid1(VALU_DEP_2)
	v_cmp_lt_u32_e32 vcc_lo, 3, v7
	s_or_b32 s3, vcc_lo, s3
	s_waitcnt vmcnt(0) lgkmcnt(0)
	v_mul_f64 v[10:11], v[21:22], v[17:18]
	v_mul_f64 v[17:18], v[19:20], v[17:18]
	v_fma_f64 v[10:11], v[19:20], v[15:16], -v[10:11]
	s_delay_alu instid0(VALU_DEP_2) | instskip(NEXT) | instid1(VALU_DEP_2)
	v_fma_f64 v[15:16], v[21:22], v[15:16], v[17:18]
	v_add_f64 v[3:4], v[3:4], v[10:11]
	s_delay_alu instid0(VALU_DEP_2)
	v_add_f64 v[1:2], v[1:2], v[15:16]
	s_and_not1_b32 exec_lo, exec_lo, s3
	s_cbranch_execnz .LBB123_33
; %bb.34:
	s_or_b32 exec_lo, exec_lo, s3
	v_mov_b32_e32 v7, 0
	ds_load_b128 v[7:10], v7 offset:80
	s_waitcnt lgkmcnt(0)
	v_mul_f64 v[11:12], v[1:2], v[9:10]
	v_mul_f64 v[15:16], v[3:4], v[9:10]
	s_delay_alu instid0(VALU_DEP_2) | instskip(NEXT) | instid1(VALU_DEP_2)
	v_fma_f64 v[9:10], v[3:4], v[7:8], -v[11:12]
	v_fma_f64 v[11:12], v[1:2], v[7:8], v[15:16]
	scratch_store_b128 off, v[9:12], off offset:80
.LBB123_35:
	s_or_b32 exec_lo, exec_lo, s2
	s_waitcnt_vscnt null, 0x0
	s_barrier
	buffer_gl0_inv
	scratch_load_b128 v[1:4], v210, off
	s_mov_b32 s2, exec_lo
	s_waitcnt vmcnt(0)
	ds_store_b128 v5, v[1:4]
	s_waitcnt lgkmcnt(0)
	s_barrier
	buffer_gl0_inv
	v_cmpx_gt_u32_e32 6, v166
	s_cbranch_execz .LBB123_39
; %bb.36:
	v_dual_mov_b32 v1, 0 :: v_dual_add_nc_u32 v8, 0x3c0, v13
	v_dual_mov_b32 v2, 0 :: v_dual_add_nc_u32 v7, -1, v166
	v_or_b32_e32 v9, 8, v14
	s_mov_b32 s3, 0
	s_delay_alu instid0(VALU_DEP_2)
	v_dual_mov_b32 v4, v2 :: v_dual_mov_b32 v3, v1
	.p2align	6
.LBB123_37:                             ; =>This Inner Loop Header: Depth=1
	scratch_load_b128 v[15:18], v9, off offset:-8
	ds_load_b128 v[19:22], v8
	v_add_nc_u32_e32 v7, 1, v7
	v_add_nc_u32_e32 v8, 16, v8
	v_add_nc_u32_e32 v9, 16, v9
	s_delay_alu instid0(VALU_DEP_3) | instskip(SKIP_4) | instid1(VALU_DEP_2)
	v_cmp_lt_u32_e32 vcc_lo, 4, v7
	s_or_b32 s3, vcc_lo, s3
	s_waitcnt vmcnt(0) lgkmcnt(0)
	v_mul_f64 v[10:11], v[21:22], v[17:18]
	v_mul_f64 v[17:18], v[19:20], v[17:18]
	v_fma_f64 v[10:11], v[19:20], v[15:16], -v[10:11]
	s_delay_alu instid0(VALU_DEP_2) | instskip(NEXT) | instid1(VALU_DEP_2)
	v_fma_f64 v[15:16], v[21:22], v[15:16], v[17:18]
	v_add_f64 v[3:4], v[3:4], v[10:11]
	s_delay_alu instid0(VALU_DEP_2)
	v_add_f64 v[1:2], v[1:2], v[15:16]
	s_and_not1_b32 exec_lo, exec_lo, s3
	s_cbranch_execnz .LBB123_37
; %bb.38:
	s_or_b32 exec_lo, exec_lo, s3
	v_mov_b32_e32 v7, 0
	ds_load_b128 v[7:10], v7 offset:96
	s_waitcnt lgkmcnt(0)
	v_mul_f64 v[11:12], v[1:2], v[9:10]
	v_mul_f64 v[15:16], v[3:4], v[9:10]
	s_delay_alu instid0(VALU_DEP_2) | instskip(NEXT) | instid1(VALU_DEP_2)
	v_fma_f64 v[9:10], v[3:4], v[7:8], -v[11:12]
	v_fma_f64 v[11:12], v[1:2], v[7:8], v[15:16]
	scratch_store_b128 off, v[9:12], off offset:96
.LBB123_39:
	s_or_b32 exec_lo, exec_lo, s2
	s_waitcnt_vscnt null, 0x0
	s_barrier
	buffer_gl0_inv
	scratch_load_b128 v[1:4], v209, off
	s_mov_b32 s2, exec_lo
	s_waitcnt vmcnt(0)
	ds_store_b128 v5, v[1:4]
	s_waitcnt lgkmcnt(0)
	s_barrier
	buffer_gl0_inv
	v_cmpx_gt_u32_e32 7, v166
	s_cbranch_execz .LBB123_43
; %bb.40:
	v_dual_mov_b32 v1, 0 :: v_dual_add_nc_u32 v8, 0x3c0, v13
	v_dual_mov_b32 v2, 0 :: v_dual_add_nc_u32 v7, -1, v166
	v_or_b32_e32 v9, 8, v14
	s_mov_b32 s3, 0
	s_delay_alu instid0(VALU_DEP_2)
	v_dual_mov_b32 v4, v2 :: v_dual_mov_b32 v3, v1
	.p2align	6
.LBB123_41:                             ; =>This Inner Loop Header: Depth=1
	scratch_load_b128 v[15:18], v9, off offset:-8
	ds_load_b128 v[19:22], v8
	v_add_nc_u32_e32 v7, 1, v7
	v_add_nc_u32_e32 v8, 16, v8
	v_add_nc_u32_e32 v9, 16, v9
	s_delay_alu instid0(VALU_DEP_3) | instskip(SKIP_4) | instid1(VALU_DEP_2)
	v_cmp_lt_u32_e32 vcc_lo, 5, v7
	s_or_b32 s3, vcc_lo, s3
	s_waitcnt vmcnt(0) lgkmcnt(0)
	v_mul_f64 v[10:11], v[21:22], v[17:18]
	v_mul_f64 v[17:18], v[19:20], v[17:18]
	v_fma_f64 v[10:11], v[19:20], v[15:16], -v[10:11]
	s_delay_alu instid0(VALU_DEP_2) | instskip(NEXT) | instid1(VALU_DEP_2)
	v_fma_f64 v[15:16], v[21:22], v[15:16], v[17:18]
	v_add_f64 v[3:4], v[3:4], v[10:11]
	s_delay_alu instid0(VALU_DEP_2)
	v_add_f64 v[1:2], v[1:2], v[15:16]
	s_and_not1_b32 exec_lo, exec_lo, s3
	s_cbranch_execnz .LBB123_41
; %bb.42:
	s_or_b32 exec_lo, exec_lo, s3
	v_mov_b32_e32 v7, 0
	ds_load_b128 v[7:10], v7 offset:112
	s_waitcnt lgkmcnt(0)
	v_mul_f64 v[11:12], v[1:2], v[9:10]
	v_mul_f64 v[15:16], v[3:4], v[9:10]
	s_delay_alu instid0(VALU_DEP_2) | instskip(NEXT) | instid1(VALU_DEP_2)
	v_fma_f64 v[9:10], v[3:4], v[7:8], -v[11:12]
	v_fma_f64 v[11:12], v[1:2], v[7:8], v[15:16]
	scratch_store_b128 off, v[9:12], off offset:112
.LBB123_43:
	s_or_b32 exec_lo, exec_lo, s2
	s_waitcnt_vscnt null, 0x0
	s_barrier
	buffer_gl0_inv
	scratch_load_b128 v[1:4], v207, off
	s_mov_b32 s2, exec_lo
	s_waitcnt vmcnt(0)
	ds_store_b128 v5, v[1:4]
	s_waitcnt lgkmcnt(0)
	s_barrier
	buffer_gl0_inv
	v_cmpx_gt_u32_e32 8, v166
	s_cbranch_execz .LBB123_47
; %bb.44:
	v_dual_mov_b32 v1, 0 :: v_dual_add_nc_u32 v8, 0x3c0, v13
	v_dual_mov_b32 v2, 0 :: v_dual_add_nc_u32 v7, -1, v166
	v_or_b32_e32 v9, 8, v14
	s_mov_b32 s3, 0
	s_delay_alu instid0(VALU_DEP_2)
	v_dual_mov_b32 v4, v2 :: v_dual_mov_b32 v3, v1
	.p2align	6
.LBB123_45:                             ; =>This Inner Loop Header: Depth=1
	scratch_load_b128 v[15:18], v9, off offset:-8
	ds_load_b128 v[19:22], v8
	v_add_nc_u32_e32 v7, 1, v7
	v_add_nc_u32_e32 v8, 16, v8
	;; [unrolled: 1-line block ×3, first 2 shown]
	s_delay_alu instid0(VALU_DEP_3) | instskip(SKIP_4) | instid1(VALU_DEP_2)
	v_cmp_lt_u32_e32 vcc_lo, 6, v7
	s_or_b32 s3, vcc_lo, s3
	s_waitcnt vmcnt(0) lgkmcnt(0)
	v_mul_f64 v[10:11], v[21:22], v[17:18]
	v_mul_f64 v[17:18], v[19:20], v[17:18]
	v_fma_f64 v[10:11], v[19:20], v[15:16], -v[10:11]
	s_delay_alu instid0(VALU_DEP_2) | instskip(NEXT) | instid1(VALU_DEP_2)
	v_fma_f64 v[15:16], v[21:22], v[15:16], v[17:18]
	v_add_f64 v[3:4], v[3:4], v[10:11]
	s_delay_alu instid0(VALU_DEP_2)
	v_add_f64 v[1:2], v[1:2], v[15:16]
	s_and_not1_b32 exec_lo, exec_lo, s3
	s_cbranch_execnz .LBB123_45
; %bb.46:
	s_or_b32 exec_lo, exec_lo, s3
	v_mov_b32_e32 v7, 0
	ds_load_b128 v[7:10], v7 offset:128
	s_waitcnt lgkmcnt(0)
	v_mul_f64 v[11:12], v[1:2], v[9:10]
	v_mul_f64 v[15:16], v[3:4], v[9:10]
	s_delay_alu instid0(VALU_DEP_2) | instskip(NEXT) | instid1(VALU_DEP_2)
	v_fma_f64 v[9:10], v[3:4], v[7:8], -v[11:12]
	v_fma_f64 v[11:12], v[1:2], v[7:8], v[15:16]
	scratch_store_b128 off, v[9:12], off offset:128
.LBB123_47:
	s_or_b32 exec_lo, exec_lo, s2
	s_waitcnt_vscnt null, 0x0
	s_barrier
	buffer_gl0_inv
	scratch_load_b128 v[1:4], v211, off
	s_mov_b32 s2, exec_lo
	s_waitcnt vmcnt(0)
	ds_store_b128 v5, v[1:4]
	s_waitcnt lgkmcnt(0)
	s_barrier
	buffer_gl0_inv
	v_cmpx_gt_u32_e32 9, v166
	s_cbranch_execz .LBB123_51
; %bb.48:
	v_dual_mov_b32 v1, 0 :: v_dual_add_nc_u32 v8, 0x3c0, v13
	v_dual_mov_b32 v2, 0 :: v_dual_add_nc_u32 v7, -1, v166
	v_or_b32_e32 v9, 8, v14
	s_mov_b32 s3, 0
	s_delay_alu instid0(VALU_DEP_2)
	v_dual_mov_b32 v4, v2 :: v_dual_mov_b32 v3, v1
	.p2align	6
.LBB123_49:                             ; =>This Inner Loop Header: Depth=1
	scratch_load_b128 v[15:18], v9, off offset:-8
	ds_load_b128 v[19:22], v8
	v_add_nc_u32_e32 v7, 1, v7
	v_add_nc_u32_e32 v8, 16, v8
	;; [unrolled: 1-line block ×3, first 2 shown]
	s_delay_alu instid0(VALU_DEP_3) | instskip(SKIP_4) | instid1(VALU_DEP_2)
	v_cmp_lt_u32_e32 vcc_lo, 7, v7
	s_or_b32 s3, vcc_lo, s3
	s_waitcnt vmcnt(0) lgkmcnt(0)
	v_mul_f64 v[10:11], v[21:22], v[17:18]
	v_mul_f64 v[17:18], v[19:20], v[17:18]
	v_fma_f64 v[10:11], v[19:20], v[15:16], -v[10:11]
	s_delay_alu instid0(VALU_DEP_2) | instskip(NEXT) | instid1(VALU_DEP_2)
	v_fma_f64 v[15:16], v[21:22], v[15:16], v[17:18]
	v_add_f64 v[3:4], v[3:4], v[10:11]
	s_delay_alu instid0(VALU_DEP_2)
	v_add_f64 v[1:2], v[1:2], v[15:16]
	s_and_not1_b32 exec_lo, exec_lo, s3
	s_cbranch_execnz .LBB123_49
; %bb.50:
	s_or_b32 exec_lo, exec_lo, s3
	v_mov_b32_e32 v7, 0
	ds_load_b128 v[7:10], v7 offset:144
	s_waitcnt lgkmcnt(0)
	v_mul_f64 v[11:12], v[1:2], v[9:10]
	v_mul_f64 v[15:16], v[3:4], v[9:10]
	s_delay_alu instid0(VALU_DEP_2) | instskip(NEXT) | instid1(VALU_DEP_2)
	v_fma_f64 v[9:10], v[3:4], v[7:8], -v[11:12]
	v_fma_f64 v[11:12], v[1:2], v[7:8], v[15:16]
	scratch_store_b128 off, v[9:12], off offset:144
.LBB123_51:
	s_or_b32 exec_lo, exec_lo, s2
	s_waitcnt_vscnt null, 0x0
	s_barrier
	buffer_gl0_inv
	scratch_load_b128 v[1:4], v208, off
	s_mov_b32 s2, exec_lo
	s_waitcnt vmcnt(0)
	ds_store_b128 v5, v[1:4]
	s_waitcnt lgkmcnt(0)
	s_barrier
	buffer_gl0_inv
	v_cmpx_gt_u32_e32 10, v166
	s_cbranch_execz .LBB123_55
; %bb.52:
	v_dual_mov_b32 v1, 0 :: v_dual_add_nc_u32 v8, 0x3c0, v13
	v_dual_mov_b32 v2, 0 :: v_dual_add_nc_u32 v7, -1, v166
	v_or_b32_e32 v9, 8, v14
	s_mov_b32 s3, 0
	s_delay_alu instid0(VALU_DEP_2)
	v_dual_mov_b32 v4, v2 :: v_dual_mov_b32 v3, v1
	.p2align	6
.LBB123_53:                             ; =>This Inner Loop Header: Depth=1
	scratch_load_b128 v[15:18], v9, off offset:-8
	ds_load_b128 v[19:22], v8
	v_add_nc_u32_e32 v7, 1, v7
	v_add_nc_u32_e32 v8, 16, v8
	;; [unrolled: 1-line block ×3, first 2 shown]
	s_delay_alu instid0(VALU_DEP_3) | instskip(SKIP_4) | instid1(VALU_DEP_2)
	v_cmp_lt_u32_e32 vcc_lo, 8, v7
	s_or_b32 s3, vcc_lo, s3
	s_waitcnt vmcnt(0) lgkmcnt(0)
	v_mul_f64 v[10:11], v[21:22], v[17:18]
	v_mul_f64 v[17:18], v[19:20], v[17:18]
	v_fma_f64 v[10:11], v[19:20], v[15:16], -v[10:11]
	s_delay_alu instid0(VALU_DEP_2) | instskip(NEXT) | instid1(VALU_DEP_2)
	v_fma_f64 v[15:16], v[21:22], v[15:16], v[17:18]
	v_add_f64 v[3:4], v[3:4], v[10:11]
	s_delay_alu instid0(VALU_DEP_2)
	v_add_f64 v[1:2], v[1:2], v[15:16]
	s_and_not1_b32 exec_lo, exec_lo, s3
	s_cbranch_execnz .LBB123_53
; %bb.54:
	s_or_b32 exec_lo, exec_lo, s3
	v_mov_b32_e32 v7, 0
	ds_load_b128 v[7:10], v7 offset:160
	s_waitcnt lgkmcnt(0)
	v_mul_f64 v[11:12], v[1:2], v[9:10]
	v_mul_f64 v[15:16], v[3:4], v[9:10]
	s_delay_alu instid0(VALU_DEP_2) | instskip(NEXT) | instid1(VALU_DEP_2)
	v_fma_f64 v[9:10], v[3:4], v[7:8], -v[11:12]
	v_fma_f64 v[11:12], v[1:2], v[7:8], v[15:16]
	scratch_store_b128 off, v[9:12], off offset:160
.LBB123_55:
	s_or_b32 exec_lo, exec_lo, s2
	s_waitcnt_vscnt null, 0x0
	s_barrier
	buffer_gl0_inv
	scratch_load_b128 v[1:4], v227, off
	s_mov_b32 s2, exec_lo
	s_waitcnt vmcnt(0)
	ds_store_b128 v5, v[1:4]
	s_waitcnt lgkmcnt(0)
	s_barrier
	buffer_gl0_inv
	v_cmpx_gt_u32_e32 11, v166
	s_cbranch_execz .LBB123_59
; %bb.56:
	v_dual_mov_b32 v1, 0 :: v_dual_add_nc_u32 v8, 0x3c0, v13
	v_dual_mov_b32 v2, 0 :: v_dual_add_nc_u32 v7, -1, v166
	v_or_b32_e32 v9, 8, v14
	s_mov_b32 s3, 0
	s_delay_alu instid0(VALU_DEP_2)
	v_dual_mov_b32 v4, v2 :: v_dual_mov_b32 v3, v1
	.p2align	6
.LBB123_57:                             ; =>This Inner Loop Header: Depth=1
	scratch_load_b128 v[15:18], v9, off offset:-8
	ds_load_b128 v[19:22], v8
	v_add_nc_u32_e32 v7, 1, v7
	v_add_nc_u32_e32 v8, 16, v8
	;; [unrolled: 1-line block ×3, first 2 shown]
	s_delay_alu instid0(VALU_DEP_3) | instskip(SKIP_4) | instid1(VALU_DEP_2)
	v_cmp_lt_u32_e32 vcc_lo, 9, v7
	s_or_b32 s3, vcc_lo, s3
	s_waitcnt vmcnt(0) lgkmcnt(0)
	v_mul_f64 v[10:11], v[21:22], v[17:18]
	v_mul_f64 v[17:18], v[19:20], v[17:18]
	v_fma_f64 v[10:11], v[19:20], v[15:16], -v[10:11]
	s_delay_alu instid0(VALU_DEP_2) | instskip(NEXT) | instid1(VALU_DEP_2)
	v_fma_f64 v[15:16], v[21:22], v[15:16], v[17:18]
	v_add_f64 v[3:4], v[3:4], v[10:11]
	s_delay_alu instid0(VALU_DEP_2)
	v_add_f64 v[1:2], v[1:2], v[15:16]
	s_and_not1_b32 exec_lo, exec_lo, s3
	s_cbranch_execnz .LBB123_57
; %bb.58:
	s_or_b32 exec_lo, exec_lo, s3
	v_mov_b32_e32 v7, 0
	ds_load_b128 v[7:10], v7 offset:176
	s_waitcnt lgkmcnt(0)
	v_mul_f64 v[11:12], v[1:2], v[9:10]
	v_mul_f64 v[15:16], v[3:4], v[9:10]
	s_delay_alu instid0(VALU_DEP_2) | instskip(NEXT) | instid1(VALU_DEP_2)
	v_fma_f64 v[9:10], v[3:4], v[7:8], -v[11:12]
	v_fma_f64 v[11:12], v[1:2], v[7:8], v[15:16]
	scratch_store_b128 off, v[9:12], off offset:176
.LBB123_59:
	s_or_b32 exec_lo, exec_lo, s2
	s_waitcnt_vscnt null, 0x0
	s_barrier
	buffer_gl0_inv
	scratch_load_b128 v[1:4], v214, off
	s_mov_b32 s2, exec_lo
	s_waitcnt vmcnt(0)
	ds_store_b128 v5, v[1:4]
	s_waitcnt lgkmcnt(0)
	s_barrier
	buffer_gl0_inv
	v_cmpx_gt_u32_e32 12, v166
	s_cbranch_execz .LBB123_63
; %bb.60:
	v_dual_mov_b32 v1, 0 :: v_dual_add_nc_u32 v8, 0x3c0, v13
	v_dual_mov_b32 v2, 0 :: v_dual_add_nc_u32 v7, -1, v166
	v_or_b32_e32 v9, 8, v14
	s_mov_b32 s3, 0
	s_delay_alu instid0(VALU_DEP_2)
	v_dual_mov_b32 v4, v2 :: v_dual_mov_b32 v3, v1
	.p2align	6
.LBB123_61:                             ; =>This Inner Loop Header: Depth=1
	scratch_load_b128 v[15:18], v9, off offset:-8
	ds_load_b128 v[19:22], v8
	v_add_nc_u32_e32 v7, 1, v7
	v_add_nc_u32_e32 v8, 16, v8
	;; [unrolled: 1-line block ×3, first 2 shown]
	s_delay_alu instid0(VALU_DEP_3) | instskip(SKIP_4) | instid1(VALU_DEP_2)
	v_cmp_lt_u32_e32 vcc_lo, 10, v7
	s_or_b32 s3, vcc_lo, s3
	s_waitcnt vmcnt(0) lgkmcnt(0)
	v_mul_f64 v[10:11], v[21:22], v[17:18]
	v_mul_f64 v[17:18], v[19:20], v[17:18]
	v_fma_f64 v[10:11], v[19:20], v[15:16], -v[10:11]
	s_delay_alu instid0(VALU_DEP_2) | instskip(NEXT) | instid1(VALU_DEP_2)
	v_fma_f64 v[15:16], v[21:22], v[15:16], v[17:18]
	v_add_f64 v[3:4], v[3:4], v[10:11]
	s_delay_alu instid0(VALU_DEP_2)
	v_add_f64 v[1:2], v[1:2], v[15:16]
	s_and_not1_b32 exec_lo, exec_lo, s3
	s_cbranch_execnz .LBB123_61
; %bb.62:
	s_or_b32 exec_lo, exec_lo, s3
	v_mov_b32_e32 v7, 0
	ds_load_b128 v[7:10], v7 offset:192
	s_waitcnt lgkmcnt(0)
	v_mul_f64 v[11:12], v[1:2], v[9:10]
	v_mul_f64 v[15:16], v[3:4], v[9:10]
	s_delay_alu instid0(VALU_DEP_2) | instskip(NEXT) | instid1(VALU_DEP_2)
	v_fma_f64 v[9:10], v[3:4], v[7:8], -v[11:12]
	v_fma_f64 v[11:12], v[1:2], v[7:8], v[15:16]
	scratch_store_b128 off, v[9:12], off offset:192
.LBB123_63:
	s_or_b32 exec_lo, exec_lo, s2
	s_waitcnt_vscnt null, 0x0
	s_barrier
	buffer_gl0_inv
	scratch_load_b128 v[1:4], v213, off
	s_mov_b32 s2, exec_lo
	s_waitcnt vmcnt(0)
	ds_store_b128 v5, v[1:4]
	s_waitcnt lgkmcnt(0)
	s_barrier
	buffer_gl0_inv
	v_cmpx_gt_u32_e32 13, v166
	s_cbranch_execz .LBB123_67
; %bb.64:
	v_dual_mov_b32 v1, 0 :: v_dual_add_nc_u32 v8, 0x3c0, v13
	v_dual_mov_b32 v2, 0 :: v_dual_add_nc_u32 v7, -1, v166
	v_or_b32_e32 v9, 8, v14
	s_mov_b32 s3, 0
	s_delay_alu instid0(VALU_DEP_2)
	v_dual_mov_b32 v4, v2 :: v_dual_mov_b32 v3, v1
	.p2align	6
.LBB123_65:                             ; =>This Inner Loop Header: Depth=1
	scratch_load_b128 v[15:18], v9, off offset:-8
	ds_load_b128 v[19:22], v8
	v_add_nc_u32_e32 v7, 1, v7
	v_add_nc_u32_e32 v8, 16, v8
	;; [unrolled: 1-line block ×3, first 2 shown]
	s_delay_alu instid0(VALU_DEP_3) | instskip(SKIP_4) | instid1(VALU_DEP_2)
	v_cmp_lt_u32_e32 vcc_lo, 11, v7
	s_or_b32 s3, vcc_lo, s3
	s_waitcnt vmcnt(0) lgkmcnt(0)
	v_mul_f64 v[10:11], v[21:22], v[17:18]
	v_mul_f64 v[17:18], v[19:20], v[17:18]
	v_fma_f64 v[10:11], v[19:20], v[15:16], -v[10:11]
	s_delay_alu instid0(VALU_DEP_2) | instskip(NEXT) | instid1(VALU_DEP_2)
	v_fma_f64 v[15:16], v[21:22], v[15:16], v[17:18]
	v_add_f64 v[3:4], v[3:4], v[10:11]
	s_delay_alu instid0(VALU_DEP_2)
	v_add_f64 v[1:2], v[1:2], v[15:16]
	s_and_not1_b32 exec_lo, exec_lo, s3
	s_cbranch_execnz .LBB123_65
; %bb.66:
	s_or_b32 exec_lo, exec_lo, s3
	v_mov_b32_e32 v7, 0
	ds_load_b128 v[7:10], v7 offset:208
	s_waitcnt lgkmcnt(0)
	v_mul_f64 v[11:12], v[1:2], v[9:10]
	v_mul_f64 v[15:16], v[3:4], v[9:10]
	s_delay_alu instid0(VALU_DEP_2) | instskip(NEXT) | instid1(VALU_DEP_2)
	v_fma_f64 v[9:10], v[3:4], v[7:8], -v[11:12]
	v_fma_f64 v[11:12], v[1:2], v[7:8], v[15:16]
	scratch_store_b128 off, v[9:12], off offset:208
.LBB123_67:
	s_or_b32 exec_lo, exec_lo, s2
	s_waitcnt_vscnt null, 0x0
	s_barrier
	buffer_gl0_inv
	scratch_load_b128 v[1:4], v212, off
	s_mov_b32 s2, exec_lo
	s_waitcnt vmcnt(0)
	ds_store_b128 v5, v[1:4]
	s_waitcnt lgkmcnt(0)
	s_barrier
	buffer_gl0_inv
	v_cmpx_gt_u32_e32 14, v166
	s_cbranch_execz .LBB123_71
; %bb.68:
	v_dual_mov_b32 v1, 0 :: v_dual_add_nc_u32 v8, 0x3c0, v13
	v_dual_mov_b32 v2, 0 :: v_dual_add_nc_u32 v7, -1, v166
	v_or_b32_e32 v9, 8, v14
	s_mov_b32 s3, 0
	s_delay_alu instid0(VALU_DEP_2)
	v_dual_mov_b32 v4, v2 :: v_dual_mov_b32 v3, v1
	.p2align	6
.LBB123_69:                             ; =>This Inner Loop Header: Depth=1
	scratch_load_b128 v[15:18], v9, off offset:-8
	ds_load_b128 v[19:22], v8
	v_add_nc_u32_e32 v7, 1, v7
	v_add_nc_u32_e32 v8, 16, v8
	;; [unrolled: 1-line block ×3, first 2 shown]
	s_delay_alu instid0(VALU_DEP_3) | instskip(SKIP_4) | instid1(VALU_DEP_2)
	v_cmp_lt_u32_e32 vcc_lo, 12, v7
	s_or_b32 s3, vcc_lo, s3
	s_waitcnt vmcnt(0) lgkmcnt(0)
	v_mul_f64 v[10:11], v[21:22], v[17:18]
	v_mul_f64 v[17:18], v[19:20], v[17:18]
	v_fma_f64 v[10:11], v[19:20], v[15:16], -v[10:11]
	s_delay_alu instid0(VALU_DEP_2) | instskip(NEXT) | instid1(VALU_DEP_2)
	v_fma_f64 v[15:16], v[21:22], v[15:16], v[17:18]
	v_add_f64 v[3:4], v[3:4], v[10:11]
	s_delay_alu instid0(VALU_DEP_2)
	v_add_f64 v[1:2], v[1:2], v[15:16]
	s_and_not1_b32 exec_lo, exec_lo, s3
	s_cbranch_execnz .LBB123_69
; %bb.70:
	s_or_b32 exec_lo, exec_lo, s3
	v_mov_b32_e32 v7, 0
	ds_load_b128 v[7:10], v7 offset:224
	s_waitcnt lgkmcnt(0)
	v_mul_f64 v[11:12], v[1:2], v[9:10]
	v_mul_f64 v[15:16], v[3:4], v[9:10]
	s_delay_alu instid0(VALU_DEP_2) | instskip(NEXT) | instid1(VALU_DEP_2)
	v_fma_f64 v[9:10], v[3:4], v[7:8], -v[11:12]
	v_fma_f64 v[11:12], v[1:2], v[7:8], v[15:16]
	scratch_store_b128 off, v[9:12], off offset:224
.LBB123_71:
	s_or_b32 exec_lo, exec_lo, s2
	s_waitcnt_vscnt null, 0x0
	s_barrier
	buffer_gl0_inv
	scratch_load_b128 v[1:4], v86, off
	s_mov_b32 s2, exec_lo
	s_waitcnt vmcnt(0)
	ds_store_b128 v5, v[1:4]
	s_waitcnt lgkmcnt(0)
	s_barrier
	buffer_gl0_inv
	v_cmpx_gt_u32_e32 15, v166
	s_cbranch_execz .LBB123_75
; %bb.72:
	v_dual_mov_b32 v1, 0 :: v_dual_add_nc_u32 v8, 0x3c0, v13
	v_dual_mov_b32 v2, 0 :: v_dual_add_nc_u32 v7, -1, v166
	v_or_b32_e32 v9, 8, v14
	s_mov_b32 s3, 0
	s_delay_alu instid0(VALU_DEP_2)
	v_dual_mov_b32 v4, v2 :: v_dual_mov_b32 v3, v1
	.p2align	6
.LBB123_73:                             ; =>This Inner Loop Header: Depth=1
	scratch_load_b128 v[15:18], v9, off offset:-8
	ds_load_b128 v[19:22], v8
	v_add_nc_u32_e32 v7, 1, v7
	v_add_nc_u32_e32 v8, 16, v8
	v_add_nc_u32_e32 v9, 16, v9
	s_delay_alu instid0(VALU_DEP_3) | instskip(SKIP_4) | instid1(VALU_DEP_2)
	v_cmp_lt_u32_e32 vcc_lo, 13, v7
	s_or_b32 s3, vcc_lo, s3
	s_waitcnt vmcnt(0) lgkmcnt(0)
	v_mul_f64 v[10:11], v[21:22], v[17:18]
	v_mul_f64 v[17:18], v[19:20], v[17:18]
	v_fma_f64 v[10:11], v[19:20], v[15:16], -v[10:11]
	s_delay_alu instid0(VALU_DEP_2) | instskip(NEXT) | instid1(VALU_DEP_2)
	v_fma_f64 v[15:16], v[21:22], v[15:16], v[17:18]
	v_add_f64 v[3:4], v[3:4], v[10:11]
	s_delay_alu instid0(VALU_DEP_2)
	v_add_f64 v[1:2], v[1:2], v[15:16]
	s_and_not1_b32 exec_lo, exec_lo, s3
	s_cbranch_execnz .LBB123_73
; %bb.74:
	s_or_b32 exec_lo, exec_lo, s3
	v_mov_b32_e32 v7, 0
	ds_load_b128 v[7:10], v7 offset:240
	s_waitcnt lgkmcnt(0)
	v_mul_f64 v[11:12], v[1:2], v[9:10]
	v_mul_f64 v[15:16], v[3:4], v[9:10]
	s_delay_alu instid0(VALU_DEP_2) | instskip(NEXT) | instid1(VALU_DEP_2)
	v_fma_f64 v[9:10], v[3:4], v[7:8], -v[11:12]
	v_fma_f64 v[11:12], v[1:2], v[7:8], v[15:16]
	scratch_store_b128 off, v[9:12], off offset:240
.LBB123_75:
	s_or_b32 exec_lo, exec_lo, s2
	s_waitcnt_vscnt null, 0x0
	s_barrier
	buffer_gl0_inv
	scratch_load_b32 v1, off, off offset:964 ; 4-byte Folded Reload
	s_mov_b32 s2, exec_lo
	s_waitcnt vmcnt(0)
	scratch_load_b128 v[1:4], v1, off
	s_waitcnt vmcnt(0)
	ds_store_b128 v5, v[1:4]
	s_waitcnt lgkmcnt(0)
	s_barrier
	buffer_gl0_inv
	v_cmpx_gt_u32_e32 16, v166
	s_cbranch_execz .LBB123_79
; %bb.76:
	v_dual_mov_b32 v1, 0 :: v_dual_add_nc_u32 v8, 0x3c0, v13
	v_dual_mov_b32 v2, 0 :: v_dual_add_nc_u32 v7, -1, v166
	v_or_b32_e32 v9, 8, v14
	s_mov_b32 s3, 0
	s_delay_alu instid0(VALU_DEP_2)
	v_dual_mov_b32 v4, v2 :: v_dual_mov_b32 v3, v1
	.p2align	6
.LBB123_77:                             ; =>This Inner Loop Header: Depth=1
	scratch_load_b128 v[15:18], v9, off offset:-8
	ds_load_b128 v[19:22], v8
	v_add_nc_u32_e32 v7, 1, v7
	v_add_nc_u32_e32 v8, 16, v8
	;; [unrolled: 1-line block ×3, first 2 shown]
	s_delay_alu instid0(VALU_DEP_3) | instskip(SKIP_4) | instid1(VALU_DEP_2)
	v_cmp_lt_u32_e32 vcc_lo, 14, v7
	s_or_b32 s3, vcc_lo, s3
	s_waitcnt vmcnt(0) lgkmcnt(0)
	v_mul_f64 v[10:11], v[21:22], v[17:18]
	v_mul_f64 v[17:18], v[19:20], v[17:18]
	v_fma_f64 v[10:11], v[19:20], v[15:16], -v[10:11]
	s_delay_alu instid0(VALU_DEP_2) | instskip(NEXT) | instid1(VALU_DEP_2)
	v_fma_f64 v[15:16], v[21:22], v[15:16], v[17:18]
	v_add_f64 v[3:4], v[3:4], v[10:11]
	s_delay_alu instid0(VALU_DEP_2)
	v_add_f64 v[1:2], v[1:2], v[15:16]
	s_and_not1_b32 exec_lo, exec_lo, s3
	s_cbranch_execnz .LBB123_77
; %bb.78:
	s_or_b32 exec_lo, exec_lo, s3
	v_mov_b32_e32 v7, 0
	ds_load_b128 v[7:10], v7 offset:256
	s_waitcnt lgkmcnt(0)
	v_mul_f64 v[11:12], v[1:2], v[9:10]
	v_mul_f64 v[15:16], v[3:4], v[9:10]
	s_delay_alu instid0(VALU_DEP_2) | instskip(NEXT) | instid1(VALU_DEP_2)
	v_fma_f64 v[9:10], v[3:4], v[7:8], -v[11:12]
	v_fma_f64 v[11:12], v[1:2], v[7:8], v[15:16]
	scratch_store_b128 off, v[9:12], off offset:256
.LBB123_79:
	s_or_b32 exec_lo, exec_lo, s2
	s_waitcnt_vscnt null, 0x0
	s_barrier
	buffer_gl0_inv
	scratch_load_b128 v[1:4], v229, off
	s_mov_b32 s2, exec_lo
	s_waitcnt vmcnt(0)
	ds_store_b128 v5, v[1:4]
	s_waitcnt lgkmcnt(0)
	s_barrier
	buffer_gl0_inv
	v_cmpx_gt_u32_e32 17, v166
	s_cbranch_execz .LBB123_83
; %bb.80:
	v_dual_mov_b32 v1, 0 :: v_dual_add_nc_u32 v8, 0x3c0, v13
	v_dual_mov_b32 v2, 0 :: v_dual_add_nc_u32 v7, -1, v166
	v_or_b32_e32 v9, 8, v14
	s_mov_b32 s3, 0
	s_delay_alu instid0(VALU_DEP_2)
	v_dual_mov_b32 v4, v2 :: v_dual_mov_b32 v3, v1
	.p2align	6
.LBB123_81:                             ; =>This Inner Loop Header: Depth=1
	scratch_load_b128 v[15:18], v9, off offset:-8
	ds_load_b128 v[19:22], v8
	v_add_nc_u32_e32 v7, 1, v7
	v_add_nc_u32_e32 v8, 16, v8
	;; [unrolled: 1-line block ×3, first 2 shown]
	s_delay_alu instid0(VALU_DEP_3) | instskip(SKIP_4) | instid1(VALU_DEP_2)
	v_cmp_lt_u32_e32 vcc_lo, 15, v7
	s_or_b32 s3, vcc_lo, s3
	s_waitcnt vmcnt(0) lgkmcnt(0)
	v_mul_f64 v[10:11], v[21:22], v[17:18]
	v_mul_f64 v[17:18], v[19:20], v[17:18]
	v_fma_f64 v[10:11], v[19:20], v[15:16], -v[10:11]
	s_delay_alu instid0(VALU_DEP_2) | instskip(NEXT) | instid1(VALU_DEP_2)
	v_fma_f64 v[15:16], v[21:22], v[15:16], v[17:18]
	v_add_f64 v[3:4], v[3:4], v[10:11]
	s_delay_alu instid0(VALU_DEP_2)
	v_add_f64 v[1:2], v[1:2], v[15:16]
	s_and_not1_b32 exec_lo, exec_lo, s3
	s_cbranch_execnz .LBB123_81
; %bb.82:
	s_or_b32 exec_lo, exec_lo, s3
	v_mov_b32_e32 v7, 0
	ds_load_b128 v[7:10], v7 offset:272
	s_waitcnt lgkmcnt(0)
	v_mul_f64 v[11:12], v[1:2], v[9:10]
	v_mul_f64 v[15:16], v[3:4], v[9:10]
	s_delay_alu instid0(VALU_DEP_2) | instskip(NEXT) | instid1(VALU_DEP_2)
	v_fma_f64 v[9:10], v[3:4], v[7:8], -v[11:12]
	v_fma_f64 v[11:12], v[1:2], v[7:8], v[15:16]
	scratch_store_b128 off, v[9:12], off offset:272
.LBB123_83:
	s_or_b32 exec_lo, exec_lo, s2
	s_waitcnt_vscnt null, 0x0
	s_barrier
	buffer_gl0_inv
	scratch_load_b128 v[1:4], v228, off
	s_mov_b32 s2, exec_lo
	s_waitcnt vmcnt(0)
	ds_store_b128 v5, v[1:4]
	s_waitcnt lgkmcnt(0)
	s_barrier
	buffer_gl0_inv
	v_cmpx_gt_u32_e32 18, v166
	s_cbranch_execz .LBB123_87
; %bb.84:
	v_dual_mov_b32 v1, 0 :: v_dual_add_nc_u32 v8, 0x3c0, v13
	v_dual_mov_b32 v2, 0 :: v_dual_add_nc_u32 v7, -1, v166
	v_or_b32_e32 v9, 8, v14
	s_mov_b32 s3, 0
	s_delay_alu instid0(VALU_DEP_2)
	v_dual_mov_b32 v4, v2 :: v_dual_mov_b32 v3, v1
	.p2align	6
.LBB123_85:                             ; =>This Inner Loop Header: Depth=1
	scratch_load_b128 v[15:18], v9, off offset:-8
	ds_load_b128 v[19:22], v8
	v_add_nc_u32_e32 v7, 1, v7
	v_add_nc_u32_e32 v8, 16, v8
	;; [unrolled: 1-line block ×3, first 2 shown]
	s_delay_alu instid0(VALU_DEP_3) | instskip(SKIP_4) | instid1(VALU_DEP_2)
	v_cmp_lt_u32_e32 vcc_lo, 16, v7
	s_or_b32 s3, vcc_lo, s3
	s_waitcnt vmcnt(0) lgkmcnt(0)
	v_mul_f64 v[10:11], v[21:22], v[17:18]
	v_mul_f64 v[17:18], v[19:20], v[17:18]
	v_fma_f64 v[10:11], v[19:20], v[15:16], -v[10:11]
	s_delay_alu instid0(VALU_DEP_2) | instskip(NEXT) | instid1(VALU_DEP_2)
	v_fma_f64 v[15:16], v[21:22], v[15:16], v[17:18]
	v_add_f64 v[3:4], v[3:4], v[10:11]
	s_delay_alu instid0(VALU_DEP_2)
	v_add_f64 v[1:2], v[1:2], v[15:16]
	s_and_not1_b32 exec_lo, exec_lo, s3
	s_cbranch_execnz .LBB123_85
; %bb.86:
	s_or_b32 exec_lo, exec_lo, s3
	v_mov_b32_e32 v7, 0
	ds_load_b128 v[7:10], v7 offset:288
	s_waitcnt lgkmcnt(0)
	v_mul_f64 v[11:12], v[1:2], v[9:10]
	v_mul_f64 v[15:16], v[3:4], v[9:10]
	s_delay_alu instid0(VALU_DEP_2) | instskip(NEXT) | instid1(VALU_DEP_2)
	v_fma_f64 v[9:10], v[3:4], v[7:8], -v[11:12]
	v_fma_f64 v[11:12], v[1:2], v[7:8], v[15:16]
	scratch_store_b128 off, v[9:12], off offset:288
.LBB123_87:
	s_or_b32 exec_lo, exec_lo, s2
	s_waitcnt_vscnt null, 0x0
	s_barrier
	buffer_gl0_inv
	scratch_load_b32 v1, off, off offset:960 ; 4-byte Folded Reload
	s_mov_b32 s2, exec_lo
	s_waitcnt vmcnt(0)
	scratch_load_b128 v[1:4], v1, off
	s_waitcnt vmcnt(0)
	ds_store_b128 v5, v[1:4]
	s_waitcnt lgkmcnt(0)
	s_barrier
	buffer_gl0_inv
	v_cmpx_gt_u32_e32 19, v166
	s_cbranch_execz .LBB123_91
; %bb.88:
	v_dual_mov_b32 v1, 0 :: v_dual_add_nc_u32 v8, 0x3c0, v13
	v_dual_mov_b32 v2, 0 :: v_dual_add_nc_u32 v7, -1, v166
	v_or_b32_e32 v9, 8, v14
	s_mov_b32 s3, 0
	s_delay_alu instid0(VALU_DEP_2)
	v_dual_mov_b32 v4, v2 :: v_dual_mov_b32 v3, v1
	.p2align	6
.LBB123_89:                             ; =>This Inner Loop Header: Depth=1
	scratch_load_b128 v[15:18], v9, off offset:-8
	ds_load_b128 v[19:22], v8
	v_add_nc_u32_e32 v7, 1, v7
	v_add_nc_u32_e32 v8, 16, v8
	;; [unrolled: 1-line block ×3, first 2 shown]
	s_delay_alu instid0(VALU_DEP_3) | instskip(SKIP_4) | instid1(VALU_DEP_2)
	v_cmp_lt_u32_e32 vcc_lo, 17, v7
	s_or_b32 s3, vcc_lo, s3
	s_waitcnt vmcnt(0) lgkmcnt(0)
	v_mul_f64 v[10:11], v[21:22], v[17:18]
	v_mul_f64 v[17:18], v[19:20], v[17:18]
	v_fma_f64 v[10:11], v[19:20], v[15:16], -v[10:11]
	s_delay_alu instid0(VALU_DEP_2) | instskip(NEXT) | instid1(VALU_DEP_2)
	v_fma_f64 v[15:16], v[21:22], v[15:16], v[17:18]
	v_add_f64 v[3:4], v[3:4], v[10:11]
	s_delay_alu instid0(VALU_DEP_2)
	v_add_f64 v[1:2], v[1:2], v[15:16]
	s_and_not1_b32 exec_lo, exec_lo, s3
	s_cbranch_execnz .LBB123_89
; %bb.90:
	s_or_b32 exec_lo, exec_lo, s3
	v_mov_b32_e32 v7, 0
	ds_load_b128 v[7:10], v7 offset:304
	s_waitcnt lgkmcnt(0)
	v_mul_f64 v[11:12], v[1:2], v[9:10]
	v_mul_f64 v[15:16], v[3:4], v[9:10]
	s_delay_alu instid0(VALU_DEP_2) | instskip(NEXT) | instid1(VALU_DEP_2)
	v_fma_f64 v[9:10], v[3:4], v[7:8], -v[11:12]
	v_fma_f64 v[11:12], v[1:2], v[7:8], v[15:16]
	scratch_store_b128 off, v[9:12], off offset:304
.LBB123_91:
	s_or_b32 exec_lo, exec_lo, s2
	s_waitcnt_vscnt null, 0x0
	s_barrier
	buffer_gl0_inv
	scratch_load_b128 v[1:4], v66, off
	s_mov_b32 s2, exec_lo
	s_waitcnt vmcnt(0)
	ds_store_b128 v5, v[1:4]
	s_waitcnt lgkmcnt(0)
	s_barrier
	buffer_gl0_inv
	v_cmpx_gt_u32_e32 20, v166
	s_cbranch_execz .LBB123_95
; %bb.92:
	v_dual_mov_b32 v1, 0 :: v_dual_add_nc_u32 v8, 0x3c0, v13
	v_dual_mov_b32 v2, 0 :: v_dual_add_nc_u32 v7, -1, v166
	v_or_b32_e32 v9, 8, v14
	s_mov_b32 s3, 0
	s_delay_alu instid0(VALU_DEP_2)
	v_dual_mov_b32 v4, v2 :: v_dual_mov_b32 v3, v1
	.p2align	6
.LBB123_93:                             ; =>This Inner Loop Header: Depth=1
	scratch_load_b128 v[15:18], v9, off offset:-8
	ds_load_b128 v[19:22], v8
	v_add_nc_u32_e32 v7, 1, v7
	v_add_nc_u32_e32 v8, 16, v8
	;; [unrolled: 1-line block ×3, first 2 shown]
	s_delay_alu instid0(VALU_DEP_3) | instskip(SKIP_4) | instid1(VALU_DEP_2)
	v_cmp_lt_u32_e32 vcc_lo, 18, v7
	s_or_b32 s3, vcc_lo, s3
	s_waitcnt vmcnt(0) lgkmcnt(0)
	v_mul_f64 v[10:11], v[21:22], v[17:18]
	v_mul_f64 v[17:18], v[19:20], v[17:18]
	v_fma_f64 v[10:11], v[19:20], v[15:16], -v[10:11]
	s_delay_alu instid0(VALU_DEP_2) | instskip(NEXT) | instid1(VALU_DEP_2)
	v_fma_f64 v[15:16], v[21:22], v[15:16], v[17:18]
	v_add_f64 v[3:4], v[3:4], v[10:11]
	s_delay_alu instid0(VALU_DEP_2)
	v_add_f64 v[1:2], v[1:2], v[15:16]
	s_and_not1_b32 exec_lo, exec_lo, s3
	s_cbranch_execnz .LBB123_93
; %bb.94:
	s_or_b32 exec_lo, exec_lo, s3
	v_mov_b32_e32 v7, 0
	ds_load_b128 v[7:10], v7 offset:320
	s_waitcnt lgkmcnt(0)
	v_mul_f64 v[11:12], v[1:2], v[9:10]
	v_mul_f64 v[15:16], v[3:4], v[9:10]
	s_delay_alu instid0(VALU_DEP_2) | instskip(NEXT) | instid1(VALU_DEP_2)
	v_fma_f64 v[9:10], v[3:4], v[7:8], -v[11:12]
	v_fma_f64 v[11:12], v[1:2], v[7:8], v[15:16]
	scratch_store_b128 off, v[9:12], off offset:320
.LBB123_95:
	s_or_b32 exec_lo, exec_lo, s2
	s_waitcnt_vscnt null, 0x0
	s_barrier
	buffer_gl0_inv
	scratch_load_b128 v[1:4], v65, off
	s_mov_b32 s2, exec_lo
	s_waitcnt vmcnt(0)
	ds_store_b128 v5, v[1:4]
	s_waitcnt lgkmcnt(0)
	s_barrier
	buffer_gl0_inv
	v_cmpx_gt_u32_e32 21, v166
	s_cbranch_execz .LBB123_99
; %bb.96:
	v_dual_mov_b32 v1, 0 :: v_dual_add_nc_u32 v8, 0x3c0, v13
	v_dual_mov_b32 v2, 0 :: v_dual_add_nc_u32 v7, -1, v166
	v_or_b32_e32 v9, 8, v14
	s_mov_b32 s3, 0
	s_delay_alu instid0(VALU_DEP_2)
	v_dual_mov_b32 v4, v2 :: v_dual_mov_b32 v3, v1
	.p2align	6
.LBB123_97:                             ; =>This Inner Loop Header: Depth=1
	scratch_load_b128 v[15:18], v9, off offset:-8
	ds_load_b128 v[19:22], v8
	v_add_nc_u32_e32 v7, 1, v7
	v_add_nc_u32_e32 v8, 16, v8
	;; [unrolled: 1-line block ×3, first 2 shown]
	s_delay_alu instid0(VALU_DEP_3) | instskip(SKIP_4) | instid1(VALU_DEP_2)
	v_cmp_lt_u32_e32 vcc_lo, 19, v7
	s_or_b32 s3, vcc_lo, s3
	s_waitcnt vmcnt(0) lgkmcnt(0)
	v_mul_f64 v[10:11], v[21:22], v[17:18]
	v_mul_f64 v[17:18], v[19:20], v[17:18]
	v_fma_f64 v[10:11], v[19:20], v[15:16], -v[10:11]
	s_delay_alu instid0(VALU_DEP_2) | instskip(NEXT) | instid1(VALU_DEP_2)
	v_fma_f64 v[15:16], v[21:22], v[15:16], v[17:18]
	v_add_f64 v[3:4], v[3:4], v[10:11]
	s_delay_alu instid0(VALU_DEP_2)
	v_add_f64 v[1:2], v[1:2], v[15:16]
	s_and_not1_b32 exec_lo, exec_lo, s3
	s_cbranch_execnz .LBB123_97
; %bb.98:
	s_or_b32 exec_lo, exec_lo, s3
	v_mov_b32_e32 v7, 0
	ds_load_b128 v[7:10], v7 offset:336
	s_waitcnt lgkmcnt(0)
	v_mul_f64 v[11:12], v[1:2], v[9:10]
	v_mul_f64 v[15:16], v[3:4], v[9:10]
	s_delay_alu instid0(VALU_DEP_2) | instskip(NEXT) | instid1(VALU_DEP_2)
	v_fma_f64 v[9:10], v[3:4], v[7:8], -v[11:12]
	v_fma_f64 v[11:12], v[1:2], v[7:8], v[15:16]
	scratch_store_b128 off, v[9:12], off offset:336
.LBB123_99:
	s_or_b32 exec_lo, exec_lo, s2
	s_waitcnt_vscnt null, 0x0
	s_barrier
	buffer_gl0_inv
	scratch_load_b128 v[1:4], v64, off
	s_mov_b32 s2, exec_lo
	s_waitcnt vmcnt(0)
	ds_store_b128 v5, v[1:4]
	s_waitcnt lgkmcnt(0)
	s_barrier
	buffer_gl0_inv
	v_cmpx_gt_u32_e32 22, v166
	s_cbranch_execz .LBB123_103
; %bb.100:
	v_dual_mov_b32 v1, 0 :: v_dual_add_nc_u32 v8, 0x3c0, v13
	v_dual_mov_b32 v2, 0 :: v_dual_add_nc_u32 v7, -1, v166
	v_or_b32_e32 v9, 8, v14
	s_mov_b32 s3, 0
	s_delay_alu instid0(VALU_DEP_2)
	v_dual_mov_b32 v4, v2 :: v_dual_mov_b32 v3, v1
	.p2align	6
.LBB123_101:                            ; =>This Inner Loop Header: Depth=1
	scratch_load_b128 v[15:18], v9, off offset:-8
	ds_load_b128 v[19:22], v8
	v_add_nc_u32_e32 v7, 1, v7
	v_add_nc_u32_e32 v8, 16, v8
	;; [unrolled: 1-line block ×3, first 2 shown]
	s_delay_alu instid0(VALU_DEP_3) | instskip(SKIP_4) | instid1(VALU_DEP_2)
	v_cmp_lt_u32_e32 vcc_lo, 20, v7
	s_or_b32 s3, vcc_lo, s3
	s_waitcnt vmcnt(0) lgkmcnt(0)
	v_mul_f64 v[10:11], v[21:22], v[17:18]
	v_mul_f64 v[17:18], v[19:20], v[17:18]
	v_fma_f64 v[10:11], v[19:20], v[15:16], -v[10:11]
	s_delay_alu instid0(VALU_DEP_2) | instskip(NEXT) | instid1(VALU_DEP_2)
	v_fma_f64 v[15:16], v[21:22], v[15:16], v[17:18]
	v_add_f64 v[3:4], v[3:4], v[10:11]
	s_delay_alu instid0(VALU_DEP_2)
	v_add_f64 v[1:2], v[1:2], v[15:16]
	s_and_not1_b32 exec_lo, exec_lo, s3
	s_cbranch_execnz .LBB123_101
; %bb.102:
	s_or_b32 exec_lo, exec_lo, s3
	v_mov_b32_e32 v7, 0
	ds_load_b128 v[7:10], v7 offset:352
	s_waitcnt lgkmcnt(0)
	v_mul_f64 v[11:12], v[1:2], v[9:10]
	v_mul_f64 v[15:16], v[3:4], v[9:10]
	s_delay_alu instid0(VALU_DEP_2) | instskip(NEXT) | instid1(VALU_DEP_2)
	v_fma_f64 v[9:10], v[3:4], v[7:8], -v[11:12]
	v_fma_f64 v[11:12], v[1:2], v[7:8], v[15:16]
	scratch_store_b128 off, v[9:12], off offset:352
.LBB123_103:
	s_or_b32 exec_lo, exec_lo, s2
	s_waitcnt_vscnt null, 0x0
	s_barrier
	buffer_gl0_inv
	scratch_load_b128 v[1:4], v63, off
	s_mov_b32 s2, exec_lo
	s_waitcnt vmcnt(0)
	ds_store_b128 v5, v[1:4]
	s_waitcnt lgkmcnt(0)
	s_barrier
	buffer_gl0_inv
	v_cmpx_gt_u32_e32 23, v166
	s_cbranch_execz .LBB123_107
; %bb.104:
	v_dual_mov_b32 v1, 0 :: v_dual_add_nc_u32 v8, 0x3c0, v13
	v_dual_mov_b32 v2, 0 :: v_dual_add_nc_u32 v7, -1, v166
	v_or_b32_e32 v9, 8, v14
	s_mov_b32 s3, 0
	s_delay_alu instid0(VALU_DEP_2)
	v_dual_mov_b32 v4, v2 :: v_dual_mov_b32 v3, v1
	.p2align	6
.LBB123_105:                            ; =>This Inner Loop Header: Depth=1
	scratch_load_b128 v[15:18], v9, off offset:-8
	ds_load_b128 v[19:22], v8
	v_add_nc_u32_e32 v7, 1, v7
	v_add_nc_u32_e32 v8, 16, v8
	v_add_nc_u32_e32 v9, 16, v9
	s_delay_alu instid0(VALU_DEP_3) | instskip(SKIP_4) | instid1(VALU_DEP_2)
	v_cmp_lt_u32_e32 vcc_lo, 21, v7
	s_or_b32 s3, vcc_lo, s3
	s_waitcnt vmcnt(0) lgkmcnt(0)
	v_mul_f64 v[10:11], v[21:22], v[17:18]
	v_mul_f64 v[17:18], v[19:20], v[17:18]
	v_fma_f64 v[10:11], v[19:20], v[15:16], -v[10:11]
	s_delay_alu instid0(VALU_DEP_2) | instskip(NEXT) | instid1(VALU_DEP_2)
	v_fma_f64 v[15:16], v[21:22], v[15:16], v[17:18]
	v_add_f64 v[3:4], v[3:4], v[10:11]
	s_delay_alu instid0(VALU_DEP_2)
	v_add_f64 v[1:2], v[1:2], v[15:16]
	s_and_not1_b32 exec_lo, exec_lo, s3
	s_cbranch_execnz .LBB123_105
; %bb.106:
	s_or_b32 exec_lo, exec_lo, s3
	v_mov_b32_e32 v7, 0
	ds_load_b128 v[7:10], v7 offset:368
	s_waitcnt lgkmcnt(0)
	v_mul_f64 v[11:12], v[1:2], v[9:10]
	v_mul_f64 v[15:16], v[3:4], v[9:10]
	s_delay_alu instid0(VALU_DEP_2) | instskip(NEXT) | instid1(VALU_DEP_2)
	v_fma_f64 v[9:10], v[3:4], v[7:8], -v[11:12]
	v_fma_f64 v[11:12], v[1:2], v[7:8], v[15:16]
	scratch_store_b128 off, v[9:12], off offset:368
.LBB123_107:
	s_or_b32 exec_lo, exec_lo, s2
	s_waitcnt_vscnt null, 0x0
	s_barrier
	buffer_gl0_inv
	scratch_load_b128 v[1:4], v62, off
	s_mov_b32 s2, exec_lo
	s_waitcnt vmcnt(0)
	ds_store_b128 v5, v[1:4]
	s_waitcnt lgkmcnt(0)
	s_barrier
	buffer_gl0_inv
	v_cmpx_gt_u32_e32 24, v166
	s_cbranch_execz .LBB123_111
; %bb.108:
	v_dual_mov_b32 v1, 0 :: v_dual_add_nc_u32 v8, 0x3c0, v13
	v_dual_mov_b32 v2, 0 :: v_dual_add_nc_u32 v7, -1, v166
	v_or_b32_e32 v9, 8, v14
	s_mov_b32 s3, 0
	s_delay_alu instid0(VALU_DEP_2)
	v_dual_mov_b32 v4, v2 :: v_dual_mov_b32 v3, v1
	.p2align	6
.LBB123_109:                            ; =>This Inner Loop Header: Depth=1
	scratch_load_b128 v[15:18], v9, off offset:-8
	ds_load_b128 v[19:22], v8
	v_add_nc_u32_e32 v7, 1, v7
	v_add_nc_u32_e32 v8, 16, v8
	;; [unrolled: 1-line block ×3, first 2 shown]
	s_delay_alu instid0(VALU_DEP_3) | instskip(SKIP_4) | instid1(VALU_DEP_2)
	v_cmp_lt_u32_e32 vcc_lo, 22, v7
	s_or_b32 s3, vcc_lo, s3
	s_waitcnt vmcnt(0) lgkmcnt(0)
	v_mul_f64 v[10:11], v[21:22], v[17:18]
	v_mul_f64 v[17:18], v[19:20], v[17:18]
	v_fma_f64 v[10:11], v[19:20], v[15:16], -v[10:11]
	s_delay_alu instid0(VALU_DEP_2) | instskip(NEXT) | instid1(VALU_DEP_2)
	v_fma_f64 v[15:16], v[21:22], v[15:16], v[17:18]
	v_add_f64 v[3:4], v[3:4], v[10:11]
	s_delay_alu instid0(VALU_DEP_2)
	v_add_f64 v[1:2], v[1:2], v[15:16]
	s_and_not1_b32 exec_lo, exec_lo, s3
	s_cbranch_execnz .LBB123_109
; %bb.110:
	s_or_b32 exec_lo, exec_lo, s3
	v_mov_b32_e32 v7, 0
	ds_load_b128 v[7:10], v7 offset:384
	s_waitcnt lgkmcnt(0)
	v_mul_f64 v[11:12], v[1:2], v[9:10]
	v_mul_f64 v[15:16], v[3:4], v[9:10]
	s_delay_alu instid0(VALU_DEP_2) | instskip(NEXT) | instid1(VALU_DEP_2)
	v_fma_f64 v[9:10], v[3:4], v[7:8], -v[11:12]
	v_fma_f64 v[11:12], v[1:2], v[7:8], v[15:16]
	scratch_store_b128 off, v[9:12], off offset:384
.LBB123_111:
	s_or_b32 exec_lo, exec_lo, s2
	s_waitcnt_vscnt null, 0x0
	s_barrier
	buffer_gl0_inv
	scratch_load_b128 v[1:4], v61, off
	s_mov_b32 s2, exec_lo
	s_waitcnt vmcnt(0)
	ds_store_b128 v5, v[1:4]
	s_waitcnt lgkmcnt(0)
	s_barrier
	buffer_gl0_inv
	v_cmpx_gt_u32_e32 25, v166
	s_cbranch_execz .LBB123_115
; %bb.112:
	v_dual_mov_b32 v1, 0 :: v_dual_add_nc_u32 v8, 0x3c0, v13
	v_dual_mov_b32 v2, 0 :: v_dual_add_nc_u32 v7, -1, v166
	v_or_b32_e32 v9, 8, v14
	s_mov_b32 s3, 0
	s_delay_alu instid0(VALU_DEP_2)
	v_dual_mov_b32 v4, v2 :: v_dual_mov_b32 v3, v1
	.p2align	6
.LBB123_113:                            ; =>This Inner Loop Header: Depth=1
	scratch_load_b128 v[15:18], v9, off offset:-8
	ds_load_b128 v[19:22], v8
	v_add_nc_u32_e32 v7, 1, v7
	v_add_nc_u32_e32 v8, 16, v8
	;; [unrolled: 1-line block ×3, first 2 shown]
	s_delay_alu instid0(VALU_DEP_3) | instskip(SKIP_4) | instid1(VALU_DEP_2)
	v_cmp_lt_u32_e32 vcc_lo, 23, v7
	s_or_b32 s3, vcc_lo, s3
	s_waitcnt vmcnt(0) lgkmcnt(0)
	v_mul_f64 v[10:11], v[21:22], v[17:18]
	v_mul_f64 v[17:18], v[19:20], v[17:18]
	v_fma_f64 v[10:11], v[19:20], v[15:16], -v[10:11]
	s_delay_alu instid0(VALU_DEP_2) | instskip(NEXT) | instid1(VALU_DEP_2)
	v_fma_f64 v[15:16], v[21:22], v[15:16], v[17:18]
	v_add_f64 v[3:4], v[3:4], v[10:11]
	s_delay_alu instid0(VALU_DEP_2)
	v_add_f64 v[1:2], v[1:2], v[15:16]
	s_and_not1_b32 exec_lo, exec_lo, s3
	s_cbranch_execnz .LBB123_113
; %bb.114:
	s_or_b32 exec_lo, exec_lo, s3
	v_mov_b32_e32 v7, 0
	ds_load_b128 v[7:10], v7 offset:400
	s_waitcnt lgkmcnt(0)
	v_mul_f64 v[11:12], v[1:2], v[9:10]
	v_mul_f64 v[15:16], v[3:4], v[9:10]
	s_delay_alu instid0(VALU_DEP_2) | instskip(NEXT) | instid1(VALU_DEP_2)
	v_fma_f64 v[9:10], v[3:4], v[7:8], -v[11:12]
	v_fma_f64 v[11:12], v[1:2], v[7:8], v[15:16]
	scratch_store_b128 off, v[9:12], off offset:400
.LBB123_115:
	s_or_b32 exec_lo, exec_lo, s2
	s_waitcnt_vscnt null, 0x0
	s_barrier
	buffer_gl0_inv
	scratch_load_b128 v[1:4], v60, off
	s_mov_b32 s2, exec_lo
	s_waitcnt vmcnt(0)
	ds_store_b128 v5, v[1:4]
	s_waitcnt lgkmcnt(0)
	s_barrier
	buffer_gl0_inv
	v_cmpx_gt_u32_e32 26, v166
	s_cbranch_execz .LBB123_119
; %bb.116:
	v_dual_mov_b32 v1, 0 :: v_dual_add_nc_u32 v8, 0x3c0, v13
	v_dual_mov_b32 v2, 0 :: v_dual_add_nc_u32 v7, -1, v166
	v_or_b32_e32 v9, 8, v14
	s_mov_b32 s3, 0
	s_delay_alu instid0(VALU_DEP_2)
	v_dual_mov_b32 v4, v2 :: v_dual_mov_b32 v3, v1
	.p2align	6
.LBB123_117:                            ; =>This Inner Loop Header: Depth=1
	scratch_load_b128 v[15:18], v9, off offset:-8
	ds_load_b128 v[19:22], v8
	v_add_nc_u32_e32 v7, 1, v7
	v_add_nc_u32_e32 v8, 16, v8
	;; [unrolled: 1-line block ×3, first 2 shown]
	s_delay_alu instid0(VALU_DEP_3) | instskip(SKIP_4) | instid1(VALU_DEP_2)
	v_cmp_lt_u32_e32 vcc_lo, 24, v7
	s_or_b32 s3, vcc_lo, s3
	s_waitcnt vmcnt(0) lgkmcnt(0)
	v_mul_f64 v[10:11], v[21:22], v[17:18]
	v_mul_f64 v[17:18], v[19:20], v[17:18]
	v_fma_f64 v[10:11], v[19:20], v[15:16], -v[10:11]
	s_delay_alu instid0(VALU_DEP_2) | instskip(NEXT) | instid1(VALU_DEP_2)
	v_fma_f64 v[15:16], v[21:22], v[15:16], v[17:18]
	v_add_f64 v[3:4], v[3:4], v[10:11]
	s_delay_alu instid0(VALU_DEP_2)
	v_add_f64 v[1:2], v[1:2], v[15:16]
	s_and_not1_b32 exec_lo, exec_lo, s3
	s_cbranch_execnz .LBB123_117
; %bb.118:
	s_or_b32 exec_lo, exec_lo, s3
	v_mov_b32_e32 v7, 0
	ds_load_b128 v[7:10], v7 offset:416
	s_waitcnt lgkmcnt(0)
	v_mul_f64 v[11:12], v[1:2], v[9:10]
	v_mul_f64 v[15:16], v[3:4], v[9:10]
	s_delay_alu instid0(VALU_DEP_2) | instskip(NEXT) | instid1(VALU_DEP_2)
	v_fma_f64 v[9:10], v[3:4], v[7:8], -v[11:12]
	v_fma_f64 v[11:12], v[1:2], v[7:8], v[15:16]
	scratch_store_b128 off, v[9:12], off offset:416
.LBB123_119:
	s_or_b32 exec_lo, exec_lo, s2
	s_waitcnt_vscnt null, 0x0
	s_barrier
	buffer_gl0_inv
	scratch_load_b128 v[1:4], v59, off
	s_mov_b32 s2, exec_lo
	s_waitcnt vmcnt(0)
	ds_store_b128 v5, v[1:4]
	s_waitcnt lgkmcnt(0)
	s_barrier
	buffer_gl0_inv
	v_cmpx_gt_u32_e32 27, v166
	s_cbranch_execz .LBB123_123
; %bb.120:
	v_dual_mov_b32 v1, 0 :: v_dual_add_nc_u32 v8, 0x3c0, v13
	v_dual_mov_b32 v2, 0 :: v_dual_add_nc_u32 v7, -1, v166
	v_or_b32_e32 v9, 8, v14
	s_mov_b32 s3, 0
	s_delay_alu instid0(VALU_DEP_2)
	v_dual_mov_b32 v4, v2 :: v_dual_mov_b32 v3, v1
	.p2align	6
.LBB123_121:                            ; =>This Inner Loop Header: Depth=1
	scratch_load_b128 v[15:18], v9, off offset:-8
	ds_load_b128 v[19:22], v8
	v_add_nc_u32_e32 v7, 1, v7
	v_add_nc_u32_e32 v8, 16, v8
	;; [unrolled: 1-line block ×3, first 2 shown]
	s_delay_alu instid0(VALU_DEP_3) | instskip(SKIP_4) | instid1(VALU_DEP_2)
	v_cmp_lt_u32_e32 vcc_lo, 25, v7
	s_or_b32 s3, vcc_lo, s3
	s_waitcnt vmcnt(0) lgkmcnt(0)
	v_mul_f64 v[10:11], v[21:22], v[17:18]
	v_mul_f64 v[17:18], v[19:20], v[17:18]
	v_fma_f64 v[10:11], v[19:20], v[15:16], -v[10:11]
	s_delay_alu instid0(VALU_DEP_2) | instskip(NEXT) | instid1(VALU_DEP_2)
	v_fma_f64 v[15:16], v[21:22], v[15:16], v[17:18]
	v_add_f64 v[3:4], v[3:4], v[10:11]
	s_delay_alu instid0(VALU_DEP_2)
	v_add_f64 v[1:2], v[1:2], v[15:16]
	s_and_not1_b32 exec_lo, exec_lo, s3
	s_cbranch_execnz .LBB123_121
; %bb.122:
	s_or_b32 exec_lo, exec_lo, s3
	v_mov_b32_e32 v7, 0
	ds_load_b128 v[7:10], v7 offset:432
	s_waitcnt lgkmcnt(0)
	v_mul_f64 v[11:12], v[1:2], v[9:10]
	v_mul_f64 v[15:16], v[3:4], v[9:10]
	s_delay_alu instid0(VALU_DEP_2) | instskip(NEXT) | instid1(VALU_DEP_2)
	v_fma_f64 v[9:10], v[3:4], v[7:8], -v[11:12]
	v_fma_f64 v[11:12], v[1:2], v[7:8], v[15:16]
	scratch_store_b128 off, v[9:12], off offset:432
.LBB123_123:
	s_or_b32 exec_lo, exec_lo, s2
	s_waitcnt_vscnt null, 0x0
	s_barrier
	buffer_gl0_inv
	scratch_load_b128 v[1:4], v58, off
	s_mov_b32 s2, exec_lo
	s_waitcnt vmcnt(0)
	ds_store_b128 v5, v[1:4]
	s_waitcnt lgkmcnt(0)
	s_barrier
	buffer_gl0_inv
	v_cmpx_gt_u32_e32 28, v166
	s_cbranch_execz .LBB123_127
; %bb.124:
	v_dual_mov_b32 v1, 0 :: v_dual_add_nc_u32 v8, 0x3c0, v13
	v_dual_mov_b32 v2, 0 :: v_dual_add_nc_u32 v7, -1, v166
	v_or_b32_e32 v9, 8, v14
	s_mov_b32 s3, 0
	s_delay_alu instid0(VALU_DEP_2)
	v_dual_mov_b32 v4, v2 :: v_dual_mov_b32 v3, v1
	.p2align	6
.LBB123_125:                            ; =>This Inner Loop Header: Depth=1
	scratch_load_b128 v[15:18], v9, off offset:-8
	ds_load_b128 v[19:22], v8
	v_add_nc_u32_e32 v7, 1, v7
	v_add_nc_u32_e32 v8, 16, v8
	;; [unrolled: 1-line block ×3, first 2 shown]
	s_delay_alu instid0(VALU_DEP_3) | instskip(SKIP_4) | instid1(VALU_DEP_2)
	v_cmp_lt_u32_e32 vcc_lo, 26, v7
	s_or_b32 s3, vcc_lo, s3
	s_waitcnt vmcnt(0) lgkmcnt(0)
	v_mul_f64 v[10:11], v[21:22], v[17:18]
	v_mul_f64 v[17:18], v[19:20], v[17:18]
	v_fma_f64 v[10:11], v[19:20], v[15:16], -v[10:11]
	s_delay_alu instid0(VALU_DEP_2) | instskip(NEXT) | instid1(VALU_DEP_2)
	v_fma_f64 v[15:16], v[21:22], v[15:16], v[17:18]
	v_add_f64 v[3:4], v[3:4], v[10:11]
	s_delay_alu instid0(VALU_DEP_2)
	v_add_f64 v[1:2], v[1:2], v[15:16]
	s_and_not1_b32 exec_lo, exec_lo, s3
	s_cbranch_execnz .LBB123_125
; %bb.126:
	s_or_b32 exec_lo, exec_lo, s3
	v_mov_b32_e32 v7, 0
	ds_load_b128 v[7:10], v7 offset:448
	s_waitcnt lgkmcnt(0)
	v_mul_f64 v[11:12], v[1:2], v[9:10]
	v_mul_f64 v[15:16], v[3:4], v[9:10]
	s_delay_alu instid0(VALU_DEP_2) | instskip(NEXT) | instid1(VALU_DEP_2)
	v_fma_f64 v[9:10], v[3:4], v[7:8], -v[11:12]
	v_fma_f64 v[11:12], v[1:2], v[7:8], v[15:16]
	scratch_store_b128 off, v[9:12], off offset:448
.LBB123_127:
	s_or_b32 exec_lo, exec_lo, s2
	s_waitcnt_vscnt null, 0x0
	s_barrier
	buffer_gl0_inv
	scratch_load_b128 v[1:4], v57, off
	s_mov_b32 s2, exec_lo
	s_waitcnt vmcnt(0)
	ds_store_b128 v5, v[1:4]
	s_waitcnt lgkmcnt(0)
	s_barrier
	buffer_gl0_inv
	v_cmpx_gt_u32_e32 29, v166
	s_cbranch_execz .LBB123_131
; %bb.128:
	v_dual_mov_b32 v1, 0 :: v_dual_add_nc_u32 v8, 0x3c0, v13
	v_dual_mov_b32 v2, 0 :: v_dual_add_nc_u32 v7, -1, v166
	v_or_b32_e32 v9, 8, v14
	s_mov_b32 s3, 0
	s_delay_alu instid0(VALU_DEP_2)
	v_dual_mov_b32 v4, v2 :: v_dual_mov_b32 v3, v1
	.p2align	6
.LBB123_129:                            ; =>This Inner Loop Header: Depth=1
	scratch_load_b128 v[15:18], v9, off offset:-8
	ds_load_b128 v[19:22], v8
	v_add_nc_u32_e32 v7, 1, v7
	v_add_nc_u32_e32 v8, 16, v8
	;; [unrolled: 1-line block ×3, first 2 shown]
	s_delay_alu instid0(VALU_DEP_3) | instskip(SKIP_4) | instid1(VALU_DEP_2)
	v_cmp_lt_u32_e32 vcc_lo, 27, v7
	s_or_b32 s3, vcc_lo, s3
	s_waitcnt vmcnt(0) lgkmcnt(0)
	v_mul_f64 v[10:11], v[21:22], v[17:18]
	v_mul_f64 v[17:18], v[19:20], v[17:18]
	v_fma_f64 v[10:11], v[19:20], v[15:16], -v[10:11]
	s_delay_alu instid0(VALU_DEP_2) | instskip(NEXT) | instid1(VALU_DEP_2)
	v_fma_f64 v[15:16], v[21:22], v[15:16], v[17:18]
	v_add_f64 v[3:4], v[3:4], v[10:11]
	s_delay_alu instid0(VALU_DEP_2)
	v_add_f64 v[1:2], v[1:2], v[15:16]
	s_and_not1_b32 exec_lo, exec_lo, s3
	s_cbranch_execnz .LBB123_129
; %bb.130:
	s_or_b32 exec_lo, exec_lo, s3
	v_mov_b32_e32 v7, 0
	ds_load_b128 v[7:10], v7 offset:464
	s_waitcnt lgkmcnt(0)
	v_mul_f64 v[11:12], v[1:2], v[9:10]
	v_mul_f64 v[15:16], v[3:4], v[9:10]
	s_delay_alu instid0(VALU_DEP_2) | instskip(NEXT) | instid1(VALU_DEP_2)
	v_fma_f64 v[9:10], v[3:4], v[7:8], -v[11:12]
	v_fma_f64 v[11:12], v[1:2], v[7:8], v[15:16]
	scratch_store_b128 off, v[9:12], off offset:464
.LBB123_131:
	s_or_b32 exec_lo, exec_lo, s2
	s_waitcnt_vscnt null, 0x0
	s_barrier
	buffer_gl0_inv
	scratch_load_b128 v[1:4], v56, off
	s_mov_b32 s2, exec_lo
	s_waitcnt vmcnt(0)
	ds_store_b128 v5, v[1:4]
	s_waitcnt lgkmcnt(0)
	s_barrier
	buffer_gl0_inv
	v_cmpx_gt_u32_e32 30, v166
	s_cbranch_execz .LBB123_135
; %bb.132:
	v_dual_mov_b32 v1, 0 :: v_dual_add_nc_u32 v8, 0x3c0, v13
	v_dual_mov_b32 v2, 0 :: v_dual_add_nc_u32 v7, -1, v166
	v_or_b32_e32 v9, 8, v14
	s_mov_b32 s3, 0
	s_delay_alu instid0(VALU_DEP_2)
	v_dual_mov_b32 v4, v2 :: v_dual_mov_b32 v3, v1
	.p2align	6
.LBB123_133:                            ; =>This Inner Loop Header: Depth=1
	scratch_load_b128 v[15:18], v9, off offset:-8
	ds_load_b128 v[19:22], v8
	v_add_nc_u32_e32 v7, 1, v7
	v_add_nc_u32_e32 v8, 16, v8
	v_add_nc_u32_e32 v9, 16, v9
	s_delay_alu instid0(VALU_DEP_3) | instskip(SKIP_4) | instid1(VALU_DEP_2)
	v_cmp_lt_u32_e32 vcc_lo, 28, v7
	s_or_b32 s3, vcc_lo, s3
	s_waitcnt vmcnt(0) lgkmcnt(0)
	v_mul_f64 v[10:11], v[21:22], v[17:18]
	v_mul_f64 v[17:18], v[19:20], v[17:18]
	v_fma_f64 v[10:11], v[19:20], v[15:16], -v[10:11]
	s_delay_alu instid0(VALU_DEP_2) | instskip(NEXT) | instid1(VALU_DEP_2)
	v_fma_f64 v[15:16], v[21:22], v[15:16], v[17:18]
	v_add_f64 v[3:4], v[3:4], v[10:11]
	s_delay_alu instid0(VALU_DEP_2)
	v_add_f64 v[1:2], v[1:2], v[15:16]
	s_and_not1_b32 exec_lo, exec_lo, s3
	s_cbranch_execnz .LBB123_133
; %bb.134:
	s_or_b32 exec_lo, exec_lo, s3
	v_mov_b32_e32 v7, 0
	ds_load_b128 v[7:10], v7 offset:480
	s_waitcnt lgkmcnt(0)
	v_mul_f64 v[11:12], v[1:2], v[9:10]
	v_mul_f64 v[15:16], v[3:4], v[9:10]
	s_delay_alu instid0(VALU_DEP_2) | instskip(NEXT) | instid1(VALU_DEP_2)
	v_fma_f64 v[9:10], v[3:4], v[7:8], -v[11:12]
	v_fma_f64 v[11:12], v[1:2], v[7:8], v[15:16]
	scratch_store_b128 off, v[9:12], off offset:480
.LBB123_135:
	s_or_b32 exec_lo, exec_lo, s2
	s_waitcnt_vscnt null, 0x0
	s_barrier
	buffer_gl0_inv
	scratch_load_b128 v[1:4], v55, off
	s_mov_b32 s2, exec_lo
	s_waitcnt vmcnt(0)
	ds_store_b128 v5, v[1:4]
	s_waitcnt lgkmcnt(0)
	s_barrier
	buffer_gl0_inv
	v_cmpx_gt_u32_e32 31, v166
	s_cbranch_execz .LBB123_139
; %bb.136:
	v_dual_mov_b32 v1, 0 :: v_dual_add_nc_u32 v8, 0x3c0, v13
	v_dual_mov_b32 v2, 0 :: v_dual_add_nc_u32 v7, -1, v166
	v_or_b32_e32 v9, 8, v14
	s_mov_b32 s3, 0
	s_delay_alu instid0(VALU_DEP_2)
	v_dual_mov_b32 v4, v2 :: v_dual_mov_b32 v3, v1
	.p2align	6
.LBB123_137:                            ; =>This Inner Loop Header: Depth=1
	scratch_load_b128 v[15:18], v9, off offset:-8
	ds_load_b128 v[19:22], v8
	v_add_nc_u32_e32 v7, 1, v7
	v_add_nc_u32_e32 v8, 16, v8
	;; [unrolled: 1-line block ×3, first 2 shown]
	s_delay_alu instid0(VALU_DEP_3) | instskip(SKIP_4) | instid1(VALU_DEP_2)
	v_cmp_lt_u32_e32 vcc_lo, 29, v7
	s_or_b32 s3, vcc_lo, s3
	s_waitcnt vmcnt(0) lgkmcnt(0)
	v_mul_f64 v[10:11], v[21:22], v[17:18]
	v_mul_f64 v[17:18], v[19:20], v[17:18]
	v_fma_f64 v[10:11], v[19:20], v[15:16], -v[10:11]
	s_delay_alu instid0(VALU_DEP_2) | instskip(NEXT) | instid1(VALU_DEP_2)
	v_fma_f64 v[15:16], v[21:22], v[15:16], v[17:18]
	v_add_f64 v[3:4], v[3:4], v[10:11]
	s_delay_alu instid0(VALU_DEP_2)
	v_add_f64 v[1:2], v[1:2], v[15:16]
	s_and_not1_b32 exec_lo, exec_lo, s3
	s_cbranch_execnz .LBB123_137
; %bb.138:
	s_or_b32 exec_lo, exec_lo, s3
	v_mov_b32_e32 v7, 0
	ds_load_b128 v[7:10], v7 offset:496
	s_waitcnt lgkmcnt(0)
	v_mul_f64 v[11:12], v[1:2], v[9:10]
	v_mul_f64 v[15:16], v[3:4], v[9:10]
	s_delay_alu instid0(VALU_DEP_2) | instskip(NEXT) | instid1(VALU_DEP_2)
	v_fma_f64 v[9:10], v[3:4], v[7:8], -v[11:12]
	v_fma_f64 v[11:12], v[1:2], v[7:8], v[15:16]
	scratch_store_b128 off, v[9:12], off offset:496
.LBB123_139:
	s_or_b32 exec_lo, exec_lo, s2
	s_waitcnt_vscnt null, 0x0
	s_barrier
	buffer_gl0_inv
	scratch_load_b128 v[1:4], v54, off
	s_mov_b32 s2, exec_lo
	s_waitcnt vmcnt(0)
	ds_store_b128 v5, v[1:4]
	s_waitcnt lgkmcnt(0)
	s_barrier
	buffer_gl0_inv
	v_cmpx_gt_u32_e32 32, v166
	s_cbranch_execz .LBB123_143
; %bb.140:
	v_dual_mov_b32 v1, 0 :: v_dual_add_nc_u32 v8, 0x3c0, v13
	v_dual_mov_b32 v2, 0 :: v_dual_add_nc_u32 v7, -1, v166
	v_or_b32_e32 v9, 8, v14
	s_mov_b32 s3, 0
	s_delay_alu instid0(VALU_DEP_2)
	v_dual_mov_b32 v4, v2 :: v_dual_mov_b32 v3, v1
	.p2align	6
.LBB123_141:                            ; =>This Inner Loop Header: Depth=1
	scratch_load_b128 v[15:18], v9, off offset:-8
	ds_load_b128 v[19:22], v8
	v_add_nc_u32_e32 v7, 1, v7
	v_add_nc_u32_e32 v8, 16, v8
	v_add_nc_u32_e32 v9, 16, v9
	s_delay_alu instid0(VALU_DEP_3) | instskip(SKIP_4) | instid1(VALU_DEP_2)
	v_cmp_lt_u32_e32 vcc_lo, 30, v7
	s_or_b32 s3, vcc_lo, s3
	s_waitcnt vmcnt(0) lgkmcnt(0)
	v_mul_f64 v[10:11], v[21:22], v[17:18]
	v_mul_f64 v[17:18], v[19:20], v[17:18]
	v_fma_f64 v[10:11], v[19:20], v[15:16], -v[10:11]
	s_delay_alu instid0(VALU_DEP_2) | instskip(NEXT) | instid1(VALU_DEP_2)
	v_fma_f64 v[15:16], v[21:22], v[15:16], v[17:18]
	v_add_f64 v[3:4], v[3:4], v[10:11]
	s_delay_alu instid0(VALU_DEP_2)
	v_add_f64 v[1:2], v[1:2], v[15:16]
	s_and_not1_b32 exec_lo, exec_lo, s3
	s_cbranch_execnz .LBB123_141
; %bb.142:
	s_or_b32 exec_lo, exec_lo, s3
	v_mov_b32_e32 v7, 0
	ds_load_b128 v[7:10], v7 offset:512
	s_waitcnt lgkmcnt(0)
	v_mul_f64 v[11:12], v[1:2], v[9:10]
	v_mul_f64 v[15:16], v[3:4], v[9:10]
	s_delay_alu instid0(VALU_DEP_2) | instskip(NEXT) | instid1(VALU_DEP_2)
	v_fma_f64 v[9:10], v[3:4], v[7:8], -v[11:12]
	v_fma_f64 v[11:12], v[1:2], v[7:8], v[15:16]
	scratch_store_b128 off, v[9:12], off offset:512
.LBB123_143:
	s_or_b32 exec_lo, exec_lo, s2
	s_waitcnt_vscnt null, 0x0
	s_barrier
	buffer_gl0_inv
	scratch_load_b128 v[1:4], v53, off
	s_mov_b32 s2, exec_lo
	s_waitcnt vmcnt(0)
	ds_store_b128 v5, v[1:4]
	s_waitcnt lgkmcnt(0)
	s_barrier
	buffer_gl0_inv
	v_cmpx_gt_u32_e32 33, v166
	s_cbranch_execz .LBB123_147
; %bb.144:
	v_dual_mov_b32 v1, 0 :: v_dual_add_nc_u32 v8, 0x3c0, v13
	v_dual_mov_b32 v2, 0 :: v_dual_add_nc_u32 v7, -1, v166
	v_or_b32_e32 v9, 8, v14
	s_mov_b32 s3, 0
	s_delay_alu instid0(VALU_DEP_2)
	v_dual_mov_b32 v4, v2 :: v_dual_mov_b32 v3, v1
	.p2align	6
.LBB123_145:                            ; =>This Inner Loop Header: Depth=1
	scratch_load_b128 v[15:18], v9, off offset:-8
	ds_load_b128 v[19:22], v8
	v_add_nc_u32_e32 v7, 1, v7
	v_add_nc_u32_e32 v8, 16, v8
	;; [unrolled: 1-line block ×3, first 2 shown]
	s_delay_alu instid0(VALU_DEP_3) | instskip(SKIP_4) | instid1(VALU_DEP_2)
	v_cmp_lt_u32_e32 vcc_lo, 31, v7
	s_or_b32 s3, vcc_lo, s3
	s_waitcnt vmcnt(0) lgkmcnt(0)
	v_mul_f64 v[10:11], v[21:22], v[17:18]
	v_mul_f64 v[17:18], v[19:20], v[17:18]
	v_fma_f64 v[10:11], v[19:20], v[15:16], -v[10:11]
	s_delay_alu instid0(VALU_DEP_2) | instskip(NEXT) | instid1(VALU_DEP_2)
	v_fma_f64 v[15:16], v[21:22], v[15:16], v[17:18]
	v_add_f64 v[3:4], v[3:4], v[10:11]
	s_delay_alu instid0(VALU_DEP_2)
	v_add_f64 v[1:2], v[1:2], v[15:16]
	s_and_not1_b32 exec_lo, exec_lo, s3
	s_cbranch_execnz .LBB123_145
; %bb.146:
	s_or_b32 exec_lo, exec_lo, s3
	v_mov_b32_e32 v7, 0
	ds_load_b128 v[7:10], v7 offset:528
	s_waitcnt lgkmcnt(0)
	v_mul_f64 v[11:12], v[1:2], v[9:10]
	v_mul_f64 v[15:16], v[3:4], v[9:10]
	s_delay_alu instid0(VALU_DEP_2) | instskip(NEXT) | instid1(VALU_DEP_2)
	v_fma_f64 v[9:10], v[3:4], v[7:8], -v[11:12]
	v_fma_f64 v[11:12], v[1:2], v[7:8], v[15:16]
	scratch_store_b128 off, v[9:12], off offset:528
.LBB123_147:
	s_or_b32 exec_lo, exec_lo, s2
	s_waitcnt_vscnt null, 0x0
	s_barrier
	buffer_gl0_inv
	scratch_load_b128 v[1:4], v52, off
	s_mov_b32 s2, exec_lo
	s_waitcnt vmcnt(0)
	ds_store_b128 v5, v[1:4]
	s_waitcnt lgkmcnt(0)
	s_barrier
	buffer_gl0_inv
	v_cmpx_gt_u32_e32 34, v166
	s_cbranch_execz .LBB123_151
; %bb.148:
	v_dual_mov_b32 v1, 0 :: v_dual_add_nc_u32 v8, 0x3c0, v13
	v_dual_mov_b32 v2, 0 :: v_dual_add_nc_u32 v7, -1, v166
	v_or_b32_e32 v9, 8, v14
	s_mov_b32 s3, 0
	s_delay_alu instid0(VALU_DEP_2)
	v_dual_mov_b32 v4, v2 :: v_dual_mov_b32 v3, v1
	.p2align	6
.LBB123_149:                            ; =>This Inner Loop Header: Depth=1
	scratch_load_b128 v[15:18], v9, off offset:-8
	ds_load_b128 v[19:22], v8
	v_add_nc_u32_e32 v7, 1, v7
	v_add_nc_u32_e32 v8, 16, v8
	;; [unrolled: 1-line block ×3, first 2 shown]
	s_delay_alu instid0(VALU_DEP_3) | instskip(SKIP_4) | instid1(VALU_DEP_2)
	v_cmp_lt_u32_e32 vcc_lo, 32, v7
	s_or_b32 s3, vcc_lo, s3
	s_waitcnt vmcnt(0) lgkmcnt(0)
	v_mul_f64 v[10:11], v[21:22], v[17:18]
	v_mul_f64 v[17:18], v[19:20], v[17:18]
	v_fma_f64 v[10:11], v[19:20], v[15:16], -v[10:11]
	s_delay_alu instid0(VALU_DEP_2) | instskip(NEXT) | instid1(VALU_DEP_2)
	v_fma_f64 v[15:16], v[21:22], v[15:16], v[17:18]
	v_add_f64 v[3:4], v[3:4], v[10:11]
	s_delay_alu instid0(VALU_DEP_2)
	v_add_f64 v[1:2], v[1:2], v[15:16]
	s_and_not1_b32 exec_lo, exec_lo, s3
	s_cbranch_execnz .LBB123_149
; %bb.150:
	s_or_b32 exec_lo, exec_lo, s3
	v_mov_b32_e32 v7, 0
	ds_load_b128 v[7:10], v7 offset:544
	s_waitcnt lgkmcnt(0)
	v_mul_f64 v[11:12], v[1:2], v[9:10]
	v_mul_f64 v[15:16], v[3:4], v[9:10]
	s_delay_alu instid0(VALU_DEP_2) | instskip(NEXT) | instid1(VALU_DEP_2)
	v_fma_f64 v[9:10], v[3:4], v[7:8], -v[11:12]
	v_fma_f64 v[11:12], v[1:2], v[7:8], v[15:16]
	scratch_store_b128 off, v[9:12], off offset:544
.LBB123_151:
	s_or_b32 exec_lo, exec_lo, s2
	s_waitcnt_vscnt null, 0x0
	s_barrier
	buffer_gl0_inv
	scratch_load_b128 v[1:4], v25, off
	s_mov_b32 s2, exec_lo
	s_waitcnt vmcnt(0)
	ds_store_b128 v5, v[1:4]
	s_waitcnt lgkmcnt(0)
	s_barrier
	buffer_gl0_inv
	v_cmpx_gt_u32_e32 35, v166
	s_cbranch_execz .LBB123_155
; %bb.152:
	v_dual_mov_b32 v1, 0 :: v_dual_add_nc_u32 v8, 0x3c0, v13
	v_dual_mov_b32 v2, 0 :: v_dual_add_nc_u32 v7, -1, v166
	v_or_b32_e32 v9, 8, v14
	s_mov_b32 s3, 0
	s_delay_alu instid0(VALU_DEP_2)
	v_dual_mov_b32 v4, v2 :: v_dual_mov_b32 v3, v1
	.p2align	6
.LBB123_153:                            ; =>This Inner Loop Header: Depth=1
	scratch_load_b128 v[15:18], v9, off offset:-8
	ds_load_b128 v[19:22], v8
	v_add_nc_u32_e32 v7, 1, v7
	v_add_nc_u32_e32 v8, 16, v8
	;; [unrolled: 1-line block ×3, first 2 shown]
	s_delay_alu instid0(VALU_DEP_3) | instskip(SKIP_4) | instid1(VALU_DEP_2)
	v_cmp_lt_u32_e32 vcc_lo, 33, v7
	s_or_b32 s3, vcc_lo, s3
	s_waitcnt vmcnt(0) lgkmcnt(0)
	v_mul_f64 v[10:11], v[21:22], v[17:18]
	v_mul_f64 v[17:18], v[19:20], v[17:18]
	v_fma_f64 v[10:11], v[19:20], v[15:16], -v[10:11]
	s_delay_alu instid0(VALU_DEP_2) | instskip(NEXT) | instid1(VALU_DEP_2)
	v_fma_f64 v[15:16], v[21:22], v[15:16], v[17:18]
	v_add_f64 v[3:4], v[3:4], v[10:11]
	s_delay_alu instid0(VALU_DEP_2)
	v_add_f64 v[1:2], v[1:2], v[15:16]
	s_and_not1_b32 exec_lo, exec_lo, s3
	s_cbranch_execnz .LBB123_153
; %bb.154:
	s_or_b32 exec_lo, exec_lo, s3
	v_mov_b32_e32 v7, 0
	ds_load_b128 v[7:10], v7 offset:560
	s_waitcnt lgkmcnt(0)
	v_mul_f64 v[11:12], v[1:2], v[9:10]
	v_mul_f64 v[15:16], v[3:4], v[9:10]
	s_delay_alu instid0(VALU_DEP_2) | instskip(NEXT) | instid1(VALU_DEP_2)
	v_fma_f64 v[9:10], v[3:4], v[7:8], -v[11:12]
	v_fma_f64 v[11:12], v[1:2], v[7:8], v[15:16]
	scratch_store_b128 off, v[9:12], off offset:560
.LBB123_155:
	s_or_b32 exec_lo, exec_lo, s2
	s_waitcnt_vscnt null, 0x0
	s_barrier
	buffer_gl0_inv
	scratch_load_b128 v[1:4], v24, off
	s_mov_b32 s2, exec_lo
	s_waitcnt vmcnt(0)
	ds_store_b128 v5, v[1:4]
	s_waitcnt lgkmcnt(0)
	s_barrier
	buffer_gl0_inv
	v_cmpx_gt_u32_e32 36, v166
	s_cbranch_execz .LBB123_159
; %bb.156:
	v_dual_mov_b32 v1, 0 :: v_dual_add_nc_u32 v8, 0x3c0, v13
	v_dual_mov_b32 v2, 0 :: v_dual_add_nc_u32 v7, -1, v166
	v_or_b32_e32 v9, 8, v14
	s_mov_b32 s3, 0
	s_delay_alu instid0(VALU_DEP_2)
	v_dual_mov_b32 v4, v2 :: v_dual_mov_b32 v3, v1
	.p2align	6
.LBB123_157:                            ; =>This Inner Loop Header: Depth=1
	scratch_load_b128 v[15:18], v9, off offset:-8
	ds_load_b128 v[19:22], v8
	v_add_nc_u32_e32 v7, 1, v7
	v_add_nc_u32_e32 v8, 16, v8
	;; [unrolled: 1-line block ×3, first 2 shown]
	s_delay_alu instid0(VALU_DEP_3) | instskip(SKIP_4) | instid1(VALU_DEP_2)
	v_cmp_lt_u32_e32 vcc_lo, 34, v7
	s_or_b32 s3, vcc_lo, s3
	s_waitcnt vmcnt(0) lgkmcnt(0)
	v_mul_f64 v[10:11], v[21:22], v[17:18]
	v_mul_f64 v[17:18], v[19:20], v[17:18]
	v_fma_f64 v[10:11], v[19:20], v[15:16], -v[10:11]
	s_delay_alu instid0(VALU_DEP_2) | instskip(NEXT) | instid1(VALU_DEP_2)
	v_fma_f64 v[15:16], v[21:22], v[15:16], v[17:18]
	v_add_f64 v[3:4], v[3:4], v[10:11]
	s_delay_alu instid0(VALU_DEP_2)
	v_add_f64 v[1:2], v[1:2], v[15:16]
	s_and_not1_b32 exec_lo, exec_lo, s3
	s_cbranch_execnz .LBB123_157
; %bb.158:
	s_or_b32 exec_lo, exec_lo, s3
	v_mov_b32_e32 v7, 0
	ds_load_b128 v[7:10], v7 offset:576
	s_waitcnt lgkmcnt(0)
	v_mul_f64 v[11:12], v[1:2], v[9:10]
	v_mul_f64 v[15:16], v[3:4], v[9:10]
	s_delay_alu instid0(VALU_DEP_2) | instskip(NEXT) | instid1(VALU_DEP_2)
	v_fma_f64 v[9:10], v[3:4], v[7:8], -v[11:12]
	v_fma_f64 v[11:12], v[1:2], v[7:8], v[15:16]
	scratch_store_b128 off, v[9:12], off offset:576
.LBB123_159:
	s_or_b32 exec_lo, exec_lo, s2
	s_waitcnt_vscnt null, 0x0
	s_barrier
	buffer_gl0_inv
	scratch_load_b128 v[1:4], v23, off
	s_mov_b32 s2, exec_lo
	s_waitcnt vmcnt(0)
	ds_store_b128 v5, v[1:4]
	s_waitcnt lgkmcnt(0)
	s_barrier
	buffer_gl0_inv
	v_cmpx_gt_u32_e32 37, v166
	s_cbranch_execz .LBB123_163
; %bb.160:
	v_dual_mov_b32 v1, 0 :: v_dual_add_nc_u32 v8, 0x3c0, v13
	v_dual_mov_b32 v2, 0 :: v_dual_add_nc_u32 v7, -1, v166
	v_or_b32_e32 v9, 8, v14
	s_mov_b32 s3, 0
	s_delay_alu instid0(VALU_DEP_2)
	v_dual_mov_b32 v4, v2 :: v_dual_mov_b32 v3, v1
	.p2align	6
.LBB123_161:                            ; =>This Inner Loop Header: Depth=1
	scratch_load_b128 v[15:18], v9, off offset:-8
	ds_load_b128 v[19:22], v8
	v_add_nc_u32_e32 v7, 1, v7
	v_add_nc_u32_e32 v8, 16, v8
	;; [unrolled: 1-line block ×3, first 2 shown]
	s_delay_alu instid0(VALU_DEP_3) | instskip(SKIP_4) | instid1(VALU_DEP_2)
	v_cmp_lt_u32_e32 vcc_lo, 35, v7
	s_or_b32 s3, vcc_lo, s3
	s_waitcnt vmcnt(0) lgkmcnt(0)
	v_mul_f64 v[10:11], v[21:22], v[17:18]
	v_mul_f64 v[17:18], v[19:20], v[17:18]
	v_fma_f64 v[10:11], v[19:20], v[15:16], -v[10:11]
	s_delay_alu instid0(VALU_DEP_2) | instskip(NEXT) | instid1(VALU_DEP_2)
	v_fma_f64 v[15:16], v[21:22], v[15:16], v[17:18]
	v_add_f64 v[3:4], v[3:4], v[10:11]
	s_delay_alu instid0(VALU_DEP_2)
	v_add_f64 v[1:2], v[1:2], v[15:16]
	s_and_not1_b32 exec_lo, exec_lo, s3
	s_cbranch_execnz .LBB123_161
; %bb.162:
	s_or_b32 exec_lo, exec_lo, s3
	v_mov_b32_e32 v7, 0
	ds_load_b128 v[7:10], v7 offset:592
	s_waitcnt lgkmcnt(0)
	v_mul_f64 v[11:12], v[1:2], v[9:10]
	v_mul_f64 v[15:16], v[3:4], v[9:10]
	s_delay_alu instid0(VALU_DEP_2) | instskip(NEXT) | instid1(VALU_DEP_2)
	v_fma_f64 v[9:10], v[3:4], v[7:8], -v[11:12]
	v_fma_f64 v[11:12], v[1:2], v[7:8], v[15:16]
	scratch_store_b128 off, v[9:12], off offset:592
.LBB123_163:
	s_or_b32 exec_lo, exec_lo, s2
	s_waitcnt_vscnt null, 0x0
	s_barrier
	buffer_gl0_inv
	scratch_load_b128 v[1:4], v223, off
	s_mov_b32 s2, exec_lo
	s_waitcnt vmcnt(0)
	ds_store_b128 v5, v[1:4]
	s_waitcnt lgkmcnt(0)
	s_barrier
	buffer_gl0_inv
	v_cmpx_gt_u32_e32 38, v166
	s_cbranch_execz .LBB123_167
; %bb.164:
	v_dual_mov_b32 v1, 0 :: v_dual_add_nc_u32 v8, 0x3c0, v13
	v_dual_mov_b32 v2, 0 :: v_dual_add_nc_u32 v7, -1, v166
	v_or_b32_e32 v9, 8, v14
	s_mov_b32 s3, 0
	s_delay_alu instid0(VALU_DEP_2)
	v_dual_mov_b32 v4, v2 :: v_dual_mov_b32 v3, v1
	.p2align	6
.LBB123_165:                            ; =>This Inner Loop Header: Depth=1
	scratch_load_b128 v[15:18], v9, off offset:-8
	ds_load_b128 v[19:22], v8
	v_add_nc_u32_e32 v7, 1, v7
	v_add_nc_u32_e32 v8, 16, v8
	;; [unrolled: 1-line block ×3, first 2 shown]
	s_delay_alu instid0(VALU_DEP_3) | instskip(SKIP_4) | instid1(VALU_DEP_2)
	v_cmp_lt_u32_e32 vcc_lo, 36, v7
	s_or_b32 s3, vcc_lo, s3
	s_waitcnt vmcnt(0) lgkmcnt(0)
	v_mul_f64 v[10:11], v[21:22], v[17:18]
	v_mul_f64 v[17:18], v[19:20], v[17:18]
	v_fma_f64 v[10:11], v[19:20], v[15:16], -v[10:11]
	s_delay_alu instid0(VALU_DEP_2) | instskip(NEXT) | instid1(VALU_DEP_2)
	v_fma_f64 v[15:16], v[21:22], v[15:16], v[17:18]
	v_add_f64 v[3:4], v[3:4], v[10:11]
	s_delay_alu instid0(VALU_DEP_2)
	v_add_f64 v[1:2], v[1:2], v[15:16]
	s_and_not1_b32 exec_lo, exec_lo, s3
	s_cbranch_execnz .LBB123_165
; %bb.166:
	s_or_b32 exec_lo, exec_lo, s3
	v_mov_b32_e32 v7, 0
	ds_load_b128 v[7:10], v7 offset:608
	s_waitcnt lgkmcnt(0)
	v_mul_f64 v[11:12], v[1:2], v[9:10]
	v_mul_f64 v[15:16], v[3:4], v[9:10]
	s_delay_alu instid0(VALU_DEP_2) | instskip(NEXT) | instid1(VALU_DEP_2)
	v_fma_f64 v[9:10], v[3:4], v[7:8], -v[11:12]
	v_fma_f64 v[11:12], v[1:2], v[7:8], v[15:16]
	scratch_store_b128 off, v[9:12], off offset:608
.LBB123_167:
	s_or_b32 exec_lo, exec_lo, s2
	s_waitcnt_vscnt null, 0x0
	s_barrier
	buffer_gl0_inv
	scratch_load_b128 v[1:4], v224, off
	s_mov_b32 s2, exec_lo
	s_waitcnt vmcnt(0)
	ds_store_b128 v5, v[1:4]
	s_waitcnt lgkmcnt(0)
	s_barrier
	buffer_gl0_inv
	v_cmpx_gt_u32_e32 39, v166
	s_cbranch_execz .LBB123_171
; %bb.168:
	v_dual_mov_b32 v1, 0 :: v_dual_add_nc_u32 v8, 0x3c0, v13
	v_dual_mov_b32 v2, 0 :: v_dual_add_nc_u32 v7, -1, v166
	v_or_b32_e32 v9, 8, v14
	s_mov_b32 s3, 0
	s_delay_alu instid0(VALU_DEP_2)
	v_dual_mov_b32 v4, v2 :: v_dual_mov_b32 v3, v1
	.p2align	6
.LBB123_169:                            ; =>This Inner Loop Header: Depth=1
	scratch_load_b128 v[15:18], v9, off offset:-8
	ds_load_b128 v[19:22], v8
	v_add_nc_u32_e32 v7, 1, v7
	v_add_nc_u32_e32 v8, 16, v8
	;; [unrolled: 1-line block ×3, first 2 shown]
	s_delay_alu instid0(VALU_DEP_3) | instskip(SKIP_4) | instid1(VALU_DEP_2)
	v_cmp_lt_u32_e32 vcc_lo, 37, v7
	s_or_b32 s3, vcc_lo, s3
	s_waitcnt vmcnt(0) lgkmcnt(0)
	v_mul_f64 v[10:11], v[21:22], v[17:18]
	v_mul_f64 v[17:18], v[19:20], v[17:18]
	v_fma_f64 v[10:11], v[19:20], v[15:16], -v[10:11]
	s_delay_alu instid0(VALU_DEP_2) | instskip(NEXT) | instid1(VALU_DEP_2)
	v_fma_f64 v[15:16], v[21:22], v[15:16], v[17:18]
	v_add_f64 v[3:4], v[3:4], v[10:11]
	s_delay_alu instid0(VALU_DEP_2)
	v_add_f64 v[1:2], v[1:2], v[15:16]
	s_and_not1_b32 exec_lo, exec_lo, s3
	s_cbranch_execnz .LBB123_169
; %bb.170:
	s_or_b32 exec_lo, exec_lo, s3
	v_mov_b32_e32 v7, 0
	ds_load_b128 v[7:10], v7 offset:624
	s_waitcnt lgkmcnt(0)
	v_mul_f64 v[11:12], v[1:2], v[9:10]
	v_mul_f64 v[15:16], v[3:4], v[9:10]
	s_delay_alu instid0(VALU_DEP_2) | instskip(NEXT) | instid1(VALU_DEP_2)
	v_fma_f64 v[9:10], v[3:4], v[7:8], -v[11:12]
	v_fma_f64 v[11:12], v[1:2], v[7:8], v[15:16]
	scratch_store_b128 off, v[9:12], off offset:624
.LBB123_171:
	s_or_b32 exec_lo, exec_lo, s2
	s_waitcnt_vscnt null, 0x0
	s_barrier
	buffer_gl0_inv
	scratch_load_b128 v[1:4], v79, off
	s_mov_b32 s2, exec_lo
	s_waitcnt vmcnt(0)
	ds_store_b128 v5, v[1:4]
	s_waitcnt lgkmcnt(0)
	s_barrier
	buffer_gl0_inv
	v_cmpx_gt_u32_e32 40, v166
	s_cbranch_execz .LBB123_175
; %bb.172:
	v_dual_mov_b32 v1, 0 :: v_dual_add_nc_u32 v8, 0x3c0, v13
	v_dual_mov_b32 v2, 0 :: v_dual_add_nc_u32 v7, -1, v166
	v_or_b32_e32 v9, 8, v14
	s_mov_b32 s3, 0
	s_delay_alu instid0(VALU_DEP_2)
	v_dual_mov_b32 v4, v2 :: v_dual_mov_b32 v3, v1
	.p2align	6
.LBB123_173:                            ; =>This Inner Loop Header: Depth=1
	scratch_load_b128 v[15:18], v9, off offset:-8
	ds_load_b128 v[19:22], v8
	v_add_nc_u32_e32 v7, 1, v7
	v_add_nc_u32_e32 v8, 16, v8
	;; [unrolled: 1-line block ×3, first 2 shown]
	s_delay_alu instid0(VALU_DEP_3) | instskip(SKIP_4) | instid1(VALU_DEP_2)
	v_cmp_lt_u32_e32 vcc_lo, 38, v7
	s_or_b32 s3, vcc_lo, s3
	s_waitcnt vmcnt(0) lgkmcnt(0)
	v_mul_f64 v[10:11], v[21:22], v[17:18]
	v_mul_f64 v[17:18], v[19:20], v[17:18]
	v_fma_f64 v[10:11], v[19:20], v[15:16], -v[10:11]
	s_delay_alu instid0(VALU_DEP_2) | instskip(NEXT) | instid1(VALU_DEP_2)
	v_fma_f64 v[15:16], v[21:22], v[15:16], v[17:18]
	v_add_f64 v[3:4], v[3:4], v[10:11]
	s_delay_alu instid0(VALU_DEP_2)
	v_add_f64 v[1:2], v[1:2], v[15:16]
	s_and_not1_b32 exec_lo, exec_lo, s3
	s_cbranch_execnz .LBB123_173
; %bb.174:
	s_or_b32 exec_lo, exec_lo, s3
	v_mov_b32_e32 v7, 0
	ds_load_b128 v[7:10], v7 offset:640
	s_waitcnt lgkmcnt(0)
	v_mul_f64 v[11:12], v[1:2], v[9:10]
	v_mul_f64 v[15:16], v[3:4], v[9:10]
	s_delay_alu instid0(VALU_DEP_2) | instskip(NEXT) | instid1(VALU_DEP_2)
	v_fma_f64 v[9:10], v[3:4], v[7:8], -v[11:12]
	v_fma_f64 v[11:12], v[1:2], v[7:8], v[15:16]
	scratch_store_b128 off, v[9:12], off offset:640
.LBB123_175:
	s_or_b32 exec_lo, exec_lo, s2
	s_waitcnt_vscnt null, 0x0
	s_barrier
	buffer_gl0_inv
	scratch_load_b128 v[1:4], v175, off
	s_mov_b32 s2, exec_lo
	s_waitcnt vmcnt(0)
	ds_store_b128 v5, v[1:4]
	s_waitcnt lgkmcnt(0)
	s_barrier
	buffer_gl0_inv
	v_cmpx_gt_u32_e32 41, v166
	s_cbranch_execz .LBB123_179
; %bb.176:
	v_dual_mov_b32 v1, 0 :: v_dual_add_nc_u32 v8, 0x3c0, v13
	v_dual_mov_b32 v2, 0 :: v_dual_add_nc_u32 v7, -1, v166
	v_or_b32_e32 v9, 8, v14
	s_mov_b32 s3, 0
	s_delay_alu instid0(VALU_DEP_2)
	v_dual_mov_b32 v4, v2 :: v_dual_mov_b32 v3, v1
	.p2align	6
.LBB123_177:                            ; =>This Inner Loop Header: Depth=1
	scratch_load_b128 v[15:18], v9, off offset:-8
	ds_load_b128 v[19:22], v8
	v_add_nc_u32_e32 v7, 1, v7
	v_add_nc_u32_e32 v8, 16, v8
	;; [unrolled: 1-line block ×3, first 2 shown]
	s_delay_alu instid0(VALU_DEP_3) | instskip(SKIP_4) | instid1(VALU_DEP_2)
	v_cmp_lt_u32_e32 vcc_lo, 39, v7
	s_or_b32 s3, vcc_lo, s3
	s_waitcnt vmcnt(0) lgkmcnt(0)
	v_mul_f64 v[10:11], v[21:22], v[17:18]
	v_mul_f64 v[17:18], v[19:20], v[17:18]
	v_fma_f64 v[10:11], v[19:20], v[15:16], -v[10:11]
	s_delay_alu instid0(VALU_DEP_2) | instskip(NEXT) | instid1(VALU_DEP_2)
	v_fma_f64 v[15:16], v[21:22], v[15:16], v[17:18]
	v_add_f64 v[3:4], v[3:4], v[10:11]
	s_delay_alu instid0(VALU_DEP_2)
	v_add_f64 v[1:2], v[1:2], v[15:16]
	s_and_not1_b32 exec_lo, exec_lo, s3
	s_cbranch_execnz .LBB123_177
; %bb.178:
	s_or_b32 exec_lo, exec_lo, s3
	v_mov_b32_e32 v7, 0
	ds_load_b128 v[7:10], v7 offset:656
	s_waitcnt lgkmcnt(0)
	v_mul_f64 v[11:12], v[1:2], v[9:10]
	v_mul_f64 v[15:16], v[3:4], v[9:10]
	s_delay_alu instid0(VALU_DEP_2) | instskip(NEXT) | instid1(VALU_DEP_2)
	v_fma_f64 v[9:10], v[3:4], v[7:8], -v[11:12]
	v_fma_f64 v[11:12], v[1:2], v[7:8], v[15:16]
	scratch_store_b128 off, v[9:12], off offset:656
.LBB123_179:
	s_or_b32 exec_lo, exec_lo, s2
	s_waitcnt_vscnt null, 0x0
	s_barrier
	buffer_gl0_inv
	scratch_load_b128 v[1:4], v197, off
	s_mov_b32 s2, exec_lo
	s_waitcnt vmcnt(0)
	ds_store_b128 v5, v[1:4]
	s_waitcnt lgkmcnt(0)
	s_barrier
	buffer_gl0_inv
	v_cmpx_gt_u32_e32 42, v166
	s_cbranch_execz .LBB123_183
; %bb.180:
	v_dual_mov_b32 v1, 0 :: v_dual_add_nc_u32 v8, 0x3c0, v13
	v_dual_mov_b32 v2, 0 :: v_dual_add_nc_u32 v7, -1, v166
	v_or_b32_e32 v9, 8, v14
	s_mov_b32 s3, 0
	s_delay_alu instid0(VALU_DEP_2)
	v_dual_mov_b32 v4, v2 :: v_dual_mov_b32 v3, v1
	.p2align	6
.LBB123_181:                            ; =>This Inner Loop Header: Depth=1
	scratch_load_b128 v[15:18], v9, off offset:-8
	ds_load_b128 v[19:22], v8
	v_add_nc_u32_e32 v7, 1, v7
	v_add_nc_u32_e32 v8, 16, v8
	;; [unrolled: 1-line block ×3, first 2 shown]
	s_delay_alu instid0(VALU_DEP_3) | instskip(SKIP_4) | instid1(VALU_DEP_2)
	v_cmp_lt_u32_e32 vcc_lo, 40, v7
	s_or_b32 s3, vcc_lo, s3
	s_waitcnt vmcnt(0) lgkmcnt(0)
	v_mul_f64 v[10:11], v[21:22], v[17:18]
	v_mul_f64 v[17:18], v[19:20], v[17:18]
	v_fma_f64 v[10:11], v[19:20], v[15:16], -v[10:11]
	s_delay_alu instid0(VALU_DEP_2) | instskip(NEXT) | instid1(VALU_DEP_2)
	v_fma_f64 v[15:16], v[21:22], v[15:16], v[17:18]
	v_add_f64 v[3:4], v[3:4], v[10:11]
	s_delay_alu instid0(VALU_DEP_2)
	v_add_f64 v[1:2], v[1:2], v[15:16]
	s_and_not1_b32 exec_lo, exec_lo, s3
	s_cbranch_execnz .LBB123_181
; %bb.182:
	s_or_b32 exec_lo, exec_lo, s3
	v_mov_b32_e32 v7, 0
	ds_load_b128 v[7:10], v7 offset:672
	s_waitcnt lgkmcnt(0)
	v_mul_f64 v[11:12], v[1:2], v[9:10]
	v_mul_f64 v[15:16], v[3:4], v[9:10]
	s_delay_alu instid0(VALU_DEP_2) | instskip(NEXT) | instid1(VALU_DEP_2)
	v_fma_f64 v[9:10], v[3:4], v[7:8], -v[11:12]
	v_fma_f64 v[11:12], v[1:2], v[7:8], v[15:16]
	scratch_store_b128 off, v[9:12], off offset:672
.LBB123_183:
	s_or_b32 exec_lo, exec_lo, s2
	s_waitcnt_vscnt null, 0x0
	s_barrier
	buffer_gl0_inv
	scratch_load_b128 v[1:4], v196, off
	s_mov_b32 s2, exec_lo
	s_waitcnt vmcnt(0)
	ds_store_b128 v5, v[1:4]
	s_waitcnt lgkmcnt(0)
	s_barrier
	buffer_gl0_inv
	v_cmpx_gt_u32_e32 43, v166
	s_cbranch_execz .LBB123_187
; %bb.184:
	v_dual_mov_b32 v1, 0 :: v_dual_add_nc_u32 v8, 0x3c0, v13
	v_dual_mov_b32 v2, 0 :: v_dual_add_nc_u32 v7, -1, v166
	v_or_b32_e32 v9, 8, v14
	s_mov_b32 s3, 0
	s_delay_alu instid0(VALU_DEP_2)
	v_dual_mov_b32 v4, v2 :: v_dual_mov_b32 v3, v1
	.p2align	6
.LBB123_185:                            ; =>This Inner Loop Header: Depth=1
	scratch_load_b128 v[15:18], v9, off offset:-8
	ds_load_b128 v[19:22], v8
	v_add_nc_u32_e32 v7, 1, v7
	v_add_nc_u32_e32 v8, 16, v8
	;; [unrolled: 1-line block ×3, first 2 shown]
	s_delay_alu instid0(VALU_DEP_3) | instskip(SKIP_4) | instid1(VALU_DEP_2)
	v_cmp_lt_u32_e32 vcc_lo, 41, v7
	s_or_b32 s3, vcc_lo, s3
	s_waitcnt vmcnt(0) lgkmcnt(0)
	v_mul_f64 v[10:11], v[21:22], v[17:18]
	v_mul_f64 v[17:18], v[19:20], v[17:18]
	v_fma_f64 v[10:11], v[19:20], v[15:16], -v[10:11]
	s_delay_alu instid0(VALU_DEP_2) | instskip(NEXT) | instid1(VALU_DEP_2)
	v_fma_f64 v[15:16], v[21:22], v[15:16], v[17:18]
	v_add_f64 v[3:4], v[3:4], v[10:11]
	s_delay_alu instid0(VALU_DEP_2)
	v_add_f64 v[1:2], v[1:2], v[15:16]
	s_and_not1_b32 exec_lo, exec_lo, s3
	s_cbranch_execnz .LBB123_185
; %bb.186:
	s_or_b32 exec_lo, exec_lo, s3
	v_mov_b32_e32 v7, 0
	ds_load_b128 v[7:10], v7 offset:688
	s_waitcnt lgkmcnt(0)
	v_mul_f64 v[11:12], v[1:2], v[9:10]
	v_mul_f64 v[15:16], v[3:4], v[9:10]
	s_delay_alu instid0(VALU_DEP_2) | instskip(NEXT) | instid1(VALU_DEP_2)
	v_fma_f64 v[9:10], v[3:4], v[7:8], -v[11:12]
	v_fma_f64 v[11:12], v[1:2], v[7:8], v[15:16]
	scratch_store_b128 off, v[9:12], off offset:688
.LBB123_187:
	s_or_b32 exec_lo, exec_lo, s2
	s_waitcnt_vscnt null, 0x0
	s_barrier
	buffer_gl0_inv
	scratch_load_b128 v[1:4], v193, off
	s_mov_b32 s2, exec_lo
	s_waitcnt vmcnt(0)
	ds_store_b128 v5, v[1:4]
	s_waitcnt lgkmcnt(0)
	s_barrier
	buffer_gl0_inv
	v_cmpx_gt_u32_e32 44, v166
	s_cbranch_execz .LBB123_191
; %bb.188:
	v_dual_mov_b32 v1, 0 :: v_dual_add_nc_u32 v8, 0x3c0, v13
	v_dual_mov_b32 v2, 0 :: v_dual_add_nc_u32 v7, -1, v166
	v_or_b32_e32 v9, 8, v14
	s_mov_b32 s3, 0
	s_delay_alu instid0(VALU_DEP_2)
	v_dual_mov_b32 v4, v2 :: v_dual_mov_b32 v3, v1
	.p2align	6
.LBB123_189:                            ; =>This Inner Loop Header: Depth=1
	scratch_load_b128 v[15:18], v9, off offset:-8
	ds_load_b128 v[19:22], v8
	v_add_nc_u32_e32 v7, 1, v7
	v_add_nc_u32_e32 v8, 16, v8
	;; [unrolled: 1-line block ×3, first 2 shown]
	s_delay_alu instid0(VALU_DEP_3) | instskip(SKIP_4) | instid1(VALU_DEP_2)
	v_cmp_lt_u32_e32 vcc_lo, 42, v7
	s_or_b32 s3, vcc_lo, s3
	s_waitcnt vmcnt(0) lgkmcnt(0)
	v_mul_f64 v[10:11], v[21:22], v[17:18]
	v_mul_f64 v[17:18], v[19:20], v[17:18]
	v_fma_f64 v[10:11], v[19:20], v[15:16], -v[10:11]
	s_delay_alu instid0(VALU_DEP_2) | instskip(NEXT) | instid1(VALU_DEP_2)
	v_fma_f64 v[15:16], v[21:22], v[15:16], v[17:18]
	v_add_f64 v[3:4], v[3:4], v[10:11]
	s_delay_alu instid0(VALU_DEP_2)
	v_add_f64 v[1:2], v[1:2], v[15:16]
	s_and_not1_b32 exec_lo, exec_lo, s3
	s_cbranch_execnz .LBB123_189
; %bb.190:
	s_or_b32 exec_lo, exec_lo, s3
	v_mov_b32_e32 v7, 0
	ds_load_b128 v[7:10], v7 offset:704
	s_waitcnt lgkmcnt(0)
	v_mul_f64 v[11:12], v[1:2], v[9:10]
	v_mul_f64 v[15:16], v[3:4], v[9:10]
	s_delay_alu instid0(VALU_DEP_2) | instskip(NEXT) | instid1(VALU_DEP_2)
	v_fma_f64 v[9:10], v[3:4], v[7:8], -v[11:12]
	v_fma_f64 v[11:12], v[1:2], v[7:8], v[15:16]
	scratch_store_b128 off, v[9:12], off offset:704
.LBB123_191:
	s_or_b32 exec_lo, exec_lo, s2
	s_waitcnt_vscnt null, 0x0
	s_barrier
	buffer_gl0_inv
	scratch_load_b128 v[1:4], v192, off
	s_mov_b32 s2, exec_lo
	s_waitcnt vmcnt(0)
	ds_store_b128 v5, v[1:4]
	s_waitcnt lgkmcnt(0)
	s_barrier
	buffer_gl0_inv
	v_cmpx_gt_u32_e32 45, v166
	s_cbranch_execz .LBB123_195
; %bb.192:
	v_dual_mov_b32 v1, 0 :: v_dual_add_nc_u32 v8, 0x3c0, v13
	v_dual_mov_b32 v2, 0 :: v_dual_add_nc_u32 v7, -1, v166
	v_or_b32_e32 v9, 8, v14
	s_mov_b32 s3, 0
	s_delay_alu instid0(VALU_DEP_2)
	v_dual_mov_b32 v4, v2 :: v_dual_mov_b32 v3, v1
	.p2align	6
.LBB123_193:                            ; =>This Inner Loop Header: Depth=1
	scratch_load_b128 v[15:18], v9, off offset:-8
	ds_load_b128 v[19:22], v8
	v_add_nc_u32_e32 v7, 1, v7
	v_add_nc_u32_e32 v8, 16, v8
	;; [unrolled: 1-line block ×3, first 2 shown]
	s_delay_alu instid0(VALU_DEP_3) | instskip(SKIP_4) | instid1(VALU_DEP_2)
	v_cmp_lt_u32_e32 vcc_lo, 43, v7
	s_or_b32 s3, vcc_lo, s3
	s_waitcnt vmcnt(0) lgkmcnt(0)
	v_mul_f64 v[10:11], v[21:22], v[17:18]
	v_mul_f64 v[17:18], v[19:20], v[17:18]
	v_fma_f64 v[10:11], v[19:20], v[15:16], -v[10:11]
	s_delay_alu instid0(VALU_DEP_2) | instskip(NEXT) | instid1(VALU_DEP_2)
	v_fma_f64 v[15:16], v[21:22], v[15:16], v[17:18]
	v_add_f64 v[3:4], v[3:4], v[10:11]
	s_delay_alu instid0(VALU_DEP_2)
	v_add_f64 v[1:2], v[1:2], v[15:16]
	s_and_not1_b32 exec_lo, exec_lo, s3
	s_cbranch_execnz .LBB123_193
; %bb.194:
	s_or_b32 exec_lo, exec_lo, s3
	v_mov_b32_e32 v7, 0
	ds_load_b128 v[7:10], v7 offset:720
	s_waitcnt lgkmcnt(0)
	v_mul_f64 v[11:12], v[1:2], v[9:10]
	v_mul_f64 v[15:16], v[3:4], v[9:10]
	s_delay_alu instid0(VALU_DEP_2) | instskip(NEXT) | instid1(VALU_DEP_2)
	v_fma_f64 v[9:10], v[3:4], v[7:8], -v[11:12]
	v_fma_f64 v[11:12], v[1:2], v[7:8], v[15:16]
	scratch_store_b128 off, v[9:12], off offset:720
.LBB123_195:
	s_or_b32 exec_lo, exec_lo, s2
	s_waitcnt_vscnt null, 0x0
	s_barrier
	buffer_gl0_inv
	scratch_load_b128 v[1:4], v189, off
	s_mov_b32 s2, exec_lo
	s_waitcnt vmcnt(0)
	ds_store_b128 v5, v[1:4]
	s_waitcnt lgkmcnt(0)
	s_barrier
	buffer_gl0_inv
	v_cmpx_gt_u32_e32 46, v166
	s_cbranch_execz .LBB123_199
; %bb.196:
	v_dual_mov_b32 v1, 0 :: v_dual_add_nc_u32 v8, 0x3c0, v13
	v_dual_mov_b32 v2, 0 :: v_dual_add_nc_u32 v7, -1, v166
	v_or_b32_e32 v9, 8, v14
	s_mov_b32 s3, 0
	s_delay_alu instid0(VALU_DEP_2)
	v_dual_mov_b32 v4, v2 :: v_dual_mov_b32 v3, v1
	.p2align	6
.LBB123_197:                            ; =>This Inner Loop Header: Depth=1
	scratch_load_b128 v[15:18], v9, off offset:-8
	ds_load_b128 v[19:22], v8
	v_add_nc_u32_e32 v7, 1, v7
	v_add_nc_u32_e32 v8, 16, v8
	;; [unrolled: 1-line block ×3, first 2 shown]
	s_delay_alu instid0(VALU_DEP_3) | instskip(SKIP_4) | instid1(VALU_DEP_2)
	v_cmp_lt_u32_e32 vcc_lo, 44, v7
	s_or_b32 s3, vcc_lo, s3
	s_waitcnt vmcnt(0) lgkmcnt(0)
	v_mul_f64 v[10:11], v[21:22], v[17:18]
	v_mul_f64 v[17:18], v[19:20], v[17:18]
	v_fma_f64 v[10:11], v[19:20], v[15:16], -v[10:11]
	s_delay_alu instid0(VALU_DEP_2) | instskip(NEXT) | instid1(VALU_DEP_2)
	v_fma_f64 v[15:16], v[21:22], v[15:16], v[17:18]
	v_add_f64 v[3:4], v[3:4], v[10:11]
	s_delay_alu instid0(VALU_DEP_2)
	v_add_f64 v[1:2], v[1:2], v[15:16]
	s_and_not1_b32 exec_lo, exec_lo, s3
	s_cbranch_execnz .LBB123_197
; %bb.198:
	s_or_b32 exec_lo, exec_lo, s3
	v_mov_b32_e32 v7, 0
	ds_load_b128 v[7:10], v7 offset:736
	s_waitcnt lgkmcnt(0)
	v_mul_f64 v[11:12], v[1:2], v[9:10]
	v_mul_f64 v[15:16], v[3:4], v[9:10]
	s_delay_alu instid0(VALU_DEP_2) | instskip(NEXT) | instid1(VALU_DEP_2)
	v_fma_f64 v[9:10], v[3:4], v[7:8], -v[11:12]
	v_fma_f64 v[11:12], v[1:2], v[7:8], v[15:16]
	scratch_store_b128 off, v[9:12], off offset:736
.LBB123_199:
	s_or_b32 exec_lo, exec_lo, s2
	s_waitcnt_vscnt null, 0x0
	s_barrier
	buffer_gl0_inv
	scratch_load_b128 v[1:4], v174, off
	s_mov_b32 s2, exec_lo
	s_waitcnt vmcnt(0)
	ds_store_b128 v5, v[1:4]
	s_waitcnt lgkmcnt(0)
	s_barrier
	buffer_gl0_inv
	v_cmpx_gt_u32_e32 47, v166
	s_cbranch_execz .LBB123_203
; %bb.200:
	v_dual_mov_b32 v1, 0 :: v_dual_add_nc_u32 v8, 0x3c0, v13
	v_dual_mov_b32 v2, 0 :: v_dual_add_nc_u32 v7, -1, v166
	v_or_b32_e32 v9, 8, v14
	s_mov_b32 s3, 0
	s_delay_alu instid0(VALU_DEP_2)
	v_dual_mov_b32 v4, v2 :: v_dual_mov_b32 v3, v1
	.p2align	6
.LBB123_201:                            ; =>This Inner Loop Header: Depth=1
	scratch_load_b128 v[15:18], v9, off offset:-8
	ds_load_b128 v[19:22], v8
	v_add_nc_u32_e32 v7, 1, v7
	v_add_nc_u32_e32 v8, 16, v8
	;; [unrolled: 1-line block ×3, first 2 shown]
	s_delay_alu instid0(VALU_DEP_3) | instskip(SKIP_4) | instid1(VALU_DEP_2)
	v_cmp_lt_u32_e32 vcc_lo, 45, v7
	s_or_b32 s3, vcc_lo, s3
	s_waitcnt vmcnt(0) lgkmcnt(0)
	v_mul_f64 v[10:11], v[21:22], v[17:18]
	v_mul_f64 v[17:18], v[19:20], v[17:18]
	v_fma_f64 v[10:11], v[19:20], v[15:16], -v[10:11]
	s_delay_alu instid0(VALU_DEP_2) | instskip(NEXT) | instid1(VALU_DEP_2)
	v_fma_f64 v[15:16], v[21:22], v[15:16], v[17:18]
	v_add_f64 v[3:4], v[3:4], v[10:11]
	s_delay_alu instid0(VALU_DEP_2)
	v_add_f64 v[1:2], v[1:2], v[15:16]
	s_and_not1_b32 exec_lo, exec_lo, s3
	s_cbranch_execnz .LBB123_201
; %bb.202:
	s_or_b32 exec_lo, exec_lo, s3
	v_mov_b32_e32 v7, 0
	ds_load_b128 v[7:10], v7 offset:752
	s_waitcnt lgkmcnt(0)
	v_mul_f64 v[11:12], v[1:2], v[9:10]
	v_mul_f64 v[15:16], v[3:4], v[9:10]
	s_delay_alu instid0(VALU_DEP_2) | instskip(NEXT) | instid1(VALU_DEP_2)
	v_fma_f64 v[9:10], v[3:4], v[7:8], -v[11:12]
	v_fma_f64 v[11:12], v[1:2], v[7:8], v[15:16]
	scratch_store_b128 off, v[9:12], off offset:752
.LBB123_203:
	s_or_b32 exec_lo, exec_lo, s2
	s_waitcnt_vscnt null, 0x0
	s_barrier
	buffer_gl0_inv
	scratch_load_b128 v[1:4], v173, off
	s_mov_b32 s2, exec_lo
	s_waitcnt vmcnt(0)
	ds_store_b128 v5, v[1:4]
	s_waitcnt lgkmcnt(0)
	s_barrier
	buffer_gl0_inv
	v_cmpx_gt_u32_e32 48, v166
	s_cbranch_execz .LBB123_207
; %bb.204:
	v_dual_mov_b32 v1, 0 :: v_dual_add_nc_u32 v8, 0x3c0, v13
	v_dual_mov_b32 v2, 0 :: v_dual_add_nc_u32 v7, -1, v166
	v_or_b32_e32 v9, 8, v14
	s_mov_b32 s3, 0
	s_delay_alu instid0(VALU_DEP_2)
	v_dual_mov_b32 v4, v2 :: v_dual_mov_b32 v3, v1
	.p2align	6
.LBB123_205:                            ; =>This Inner Loop Header: Depth=1
	scratch_load_b128 v[15:18], v9, off offset:-8
	ds_load_b128 v[19:22], v8
	v_add_nc_u32_e32 v7, 1, v7
	v_add_nc_u32_e32 v8, 16, v8
	;; [unrolled: 1-line block ×3, first 2 shown]
	s_delay_alu instid0(VALU_DEP_3) | instskip(SKIP_4) | instid1(VALU_DEP_2)
	v_cmp_lt_u32_e32 vcc_lo, 46, v7
	s_or_b32 s3, vcc_lo, s3
	s_waitcnt vmcnt(0) lgkmcnt(0)
	v_mul_f64 v[10:11], v[21:22], v[17:18]
	v_mul_f64 v[17:18], v[19:20], v[17:18]
	v_fma_f64 v[10:11], v[19:20], v[15:16], -v[10:11]
	s_delay_alu instid0(VALU_DEP_2) | instskip(NEXT) | instid1(VALU_DEP_2)
	v_fma_f64 v[15:16], v[21:22], v[15:16], v[17:18]
	v_add_f64 v[3:4], v[3:4], v[10:11]
	s_delay_alu instid0(VALU_DEP_2)
	v_add_f64 v[1:2], v[1:2], v[15:16]
	s_and_not1_b32 exec_lo, exec_lo, s3
	s_cbranch_execnz .LBB123_205
; %bb.206:
	s_or_b32 exec_lo, exec_lo, s3
	v_mov_b32_e32 v7, 0
	ds_load_b128 v[7:10], v7 offset:768
	s_waitcnt lgkmcnt(0)
	v_mul_f64 v[11:12], v[1:2], v[9:10]
	v_mul_f64 v[15:16], v[3:4], v[9:10]
	s_delay_alu instid0(VALU_DEP_2) | instskip(NEXT) | instid1(VALU_DEP_2)
	v_fma_f64 v[9:10], v[3:4], v[7:8], -v[11:12]
	v_fma_f64 v[11:12], v[1:2], v[7:8], v[15:16]
	scratch_store_b128 off, v[9:12], off offset:768
.LBB123_207:
	s_or_b32 exec_lo, exec_lo, s2
	s_waitcnt_vscnt null, 0x0
	s_barrier
	buffer_gl0_inv
	scratch_load_b128 v[1:4], v172, off
	s_mov_b32 s2, exec_lo
	s_waitcnt vmcnt(0)
	ds_store_b128 v5, v[1:4]
	s_waitcnt lgkmcnt(0)
	s_barrier
	buffer_gl0_inv
	v_cmpx_gt_u32_e32 49, v166
	s_cbranch_execz .LBB123_211
; %bb.208:
	v_dual_mov_b32 v1, 0 :: v_dual_add_nc_u32 v8, 0x3c0, v13
	v_dual_mov_b32 v2, 0 :: v_dual_add_nc_u32 v7, -1, v166
	v_or_b32_e32 v9, 8, v14
	s_mov_b32 s3, 0
	s_delay_alu instid0(VALU_DEP_2)
	v_dual_mov_b32 v4, v2 :: v_dual_mov_b32 v3, v1
	.p2align	6
.LBB123_209:                            ; =>This Inner Loop Header: Depth=1
	scratch_load_b128 v[15:18], v9, off offset:-8
	ds_load_b128 v[19:22], v8
	v_add_nc_u32_e32 v7, 1, v7
	v_add_nc_u32_e32 v8, 16, v8
	;; [unrolled: 1-line block ×3, first 2 shown]
	s_delay_alu instid0(VALU_DEP_3) | instskip(SKIP_4) | instid1(VALU_DEP_2)
	v_cmp_lt_u32_e32 vcc_lo, 47, v7
	s_or_b32 s3, vcc_lo, s3
	s_waitcnt vmcnt(0) lgkmcnt(0)
	v_mul_f64 v[10:11], v[21:22], v[17:18]
	v_mul_f64 v[17:18], v[19:20], v[17:18]
	v_fma_f64 v[10:11], v[19:20], v[15:16], -v[10:11]
	s_delay_alu instid0(VALU_DEP_2) | instskip(NEXT) | instid1(VALU_DEP_2)
	v_fma_f64 v[15:16], v[21:22], v[15:16], v[17:18]
	v_add_f64 v[3:4], v[3:4], v[10:11]
	s_delay_alu instid0(VALU_DEP_2)
	v_add_f64 v[1:2], v[1:2], v[15:16]
	s_and_not1_b32 exec_lo, exec_lo, s3
	s_cbranch_execnz .LBB123_209
; %bb.210:
	s_or_b32 exec_lo, exec_lo, s3
	v_mov_b32_e32 v7, 0
	ds_load_b128 v[7:10], v7 offset:784
	s_waitcnt lgkmcnt(0)
	v_mul_f64 v[11:12], v[1:2], v[9:10]
	v_mul_f64 v[15:16], v[3:4], v[9:10]
	s_delay_alu instid0(VALU_DEP_2) | instskip(NEXT) | instid1(VALU_DEP_2)
	v_fma_f64 v[9:10], v[3:4], v[7:8], -v[11:12]
	v_fma_f64 v[11:12], v[1:2], v[7:8], v[15:16]
	scratch_store_b128 off, v[9:12], off offset:784
.LBB123_211:
	s_or_b32 exec_lo, exec_lo, s2
	s_waitcnt_vscnt null, 0x0
	s_barrier
	buffer_gl0_inv
	scratch_load_b128 v[1:4], v171, off
	s_mov_b32 s2, exec_lo
	s_waitcnt vmcnt(0)
	ds_store_b128 v5, v[1:4]
	s_waitcnt lgkmcnt(0)
	s_barrier
	buffer_gl0_inv
	v_cmpx_gt_u32_e32 50, v166
	s_cbranch_execz .LBB123_215
; %bb.212:
	v_dual_mov_b32 v1, 0 :: v_dual_add_nc_u32 v8, 0x3c0, v13
	v_dual_mov_b32 v2, 0 :: v_dual_add_nc_u32 v7, -1, v166
	v_or_b32_e32 v9, 8, v14
	s_mov_b32 s3, 0
	s_delay_alu instid0(VALU_DEP_2)
	v_dual_mov_b32 v4, v2 :: v_dual_mov_b32 v3, v1
	.p2align	6
.LBB123_213:                            ; =>This Inner Loop Header: Depth=1
	scratch_load_b128 v[15:18], v9, off offset:-8
	ds_load_b128 v[19:22], v8
	v_add_nc_u32_e32 v7, 1, v7
	v_add_nc_u32_e32 v8, 16, v8
	;; [unrolled: 1-line block ×3, first 2 shown]
	s_delay_alu instid0(VALU_DEP_3) | instskip(SKIP_4) | instid1(VALU_DEP_2)
	v_cmp_lt_u32_e32 vcc_lo, 48, v7
	s_or_b32 s3, vcc_lo, s3
	s_waitcnt vmcnt(0) lgkmcnt(0)
	v_mul_f64 v[10:11], v[21:22], v[17:18]
	v_mul_f64 v[17:18], v[19:20], v[17:18]
	v_fma_f64 v[10:11], v[19:20], v[15:16], -v[10:11]
	s_delay_alu instid0(VALU_DEP_2) | instskip(NEXT) | instid1(VALU_DEP_2)
	v_fma_f64 v[15:16], v[21:22], v[15:16], v[17:18]
	v_add_f64 v[3:4], v[3:4], v[10:11]
	s_delay_alu instid0(VALU_DEP_2)
	v_add_f64 v[1:2], v[1:2], v[15:16]
	s_and_not1_b32 exec_lo, exec_lo, s3
	s_cbranch_execnz .LBB123_213
; %bb.214:
	s_or_b32 exec_lo, exec_lo, s3
	v_mov_b32_e32 v7, 0
	ds_load_b128 v[7:10], v7 offset:800
	s_waitcnt lgkmcnt(0)
	v_mul_f64 v[11:12], v[1:2], v[9:10]
	v_mul_f64 v[15:16], v[3:4], v[9:10]
	s_delay_alu instid0(VALU_DEP_2) | instskip(NEXT) | instid1(VALU_DEP_2)
	v_fma_f64 v[9:10], v[3:4], v[7:8], -v[11:12]
	v_fma_f64 v[11:12], v[1:2], v[7:8], v[15:16]
	scratch_store_b128 off, v[9:12], off offset:800
.LBB123_215:
	s_or_b32 exec_lo, exec_lo, s2
	s_waitcnt_vscnt null, 0x0
	s_barrier
	buffer_gl0_inv
	scratch_load_b128 v[1:4], v170, off
	s_mov_b32 s2, exec_lo
	s_waitcnt vmcnt(0)
	ds_store_b128 v5, v[1:4]
	s_waitcnt lgkmcnt(0)
	s_barrier
	buffer_gl0_inv
	v_cmpx_gt_u32_e32 51, v166
	s_cbranch_execz .LBB123_219
; %bb.216:
	v_dual_mov_b32 v1, 0 :: v_dual_add_nc_u32 v8, 0x3c0, v13
	v_dual_mov_b32 v2, 0 :: v_dual_add_nc_u32 v7, -1, v166
	v_or_b32_e32 v9, 8, v14
	s_mov_b32 s3, 0
	s_delay_alu instid0(VALU_DEP_2)
	v_dual_mov_b32 v4, v2 :: v_dual_mov_b32 v3, v1
	.p2align	6
.LBB123_217:                            ; =>This Inner Loop Header: Depth=1
	scratch_load_b128 v[15:18], v9, off offset:-8
	ds_load_b128 v[19:22], v8
	v_add_nc_u32_e32 v7, 1, v7
	v_add_nc_u32_e32 v8, 16, v8
	;; [unrolled: 1-line block ×3, first 2 shown]
	s_delay_alu instid0(VALU_DEP_3) | instskip(SKIP_4) | instid1(VALU_DEP_2)
	v_cmp_lt_u32_e32 vcc_lo, 49, v7
	s_or_b32 s3, vcc_lo, s3
	s_waitcnt vmcnt(0) lgkmcnt(0)
	v_mul_f64 v[10:11], v[21:22], v[17:18]
	v_mul_f64 v[17:18], v[19:20], v[17:18]
	v_fma_f64 v[10:11], v[19:20], v[15:16], -v[10:11]
	s_delay_alu instid0(VALU_DEP_2) | instskip(NEXT) | instid1(VALU_DEP_2)
	v_fma_f64 v[15:16], v[21:22], v[15:16], v[17:18]
	v_add_f64 v[3:4], v[3:4], v[10:11]
	s_delay_alu instid0(VALU_DEP_2)
	v_add_f64 v[1:2], v[1:2], v[15:16]
	s_and_not1_b32 exec_lo, exec_lo, s3
	s_cbranch_execnz .LBB123_217
; %bb.218:
	s_or_b32 exec_lo, exec_lo, s3
	v_mov_b32_e32 v7, 0
	ds_load_b128 v[7:10], v7 offset:816
	s_waitcnt lgkmcnt(0)
	v_mul_f64 v[11:12], v[1:2], v[9:10]
	v_mul_f64 v[15:16], v[3:4], v[9:10]
	s_delay_alu instid0(VALU_DEP_2) | instskip(NEXT) | instid1(VALU_DEP_2)
	v_fma_f64 v[9:10], v[3:4], v[7:8], -v[11:12]
	v_fma_f64 v[11:12], v[1:2], v[7:8], v[15:16]
	scratch_store_b128 off, v[9:12], off offset:816
.LBB123_219:
	s_or_b32 exec_lo, exec_lo, s2
	s_waitcnt_vscnt null, 0x0
	s_barrier
	buffer_gl0_inv
	scratch_load_b128 v[1:4], v253, off
	s_mov_b32 s2, exec_lo
	s_waitcnt vmcnt(0)
	ds_store_b128 v5, v[1:4]
	s_waitcnt lgkmcnt(0)
	s_barrier
	buffer_gl0_inv
	v_cmpx_gt_u32_e32 52, v166
	s_cbranch_execz .LBB123_223
; %bb.220:
	v_dual_mov_b32 v1, 0 :: v_dual_add_nc_u32 v8, 0x3c0, v13
	v_dual_mov_b32 v2, 0 :: v_dual_add_nc_u32 v7, -1, v166
	v_or_b32_e32 v9, 8, v14
	s_mov_b32 s3, 0
	s_delay_alu instid0(VALU_DEP_2)
	v_dual_mov_b32 v4, v2 :: v_dual_mov_b32 v3, v1
	.p2align	6
.LBB123_221:                            ; =>This Inner Loop Header: Depth=1
	scratch_load_b128 v[15:18], v9, off offset:-8
	ds_load_b128 v[19:22], v8
	v_add_nc_u32_e32 v7, 1, v7
	v_add_nc_u32_e32 v8, 16, v8
	v_add_nc_u32_e32 v9, 16, v9
	s_delay_alu instid0(VALU_DEP_3) | instskip(SKIP_4) | instid1(VALU_DEP_2)
	v_cmp_lt_u32_e32 vcc_lo, 50, v7
	s_or_b32 s3, vcc_lo, s3
	s_waitcnt vmcnt(0) lgkmcnt(0)
	v_mul_f64 v[10:11], v[21:22], v[17:18]
	v_mul_f64 v[17:18], v[19:20], v[17:18]
	v_fma_f64 v[10:11], v[19:20], v[15:16], -v[10:11]
	s_delay_alu instid0(VALU_DEP_2) | instskip(NEXT) | instid1(VALU_DEP_2)
	v_fma_f64 v[15:16], v[21:22], v[15:16], v[17:18]
	v_add_f64 v[3:4], v[3:4], v[10:11]
	s_delay_alu instid0(VALU_DEP_2)
	v_add_f64 v[1:2], v[1:2], v[15:16]
	s_and_not1_b32 exec_lo, exec_lo, s3
	s_cbranch_execnz .LBB123_221
; %bb.222:
	s_or_b32 exec_lo, exec_lo, s3
	v_mov_b32_e32 v7, 0
	ds_load_b128 v[7:10], v7 offset:832
	s_waitcnt lgkmcnt(0)
	v_mul_f64 v[11:12], v[1:2], v[9:10]
	v_mul_f64 v[15:16], v[3:4], v[9:10]
	s_delay_alu instid0(VALU_DEP_2) | instskip(NEXT) | instid1(VALU_DEP_2)
	v_fma_f64 v[9:10], v[3:4], v[7:8], -v[11:12]
	v_fma_f64 v[11:12], v[1:2], v[7:8], v[15:16]
	scratch_store_b128 off, v[9:12], off offset:832
.LBB123_223:
	s_or_b32 exec_lo, exec_lo, s2
	s_waitcnt_vscnt null, 0x0
	s_barrier
	buffer_gl0_inv
	scratch_load_b128 v[1:4], v219, off
	s_mov_b32 s2, exec_lo
	s_waitcnt vmcnt(0)
	ds_store_b128 v5, v[1:4]
	s_waitcnt lgkmcnt(0)
	s_barrier
	buffer_gl0_inv
	v_cmpx_gt_u32_e32 53, v166
	s_cbranch_execz .LBB123_227
; %bb.224:
	v_dual_mov_b32 v1, 0 :: v_dual_add_nc_u32 v8, 0x3c0, v13
	v_dual_mov_b32 v2, 0 :: v_dual_add_nc_u32 v7, -1, v166
	v_or_b32_e32 v9, 8, v14
	s_mov_b32 s3, 0
	s_delay_alu instid0(VALU_DEP_2)
	v_dual_mov_b32 v4, v2 :: v_dual_mov_b32 v3, v1
	.p2align	6
.LBB123_225:                            ; =>This Inner Loop Header: Depth=1
	scratch_load_b128 v[15:18], v9, off offset:-8
	ds_load_b128 v[19:22], v8
	v_add_nc_u32_e32 v7, 1, v7
	v_add_nc_u32_e32 v8, 16, v8
	;; [unrolled: 1-line block ×3, first 2 shown]
	s_delay_alu instid0(VALU_DEP_3) | instskip(SKIP_4) | instid1(VALU_DEP_2)
	v_cmp_lt_u32_e32 vcc_lo, 51, v7
	s_or_b32 s3, vcc_lo, s3
	s_waitcnt vmcnt(0) lgkmcnt(0)
	v_mul_f64 v[10:11], v[21:22], v[17:18]
	v_mul_f64 v[17:18], v[19:20], v[17:18]
	v_fma_f64 v[10:11], v[19:20], v[15:16], -v[10:11]
	s_delay_alu instid0(VALU_DEP_2) | instskip(NEXT) | instid1(VALU_DEP_2)
	v_fma_f64 v[15:16], v[21:22], v[15:16], v[17:18]
	v_add_f64 v[3:4], v[3:4], v[10:11]
	s_delay_alu instid0(VALU_DEP_2)
	v_add_f64 v[1:2], v[1:2], v[15:16]
	s_and_not1_b32 exec_lo, exec_lo, s3
	s_cbranch_execnz .LBB123_225
; %bb.226:
	s_or_b32 exec_lo, exec_lo, s3
	v_mov_b32_e32 v7, 0
	ds_load_b128 v[7:10], v7 offset:848
	s_waitcnt lgkmcnt(0)
	v_mul_f64 v[11:12], v[1:2], v[9:10]
	v_mul_f64 v[15:16], v[3:4], v[9:10]
	s_delay_alu instid0(VALU_DEP_2) | instskip(NEXT) | instid1(VALU_DEP_2)
	v_fma_f64 v[9:10], v[3:4], v[7:8], -v[11:12]
	v_fma_f64 v[11:12], v[1:2], v[7:8], v[15:16]
	scratch_store_b128 off, v[9:12], off offset:848
.LBB123_227:
	s_or_b32 exec_lo, exec_lo, s2
	s_waitcnt_vscnt null, 0x0
	s_barrier
	buffer_gl0_inv
	scratch_load_b128 v[1:4], v218, off
	s_mov_b32 s2, exec_lo
	s_waitcnt vmcnt(0)
	ds_store_b128 v5, v[1:4]
	s_waitcnt lgkmcnt(0)
	s_barrier
	buffer_gl0_inv
	v_cmpx_gt_u32_e32 54, v166
	s_cbranch_execz .LBB123_231
; %bb.228:
	v_dual_mov_b32 v1, 0 :: v_dual_add_nc_u32 v8, 0x3c0, v13
	v_dual_mov_b32 v2, 0 :: v_dual_add_nc_u32 v7, -1, v166
	v_or_b32_e32 v9, 8, v14
	s_mov_b32 s3, 0
	s_delay_alu instid0(VALU_DEP_2)
	v_dual_mov_b32 v4, v2 :: v_dual_mov_b32 v3, v1
	.p2align	6
.LBB123_229:                            ; =>This Inner Loop Header: Depth=1
	scratch_load_b128 v[15:18], v9, off offset:-8
	ds_load_b128 v[19:22], v8
	v_add_nc_u32_e32 v7, 1, v7
	v_add_nc_u32_e32 v8, 16, v8
	;; [unrolled: 1-line block ×3, first 2 shown]
	s_delay_alu instid0(VALU_DEP_3) | instskip(SKIP_4) | instid1(VALU_DEP_2)
	v_cmp_lt_u32_e32 vcc_lo, 52, v7
	s_or_b32 s3, vcc_lo, s3
	s_waitcnt vmcnt(0) lgkmcnt(0)
	v_mul_f64 v[10:11], v[21:22], v[17:18]
	v_mul_f64 v[17:18], v[19:20], v[17:18]
	v_fma_f64 v[10:11], v[19:20], v[15:16], -v[10:11]
	s_delay_alu instid0(VALU_DEP_2) | instskip(NEXT) | instid1(VALU_DEP_2)
	v_fma_f64 v[15:16], v[21:22], v[15:16], v[17:18]
	v_add_f64 v[3:4], v[3:4], v[10:11]
	s_delay_alu instid0(VALU_DEP_2)
	v_add_f64 v[1:2], v[1:2], v[15:16]
	s_and_not1_b32 exec_lo, exec_lo, s3
	s_cbranch_execnz .LBB123_229
; %bb.230:
	s_or_b32 exec_lo, exec_lo, s3
	v_mov_b32_e32 v7, 0
	ds_load_b128 v[7:10], v7 offset:864
	s_waitcnt lgkmcnt(0)
	v_mul_f64 v[11:12], v[1:2], v[9:10]
	v_mul_f64 v[15:16], v[3:4], v[9:10]
	s_delay_alu instid0(VALU_DEP_2) | instskip(NEXT) | instid1(VALU_DEP_2)
	v_fma_f64 v[9:10], v[3:4], v[7:8], -v[11:12]
	v_fma_f64 v[11:12], v[1:2], v[7:8], v[15:16]
	scratch_store_b128 off, v[9:12], off offset:864
.LBB123_231:
	s_or_b32 exec_lo, exec_lo, s2
	s_waitcnt_vscnt null, 0x0
	s_barrier
	buffer_gl0_inv
	scratch_load_b128 v[1:4], v78, off
	s_mov_b32 s2, exec_lo
	s_waitcnt vmcnt(0)
	ds_store_b128 v5, v[1:4]
	s_waitcnt lgkmcnt(0)
	s_barrier
	buffer_gl0_inv
	v_cmpx_gt_u32_e32 55, v166
	s_cbranch_execz .LBB123_235
; %bb.232:
	v_dual_mov_b32 v1, 0 :: v_dual_add_nc_u32 v8, 0x3c0, v13
	v_dual_mov_b32 v2, 0 :: v_dual_add_nc_u32 v7, -1, v166
	v_or_b32_e32 v9, 8, v14
	s_mov_b32 s3, 0
	s_delay_alu instid0(VALU_DEP_2)
	v_dual_mov_b32 v4, v2 :: v_dual_mov_b32 v3, v1
	.p2align	6
.LBB123_233:                            ; =>This Inner Loop Header: Depth=1
	scratch_load_b128 v[15:18], v9, off offset:-8
	ds_load_b128 v[19:22], v8
	v_add_nc_u32_e32 v7, 1, v7
	v_add_nc_u32_e32 v8, 16, v8
	;; [unrolled: 1-line block ×3, first 2 shown]
	s_delay_alu instid0(VALU_DEP_3) | instskip(SKIP_4) | instid1(VALU_DEP_2)
	v_cmp_lt_u32_e32 vcc_lo, 53, v7
	s_or_b32 s3, vcc_lo, s3
	s_waitcnt vmcnt(0) lgkmcnt(0)
	v_mul_f64 v[10:11], v[21:22], v[17:18]
	v_mul_f64 v[17:18], v[19:20], v[17:18]
	v_fma_f64 v[10:11], v[19:20], v[15:16], -v[10:11]
	s_delay_alu instid0(VALU_DEP_2) | instskip(NEXT) | instid1(VALU_DEP_2)
	v_fma_f64 v[15:16], v[21:22], v[15:16], v[17:18]
	v_add_f64 v[3:4], v[3:4], v[10:11]
	s_delay_alu instid0(VALU_DEP_2)
	v_add_f64 v[1:2], v[1:2], v[15:16]
	s_and_not1_b32 exec_lo, exec_lo, s3
	s_cbranch_execnz .LBB123_233
; %bb.234:
	s_or_b32 exec_lo, exec_lo, s3
	v_mov_b32_e32 v7, 0
	ds_load_b128 v[7:10], v7 offset:880
	s_waitcnt lgkmcnt(0)
	v_mul_f64 v[11:12], v[1:2], v[9:10]
	v_mul_f64 v[15:16], v[3:4], v[9:10]
	s_delay_alu instid0(VALU_DEP_2) | instskip(NEXT) | instid1(VALU_DEP_2)
	v_fma_f64 v[9:10], v[3:4], v[7:8], -v[11:12]
	v_fma_f64 v[11:12], v[1:2], v[7:8], v[15:16]
	scratch_store_b128 off, v[9:12], off offset:880
.LBB123_235:
	s_or_b32 exec_lo, exec_lo, s2
	s_waitcnt_vscnt null, 0x0
	s_barrier
	buffer_gl0_inv
	scratch_load_b128 v[1:4], v83, off
	s_mov_b32 s2, exec_lo
	s_waitcnt vmcnt(0)
	ds_store_b128 v5, v[1:4]
	s_waitcnt lgkmcnt(0)
	s_barrier
	buffer_gl0_inv
	v_cmpx_gt_u32_e32 56, v166
	s_cbranch_execz .LBB123_239
; %bb.236:
	v_dual_mov_b32 v1, 0 :: v_dual_add_nc_u32 v8, 0x3c0, v13
	v_dual_mov_b32 v2, 0 :: v_dual_add_nc_u32 v7, -1, v166
	v_or_b32_e32 v9, 8, v14
	s_mov_b32 s3, 0
	s_delay_alu instid0(VALU_DEP_2)
	v_dual_mov_b32 v4, v2 :: v_dual_mov_b32 v3, v1
	.p2align	6
.LBB123_237:                            ; =>This Inner Loop Header: Depth=1
	scratch_load_b128 v[15:18], v9, off offset:-8
	ds_load_b128 v[19:22], v8
	v_add_nc_u32_e32 v7, 1, v7
	v_add_nc_u32_e32 v8, 16, v8
	;; [unrolled: 1-line block ×3, first 2 shown]
	s_delay_alu instid0(VALU_DEP_3) | instskip(SKIP_4) | instid1(VALU_DEP_2)
	v_cmp_lt_u32_e32 vcc_lo, 54, v7
	s_or_b32 s3, vcc_lo, s3
	s_waitcnt vmcnt(0) lgkmcnt(0)
	v_mul_f64 v[10:11], v[21:22], v[17:18]
	v_mul_f64 v[17:18], v[19:20], v[17:18]
	v_fma_f64 v[10:11], v[19:20], v[15:16], -v[10:11]
	s_delay_alu instid0(VALU_DEP_2) | instskip(NEXT) | instid1(VALU_DEP_2)
	v_fma_f64 v[15:16], v[21:22], v[15:16], v[17:18]
	v_add_f64 v[3:4], v[3:4], v[10:11]
	s_delay_alu instid0(VALU_DEP_2)
	v_add_f64 v[1:2], v[1:2], v[15:16]
	s_and_not1_b32 exec_lo, exec_lo, s3
	s_cbranch_execnz .LBB123_237
; %bb.238:
	s_or_b32 exec_lo, exec_lo, s3
	v_mov_b32_e32 v7, 0
	ds_load_b128 v[7:10], v7 offset:896
	s_waitcnt lgkmcnt(0)
	v_mul_f64 v[11:12], v[1:2], v[9:10]
	v_mul_f64 v[15:16], v[3:4], v[9:10]
	s_delay_alu instid0(VALU_DEP_2) | instskip(NEXT) | instid1(VALU_DEP_2)
	v_fma_f64 v[9:10], v[3:4], v[7:8], -v[11:12]
	v_fma_f64 v[11:12], v[1:2], v[7:8], v[15:16]
	scratch_store_b128 off, v[9:12], off offset:896
.LBB123_239:
	s_or_b32 exec_lo, exec_lo, s2
	s_waitcnt_vscnt null, 0x0
	s_barrier
	buffer_gl0_inv
	scratch_load_b128 v[1:4], v82, off
	s_mov_b32 s2, exec_lo
	s_waitcnt vmcnt(0)
	ds_store_b128 v5, v[1:4]
	s_waitcnt lgkmcnt(0)
	s_barrier
	buffer_gl0_inv
	v_cmpx_gt_u32_e32 57, v166
	s_cbranch_execz .LBB123_243
; %bb.240:
	v_dual_mov_b32 v1, 0 :: v_dual_add_nc_u32 v8, 0x3c0, v13
	v_dual_mov_b32 v2, 0 :: v_dual_add_nc_u32 v7, -1, v166
	v_or_b32_e32 v9, 8, v14
	s_mov_b32 s3, 0
	s_delay_alu instid0(VALU_DEP_2)
	v_dual_mov_b32 v4, v2 :: v_dual_mov_b32 v3, v1
	.p2align	6
.LBB123_241:                            ; =>This Inner Loop Header: Depth=1
	scratch_load_b128 v[15:18], v9, off offset:-8
	ds_load_b128 v[19:22], v8
	v_add_nc_u32_e32 v7, 1, v7
	v_add_nc_u32_e32 v8, 16, v8
	v_add_nc_u32_e32 v9, 16, v9
	s_delay_alu instid0(VALU_DEP_3) | instskip(SKIP_4) | instid1(VALU_DEP_2)
	v_cmp_lt_u32_e32 vcc_lo, 55, v7
	s_or_b32 s3, vcc_lo, s3
	s_waitcnt vmcnt(0) lgkmcnt(0)
	v_mul_f64 v[10:11], v[21:22], v[17:18]
	v_mul_f64 v[17:18], v[19:20], v[17:18]
	v_fma_f64 v[10:11], v[19:20], v[15:16], -v[10:11]
	s_delay_alu instid0(VALU_DEP_2) | instskip(NEXT) | instid1(VALU_DEP_2)
	v_fma_f64 v[15:16], v[21:22], v[15:16], v[17:18]
	v_add_f64 v[3:4], v[3:4], v[10:11]
	s_delay_alu instid0(VALU_DEP_2)
	v_add_f64 v[1:2], v[1:2], v[15:16]
	s_and_not1_b32 exec_lo, exec_lo, s3
	s_cbranch_execnz .LBB123_241
; %bb.242:
	s_or_b32 exec_lo, exec_lo, s3
	v_mov_b32_e32 v7, 0
	ds_load_b128 v[7:10], v7 offset:912
	s_waitcnt lgkmcnt(0)
	v_mul_f64 v[11:12], v[1:2], v[9:10]
	v_mul_f64 v[15:16], v[3:4], v[9:10]
	s_delay_alu instid0(VALU_DEP_2) | instskip(NEXT) | instid1(VALU_DEP_2)
	v_fma_f64 v[9:10], v[3:4], v[7:8], -v[11:12]
	v_fma_f64 v[11:12], v[1:2], v[7:8], v[15:16]
	scratch_store_b128 off, v[9:12], off offset:912
.LBB123_243:
	s_or_b32 exec_lo, exec_lo, s2
	s_waitcnt_vscnt null, 0x0
	s_barrier
	buffer_gl0_inv
	scratch_load_b128 v[1:4], v87, off
	s_mov_b32 s2, exec_lo
	s_waitcnt vmcnt(0)
	ds_store_b128 v5, v[1:4]
	s_waitcnt lgkmcnt(0)
	s_barrier
	buffer_gl0_inv
	v_cmpx_gt_u32_e32 58, v166
	s_cbranch_execz .LBB123_247
; %bb.244:
	v_dual_mov_b32 v1, 0 :: v_dual_add_nc_u32 v8, 0x3c0, v13
	v_dual_mov_b32 v2, 0 :: v_dual_add_nc_u32 v7, -1, v166
	v_or_b32_e32 v9, 8, v14
	s_mov_b32 s3, 0
	s_delay_alu instid0(VALU_DEP_2)
	v_dual_mov_b32 v4, v2 :: v_dual_mov_b32 v3, v1
	.p2align	6
.LBB123_245:                            ; =>This Inner Loop Header: Depth=1
	scratch_load_b128 v[10:13], v9, off offset:-8
	ds_load_b128 v[15:18], v8
	v_add_nc_u32_e32 v7, 1, v7
	v_add_nc_u32_e32 v8, 16, v8
	;; [unrolled: 1-line block ×3, first 2 shown]
	s_delay_alu instid0(VALU_DEP_3) | instskip(SKIP_4) | instid1(VALU_DEP_2)
	v_cmp_lt_u32_e32 vcc_lo, 56, v7
	s_or_b32 s3, vcc_lo, s3
	s_waitcnt vmcnt(0) lgkmcnt(0)
	v_mul_f64 v[19:20], v[17:18], v[12:13]
	v_mul_f64 v[12:13], v[15:16], v[12:13]
	v_fma_f64 v[15:16], v[15:16], v[10:11], -v[19:20]
	s_delay_alu instid0(VALU_DEP_2) | instskip(NEXT) | instid1(VALU_DEP_2)
	v_fma_f64 v[10:11], v[17:18], v[10:11], v[12:13]
	v_add_f64 v[3:4], v[3:4], v[15:16]
	s_delay_alu instid0(VALU_DEP_2)
	v_add_f64 v[1:2], v[1:2], v[10:11]
	s_and_not1_b32 exec_lo, exec_lo, s3
	s_cbranch_execnz .LBB123_245
; %bb.246:
	s_or_b32 exec_lo, exec_lo, s3
	v_mov_b32_e32 v7, 0
	ds_load_b128 v[7:10], v7 offset:928
	s_waitcnt lgkmcnt(0)
	v_mul_f64 v[11:12], v[1:2], v[9:10]
	v_mul_f64 v[15:16], v[3:4], v[9:10]
	s_delay_alu instid0(VALU_DEP_2) | instskip(NEXT) | instid1(VALU_DEP_2)
	v_fma_f64 v[9:10], v[3:4], v[7:8], -v[11:12]
	v_fma_f64 v[11:12], v[1:2], v[7:8], v[15:16]
	scratch_store_b128 off, v[9:12], off offset:928
.LBB123_247:
	s_or_b32 exec_lo, exec_lo, s2
	s_waitcnt_vscnt null, 0x0
	s_barrier
	buffer_gl0_inv
	scratch_load_b128 v[1:4], v26, off
	s_mov_b32 s2, exec_lo
	s_waitcnt vmcnt(0)
	ds_store_b128 v5, v[1:4]
	s_waitcnt lgkmcnt(0)
	s_barrier
	buffer_gl0_inv
	v_cmpx_ne_u32_e32 59, v166
	s_cbranch_execz .LBB123_251
; %bb.248:
	v_mov_b32_e32 v1, 0
	v_mov_b32_e32 v2, 0
	v_or_b32_e32 v7, 8, v14
	s_mov_b32 s3, 0
	s_delay_alu instid0(VALU_DEP_2)
	v_dual_mov_b32 v4, v2 :: v_dual_mov_b32 v3, v1
	.p2align	6
.LBB123_249:                            ; =>This Inner Loop Header: Depth=1
	scratch_load_b128 v[8:11], v7, off offset:-8
	ds_load_b128 v[12:15], v5
	v_add_nc_u32_e32 v6, 1, v6
	v_add_nc_u32_e32 v5, 16, v5
	v_add_nc_u32_e32 v7, 16, v7
	s_delay_alu instid0(VALU_DEP_3) | instskip(SKIP_4) | instid1(VALU_DEP_2)
	v_cmp_lt_u32_e32 vcc_lo, 57, v6
	s_or_b32 s3, vcc_lo, s3
	s_waitcnt vmcnt(0) lgkmcnt(0)
	v_mul_f64 v[16:17], v[14:15], v[10:11]
	v_mul_f64 v[10:11], v[12:13], v[10:11]
	v_fma_f64 v[12:13], v[12:13], v[8:9], -v[16:17]
	s_delay_alu instid0(VALU_DEP_2) | instskip(NEXT) | instid1(VALU_DEP_2)
	v_fma_f64 v[8:9], v[14:15], v[8:9], v[10:11]
	v_add_f64 v[3:4], v[3:4], v[12:13]
	s_delay_alu instid0(VALU_DEP_2)
	v_add_f64 v[1:2], v[1:2], v[8:9]
	s_and_not1_b32 exec_lo, exec_lo, s3
	s_cbranch_execnz .LBB123_249
; %bb.250:
	s_or_b32 exec_lo, exec_lo, s3
	v_mov_b32_e32 v5, 0
	ds_load_b128 v[5:8], v5 offset:944
	s_waitcnt lgkmcnt(0)
	v_mul_f64 v[9:10], v[1:2], v[7:8]
	v_mul_f64 v[7:8], v[3:4], v[7:8]
	s_delay_alu instid0(VALU_DEP_2) | instskip(NEXT) | instid1(VALU_DEP_2)
	v_fma_f64 v[3:4], v[3:4], v[5:6], -v[9:10]
	v_fma_f64 v[5:6], v[1:2], v[5:6], v[7:8]
	scratch_store_b128 off, v[3:6], off offset:944
.LBB123_251:
	s_or_b32 exec_lo, exec_lo, s2
	s_mov_b32 s3, -1
	s_waitcnt_vscnt null, 0x0
	s_barrier
	buffer_gl0_inv
.LBB123_252:
	s_and_b32 vcc_lo, exec_lo, s3
	s_cbranch_vccz .LBB123_254
; %bb.253:
	s_lshl_b64 s[2:3], s[10:11], 2
	v_mov_b32_e32 v1, 0
	s_add_u32 s2, s6, s2
	s_addc_u32 s3, s7, s3
	global_load_b32 v1, v1, s[2:3]
	s_waitcnt vmcnt(0)
	v_cmp_ne_u32_e32 vcc_lo, 0, v1
	s_cbranch_vccz .LBB123_255
.LBB123_254:
	s_endpgm
.LBB123_255:
	v_dual_mov_b32 v230, v66 :: v_dual_mov_b32 v233, v65
	v_dual_mov_b32 v237, v64 :: v_dual_mov_b32 v222, v61
	;; [unrolled: 1-line block ×7, first 2 shown]
	v_mov_b32_e32 v195, v55
	v_dual_mov_b32 v191, v53 :: v_dual_mov_b32 v168, v23
	v_mov_b32_e32 v169, v24
	v_lshl_add_u32 v226, v166, 4, 0x3c0
	s_mov_b32 s2, exec_lo
	scratch_store_b32 off, v26, off offset:1064 ; 4-byte Folded Spill
	v_cmpx_eq_u32_e32 59, v166
	s_cbranch_execz .LBB123_257
; %bb.256:
	scratch_load_b128 v[1:4], v87, off
	v_mov_b32_e32 v5, 0
	s_delay_alu instid0(VALU_DEP_1)
	v_mov_b32_e32 v6, v5
	v_mov_b32_e32 v7, v5
	;; [unrolled: 1-line block ×3, first 2 shown]
	scratch_store_b128 off, v[5:8], off offset:928
	s_waitcnt vmcnt(0)
	ds_store_b128 v226, v[1:4]
.LBB123_257:
	s_or_b32 exec_lo, exec_lo, s2
	s_waitcnt lgkmcnt(0)
	s_waitcnt_vscnt null, 0x0
	s_barrier
	buffer_gl0_inv
	s_clause 0x1
	scratch_load_b128 v[2:5], off, off offset:944
	scratch_load_b128 v[6:9], off, off offset:928
	v_mov_b32_e32 v1, 0
	s_mov_b32 s2, exec_lo
	ds_load_b128 v[10:13], v1 offset:1904
	s_waitcnt vmcnt(1) lgkmcnt(0)
	v_mul_f64 v[14:15], v[12:13], v[4:5]
	v_mul_f64 v[4:5], v[10:11], v[4:5]
	s_delay_alu instid0(VALU_DEP_2) | instskip(NEXT) | instid1(VALU_DEP_2)
	v_fma_f64 v[10:11], v[10:11], v[2:3], -v[14:15]
	v_fma_f64 v[2:3], v[12:13], v[2:3], v[4:5]
	s_delay_alu instid0(VALU_DEP_2) | instskip(NEXT) | instid1(VALU_DEP_2)
	v_add_f64 v[4:5], v[10:11], 0
	v_add_f64 v[10:11], v[2:3], 0
	s_waitcnt vmcnt(0)
	s_delay_alu instid0(VALU_DEP_2) | instskip(NEXT) | instid1(VALU_DEP_2)
	v_add_f64 v[2:3], v[6:7], -v[4:5]
	v_add_f64 v[4:5], v[8:9], -v[10:11]
	scratch_store_b128 off, v[2:5], off offset:928
	v_cmpx_lt_u32_e32 57, v166
	s_cbranch_execz .LBB123_259
; %bb.258:
	scratch_load_b128 v[5:8], v82, off
	v_mov_b32_e32 v2, v1
	v_mov_b32_e32 v3, v1
	;; [unrolled: 1-line block ×3, first 2 shown]
	scratch_store_b128 off, v[1:4], off offset:912
	s_waitcnt vmcnt(0)
	ds_store_b128 v226, v[5:8]
.LBB123_259:
	s_or_b32 exec_lo, exec_lo, s2
	s_waitcnt lgkmcnt(0)
	s_waitcnt_vscnt null, 0x0
	s_barrier
	buffer_gl0_inv
	s_clause 0x2
	scratch_load_b128 v[2:5], off, off offset:928
	scratch_load_b128 v[6:9], off, off offset:944
	scratch_load_b128 v[10:13], off, off offset:912
	ds_load_b128 v[14:17], v1 offset:1888
	ds_load_b128 v[18:21], v1 offset:1904
	s_mov_b32 s2, exec_lo
	s_waitcnt vmcnt(2) lgkmcnt(1)
	v_mul_f64 v[22:23], v[16:17], v[4:5]
	v_mul_f64 v[4:5], v[14:15], v[4:5]
	s_waitcnt vmcnt(1) lgkmcnt(0)
	v_mul_f64 v[24:25], v[18:19], v[8:9]
	v_mul_f64 v[8:9], v[20:21], v[8:9]
	s_delay_alu instid0(VALU_DEP_4) | instskip(NEXT) | instid1(VALU_DEP_4)
	v_fma_f64 v[14:15], v[14:15], v[2:3], -v[22:23]
	v_fma_f64 v[1:2], v[16:17], v[2:3], v[4:5]
	s_delay_alu instid0(VALU_DEP_4) | instskip(NEXT) | instid1(VALU_DEP_4)
	v_fma_f64 v[3:4], v[20:21], v[6:7], v[24:25]
	v_fma_f64 v[5:6], v[18:19], v[6:7], -v[8:9]
	s_delay_alu instid0(VALU_DEP_4) | instskip(NEXT) | instid1(VALU_DEP_4)
	v_add_f64 v[7:8], v[14:15], 0
	v_add_f64 v[1:2], v[1:2], 0
	s_delay_alu instid0(VALU_DEP_2) | instskip(NEXT) | instid1(VALU_DEP_2)
	v_add_f64 v[5:6], v[7:8], v[5:6]
	v_add_f64 v[3:4], v[1:2], v[3:4]
	s_waitcnt vmcnt(0)
	s_delay_alu instid0(VALU_DEP_2) | instskip(NEXT) | instid1(VALU_DEP_2)
	v_add_f64 v[1:2], v[10:11], -v[5:6]
	v_add_f64 v[3:4], v[12:13], -v[3:4]
	scratch_store_b128 off, v[1:4], off offset:912
	v_cmpx_lt_u32_e32 56, v166
	s_cbranch_execz .LBB123_261
; %bb.260:
	scratch_load_b128 v[1:4], v83, off
	v_mov_b32_e32 v5, 0
	s_delay_alu instid0(VALU_DEP_1)
	v_mov_b32_e32 v6, v5
	v_mov_b32_e32 v7, v5
	;; [unrolled: 1-line block ×3, first 2 shown]
	scratch_store_b128 off, v[5:8], off offset:896
	s_waitcnt vmcnt(0)
	ds_store_b128 v226, v[1:4]
.LBB123_261:
	s_or_b32 exec_lo, exec_lo, s2
	s_waitcnt lgkmcnt(0)
	s_waitcnt_vscnt null, 0x0
	s_barrier
	buffer_gl0_inv
	s_clause 0x3
	scratch_load_b128 v[2:5], off, off offset:912
	scratch_load_b128 v[6:9], off, off offset:928
	;; [unrolled: 1-line block ×4, first 2 shown]
	v_mov_b32_e32 v1, 0
	ds_load_b128 v[18:21], v1 offset:1872
	ds_load_b128 v[22:25], v1 offset:1888
	s_mov_b32 s2, exec_lo
	s_waitcnt vmcnt(3) lgkmcnt(1)
	v_mul_f64 v[26:27], v[20:21], v[4:5]
	v_mul_f64 v[4:5], v[18:19], v[4:5]
	s_waitcnt vmcnt(2) lgkmcnt(0)
	v_mul_f64 v[28:29], v[22:23], v[8:9]
	v_mul_f64 v[8:9], v[24:25], v[8:9]
	s_delay_alu instid0(VALU_DEP_4) | instskip(NEXT) | instid1(VALU_DEP_4)
	v_fma_f64 v[18:19], v[18:19], v[2:3], -v[26:27]
	v_fma_f64 v[20:21], v[20:21], v[2:3], v[4:5]
	ds_load_b128 v[2:5], v1 offset:1904
	v_fma_f64 v[24:25], v[24:25], v[6:7], v[28:29]
	v_fma_f64 v[6:7], v[22:23], v[6:7], -v[8:9]
	s_waitcnt vmcnt(1) lgkmcnt(0)
	v_mul_f64 v[26:27], v[2:3], v[12:13]
	v_mul_f64 v[12:13], v[4:5], v[12:13]
	v_add_f64 v[8:9], v[18:19], 0
	v_add_f64 v[18:19], v[20:21], 0
	s_delay_alu instid0(VALU_DEP_4) | instskip(NEXT) | instid1(VALU_DEP_4)
	v_fma_f64 v[4:5], v[4:5], v[10:11], v[26:27]
	v_fma_f64 v[2:3], v[2:3], v[10:11], -v[12:13]
	s_delay_alu instid0(VALU_DEP_4) | instskip(NEXT) | instid1(VALU_DEP_4)
	v_add_f64 v[6:7], v[8:9], v[6:7]
	v_add_f64 v[8:9], v[18:19], v[24:25]
	s_delay_alu instid0(VALU_DEP_2) | instskip(NEXT) | instid1(VALU_DEP_2)
	v_add_f64 v[2:3], v[6:7], v[2:3]
	v_add_f64 v[4:5], v[8:9], v[4:5]
	s_waitcnt vmcnt(0)
	s_delay_alu instid0(VALU_DEP_2) | instskip(NEXT) | instid1(VALU_DEP_2)
	v_add_f64 v[2:3], v[14:15], -v[2:3]
	v_add_f64 v[4:5], v[16:17], -v[4:5]
	scratch_store_b128 off, v[2:5], off offset:896
	v_cmpx_lt_u32_e32 55, v166
	s_cbranch_execz .LBB123_263
; %bb.262:
	scratch_load_b128 v[5:8], v78, off
	v_mov_b32_e32 v2, v1
	v_mov_b32_e32 v3, v1
	v_mov_b32_e32 v4, v1
	scratch_store_b128 off, v[1:4], off offset:880
	s_waitcnt vmcnt(0)
	ds_store_b128 v226, v[5:8]
.LBB123_263:
	s_or_b32 exec_lo, exec_lo, s2
	s_waitcnt lgkmcnt(0)
	s_waitcnt_vscnt null, 0x0
	s_barrier
	buffer_gl0_inv
	s_clause 0x4
	scratch_load_b128 v[2:5], off, off offset:896
	scratch_load_b128 v[6:9], off, off offset:912
	;; [unrolled: 1-line block ×5, first 2 shown]
	ds_load_b128 v[22:25], v1 offset:1856
	ds_load_b128 v[26:29], v1 offset:1872
	s_mov_b32 s2, exec_lo
	s_waitcnt vmcnt(4) lgkmcnt(1)
	v_mul_f64 v[30:31], v[24:25], v[4:5]
	v_mul_f64 v[4:5], v[22:23], v[4:5]
	s_waitcnt vmcnt(3) lgkmcnt(0)
	v_mul_f64 v[32:33], v[26:27], v[8:9]
	v_mul_f64 v[8:9], v[28:29], v[8:9]
	s_delay_alu instid0(VALU_DEP_4) | instskip(NEXT) | instid1(VALU_DEP_4)
	v_fma_f64 v[30:31], v[22:23], v[2:3], -v[30:31]
	v_fma_f64 v[34:35], v[24:25], v[2:3], v[4:5]
	ds_load_b128 v[2:5], v1 offset:1888
	ds_load_b128 v[22:25], v1 offset:1904
	v_fma_f64 v[28:29], v[28:29], v[6:7], v[32:33]
	v_fma_f64 v[6:7], v[26:27], v[6:7], -v[8:9]
	s_waitcnt vmcnt(2) lgkmcnt(1)
	v_mul_f64 v[36:37], v[2:3], v[12:13]
	v_mul_f64 v[12:13], v[4:5], v[12:13]
	v_add_f64 v[8:9], v[30:31], 0
	v_add_f64 v[26:27], v[34:35], 0
	s_waitcnt vmcnt(1) lgkmcnt(0)
	v_mul_f64 v[30:31], v[22:23], v[16:17]
	v_mul_f64 v[16:17], v[24:25], v[16:17]
	v_fma_f64 v[4:5], v[4:5], v[10:11], v[36:37]
	v_fma_f64 v[1:2], v[2:3], v[10:11], -v[12:13]
	v_add_f64 v[6:7], v[8:9], v[6:7]
	v_add_f64 v[8:9], v[26:27], v[28:29]
	v_fma_f64 v[10:11], v[24:25], v[14:15], v[30:31]
	v_fma_f64 v[12:13], v[22:23], v[14:15], -v[16:17]
	s_delay_alu instid0(VALU_DEP_4) | instskip(NEXT) | instid1(VALU_DEP_4)
	v_add_f64 v[1:2], v[6:7], v[1:2]
	v_add_f64 v[3:4], v[8:9], v[4:5]
	s_delay_alu instid0(VALU_DEP_2) | instskip(NEXT) | instid1(VALU_DEP_2)
	v_add_f64 v[1:2], v[1:2], v[12:13]
	v_add_f64 v[3:4], v[3:4], v[10:11]
	s_waitcnt vmcnt(0)
	s_delay_alu instid0(VALU_DEP_2) | instskip(NEXT) | instid1(VALU_DEP_2)
	v_add_f64 v[1:2], v[18:19], -v[1:2]
	v_add_f64 v[3:4], v[20:21], -v[3:4]
	scratch_store_b128 off, v[1:4], off offset:880
	v_cmpx_lt_u32_e32 54, v166
	s_cbranch_execz .LBB123_265
; %bb.264:
	scratch_load_b128 v[1:4], v218, off
	v_mov_b32_e32 v5, 0
	s_delay_alu instid0(VALU_DEP_1)
	v_mov_b32_e32 v6, v5
	v_mov_b32_e32 v7, v5
	;; [unrolled: 1-line block ×3, first 2 shown]
	scratch_store_b128 off, v[5:8], off offset:864
	s_waitcnt vmcnt(0)
	ds_store_b128 v226, v[1:4]
.LBB123_265:
	s_or_b32 exec_lo, exec_lo, s2
	s_waitcnt lgkmcnt(0)
	s_waitcnt_vscnt null, 0x0
	s_barrier
	buffer_gl0_inv
	s_clause 0x5
	scratch_load_b128 v[2:5], off, off offset:880
	scratch_load_b128 v[6:9], off, off offset:896
	;; [unrolled: 1-line block ×6, first 2 shown]
	v_mov_b32_e32 v1, 0
	ds_load_b128 v[26:29], v1 offset:1840
	ds_load_b128 v[30:33], v1 offset:1856
	s_mov_b32 s2, exec_lo
	s_waitcnt vmcnt(5) lgkmcnt(1)
	v_mul_f64 v[34:35], v[28:29], v[4:5]
	v_mul_f64 v[4:5], v[26:27], v[4:5]
	s_waitcnt vmcnt(4) lgkmcnt(0)
	v_mul_f64 v[36:37], v[30:31], v[8:9]
	v_mul_f64 v[8:9], v[32:33], v[8:9]
	s_delay_alu instid0(VALU_DEP_4) | instskip(NEXT) | instid1(VALU_DEP_4)
	v_fma_f64 v[34:35], v[26:27], v[2:3], -v[34:35]
	v_fma_f64 v[38:39], v[28:29], v[2:3], v[4:5]
	ds_load_b128 v[2:5], v1 offset:1872
	ds_load_b128 v[26:29], v1 offset:1888
	v_fma_f64 v[32:33], v[32:33], v[6:7], v[36:37]
	v_fma_f64 v[6:7], v[30:31], v[6:7], -v[8:9]
	s_waitcnt vmcnt(3) lgkmcnt(1)
	v_mul_f64 v[40:41], v[2:3], v[12:13]
	v_mul_f64 v[12:13], v[4:5], v[12:13]
	v_add_f64 v[8:9], v[34:35], 0
	v_add_f64 v[30:31], v[38:39], 0
	s_waitcnt vmcnt(2) lgkmcnt(0)
	v_mul_f64 v[34:35], v[26:27], v[16:17]
	v_mul_f64 v[16:17], v[28:29], v[16:17]
	v_fma_f64 v[36:37], v[4:5], v[10:11], v[40:41]
	v_fma_f64 v[10:11], v[2:3], v[10:11], -v[12:13]
	ds_load_b128 v[2:5], v1 offset:1904
	v_add_f64 v[6:7], v[8:9], v[6:7]
	v_add_f64 v[8:9], v[30:31], v[32:33]
	v_fma_f64 v[28:29], v[28:29], v[14:15], v[34:35]
	v_fma_f64 v[14:15], v[26:27], v[14:15], -v[16:17]
	s_waitcnt vmcnt(1) lgkmcnt(0)
	v_mul_f64 v[12:13], v[2:3], v[20:21]
	v_mul_f64 v[20:21], v[4:5], v[20:21]
	v_add_f64 v[6:7], v[6:7], v[10:11]
	v_add_f64 v[8:9], v[8:9], v[36:37]
	s_delay_alu instid0(VALU_DEP_4) | instskip(NEXT) | instid1(VALU_DEP_4)
	v_fma_f64 v[4:5], v[4:5], v[18:19], v[12:13]
	v_fma_f64 v[2:3], v[2:3], v[18:19], -v[20:21]
	s_delay_alu instid0(VALU_DEP_4) | instskip(NEXT) | instid1(VALU_DEP_4)
	v_add_f64 v[6:7], v[6:7], v[14:15]
	v_add_f64 v[8:9], v[8:9], v[28:29]
	s_delay_alu instid0(VALU_DEP_2) | instskip(NEXT) | instid1(VALU_DEP_2)
	v_add_f64 v[2:3], v[6:7], v[2:3]
	v_add_f64 v[4:5], v[8:9], v[4:5]
	s_waitcnt vmcnt(0)
	s_delay_alu instid0(VALU_DEP_2) | instskip(NEXT) | instid1(VALU_DEP_2)
	v_add_f64 v[2:3], v[22:23], -v[2:3]
	v_add_f64 v[4:5], v[24:25], -v[4:5]
	scratch_store_b128 off, v[2:5], off offset:864
	v_cmpx_lt_u32_e32 53, v166
	s_cbranch_execz .LBB123_267
; %bb.266:
	scratch_load_b128 v[5:8], v219, off
	v_mov_b32_e32 v2, v1
	v_mov_b32_e32 v3, v1
	v_mov_b32_e32 v4, v1
	scratch_store_b128 off, v[1:4], off offset:848
	s_waitcnt vmcnt(0)
	ds_store_b128 v226, v[5:8]
.LBB123_267:
	s_or_b32 exec_lo, exec_lo, s2
	s_waitcnt lgkmcnt(0)
	s_waitcnt_vscnt null, 0x0
	s_barrier
	buffer_gl0_inv
	s_clause 0x5
	scratch_load_b128 v[2:5], off, off offset:864
	scratch_load_b128 v[6:9], off, off offset:880
	;; [unrolled: 1-line block ×6, first 2 shown]
	ds_load_b128 v[26:29], v1 offset:1824
	ds_load_b128 v[34:37], v1 offset:1840
	scratch_load_b128 v[30:33], off, off offset:848
	s_mov_b32 s2, exec_lo
	s_waitcnt vmcnt(6) lgkmcnt(1)
	v_mul_f64 v[38:39], v[28:29], v[4:5]
	v_mul_f64 v[4:5], v[26:27], v[4:5]
	s_waitcnt vmcnt(5) lgkmcnt(0)
	v_mul_f64 v[40:41], v[34:35], v[8:9]
	v_mul_f64 v[8:9], v[36:37], v[8:9]
	s_delay_alu instid0(VALU_DEP_4) | instskip(NEXT) | instid1(VALU_DEP_4)
	v_fma_f64 v[38:39], v[26:27], v[2:3], -v[38:39]
	v_fma_f64 v[42:43], v[28:29], v[2:3], v[4:5]
	ds_load_b128 v[2:5], v1 offset:1856
	ds_load_b128 v[26:29], v1 offset:1872
	v_fma_f64 v[36:37], v[36:37], v[6:7], v[40:41]
	v_fma_f64 v[6:7], v[34:35], v[6:7], -v[8:9]
	s_waitcnt vmcnt(4) lgkmcnt(1)
	v_mul_f64 v[44:45], v[2:3], v[12:13]
	v_mul_f64 v[12:13], v[4:5], v[12:13]
	v_add_f64 v[8:9], v[38:39], 0
	v_add_f64 v[34:35], v[42:43], 0
	s_waitcnt vmcnt(3) lgkmcnt(0)
	v_mul_f64 v[38:39], v[26:27], v[16:17]
	v_mul_f64 v[16:17], v[28:29], v[16:17]
	v_fma_f64 v[40:41], v[4:5], v[10:11], v[44:45]
	v_fma_f64 v[10:11], v[2:3], v[10:11], -v[12:13]
	v_add_f64 v[12:13], v[8:9], v[6:7]
	v_add_f64 v[34:35], v[34:35], v[36:37]
	ds_load_b128 v[2:5], v1 offset:1888
	ds_load_b128 v[6:9], v1 offset:1904
	v_fma_f64 v[28:29], v[28:29], v[14:15], v[38:39]
	v_fma_f64 v[14:15], v[26:27], v[14:15], -v[16:17]
	s_waitcnt vmcnt(2) lgkmcnt(1)
	v_mul_f64 v[36:37], v[2:3], v[20:21]
	v_mul_f64 v[20:21], v[4:5], v[20:21]
	s_waitcnt vmcnt(1) lgkmcnt(0)
	v_mul_f64 v[16:17], v[6:7], v[24:25]
	v_mul_f64 v[24:25], v[8:9], v[24:25]
	v_add_f64 v[10:11], v[12:13], v[10:11]
	v_add_f64 v[12:13], v[34:35], v[40:41]
	v_fma_f64 v[4:5], v[4:5], v[18:19], v[36:37]
	v_fma_f64 v[1:2], v[2:3], v[18:19], -v[20:21]
	v_fma_f64 v[8:9], v[8:9], v[22:23], v[16:17]
	v_fma_f64 v[6:7], v[6:7], v[22:23], -v[24:25]
	v_add_f64 v[10:11], v[10:11], v[14:15]
	v_add_f64 v[12:13], v[12:13], v[28:29]
	s_delay_alu instid0(VALU_DEP_2) | instskip(NEXT) | instid1(VALU_DEP_2)
	v_add_f64 v[1:2], v[10:11], v[1:2]
	v_add_f64 v[3:4], v[12:13], v[4:5]
	s_delay_alu instid0(VALU_DEP_2) | instskip(NEXT) | instid1(VALU_DEP_2)
	v_add_f64 v[1:2], v[1:2], v[6:7]
	v_add_f64 v[3:4], v[3:4], v[8:9]
	s_waitcnt vmcnt(0)
	s_delay_alu instid0(VALU_DEP_2) | instskip(NEXT) | instid1(VALU_DEP_2)
	v_add_f64 v[1:2], v[30:31], -v[1:2]
	v_add_f64 v[3:4], v[32:33], -v[3:4]
	scratch_store_b128 off, v[1:4], off offset:848
	v_cmpx_lt_u32_e32 52, v166
	s_cbranch_execz .LBB123_269
; %bb.268:
	scratch_load_b128 v[1:4], v253, off
	v_mov_b32_e32 v5, 0
	s_delay_alu instid0(VALU_DEP_1)
	v_mov_b32_e32 v6, v5
	v_mov_b32_e32 v7, v5
	;; [unrolled: 1-line block ×3, first 2 shown]
	scratch_store_b128 off, v[5:8], off offset:832
	s_waitcnt vmcnt(0)
	ds_store_b128 v226, v[1:4]
.LBB123_269:
	s_or_b32 exec_lo, exec_lo, s2
	s_waitcnt lgkmcnt(0)
	s_waitcnt_vscnt null, 0x0
	s_barrier
	buffer_gl0_inv
	s_clause 0x6
	scratch_load_b128 v[2:5], off, off offset:848
	scratch_load_b128 v[6:9], off, off offset:864
	;; [unrolled: 1-line block ×7, first 2 shown]
	v_mov_b32_e32 v1, 0
	scratch_load_b128 v[34:37], off, off offset:832
	s_mov_b32 s2, exec_lo
	ds_load_b128 v[30:33], v1 offset:1808
	ds_load_b128 v[38:41], v1 offset:1824
	s_waitcnt vmcnt(7) lgkmcnt(1)
	v_mul_f64 v[42:43], v[32:33], v[4:5]
	v_mul_f64 v[4:5], v[30:31], v[4:5]
	s_waitcnt vmcnt(6) lgkmcnt(0)
	v_mul_f64 v[44:45], v[38:39], v[8:9]
	v_mul_f64 v[8:9], v[40:41], v[8:9]
	s_delay_alu instid0(VALU_DEP_4) | instskip(NEXT) | instid1(VALU_DEP_4)
	v_fma_f64 v[42:43], v[30:31], v[2:3], -v[42:43]
	v_fma_f64 v[48:49], v[32:33], v[2:3], v[4:5]
	ds_load_b128 v[2:5], v1 offset:1840
	ds_load_b128 v[30:33], v1 offset:1856
	v_fma_f64 v[40:41], v[40:41], v[6:7], v[44:45]
	v_fma_f64 v[6:7], v[38:39], v[6:7], -v[8:9]
	s_waitcnt vmcnt(5) lgkmcnt(1)
	v_mul_f64 v[50:51], v[2:3], v[12:13]
	v_mul_f64 v[12:13], v[4:5], v[12:13]
	v_add_f64 v[8:9], v[42:43], 0
	v_add_f64 v[38:39], v[48:49], 0
	s_waitcnt vmcnt(4) lgkmcnt(0)
	v_mul_f64 v[42:43], v[30:31], v[16:17]
	v_mul_f64 v[16:17], v[32:33], v[16:17]
	v_fma_f64 v[44:45], v[4:5], v[10:11], v[50:51]
	v_fma_f64 v[10:11], v[2:3], v[10:11], -v[12:13]
	v_add_f64 v[12:13], v[8:9], v[6:7]
	v_add_f64 v[38:39], v[38:39], v[40:41]
	ds_load_b128 v[2:5], v1 offset:1872
	ds_load_b128 v[6:9], v1 offset:1888
	v_fma_f64 v[32:33], v[32:33], v[14:15], v[42:43]
	v_fma_f64 v[14:15], v[30:31], v[14:15], -v[16:17]
	s_waitcnt vmcnt(3) lgkmcnt(1)
	v_mul_f64 v[40:41], v[2:3], v[20:21]
	v_mul_f64 v[20:21], v[4:5], v[20:21]
	s_waitcnt vmcnt(2) lgkmcnt(0)
	v_mul_f64 v[16:17], v[6:7], v[24:25]
	v_mul_f64 v[24:25], v[8:9], v[24:25]
	v_add_f64 v[10:11], v[12:13], v[10:11]
	v_add_f64 v[12:13], v[38:39], v[44:45]
	v_fma_f64 v[30:31], v[4:5], v[18:19], v[40:41]
	v_fma_f64 v[18:19], v[2:3], v[18:19], -v[20:21]
	ds_load_b128 v[2:5], v1 offset:1904
	v_fma_f64 v[8:9], v[8:9], v[22:23], v[16:17]
	v_fma_f64 v[6:7], v[6:7], v[22:23], -v[24:25]
	v_add_f64 v[10:11], v[10:11], v[14:15]
	v_add_f64 v[12:13], v[12:13], v[32:33]
	s_waitcnt vmcnt(1) lgkmcnt(0)
	v_mul_f64 v[14:15], v[2:3], v[28:29]
	v_mul_f64 v[20:21], v[4:5], v[28:29]
	s_delay_alu instid0(VALU_DEP_4) | instskip(NEXT) | instid1(VALU_DEP_4)
	v_add_f64 v[10:11], v[10:11], v[18:19]
	v_add_f64 v[12:13], v[12:13], v[30:31]
	s_delay_alu instid0(VALU_DEP_4) | instskip(NEXT) | instid1(VALU_DEP_4)
	v_fma_f64 v[4:5], v[4:5], v[26:27], v[14:15]
	v_fma_f64 v[2:3], v[2:3], v[26:27], -v[20:21]
	s_delay_alu instid0(VALU_DEP_4) | instskip(NEXT) | instid1(VALU_DEP_4)
	v_add_f64 v[6:7], v[10:11], v[6:7]
	v_add_f64 v[8:9], v[12:13], v[8:9]
	s_delay_alu instid0(VALU_DEP_2) | instskip(NEXT) | instid1(VALU_DEP_2)
	v_add_f64 v[2:3], v[6:7], v[2:3]
	v_add_f64 v[4:5], v[8:9], v[4:5]
	s_waitcnt vmcnt(0)
	s_delay_alu instid0(VALU_DEP_2) | instskip(NEXT) | instid1(VALU_DEP_2)
	v_add_f64 v[2:3], v[34:35], -v[2:3]
	v_add_f64 v[4:5], v[36:37], -v[4:5]
	scratch_store_b128 off, v[2:5], off offset:832
	v_cmpx_lt_u32_e32 51, v166
	s_cbranch_execz .LBB123_271
; %bb.270:
	scratch_load_b128 v[5:8], v170, off
	v_mov_b32_e32 v2, v1
	v_mov_b32_e32 v3, v1
	;; [unrolled: 1-line block ×3, first 2 shown]
	scratch_store_b128 off, v[1:4], off offset:816
	s_waitcnt vmcnt(0)
	ds_store_b128 v226, v[5:8]
.LBB123_271:
	s_or_b32 exec_lo, exec_lo, s2
	s_waitcnt lgkmcnt(0)
	s_waitcnt_vscnt null, 0x0
	s_barrier
	buffer_gl0_inv
	s_clause 0x7
	scratch_load_b128 v[2:5], off, off offset:832
	scratch_load_b128 v[6:9], off, off offset:848
	;; [unrolled: 1-line block ×8, first 2 shown]
	ds_load_b128 v[34:37], v1 offset:1792
	ds_load_b128 v[38:41], v1 offset:1808
	scratch_load_b128 v[42:45], off, off offset:816
	s_mov_b32 s2, exec_lo
	s_waitcnt vmcnt(8) lgkmcnt(1)
	v_mul_f64 v[48:49], v[36:37], v[4:5]
	v_mul_f64 v[4:5], v[34:35], v[4:5]
	s_waitcnt vmcnt(7) lgkmcnt(0)
	v_mul_f64 v[50:51], v[38:39], v[8:9]
	v_mul_f64 v[8:9], v[40:41], v[8:9]
	s_delay_alu instid0(VALU_DEP_4) | instskip(NEXT) | instid1(VALU_DEP_4)
	v_fma_f64 v[48:49], v[34:35], v[2:3], -v[48:49]
	v_fma_f64 v[52:53], v[36:37], v[2:3], v[4:5]
	ds_load_b128 v[2:5], v1 offset:1824
	ds_load_b128 v[34:37], v1 offset:1840
	v_fma_f64 v[40:41], v[40:41], v[6:7], v[50:51]
	v_fma_f64 v[6:7], v[38:39], v[6:7], -v[8:9]
	s_waitcnt vmcnt(6) lgkmcnt(1)
	v_mul_f64 v[54:55], v[2:3], v[12:13]
	v_mul_f64 v[12:13], v[4:5], v[12:13]
	v_add_f64 v[8:9], v[48:49], 0
	v_add_f64 v[38:39], v[52:53], 0
	s_waitcnt vmcnt(5) lgkmcnt(0)
	v_mul_f64 v[48:49], v[34:35], v[16:17]
	v_mul_f64 v[16:17], v[36:37], v[16:17]
	v_fma_f64 v[50:51], v[4:5], v[10:11], v[54:55]
	v_fma_f64 v[10:11], v[2:3], v[10:11], -v[12:13]
	v_add_f64 v[12:13], v[8:9], v[6:7]
	v_add_f64 v[38:39], v[38:39], v[40:41]
	ds_load_b128 v[2:5], v1 offset:1856
	ds_load_b128 v[6:9], v1 offset:1872
	v_fma_f64 v[36:37], v[36:37], v[14:15], v[48:49]
	v_fma_f64 v[14:15], v[34:35], v[14:15], -v[16:17]
	s_waitcnt vmcnt(4) lgkmcnt(1)
	v_mul_f64 v[40:41], v[2:3], v[20:21]
	v_mul_f64 v[20:21], v[4:5], v[20:21]
	s_waitcnt vmcnt(3) lgkmcnt(0)
	v_mul_f64 v[16:17], v[6:7], v[24:25]
	v_mul_f64 v[24:25], v[8:9], v[24:25]
	v_add_f64 v[10:11], v[12:13], v[10:11]
	v_add_f64 v[12:13], v[38:39], v[50:51]
	v_fma_f64 v[34:35], v[4:5], v[18:19], v[40:41]
	v_fma_f64 v[18:19], v[2:3], v[18:19], -v[20:21]
	v_fma_f64 v[8:9], v[8:9], v[22:23], v[16:17]
	v_fma_f64 v[6:7], v[6:7], v[22:23], -v[24:25]
	v_add_f64 v[14:15], v[10:11], v[14:15]
	v_add_f64 v[20:21], v[12:13], v[36:37]
	ds_load_b128 v[2:5], v1 offset:1888
	ds_load_b128 v[10:13], v1 offset:1904
	s_waitcnt vmcnt(2) lgkmcnt(1)
	v_mul_f64 v[36:37], v[2:3], v[28:29]
	v_mul_f64 v[28:29], v[4:5], v[28:29]
	v_add_f64 v[14:15], v[14:15], v[18:19]
	v_add_f64 v[16:17], v[20:21], v[34:35]
	s_waitcnt vmcnt(1) lgkmcnt(0)
	v_mul_f64 v[18:19], v[10:11], v[32:33]
	v_mul_f64 v[20:21], v[12:13], v[32:33]
	v_fma_f64 v[4:5], v[4:5], v[26:27], v[36:37]
	v_fma_f64 v[1:2], v[2:3], v[26:27], -v[28:29]
	v_add_f64 v[6:7], v[14:15], v[6:7]
	v_add_f64 v[8:9], v[16:17], v[8:9]
	v_fma_f64 v[12:13], v[12:13], v[30:31], v[18:19]
	v_fma_f64 v[10:11], v[10:11], v[30:31], -v[20:21]
	s_delay_alu instid0(VALU_DEP_4) | instskip(NEXT) | instid1(VALU_DEP_4)
	v_add_f64 v[1:2], v[6:7], v[1:2]
	v_add_f64 v[3:4], v[8:9], v[4:5]
	s_delay_alu instid0(VALU_DEP_2) | instskip(NEXT) | instid1(VALU_DEP_2)
	v_add_f64 v[1:2], v[1:2], v[10:11]
	v_add_f64 v[3:4], v[3:4], v[12:13]
	s_waitcnt vmcnt(0)
	s_delay_alu instid0(VALU_DEP_2) | instskip(NEXT) | instid1(VALU_DEP_2)
	v_add_f64 v[1:2], v[42:43], -v[1:2]
	v_add_f64 v[3:4], v[44:45], -v[3:4]
	scratch_store_b128 off, v[1:4], off offset:816
	v_cmpx_lt_u32_e32 50, v166
	s_cbranch_execz .LBB123_273
; %bb.272:
	scratch_load_b128 v[1:4], v171, off
	v_mov_b32_e32 v5, 0
	s_delay_alu instid0(VALU_DEP_1)
	v_mov_b32_e32 v6, v5
	v_mov_b32_e32 v7, v5
	;; [unrolled: 1-line block ×3, first 2 shown]
	scratch_store_b128 off, v[5:8], off offset:800
	s_waitcnt vmcnt(0)
	ds_store_b128 v226, v[1:4]
.LBB123_273:
	s_or_b32 exec_lo, exec_lo, s2
	s_waitcnt lgkmcnt(0)
	s_waitcnt_vscnt null, 0x0
	s_barrier
	buffer_gl0_inv
	s_clause 0x7
	scratch_load_b128 v[2:5], off, off offset:816
	scratch_load_b128 v[6:9], off, off offset:832
	;; [unrolled: 1-line block ×8, first 2 shown]
	v_mov_b32_e32 v1, 0
	scratch_load_b128 v[38:41], off, off offset:944
	s_mov_b32 s2, exec_lo
	ds_load_b128 v[34:37], v1 offset:1776
	ds_load_b128 v[42:45], v1 offset:1792
	s_waitcnt vmcnt(8) lgkmcnt(1)
	v_mul_f64 v[48:49], v[36:37], v[4:5]
	v_mul_f64 v[4:5], v[34:35], v[4:5]
	s_waitcnt vmcnt(7) lgkmcnt(0)
	v_mul_f64 v[50:51], v[42:43], v[8:9]
	v_mul_f64 v[8:9], v[44:45], v[8:9]
	s_delay_alu instid0(VALU_DEP_4) | instskip(NEXT) | instid1(VALU_DEP_4)
	v_fma_f64 v[34:35], v[34:35], v[2:3], -v[48:49]
	v_fma_f64 v[36:37], v[36:37], v[2:3], v[4:5]
	ds_load_b128 v[2:5], v1 offset:1808
	v_fma_f64 v[44:45], v[44:45], v[6:7], v[50:51]
	v_fma_f64 v[42:43], v[42:43], v[6:7], -v[8:9]
	ds_load_b128 v[6:9], v1 offset:1824
	s_waitcnt vmcnt(6) lgkmcnt(1)
	v_mul_f64 v[48:49], v[2:3], v[12:13]
	v_mul_f64 v[12:13], v[4:5], v[12:13]
	s_waitcnt vmcnt(5) lgkmcnt(0)
	v_mul_f64 v[54:55], v[6:7], v[16:17]
	v_mul_f64 v[16:17], v[8:9], v[16:17]
	v_add_f64 v[50:51], v[34:35], 0
	v_add_f64 v[52:53], v[36:37], 0
	scratch_load_b128 v[34:37], off, off offset:800
	v_fma_f64 v[48:49], v[4:5], v[10:11], v[48:49]
	v_fma_f64 v[10:11], v[2:3], v[10:11], -v[12:13]
	ds_load_b128 v[2:5], v1 offset:1840
	v_add_f64 v[12:13], v[50:51], v[42:43]
	v_add_f64 v[42:43], v[52:53], v[44:45]
	v_fma_f64 v[50:51], v[8:9], v[14:15], v[54:55]
	v_fma_f64 v[14:15], v[6:7], v[14:15], -v[16:17]
	ds_load_b128 v[6:9], v1 offset:1856
	s_waitcnt vmcnt(5) lgkmcnt(1)
	v_mul_f64 v[44:45], v[2:3], v[20:21]
	v_mul_f64 v[20:21], v[4:5], v[20:21]
	s_waitcnt vmcnt(4) lgkmcnt(0)
	v_mul_f64 v[16:17], v[6:7], v[24:25]
	v_mul_f64 v[24:25], v[8:9], v[24:25]
	v_add_f64 v[10:11], v[12:13], v[10:11]
	v_add_f64 v[12:13], v[42:43], v[48:49]
	v_fma_f64 v[42:43], v[4:5], v[18:19], v[44:45]
	v_fma_f64 v[18:19], v[2:3], v[18:19], -v[20:21]
	ds_load_b128 v[2:5], v1 offset:1872
	v_fma_f64 v[16:17], v[8:9], v[22:23], v[16:17]
	v_fma_f64 v[22:23], v[6:7], v[22:23], -v[24:25]
	ds_load_b128 v[6:9], v1 offset:1888
	s_waitcnt vmcnt(3) lgkmcnt(1)
	v_mul_f64 v[20:21], v[4:5], v[28:29]
	v_add_f64 v[10:11], v[10:11], v[14:15]
	v_add_f64 v[12:13], v[12:13], v[50:51]
	v_mul_f64 v[14:15], v[2:3], v[28:29]
	s_waitcnt vmcnt(2) lgkmcnt(0)
	v_mul_f64 v[24:25], v[8:9], v[32:33]
	v_fma_f64 v[20:21], v[2:3], v[26:27], -v[20:21]
	v_add_f64 v[10:11], v[10:11], v[18:19]
	v_add_f64 v[12:13], v[12:13], v[42:43]
	v_mul_f64 v[18:19], v[6:7], v[32:33]
	v_fma_f64 v[14:15], v[4:5], v[26:27], v[14:15]
	ds_load_b128 v[2:5], v1 offset:1904
	v_fma_f64 v[6:7], v[6:7], v[30:31], -v[24:25]
	v_add_f64 v[10:11], v[10:11], v[22:23]
	v_add_f64 v[12:13], v[12:13], v[16:17]
	s_waitcnt vmcnt(1) lgkmcnt(0)
	v_mul_f64 v[16:17], v[2:3], v[40:41]
	v_mul_f64 v[22:23], v[4:5], v[40:41]
	v_fma_f64 v[8:9], v[8:9], v[30:31], v[18:19]
	v_add_f64 v[10:11], v[10:11], v[20:21]
	v_add_f64 v[12:13], v[12:13], v[14:15]
	v_fma_f64 v[4:5], v[4:5], v[38:39], v[16:17]
	v_fma_f64 v[2:3], v[2:3], v[38:39], -v[22:23]
	s_delay_alu instid0(VALU_DEP_4) | instskip(NEXT) | instid1(VALU_DEP_4)
	v_add_f64 v[6:7], v[10:11], v[6:7]
	v_add_f64 v[8:9], v[12:13], v[8:9]
	s_delay_alu instid0(VALU_DEP_2) | instskip(NEXT) | instid1(VALU_DEP_2)
	v_add_f64 v[2:3], v[6:7], v[2:3]
	v_add_f64 v[4:5], v[8:9], v[4:5]
	s_waitcnt vmcnt(0)
	s_delay_alu instid0(VALU_DEP_2) | instskip(NEXT) | instid1(VALU_DEP_2)
	v_add_f64 v[2:3], v[34:35], -v[2:3]
	v_add_f64 v[4:5], v[36:37], -v[4:5]
	scratch_store_b128 off, v[2:5], off offset:800
	v_cmpx_lt_u32_e32 49, v166
	s_cbranch_execz .LBB123_275
; %bb.274:
	scratch_load_b128 v[5:8], v172, off
	v_mov_b32_e32 v2, v1
	v_mov_b32_e32 v3, v1
	;; [unrolled: 1-line block ×3, first 2 shown]
	scratch_store_b128 off, v[1:4], off offset:784
	s_waitcnt vmcnt(0)
	ds_store_b128 v226, v[5:8]
.LBB123_275:
	s_or_b32 exec_lo, exec_lo, s2
	s_waitcnt lgkmcnt(0)
	s_waitcnt_vscnt null, 0x0
	s_barrier
	buffer_gl0_inv
	s_clause 0x7
	scratch_load_b128 v[2:5], off, off offset:800
	scratch_load_b128 v[6:9], off, off offset:816
	;; [unrolled: 1-line block ×8, first 2 shown]
	ds_load_b128 v[34:37], v1 offset:1760
	ds_load_b128 v[42:45], v1 offset:1776
	s_clause 0x1
	scratch_load_b128 v[38:41], off, off offset:928
	scratch_load_b128 v[48:51], off, off offset:944
	s_mov_b32 s2, exec_lo
	s_waitcnt vmcnt(9) lgkmcnt(1)
	v_mul_f64 v[52:53], v[36:37], v[4:5]
	v_mul_f64 v[4:5], v[34:35], v[4:5]
	s_waitcnt vmcnt(8) lgkmcnt(0)
	v_mul_f64 v[54:55], v[42:43], v[8:9]
	v_mul_f64 v[8:9], v[44:45], v[8:9]
	s_delay_alu instid0(VALU_DEP_4) | instskip(NEXT) | instid1(VALU_DEP_4)
	v_fma_f64 v[34:35], v[34:35], v[2:3], -v[52:53]
	v_fma_f64 v[36:37], v[36:37], v[2:3], v[4:5]
	ds_load_b128 v[2:5], v1 offset:1792
	v_fma_f64 v[44:45], v[44:45], v[6:7], v[54:55]
	v_fma_f64 v[42:43], v[42:43], v[6:7], -v[8:9]
	ds_load_b128 v[6:9], v1 offset:1808
	s_waitcnt vmcnt(7) lgkmcnt(1)
	v_mul_f64 v[52:53], v[2:3], v[12:13]
	v_mul_f64 v[12:13], v[4:5], v[12:13]
	s_waitcnt vmcnt(6) lgkmcnt(0)
	v_mul_f64 v[54:55], v[6:7], v[16:17]
	v_mul_f64 v[16:17], v[8:9], v[16:17]
	v_add_f64 v[34:35], v[34:35], 0
	v_add_f64 v[36:37], v[36:37], 0
	v_fma_f64 v[52:53], v[4:5], v[10:11], v[52:53]
	v_fma_f64 v[56:57], v[2:3], v[10:11], -v[12:13]
	ds_load_b128 v[2:5], v1 offset:1824
	scratch_load_b128 v[10:13], off, off offset:784
	v_add_f64 v[34:35], v[34:35], v[42:43]
	v_add_f64 v[36:37], v[36:37], v[44:45]
	v_fma_f64 v[44:45], v[8:9], v[14:15], v[54:55]
	v_fma_f64 v[14:15], v[6:7], v[14:15], -v[16:17]
	ds_load_b128 v[6:9], v1 offset:1840
	s_waitcnt vmcnt(6) lgkmcnt(1)
	v_mul_f64 v[42:43], v[2:3], v[20:21]
	v_mul_f64 v[20:21], v[4:5], v[20:21]
	v_add_f64 v[16:17], v[34:35], v[56:57]
	v_add_f64 v[34:35], v[36:37], v[52:53]
	s_waitcnt vmcnt(5) lgkmcnt(0)
	v_mul_f64 v[36:37], v[6:7], v[24:25]
	v_mul_f64 v[24:25], v[8:9], v[24:25]
	v_fma_f64 v[42:43], v[4:5], v[18:19], v[42:43]
	v_fma_f64 v[18:19], v[2:3], v[18:19], -v[20:21]
	ds_load_b128 v[2:5], v1 offset:1856
	v_add_f64 v[14:15], v[16:17], v[14:15]
	v_add_f64 v[16:17], v[34:35], v[44:45]
	v_fma_f64 v[34:35], v[8:9], v[22:23], v[36:37]
	v_fma_f64 v[22:23], v[6:7], v[22:23], -v[24:25]
	ds_load_b128 v[6:9], v1 offset:1872
	s_waitcnt vmcnt(4) lgkmcnt(1)
	v_mul_f64 v[20:21], v[2:3], v[28:29]
	v_mul_f64 v[28:29], v[4:5], v[28:29]
	s_waitcnt vmcnt(3) lgkmcnt(0)
	v_mul_f64 v[24:25], v[8:9], v[32:33]
	v_add_f64 v[14:15], v[14:15], v[18:19]
	v_add_f64 v[16:17], v[16:17], v[42:43]
	v_mul_f64 v[18:19], v[6:7], v[32:33]
	v_fma_f64 v[20:21], v[4:5], v[26:27], v[20:21]
	v_fma_f64 v[26:27], v[2:3], v[26:27], -v[28:29]
	ds_load_b128 v[2:5], v1 offset:1888
	v_fma_f64 v[24:25], v[6:7], v[30:31], -v[24:25]
	v_add_f64 v[14:15], v[14:15], v[22:23]
	v_add_f64 v[16:17], v[16:17], v[34:35]
	v_fma_f64 v[18:19], v[8:9], v[30:31], v[18:19]
	ds_load_b128 v[6:9], v1 offset:1904
	s_waitcnt vmcnt(2) lgkmcnt(1)
	v_mul_f64 v[22:23], v[2:3], v[40:41]
	v_mul_f64 v[28:29], v[4:5], v[40:41]
	v_add_f64 v[14:15], v[14:15], v[26:27]
	v_add_f64 v[16:17], v[16:17], v[20:21]
	s_waitcnt vmcnt(1) lgkmcnt(0)
	v_mul_f64 v[20:21], v[6:7], v[50:51]
	v_mul_f64 v[26:27], v[8:9], v[50:51]
	v_fma_f64 v[4:5], v[4:5], v[38:39], v[22:23]
	v_fma_f64 v[1:2], v[2:3], v[38:39], -v[28:29]
	v_add_f64 v[14:15], v[14:15], v[24:25]
	v_add_f64 v[16:17], v[16:17], v[18:19]
	v_fma_f64 v[8:9], v[8:9], v[48:49], v[20:21]
	v_fma_f64 v[6:7], v[6:7], v[48:49], -v[26:27]
	s_delay_alu instid0(VALU_DEP_4) | instskip(NEXT) | instid1(VALU_DEP_4)
	v_add_f64 v[1:2], v[14:15], v[1:2]
	v_add_f64 v[3:4], v[16:17], v[4:5]
	s_delay_alu instid0(VALU_DEP_2) | instskip(NEXT) | instid1(VALU_DEP_2)
	v_add_f64 v[1:2], v[1:2], v[6:7]
	v_add_f64 v[3:4], v[3:4], v[8:9]
	s_waitcnt vmcnt(0)
	s_delay_alu instid0(VALU_DEP_2) | instskip(NEXT) | instid1(VALU_DEP_2)
	v_add_f64 v[1:2], v[10:11], -v[1:2]
	v_add_f64 v[3:4], v[12:13], -v[3:4]
	scratch_store_b128 off, v[1:4], off offset:784
	v_cmpx_lt_u32_e32 48, v166
	s_cbranch_execz .LBB123_277
; %bb.276:
	scratch_load_b128 v[1:4], v173, off
	v_mov_b32_e32 v5, 0
	s_delay_alu instid0(VALU_DEP_1)
	v_mov_b32_e32 v6, v5
	v_mov_b32_e32 v7, v5
	;; [unrolled: 1-line block ×3, first 2 shown]
	scratch_store_b128 off, v[5:8], off offset:768
	s_waitcnt vmcnt(0)
	ds_store_b128 v226, v[1:4]
.LBB123_277:
	s_or_b32 exec_lo, exec_lo, s2
	s_waitcnt lgkmcnt(0)
	s_waitcnt_vscnt null, 0x0
	s_barrier
	buffer_gl0_inv
	s_clause 0x7
	scratch_load_b128 v[2:5], off, off offset:784
	scratch_load_b128 v[6:9], off, off offset:800
	;; [unrolled: 1-line block ×8, first 2 shown]
	v_mov_b32_e32 v1, 0
	s_clause 0x1
	scratch_load_b128 v[38:41], off, off offset:912
	scratch_load_b128 v[48:51], off, off offset:928
	s_mov_b32 s2, exec_lo
	ds_load_b128 v[34:37], v1 offset:1744
	ds_load_b128 v[42:45], v1 offset:1760
	s_waitcnt vmcnt(9) lgkmcnt(1)
	v_mul_f64 v[52:53], v[36:37], v[4:5]
	v_mul_f64 v[4:5], v[34:35], v[4:5]
	s_waitcnt vmcnt(8) lgkmcnt(0)
	v_mul_f64 v[54:55], v[42:43], v[8:9]
	v_mul_f64 v[8:9], v[44:45], v[8:9]
	s_delay_alu instid0(VALU_DEP_4) | instskip(NEXT) | instid1(VALU_DEP_4)
	v_fma_f64 v[52:53], v[34:35], v[2:3], -v[52:53]
	v_fma_f64 v[56:57], v[36:37], v[2:3], v[4:5]
	ds_load_b128 v[2:5], v1 offset:1776
	scratch_load_b128 v[34:37], off, off offset:944
	v_fma_f64 v[44:45], v[44:45], v[6:7], v[54:55]
	v_fma_f64 v[42:43], v[42:43], v[6:7], -v[8:9]
	ds_load_b128 v[6:9], v1 offset:1792
	s_waitcnt vmcnt(8) lgkmcnt(1)
	v_mul_f64 v[58:59], v[2:3], v[12:13]
	v_mul_f64 v[12:13], v[4:5], v[12:13]
	v_add_f64 v[52:53], v[52:53], 0
	v_add_f64 v[54:55], v[56:57], 0
	s_waitcnt vmcnt(7) lgkmcnt(0)
	v_mul_f64 v[56:57], v[6:7], v[16:17]
	v_mul_f64 v[16:17], v[8:9], v[16:17]
	v_fma_f64 v[58:59], v[4:5], v[10:11], v[58:59]
	v_fma_f64 v[10:11], v[2:3], v[10:11], -v[12:13]
	ds_load_b128 v[2:5], v1 offset:1808
	v_add_f64 v[12:13], v[52:53], v[42:43]
	v_add_f64 v[42:43], v[54:55], v[44:45]
	v_fma_f64 v[52:53], v[8:9], v[14:15], v[56:57]
	v_fma_f64 v[14:15], v[6:7], v[14:15], -v[16:17]
	ds_load_b128 v[6:9], v1 offset:1824
	s_waitcnt vmcnt(6) lgkmcnt(1)
	v_mul_f64 v[44:45], v[2:3], v[20:21]
	v_mul_f64 v[20:21], v[4:5], v[20:21]
	s_waitcnt vmcnt(5) lgkmcnt(0)
	v_mul_f64 v[54:55], v[6:7], v[24:25]
	v_mul_f64 v[24:25], v[8:9], v[24:25]
	v_add_f64 v[16:17], v[12:13], v[10:11]
	v_add_f64 v[42:43], v[42:43], v[58:59]
	scratch_load_b128 v[10:13], off, off offset:768
	v_fma_f64 v[44:45], v[4:5], v[18:19], v[44:45]
	v_fma_f64 v[18:19], v[2:3], v[18:19], -v[20:21]
	ds_load_b128 v[2:5], v1 offset:1840
	v_add_f64 v[14:15], v[16:17], v[14:15]
	v_add_f64 v[16:17], v[42:43], v[52:53]
	v_fma_f64 v[42:43], v[8:9], v[22:23], v[54:55]
	v_fma_f64 v[22:23], v[6:7], v[22:23], -v[24:25]
	ds_load_b128 v[6:9], v1 offset:1856
	s_waitcnt vmcnt(5) lgkmcnt(1)
	v_mul_f64 v[20:21], v[2:3], v[28:29]
	v_mul_f64 v[28:29], v[4:5], v[28:29]
	s_waitcnt vmcnt(4) lgkmcnt(0)
	v_mul_f64 v[24:25], v[8:9], v[32:33]
	v_add_f64 v[14:15], v[14:15], v[18:19]
	v_add_f64 v[16:17], v[16:17], v[44:45]
	v_mul_f64 v[18:19], v[6:7], v[32:33]
	v_fma_f64 v[20:21], v[4:5], v[26:27], v[20:21]
	v_fma_f64 v[26:27], v[2:3], v[26:27], -v[28:29]
	ds_load_b128 v[2:5], v1 offset:1872
	v_fma_f64 v[24:25], v[6:7], v[30:31], -v[24:25]
	v_add_f64 v[14:15], v[14:15], v[22:23]
	v_add_f64 v[16:17], v[16:17], v[42:43]
	v_fma_f64 v[18:19], v[8:9], v[30:31], v[18:19]
	ds_load_b128 v[6:9], v1 offset:1888
	s_waitcnt vmcnt(3) lgkmcnt(1)
	v_mul_f64 v[22:23], v[2:3], v[40:41]
	v_mul_f64 v[28:29], v[4:5], v[40:41]
	v_add_f64 v[14:15], v[14:15], v[26:27]
	v_add_f64 v[16:17], v[16:17], v[20:21]
	s_waitcnt vmcnt(2) lgkmcnt(0)
	v_mul_f64 v[20:21], v[6:7], v[50:51]
	v_mul_f64 v[26:27], v[8:9], v[50:51]
	v_fma_f64 v[22:23], v[4:5], v[38:39], v[22:23]
	v_fma_f64 v[28:29], v[2:3], v[38:39], -v[28:29]
	ds_load_b128 v[2:5], v1 offset:1904
	v_add_f64 v[14:15], v[14:15], v[24:25]
	v_add_f64 v[16:17], v[16:17], v[18:19]
	v_fma_f64 v[8:9], v[8:9], v[48:49], v[20:21]
	v_fma_f64 v[6:7], v[6:7], v[48:49], -v[26:27]
	s_waitcnt vmcnt(1) lgkmcnt(0)
	v_mul_f64 v[18:19], v[2:3], v[36:37]
	v_mul_f64 v[24:25], v[4:5], v[36:37]
	v_add_f64 v[14:15], v[14:15], v[28:29]
	v_add_f64 v[16:17], v[16:17], v[22:23]
	s_delay_alu instid0(VALU_DEP_4) | instskip(NEXT) | instid1(VALU_DEP_4)
	v_fma_f64 v[4:5], v[4:5], v[34:35], v[18:19]
	v_fma_f64 v[2:3], v[2:3], v[34:35], -v[24:25]
	s_delay_alu instid0(VALU_DEP_4) | instskip(NEXT) | instid1(VALU_DEP_4)
	v_add_f64 v[6:7], v[14:15], v[6:7]
	v_add_f64 v[8:9], v[16:17], v[8:9]
	s_delay_alu instid0(VALU_DEP_2) | instskip(NEXT) | instid1(VALU_DEP_2)
	v_add_f64 v[2:3], v[6:7], v[2:3]
	v_add_f64 v[4:5], v[8:9], v[4:5]
	s_waitcnt vmcnt(0)
	s_delay_alu instid0(VALU_DEP_2) | instskip(NEXT) | instid1(VALU_DEP_2)
	v_add_f64 v[2:3], v[10:11], -v[2:3]
	v_add_f64 v[4:5], v[12:13], -v[4:5]
	scratch_store_b128 off, v[2:5], off offset:768
	v_cmpx_lt_u32_e32 47, v166
	s_cbranch_execz .LBB123_279
; %bb.278:
	scratch_load_b128 v[5:8], v174, off
	v_mov_b32_e32 v2, v1
	v_mov_b32_e32 v3, v1
	;; [unrolled: 1-line block ×3, first 2 shown]
	scratch_store_b128 off, v[1:4], off offset:752
	s_waitcnt vmcnt(0)
	ds_store_b128 v226, v[5:8]
.LBB123_279:
	s_or_b32 exec_lo, exec_lo, s2
	s_waitcnt lgkmcnt(0)
	s_waitcnt_vscnt null, 0x0
	s_barrier
	buffer_gl0_inv
	s_clause 0x8
	scratch_load_b128 v[2:5], off, off offset:768
	scratch_load_b128 v[6:9], off, off offset:784
	;; [unrolled: 1-line block ×9, first 2 shown]
	ds_load_b128 v[38:41], v1 offset:1728
	ds_load_b128 v[42:45], v1 offset:1744
	s_clause 0x1
	scratch_load_b128 v[48:51], off, off offset:752
	scratch_load_b128 v[176:179], off, off offset:912
	s_mov_b32 s2, exec_lo
	ds_load_b128 v[180:183], v1 offset:1776
	s_waitcnt vmcnt(10) lgkmcnt(2)
	v_mul_f64 v[52:53], v[40:41], v[4:5]
	v_mul_f64 v[4:5], v[38:39], v[4:5]
	s_waitcnt vmcnt(9) lgkmcnt(1)
	v_mul_f64 v[54:55], v[42:43], v[8:9]
	v_mul_f64 v[8:9], v[44:45], v[8:9]
	s_delay_alu instid0(VALU_DEP_4) | instskip(NEXT) | instid1(VALU_DEP_4)
	v_fma_f64 v[52:53], v[38:39], v[2:3], -v[52:53]
	v_fma_f64 v[56:57], v[40:41], v[2:3], v[4:5]
	ds_load_b128 v[2:5], v1 offset:1760
	scratch_load_b128 v[38:41], off, off offset:928
	v_fma_f64 v[44:45], v[44:45], v[6:7], v[54:55]
	v_fma_f64 v[42:43], v[42:43], v[6:7], -v[8:9]
	scratch_load_b128 v[6:9], off, off offset:944
	s_waitcnt vmcnt(10) lgkmcnt(0)
	v_mul_f64 v[58:59], v[2:3], v[12:13]
	v_mul_f64 v[12:13], v[4:5], v[12:13]
	v_add_f64 v[52:53], v[52:53], 0
	v_add_f64 v[54:55], v[56:57], 0
	s_waitcnt vmcnt(9)
	v_mul_f64 v[56:57], v[180:181], v[16:17]
	v_mul_f64 v[16:17], v[182:183], v[16:17]
	v_fma_f64 v[58:59], v[4:5], v[10:11], v[58:59]
	v_fma_f64 v[60:61], v[2:3], v[10:11], -v[12:13]
	ds_load_b128 v[2:5], v1 offset:1792
	ds_load_b128 v[10:13], v1 offset:1808
	v_add_f64 v[42:43], v[52:53], v[42:43]
	v_add_f64 v[44:45], v[54:55], v[44:45]
	v_fma_f64 v[54:55], v[182:183], v[14:15], v[56:57]
	v_fma_f64 v[14:15], v[180:181], v[14:15], -v[16:17]
	s_waitcnt vmcnt(8) lgkmcnt(1)
	v_mul_f64 v[52:53], v[2:3], v[20:21]
	v_mul_f64 v[20:21], v[4:5], v[20:21]
	v_add_f64 v[16:17], v[42:43], v[60:61]
	v_add_f64 v[42:43], v[44:45], v[58:59]
	s_waitcnt vmcnt(7) lgkmcnt(0)
	v_mul_f64 v[44:45], v[10:11], v[24:25]
	v_mul_f64 v[24:25], v[12:13], v[24:25]
	v_fma_f64 v[52:53], v[4:5], v[18:19], v[52:53]
	v_fma_f64 v[18:19], v[2:3], v[18:19], -v[20:21]
	v_add_f64 v[20:21], v[16:17], v[14:15]
	v_add_f64 v[42:43], v[42:43], v[54:55]
	ds_load_b128 v[2:5], v1 offset:1824
	ds_load_b128 v[14:17], v1 offset:1840
	v_fma_f64 v[12:13], v[12:13], v[22:23], v[44:45]
	v_fma_f64 v[10:11], v[10:11], v[22:23], -v[24:25]
	s_waitcnt vmcnt(6) lgkmcnt(1)
	v_mul_f64 v[54:55], v[2:3], v[28:29]
	v_mul_f64 v[28:29], v[4:5], v[28:29]
	s_waitcnt vmcnt(5) lgkmcnt(0)
	v_mul_f64 v[22:23], v[14:15], v[32:33]
	v_mul_f64 v[24:25], v[16:17], v[32:33]
	v_add_f64 v[18:19], v[20:21], v[18:19]
	v_add_f64 v[20:21], v[42:43], v[52:53]
	v_fma_f64 v[32:33], v[4:5], v[26:27], v[54:55]
	v_fma_f64 v[26:27], v[2:3], v[26:27], -v[28:29]
	v_fma_f64 v[16:17], v[16:17], v[30:31], v[22:23]
	v_fma_f64 v[14:15], v[14:15], v[30:31], -v[24:25]
	v_add_f64 v[18:19], v[18:19], v[10:11]
	v_add_f64 v[20:21], v[20:21], v[12:13]
	ds_load_b128 v[2:5], v1 offset:1856
	ds_load_b128 v[10:13], v1 offset:1872
	s_waitcnt vmcnt(4) lgkmcnt(1)
	v_mul_f64 v[28:29], v[2:3], v[36:37]
	v_mul_f64 v[36:37], v[4:5], v[36:37]
	s_waitcnt vmcnt(2) lgkmcnt(0)
	v_mul_f64 v[22:23], v[10:11], v[178:179]
	v_mul_f64 v[24:25], v[12:13], v[178:179]
	v_add_f64 v[18:19], v[18:19], v[26:27]
	v_add_f64 v[20:21], v[20:21], v[32:33]
	v_fma_f64 v[26:27], v[4:5], v[34:35], v[28:29]
	v_fma_f64 v[28:29], v[2:3], v[34:35], -v[36:37]
	v_fma_f64 v[12:13], v[12:13], v[176:177], v[22:23]
	v_fma_f64 v[10:11], v[10:11], v[176:177], -v[24:25]
	v_add_f64 v[18:19], v[18:19], v[14:15]
	v_add_f64 v[20:21], v[20:21], v[16:17]
	ds_load_b128 v[2:5], v1 offset:1888
	ds_load_b128 v[14:17], v1 offset:1904
	s_waitcnt vmcnt(1) lgkmcnt(1)
	v_mul_f64 v[30:31], v[2:3], v[40:41]
	v_mul_f64 v[32:33], v[4:5], v[40:41]
	s_waitcnt vmcnt(0) lgkmcnt(0)
	v_mul_f64 v[22:23], v[14:15], v[8:9]
	v_mul_f64 v[8:9], v[16:17], v[8:9]
	v_add_f64 v[18:19], v[18:19], v[28:29]
	v_add_f64 v[20:21], v[20:21], v[26:27]
	v_fma_f64 v[4:5], v[4:5], v[38:39], v[30:31]
	v_fma_f64 v[1:2], v[2:3], v[38:39], -v[32:33]
	v_fma_f64 v[16:17], v[16:17], v[6:7], v[22:23]
	v_fma_f64 v[6:7], v[14:15], v[6:7], -v[8:9]
	v_add_f64 v[10:11], v[18:19], v[10:11]
	v_add_f64 v[12:13], v[20:21], v[12:13]
	s_delay_alu instid0(VALU_DEP_2) | instskip(NEXT) | instid1(VALU_DEP_2)
	v_add_f64 v[1:2], v[10:11], v[1:2]
	v_add_f64 v[3:4], v[12:13], v[4:5]
	s_delay_alu instid0(VALU_DEP_2) | instskip(NEXT) | instid1(VALU_DEP_2)
	;; [unrolled: 3-line block ×3, first 2 shown]
	v_add_f64 v[1:2], v[48:49], -v[1:2]
	v_add_f64 v[3:4], v[50:51], -v[3:4]
	scratch_store_b128 off, v[1:4], off offset:752
	v_cmpx_lt_u32_e32 46, v166
	s_cbranch_execz .LBB123_281
; %bb.280:
	scratch_load_b128 v[1:4], v189, off
	v_mov_b32_e32 v5, 0
	s_delay_alu instid0(VALU_DEP_1)
	v_mov_b32_e32 v6, v5
	v_mov_b32_e32 v7, v5
	;; [unrolled: 1-line block ×3, first 2 shown]
	scratch_store_b128 off, v[5:8], off offset:736
	s_waitcnt vmcnt(0)
	ds_store_b128 v226, v[1:4]
.LBB123_281:
	s_or_b32 exec_lo, exec_lo, s2
	s_waitcnt lgkmcnt(0)
	s_waitcnt_vscnt null, 0x0
	s_barrier
	buffer_gl0_inv
	s_clause 0x7
	scratch_load_b128 v[2:5], off, off offset:752
	scratch_load_b128 v[6:9], off, off offset:768
	scratch_load_b128 v[10:13], off, off offset:784
	scratch_load_b128 v[14:17], off, off offset:800
	scratch_load_b128 v[18:21], off, off offset:816
	scratch_load_b128 v[22:25], off, off offset:832
	scratch_load_b128 v[26:29], off, off offset:848
	scratch_load_b128 v[30:33], off, off offset:864
	v_mov_b32_e32 v1, 0
	s_mov_b32 s2, exec_lo
	ds_load_b128 v[34:37], v1 offset:1712
	s_clause 0x1
	scratch_load_b128 v[38:41], off, off offset:880
	scratch_load_b128 v[42:45], off, off offset:736
	ds_load_b128 v[48:51], v1 offset:1728
	scratch_load_b128 v[176:179], off, off offset:896
	ds_load_b128 v[180:183], v1 offset:1760
	s_waitcnt vmcnt(10) lgkmcnt(2)
	v_mul_f64 v[52:53], v[36:37], v[4:5]
	v_mul_f64 v[4:5], v[34:35], v[4:5]
	s_delay_alu instid0(VALU_DEP_2) | instskip(NEXT) | instid1(VALU_DEP_2)
	v_fma_f64 v[52:53], v[34:35], v[2:3], -v[52:53]
	v_fma_f64 v[56:57], v[36:37], v[2:3], v[4:5]
	ds_load_b128 v[2:5], v1 offset:1744
	s_waitcnt vmcnt(9) lgkmcnt(2)
	v_mul_f64 v[54:55], v[48:49], v[8:9]
	v_mul_f64 v[8:9], v[50:51], v[8:9]
	scratch_load_b128 v[34:37], off, off offset:912
	s_waitcnt vmcnt(9) lgkmcnt(0)
	v_mul_f64 v[58:59], v[2:3], v[12:13]
	v_mul_f64 v[12:13], v[4:5], v[12:13]
	v_add_f64 v[52:53], v[52:53], 0
	v_fma_f64 v[50:51], v[50:51], v[6:7], v[54:55]
	v_fma_f64 v[48:49], v[48:49], v[6:7], -v[8:9]
	v_add_f64 v[54:55], v[56:57], 0
	scratch_load_b128 v[6:9], off, off offset:928
	v_fma_f64 v[58:59], v[4:5], v[10:11], v[58:59]
	v_fma_f64 v[60:61], v[2:3], v[10:11], -v[12:13]
	scratch_load_b128 v[10:13], off, off offset:944
	ds_load_b128 v[2:5], v1 offset:1776
	s_waitcnt vmcnt(10)
	v_mul_f64 v[56:57], v[180:181], v[16:17]
	v_mul_f64 v[16:17], v[182:183], v[16:17]
	v_add_f64 v[52:53], v[52:53], v[48:49]
	v_add_f64 v[54:55], v[54:55], v[50:51]
	ds_load_b128 v[48:51], v1 offset:1792
	s_waitcnt vmcnt(9) lgkmcnt(1)
	v_mul_f64 v[62:63], v[2:3], v[20:21]
	v_mul_f64 v[20:21], v[4:5], v[20:21]
	v_fma_f64 v[56:57], v[182:183], v[14:15], v[56:57]
	v_fma_f64 v[14:15], v[180:181], v[14:15], -v[16:17]
	v_add_f64 v[16:17], v[52:53], v[60:61]
	v_add_f64 v[52:53], v[54:55], v[58:59]
	s_waitcnt vmcnt(8) lgkmcnt(0)
	v_mul_f64 v[54:55], v[48:49], v[24:25]
	v_mul_f64 v[24:25], v[50:51], v[24:25]
	v_fma_f64 v[58:59], v[4:5], v[18:19], v[62:63]
	v_fma_f64 v[18:19], v[2:3], v[18:19], -v[20:21]
	v_add_f64 v[20:21], v[16:17], v[14:15]
	v_add_f64 v[52:53], v[52:53], v[56:57]
	ds_load_b128 v[2:5], v1 offset:1808
	ds_load_b128 v[14:17], v1 offset:1824
	v_fma_f64 v[50:51], v[50:51], v[22:23], v[54:55]
	v_fma_f64 v[22:23], v[48:49], v[22:23], -v[24:25]
	s_waitcnt vmcnt(7) lgkmcnt(1)
	v_mul_f64 v[56:57], v[2:3], v[28:29]
	v_mul_f64 v[28:29], v[4:5], v[28:29]
	s_waitcnt vmcnt(6) lgkmcnt(0)
	v_mul_f64 v[24:25], v[14:15], v[32:33]
	v_mul_f64 v[32:33], v[16:17], v[32:33]
	v_add_f64 v[18:19], v[20:21], v[18:19]
	v_add_f64 v[20:21], v[52:53], v[58:59]
	v_fma_f64 v[48:49], v[4:5], v[26:27], v[56:57]
	v_fma_f64 v[26:27], v[2:3], v[26:27], -v[28:29]
	v_fma_f64 v[16:17], v[16:17], v[30:31], v[24:25]
	v_fma_f64 v[14:15], v[14:15], v[30:31], -v[32:33]
	v_add_f64 v[22:23], v[18:19], v[22:23]
	v_add_f64 v[28:29], v[20:21], v[50:51]
	ds_load_b128 v[2:5], v1 offset:1840
	ds_load_b128 v[18:21], v1 offset:1856
	s_waitcnt vmcnt(5) lgkmcnt(1)
	v_mul_f64 v[50:51], v[2:3], v[40:41]
	v_mul_f64 v[40:41], v[4:5], v[40:41]
	v_add_f64 v[22:23], v[22:23], v[26:27]
	v_add_f64 v[24:25], v[28:29], v[48:49]
	s_waitcnt vmcnt(3) lgkmcnt(0)
	v_mul_f64 v[26:27], v[18:19], v[178:179]
	v_mul_f64 v[28:29], v[20:21], v[178:179]
	v_fma_f64 v[30:31], v[4:5], v[38:39], v[50:51]
	v_fma_f64 v[32:33], v[2:3], v[38:39], -v[40:41]
	v_add_f64 v[22:23], v[22:23], v[14:15]
	v_add_f64 v[24:25], v[24:25], v[16:17]
	ds_load_b128 v[2:5], v1 offset:1872
	ds_load_b128 v[14:17], v1 offset:1888
	v_fma_f64 v[20:21], v[20:21], v[176:177], v[26:27]
	v_fma_f64 v[18:19], v[18:19], v[176:177], -v[28:29]
	s_waitcnt vmcnt(2) lgkmcnt(1)
	v_mul_f64 v[38:39], v[2:3], v[36:37]
	v_mul_f64 v[36:37], v[4:5], v[36:37]
	v_add_f64 v[22:23], v[22:23], v[32:33]
	v_add_f64 v[24:25], v[24:25], v[30:31]
	s_waitcnt vmcnt(1) lgkmcnt(0)
	v_mul_f64 v[26:27], v[14:15], v[8:9]
	v_mul_f64 v[8:9], v[16:17], v[8:9]
	v_fma_f64 v[28:29], v[4:5], v[34:35], v[38:39]
	v_fma_f64 v[30:31], v[2:3], v[34:35], -v[36:37]
	ds_load_b128 v[2:5], v1 offset:1904
	v_add_f64 v[18:19], v[22:23], v[18:19]
	v_add_f64 v[20:21], v[24:25], v[20:21]
	s_waitcnt vmcnt(0) lgkmcnt(0)
	v_mul_f64 v[22:23], v[2:3], v[12:13]
	v_mul_f64 v[12:13], v[4:5], v[12:13]
	v_fma_f64 v[16:17], v[16:17], v[6:7], v[26:27]
	v_fma_f64 v[6:7], v[14:15], v[6:7], -v[8:9]
	v_add_f64 v[8:9], v[18:19], v[30:31]
	v_add_f64 v[14:15], v[20:21], v[28:29]
	v_fma_f64 v[4:5], v[4:5], v[10:11], v[22:23]
	v_fma_f64 v[2:3], v[2:3], v[10:11], -v[12:13]
	s_delay_alu instid0(VALU_DEP_4) | instskip(NEXT) | instid1(VALU_DEP_4)
	v_add_f64 v[6:7], v[8:9], v[6:7]
	v_add_f64 v[8:9], v[14:15], v[16:17]
	s_delay_alu instid0(VALU_DEP_2) | instskip(NEXT) | instid1(VALU_DEP_2)
	v_add_f64 v[2:3], v[6:7], v[2:3]
	v_add_f64 v[4:5], v[8:9], v[4:5]
	s_delay_alu instid0(VALU_DEP_2) | instskip(NEXT) | instid1(VALU_DEP_2)
	v_add_f64 v[2:3], v[42:43], -v[2:3]
	v_add_f64 v[4:5], v[44:45], -v[4:5]
	scratch_store_b128 off, v[2:5], off offset:736
	v_cmpx_lt_u32_e32 45, v166
	s_cbranch_execz .LBB123_283
; %bb.282:
	scratch_load_b128 v[5:8], v192, off
	v_mov_b32_e32 v2, v1
	v_mov_b32_e32 v3, v1
	;; [unrolled: 1-line block ×3, first 2 shown]
	scratch_store_b128 off, v[1:4], off offset:720
	s_waitcnt vmcnt(0)
	ds_store_b128 v226, v[5:8]
.LBB123_283:
	s_or_b32 exec_lo, exec_lo, s2
	s_waitcnt lgkmcnt(0)
	s_waitcnt_vscnt null, 0x0
	s_barrier
	buffer_gl0_inv
	s_clause 0x8
	scratch_load_b128 v[2:5], off, off offset:736
	scratch_load_b128 v[6:9], off, off offset:752
	;; [unrolled: 1-line block ×9, first 2 shown]
	ds_load_b128 v[38:41], v1 offset:1696
	ds_load_b128 v[42:45], v1 offset:1712
	s_clause 0x1
	scratch_load_b128 v[48:51], off, off offset:720
	scratch_load_b128 v[176:179], off, off offset:880
	s_mov_b32 s2, exec_lo
	ds_load_b128 v[180:183], v1 offset:1744
	s_waitcnt vmcnt(10) lgkmcnt(2)
	v_mul_f64 v[52:53], v[40:41], v[4:5]
	v_mul_f64 v[4:5], v[38:39], v[4:5]
	s_waitcnt vmcnt(9) lgkmcnt(1)
	v_mul_f64 v[54:55], v[42:43], v[8:9]
	v_mul_f64 v[8:9], v[44:45], v[8:9]
	s_delay_alu instid0(VALU_DEP_4) | instskip(NEXT) | instid1(VALU_DEP_4)
	v_fma_f64 v[52:53], v[38:39], v[2:3], -v[52:53]
	v_fma_f64 v[56:57], v[40:41], v[2:3], v[4:5]
	ds_load_b128 v[2:5], v1 offset:1728
	scratch_load_b128 v[38:41], off, off offset:896
	v_fma_f64 v[44:45], v[44:45], v[6:7], v[54:55]
	v_fma_f64 v[42:43], v[42:43], v[6:7], -v[8:9]
	scratch_load_b128 v[6:9], off, off offset:912
	s_waitcnt vmcnt(10) lgkmcnt(0)
	v_mul_f64 v[58:59], v[2:3], v[12:13]
	v_mul_f64 v[12:13], v[4:5], v[12:13]
	v_add_f64 v[52:53], v[52:53], 0
	v_add_f64 v[54:55], v[56:57], 0
	s_waitcnt vmcnt(9)
	v_mul_f64 v[56:57], v[180:181], v[16:17]
	v_mul_f64 v[16:17], v[182:183], v[16:17]
	v_fma_f64 v[58:59], v[4:5], v[10:11], v[58:59]
	v_fma_f64 v[60:61], v[2:3], v[10:11], -v[12:13]
	ds_load_b128 v[2:5], v1 offset:1760
	scratch_load_b128 v[10:13], off, off offset:928
	v_add_f64 v[52:53], v[52:53], v[42:43]
	v_add_f64 v[54:55], v[54:55], v[44:45]
	ds_load_b128 v[42:45], v1 offset:1776
	v_fma_f64 v[56:57], v[182:183], v[14:15], v[56:57]
	v_fma_f64 v[64:65], v[180:181], v[14:15], -v[16:17]
	scratch_load_b128 v[14:17], off, off offset:944
	s_waitcnt vmcnt(10) lgkmcnt(1)
	v_mul_f64 v[62:63], v[2:3], v[20:21]
	v_mul_f64 v[20:21], v[4:5], v[20:21]
	v_add_f64 v[52:53], v[52:53], v[60:61]
	v_add_f64 v[54:55], v[54:55], v[58:59]
	s_waitcnt vmcnt(9) lgkmcnt(0)
	v_mul_f64 v[58:59], v[42:43], v[24:25]
	v_mul_f64 v[24:25], v[44:45], v[24:25]
	v_fma_f64 v[60:61], v[4:5], v[18:19], v[62:63]
	v_fma_f64 v[62:63], v[2:3], v[18:19], -v[20:21]
	ds_load_b128 v[2:5], v1 offset:1792
	ds_load_b128 v[18:21], v1 offset:1808
	v_add_f64 v[52:53], v[52:53], v[64:65]
	v_add_f64 v[54:55], v[54:55], v[56:57]
	s_waitcnt vmcnt(8) lgkmcnt(1)
	v_mul_f64 v[56:57], v[2:3], v[28:29]
	v_mul_f64 v[28:29], v[4:5], v[28:29]
	v_fma_f64 v[44:45], v[44:45], v[22:23], v[58:59]
	v_fma_f64 v[22:23], v[42:43], v[22:23], -v[24:25]
	v_add_f64 v[24:25], v[52:53], v[62:63]
	v_add_f64 v[42:43], v[54:55], v[60:61]
	s_waitcnt vmcnt(7) lgkmcnt(0)
	v_mul_f64 v[52:53], v[18:19], v[32:33]
	v_mul_f64 v[32:33], v[20:21], v[32:33]
	v_fma_f64 v[54:55], v[4:5], v[26:27], v[56:57]
	v_fma_f64 v[26:27], v[2:3], v[26:27], -v[28:29]
	v_add_f64 v[28:29], v[24:25], v[22:23]
	v_add_f64 v[42:43], v[42:43], v[44:45]
	ds_load_b128 v[2:5], v1 offset:1824
	ds_load_b128 v[22:25], v1 offset:1840
	v_fma_f64 v[20:21], v[20:21], v[30:31], v[52:53]
	v_fma_f64 v[18:19], v[18:19], v[30:31], -v[32:33]
	s_waitcnt vmcnt(6) lgkmcnt(1)
	v_mul_f64 v[44:45], v[2:3], v[36:37]
	v_mul_f64 v[36:37], v[4:5], v[36:37]
	s_waitcnt vmcnt(4) lgkmcnt(0)
	v_mul_f64 v[30:31], v[22:23], v[178:179]
	v_mul_f64 v[32:33], v[24:25], v[178:179]
	v_add_f64 v[26:27], v[28:29], v[26:27]
	v_add_f64 v[28:29], v[42:43], v[54:55]
	v_fma_f64 v[42:43], v[4:5], v[34:35], v[44:45]
	v_fma_f64 v[34:35], v[2:3], v[34:35], -v[36:37]
	v_fma_f64 v[24:25], v[24:25], v[176:177], v[30:31]
	v_fma_f64 v[22:23], v[22:23], v[176:177], -v[32:33]
	v_add_f64 v[26:27], v[26:27], v[18:19]
	v_add_f64 v[28:29], v[28:29], v[20:21]
	ds_load_b128 v[2:5], v1 offset:1856
	ds_load_b128 v[18:21], v1 offset:1872
	s_waitcnt vmcnt(3) lgkmcnt(1)
	v_mul_f64 v[36:37], v[2:3], v[40:41]
	v_mul_f64 v[40:41], v[4:5], v[40:41]
	s_waitcnt vmcnt(2) lgkmcnt(0)
	v_mul_f64 v[30:31], v[18:19], v[8:9]
	v_mul_f64 v[8:9], v[20:21], v[8:9]
	v_add_f64 v[26:27], v[26:27], v[34:35]
	v_add_f64 v[28:29], v[28:29], v[42:43]
	v_fma_f64 v[32:33], v[4:5], v[38:39], v[36:37]
	v_fma_f64 v[34:35], v[2:3], v[38:39], -v[40:41]
	v_fma_f64 v[20:21], v[20:21], v[6:7], v[30:31]
	v_fma_f64 v[6:7], v[18:19], v[6:7], -v[8:9]
	v_add_f64 v[26:27], v[26:27], v[22:23]
	v_add_f64 v[28:29], v[28:29], v[24:25]
	ds_load_b128 v[2:5], v1 offset:1888
	ds_load_b128 v[22:25], v1 offset:1904
	s_waitcnt vmcnt(1) lgkmcnt(1)
	v_mul_f64 v[36:37], v[2:3], v[12:13]
	v_mul_f64 v[12:13], v[4:5], v[12:13]
	v_add_f64 v[8:9], v[26:27], v[34:35]
	v_add_f64 v[18:19], v[28:29], v[32:33]
	s_waitcnt vmcnt(0) lgkmcnt(0)
	v_mul_f64 v[26:27], v[22:23], v[16:17]
	v_mul_f64 v[16:17], v[24:25], v[16:17]
	v_fma_f64 v[4:5], v[4:5], v[10:11], v[36:37]
	v_fma_f64 v[1:2], v[2:3], v[10:11], -v[12:13]
	v_add_f64 v[6:7], v[8:9], v[6:7]
	v_add_f64 v[8:9], v[18:19], v[20:21]
	v_fma_f64 v[10:11], v[24:25], v[14:15], v[26:27]
	v_fma_f64 v[12:13], v[22:23], v[14:15], -v[16:17]
	s_delay_alu instid0(VALU_DEP_4) | instskip(NEXT) | instid1(VALU_DEP_4)
	v_add_f64 v[1:2], v[6:7], v[1:2]
	v_add_f64 v[3:4], v[8:9], v[4:5]
	s_delay_alu instid0(VALU_DEP_2) | instskip(NEXT) | instid1(VALU_DEP_2)
	v_add_f64 v[1:2], v[1:2], v[12:13]
	v_add_f64 v[3:4], v[3:4], v[10:11]
	s_delay_alu instid0(VALU_DEP_2) | instskip(NEXT) | instid1(VALU_DEP_2)
	v_add_f64 v[1:2], v[48:49], -v[1:2]
	v_add_f64 v[3:4], v[50:51], -v[3:4]
	scratch_store_b128 off, v[1:4], off offset:720
	v_cmpx_lt_u32_e32 44, v166
	s_cbranch_execz .LBB123_285
; %bb.284:
	scratch_load_b128 v[1:4], v193, off
	v_mov_b32_e32 v5, 0
	s_delay_alu instid0(VALU_DEP_1)
	v_mov_b32_e32 v6, v5
	v_mov_b32_e32 v7, v5
	;; [unrolled: 1-line block ×3, first 2 shown]
	scratch_store_b128 off, v[5:8], off offset:704
	s_waitcnt vmcnt(0)
	ds_store_b128 v226, v[1:4]
.LBB123_285:
	s_or_b32 exec_lo, exec_lo, s2
	s_waitcnt lgkmcnt(0)
	s_waitcnt_vscnt null, 0x0
	s_barrier
	buffer_gl0_inv
	s_clause 0x7
	scratch_load_b128 v[2:5], off, off offset:720
	scratch_load_b128 v[6:9], off, off offset:736
	;; [unrolled: 1-line block ×8, first 2 shown]
	v_mov_b32_e32 v1, 0
	s_mov_b32 s2, exec_lo
	ds_load_b128 v[34:37], v1 offset:1680
	s_clause 0x1
	scratch_load_b128 v[38:41], off, off offset:848
	scratch_load_b128 v[42:45], off, off offset:704
	ds_load_b128 v[48:51], v1 offset:1696
	scratch_load_b128 v[176:179], off, off offset:864
	ds_load_b128 v[180:183], v1 offset:1728
	s_waitcnt vmcnt(10) lgkmcnt(2)
	v_mul_f64 v[52:53], v[36:37], v[4:5]
	v_mul_f64 v[4:5], v[34:35], v[4:5]
	s_delay_alu instid0(VALU_DEP_2) | instskip(NEXT) | instid1(VALU_DEP_2)
	v_fma_f64 v[52:53], v[34:35], v[2:3], -v[52:53]
	v_fma_f64 v[56:57], v[36:37], v[2:3], v[4:5]
	ds_load_b128 v[2:5], v1 offset:1712
	s_waitcnt vmcnt(9) lgkmcnt(2)
	v_mul_f64 v[54:55], v[48:49], v[8:9]
	v_mul_f64 v[8:9], v[50:51], v[8:9]
	scratch_load_b128 v[34:37], off, off offset:880
	s_waitcnt vmcnt(9) lgkmcnt(0)
	v_mul_f64 v[58:59], v[2:3], v[12:13]
	v_mul_f64 v[12:13], v[4:5], v[12:13]
	v_add_f64 v[52:53], v[52:53], 0
	v_fma_f64 v[50:51], v[50:51], v[6:7], v[54:55]
	v_fma_f64 v[48:49], v[48:49], v[6:7], -v[8:9]
	v_add_f64 v[54:55], v[56:57], 0
	scratch_load_b128 v[6:9], off, off offset:896
	v_fma_f64 v[58:59], v[4:5], v[10:11], v[58:59]
	v_fma_f64 v[60:61], v[2:3], v[10:11], -v[12:13]
	scratch_load_b128 v[10:13], off, off offset:912
	ds_load_b128 v[2:5], v1 offset:1744
	s_waitcnt vmcnt(10)
	v_mul_f64 v[56:57], v[180:181], v[16:17]
	v_mul_f64 v[16:17], v[182:183], v[16:17]
	v_add_f64 v[52:53], v[52:53], v[48:49]
	v_add_f64 v[54:55], v[54:55], v[50:51]
	ds_load_b128 v[48:51], v1 offset:1760
	s_waitcnt vmcnt(9) lgkmcnt(1)
	v_mul_f64 v[62:63], v[2:3], v[20:21]
	v_mul_f64 v[20:21], v[4:5], v[20:21]
	v_fma_f64 v[56:57], v[182:183], v[14:15], v[56:57]
	v_fma_f64 v[64:65], v[180:181], v[14:15], -v[16:17]
	scratch_load_b128 v[14:17], off, off offset:928
	ds_load_b128 v[180:183], v1 offset:1792
	v_add_f64 v[52:53], v[52:53], v[60:61]
	v_add_f64 v[54:55], v[54:55], v[58:59]
	v_fma_f64 v[60:61], v[4:5], v[18:19], v[62:63]
	v_fma_f64 v[62:63], v[2:3], v[18:19], -v[20:21]
	scratch_load_b128 v[18:21], off, off offset:944
	ds_load_b128 v[2:5], v1 offset:1776
	s_waitcnt vmcnt(10) lgkmcnt(2)
	v_mul_f64 v[58:59], v[48:49], v[24:25]
	v_mul_f64 v[24:25], v[50:51], v[24:25]
	v_add_f64 v[52:53], v[52:53], v[64:65]
	v_add_f64 v[54:55], v[54:55], v[56:57]
	s_waitcnt vmcnt(9) lgkmcnt(0)
	v_mul_f64 v[56:57], v[2:3], v[28:29]
	v_mul_f64 v[28:29], v[4:5], v[28:29]
	v_fma_f64 v[50:51], v[50:51], v[22:23], v[58:59]
	v_fma_f64 v[22:23], v[48:49], v[22:23], -v[24:25]
	v_add_f64 v[24:25], v[52:53], v[62:63]
	v_add_f64 v[48:49], v[54:55], v[60:61]
	s_waitcnt vmcnt(8)
	v_mul_f64 v[52:53], v[180:181], v[32:33]
	v_mul_f64 v[32:33], v[182:183], v[32:33]
	v_fma_f64 v[54:55], v[4:5], v[26:27], v[56:57]
	v_fma_f64 v[26:27], v[2:3], v[26:27], -v[28:29]
	v_add_f64 v[28:29], v[24:25], v[22:23]
	v_add_f64 v[48:49], v[48:49], v[50:51]
	ds_load_b128 v[2:5], v1 offset:1808
	ds_load_b128 v[22:25], v1 offset:1824
	v_fma_f64 v[52:53], v[182:183], v[30:31], v[52:53]
	v_fma_f64 v[30:31], v[180:181], v[30:31], -v[32:33]
	s_waitcnt vmcnt(7) lgkmcnt(1)
	v_mul_f64 v[50:51], v[2:3], v[40:41]
	v_mul_f64 v[40:41], v[4:5], v[40:41]
	s_waitcnt vmcnt(5) lgkmcnt(0)
	v_mul_f64 v[32:33], v[22:23], v[178:179]
	v_add_f64 v[26:27], v[28:29], v[26:27]
	v_add_f64 v[28:29], v[48:49], v[54:55]
	v_mul_f64 v[48:49], v[24:25], v[178:179]
	v_fma_f64 v[50:51], v[4:5], v[38:39], v[50:51]
	v_fma_f64 v[38:39], v[2:3], v[38:39], -v[40:41]
	v_fma_f64 v[24:25], v[24:25], v[176:177], v[32:33]
	v_add_f64 v[30:31], v[26:27], v[30:31]
	v_add_f64 v[40:41], v[28:29], v[52:53]
	ds_load_b128 v[2:5], v1 offset:1840
	ds_load_b128 v[26:29], v1 offset:1856
	v_fma_f64 v[22:23], v[22:23], v[176:177], -v[48:49]
	s_waitcnt vmcnt(4) lgkmcnt(1)
	v_mul_f64 v[52:53], v[2:3], v[36:37]
	v_mul_f64 v[36:37], v[4:5], v[36:37]
	v_add_f64 v[30:31], v[30:31], v[38:39]
	v_add_f64 v[32:33], v[40:41], v[50:51]
	s_waitcnt vmcnt(3) lgkmcnt(0)
	v_mul_f64 v[38:39], v[26:27], v[8:9]
	v_mul_f64 v[8:9], v[28:29], v[8:9]
	v_fma_f64 v[40:41], v[4:5], v[34:35], v[52:53]
	v_fma_f64 v[34:35], v[2:3], v[34:35], -v[36:37]
	v_add_f64 v[30:31], v[30:31], v[22:23]
	v_add_f64 v[32:33], v[32:33], v[24:25]
	ds_load_b128 v[2:5], v1 offset:1872
	ds_load_b128 v[22:25], v1 offset:1888
	v_fma_f64 v[28:29], v[28:29], v[6:7], v[38:39]
	v_fma_f64 v[6:7], v[26:27], v[6:7], -v[8:9]
	s_waitcnt vmcnt(2) lgkmcnt(1)
	v_mul_f64 v[36:37], v[2:3], v[12:13]
	v_mul_f64 v[12:13], v[4:5], v[12:13]
	v_add_f64 v[8:9], v[30:31], v[34:35]
	v_add_f64 v[26:27], v[32:33], v[40:41]
	s_waitcnt vmcnt(1) lgkmcnt(0)
	v_mul_f64 v[30:31], v[22:23], v[16:17]
	v_mul_f64 v[16:17], v[24:25], v[16:17]
	v_fma_f64 v[32:33], v[4:5], v[10:11], v[36:37]
	v_fma_f64 v[10:11], v[2:3], v[10:11], -v[12:13]
	ds_load_b128 v[2:5], v1 offset:1904
	v_add_f64 v[6:7], v[8:9], v[6:7]
	v_add_f64 v[8:9], v[26:27], v[28:29]
	v_fma_f64 v[24:25], v[24:25], v[14:15], v[30:31]
	v_fma_f64 v[14:15], v[22:23], v[14:15], -v[16:17]
	s_waitcnt vmcnt(0) lgkmcnt(0)
	v_mul_f64 v[12:13], v[2:3], v[20:21]
	v_mul_f64 v[20:21], v[4:5], v[20:21]
	v_add_f64 v[6:7], v[6:7], v[10:11]
	v_add_f64 v[8:9], v[8:9], v[32:33]
	s_delay_alu instid0(VALU_DEP_4) | instskip(NEXT) | instid1(VALU_DEP_4)
	v_fma_f64 v[4:5], v[4:5], v[18:19], v[12:13]
	v_fma_f64 v[2:3], v[2:3], v[18:19], -v[20:21]
	s_delay_alu instid0(VALU_DEP_4) | instskip(NEXT) | instid1(VALU_DEP_4)
	v_add_f64 v[6:7], v[6:7], v[14:15]
	v_add_f64 v[8:9], v[8:9], v[24:25]
	s_delay_alu instid0(VALU_DEP_2) | instskip(NEXT) | instid1(VALU_DEP_2)
	v_add_f64 v[2:3], v[6:7], v[2:3]
	v_add_f64 v[4:5], v[8:9], v[4:5]
	s_delay_alu instid0(VALU_DEP_2) | instskip(NEXT) | instid1(VALU_DEP_2)
	v_add_f64 v[2:3], v[42:43], -v[2:3]
	v_add_f64 v[4:5], v[44:45], -v[4:5]
	scratch_store_b128 off, v[2:5], off offset:704
	v_cmpx_lt_u32_e32 43, v166
	s_cbranch_execz .LBB123_287
; %bb.286:
	scratch_load_b128 v[5:8], v196, off
	v_mov_b32_e32 v2, v1
	v_mov_b32_e32 v3, v1
	v_mov_b32_e32 v4, v1
	scratch_store_b128 off, v[1:4], off offset:688
	s_waitcnt vmcnt(0)
	ds_store_b128 v226, v[5:8]
.LBB123_287:
	s_or_b32 exec_lo, exec_lo, s2
	s_waitcnt lgkmcnt(0)
	s_waitcnt_vscnt null, 0x0
	s_barrier
	buffer_gl0_inv
	s_clause 0x8
	scratch_load_b128 v[2:5], off, off offset:704
	scratch_load_b128 v[6:9], off, off offset:720
	;; [unrolled: 1-line block ×9, first 2 shown]
	ds_load_b128 v[38:41], v1 offset:1664
	ds_load_b128 v[42:45], v1 offset:1680
	s_clause 0x1
	scratch_load_b128 v[48:51], off, off offset:688
	scratch_load_b128 v[176:179], off, off offset:848
	s_mov_b32 s2, exec_lo
	ds_load_b128 v[180:183], v1 offset:1712
	s_waitcnt vmcnt(10) lgkmcnt(2)
	v_mul_f64 v[52:53], v[40:41], v[4:5]
	v_mul_f64 v[4:5], v[38:39], v[4:5]
	s_waitcnt vmcnt(9) lgkmcnt(1)
	v_mul_f64 v[54:55], v[42:43], v[8:9]
	v_mul_f64 v[8:9], v[44:45], v[8:9]
	s_delay_alu instid0(VALU_DEP_4) | instskip(NEXT) | instid1(VALU_DEP_4)
	v_fma_f64 v[52:53], v[38:39], v[2:3], -v[52:53]
	v_fma_f64 v[56:57], v[40:41], v[2:3], v[4:5]
	ds_load_b128 v[2:5], v1 offset:1696
	scratch_load_b128 v[38:41], off, off offset:864
	v_fma_f64 v[44:45], v[44:45], v[6:7], v[54:55]
	v_fma_f64 v[42:43], v[42:43], v[6:7], -v[8:9]
	scratch_load_b128 v[6:9], off, off offset:880
	s_waitcnt vmcnt(10) lgkmcnt(0)
	v_mul_f64 v[58:59], v[2:3], v[12:13]
	v_mul_f64 v[12:13], v[4:5], v[12:13]
	v_add_f64 v[52:53], v[52:53], 0
	v_add_f64 v[54:55], v[56:57], 0
	s_waitcnt vmcnt(9)
	v_mul_f64 v[56:57], v[180:181], v[16:17]
	v_mul_f64 v[16:17], v[182:183], v[16:17]
	v_fma_f64 v[58:59], v[4:5], v[10:11], v[58:59]
	v_fma_f64 v[60:61], v[2:3], v[10:11], -v[12:13]
	ds_load_b128 v[2:5], v1 offset:1728
	scratch_load_b128 v[10:13], off, off offset:896
	v_add_f64 v[52:53], v[52:53], v[42:43]
	v_add_f64 v[54:55], v[54:55], v[44:45]
	ds_load_b128 v[42:45], v1 offset:1744
	v_fma_f64 v[56:57], v[182:183], v[14:15], v[56:57]
	v_fma_f64 v[64:65], v[180:181], v[14:15], -v[16:17]
	scratch_load_b128 v[14:17], off, off offset:912
	s_waitcnt vmcnt(10) lgkmcnt(1)
	v_mul_f64 v[62:63], v[2:3], v[20:21]
	v_mul_f64 v[20:21], v[4:5], v[20:21]
	ds_load_b128 v[180:183], v1 offset:1776
	v_add_f64 v[52:53], v[52:53], v[60:61]
	v_add_f64 v[54:55], v[54:55], v[58:59]
	s_waitcnt vmcnt(9) lgkmcnt(1)
	v_mul_f64 v[58:59], v[42:43], v[24:25]
	v_mul_f64 v[24:25], v[44:45], v[24:25]
	v_fma_f64 v[60:61], v[4:5], v[18:19], v[62:63]
	v_fma_f64 v[62:63], v[2:3], v[18:19], -v[20:21]
	ds_load_b128 v[2:5], v1 offset:1760
	scratch_load_b128 v[18:21], off, off offset:928
	v_add_f64 v[52:53], v[52:53], v[64:65]
	v_add_f64 v[54:55], v[54:55], v[56:57]
	s_waitcnt vmcnt(9) lgkmcnt(0)
	v_mul_f64 v[56:57], v[2:3], v[28:29]
	v_mul_f64 v[28:29], v[4:5], v[28:29]
	v_fma_f64 v[44:45], v[44:45], v[22:23], v[58:59]
	v_fma_f64 v[42:43], v[42:43], v[22:23], -v[24:25]
	scratch_load_b128 v[22:25], off, off offset:944
	s_waitcnt vmcnt(9)
	v_mul_f64 v[58:59], v[180:181], v[32:33]
	v_mul_f64 v[32:33], v[182:183], v[32:33]
	v_add_f64 v[52:53], v[52:53], v[62:63]
	v_add_f64 v[54:55], v[54:55], v[60:61]
	v_fma_f64 v[56:57], v[4:5], v[26:27], v[56:57]
	v_fma_f64 v[60:61], v[2:3], v[26:27], -v[28:29]
	ds_load_b128 v[2:5], v1 offset:1792
	ds_load_b128 v[26:29], v1 offset:1808
	v_add_f64 v[42:43], v[52:53], v[42:43]
	v_add_f64 v[44:45], v[54:55], v[44:45]
	s_waitcnt vmcnt(8) lgkmcnt(1)
	v_mul_f64 v[52:53], v[2:3], v[36:37]
	v_mul_f64 v[36:37], v[4:5], v[36:37]
	v_fma_f64 v[54:55], v[182:183], v[30:31], v[58:59]
	v_fma_f64 v[30:31], v[180:181], v[30:31], -v[32:33]
	v_add_f64 v[32:33], v[42:43], v[60:61]
	v_add_f64 v[42:43], v[44:45], v[56:57]
	s_waitcnt vmcnt(6) lgkmcnt(0)
	v_mul_f64 v[44:45], v[26:27], v[178:179]
	v_mul_f64 v[56:57], v[28:29], v[178:179]
	v_fma_f64 v[52:53], v[4:5], v[34:35], v[52:53]
	v_fma_f64 v[34:35], v[2:3], v[34:35], -v[36:37]
	v_add_f64 v[36:37], v[32:33], v[30:31]
	v_add_f64 v[42:43], v[42:43], v[54:55]
	ds_load_b128 v[2:5], v1 offset:1824
	ds_load_b128 v[30:33], v1 offset:1840
	v_fma_f64 v[28:29], v[28:29], v[176:177], v[44:45]
	v_fma_f64 v[26:27], v[26:27], v[176:177], -v[56:57]
	s_waitcnt vmcnt(5) lgkmcnt(1)
	v_mul_f64 v[54:55], v[2:3], v[40:41]
	v_mul_f64 v[40:41], v[4:5], v[40:41]
	v_add_f64 v[34:35], v[36:37], v[34:35]
	v_add_f64 v[36:37], v[42:43], v[52:53]
	s_waitcnt vmcnt(4) lgkmcnt(0)
	v_mul_f64 v[42:43], v[30:31], v[8:9]
	v_mul_f64 v[8:9], v[32:33], v[8:9]
	v_fma_f64 v[44:45], v[4:5], v[38:39], v[54:55]
	v_fma_f64 v[38:39], v[2:3], v[38:39], -v[40:41]
	v_add_f64 v[34:35], v[34:35], v[26:27]
	v_add_f64 v[36:37], v[36:37], v[28:29]
	ds_load_b128 v[2:5], v1 offset:1856
	ds_load_b128 v[26:29], v1 offset:1872
	v_fma_f64 v[32:33], v[32:33], v[6:7], v[42:43]
	v_fma_f64 v[6:7], v[30:31], v[6:7], -v[8:9]
	s_waitcnt vmcnt(3) lgkmcnt(1)
	v_mul_f64 v[40:41], v[2:3], v[12:13]
	v_mul_f64 v[12:13], v[4:5], v[12:13]
	;; [unrolled: 16-line block ×3, first 2 shown]
	s_waitcnt vmcnt(0) lgkmcnt(0)
	v_mul_f64 v[16:17], v[6:7], v[24:25]
	v_mul_f64 v[24:25], v[8:9], v[24:25]
	v_add_f64 v[10:11], v[12:13], v[10:11]
	v_add_f64 v[12:13], v[30:31], v[36:37]
	v_fma_f64 v[4:5], v[4:5], v[18:19], v[32:33]
	v_fma_f64 v[1:2], v[2:3], v[18:19], -v[20:21]
	v_fma_f64 v[8:9], v[8:9], v[22:23], v[16:17]
	v_fma_f64 v[6:7], v[6:7], v[22:23], -v[24:25]
	v_add_f64 v[10:11], v[10:11], v[14:15]
	v_add_f64 v[12:13], v[12:13], v[28:29]
	s_delay_alu instid0(VALU_DEP_2) | instskip(NEXT) | instid1(VALU_DEP_2)
	v_add_f64 v[1:2], v[10:11], v[1:2]
	v_add_f64 v[3:4], v[12:13], v[4:5]
	s_delay_alu instid0(VALU_DEP_2) | instskip(NEXT) | instid1(VALU_DEP_2)
	;; [unrolled: 3-line block ×3, first 2 shown]
	v_add_f64 v[1:2], v[48:49], -v[1:2]
	v_add_f64 v[3:4], v[50:51], -v[3:4]
	scratch_store_b128 off, v[1:4], off offset:688
	v_cmpx_lt_u32_e32 42, v166
	s_cbranch_execz .LBB123_289
; %bb.288:
	scratch_load_b128 v[1:4], v197, off
	v_mov_b32_e32 v5, 0
	s_delay_alu instid0(VALU_DEP_1)
	v_mov_b32_e32 v6, v5
	v_mov_b32_e32 v7, v5
	;; [unrolled: 1-line block ×3, first 2 shown]
	scratch_store_b128 off, v[5:8], off offset:672
	s_waitcnt vmcnt(0)
	ds_store_b128 v226, v[1:4]
.LBB123_289:
	s_or_b32 exec_lo, exec_lo, s2
	s_waitcnt lgkmcnt(0)
	s_waitcnt_vscnt null, 0x0
	s_barrier
	buffer_gl0_inv
	s_clause 0x7
	scratch_load_b128 v[2:5], off, off offset:688
	scratch_load_b128 v[6:9], off, off offset:704
	;; [unrolled: 1-line block ×8, first 2 shown]
	v_mov_b32_e32 v1, 0
	s_mov_b32 s2, exec_lo
	ds_load_b128 v[34:37], v1 offset:1648
	s_clause 0x1
	scratch_load_b128 v[38:41], off, off offset:816
	scratch_load_b128 v[42:45], off, off offset:672
	ds_load_b128 v[48:51], v1 offset:1664
	scratch_load_b128 v[176:179], off, off offset:832
	ds_load_b128 v[180:183], v1 offset:1696
	s_waitcnt vmcnt(10) lgkmcnt(2)
	v_mul_f64 v[52:53], v[36:37], v[4:5]
	v_mul_f64 v[4:5], v[34:35], v[4:5]
	s_delay_alu instid0(VALU_DEP_2) | instskip(NEXT) | instid1(VALU_DEP_2)
	v_fma_f64 v[52:53], v[34:35], v[2:3], -v[52:53]
	v_fma_f64 v[56:57], v[36:37], v[2:3], v[4:5]
	ds_load_b128 v[2:5], v1 offset:1680
	s_waitcnt vmcnt(9) lgkmcnt(2)
	v_mul_f64 v[54:55], v[48:49], v[8:9]
	v_mul_f64 v[8:9], v[50:51], v[8:9]
	scratch_load_b128 v[34:37], off, off offset:848
	s_waitcnt vmcnt(9) lgkmcnt(0)
	v_mul_f64 v[58:59], v[2:3], v[12:13]
	v_mul_f64 v[12:13], v[4:5], v[12:13]
	v_add_f64 v[52:53], v[52:53], 0
	v_fma_f64 v[50:51], v[50:51], v[6:7], v[54:55]
	v_fma_f64 v[48:49], v[48:49], v[6:7], -v[8:9]
	v_add_f64 v[54:55], v[56:57], 0
	scratch_load_b128 v[6:9], off, off offset:864
	v_fma_f64 v[58:59], v[4:5], v[10:11], v[58:59]
	v_fma_f64 v[60:61], v[2:3], v[10:11], -v[12:13]
	scratch_load_b128 v[10:13], off, off offset:880
	ds_load_b128 v[2:5], v1 offset:1712
	s_waitcnt vmcnt(10)
	v_mul_f64 v[56:57], v[180:181], v[16:17]
	v_mul_f64 v[16:17], v[182:183], v[16:17]
	v_add_f64 v[52:53], v[52:53], v[48:49]
	v_add_f64 v[54:55], v[54:55], v[50:51]
	ds_load_b128 v[48:51], v1 offset:1728
	s_waitcnt vmcnt(9) lgkmcnt(1)
	v_mul_f64 v[62:63], v[2:3], v[20:21]
	v_mul_f64 v[20:21], v[4:5], v[20:21]
	v_fma_f64 v[56:57], v[182:183], v[14:15], v[56:57]
	v_fma_f64 v[64:65], v[180:181], v[14:15], -v[16:17]
	scratch_load_b128 v[14:17], off, off offset:896
	ds_load_b128 v[180:183], v1 offset:1760
	v_add_f64 v[52:53], v[52:53], v[60:61]
	v_add_f64 v[54:55], v[54:55], v[58:59]
	v_fma_f64 v[60:61], v[4:5], v[18:19], v[62:63]
	v_fma_f64 v[62:63], v[2:3], v[18:19], -v[20:21]
	ds_load_b128 v[2:5], v1 offset:1744
	s_waitcnt vmcnt(9) lgkmcnt(2)
	v_mul_f64 v[58:59], v[48:49], v[24:25]
	v_mul_f64 v[24:25], v[50:51], v[24:25]
	scratch_load_b128 v[18:21], off, off offset:912
	v_add_f64 v[52:53], v[52:53], v[64:65]
	v_add_f64 v[54:55], v[54:55], v[56:57]
	s_waitcnt vmcnt(9) lgkmcnt(0)
	v_mul_f64 v[56:57], v[2:3], v[28:29]
	v_mul_f64 v[28:29], v[4:5], v[28:29]
	v_fma_f64 v[50:51], v[50:51], v[22:23], v[58:59]
	v_fma_f64 v[48:49], v[48:49], v[22:23], -v[24:25]
	scratch_load_b128 v[22:25], off, off offset:928
	v_add_f64 v[52:53], v[52:53], v[62:63]
	v_add_f64 v[54:55], v[54:55], v[60:61]
	v_fma_f64 v[56:57], v[4:5], v[26:27], v[56:57]
	v_fma_f64 v[60:61], v[2:3], v[26:27], -v[28:29]
	scratch_load_b128 v[26:29], off, off offset:944
	ds_load_b128 v[2:5], v1 offset:1776
	s_waitcnt vmcnt(10)
	v_mul_f64 v[58:59], v[180:181], v[32:33]
	v_mul_f64 v[32:33], v[182:183], v[32:33]
	s_waitcnt vmcnt(9) lgkmcnt(0)
	v_mul_f64 v[62:63], v[2:3], v[40:41]
	v_mul_f64 v[40:41], v[4:5], v[40:41]
	v_add_f64 v[52:53], v[52:53], v[48:49]
	v_add_f64 v[54:55], v[54:55], v[50:51]
	ds_load_b128 v[48:51], v1 offset:1792
	v_fma_f64 v[58:59], v[182:183], v[30:31], v[58:59]
	v_fma_f64 v[30:31], v[180:181], v[30:31], -v[32:33]
	v_add_f64 v[32:33], v[52:53], v[60:61]
	v_add_f64 v[52:53], v[54:55], v[56:57]
	s_waitcnt vmcnt(7) lgkmcnt(0)
	v_mul_f64 v[54:55], v[48:49], v[178:179]
	v_mul_f64 v[56:57], v[50:51], v[178:179]
	v_fma_f64 v[60:61], v[4:5], v[38:39], v[62:63]
	v_fma_f64 v[38:39], v[2:3], v[38:39], -v[40:41]
	v_add_f64 v[40:41], v[32:33], v[30:31]
	v_add_f64 v[52:53], v[52:53], v[58:59]
	ds_load_b128 v[2:5], v1 offset:1808
	ds_load_b128 v[30:33], v1 offset:1824
	v_fma_f64 v[50:51], v[50:51], v[176:177], v[54:55]
	v_fma_f64 v[48:49], v[48:49], v[176:177], -v[56:57]
	s_waitcnt vmcnt(6) lgkmcnt(1)
	v_mul_f64 v[58:59], v[2:3], v[36:37]
	v_mul_f64 v[36:37], v[4:5], v[36:37]
	v_add_f64 v[38:39], v[40:41], v[38:39]
	v_add_f64 v[40:41], v[52:53], v[60:61]
	s_waitcnt vmcnt(5) lgkmcnt(0)
	v_mul_f64 v[52:53], v[30:31], v[8:9]
	v_mul_f64 v[8:9], v[32:33], v[8:9]
	v_fma_f64 v[54:55], v[4:5], v[34:35], v[58:59]
	v_fma_f64 v[56:57], v[2:3], v[34:35], -v[36:37]
	ds_load_b128 v[2:5], v1 offset:1840
	ds_load_b128 v[34:37], v1 offset:1856
	v_add_f64 v[38:39], v[38:39], v[48:49]
	v_add_f64 v[40:41], v[40:41], v[50:51]
	s_waitcnt vmcnt(4) lgkmcnt(1)
	v_mul_f64 v[48:49], v[2:3], v[12:13]
	v_mul_f64 v[12:13], v[4:5], v[12:13]
	v_fma_f64 v[32:33], v[32:33], v[6:7], v[52:53]
	v_fma_f64 v[6:7], v[30:31], v[6:7], -v[8:9]
	v_add_f64 v[8:9], v[38:39], v[56:57]
	v_add_f64 v[30:31], v[40:41], v[54:55]
	s_waitcnt vmcnt(3) lgkmcnt(0)
	v_mul_f64 v[38:39], v[34:35], v[16:17]
	v_mul_f64 v[16:17], v[36:37], v[16:17]
	v_fma_f64 v[40:41], v[4:5], v[10:11], v[48:49]
	v_fma_f64 v[10:11], v[2:3], v[10:11], -v[12:13]
	v_add_f64 v[12:13], v[8:9], v[6:7]
	v_add_f64 v[30:31], v[30:31], v[32:33]
	ds_load_b128 v[2:5], v1 offset:1872
	ds_load_b128 v[6:9], v1 offset:1888
	v_fma_f64 v[36:37], v[36:37], v[14:15], v[38:39]
	v_fma_f64 v[14:15], v[34:35], v[14:15], -v[16:17]
	s_waitcnt vmcnt(2) lgkmcnt(1)
	v_mul_f64 v[32:33], v[2:3], v[20:21]
	v_mul_f64 v[20:21], v[4:5], v[20:21]
	s_waitcnt vmcnt(1) lgkmcnt(0)
	v_mul_f64 v[16:17], v[6:7], v[24:25]
	v_mul_f64 v[24:25], v[8:9], v[24:25]
	v_add_f64 v[10:11], v[12:13], v[10:11]
	v_add_f64 v[12:13], v[30:31], v[40:41]
	v_fma_f64 v[30:31], v[4:5], v[18:19], v[32:33]
	v_fma_f64 v[18:19], v[2:3], v[18:19], -v[20:21]
	ds_load_b128 v[2:5], v1 offset:1904
	v_fma_f64 v[8:9], v[8:9], v[22:23], v[16:17]
	v_fma_f64 v[6:7], v[6:7], v[22:23], -v[24:25]
	v_add_f64 v[10:11], v[10:11], v[14:15]
	v_add_f64 v[12:13], v[12:13], v[36:37]
	s_waitcnt vmcnt(0) lgkmcnt(0)
	v_mul_f64 v[14:15], v[2:3], v[28:29]
	v_mul_f64 v[20:21], v[4:5], v[28:29]
	s_delay_alu instid0(VALU_DEP_4) | instskip(NEXT) | instid1(VALU_DEP_4)
	v_add_f64 v[10:11], v[10:11], v[18:19]
	v_add_f64 v[12:13], v[12:13], v[30:31]
	s_delay_alu instid0(VALU_DEP_4) | instskip(NEXT) | instid1(VALU_DEP_4)
	v_fma_f64 v[4:5], v[4:5], v[26:27], v[14:15]
	v_fma_f64 v[2:3], v[2:3], v[26:27], -v[20:21]
	s_delay_alu instid0(VALU_DEP_4) | instskip(NEXT) | instid1(VALU_DEP_4)
	v_add_f64 v[6:7], v[10:11], v[6:7]
	v_add_f64 v[8:9], v[12:13], v[8:9]
	s_delay_alu instid0(VALU_DEP_2) | instskip(NEXT) | instid1(VALU_DEP_2)
	v_add_f64 v[2:3], v[6:7], v[2:3]
	v_add_f64 v[4:5], v[8:9], v[4:5]
	s_delay_alu instid0(VALU_DEP_2) | instskip(NEXT) | instid1(VALU_DEP_2)
	v_add_f64 v[2:3], v[42:43], -v[2:3]
	v_add_f64 v[4:5], v[44:45], -v[4:5]
	scratch_store_b128 off, v[2:5], off offset:672
	v_cmpx_lt_u32_e32 41, v166
	s_cbranch_execz .LBB123_291
; %bb.290:
	scratch_load_b128 v[5:8], v175, off
	v_mov_b32_e32 v2, v1
	v_mov_b32_e32 v3, v1
	;; [unrolled: 1-line block ×3, first 2 shown]
	scratch_store_b128 off, v[1:4], off offset:656
	s_waitcnt vmcnt(0)
	ds_store_b128 v226, v[5:8]
.LBB123_291:
	s_or_b32 exec_lo, exec_lo, s2
	s_waitcnt lgkmcnt(0)
	s_waitcnt_vscnt null, 0x0
	s_barrier
	buffer_gl0_inv
	s_clause 0x8
	scratch_load_b128 v[2:5], off, off offset:672
	scratch_load_b128 v[6:9], off, off offset:688
	;; [unrolled: 1-line block ×9, first 2 shown]
	ds_load_b128 v[38:41], v1 offset:1632
	ds_load_b128 v[42:45], v1 offset:1648
	s_clause 0x1
	scratch_load_b128 v[48:51], off, off offset:656
	scratch_load_b128 v[176:179], off, off offset:816
	s_mov_b32 s2, exec_lo
	ds_load_b128 v[180:183], v1 offset:1680
	s_waitcnt vmcnt(10) lgkmcnt(2)
	v_mul_f64 v[52:53], v[40:41], v[4:5]
	v_mul_f64 v[4:5], v[38:39], v[4:5]
	s_waitcnt vmcnt(9) lgkmcnt(1)
	v_mul_f64 v[54:55], v[42:43], v[8:9]
	v_mul_f64 v[8:9], v[44:45], v[8:9]
	s_delay_alu instid0(VALU_DEP_4) | instskip(NEXT) | instid1(VALU_DEP_4)
	v_fma_f64 v[52:53], v[38:39], v[2:3], -v[52:53]
	v_fma_f64 v[56:57], v[40:41], v[2:3], v[4:5]
	ds_load_b128 v[2:5], v1 offset:1664
	scratch_load_b128 v[38:41], off, off offset:832
	v_fma_f64 v[44:45], v[44:45], v[6:7], v[54:55]
	v_fma_f64 v[42:43], v[42:43], v[6:7], -v[8:9]
	scratch_load_b128 v[6:9], off, off offset:848
	s_waitcnt vmcnt(10) lgkmcnt(0)
	v_mul_f64 v[58:59], v[2:3], v[12:13]
	v_mul_f64 v[12:13], v[4:5], v[12:13]
	v_add_f64 v[52:53], v[52:53], 0
	v_add_f64 v[54:55], v[56:57], 0
	s_waitcnt vmcnt(9)
	v_mul_f64 v[56:57], v[180:181], v[16:17]
	v_mul_f64 v[16:17], v[182:183], v[16:17]
	v_fma_f64 v[58:59], v[4:5], v[10:11], v[58:59]
	v_fma_f64 v[60:61], v[2:3], v[10:11], -v[12:13]
	ds_load_b128 v[2:5], v1 offset:1696
	scratch_load_b128 v[10:13], off, off offset:864
	v_add_f64 v[52:53], v[52:53], v[42:43]
	v_add_f64 v[54:55], v[54:55], v[44:45]
	ds_load_b128 v[42:45], v1 offset:1712
	v_fma_f64 v[56:57], v[182:183], v[14:15], v[56:57]
	v_fma_f64 v[64:65], v[180:181], v[14:15], -v[16:17]
	scratch_load_b128 v[14:17], off, off offset:880
	s_waitcnt vmcnt(10) lgkmcnt(1)
	v_mul_f64 v[62:63], v[2:3], v[20:21]
	v_mul_f64 v[20:21], v[4:5], v[20:21]
	ds_load_b128 v[180:183], v1 offset:1744
	v_add_f64 v[52:53], v[52:53], v[60:61]
	v_add_f64 v[54:55], v[54:55], v[58:59]
	s_waitcnt vmcnt(9) lgkmcnt(1)
	v_mul_f64 v[58:59], v[42:43], v[24:25]
	v_mul_f64 v[24:25], v[44:45], v[24:25]
	v_fma_f64 v[60:61], v[4:5], v[18:19], v[62:63]
	v_fma_f64 v[62:63], v[2:3], v[18:19], -v[20:21]
	ds_load_b128 v[2:5], v1 offset:1728
	scratch_load_b128 v[18:21], off, off offset:896
	v_add_f64 v[52:53], v[52:53], v[64:65]
	v_add_f64 v[54:55], v[54:55], v[56:57]
	s_waitcnt vmcnt(9) lgkmcnt(0)
	v_mul_f64 v[56:57], v[2:3], v[28:29]
	v_mul_f64 v[28:29], v[4:5], v[28:29]
	v_fma_f64 v[44:45], v[44:45], v[22:23], v[58:59]
	v_fma_f64 v[42:43], v[42:43], v[22:23], -v[24:25]
	scratch_load_b128 v[22:25], off, off offset:912
	s_waitcnt vmcnt(9)
	v_mul_f64 v[58:59], v[180:181], v[32:33]
	v_mul_f64 v[32:33], v[182:183], v[32:33]
	v_add_f64 v[52:53], v[52:53], v[62:63]
	v_add_f64 v[54:55], v[54:55], v[60:61]
	v_fma_f64 v[56:57], v[4:5], v[26:27], v[56:57]
	v_fma_f64 v[60:61], v[2:3], v[26:27], -v[28:29]
	ds_load_b128 v[2:5], v1 offset:1760
	scratch_load_b128 v[26:29], off, off offset:928
	v_fma_f64 v[58:59], v[182:183], v[30:31], v[58:59]
	v_fma_f64 v[64:65], v[180:181], v[30:31], -v[32:33]
	scratch_load_b128 v[30:33], off, off offset:944
	v_add_f64 v[52:53], v[52:53], v[42:43]
	v_add_f64 v[54:55], v[54:55], v[44:45]
	ds_load_b128 v[42:45], v1 offset:1776
	s_waitcnt vmcnt(10) lgkmcnt(1)
	v_mul_f64 v[62:63], v[2:3], v[36:37]
	v_mul_f64 v[36:37], v[4:5], v[36:37]
	v_add_f64 v[52:53], v[52:53], v[60:61]
	v_add_f64 v[54:55], v[54:55], v[56:57]
	s_waitcnt vmcnt(8) lgkmcnt(0)
	v_mul_f64 v[56:57], v[42:43], v[178:179]
	v_mul_f64 v[60:61], v[44:45], v[178:179]
	v_fma_f64 v[62:63], v[4:5], v[34:35], v[62:63]
	v_fma_f64 v[66:67], v[2:3], v[34:35], -v[36:37]
	ds_load_b128 v[2:5], v1 offset:1792
	ds_load_b128 v[34:37], v1 offset:1808
	v_add_f64 v[52:53], v[52:53], v[64:65]
	v_add_f64 v[54:55], v[54:55], v[58:59]
	v_fma_f64 v[44:45], v[44:45], v[176:177], v[56:57]
	v_fma_f64 v[42:43], v[42:43], v[176:177], -v[60:61]
	s_waitcnt vmcnt(7) lgkmcnt(1)
	v_mul_f64 v[58:59], v[2:3], v[40:41]
	v_mul_f64 v[40:41], v[4:5], v[40:41]
	s_waitcnt vmcnt(6) lgkmcnt(0)
	v_mul_f64 v[56:57], v[34:35], v[8:9]
	v_mul_f64 v[8:9], v[36:37], v[8:9]
	v_add_f64 v[52:53], v[52:53], v[66:67]
	v_add_f64 v[54:55], v[54:55], v[62:63]
	v_fma_f64 v[58:59], v[4:5], v[38:39], v[58:59]
	v_fma_f64 v[60:61], v[2:3], v[38:39], -v[40:41]
	ds_load_b128 v[2:5], v1 offset:1824
	ds_load_b128 v[38:41], v1 offset:1840
	v_fma_f64 v[36:37], v[36:37], v[6:7], v[56:57]
	v_fma_f64 v[6:7], v[34:35], v[6:7], -v[8:9]
	v_add_f64 v[42:43], v[52:53], v[42:43]
	v_add_f64 v[44:45], v[54:55], v[44:45]
	s_waitcnt vmcnt(5) lgkmcnt(1)
	v_mul_f64 v[52:53], v[2:3], v[12:13]
	v_mul_f64 v[12:13], v[4:5], v[12:13]
	s_delay_alu instid0(VALU_DEP_4) | instskip(NEXT) | instid1(VALU_DEP_4)
	v_add_f64 v[8:9], v[42:43], v[60:61]
	v_add_f64 v[34:35], v[44:45], v[58:59]
	s_waitcnt vmcnt(4) lgkmcnt(0)
	v_mul_f64 v[42:43], v[38:39], v[16:17]
	v_mul_f64 v[16:17], v[40:41], v[16:17]
	v_fma_f64 v[44:45], v[4:5], v[10:11], v[52:53]
	v_fma_f64 v[10:11], v[2:3], v[10:11], -v[12:13]
	v_add_f64 v[12:13], v[8:9], v[6:7]
	v_add_f64 v[34:35], v[34:35], v[36:37]
	ds_load_b128 v[2:5], v1 offset:1856
	ds_load_b128 v[6:9], v1 offset:1872
	v_fma_f64 v[40:41], v[40:41], v[14:15], v[42:43]
	v_fma_f64 v[14:15], v[38:39], v[14:15], -v[16:17]
	s_waitcnt vmcnt(3) lgkmcnt(1)
	v_mul_f64 v[36:37], v[2:3], v[20:21]
	v_mul_f64 v[20:21], v[4:5], v[20:21]
	s_waitcnt vmcnt(2) lgkmcnt(0)
	v_mul_f64 v[16:17], v[6:7], v[24:25]
	v_mul_f64 v[24:25], v[8:9], v[24:25]
	v_add_f64 v[10:11], v[12:13], v[10:11]
	v_add_f64 v[12:13], v[34:35], v[44:45]
	v_fma_f64 v[34:35], v[4:5], v[18:19], v[36:37]
	v_fma_f64 v[18:19], v[2:3], v[18:19], -v[20:21]
	v_fma_f64 v[8:9], v[8:9], v[22:23], v[16:17]
	v_fma_f64 v[6:7], v[6:7], v[22:23], -v[24:25]
	v_add_f64 v[14:15], v[10:11], v[14:15]
	v_add_f64 v[20:21], v[12:13], v[40:41]
	ds_load_b128 v[2:5], v1 offset:1888
	ds_load_b128 v[10:13], v1 offset:1904
	s_waitcnt vmcnt(1) lgkmcnt(1)
	v_mul_f64 v[36:37], v[2:3], v[28:29]
	v_mul_f64 v[28:29], v[4:5], v[28:29]
	v_add_f64 v[14:15], v[14:15], v[18:19]
	v_add_f64 v[16:17], v[20:21], v[34:35]
	s_waitcnt vmcnt(0) lgkmcnt(0)
	v_mul_f64 v[18:19], v[10:11], v[32:33]
	v_mul_f64 v[20:21], v[12:13], v[32:33]
	v_fma_f64 v[4:5], v[4:5], v[26:27], v[36:37]
	v_fma_f64 v[1:2], v[2:3], v[26:27], -v[28:29]
	v_add_f64 v[6:7], v[14:15], v[6:7]
	v_add_f64 v[8:9], v[16:17], v[8:9]
	v_fma_f64 v[12:13], v[12:13], v[30:31], v[18:19]
	v_fma_f64 v[10:11], v[10:11], v[30:31], -v[20:21]
	s_delay_alu instid0(VALU_DEP_4) | instskip(NEXT) | instid1(VALU_DEP_4)
	v_add_f64 v[1:2], v[6:7], v[1:2]
	v_add_f64 v[3:4], v[8:9], v[4:5]
	s_delay_alu instid0(VALU_DEP_2) | instskip(NEXT) | instid1(VALU_DEP_2)
	v_add_f64 v[1:2], v[1:2], v[10:11]
	v_add_f64 v[3:4], v[3:4], v[12:13]
	s_delay_alu instid0(VALU_DEP_2) | instskip(NEXT) | instid1(VALU_DEP_2)
	v_add_f64 v[1:2], v[48:49], -v[1:2]
	v_add_f64 v[3:4], v[50:51], -v[3:4]
	scratch_store_b128 off, v[1:4], off offset:656
	v_cmpx_lt_u32_e32 40, v166
	s_cbranch_execz .LBB123_293
; %bb.292:
	scratch_load_b128 v[1:4], v79, off
	v_mov_b32_e32 v5, 0
	s_delay_alu instid0(VALU_DEP_1)
	v_mov_b32_e32 v6, v5
	v_mov_b32_e32 v7, v5
	v_mov_b32_e32 v8, v5
	scratch_store_b128 off, v[5:8], off offset:640
	s_waitcnt vmcnt(0)
	ds_store_b128 v226, v[1:4]
.LBB123_293:
	s_or_b32 exec_lo, exec_lo, s2
	s_waitcnt lgkmcnt(0)
	s_waitcnt_vscnt null, 0x0
	s_barrier
	buffer_gl0_inv
	s_clause 0x7
	scratch_load_b128 v[2:5], off, off offset:656
	scratch_load_b128 v[6:9], off, off offset:672
	;; [unrolled: 1-line block ×8, first 2 shown]
	v_mov_b32_e32 v1, 0
	s_mov_b32 s2, exec_lo
	ds_load_b128 v[34:37], v1 offset:1616
	s_clause 0x1
	scratch_load_b128 v[38:41], off, off offset:784
	scratch_load_b128 v[42:45], off, off offset:640
	ds_load_b128 v[48:51], v1 offset:1632
	scratch_load_b128 v[176:179], off, off offset:800
	ds_load_b128 v[180:183], v1 offset:1664
	s_waitcnt vmcnt(10) lgkmcnt(2)
	v_mul_f64 v[52:53], v[36:37], v[4:5]
	v_mul_f64 v[4:5], v[34:35], v[4:5]
	s_delay_alu instid0(VALU_DEP_2) | instskip(NEXT) | instid1(VALU_DEP_2)
	v_fma_f64 v[52:53], v[34:35], v[2:3], -v[52:53]
	v_fma_f64 v[56:57], v[36:37], v[2:3], v[4:5]
	ds_load_b128 v[2:5], v1 offset:1648
	s_waitcnt vmcnt(9) lgkmcnt(2)
	v_mul_f64 v[54:55], v[48:49], v[8:9]
	v_mul_f64 v[8:9], v[50:51], v[8:9]
	scratch_load_b128 v[34:37], off, off offset:816
	s_waitcnt vmcnt(9) lgkmcnt(0)
	v_mul_f64 v[58:59], v[2:3], v[12:13]
	v_mul_f64 v[12:13], v[4:5], v[12:13]
	v_add_f64 v[52:53], v[52:53], 0
	v_fma_f64 v[50:51], v[50:51], v[6:7], v[54:55]
	v_fma_f64 v[48:49], v[48:49], v[6:7], -v[8:9]
	v_add_f64 v[54:55], v[56:57], 0
	scratch_load_b128 v[6:9], off, off offset:832
	v_fma_f64 v[58:59], v[4:5], v[10:11], v[58:59]
	v_fma_f64 v[60:61], v[2:3], v[10:11], -v[12:13]
	scratch_load_b128 v[10:13], off, off offset:848
	ds_load_b128 v[2:5], v1 offset:1680
	s_waitcnt vmcnt(10)
	v_mul_f64 v[56:57], v[180:181], v[16:17]
	v_mul_f64 v[16:17], v[182:183], v[16:17]
	v_add_f64 v[52:53], v[52:53], v[48:49]
	v_add_f64 v[54:55], v[54:55], v[50:51]
	ds_load_b128 v[48:51], v1 offset:1696
	s_waitcnt vmcnt(9) lgkmcnt(1)
	v_mul_f64 v[62:63], v[2:3], v[20:21]
	v_mul_f64 v[20:21], v[4:5], v[20:21]
	v_fma_f64 v[56:57], v[182:183], v[14:15], v[56:57]
	v_fma_f64 v[64:65], v[180:181], v[14:15], -v[16:17]
	scratch_load_b128 v[14:17], off, off offset:864
	ds_load_b128 v[180:183], v1 offset:1728
	v_add_f64 v[52:53], v[52:53], v[60:61]
	v_add_f64 v[54:55], v[54:55], v[58:59]
	v_fma_f64 v[60:61], v[4:5], v[18:19], v[62:63]
	v_fma_f64 v[62:63], v[2:3], v[18:19], -v[20:21]
	ds_load_b128 v[2:5], v1 offset:1712
	s_waitcnt vmcnt(9) lgkmcnt(2)
	v_mul_f64 v[58:59], v[48:49], v[24:25]
	v_mul_f64 v[24:25], v[50:51], v[24:25]
	scratch_load_b128 v[18:21], off, off offset:880
	v_add_f64 v[52:53], v[52:53], v[64:65]
	v_add_f64 v[54:55], v[54:55], v[56:57]
	s_waitcnt vmcnt(9) lgkmcnt(0)
	v_mul_f64 v[56:57], v[2:3], v[28:29]
	v_mul_f64 v[28:29], v[4:5], v[28:29]
	v_fma_f64 v[50:51], v[50:51], v[22:23], v[58:59]
	v_fma_f64 v[48:49], v[48:49], v[22:23], -v[24:25]
	scratch_load_b128 v[22:25], off, off offset:896
	v_add_f64 v[52:53], v[52:53], v[62:63]
	v_add_f64 v[54:55], v[54:55], v[60:61]
	v_fma_f64 v[56:57], v[4:5], v[26:27], v[56:57]
	v_fma_f64 v[60:61], v[2:3], v[26:27], -v[28:29]
	scratch_load_b128 v[26:29], off, off offset:912
	ds_load_b128 v[2:5], v1 offset:1744
	s_waitcnt vmcnt(10)
	v_mul_f64 v[58:59], v[180:181], v[32:33]
	v_mul_f64 v[32:33], v[182:183], v[32:33]
	s_waitcnt vmcnt(9) lgkmcnt(0)
	v_mul_f64 v[62:63], v[2:3], v[40:41]
	v_mul_f64 v[40:41], v[4:5], v[40:41]
	v_add_f64 v[52:53], v[52:53], v[48:49]
	v_add_f64 v[54:55], v[54:55], v[50:51]
	ds_load_b128 v[48:51], v1 offset:1760
	v_fma_f64 v[58:59], v[182:183], v[30:31], v[58:59]
	v_fma_f64 v[64:65], v[180:181], v[30:31], -v[32:33]
	scratch_load_b128 v[30:33], off, off offset:928
	v_fma_f64 v[62:63], v[4:5], v[38:39], v[62:63]
	v_fma_f64 v[66:67], v[2:3], v[38:39], -v[40:41]
	scratch_load_b128 v[38:41], off, off offset:944
	ds_load_b128 v[2:5], v1 offset:1776
	v_add_f64 v[52:53], v[52:53], v[60:61]
	v_add_f64 v[54:55], v[54:55], v[56:57]
	s_waitcnt vmcnt(9) lgkmcnt(1)
	v_mul_f64 v[56:57], v[48:49], v[178:179]
	v_mul_f64 v[60:61], v[50:51], v[178:179]
	ds_load_b128 v[178:181], v1 offset:1792
	v_add_f64 v[52:53], v[52:53], v[64:65]
	v_add_f64 v[54:55], v[54:55], v[58:59]
	v_fma_f64 v[50:51], v[50:51], v[176:177], v[56:57]
	v_fma_f64 v[48:49], v[48:49], v[176:177], -v[60:61]
	s_waitcnt vmcnt(8) lgkmcnt(1)
	v_mul_f64 v[58:59], v[2:3], v[36:37]
	v_mul_f64 v[36:37], v[4:5], v[36:37]
	v_add_f64 v[52:53], v[52:53], v[66:67]
	v_add_f64 v[54:55], v[54:55], v[62:63]
	s_delay_alu instid0(VALU_DEP_4)
	v_fma_f64 v[58:59], v[4:5], v[34:35], v[58:59]
	s_waitcnt vmcnt(7) lgkmcnt(0)
	v_mul_f64 v[56:57], v[178:179], v[8:9]
	v_mul_f64 v[8:9], v[180:181], v[8:9]
	v_fma_f64 v[60:61], v[2:3], v[34:35], -v[36:37]
	ds_load_b128 v[2:5], v1 offset:1808
	ds_load_b128 v[34:37], v1 offset:1824
	v_add_f64 v[48:49], v[52:53], v[48:49]
	v_add_f64 v[50:51], v[54:55], v[50:51]
	s_waitcnt vmcnt(6) lgkmcnt(1)
	v_mul_f64 v[52:53], v[2:3], v[12:13]
	v_mul_f64 v[12:13], v[4:5], v[12:13]
	v_fma_f64 v[54:55], v[180:181], v[6:7], v[56:57]
	v_fma_f64 v[6:7], v[178:179], v[6:7], -v[8:9]
	v_add_f64 v[8:9], v[48:49], v[60:61]
	v_add_f64 v[48:49], v[50:51], v[58:59]
	s_waitcnt vmcnt(5) lgkmcnt(0)
	v_mul_f64 v[50:51], v[34:35], v[16:17]
	v_mul_f64 v[16:17], v[36:37], v[16:17]
	v_fma_f64 v[52:53], v[4:5], v[10:11], v[52:53]
	v_fma_f64 v[10:11], v[2:3], v[10:11], -v[12:13]
	v_add_f64 v[12:13], v[8:9], v[6:7]
	v_add_f64 v[48:49], v[48:49], v[54:55]
	ds_load_b128 v[2:5], v1 offset:1840
	ds_load_b128 v[6:9], v1 offset:1856
	v_fma_f64 v[36:37], v[36:37], v[14:15], v[50:51]
	v_fma_f64 v[14:15], v[34:35], v[14:15], -v[16:17]
	s_waitcnt vmcnt(4) lgkmcnt(1)
	v_mul_f64 v[54:55], v[2:3], v[20:21]
	v_mul_f64 v[20:21], v[4:5], v[20:21]
	s_waitcnt vmcnt(3) lgkmcnt(0)
	v_mul_f64 v[16:17], v[6:7], v[24:25]
	v_mul_f64 v[24:25], v[8:9], v[24:25]
	v_add_f64 v[10:11], v[12:13], v[10:11]
	v_add_f64 v[12:13], v[48:49], v[52:53]
	v_fma_f64 v[34:35], v[4:5], v[18:19], v[54:55]
	v_fma_f64 v[18:19], v[2:3], v[18:19], -v[20:21]
	v_fma_f64 v[8:9], v[8:9], v[22:23], v[16:17]
	v_fma_f64 v[6:7], v[6:7], v[22:23], -v[24:25]
	v_add_f64 v[14:15], v[10:11], v[14:15]
	v_add_f64 v[20:21], v[12:13], v[36:37]
	ds_load_b128 v[2:5], v1 offset:1872
	ds_load_b128 v[10:13], v1 offset:1888
	s_waitcnt vmcnt(2) lgkmcnt(1)
	v_mul_f64 v[36:37], v[2:3], v[28:29]
	v_mul_f64 v[28:29], v[4:5], v[28:29]
	v_add_f64 v[14:15], v[14:15], v[18:19]
	v_add_f64 v[16:17], v[20:21], v[34:35]
	s_waitcnt vmcnt(1) lgkmcnt(0)
	v_mul_f64 v[18:19], v[10:11], v[32:33]
	v_mul_f64 v[20:21], v[12:13], v[32:33]
	v_fma_f64 v[22:23], v[4:5], v[26:27], v[36:37]
	v_fma_f64 v[24:25], v[2:3], v[26:27], -v[28:29]
	ds_load_b128 v[2:5], v1 offset:1904
	v_add_f64 v[6:7], v[14:15], v[6:7]
	v_add_f64 v[8:9], v[16:17], v[8:9]
	v_fma_f64 v[12:13], v[12:13], v[30:31], v[18:19]
	v_fma_f64 v[10:11], v[10:11], v[30:31], -v[20:21]
	s_waitcnt vmcnt(0) lgkmcnt(0)
	v_mul_f64 v[14:15], v[2:3], v[40:41]
	v_mul_f64 v[16:17], v[4:5], v[40:41]
	v_add_f64 v[6:7], v[6:7], v[24:25]
	v_add_f64 v[8:9], v[8:9], v[22:23]
	s_delay_alu instid0(VALU_DEP_4) | instskip(NEXT) | instid1(VALU_DEP_4)
	v_fma_f64 v[4:5], v[4:5], v[38:39], v[14:15]
	v_fma_f64 v[2:3], v[2:3], v[38:39], -v[16:17]
	s_delay_alu instid0(VALU_DEP_4) | instskip(NEXT) | instid1(VALU_DEP_4)
	v_add_f64 v[6:7], v[6:7], v[10:11]
	v_add_f64 v[8:9], v[8:9], v[12:13]
	s_delay_alu instid0(VALU_DEP_2) | instskip(NEXT) | instid1(VALU_DEP_2)
	v_add_f64 v[2:3], v[6:7], v[2:3]
	v_add_f64 v[4:5], v[8:9], v[4:5]
	s_delay_alu instid0(VALU_DEP_2) | instskip(NEXT) | instid1(VALU_DEP_2)
	v_add_f64 v[2:3], v[42:43], -v[2:3]
	v_add_f64 v[4:5], v[44:45], -v[4:5]
	scratch_store_b128 off, v[2:5], off offset:640
	v_cmpx_lt_u32_e32 39, v166
	s_cbranch_execz .LBB123_295
; %bb.294:
	scratch_load_b128 v[5:8], v224, off
	v_mov_b32_e32 v2, v1
	v_mov_b32_e32 v3, v1
	;; [unrolled: 1-line block ×3, first 2 shown]
	scratch_store_b128 off, v[1:4], off offset:624
	s_waitcnt vmcnt(0)
	ds_store_b128 v226, v[5:8]
.LBB123_295:
	s_or_b32 exec_lo, exec_lo, s2
	s_waitcnt lgkmcnt(0)
	s_waitcnt_vscnt null, 0x0
	s_barrier
	buffer_gl0_inv
	s_clause 0x8
	scratch_load_b128 v[2:5], off, off offset:640
	scratch_load_b128 v[6:9], off, off offset:656
	;; [unrolled: 1-line block ×9, first 2 shown]
	ds_load_b128 v[38:41], v1 offset:1600
	ds_load_b128 v[42:45], v1 offset:1616
	s_clause 0x1
	scratch_load_b128 v[48:51], off, off offset:624
	scratch_load_b128 v[176:179], off, off offset:784
	s_mov_b32 s2, exec_lo
	ds_load_b128 v[180:183], v1 offset:1648
	s_waitcnt vmcnt(10) lgkmcnt(2)
	v_mul_f64 v[52:53], v[40:41], v[4:5]
	v_mul_f64 v[4:5], v[38:39], v[4:5]
	s_waitcnt vmcnt(9) lgkmcnt(1)
	v_mul_f64 v[54:55], v[42:43], v[8:9]
	v_mul_f64 v[8:9], v[44:45], v[8:9]
	s_delay_alu instid0(VALU_DEP_4) | instskip(NEXT) | instid1(VALU_DEP_4)
	v_fma_f64 v[52:53], v[38:39], v[2:3], -v[52:53]
	v_fma_f64 v[56:57], v[40:41], v[2:3], v[4:5]
	ds_load_b128 v[2:5], v1 offset:1632
	scratch_load_b128 v[38:41], off, off offset:800
	v_fma_f64 v[44:45], v[44:45], v[6:7], v[54:55]
	v_fma_f64 v[42:43], v[42:43], v[6:7], -v[8:9]
	scratch_load_b128 v[6:9], off, off offset:816
	s_waitcnt vmcnt(10) lgkmcnt(0)
	v_mul_f64 v[58:59], v[2:3], v[12:13]
	v_mul_f64 v[12:13], v[4:5], v[12:13]
	v_add_f64 v[52:53], v[52:53], 0
	v_add_f64 v[54:55], v[56:57], 0
	s_waitcnt vmcnt(9)
	v_mul_f64 v[56:57], v[180:181], v[16:17]
	v_mul_f64 v[16:17], v[182:183], v[16:17]
	v_fma_f64 v[58:59], v[4:5], v[10:11], v[58:59]
	v_fma_f64 v[60:61], v[2:3], v[10:11], -v[12:13]
	ds_load_b128 v[2:5], v1 offset:1664
	scratch_load_b128 v[10:13], off, off offset:832
	v_add_f64 v[52:53], v[52:53], v[42:43]
	v_add_f64 v[54:55], v[54:55], v[44:45]
	ds_load_b128 v[42:45], v1 offset:1680
	v_fma_f64 v[56:57], v[182:183], v[14:15], v[56:57]
	v_fma_f64 v[64:65], v[180:181], v[14:15], -v[16:17]
	scratch_load_b128 v[14:17], off, off offset:848
	s_waitcnt vmcnt(10) lgkmcnt(1)
	v_mul_f64 v[62:63], v[2:3], v[20:21]
	v_mul_f64 v[20:21], v[4:5], v[20:21]
	ds_load_b128 v[180:183], v1 offset:1712
	v_add_f64 v[52:53], v[52:53], v[60:61]
	v_add_f64 v[54:55], v[54:55], v[58:59]
	s_waitcnt vmcnt(9) lgkmcnt(1)
	v_mul_f64 v[58:59], v[42:43], v[24:25]
	v_mul_f64 v[24:25], v[44:45], v[24:25]
	v_fma_f64 v[60:61], v[4:5], v[18:19], v[62:63]
	v_fma_f64 v[62:63], v[2:3], v[18:19], -v[20:21]
	ds_load_b128 v[2:5], v1 offset:1696
	scratch_load_b128 v[18:21], off, off offset:864
	v_add_f64 v[52:53], v[52:53], v[64:65]
	v_add_f64 v[54:55], v[54:55], v[56:57]
	s_waitcnt vmcnt(9) lgkmcnt(0)
	v_mul_f64 v[56:57], v[2:3], v[28:29]
	v_mul_f64 v[28:29], v[4:5], v[28:29]
	v_fma_f64 v[44:45], v[44:45], v[22:23], v[58:59]
	v_fma_f64 v[42:43], v[42:43], v[22:23], -v[24:25]
	scratch_load_b128 v[22:25], off, off offset:880
	s_waitcnt vmcnt(9)
	v_mul_f64 v[58:59], v[180:181], v[32:33]
	v_mul_f64 v[32:33], v[182:183], v[32:33]
	v_add_f64 v[52:53], v[52:53], v[62:63]
	v_add_f64 v[54:55], v[54:55], v[60:61]
	v_fma_f64 v[56:57], v[4:5], v[26:27], v[56:57]
	v_fma_f64 v[60:61], v[2:3], v[26:27], -v[28:29]
	ds_load_b128 v[2:5], v1 offset:1728
	scratch_load_b128 v[26:29], off, off offset:896
	v_fma_f64 v[58:59], v[182:183], v[30:31], v[58:59]
	v_fma_f64 v[64:65], v[180:181], v[30:31], -v[32:33]
	scratch_load_b128 v[30:33], off, off offset:912
	v_add_f64 v[52:53], v[52:53], v[42:43]
	v_add_f64 v[54:55], v[54:55], v[44:45]
	ds_load_b128 v[42:45], v1 offset:1744
	s_waitcnt vmcnt(10) lgkmcnt(1)
	v_mul_f64 v[62:63], v[2:3], v[36:37]
	v_mul_f64 v[36:37], v[4:5], v[36:37]
	v_add_f64 v[52:53], v[52:53], v[60:61]
	v_add_f64 v[54:55], v[54:55], v[56:57]
	s_waitcnt vmcnt(8) lgkmcnt(0)
	v_mul_f64 v[56:57], v[42:43], v[178:179]
	v_mul_f64 v[60:61], v[44:45], v[178:179]
	v_fma_f64 v[62:63], v[4:5], v[34:35], v[62:63]
	v_fma_f64 v[66:67], v[2:3], v[34:35], -v[36:37]
	ds_load_b128 v[2:5], v1 offset:1760
	ds_load_b128 v[178:181], v1 offset:1776
	scratch_load_b128 v[34:37], off, off offset:928
	v_add_f64 v[52:53], v[52:53], v[64:65]
	v_add_f64 v[54:55], v[54:55], v[58:59]
	v_fma_f64 v[44:45], v[44:45], v[176:177], v[56:57]
	v_fma_f64 v[56:57], v[42:43], v[176:177], -v[60:61]
	s_waitcnt vmcnt(8) lgkmcnt(1)
	v_mul_f64 v[58:59], v[2:3], v[40:41]
	v_mul_f64 v[64:65], v[4:5], v[40:41]
	scratch_load_b128 v[40:43], off, off offset:944
	s_waitcnt vmcnt(8) lgkmcnt(0)
	v_mul_f64 v[60:61], v[178:179], v[8:9]
	v_mul_f64 v[8:9], v[180:181], v[8:9]
	v_add_f64 v[52:53], v[52:53], v[66:67]
	v_add_f64 v[54:55], v[54:55], v[62:63]
	v_fma_f64 v[58:59], v[4:5], v[38:39], v[58:59]
	v_fma_f64 v[38:39], v[2:3], v[38:39], -v[64:65]
	ds_load_b128 v[2:5], v1 offset:1792
	ds_load_b128 v[182:185], v1 offset:1808
	v_add_f64 v[52:53], v[52:53], v[56:57]
	v_add_f64 v[44:45], v[54:55], v[44:45]
	v_fma_f64 v[56:57], v[180:181], v[6:7], v[60:61]
	s_waitcnt vmcnt(7) lgkmcnt(1)
	v_mul_f64 v[54:55], v[2:3], v[12:13]
	v_mul_f64 v[12:13], v[4:5], v[12:13]
	v_fma_f64 v[6:7], v[178:179], v[6:7], -v[8:9]
	v_add_f64 v[8:9], v[52:53], v[38:39]
	v_add_f64 v[38:39], v[44:45], v[58:59]
	s_waitcnt vmcnt(6) lgkmcnt(0)
	v_mul_f64 v[44:45], v[182:183], v[16:17]
	v_mul_f64 v[16:17], v[184:185], v[16:17]
	v_fma_f64 v[52:53], v[4:5], v[10:11], v[54:55]
	v_fma_f64 v[10:11], v[2:3], v[10:11], -v[12:13]
	v_add_f64 v[12:13], v[8:9], v[6:7]
	v_add_f64 v[38:39], v[38:39], v[56:57]
	ds_load_b128 v[2:5], v1 offset:1824
	ds_load_b128 v[6:9], v1 offset:1840
	v_fma_f64 v[44:45], v[184:185], v[14:15], v[44:45]
	v_fma_f64 v[14:15], v[182:183], v[14:15], -v[16:17]
	s_waitcnt vmcnt(5) lgkmcnt(1)
	v_mul_f64 v[54:55], v[2:3], v[20:21]
	v_mul_f64 v[20:21], v[4:5], v[20:21]
	s_waitcnt vmcnt(4) lgkmcnt(0)
	v_mul_f64 v[16:17], v[6:7], v[24:25]
	v_mul_f64 v[24:25], v[8:9], v[24:25]
	v_add_f64 v[10:11], v[12:13], v[10:11]
	v_add_f64 v[12:13], v[38:39], v[52:53]
	v_fma_f64 v[38:39], v[4:5], v[18:19], v[54:55]
	v_fma_f64 v[18:19], v[2:3], v[18:19], -v[20:21]
	v_fma_f64 v[8:9], v[8:9], v[22:23], v[16:17]
	v_fma_f64 v[6:7], v[6:7], v[22:23], -v[24:25]
	v_add_f64 v[14:15], v[10:11], v[14:15]
	v_add_f64 v[20:21], v[12:13], v[44:45]
	ds_load_b128 v[2:5], v1 offset:1856
	ds_load_b128 v[10:13], v1 offset:1872
	s_waitcnt vmcnt(3) lgkmcnt(1)
	v_mul_f64 v[44:45], v[2:3], v[28:29]
	v_mul_f64 v[28:29], v[4:5], v[28:29]
	v_add_f64 v[14:15], v[14:15], v[18:19]
	v_add_f64 v[16:17], v[20:21], v[38:39]
	s_waitcnt vmcnt(2) lgkmcnt(0)
	v_mul_f64 v[18:19], v[10:11], v[32:33]
	v_mul_f64 v[20:21], v[12:13], v[32:33]
	v_fma_f64 v[22:23], v[4:5], v[26:27], v[44:45]
	v_fma_f64 v[24:25], v[2:3], v[26:27], -v[28:29]
	v_add_f64 v[14:15], v[14:15], v[6:7]
	v_add_f64 v[16:17], v[16:17], v[8:9]
	ds_load_b128 v[2:5], v1 offset:1888
	ds_load_b128 v[6:9], v1 offset:1904
	v_fma_f64 v[12:13], v[12:13], v[30:31], v[18:19]
	v_fma_f64 v[10:11], v[10:11], v[30:31], -v[20:21]
	s_waitcnt vmcnt(1) lgkmcnt(1)
	v_mul_f64 v[26:27], v[2:3], v[36:37]
	v_mul_f64 v[28:29], v[4:5], v[36:37]
	s_waitcnt vmcnt(0) lgkmcnt(0)
	v_mul_f64 v[18:19], v[6:7], v[42:43]
	v_add_f64 v[14:15], v[14:15], v[24:25]
	v_add_f64 v[16:17], v[16:17], v[22:23]
	v_mul_f64 v[20:21], v[8:9], v[42:43]
	v_fma_f64 v[4:5], v[4:5], v[34:35], v[26:27]
	v_fma_f64 v[1:2], v[2:3], v[34:35], -v[28:29]
	v_fma_f64 v[8:9], v[8:9], v[40:41], v[18:19]
	v_add_f64 v[10:11], v[14:15], v[10:11]
	v_add_f64 v[12:13], v[16:17], v[12:13]
	v_fma_f64 v[6:7], v[6:7], v[40:41], -v[20:21]
	s_delay_alu instid0(VALU_DEP_3) | instskip(NEXT) | instid1(VALU_DEP_3)
	v_add_f64 v[1:2], v[10:11], v[1:2]
	v_add_f64 v[3:4], v[12:13], v[4:5]
	s_delay_alu instid0(VALU_DEP_2) | instskip(NEXT) | instid1(VALU_DEP_2)
	v_add_f64 v[1:2], v[1:2], v[6:7]
	v_add_f64 v[3:4], v[3:4], v[8:9]
	s_delay_alu instid0(VALU_DEP_2) | instskip(NEXT) | instid1(VALU_DEP_2)
	v_add_f64 v[1:2], v[48:49], -v[1:2]
	v_add_f64 v[3:4], v[50:51], -v[3:4]
	scratch_store_b128 off, v[1:4], off offset:624
	v_cmpx_lt_u32_e32 38, v166
	s_cbranch_execz .LBB123_297
; %bb.296:
	scratch_load_b128 v[1:4], v223, off
	v_mov_b32_e32 v5, 0
	s_delay_alu instid0(VALU_DEP_1)
	v_mov_b32_e32 v6, v5
	v_mov_b32_e32 v7, v5
	;; [unrolled: 1-line block ×3, first 2 shown]
	scratch_store_b128 off, v[5:8], off offset:608
	s_waitcnt vmcnt(0)
	ds_store_b128 v226, v[1:4]
.LBB123_297:
	s_or_b32 exec_lo, exec_lo, s2
	s_waitcnt lgkmcnt(0)
	s_waitcnt_vscnt null, 0x0
	s_barrier
	buffer_gl0_inv
	s_clause 0x7
	scratch_load_b128 v[2:5], off, off offset:624
	scratch_load_b128 v[6:9], off, off offset:640
	;; [unrolled: 1-line block ×8, first 2 shown]
	v_mov_b32_e32 v1, 0
	s_mov_b32 s2, exec_lo
	ds_load_b128 v[34:37], v1 offset:1584
	s_clause 0x1
	scratch_load_b128 v[38:41], off, off offset:752
	scratch_load_b128 v[42:45], off, off offset:608
	ds_load_b128 v[48:51], v1 offset:1600
	scratch_load_b128 v[176:179], off, off offset:768
	ds_load_b128 v[180:183], v1 offset:1632
	s_waitcnt vmcnt(10) lgkmcnt(2)
	v_mul_f64 v[52:53], v[36:37], v[4:5]
	v_mul_f64 v[4:5], v[34:35], v[4:5]
	s_delay_alu instid0(VALU_DEP_2) | instskip(NEXT) | instid1(VALU_DEP_2)
	v_fma_f64 v[52:53], v[34:35], v[2:3], -v[52:53]
	v_fma_f64 v[56:57], v[36:37], v[2:3], v[4:5]
	ds_load_b128 v[2:5], v1 offset:1616
	s_waitcnt vmcnt(9) lgkmcnt(2)
	v_mul_f64 v[54:55], v[48:49], v[8:9]
	v_mul_f64 v[8:9], v[50:51], v[8:9]
	scratch_load_b128 v[34:37], off, off offset:784
	s_waitcnt vmcnt(9) lgkmcnt(0)
	v_mul_f64 v[58:59], v[2:3], v[12:13]
	v_mul_f64 v[12:13], v[4:5], v[12:13]
	v_add_f64 v[52:53], v[52:53], 0
	v_fma_f64 v[50:51], v[50:51], v[6:7], v[54:55]
	v_fma_f64 v[48:49], v[48:49], v[6:7], -v[8:9]
	v_add_f64 v[54:55], v[56:57], 0
	scratch_load_b128 v[6:9], off, off offset:800
	v_fma_f64 v[58:59], v[4:5], v[10:11], v[58:59]
	v_fma_f64 v[60:61], v[2:3], v[10:11], -v[12:13]
	scratch_load_b128 v[10:13], off, off offset:816
	ds_load_b128 v[2:5], v1 offset:1648
	s_waitcnt vmcnt(10)
	v_mul_f64 v[56:57], v[180:181], v[16:17]
	v_mul_f64 v[16:17], v[182:183], v[16:17]
	v_add_f64 v[52:53], v[52:53], v[48:49]
	v_add_f64 v[54:55], v[54:55], v[50:51]
	ds_load_b128 v[48:51], v1 offset:1664
	s_waitcnt vmcnt(9) lgkmcnt(1)
	v_mul_f64 v[62:63], v[2:3], v[20:21]
	v_mul_f64 v[20:21], v[4:5], v[20:21]
	v_fma_f64 v[56:57], v[182:183], v[14:15], v[56:57]
	v_fma_f64 v[64:65], v[180:181], v[14:15], -v[16:17]
	scratch_load_b128 v[14:17], off, off offset:832
	ds_load_b128 v[180:183], v1 offset:1696
	v_add_f64 v[52:53], v[52:53], v[60:61]
	v_add_f64 v[54:55], v[54:55], v[58:59]
	v_fma_f64 v[60:61], v[4:5], v[18:19], v[62:63]
	v_fma_f64 v[62:63], v[2:3], v[18:19], -v[20:21]
	ds_load_b128 v[2:5], v1 offset:1680
	s_waitcnt vmcnt(9) lgkmcnt(2)
	v_mul_f64 v[58:59], v[48:49], v[24:25]
	v_mul_f64 v[24:25], v[50:51], v[24:25]
	scratch_load_b128 v[18:21], off, off offset:848
	v_add_f64 v[52:53], v[52:53], v[64:65]
	v_add_f64 v[54:55], v[54:55], v[56:57]
	s_waitcnt vmcnt(9) lgkmcnt(0)
	v_mul_f64 v[56:57], v[2:3], v[28:29]
	v_mul_f64 v[28:29], v[4:5], v[28:29]
	v_fma_f64 v[50:51], v[50:51], v[22:23], v[58:59]
	v_fma_f64 v[48:49], v[48:49], v[22:23], -v[24:25]
	scratch_load_b128 v[22:25], off, off offset:864
	v_add_f64 v[52:53], v[52:53], v[62:63]
	v_add_f64 v[54:55], v[54:55], v[60:61]
	v_fma_f64 v[56:57], v[4:5], v[26:27], v[56:57]
	v_fma_f64 v[60:61], v[2:3], v[26:27], -v[28:29]
	scratch_load_b128 v[26:29], off, off offset:880
	ds_load_b128 v[2:5], v1 offset:1712
	s_waitcnt vmcnt(10)
	v_mul_f64 v[58:59], v[180:181], v[32:33]
	v_mul_f64 v[32:33], v[182:183], v[32:33]
	s_waitcnt vmcnt(9) lgkmcnt(0)
	v_mul_f64 v[62:63], v[2:3], v[40:41]
	v_mul_f64 v[40:41], v[4:5], v[40:41]
	v_add_f64 v[52:53], v[52:53], v[48:49]
	v_add_f64 v[54:55], v[54:55], v[50:51]
	ds_load_b128 v[48:51], v1 offset:1728
	v_fma_f64 v[58:59], v[182:183], v[30:31], v[58:59]
	v_fma_f64 v[64:65], v[180:181], v[30:31], -v[32:33]
	scratch_load_b128 v[30:33], off, off offset:896
	ds_load_b128 v[182:185], v1 offset:1792
	v_fma_f64 v[62:63], v[4:5], v[38:39], v[62:63]
	v_fma_f64 v[66:67], v[2:3], v[38:39], -v[40:41]
	scratch_load_b128 v[38:41], off, off offset:912
	ds_load_b128 v[2:5], v1 offset:1744
	v_add_f64 v[52:53], v[52:53], v[60:61]
	v_add_f64 v[54:55], v[54:55], v[56:57]
	s_waitcnt vmcnt(9) lgkmcnt(2)
	v_mul_f64 v[56:57], v[48:49], v[178:179]
	v_mul_f64 v[60:61], v[50:51], v[178:179]
	ds_load_b128 v[178:181], v1 offset:1760
	v_add_f64 v[52:53], v[52:53], v[64:65]
	v_add_f64 v[54:55], v[54:55], v[58:59]
	v_fma_f64 v[56:57], v[50:51], v[176:177], v[56:57]
	v_fma_f64 v[60:61], v[48:49], v[176:177], -v[60:61]
	scratch_load_b128 v[48:51], off, off offset:928
	s_waitcnt vmcnt(9) lgkmcnt(1)
	v_mul_f64 v[58:59], v[2:3], v[36:37]
	v_mul_f64 v[36:37], v[4:5], v[36:37]
	v_add_f64 v[52:53], v[52:53], v[66:67]
	v_add_f64 v[54:55], v[54:55], v[62:63]
	s_delay_alu instid0(VALU_DEP_4) | instskip(NEXT) | instid1(VALU_DEP_4)
	v_fma_f64 v[58:59], v[4:5], v[34:35], v[58:59]
	v_fma_f64 v[64:65], v[2:3], v[34:35], -v[36:37]
	scratch_load_b128 v[34:37], off, off offset:944
	ds_load_b128 v[2:5], v1 offset:1776
	s_waitcnt vmcnt(9) lgkmcnt(1)
	v_mul_f64 v[62:63], v[178:179], v[8:9]
	v_mul_f64 v[8:9], v[180:181], v[8:9]
	v_add_f64 v[52:53], v[52:53], v[60:61]
	v_add_f64 v[54:55], v[54:55], v[56:57]
	s_waitcnt vmcnt(8) lgkmcnt(0)
	v_mul_f64 v[56:57], v[2:3], v[12:13]
	v_mul_f64 v[12:13], v[4:5], v[12:13]
	v_fma_f64 v[60:61], v[180:181], v[6:7], v[62:63]
	v_fma_f64 v[6:7], v[178:179], v[6:7], -v[8:9]
	v_add_f64 v[8:9], v[52:53], v[64:65]
	v_add_f64 v[52:53], v[54:55], v[58:59]
	s_waitcnt vmcnt(7)
	v_mul_f64 v[54:55], v[182:183], v[16:17]
	v_mul_f64 v[16:17], v[184:185], v[16:17]
	v_fma_f64 v[56:57], v[4:5], v[10:11], v[56:57]
	v_fma_f64 v[10:11], v[2:3], v[10:11], -v[12:13]
	v_add_f64 v[12:13], v[8:9], v[6:7]
	v_add_f64 v[52:53], v[52:53], v[60:61]
	ds_load_b128 v[2:5], v1 offset:1808
	ds_load_b128 v[6:9], v1 offset:1824
	v_fma_f64 v[54:55], v[184:185], v[14:15], v[54:55]
	v_fma_f64 v[14:15], v[182:183], v[14:15], -v[16:17]
	s_waitcnt vmcnt(6) lgkmcnt(1)
	v_mul_f64 v[58:59], v[2:3], v[20:21]
	v_mul_f64 v[20:21], v[4:5], v[20:21]
	s_waitcnt vmcnt(5) lgkmcnt(0)
	v_mul_f64 v[16:17], v[6:7], v[24:25]
	v_mul_f64 v[24:25], v[8:9], v[24:25]
	v_add_f64 v[10:11], v[12:13], v[10:11]
	v_add_f64 v[12:13], v[52:53], v[56:57]
	v_fma_f64 v[52:53], v[4:5], v[18:19], v[58:59]
	v_fma_f64 v[18:19], v[2:3], v[18:19], -v[20:21]
	v_fma_f64 v[8:9], v[8:9], v[22:23], v[16:17]
	v_fma_f64 v[6:7], v[6:7], v[22:23], -v[24:25]
	v_add_f64 v[14:15], v[10:11], v[14:15]
	v_add_f64 v[20:21], v[12:13], v[54:55]
	ds_load_b128 v[2:5], v1 offset:1840
	ds_load_b128 v[10:13], v1 offset:1856
	s_waitcnt vmcnt(4) lgkmcnt(1)
	v_mul_f64 v[54:55], v[2:3], v[28:29]
	v_mul_f64 v[28:29], v[4:5], v[28:29]
	v_add_f64 v[14:15], v[14:15], v[18:19]
	v_add_f64 v[16:17], v[20:21], v[52:53]
	s_waitcnt vmcnt(3) lgkmcnt(0)
	v_mul_f64 v[18:19], v[10:11], v[32:33]
	v_mul_f64 v[20:21], v[12:13], v[32:33]
	v_fma_f64 v[22:23], v[4:5], v[26:27], v[54:55]
	v_fma_f64 v[24:25], v[2:3], v[26:27], -v[28:29]
	v_add_f64 v[14:15], v[14:15], v[6:7]
	v_add_f64 v[16:17], v[16:17], v[8:9]
	ds_load_b128 v[2:5], v1 offset:1872
	ds_load_b128 v[6:9], v1 offset:1888
	v_fma_f64 v[12:13], v[12:13], v[30:31], v[18:19]
	v_fma_f64 v[10:11], v[10:11], v[30:31], -v[20:21]
	s_waitcnt vmcnt(2) lgkmcnt(1)
	v_mul_f64 v[26:27], v[2:3], v[40:41]
	v_mul_f64 v[28:29], v[4:5], v[40:41]
	s_waitcnt vmcnt(1) lgkmcnt(0)
	v_mul_f64 v[18:19], v[6:7], v[50:51]
	v_mul_f64 v[20:21], v[8:9], v[50:51]
	v_add_f64 v[14:15], v[14:15], v[24:25]
	v_add_f64 v[16:17], v[16:17], v[22:23]
	v_fma_f64 v[22:23], v[4:5], v[38:39], v[26:27]
	v_fma_f64 v[24:25], v[2:3], v[38:39], -v[28:29]
	ds_load_b128 v[2:5], v1 offset:1904
	v_fma_f64 v[8:9], v[8:9], v[48:49], v[18:19]
	v_fma_f64 v[6:7], v[6:7], v[48:49], -v[20:21]
	v_add_f64 v[10:11], v[14:15], v[10:11]
	v_add_f64 v[12:13], v[16:17], v[12:13]
	s_waitcnt vmcnt(0) lgkmcnt(0)
	v_mul_f64 v[14:15], v[2:3], v[36:37]
	v_mul_f64 v[16:17], v[4:5], v[36:37]
	s_delay_alu instid0(VALU_DEP_4) | instskip(NEXT) | instid1(VALU_DEP_4)
	v_add_f64 v[10:11], v[10:11], v[24:25]
	v_add_f64 v[12:13], v[12:13], v[22:23]
	s_delay_alu instid0(VALU_DEP_4) | instskip(NEXT) | instid1(VALU_DEP_4)
	v_fma_f64 v[4:5], v[4:5], v[34:35], v[14:15]
	v_fma_f64 v[2:3], v[2:3], v[34:35], -v[16:17]
	s_delay_alu instid0(VALU_DEP_4) | instskip(NEXT) | instid1(VALU_DEP_4)
	v_add_f64 v[6:7], v[10:11], v[6:7]
	v_add_f64 v[8:9], v[12:13], v[8:9]
	s_delay_alu instid0(VALU_DEP_2) | instskip(NEXT) | instid1(VALU_DEP_2)
	v_add_f64 v[2:3], v[6:7], v[2:3]
	v_add_f64 v[4:5], v[8:9], v[4:5]
	s_delay_alu instid0(VALU_DEP_2) | instskip(NEXT) | instid1(VALU_DEP_2)
	v_add_f64 v[2:3], v[42:43], -v[2:3]
	v_add_f64 v[4:5], v[44:45], -v[4:5]
	scratch_store_b128 off, v[2:5], off offset:608
	v_cmpx_lt_u32_e32 37, v166
	s_cbranch_execz .LBB123_299
; %bb.298:
	scratch_load_b128 v[5:8], v168, off
	v_mov_b32_e32 v2, v1
	v_mov_b32_e32 v3, v1
	;; [unrolled: 1-line block ×3, first 2 shown]
	scratch_store_b128 off, v[1:4], off offset:592
	s_waitcnt vmcnt(0)
	ds_store_b128 v226, v[5:8]
.LBB123_299:
	s_or_b32 exec_lo, exec_lo, s2
	s_waitcnt lgkmcnt(0)
	s_waitcnt_vscnt null, 0x0
	s_barrier
	buffer_gl0_inv
	s_clause 0x8
	scratch_load_b128 v[2:5], off, off offset:608
	scratch_load_b128 v[6:9], off, off offset:624
	;; [unrolled: 1-line block ×9, first 2 shown]
	ds_load_b128 v[38:41], v1 offset:1568
	ds_load_b128 v[42:45], v1 offset:1584
	s_clause 0x1
	scratch_load_b128 v[48:51], off, off offset:592
	scratch_load_b128 v[176:179], off, off offset:752
	s_mov_b32 s2, exec_lo
	ds_load_b128 v[180:183], v1 offset:1616
	ds_load_b128 v[201:204], v1 offset:1776
	s_waitcnt vmcnt(10) lgkmcnt(3)
	v_mul_f64 v[52:53], v[40:41], v[4:5]
	v_mul_f64 v[4:5], v[38:39], v[4:5]
	s_waitcnt vmcnt(9) lgkmcnt(2)
	v_mul_f64 v[54:55], v[42:43], v[8:9]
	v_mul_f64 v[8:9], v[44:45], v[8:9]
	s_delay_alu instid0(VALU_DEP_4) | instskip(NEXT) | instid1(VALU_DEP_4)
	v_fma_f64 v[52:53], v[38:39], v[2:3], -v[52:53]
	v_fma_f64 v[56:57], v[40:41], v[2:3], v[4:5]
	ds_load_b128 v[2:5], v1 offset:1600
	scratch_load_b128 v[38:41], off, off offset:768
	v_fma_f64 v[44:45], v[44:45], v[6:7], v[54:55]
	v_fma_f64 v[42:43], v[42:43], v[6:7], -v[8:9]
	scratch_load_b128 v[6:9], off, off offset:784
	s_waitcnt vmcnt(10) lgkmcnt(0)
	v_mul_f64 v[58:59], v[2:3], v[12:13]
	v_mul_f64 v[12:13], v[4:5], v[12:13]
	v_add_f64 v[52:53], v[52:53], 0
	v_add_f64 v[54:55], v[56:57], 0
	s_waitcnt vmcnt(9)
	v_mul_f64 v[56:57], v[180:181], v[16:17]
	v_mul_f64 v[16:17], v[182:183], v[16:17]
	v_fma_f64 v[58:59], v[4:5], v[10:11], v[58:59]
	v_fma_f64 v[60:61], v[2:3], v[10:11], -v[12:13]
	ds_load_b128 v[2:5], v1 offset:1632
	scratch_load_b128 v[10:13], off, off offset:800
	v_add_f64 v[52:53], v[52:53], v[42:43]
	v_add_f64 v[54:55], v[54:55], v[44:45]
	ds_load_b128 v[42:45], v1 offset:1648
	v_fma_f64 v[56:57], v[182:183], v[14:15], v[56:57]
	v_fma_f64 v[64:65], v[180:181], v[14:15], -v[16:17]
	scratch_load_b128 v[14:17], off, off offset:816
	s_waitcnt vmcnt(10) lgkmcnt(1)
	v_mul_f64 v[62:63], v[2:3], v[20:21]
	v_mul_f64 v[20:21], v[4:5], v[20:21]
	ds_load_b128 v[180:183], v1 offset:1680
	v_add_f64 v[52:53], v[52:53], v[60:61]
	v_add_f64 v[54:55], v[54:55], v[58:59]
	s_waitcnt vmcnt(9) lgkmcnt(1)
	v_mul_f64 v[58:59], v[42:43], v[24:25]
	v_mul_f64 v[24:25], v[44:45], v[24:25]
	v_fma_f64 v[60:61], v[4:5], v[18:19], v[62:63]
	v_fma_f64 v[62:63], v[2:3], v[18:19], -v[20:21]
	ds_load_b128 v[2:5], v1 offset:1664
	scratch_load_b128 v[18:21], off, off offset:832
	v_add_f64 v[52:53], v[52:53], v[64:65]
	v_add_f64 v[54:55], v[54:55], v[56:57]
	s_waitcnt vmcnt(9) lgkmcnt(0)
	v_mul_f64 v[56:57], v[2:3], v[28:29]
	v_mul_f64 v[28:29], v[4:5], v[28:29]
	v_fma_f64 v[44:45], v[44:45], v[22:23], v[58:59]
	v_fma_f64 v[42:43], v[42:43], v[22:23], -v[24:25]
	scratch_load_b128 v[22:25], off, off offset:848
	s_waitcnt vmcnt(9)
	v_mul_f64 v[58:59], v[180:181], v[32:33]
	v_mul_f64 v[32:33], v[182:183], v[32:33]
	v_add_f64 v[52:53], v[52:53], v[62:63]
	v_add_f64 v[54:55], v[54:55], v[60:61]
	v_fma_f64 v[56:57], v[4:5], v[26:27], v[56:57]
	v_fma_f64 v[60:61], v[2:3], v[26:27], -v[28:29]
	ds_load_b128 v[2:5], v1 offset:1696
	scratch_load_b128 v[26:29], off, off offset:864
	v_fma_f64 v[58:59], v[182:183], v[30:31], v[58:59]
	v_fma_f64 v[64:65], v[180:181], v[30:31], -v[32:33]
	s_clause 0x1
	scratch_load_b128 v[30:33], off, off offset:880
	scratch_load_b128 v[182:185], off, off offset:928
	v_add_f64 v[52:53], v[52:53], v[42:43]
	v_add_f64 v[54:55], v[54:55], v[44:45]
	ds_load_b128 v[42:45], v1 offset:1712
	s_waitcnt vmcnt(11) lgkmcnt(1)
	v_mul_f64 v[62:63], v[2:3], v[36:37]
	v_mul_f64 v[36:37], v[4:5], v[36:37]
	v_add_f64 v[52:53], v[52:53], v[60:61]
	v_add_f64 v[54:55], v[54:55], v[56:57]
	s_waitcnt vmcnt(9) lgkmcnt(0)
	v_mul_f64 v[56:57], v[42:43], v[178:179]
	v_mul_f64 v[60:61], v[44:45], v[178:179]
	v_fma_f64 v[62:63], v[4:5], v[34:35], v[62:63]
	v_fma_f64 v[66:67], v[2:3], v[34:35], -v[36:37]
	ds_load_b128 v[2:5], v1 offset:1728
	ds_load_b128 v[178:181], v1 offset:1744
	scratch_load_b128 v[34:37], off, off offset:896
	v_add_f64 v[52:53], v[52:53], v[64:65]
	v_add_f64 v[54:55], v[54:55], v[58:59]
	v_fma_f64 v[44:45], v[44:45], v[176:177], v[56:57]
	v_fma_f64 v[56:57], v[42:43], v[176:177], -v[60:61]
	s_waitcnt vmcnt(9) lgkmcnt(1)
	v_mul_f64 v[58:59], v[2:3], v[40:41]
	v_mul_f64 v[64:65], v[4:5], v[40:41]
	scratch_load_b128 v[40:43], off, off offset:912
	s_waitcnt vmcnt(9) lgkmcnt(0)
	v_mul_f64 v[60:61], v[178:179], v[8:9]
	v_mul_f64 v[8:9], v[180:181], v[8:9]
	v_add_f64 v[52:53], v[52:53], v[66:67]
	v_add_f64 v[54:55], v[54:55], v[62:63]
	v_fma_f64 v[58:59], v[4:5], v[38:39], v[58:59]
	v_fma_f64 v[38:39], v[2:3], v[38:39], -v[64:65]
	ds_load_b128 v[2:5], v1 offset:1760
	v_add_f64 v[52:53], v[52:53], v[56:57]
	v_add_f64 v[44:45], v[54:55], v[44:45]
	v_fma_f64 v[56:57], v[180:181], v[6:7], v[60:61]
	s_waitcnt vmcnt(8) lgkmcnt(0)
	v_mul_f64 v[54:55], v[2:3], v[12:13]
	v_mul_f64 v[12:13], v[4:5], v[12:13]
	v_fma_f64 v[60:61], v[178:179], v[6:7], -v[8:9]
	scratch_load_b128 v[6:9], off, off offset:944
	v_add_f64 v[38:39], v[52:53], v[38:39]
	v_add_f64 v[44:45], v[44:45], v[58:59]
	s_waitcnt vmcnt(8)
	v_mul_f64 v[52:53], v[201:202], v[16:17]
	v_mul_f64 v[16:17], v[203:204], v[16:17]
	v_fma_f64 v[54:55], v[4:5], v[10:11], v[54:55]
	v_fma_f64 v[58:59], v[2:3], v[10:11], -v[12:13]
	ds_load_b128 v[2:5], v1 offset:1792
	ds_load_b128 v[10:13], v1 offset:1808
	v_add_f64 v[38:39], v[38:39], v[60:61]
	v_add_f64 v[44:45], v[44:45], v[56:57]
	s_waitcnt vmcnt(7) lgkmcnt(1)
	v_mul_f64 v[56:57], v[2:3], v[20:21]
	v_mul_f64 v[20:21], v[4:5], v[20:21]
	v_fma_f64 v[52:53], v[203:204], v[14:15], v[52:53]
	v_fma_f64 v[14:15], v[201:202], v[14:15], -v[16:17]
	v_add_f64 v[16:17], v[38:39], v[58:59]
	v_add_f64 v[38:39], v[44:45], v[54:55]
	s_waitcnt vmcnt(6) lgkmcnt(0)
	v_mul_f64 v[44:45], v[10:11], v[24:25]
	v_mul_f64 v[24:25], v[12:13], v[24:25]
	v_fma_f64 v[54:55], v[4:5], v[18:19], v[56:57]
	v_fma_f64 v[18:19], v[2:3], v[18:19], -v[20:21]
	v_add_f64 v[20:21], v[16:17], v[14:15]
	v_add_f64 v[38:39], v[38:39], v[52:53]
	ds_load_b128 v[2:5], v1 offset:1824
	ds_load_b128 v[14:17], v1 offset:1840
	v_fma_f64 v[12:13], v[12:13], v[22:23], v[44:45]
	v_fma_f64 v[10:11], v[10:11], v[22:23], -v[24:25]
	s_waitcnt vmcnt(5) lgkmcnt(1)
	v_mul_f64 v[52:53], v[2:3], v[28:29]
	v_mul_f64 v[28:29], v[4:5], v[28:29]
	s_waitcnt vmcnt(4) lgkmcnt(0)
	v_mul_f64 v[22:23], v[14:15], v[32:33]
	v_mul_f64 v[24:25], v[16:17], v[32:33]
	v_add_f64 v[18:19], v[20:21], v[18:19]
	v_add_f64 v[20:21], v[38:39], v[54:55]
	v_fma_f64 v[32:33], v[4:5], v[26:27], v[52:53]
	v_fma_f64 v[26:27], v[2:3], v[26:27], -v[28:29]
	v_fma_f64 v[16:17], v[16:17], v[30:31], v[22:23]
	v_fma_f64 v[14:15], v[14:15], v[30:31], -v[24:25]
	v_add_f64 v[18:19], v[18:19], v[10:11]
	v_add_f64 v[20:21], v[20:21], v[12:13]
	ds_load_b128 v[2:5], v1 offset:1856
	ds_load_b128 v[10:13], v1 offset:1872
	s_waitcnt vmcnt(2) lgkmcnt(1)
	v_mul_f64 v[28:29], v[2:3], v[36:37]
	v_mul_f64 v[36:37], v[4:5], v[36:37]
	s_waitcnt vmcnt(1) lgkmcnt(0)
	v_mul_f64 v[22:23], v[10:11], v[42:43]
	v_add_f64 v[18:19], v[18:19], v[26:27]
	v_add_f64 v[20:21], v[20:21], v[32:33]
	v_mul_f64 v[24:25], v[12:13], v[42:43]
	v_fma_f64 v[26:27], v[4:5], v[34:35], v[28:29]
	v_fma_f64 v[28:29], v[2:3], v[34:35], -v[36:37]
	v_fma_f64 v[12:13], v[12:13], v[40:41], v[22:23]
	v_add_f64 v[18:19], v[18:19], v[14:15]
	v_add_f64 v[20:21], v[20:21], v[16:17]
	ds_load_b128 v[2:5], v1 offset:1888
	ds_load_b128 v[14:17], v1 offset:1904
	v_fma_f64 v[10:11], v[10:11], v[40:41], -v[24:25]
	s_waitcnt lgkmcnt(1)
	v_mul_f64 v[30:31], v[2:3], v[184:185]
	v_mul_f64 v[32:33], v[4:5], v[184:185]
	s_waitcnt vmcnt(0) lgkmcnt(0)
	v_mul_f64 v[22:23], v[14:15], v[8:9]
	v_mul_f64 v[8:9], v[16:17], v[8:9]
	v_add_f64 v[18:19], v[18:19], v[28:29]
	v_add_f64 v[20:21], v[20:21], v[26:27]
	v_fma_f64 v[4:5], v[4:5], v[182:183], v[30:31]
	v_fma_f64 v[1:2], v[2:3], v[182:183], -v[32:33]
	v_fma_f64 v[16:17], v[16:17], v[6:7], v[22:23]
	v_fma_f64 v[6:7], v[14:15], v[6:7], -v[8:9]
	v_add_f64 v[10:11], v[18:19], v[10:11]
	v_add_f64 v[12:13], v[20:21], v[12:13]
	s_delay_alu instid0(VALU_DEP_2) | instskip(NEXT) | instid1(VALU_DEP_2)
	v_add_f64 v[1:2], v[10:11], v[1:2]
	v_add_f64 v[3:4], v[12:13], v[4:5]
	s_delay_alu instid0(VALU_DEP_2) | instskip(NEXT) | instid1(VALU_DEP_2)
	;; [unrolled: 3-line block ×3, first 2 shown]
	v_add_f64 v[1:2], v[48:49], -v[1:2]
	v_add_f64 v[3:4], v[50:51], -v[3:4]
	scratch_store_b128 off, v[1:4], off offset:592
	v_cmpx_lt_u32_e32 36, v166
	s_cbranch_execz .LBB123_301
; %bb.300:
	scratch_load_b128 v[1:4], v169, off
	v_mov_b32_e32 v5, 0
	s_delay_alu instid0(VALU_DEP_1)
	v_mov_b32_e32 v6, v5
	v_mov_b32_e32 v7, v5
	;; [unrolled: 1-line block ×3, first 2 shown]
	scratch_store_b128 off, v[5:8], off offset:576
	s_waitcnt vmcnt(0)
	ds_store_b128 v226, v[1:4]
.LBB123_301:
	s_or_b32 exec_lo, exec_lo, s2
	s_waitcnt lgkmcnt(0)
	s_waitcnt_vscnt null, 0x0
	s_barrier
	buffer_gl0_inv
	s_clause 0x7
	scratch_load_b128 v[2:5], off, off offset:592
	scratch_load_b128 v[6:9], off, off offset:608
	;; [unrolled: 1-line block ×8, first 2 shown]
	v_mov_b32_e32 v1, 0
	s_mov_b32 s2, exec_lo
	ds_load_b128 v[34:37], v1 offset:1552
	s_clause 0x1
	scratch_load_b128 v[38:41], off, off offset:720
	scratch_load_b128 v[42:45], off, off offset:576
	ds_load_b128 v[48:51], v1 offset:1568
	scratch_load_b128 v[176:179], off, off offset:736
	ds_load_b128 v[180:183], v1 offset:1600
	s_waitcnt vmcnt(10) lgkmcnt(2)
	v_mul_f64 v[52:53], v[36:37], v[4:5]
	v_mul_f64 v[4:5], v[34:35], v[4:5]
	s_delay_alu instid0(VALU_DEP_2) | instskip(NEXT) | instid1(VALU_DEP_2)
	v_fma_f64 v[52:53], v[34:35], v[2:3], -v[52:53]
	v_fma_f64 v[56:57], v[36:37], v[2:3], v[4:5]
	ds_load_b128 v[2:5], v1 offset:1584
	s_waitcnt vmcnt(9) lgkmcnt(2)
	v_mul_f64 v[54:55], v[48:49], v[8:9]
	v_mul_f64 v[8:9], v[50:51], v[8:9]
	scratch_load_b128 v[34:37], off, off offset:752
	s_waitcnt vmcnt(9) lgkmcnt(0)
	v_mul_f64 v[58:59], v[2:3], v[12:13]
	v_mul_f64 v[12:13], v[4:5], v[12:13]
	v_add_f64 v[52:53], v[52:53], 0
	v_fma_f64 v[50:51], v[50:51], v[6:7], v[54:55]
	v_fma_f64 v[48:49], v[48:49], v[6:7], -v[8:9]
	v_add_f64 v[54:55], v[56:57], 0
	scratch_load_b128 v[6:9], off, off offset:768
	v_fma_f64 v[58:59], v[4:5], v[10:11], v[58:59]
	v_fma_f64 v[60:61], v[2:3], v[10:11], -v[12:13]
	scratch_load_b128 v[10:13], off, off offset:784
	ds_load_b128 v[2:5], v1 offset:1616
	s_waitcnt vmcnt(10)
	v_mul_f64 v[56:57], v[180:181], v[16:17]
	v_mul_f64 v[16:17], v[182:183], v[16:17]
	v_add_f64 v[52:53], v[52:53], v[48:49]
	v_add_f64 v[54:55], v[54:55], v[50:51]
	ds_load_b128 v[48:51], v1 offset:1632
	s_waitcnt vmcnt(9) lgkmcnt(1)
	v_mul_f64 v[62:63], v[2:3], v[20:21]
	v_mul_f64 v[20:21], v[4:5], v[20:21]
	v_fma_f64 v[56:57], v[182:183], v[14:15], v[56:57]
	v_fma_f64 v[64:65], v[180:181], v[14:15], -v[16:17]
	scratch_load_b128 v[14:17], off, off offset:800
	ds_load_b128 v[180:183], v1 offset:1664
	v_add_f64 v[52:53], v[52:53], v[60:61]
	v_add_f64 v[54:55], v[54:55], v[58:59]
	v_fma_f64 v[60:61], v[4:5], v[18:19], v[62:63]
	v_fma_f64 v[62:63], v[2:3], v[18:19], -v[20:21]
	ds_load_b128 v[2:5], v1 offset:1648
	s_waitcnt vmcnt(9) lgkmcnt(2)
	v_mul_f64 v[58:59], v[48:49], v[24:25]
	v_mul_f64 v[24:25], v[50:51], v[24:25]
	scratch_load_b128 v[18:21], off, off offset:816
	v_add_f64 v[52:53], v[52:53], v[64:65]
	v_add_f64 v[54:55], v[54:55], v[56:57]
	s_waitcnt vmcnt(9) lgkmcnt(0)
	v_mul_f64 v[56:57], v[2:3], v[28:29]
	v_mul_f64 v[28:29], v[4:5], v[28:29]
	v_fma_f64 v[50:51], v[50:51], v[22:23], v[58:59]
	v_fma_f64 v[48:49], v[48:49], v[22:23], -v[24:25]
	scratch_load_b128 v[22:25], off, off offset:832
	v_add_f64 v[52:53], v[52:53], v[62:63]
	v_add_f64 v[54:55], v[54:55], v[60:61]
	v_fma_f64 v[56:57], v[4:5], v[26:27], v[56:57]
	v_fma_f64 v[60:61], v[2:3], v[26:27], -v[28:29]
	scratch_load_b128 v[26:29], off, off offset:848
	ds_load_b128 v[2:5], v1 offset:1680
	s_waitcnt vmcnt(10)
	v_mul_f64 v[58:59], v[180:181], v[32:33]
	v_mul_f64 v[32:33], v[182:183], v[32:33]
	s_waitcnt vmcnt(9) lgkmcnt(0)
	v_mul_f64 v[62:63], v[2:3], v[40:41]
	v_mul_f64 v[40:41], v[4:5], v[40:41]
	v_add_f64 v[52:53], v[52:53], v[48:49]
	v_add_f64 v[54:55], v[54:55], v[50:51]
	ds_load_b128 v[48:51], v1 offset:1696
	v_fma_f64 v[58:59], v[182:183], v[30:31], v[58:59]
	v_fma_f64 v[64:65], v[180:181], v[30:31], -v[32:33]
	scratch_load_b128 v[30:33], off, off offset:864
	ds_load_b128 v[182:185], v1 offset:1760
	v_fma_f64 v[62:63], v[4:5], v[38:39], v[62:63]
	v_fma_f64 v[66:67], v[2:3], v[38:39], -v[40:41]
	ds_load_b128 v[2:5], v1 offset:1712
	scratch_load_b128 v[38:41], off, off offset:880
	v_add_f64 v[52:53], v[52:53], v[60:61]
	v_add_f64 v[54:55], v[54:55], v[56:57]
	s_waitcnt vmcnt(9) lgkmcnt(2)
	v_mul_f64 v[56:57], v[48:49], v[178:179]
	v_mul_f64 v[60:61], v[50:51], v[178:179]
	ds_load_b128 v[178:181], v1 offset:1728
	v_add_f64 v[52:53], v[52:53], v[64:65]
	v_add_f64 v[54:55], v[54:55], v[58:59]
	v_fma_f64 v[56:57], v[50:51], v[176:177], v[56:57]
	v_fma_f64 v[60:61], v[48:49], v[176:177], -v[60:61]
	scratch_load_b128 v[48:51], off, off offset:896
	s_waitcnt vmcnt(9) lgkmcnt(1)
	v_mul_f64 v[58:59], v[2:3], v[36:37]
	v_mul_f64 v[36:37], v[4:5], v[36:37]
	v_add_f64 v[52:53], v[52:53], v[66:67]
	v_add_f64 v[54:55], v[54:55], v[62:63]
	s_delay_alu instid0(VALU_DEP_4) | instskip(NEXT) | instid1(VALU_DEP_4)
	v_fma_f64 v[58:59], v[4:5], v[34:35], v[58:59]
	v_fma_f64 v[64:65], v[2:3], v[34:35], -v[36:37]
	scratch_load_b128 v[34:37], off, off offset:912
	ds_load_b128 v[2:5], v1 offset:1744
	s_waitcnt vmcnt(9) lgkmcnt(1)
	v_mul_f64 v[62:63], v[178:179], v[8:9]
	v_mul_f64 v[8:9], v[180:181], v[8:9]
	v_add_f64 v[52:53], v[52:53], v[60:61]
	v_add_f64 v[54:55], v[54:55], v[56:57]
	s_waitcnt vmcnt(8) lgkmcnt(0)
	v_mul_f64 v[56:57], v[2:3], v[12:13]
	v_mul_f64 v[12:13], v[4:5], v[12:13]
	v_fma_f64 v[60:61], v[180:181], v[6:7], v[62:63]
	v_fma_f64 v[62:63], v[178:179], v[6:7], -v[8:9]
	scratch_load_b128 v[6:9], off, off offset:928
	ds_load_b128 v[176:179], v1 offset:1792
	v_add_f64 v[52:53], v[52:53], v[64:65]
	v_add_f64 v[54:55], v[54:55], v[58:59]
	v_fma_f64 v[56:57], v[4:5], v[10:11], v[56:57]
	v_fma_f64 v[64:65], v[2:3], v[10:11], -v[12:13]
	scratch_load_b128 v[10:13], off, off offset:944
	ds_load_b128 v[2:5], v1 offset:1776
	s_waitcnt vmcnt(9)
	v_mul_f64 v[58:59], v[182:183], v[16:17]
	v_mul_f64 v[16:17], v[184:185], v[16:17]
	v_add_f64 v[52:53], v[52:53], v[62:63]
	v_add_f64 v[54:55], v[54:55], v[60:61]
	s_waitcnt vmcnt(8) lgkmcnt(0)
	v_mul_f64 v[60:61], v[2:3], v[20:21]
	v_mul_f64 v[20:21], v[4:5], v[20:21]
	v_fma_f64 v[58:59], v[184:185], v[14:15], v[58:59]
	v_fma_f64 v[14:15], v[182:183], v[14:15], -v[16:17]
	v_add_f64 v[16:17], v[52:53], v[64:65]
	v_add_f64 v[52:53], v[54:55], v[56:57]
	s_waitcnt vmcnt(7)
	v_mul_f64 v[54:55], v[176:177], v[24:25]
	v_mul_f64 v[24:25], v[178:179], v[24:25]
	v_fma_f64 v[56:57], v[4:5], v[18:19], v[60:61]
	v_fma_f64 v[18:19], v[2:3], v[18:19], -v[20:21]
	v_add_f64 v[20:21], v[16:17], v[14:15]
	v_add_f64 v[52:53], v[52:53], v[58:59]
	ds_load_b128 v[2:5], v1 offset:1808
	ds_load_b128 v[14:17], v1 offset:1824
	v_fma_f64 v[54:55], v[178:179], v[22:23], v[54:55]
	v_fma_f64 v[22:23], v[176:177], v[22:23], -v[24:25]
	s_waitcnt vmcnt(6) lgkmcnt(1)
	v_mul_f64 v[58:59], v[2:3], v[28:29]
	v_mul_f64 v[28:29], v[4:5], v[28:29]
	s_waitcnt vmcnt(5) lgkmcnt(0)
	v_mul_f64 v[24:25], v[14:15], v[32:33]
	v_mul_f64 v[32:33], v[16:17], v[32:33]
	v_add_f64 v[18:19], v[20:21], v[18:19]
	v_add_f64 v[20:21], v[52:53], v[56:57]
	v_fma_f64 v[52:53], v[4:5], v[26:27], v[58:59]
	v_fma_f64 v[26:27], v[2:3], v[26:27], -v[28:29]
	v_fma_f64 v[16:17], v[16:17], v[30:31], v[24:25]
	v_fma_f64 v[14:15], v[14:15], v[30:31], -v[32:33]
	v_add_f64 v[22:23], v[18:19], v[22:23]
	v_add_f64 v[28:29], v[20:21], v[54:55]
	ds_load_b128 v[2:5], v1 offset:1840
	ds_load_b128 v[18:21], v1 offset:1856
	s_waitcnt vmcnt(4) lgkmcnt(1)
	v_mul_f64 v[54:55], v[2:3], v[40:41]
	v_mul_f64 v[40:41], v[4:5], v[40:41]
	v_add_f64 v[22:23], v[22:23], v[26:27]
	v_add_f64 v[24:25], v[28:29], v[52:53]
	s_waitcnt vmcnt(3) lgkmcnt(0)
	v_mul_f64 v[26:27], v[18:19], v[50:51]
	v_mul_f64 v[28:29], v[20:21], v[50:51]
	v_fma_f64 v[30:31], v[4:5], v[38:39], v[54:55]
	v_fma_f64 v[32:33], v[2:3], v[38:39], -v[40:41]
	v_add_f64 v[22:23], v[22:23], v[14:15]
	v_add_f64 v[24:25], v[24:25], v[16:17]
	ds_load_b128 v[2:5], v1 offset:1872
	ds_load_b128 v[14:17], v1 offset:1888
	v_fma_f64 v[20:21], v[20:21], v[48:49], v[26:27]
	v_fma_f64 v[18:19], v[18:19], v[48:49], -v[28:29]
	s_waitcnt vmcnt(2) lgkmcnt(1)
	v_mul_f64 v[38:39], v[2:3], v[36:37]
	v_mul_f64 v[36:37], v[4:5], v[36:37]
	v_add_f64 v[22:23], v[22:23], v[32:33]
	v_add_f64 v[24:25], v[24:25], v[30:31]
	s_waitcnt vmcnt(1) lgkmcnt(0)
	v_mul_f64 v[26:27], v[14:15], v[8:9]
	v_mul_f64 v[8:9], v[16:17], v[8:9]
	v_fma_f64 v[28:29], v[4:5], v[34:35], v[38:39]
	v_fma_f64 v[30:31], v[2:3], v[34:35], -v[36:37]
	ds_load_b128 v[2:5], v1 offset:1904
	v_add_f64 v[18:19], v[22:23], v[18:19]
	v_add_f64 v[20:21], v[24:25], v[20:21]
	v_fma_f64 v[16:17], v[16:17], v[6:7], v[26:27]
	v_fma_f64 v[6:7], v[14:15], v[6:7], -v[8:9]
	s_waitcnt vmcnt(0) lgkmcnt(0)
	v_mul_f64 v[22:23], v[2:3], v[12:13]
	v_mul_f64 v[12:13], v[4:5], v[12:13]
	v_add_f64 v[8:9], v[18:19], v[30:31]
	v_add_f64 v[14:15], v[20:21], v[28:29]
	s_delay_alu instid0(VALU_DEP_4) | instskip(NEXT) | instid1(VALU_DEP_4)
	v_fma_f64 v[4:5], v[4:5], v[10:11], v[22:23]
	v_fma_f64 v[2:3], v[2:3], v[10:11], -v[12:13]
	s_delay_alu instid0(VALU_DEP_4) | instskip(NEXT) | instid1(VALU_DEP_4)
	v_add_f64 v[6:7], v[8:9], v[6:7]
	v_add_f64 v[8:9], v[14:15], v[16:17]
	s_delay_alu instid0(VALU_DEP_2) | instskip(NEXT) | instid1(VALU_DEP_2)
	v_add_f64 v[2:3], v[6:7], v[2:3]
	v_add_f64 v[4:5], v[8:9], v[4:5]
	s_delay_alu instid0(VALU_DEP_2) | instskip(NEXT) | instid1(VALU_DEP_2)
	v_add_f64 v[2:3], v[42:43], -v[2:3]
	v_add_f64 v[4:5], v[44:45], -v[4:5]
	scratch_store_b128 off, v[2:5], off offset:576
	v_cmpx_lt_u32_e32 35, v166
	s_cbranch_execz .LBB123_303
; %bb.302:
	scratch_load_b128 v[5:8], v188, off
	v_mov_b32_e32 v2, v1
	v_mov_b32_e32 v3, v1
	;; [unrolled: 1-line block ×3, first 2 shown]
	scratch_store_b128 off, v[1:4], off offset:560
	s_waitcnt vmcnt(0)
	ds_store_b128 v226, v[5:8]
.LBB123_303:
	s_or_b32 exec_lo, exec_lo, s2
	s_waitcnt lgkmcnt(0)
	s_waitcnt_vscnt null, 0x0
	s_barrier
	buffer_gl0_inv
	s_clause 0x8
	scratch_load_b128 v[2:5], off, off offset:576
	scratch_load_b128 v[6:9], off, off offset:592
	;; [unrolled: 1-line block ×9, first 2 shown]
	ds_load_b128 v[38:41], v1 offset:1536
	ds_load_b128 v[42:45], v1 offset:1552
	s_clause 0x1
	scratch_load_b128 v[48:51], off, off offset:560
	scratch_load_b128 v[176:179], off, off offset:720
	s_mov_b32 s2, exec_lo
	ds_load_b128 v[180:183], v1 offset:1584
	ds_load_b128 v[201:204], v1 offset:1744
	s_waitcnt vmcnt(10) lgkmcnt(3)
	v_mul_f64 v[52:53], v[40:41], v[4:5]
	v_mul_f64 v[4:5], v[38:39], v[4:5]
	s_waitcnt vmcnt(9) lgkmcnt(2)
	v_mul_f64 v[54:55], v[42:43], v[8:9]
	v_mul_f64 v[8:9], v[44:45], v[8:9]
	s_delay_alu instid0(VALU_DEP_4) | instskip(NEXT) | instid1(VALU_DEP_4)
	v_fma_f64 v[52:53], v[38:39], v[2:3], -v[52:53]
	v_fma_f64 v[56:57], v[40:41], v[2:3], v[4:5]
	ds_load_b128 v[2:5], v1 offset:1568
	scratch_load_b128 v[38:41], off, off offset:736
	v_fma_f64 v[44:45], v[44:45], v[6:7], v[54:55]
	v_fma_f64 v[42:43], v[42:43], v[6:7], -v[8:9]
	scratch_load_b128 v[6:9], off, off offset:752
	s_waitcnt vmcnt(10) lgkmcnt(0)
	v_mul_f64 v[58:59], v[2:3], v[12:13]
	v_mul_f64 v[12:13], v[4:5], v[12:13]
	v_add_f64 v[52:53], v[52:53], 0
	v_add_f64 v[54:55], v[56:57], 0
	s_waitcnt vmcnt(9)
	v_mul_f64 v[56:57], v[180:181], v[16:17]
	v_mul_f64 v[16:17], v[182:183], v[16:17]
	v_fma_f64 v[58:59], v[4:5], v[10:11], v[58:59]
	v_fma_f64 v[60:61], v[2:3], v[10:11], -v[12:13]
	ds_load_b128 v[2:5], v1 offset:1600
	scratch_load_b128 v[10:13], off, off offset:768
	v_add_f64 v[52:53], v[52:53], v[42:43]
	v_add_f64 v[54:55], v[54:55], v[44:45]
	ds_load_b128 v[42:45], v1 offset:1616
	v_fma_f64 v[56:57], v[182:183], v[14:15], v[56:57]
	v_fma_f64 v[64:65], v[180:181], v[14:15], -v[16:17]
	scratch_load_b128 v[14:17], off, off offset:784
	s_waitcnt vmcnt(10) lgkmcnt(1)
	v_mul_f64 v[62:63], v[2:3], v[20:21]
	v_mul_f64 v[20:21], v[4:5], v[20:21]
	ds_load_b128 v[180:183], v1 offset:1648
	v_add_f64 v[52:53], v[52:53], v[60:61]
	v_add_f64 v[54:55], v[54:55], v[58:59]
	s_waitcnt vmcnt(9) lgkmcnt(1)
	v_mul_f64 v[58:59], v[42:43], v[24:25]
	v_mul_f64 v[24:25], v[44:45], v[24:25]
	v_fma_f64 v[60:61], v[4:5], v[18:19], v[62:63]
	v_fma_f64 v[62:63], v[2:3], v[18:19], -v[20:21]
	ds_load_b128 v[2:5], v1 offset:1632
	scratch_load_b128 v[18:21], off, off offset:800
	v_add_f64 v[52:53], v[52:53], v[64:65]
	v_add_f64 v[54:55], v[54:55], v[56:57]
	s_waitcnt vmcnt(9) lgkmcnt(0)
	v_mul_f64 v[56:57], v[2:3], v[28:29]
	v_mul_f64 v[28:29], v[4:5], v[28:29]
	v_fma_f64 v[44:45], v[44:45], v[22:23], v[58:59]
	v_fma_f64 v[42:43], v[42:43], v[22:23], -v[24:25]
	scratch_load_b128 v[22:25], off, off offset:816
	s_waitcnt vmcnt(9)
	v_mul_f64 v[58:59], v[180:181], v[32:33]
	v_mul_f64 v[32:33], v[182:183], v[32:33]
	v_add_f64 v[52:53], v[52:53], v[62:63]
	v_add_f64 v[54:55], v[54:55], v[60:61]
	v_fma_f64 v[56:57], v[4:5], v[26:27], v[56:57]
	v_fma_f64 v[60:61], v[2:3], v[26:27], -v[28:29]
	ds_load_b128 v[2:5], v1 offset:1664
	scratch_load_b128 v[26:29], off, off offset:832
	v_fma_f64 v[58:59], v[182:183], v[30:31], v[58:59]
	v_fma_f64 v[64:65], v[180:181], v[30:31], -v[32:33]
	s_clause 0x1
	scratch_load_b128 v[30:33], off, off offset:848
	scratch_load_b128 v[182:185], off, off offset:896
	v_add_f64 v[52:53], v[52:53], v[42:43]
	v_add_f64 v[54:55], v[54:55], v[44:45]
	ds_load_b128 v[42:45], v1 offset:1680
	s_waitcnt vmcnt(11) lgkmcnt(1)
	v_mul_f64 v[62:63], v[2:3], v[36:37]
	v_mul_f64 v[36:37], v[4:5], v[36:37]
	v_add_f64 v[52:53], v[52:53], v[60:61]
	v_add_f64 v[54:55], v[54:55], v[56:57]
	s_waitcnt vmcnt(9) lgkmcnt(0)
	v_mul_f64 v[56:57], v[42:43], v[178:179]
	v_mul_f64 v[60:61], v[44:45], v[178:179]
	v_fma_f64 v[62:63], v[4:5], v[34:35], v[62:63]
	v_fma_f64 v[66:67], v[2:3], v[34:35], -v[36:37]
	ds_load_b128 v[2:5], v1 offset:1696
	ds_load_b128 v[178:181], v1 offset:1712
	scratch_load_b128 v[34:37], off, off offset:864
	v_add_f64 v[52:53], v[52:53], v[64:65]
	v_add_f64 v[54:55], v[54:55], v[58:59]
	v_fma_f64 v[44:45], v[44:45], v[176:177], v[56:57]
	v_fma_f64 v[56:57], v[42:43], v[176:177], -v[60:61]
	s_waitcnt vmcnt(9) lgkmcnt(1)
	v_mul_f64 v[58:59], v[2:3], v[40:41]
	v_mul_f64 v[64:65], v[4:5], v[40:41]
	scratch_load_b128 v[40:43], off, off offset:880
	s_waitcnt vmcnt(9) lgkmcnt(0)
	v_mul_f64 v[60:61], v[178:179], v[8:9]
	v_mul_f64 v[8:9], v[180:181], v[8:9]
	v_add_f64 v[52:53], v[52:53], v[66:67]
	v_add_f64 v[54:55], v[54:55], v[62:63]
	v_fma_f64 v[58:59], v[4:5], v[38:39], v[58:59]
	v_fma_f64 v[38:39], v[2:3], v[38:39], -v[64:65]
	ds_load_b128 v[2:5], v1 offset:1728
	v_add_f64 v[52:53], v[52:53], v[56:57]
	v_add_f64 v[44:45], v[54:55], v[44:45]
	v_fma_f64 v[56:57], v[180:181], v[6:7], v[60:61]
	s_waitcnt vmcnt(8) lgkmcnt(0)
	v_mul_f64 v[54:55], v[2:3], v[12:13]
	v_mul_f64 v[12:13], v[4:5], v[12:13]
	v_fma_f64 v[60:61], v[178:179], v[6:7], -v[8:9]
	scratch_load_b128 v[6:9], off, off offset:912
	ds_load_b128 v[176:179], v1 offset:1776
	v_add_f64 v[38:39], v[52:53], v[38:39]
	v_add_f64 v[44:45], v[44:45], v[58:59]
	s_waitcnt vmcnt(8)
	v_mul_f64 v[52:53], v[201:202], v[16:17]
	v_mul_f64 v[16:17], v[203:204], v[16:17]
	v_fma_f64 v[54:55], v[4:5], v[10:11], v[54:55]
	v_fma_f64 v[58:59], v[2:3], v[10:11], -v[12:13]
	ds_load_b128 v[2:5], v1 offset:1760
	scratch_load_b128 v[10:13], off, off offset:928
	v_add_f64 v[38:39], v[38:39], v[60:61]
	v_add_f64 v[44:45], v[44:45], v[56:57]
	s_waitcnt vmcnt(8) lgkmcnt(0)
	v_mul_f64 v[56:57], v[2:3], v[20:21]
	v_mul_f64 v[20:21], v[4:5], v[20:21]
	v_fma_f64 v[52:53], v[203:204], v[14:15], v[52:53]
	v_fma_f64 v[60:61], v[201:202], v[14:15], -v[16:17]
	scratch_load_b128 v[14:17], off, off offset:944
	v_add_f64 v[38:39], v[38:39], v[58:59]
	v_add_f64 v[44:45], v[44:45], v[54:55]
	s_waitcnt vmcnt(8)
	v_mul_f64 v[54:55], v[176:177], v[24:25]
	v_mul_f64 v[24:25], v[178:179], v[24:25]
	v_fma_f64 v[56:57], v[4:5], v[18:19], v[56:57]
	v_fma_f64 v[58:59], v[2:3], v[18:19], -v[20:21]
	ds_load_b128 v[2:5], v1 offset:1792
	ds_load_b128 v[18:21], v1 offset:1808
	v_add_f64 v[38:39], v[38:39], v[60:61]
	v_add_f64 v[44:45], v[44:45], v[52:53]
	s_waitcnt vmcnt(7) lgkmcnt(1)
	v_mul_f64 v[52:53], v[2:3], v[28:29]
	v_mul_f64 v[28:29], v[4:5], v[28:29]
	v_fma_f64 v[54:55], v[178:179], v[22:23], v[54:55]
	v_fma_f64 v[22:23], v[176:177], v[22:23], -v[24:25]
	v_add_f64 v[24:25], v[38:39], v[58:59]
	v_add_f64 v[38:39], v[44:45], v[56:57]
	s_waitcnt vmcnt(6) lgkmcnt(0)
	v_mul_f64 v[44:45], v[18:19], v[32:33]
	v_mul_f64 v[32:33], v[20:21], v[32:33]
	v_fma_f64 v[52:53], v[4:5], v[26:27], v[52:53]
	v_fma_f64 v[26:27], v[2:3], v[26:27], -v[28:29]
	v_add_f64 v[28:29], v[24:25], v[22:23]
	v_add_f64 v[38:39], v[38:39], v[54:55]
	ds_load_b128 v[2:5], v1 offset:1824
	ds_load_b128 v[22:25], v1 offset:1840
	v_fma_f64 v[20:21], v[20:21], v[30:31], v[44:45]
	v_fma_f64 v[18:19], v[18:19], v[30:31], -v[32:33]
	s_waitcnt vmcnt(4) lgkmcnt(1)
	v_mul_f64 v[54:55], v[2:3], v[36:37]
	v_mul_f64 v[36:37], v[4:5], v[36:37]
	s_waitcnt vmcnt(3) lgkmcnt(0)
	v_mul_f64 v[30:31], v[22:23], v[42:43]
	v_add_f64 v[26:27], v[28:29], v[26:27]
	v_add_f64 v[28:29], v[38:39], v[52:53]
	v_mul_f64 v[32:33], v[24:25], v[42:43]
	v_fma_f64 v[38:39], v[4:5], v[34:35], v[54:55]
	v_fma_f64 v[34:35], v[2:3], v[34:35], -v[36:37]
	v_fma_f64 v[24:25], v[24:25], v[40:41], v[30:31]
	v_add_f64 v[26:27], v[26:27], v[18:19]
	v_add_f64 v[28:29], v[28:29], v[20:21]
	ds_load_b128 v[2:5], v1 offset:1856
	ds_load_b128 v[18:21], v1 offset:1872
	v_fma_f64 v[22:23], v[22:23], v[40:41], -v[32:33]
	s_waitcnt lgkmcnt(1)
	v_mul_f64 v[36:37], v[2:3], v[184:185]
	v_mul_f64 v[42:43], v[4:5], v[184:185]
	s_waitcnt vmcnt(2) lgkmcnt(0)
	v_mul_f64 v[30:31], v[18:19], v[8:9]
	v_mul_f64 v[8:9], v[20:21], v[8:9]
	v_add_f64 v[26:27], v[26:27], v[34:35]
	v_add_f64 v[28:29], v[28:29], v[38:39]
	v_fma_f64 v[32:33], v[4:5], v[182:183], v[36:37]
	v_fma_f64 v[34:35], v[2:3], v[182:183], -v[42:43]
	v_fma_f64 v[20:21], v[20:21], v[6:7], v[30:31]
	v_fma_f64 v[6:7], v[18:19], v[6:7], -v[8:9]
	v_add_f64 v[26:27], v[26:27], v[22:23]
	v_add_f64 v[28:29], v[28:29], v[24:25]
	ds_load_b128 v[2:5], v1 offset:1888
	ds_load_b128 v[22:25], v1 offset:1904
	s_waitcnt vmcnt(1) lgkmcnt(1)
	v_mul_f64 v[36:37], v[2:3], v[12:13]
	v_mul_f64 v[12:13], v[4:5], v[12:13]
	v_add_f64 v[8:9], v[26:27], v[34:35]
	v_add_f64 v[18:19], v[28:29], v[32:33]
	s_waitcnt vmcnt(0) lgkmcnt(0)
	v_mul_f64 v[26:27], v[22:23], v[16:17]
	v_mul_f64 v[16:17], v[24:25], v[16:17]
	v_fma_f64 v[4:5], v[4:5], v[10:11], v[36:37]
	v_fma_f64 v[1:2], v[2:3], v[10:11], -v[12:13]
	v_add_f64 v[6:7], v[8:9], v[6:7]
	v_add_f64 v[8:9], v[18:19], v[20:21]
	v_fma_f64 v[10:11], v[24:25], v[14:15], v[26:27]
	v_fma_f64 v[12:13], v[22:23], v[14:15], -v[16:17]
	s_delay_alu instid0(VALU_DEP_4) | instskip(NEXT) | instid1(VALU_DEP_4)
	v_add_f64 v[1:2], v[6:7], v[1:2]
	v_add_f64 v[3:4], v[8:9], v[4:5]
	s_delay_alu instid0(VALU_DEP_2) | instskip(NEXT) | instid1(VALU_DEP_2)
	v_add_f64 v[1:2], v[1:2], v[12:13]
	v_add_f64 v[3:4], v[3:4], v[10:11]
	s_delay_alu instid0(VALU_DEP_2) | instskip(NEXT) | instid1(VALU_DEP_2)
	v_add_f64 v[1:2], v[48:49], -v[1:2]
	v_add_f64 v[3:4], v[50:51], -v[3:4]
	scratch_store_b128 off, v[1:4], off offset:560
	v_cmpx_lt_u32_e32 34, v166
	s_cbranch_execz .LBB123_305
; %bb.304:
	scratch_load_b128 v[1:4], v190, off
	v_mov_b32_e32 v5, 0
	s_delay_alu instid0(VALU_DEP_1)
	v_mov_b32_e32 v6, v5
	v_mov_b32_e32 v7, v5
	;; [unrolled: 1-line block ×3, first 2 shown]
	scratch_store_b128 off, v[5:8], off offset:544
	s_waitcnt vmcnt(0)
	ds_store_b128 v226, v[1:4]
.LBB123_305:
	s_or_b32 exec_lo, exec_lo, s2
	s_waitcnt lgkmcnt(0)
	s_waitcnt_vscnt null, 0x0
	s_barrier
	buffer_gl0_inv
	s_clause 0x7
	scratch_load_b128 v[2:5], off, off offset:560
	scratch_load_b128 v[6:9], off, off offset:576
	;; [unrolled: 1-line block ×8, first 2 shown]
	v_mov_b32_e32 v1, 0
	s_mov_b32 s2, exec_lo
	ds_load_b128 v[34:37], v1 offset:1520
	s_clause 0x1
	scratch_load_b128 v[38:41], off, off offset:688
	scratch_load_b128 v[42:45], off, off offset:544
	ds_load_b128 v[48:51], v1 offset:1536
	scratch_load_b128 v[176:179], off, off offset:704
	ds_load_b128 v[180:183], v1 offset:1568
	s_waitcnt vmcnt(10) lgkmcnt(2)
	v_mul_f64 v[52:53], v[36:37], v[4:5]
	v_mul_f64 v[4:5], v[34:35], v[4:5]
	s_delay_alu instid0(VALU_DEP_2) | instskip(NEXT) | instid1(VALU_DEP_2)
	v_fma_f64 v[52:53], v[34:35], v[2:3], -v[52:53]
	v_fma_f64 v[56:57], v[36:37], v[2:3], v[4:5]
	ds_load_b128 v[2:5], v1 offset:1552
	s_waitcnt vmcnt(9) lgkmcnt(2)
	v_mul_f64 v[54:55], v[48:49], v[8:9]
	v_mul_f64 v[8:9], v[50:51], v[8:9]
	scratch_load_b128 v[34:37], off, off offset:720
	s_waitcnt vmcnt(9) lgkmcnt(0)
	v_mul_f64 v[58:59], v[2:3], v[12:13]
	v_mul_f64 v[12:13], v[4:5], v[12:13]
	v_add_f64 v[52:53], v[52:53], 0
	v_fma_f64 v[50:51], v[50:51], v[6:7], v[54:55]
	v_fma_f64 v[48:49], v[48:49], v[6:7], -v[8:9]
	v_add_f64 v[54:55], v[56:57], 0
	scratch_load_b128 v[6:9], off, off offset:736
	v_fma_f64 v[58:59], v[4:5], v[10:11], v[58:59]
	v_fma_f64 v[60:61], v[2:3], v[10:11], -v[12:13]
	scratch_load_b128 v[10:13], off, off offset:752
	ds_load_b128 v[2:5], v1 offset:1584
	s_waitcnt vmcnt(10)
	v_mul_f64 v[56:57], v[180:181], v[16:17]
	v_mul_f64 v[16:17], v[182:183], v[16:17]
	v_add_f64 v[52:53], v[52:53], v[48:49]
	v_add_f64 v[54:55], v[54:55], v[50:51]
	ds_load_b128 v[48:51], v1 offset:1600
	s_waitcnt vmcnt(9) lgkmcnt(1)
	v_mul_f64 v[62:63], v[2:3], v[20:21]
	v_mul_f64 v[20:21], v[4:5], v[20:21]
	v_fma_f64 v[56:57], v[182:183], v[14:15], v[56:57]
	v_fma_f64 v[64:65], v[180:181], v[14:15], -v[16:17]
	scratch_load_b128 v[14:17], off, off offset:768
	ds_load_b128 v[180:183], v1 offset:1632
	v_add_f64 v[52:53], v[52:53], v[60:61]
	v_add_f64 v[54:55], v[54:55], v[58:59]
	v_fma_f64 v[60:61], v[4:5], v[18:19], v[62:63]
	v_fma_f64 v[62:63], v[2:3], v[18:19], -v[20:21]
	ds_load_b128 v[2:5], v1 offset:1616
	s_waitcnt vmcnt(9) lgkmcnt(2)
	v_mul_f64 v[58:59], v[48:49], v[24:25]
	v_mul_f64 v[24:25], v[50:51], v[24:25]
	scratch_load_b128 v[18:21], off, off offset:784
	v_add_f64 v[52:53], v[52:53], v[64:65]
	v_add_f64 v[54:55], v[54:55], v[56:57]
	s_waitcnt vmcnt(9) lgkmcnt(0)
	v_mul_f64 v[56:57], v[2:3], v[28:29]
	v_mul_f64 v[28:29], v[4:5], v[28:29]
	v_fma_f64 v[50:51], v[50:51], v[22:23], v[58:59]
	v_fma_f64 v[48:49], v[48:49], v[22:23], -v[24:25]
	scratch_load_b128 v[22:25], off, off offset:800
	v_add_f64 v[52:53], v[52:53], v[62:63]
	v_add_f64 v[54:55], v[54:55], v[60:61]
	v_fma_f64 v[56:57], v[4:5], v[26:27], v[56:57]
	v_fma_f64 v[60:61], v[2:3], v[26:27], -v[28:29]
	scratch_load_b128 v[26:29], off, off offset:816
	ds_load_b128 v[2:5], v1 offset:1648
	s_waitcnt vmcnt(10)
	v_mul_f64 v[58:59], v[180:181], v[32:33]
	v_mul_f64 v[32:33], v[182:183], v[32:33]
	s_waitcnt vmcnt(9) lgkmcnt(0)
	v_mul_f64 v[62:63], v[2:3], v[40:41]
	v_mul_f64 v[40:41], v[4:5], v[40:41]
	v_add_f64 v[52:53], v[52:53], v[48:49]
	v_add_f64 v[54:55], v[54:55], v[50:51]
	ds_load_b128 v[48:51], v1 offset:1664
	v_fma_f64 v[58:59], v[182:183], v[30:31], v[58:59]
	v_fma_f64 v[64:65], v[180:181], v[30:31], -v[32:33]
	scratch_load_b128 v[30:33], off, off offset:832
	ds_load_b128 v[182:185], v1 offset:1728
	v_fma_f64 v[62:63], v[4:5], v[38:39], v[62:63]
	v_fma_f64 v[66:67], v[2:3], v[38:39], -v[40:41]
	ds_load_b128 v[2:5], v1 offset:1680
	scratch_load_b128 v[38:41], off, off offset:848
	v_add_f64 v[52:53], v[52:53], v[60:61]
	v_add_f64 v[54:55], v[54:55], v[56:57]
	s_waitcnt vmcnt(9) lgkmcnt(2)
	v_mul_f64 v[56:57], v[48:49], v[178:179]
	v_mul_f64 v[60:61], v[50:51], v[178:179]
	ds_load_b128 v[178:181], v1 offset:1696
	v_add_f64 v[52:53], v[52:53], v[64:65]
	v_add_f64 v[54:55], v[54:55], v[58:59]
	v_fma_f64 v[56:57], v[50:51], v[176:177], v[56:57]
	v_fma_f64 v[60:61], v[48:49], v[176:177], -v[60:61]
	scratch_load_b128 v[48:51], off, off offset:864
	s_waitcnt vmcnt(9) lgkmcnt(1)
	v_mul_f64 v[58:59], v[2:3], v[36:37]
	v_mul_f64 v[36:37], v[4:5], v[36:37]
	v_add_f64 v[52:53], v[52:53], v[66:67]
	v_add_f64 v[54:55], v[54:55], v[62:63]
	s_delay_alu instid0(VALU_DEP_4) | instskip(NEXT) | instid1(VALU_DEP_4)
	v_fma_f64 v[58:59], v[4:5], v[34:35], v[58:59]
	v_fma_f64 v[64:65], v[2:3], v[34:35], -v[36:37]
	scratch_load_b128 v[34:37], off, off offset:880
	ds_load_b128 v[2:5], v1 offset:1712
	s_waitcnt vmcnt(9) lgkmcnt(1)
	v_mul_f64 v[62:63], v[178:179], v[8:9]
	v_mul_f64 v[8:9], v[180:181], v[8:9]
	v_add_f64 v[52:53], v[52:53], v[60:61]
	v_add_f64 v[54:55], v[54:55], v[56:57]
	s_waitcnt vmcnt(8) lgkmcnt(0)
	v_mul_f64 v[56:57], v[2:3], v[12:13]
	v_mul_f64 v[12:13], v[4:5], v[12:13]
	v_fma_f64 v[60:61], v[180:181], v[6:7], v[62:63]
	v_fma_f64 v[62:63], v[178:179], v[6:7], -v[8:9]
	scratch_load_b128 v[6:9], off, off offset:896
	ds_load_b128 v[176:179], v1 offset:1760
	v_add_f64 v[52:53], v[52:53], v[64:65]
	v_add_f64 v[54:55], v[54:55], v[58:59]
	v_fma_f64 v[56:57], v[4:5], v[10:11], v[56:57]
	v_fma_f64 v[64:65], v[2:3], v[10:11], -v[12:13]
	ds_load_b128 v[2:5], v1 offset:1744
	s_waitcnt vmcnt(8)
	v_mul_f64 v[58:59], v[182:183], v[16:17]
	v_mul_f64 v[16:17], v[184:185], v[16:17]
	scratch_load_b128 v[10:13], off, off offset:912
	v_add_f64 v[52:53], v[52:53], v[62:63]
	v_add_f64 v[54:55], v[54:55], v[60:61]
	s_waitcnt vmcnt(8) lgkmcnt(0)
	v_mul_f64 v[60:61], v[2:3], v[20:21]
	v_mul_f64 v[20:21], v[4:5], v[20:21]
	v_fma_f64 v[58:59], v[184:185], v[14:15], v[58:59]
	v_fma_f64 v[62:63], v[182:183], v[14:15], -v[16:17]
	scratch_load_b128 v[14:17], off, off offset:928
	ds_load_b128 v[180:183], v1 offset:1792
	v_add_f64 v[52:53], v[52:53], v[64:65]
	v_add_f64 v[54:55], v[54:55], v[56:57]
	v_fma_f64 v[60:61], v[4:5], v[18:19], v[60:61]
	v_fma_f64 v[64:65], v[2:3], v[18:19], -v[20:21]
	scratch_load_b128 v[18:21], off, off offset:944
	ds_load_b128 v[2:5], v1 offset:1776
	s_waitcnt vmcnt(9)
	v_mul_f64 v[56:57], v[176:177], v[24:25]
	v_mul_f64 v[24:25], v[178:179], v[24:25]
	v_add_f64 v[52:53], v[52:53], v[62:63]
	v_add_f64 v[54:55], v[54:55], v[58:59]
	s_waitcnt vmcnt(8) lgkmcnt(0)
	v_mul_f64 v[58:59], v[2:3], v[28:29]
	v_mul_f64 v[28:29], v[4:5], v[28:29]
	v_fma_f64 v[56:57], v[178:179], v[22:23], v[56:57]
	v_fma_f64 v[22:23], v[176:177], v[22:23], -v[24:25]
	v_add_f64 v[24:25], v[52:53], v[64:65]
	v_add_f64 v[52:53], v[54:55], v[60:61]
	s_waitcnt vmcnt(7)
	v_mul_f64 v[54:55], v[180:181], v[32:33]
	v_mul_f64 v[32:33], v[182:183], v[32:33]
	v_fma_f64 v[58:59], v[4:5], v[26:27], v[58:59]
	v_fma_f64 v[26:27], v[2:3], v[26:27], -v[28:29]
	v_add_f64 v[28:29], v[24:25], v[22:23]
	v_add_f64 v[52:53], v[52:53], v[56:57]
	ds_load_b128 v[2:5], v1 offset:1808
	ds_load_b128 v[22:25], v1 offset:1824
	v_fma_f64 v[54:55], v[182:183], v[30:31], v[54:55]
	v_fma_f64 v[30:31], v[180:181], v[30:31], -v[32:33]
	s_waitcnt vmcnt(6) lgkmcnt(1)
	v_mul_f64 v[56:57], v[2:3], v[40:41]
	v_mul_f64 v[40:41], v[4:5], v[40:41]
	s_waitcnt vmcnt(5) lgkmcnt(0)
	v_mul_f64 v[32:33], v[22:23], v[50:51]
	v_mul_f64 v[50:51], v[24:25], v[50:51]
	v_add_f64 v[26:27], v[28:29], v[26:27]
	v_add_f64 v[28:29], v[52:53], v[58:59]
	v_fma_f64 v[52:53], v[4:5], v[38:39], v[56:57]
	v_fma_f64 v[38:39], v[2:3], v[38:39], -v[40:41]
	v_fma_f64 v[24:25], v[24:25], v[48:49], v[32:33]
	v_fma_f64 v[22:23], v[22:23], v[48:49], -v[50:51]
	v_add_f64 v[30:31], v[26:27], v[30:31]
	v_add_f64 v[40:41], v[28:29], v[54:55]
	ds_load_b128 v[2:5], v1 offset:1840
	ds_load_b128 v[26:29], v1 offset:1856
	s_waitcnt vmcnt(4) lgkmcnt(1)
	v_mul_f64 v[54:55], v[2:3], v[36:37]
	v_mul_f64 v[36:37], v[4:5], v[36:37]
	v_add_f64 v[30:31], v[30:31], v[38:39]
	v_add_f64 v[32:33], v[40:41], v[52:53]
	s_waitcnt vmcnt(3) lgkmcnt(0)
	v_mul_f64 v[38:39], v[26:27], v[8:9]
	v_mul_f64 v[8:9], v[28:29], v[8:9]
	v_fma_f64 v[40:41], v[4:5], v[34:35], v[54:55]
	v_fma_f64 v[34:35], v[2:3], v[34:35], -v[36:37]
	v_add_f64 v[30:31], v[30:31], v[22:23]
	v_add_f64 v[32:33], v[32:33], v[24:25]
	ds_load_b128 v[2:5], v1 offset:1872
	ds_load_b128 v[22:25], v1 offset:1888
	v_fma_f64 v[28:29], v[28:29], v[6:7], v[38:39]
	v_fma_f64 v[6:7], v[26:27], v[6:7], -v[8:9]
	s_waitcnt vmcnt(2) lgkmcnt(1)
	v_mul_f64 v[36:37], v[2:3], v[12:13]
	v_mul_f64 v[12:13], v[4:5], v[12:13]
	v_add_f64 v[8:9], v[30:31], v[34:35]
	v_add_f64 v[26:27], v[32:33], v[40:41]
	s_waitcnt vmcnt(1) lgkmcnt(0)
	v_mul_f64 v[30:31], v[22:23], v[16:17]
	v_mul_f64 v[16:17], v[24:25], v[16:17]
	v_fma_f64 v[32:33], v[4:5], v[10:11], v[36:37]
	v_fma_f64 v[10:11], v[2:3], v[10:11], -v[12:13]
	ds_load_b128 v[2:5], v1 offset:1904
	v_add_f64 v[6:7], v[8:9], v[6:7]
	v_add_f64 v[8:9], v[26:27], v[28:29]
	v_fma_f64 v[24:25], v[24:25], v[14:15], v[30:31]
	v_fma_f64 v[14:15], v[22:23], v[14:15], -v[16:17]
	s_waitcnt vmcnt(0) lgkmcnt(0)
	v_mul_f64 v[12:13], v[2:3], v[20:21]
	v_mul_f64 v[20:21], v[4:5], v[20:21]
	v_add_f64 v[6:7], v[6:7], v[10:11]
	v_add_f64 v[8:9], v[8:9], v[32:33]
	s_delay_alu instid0(VALU_DEP_4) | instskip(NEXT) | instid1(VALU_DEP_4)
	v_fma_f64 v[4:5], v[4:5], v[18:19], v[12:13]
	v_fma_f64 v[2:3], v[2:3], v[18:19], -v[20:21]
	s_delay_alu instid0(VALU_DEP_4) | instskip(NEXT) | instid1(VALU_DEP_4)
	v_add_f64 v[6:7], v[6:7], v[14:15]
	v_add_f64 v[8:9], v[8:9], v[24:25]
	s_delay_alu instid0(VALU_DEP_2) | instskip(NEXT) | instid1(VALU_DEP_2)
	v_add_f64 v[2:3], v[6:7], v[2:3]
	v_add_f64 v[4:5], v[8:9], v[4:5]
	s_delay_alu instid0(VALU_DEP_2) | instskip(NEXT) | instid1(VALU_DEP_2)
	v_add_f64 v[2:3], v[42:43], -v[2:3]
	v_add_f64 v[4:5], v[44:45], -v[4:5]
	scratch_store_b128 off, v[2:5], off offset:544
	v_cmpx_lt_u32_e32 33, v166
	s_cbranch_execz .LBB123_307
; %bb.306:
	scratch_load_b128 v[5:8], v191, off
	v_mov_b32_e32 v2, v1
	v_mov_b32_e32 v3, v1
	v_mov_b32_e32 v4, v1
	scratch_store_b128 off, v[1:4], off offset:528
	s_waitcnt vmcnt(0)
	ds_store_b128 v226, v[5:8]
.LBB123_307:
	s_or_b32 exec_lo, exec_lo, s2
	s_waitcnt lgkmcnt(0)
	s_waitcnt_vscnt null, 0x0
	s_barrier
	buffer_gl0_inv
	s_clause 0x8
	scratch_load_b128 v[2:5], off, off offset:544
	scratch_load_b128 v[6:9], off, off offset:560
	;; [unrolled: 1-line block ×9, first 2 shown]
	ds_load_b128 v[38:41], v1 offset:1504
	ds_load_b128 v[42:45], v1 offset:1520
	s_clause 0x1
	scratch_load_b128 v[48:51], off, off offset:528
	scratch_load_b128 v[176:179], off, off offset:688
	s_mov_b32 s2, exec_lo
	ds_load_b128 v[180:183], v1 offset:1552
	ds_load_b128 v[201:204], v1 offset:1712
	s_waitcnt vmcnt(10) lgkmcnt(3)
	v_mul_f64 v[52:53], v[40:41], v[4:5]
	v_mul_f64 v[4:5], v[38:39], v[4:5]
	s_waitcnt vmcnt(9) lgkmcnt(2)
	v_mul_f64 v[54:55], v[42:43], v[8:9]
	v_mul_f64 v[8:9], v[44:45], v[8:9]
	s_delay_alu instid0(VALU_DEP_4) | instskip(NEXT) | instid1(VALU_DEP_4)
	v_fma_f64 v[52:53], v[38:39], v[2:3], -v[52:53]
	v_fma_f64 v[56:57], v[40:41], v[2:3], v[4:5]
	ds_load_b128 v[2:5], v1 offset:1536
	scratch_load_b128 v[38:41], off, off offset:704
	v_fma_f64 v[44:45], v[44:45], v[6:7], v[54:55]
	v_fma_f64 v[42:43], v[42:43], v[6:7], -v[8:9]
	scratch_load_b128 v[6:9], off, off offset:720
	s_waitcnt vmcnt(10) lgkmcnt(0)
	v_mul_f64 v[58:59], v[2:3], v[12:13]
	v_mul_f64 v[12:13], v[4:5], v[12:13]
	v_add_f64 v[52:53], v[52:53], 0
	v_add_f64 v[54:55], v[56:57], 0
	s_waitcnt vmcnt(9)
	v_mul_f64 v[56:57], v[180:181], v[16:17]
	v_mul_f64 v[16:17], v[182:183], v[16:17]
	v_fma_f64 v[58:59], v[4:5], v[10:11], v[58:59]
	v_fma_f64 v[60:61], v[2:3], v[10:11], -v[12:13]
	ds_load_b128 v[2:5], v1 offset:1568
	scratch_load_b128 v[10:13], off, off offset:736
	v_add_f64 v[52:53], v[52:53], v[42:43]
	v_add_f64 v[54:55], v[54:55], v[44:45]
	ds_load_b128 v[42:45], v1 offset:1584
	v_fma_f64 v[56:57], v[182:183], v[14:15], v[56:57]
	v_fma_f64 v[64:65], v[180:181], v[14:15], -v[16:17]
	scratch_load_b128 v[14:17], off, off offset:752
	s_waitcnt vmcnt(10) lgkmcnt(1)
	v_mul_f64 v[62:63], v[2:3], v[20:21]
	v_mul_f64 v[20:21], v[4:5], v[20:21]
	ds_load_b128 v[180:183], v1 offset:1616
	v_add_f64 v[52:53], v[52:53], v[60:61]
	v_add_f64 v[54:55], v[54:55], v[58:59]
	s_waitcnt vmcnt(9) lgkmcnt(1)
	v_mul_f64 v[58:59], v[42:43], v[24:25]
	v_mul_f64 v[24:25], v[44:45], v[24:25]
	v_fma_f64 v[60:61], v[4:5], v[18:19], v[62:63]
	v_fma_f64 v[62:63], v[2:3], v[18:19], -v[20:21]
	ds_load_b128 v[2:5], v1 offset:1600
	scratch_load_b128 v[18:21], off, off offset:768
	v_add_f64 v[52:53], v[52:53], v[64:65]
	v_add_f64 v[54:55], v[54:55], v[56:57]
	s_waitcnt vmcnt(9) lgkmcnt(0)
	v_mul_f64 v[56:57], v[2:3], v[28:29]
	v_mul_f64 v[28:29], v[4:5], v[28:29]
	v_fma_f64 v[44:45], v[44:45], v[22:23], v[58:59]
	v_fma_f64 v[42:43], v[42:43], v[22:23], -v[24:25]
	scratch_load_b128 v[22:25], off, off offset:784
	s_waitcnt vmcnt(9)
	v_mul_f64 v[58:59], v[180:181], v[32:33]
	v_mul_f64 v[32:33], v[182:183], v[32:33]
	v_add_f64 v[52:53], v[52:53], v[62:63]
	v_add_f64 v[54:55], v[54:55], v[60:61]
	v_fma_f64 v[56:57], v[4:5], v[26:27], v[56:57]
	v_fma_f64 v[60:61], v[2:3], v[26:27], -v[28:29]
	ds_load_b128 v[2:5], v1 offset:1632
	scratch_load_b128 v[26:29], off, off offset:800
	v_fma_f64 v[58:59], v[182:183], v[30:31], v[58:59]
	v_fma_f64 v[64:65], v[180:181], v[30:31], -v[32:33]
	s_clause 0x1
	scratch_load_b128 v[30:33], off, off offset:816
	scratch_load_b128 v[182:185], off, off offset:864
	v_add_f64 v[52:53], v[52:53], v[42:43]
	v_add_f64 v[54:55], v[54:55], v[44:45]
	ds_load_b128 v[42:45], v1 offset:1648
	s_waitcnt vmcnt(11) lgkmcnt(1)
	v_mul_f64 v[62:63], v[2:3], v[36:37]
	v_mul_f64 v[36:37], v[4:5], v[36:37]
	v_add_f64 v[52:53], v[52:53], v[60:61]
	v_add_f64 v[54:55], v[54:55], v[56:57]
	s_waitcnt vmcnt(9) lgkmcnt(0)
	v_mul_f64 v[56:57], v[42:43], v[178:179]
	v_mul_f64 v[60:61], v[44:45], v[178:179]
	v_fma_f64 v[62:63], v[4:5], v[34:35], v[62:63]
	v_fma_f64 v[66:67], v[2:3], v[34:35], -v[36:37]
	ds_load_b128 v[2:5], v1 offset:1664
	ds_load_b128 v[178:181], v1 offset:1680
	scratch_load_b128 v[34:37], off, off offset:832
	v_add_f64 v[52:53], v[52:53], v[64:65]
	v_add_f64 v[54:55], v[54:55], v[58:59]
	v_fma_f64 v[44:45], v[44:45], v[176:177], v[56:57]
	v_fma_f64 v[56:57], v[42:43], v[176:177], -v[60:61]
	s_waitcnt vmcnt(9) lgkmcnt(1)
	v_mul_f64 v[58:59], v[2:3], v[40:41]
	v_mul_f64 v[64:65], v[4:5], v[40:41]
	scratch_load_b128 v[40:43], off, off offset:848
	s_waitcnt vmcnt(9) lgkmcnt(0)
	v_mul_f64 v[60:61], v[178:179], v[8:9]
	v_mul_f64 v[8:9], v[180:181], v[8:9]
	v_add_f64 v[52:53], v[52:53], v[66:67]
	v_add_f64 v[54:55], v[54:55], v[62:63]
	v_fma_f64 v[58:59], v[4:5], v[38:39], v[58:59]
	v_fma_f64 v[38:39], v[2:3], v[38:39], -v[64:65]
	ds_load_b128 v[2:5], v1 offset:1696
	v_add_f64 v[52:53], v[52:53], v[56:57]
	v_add_f64 v[44:45], v[54:55], v[44:45]
	v_fma_f64 v[56:57], v[180:181], v[6:7], v[60:61]
	s_waitcnt vmcnt(8) lgkmcnt(0)
	v_mul_f64 v[54:55], v[2:3], v[12:13]
	v_mul_f64 v[12:13], v[4:5], v[12:13]
	v_fma_f64 v[60:61], v[178:179], v[6:7], -v[8:9]
	scratch_load_b128 v[6:9], off, off offset:880
	ds_load_b128 v[176:179], v1 offset:1744
	v_add_f64 v[38:39], v[52:53], v[38:39]
	v_add_f64 v[44:45], v[44:45], v[58:59]
	s_waitcnt vmcnt(8)
	v_mul_f64 v[52:53], v[201:202], v[16:17]
	v_mul_f64 v[16:17], v[203:204], v[16:17]
	v_fma_f64 v[54:55], v[4:5], v[10:11], v[54:55]
	v_fma_f64 v[58:59], v[2:3], v[10:11], -v[12:13]
	ds_load_b128 v[2:5], v1 offset:1728
	scratch_load_b128 v[10:13], off, off offset:896
	v_add_f64 v[38:39], v[38:39], v[60:61]
	v_add_f64 v[44:45], v[44:45], v[56:57]
	s_waitcnt vmcnt(8) lgkmcnt(0)
	v_mul_f64 v[56:57], v[2:3], v[20:21]
	v_mul_f64 v[20:21], v[4:5], v[20:21]
	v_fma_f64 v[52:53], v[203:204], v[14:15], v[52:53]
	v_fma_f64 v[60:61], v[201:202], v[14:15], -v[16:17]
	scratch_load_b128 v[14:17], off, off offset:912
	ds_load_b128 v[201:204], v1 offset:1776
	v_add_f64 v[38:39], v[38:39], v[58:59]
	v_add_f64 v[44:45], v[44:45], v[54:55]
	s_waitcnt vmcnt(8)
	v_mul_f64 v[54:55], v[176:177], v[24:25]
	v_mul_f64 v[24:25], v[178:179], v[24:25]
	v_fma_f64 v[56:57], v[4:5], v[18:19], v[56:57]
	v_fma_f64 v[58:59], v[2:3], v[18:19], -v[20:21]
	ds_load_b128 v[2:5], v1 offset:1760
	scratch_load_b128 v[18:21], off, off offset:928
	v_add_f64 v[38:39], v[38:39], v[60:61]
	v_add_f64 v[44:45], v[44:45], v[52:53]
	s_waitcnt vmcnt(8) lgkmcnt(0)
	v_mul_f64 v[52:53], v[2:3], v[28:29]
	v_mul_f64 v[28:29], v[4:5], v[28:29]
	v_fma_f64 v[54:55], v[178:179], v[22:23], v[54:55]
	v_fma_f64 v[60:61], v[176:177], v[22:23], -v[24:25]
	scratch_load_b128 v[22:25], off, off offset:944
	v_add_f64 v[38:39], v[38:39], v[58:59]
	v_add_f64 v[44:45], v[44:45], v[56:57]
	s_waitcnt vmcnt(8)
	v_mul_f64 v[56:57], v[201:202], v[32:33]
	v_mul_f64 v[32:33], v[203:204], v[32:33]
	v_fma_f64 v[52:53], v[4:5], v[26:27], v[52:53]
	v_fma_f64 v[58:59], v[2:3], v[26:27], -v[28:29]
	ds_load_b128 v[2:5], v1 offset:1792
	ds_load_b128 v[26:29], v1 offset:1808
	v_add_f64 v[38:39], v[38:39], v[60:61]
	v_add_f64 v[44:45], v[44:45], v[54:55]
	s_waitcnt vmcnt(6) lgkmcnt(1)
	v_mul_f64 v[54:55], v[2:3], v[36:37]
	v_mul_f64 v[36:37], v[4:5], v[36:37]
	v_fma_f64 v[56:57], v[203:204], v[30:31], v[56:57]
	v_fma_f64 v[30:31], v[201:202], v[30:31], -v[32:33]
	v_add_f64 v[32:33], v[38:39], v[58:59]
	v_add_f64 v[38:39], v[44:45], v[52:53]
	s_waitcnt vmcnt(5) lgkmcnt(0)
	v_mul_f64 v[44:45], v[26:27], v[42:43]
	v_mul_f64 v[42:43], v[28:29], v[42:43]
	v_fma_f64 v[52:53], v[4:5], v[34:35], v[54:55]
	v_fma_f64 v[34:35], v[2:3], v[34:35], -v[36:37]
	v_add_f64 v[36:37], v[32:33], v[30:31]
	v_add_f64 v[38:39], v[38:39], v[56:57]
	ds_load_b128 v[2:5], v1 offset:1824
	ds_load_b128 v[30:33], v1 offset:1840
	v_fma_f64 v[28:29], v[28:29], v[40:41], v[44:45]
	v_fma_f64 v[26:27], v[26:27], v[40:41], -v[42:43]
	s_waitcnt lgkmcnt(1)
	v_mul_f64 v[54:55], v[2:3], v[184:185]
	v_mul_f64 v[56:57], v[4:5], v[184:185]
	v_add_f64 v[34:35], v[36:37], v[34:35]
	v_add_f64 v[36:37], v[38:39], v[52:53]
	s_waitcnt vmcnt(4) lgkmcnt(0)
	v_mul_f64 v[38:39], v[30:31], v[8:9]
	v_mul_f64 v[8:9], v[32:33], v[8:9]
	v_fma_f64 v[40:41], v[4:5], v[182:183], v[54:55]
	v_fma_f64 v[42:43], v[2:3], v[182:183], -v[56:57]
	v_add_f64 v[34:35], v[34:35], v[26:27]
	v_add_f64 v[36:37], v[36:37], v[28:29]
	ds_load_b128 v[2:5], v1 offset:1856
	ds_load_b128 v[26:29], v1 offset:1872
	v_fma_f64 v[32:33], v[32:33], v[6:7], v[38:39]
	v_fma_f64 v[6:7], v[30:31], v[6:7], -v[8:9]
	s_waitcnt vmcnt(3) lgkmcnt(1)
	v_mul_f64 v[44:45], v[2:3], v[12:13]
	v_mul_f64 v[12:13], v[4:5], v[12:13]
	v_add_f64 v[8:9], v[34:35], v[42:43]
	v_add_f64 v[30:31], v[36:37], v[40:41]
	s_waitcnt vmcnt(2) lgkmcnt(0)
	v_mul_f64 v[34:35], v[26:27], v[16:17]
	v_mul_f64 v[16:17], v[28:29], v[16:17]
	v_fma_f64 v[36:37], v[4:5], v[10:11], v[44:45]
	v_fma_f64 v[10:11], v[2:3], v[10:11], -v[12:13]
	v_add_f64 v[12:13], v[8:9], v[6:7]
	v_add_f64 v[30:31], v[30:31], v[32:33]
	ds_load_b128 v[2:5], v1 offset:1888
	ds_load_b128 v[6:9], v1 offset:1904
	v_fma_f64 v[28:29], v[28:29], v[14:15], v[34:35]
	v_fma_f64 v[14:15], v[26:27], v[14:15], -v[16:17]
	s_waitcnt vmcnt(1) lgkmcnt(1)
	v_mul_f64 v[32:33], v[2:3], v[20:21]
	v_mul_f64 v[20:21], v[4:5], v[20:21]
	s_waitcnt vmcnt(0) lgkmcnt(0)
	v_mul_f64 v[16:17], v[6:7], v[24:25]
	v_mul_f64 v[24:25], v[8:9], v[24:25]
	v_add_f64 v[10:11], v[12:13], v[10:11]
	v_add_f64 v[12:13], v[30:31], v[36:37]
	v_fma_f64 v[4:5], v[4:5], v[18:19], v[32:33]
	v_fma_f64 v[1:2], v[2:3], v[18:19], -v[20:21]
	v_fma_f64 v[8:9], v[8:9], v[22:23], v[16:17]
	v_fma_f64 v[6:7], v[6:7], v[22:23], -v[24:25]
	v_add_f64 v[10:11], v[10:11], v[14:15]
	v_add_f64 v[12:13], v[12:13], v[28:29]
	s_delay_alu instid0(VALU_DEP_2) | instskip(NEXT) | instid1(VALU_DEP_2)
	v_add_f64 v[1:2], v[10:11], v[1:2]
	v_add_f64 v[3:4], v[12:13], v[4:5]
	s_delay_alu instid0(VALU_DEP_2) | instskip(NEXT) | instid1(VALU_DEP_2)
	;; [unrolled: 3-line block ×3, first 2 shown]
	v_add_f64 v[1:2], v[48:49], -v[1:2]
	v_add_f64 v[3:4], v[50:51], -v[3:4]
	scratch_store_b128 off, v[1:4], off offset:528
	v_cmpx_lt_u32_e32 32, v166
	s_cbranch_execz .LBB123_309
; %bb.308:
	scratch_load_b128 v[1:4], v194, off
	v_mov_b32_e32 v5, 0
	s_delay_alu instid0(VALU_DEP_1)
	v_mov_b32_e32 v6, v5
	v_mov_b32_e32 v7, v5
	;; [unrolled: 1-line block ×3, first 2 shown]
	scratch_store_b128 off, v[5:8], off offset:512
	s_waitcnt vmcnt(0)
	ds_store_b128 v226, v[1:4]
.LBB123_309:
	s_or_b32 exec_lo, exec_lo, s2
	s_waitcnt lgkmcnt(0)
	s_waitcnt_vscnt null, 0x0
	s_barrier
	buffer_gl0_inv
	s_clause 0x7
	scratch_load_b128 v[2:5], off, off offset:528
	scratch_load_b128 v[6:9], off, off offset:544
	;; [unrolled: 1-line block ×8, first 2 shown]
	v_mov_b32_e32 v1, 0
	s_mov_b32 s2, exec_lo
	ds_load_b128 v[38:41], v1 offset:1488
	s_clause 0x1
	scratch_load_b128 v[34:37], off, off offset:656
	scratch_load_b128 v[42:45], off, off offset:512
	ds_load_b128 v[48:51], v1 offset:1504
	scratch_load_b128 v[176:179], off, off offset:672
	ds_load_b128 v[180:183], v1 offset:1536
	s_waitcnt vmcnt(10) lgkmcnt(2)
	v_mul_f64 v[52:53], v[40:41], v[4:5]
	v_mul_f64 v[4:5], v[38:39], v[4:5]
	s_delay_alu instid0(VALU_DEP_2) | instskip(NEXT) | instid1(VALU_DEP_2)
	v_fma_f64 v[52:53], v[38:39], v[2:3], -v[52:53]
	v_fma_f64 v[56:57], v[40:41], v[2:3], v[4:5]
	ds_load_b128 v[2:5], v1 offset:1520
	s_waitcnt vmcnt(9) lgkmcnt(2)
	v_mul_f64 v[54:55], v[48:49], v[8:9]
	v_mul_f64 v[8:9], v[50:51], v[8:9]
	scratch_load_b128 v[38:41], off, off offset:688
	s_waitcnt vmcnt(9) lgkmcnt(0)
	v_mul_f64 v[58:59], v[2:3], v[12:13]
	v_mul_f64 v[12:13], v[4:5], v[12:13]
	v_add_f64 v[52:53], v[52:53], 0
	v_fma_f64 v[50:51], v[50:51], v[6:7], v[54:55]
	v_fma_f64 v[48:49], v[48:49], v[6:7], -v[8:9]
	v_add_f64 v[54:55], v[56:57], 0
	scratch_load_b128 v[6:9], off, off offset:704
	v_fma_f64 v[58:59], v[4:5], v[10:11], v[58:59]
	v_fma_f64 v[60:61], v[2:3], v[10:11], -v[12:13]
	scratch_load_b128 v[10:13], off, off offset:720
	ds_load_b128 v[2:5], v1 offset:1552
	s_waitcnt vmcnt(10)
	v_mul_f64 v[56:57], v[180:181], v[16:17]
	v_mul_f64 v[16:17], v[182:183], v[16:17]
	v_add_f64 v[52:53], v[52:53], v[48:49]
	v_add_f64 v[54:55], v[54:55], v[50:51]
	ds_load_b128 v[48:51], v1 offset:1568
	s_waitcnt vmcnt(9) lgkmcnt(1)
	v_mul_f64 v[62:63], v[2:3], v[20:21]
	v_mul_f64 v[20:21], v[4:5], v[20:21]
	v_fma_f64 v[56:57], v[182:183], v[14:15], v[56:57]
	v_fma_f64 v[64:65], v[180:181], v[14:15], -v[16:17]
	scratch_load_b128 v[14:17], off, off offset:736
	ds_load_b128 v[180:183], v1 offset:1600
	v_add_f64 v[52:53], v[52:53], v[60:61]
	v_add_f64 v[54:55], v[54:55], v[58:59]
	v_fma_f64 v[60:61], v[4:5], v[18:19], v[62:63]
	v_fma_f64 v[62:63], v[2:3], v[18:19], -v[20:21]
	ds_load_b128 v[2:5], v1 offset:1584
	s_waitcnt vmcnt(9) lgkmcnt(2)
	v_mul_f64 v[58:59], v[48:49], v[24:25]
	v_mul_f64 v[24:25], v[50:51], v[24:25]
	scratch_load_b128 v[18:21], off, off offset:752
	v_add_f64 v[52:53], v[52:53], v[64:65]
	v_add_f64 v[54:55], v[54:55], v[56:57]
	s_waitcnt vmcnt(9) lgkmcnt(0)
	v_mul_f64 v[56:57], v[2:3], v[28:29]
	v_mul_f64 v[28:29], v[4:5], v[28:29]
	v_fma_f64 v[50:51], v[50:51], v[22:23], v[58:59]
	v_fma_f64 v[48:49], v[48:49], v[22:23], -v[24:25]
	scratch_load_b128 v[22:25], off, off offset:768
	v_add_f64 v[52:53], v[52:53], v[62:63]
	v_add_f64 v[54:55], v[54:55], v[60:61]
	v_fma_f64 v[56:57], v[4:5], v[26:27], v[56:57]
	v_fma_f64 v[60:61], v[2:3], v[26:27], -v[28:29]
	scratch_load_b128 v[26:29], off, off offset:784
	ds_load_b128 v[2:5], v1 offset:1616
	s_waitcnt vmcnt(10)
	v_mul_f64 v[58:59], v[180:181], v[32:33]
	v_mul_f64 v[32:33], v[182:183], v[32:33]
	s_waitcnt vmcnt(9) lgkmcnt(0)
	v_mul_f64 v[62:63], v[2:3], v[36:37]
	v_mul_f64 v[36:37], v[4:5], v[36:37]
	v_add_f64 v[52:53], v[52:53], v[48:49]
	v_add_f64 v[54:55], v[54:55], v[50:51]
	ds_load_b128 v[48:51], v1 offset:1632
	v_fma_f64 v[58:59], v[182:183], v[30:31], v[58:59]
	v_fma_f64 v[64:65], v[180:181], v[30:31], -v[32:33]
	scratch_load_b128 v[30:33], off, off offset:800
	ds_load_b128 v[182:185], v1 offset:1696
	v_fma_f64 v[62:63], v[4:5], v[34:35], v[62:63]
	v_fma_f64 v[66:67], v[2:3], v[34:35], -v[36:37]
	ds_load_b128 v[2:5], v1 offset:1648
	scratch_load_b128 v[34:37], off, off offset:816
	v_add_f64 v[52:53], v[52:53], v[60:61]
	v_add_f64 v[54:55], v[54:55], v[56:57]
	s_waitcnt vmcnt(9) lgkmcnt(2)
	v_mul_f64 v[56:57], v[48:49], v[178:179]
	v_mul_f64 v[60:61], v[50:51], v[178:179]
	ds_load_b128 v[178:181], v1 offset:1664
	v_add_f64 v[52:53], v[52:53], v[64:65]
	v_add_f64 v[54:55], v[54:55], v[58:59]
	v_fma_f64 v[56:57], v[50:51], v[176:177], v[56:57]
	v_fma_f64 v[60:61], v[48:49], v[176:177], -v[60:61]
	scratch_load_b128 v[48:51], off, off offset:832
	s_waitcnt vmcnt(9) lgkmcnt(1)
	v_mul_f64 v[58:59], v[2:3], v[40:41]
	v_mul_f64 v[40:41], v[4:5], v[40:41]
	v_add_f64 v[52:53], v[52:53], v[66:67]
	v_add_f64 v[54:55], v[54:55], v[62:63]
	s_delay_alu instid0(VALU_DEP_4) | instskip(NEXT) | instid1(VALU_DEP_4)
	v_fma_f64 v[58:59], v[4:5], v[38:39], v[58:59]
	v_fma_f64 v[64:65], v[2:3], v[38:39], -v[40:41]
	scratch_load_b128 v[38:41], off, off offset:848
	ds_load_b128 v[2:5], v1 offset:1680
	s_waitcnt vmcnt(9) lgkmcnt(1)
	v_mul_f64 v[62:63], v[178:179], v[8:9]
	v_mul_f64 v[8:9], v[180:181], v[8:9]
	v_add_f64 v[52:53], v[52:53], v[60:61]
	v_add_f64 v[54:55], v[54:55], v[56:57]
	s_waitcnt vmcnt(8) lgkmcnt(0)
	v_mul_f64 v[56:57], v[2:3], v[12:13]
	v_mul_f64 v[12:13], v[4:5], v[12:13]
	v_fma_f64 v[60:61], v[180:181], v[6:7], v[62:63]
	v_fma_f64 v[62:63], v[178:179], v[6:7], -v[8:9]
	scratch_load_b128 v[6:9], off, off offset:864
	ds_load_b128 v[176:179], v1 offset:1728
	v_add_f64 v[52:53], v[52:53], v[64:65]
	v_add_f64 v[54:55], v[54:55], v[58:59]
	v_fma_f64 v[56:57], v[4:5], v[10:11], v[56:57]
	v_fma_f64 v[64:65], v[2:3], v[10:11], -v[12:13]
	ds_load_b128 v[2:5], v1 offset:1712
	s_waitcnt vmcnt(8)
	v_mul_f64 v[58:59], v[182:183], v[16:17]
	v_mul_f64 v[16:17], v[184:185], v[16:17]
	scratch_load_b128 v[10:13], off, off offset:880
	v_add_f64 v[52:53], v[52:53], v[62:63]
	v_add_f64 v[54:55], v[54:55], v[60:61]
	s_waitcnt vmcnt(8) lgkmcnt(0)
	v_mul_f64 v[60:61], v[2:3], v[20:21]
	v_mul_f64 v[20:21], v[4:5], v[20:21]
	v_fma_f64 v[58:59], v[184:185], v[14:15], v[58:59]
	v_fma_f64 v[62:63], v[182:183], v[14:15], -v[16:17]
	scratch_load_b128 v[14:17], off, off offset:896
	ds_load_b128 v[180:183], v1 offset:1760
	v_add_f64 v[52:53], v[52:53], v[64:65]
	v_add_f64 v[54:55], v[54:55], v[56:57]
	v_fma_f64 v[60:61], v[4:5], v[18:19], v[60:61]
	v_fma_f64 v[64:65], v[2:3], v[18:19], -v[20:21]
	ds_load_b128 v[2:5], v1 offset:1744
	s_waitcnt vmcnt(8)
	v_mul_f64 v[56:57], v[176:177], v[24:25]
	v_mul_f64 v[24:25], v[178:179], v[24:25]
	scratch_load_b128 v[18:21], off, off offset:912
	v_add_f64 v[52:53], v[52:53], v[62:63]
	v_add_f64 v[54:55], v[54:55], v[58:59]
	s_waitcnt vmcnt(8) lgkmcnt(0)
	v_mul_f64 v[58:59], v[2:3], v[28:29]
	v_mul_f64 v[28:29], v[4:5], v[28:29]
	v_fma_f64 v[56:57], v[178:179], v[22:23], v[56:57]
	v_fma_f64 v[62:63], v[176:177], v[22:23], -v[24:25]
	scratch_load_b128 v[22:25], off, off offset:928
	ds_load_b128 v[176:179], v1 offset:1792
	v_add_f64 v[52:53], v[52:53], v[64:65]
	v_add_f64 v[54:55], v[54:55], v[60:61]
	v_fma_f64 v[58:59], v[4:5], v[26:27], v[58:59]
	v_fma_f64 v[64:65], v[2:3], v[26:27], -v[28:29]
	scratch_load_b128 v[26:29], off, off offset:944
	ds_load_b128 v[2:5], v1 offset:1776
	s_waitcnt vmcnt(9)
	v_mul_f64 v[60:61], v[180:181], v[32:33]
	v_mul_f64 v[32:33], v[182:183], v[32:33]
	v_add_f64 v[52:53], v[52:53], v[62:63]
	v_add_f64 v[54:55], v[54:55], v[56:57]
	s_waitcnt vmcnt(8) lgkmcnt(0)
	v_mul_f64 v[56:57], v[2:3], v[36:37]
	v_mul_f64 v[36:37], v[4:5], v[36:37]
	v_fma_f64 v[60:61], v[182:183], v[30:31], v[60:61]
	v_fma_f64 v[30:31], v[180:181], v[30:31], -v[32:33]
	v_add_f64 v[32:33], v[52:53], v[64:65]
	v_add_f64 v[52:53], v[54:55], v[58:59]
	s_waitcnt vmcnt(7)
	v_mul_f64 v[54:55], v[176:177], v[50:51]
	v_mul_f64 v[50:51], v[178:179], v[50:51]
	v_fma_f64 v[56:57], v[4:5], v[34:35], v[56:57]
	v_fma_f64 v[34:35], v[2:3], v[34:35], -v[36:37]
	v_add_f64 v[36:37], v[32:33], v[30:31]
	v_add_f64 v[52:53], v[52:53], v[60:61]
	ds_load_b128 v[2:5], v1 offset:1808
	ds_load_b128 v[30:33], v1 offset:1824
	v_fma_f64 v[54:55], v[178:179], v[48:49], v[54:55]
	v_fma_f64 v[48:49], v[176:177], v[48:49], -v[50:51]
	s_waitcnt vmcnt(6) lgkmcnt(1)
	v_mul_f64 v[58:59], v[2:3], v[40:41]
	v_mul_f64 v[40:41], v[4:5], v[40:41]
	v_add_f64 v[34:35], v[36:37], v[34:35]
	v_add_f64 v[36:37], v[52:53], v[56:57]
	s_waitcnt vmcnt(5) lgkmcnt(0)
	v_mul_f64 v[50:51], v[30:31], v[8:9]
	v_mul_f64 v[8:9], v[32:33], v[8:9]
	v_fma_f64 v[52:53], v[4:5], v[38:39], v[58:59]
	v_fma_f64 v[38:39], v[2:3], v[38:39], -v[40:41]
	v_add_f64 v[40:41], v[34:35], v[48:49]
	v_add_f64 v[48:49], v[36:37], v[54:55]
	ds_load_b128 v[2:5], v1 offset:1840
	ds_load_b128 v[34:37], v1 offset:1856
	v_fma_f64 v[32:33], v[32:33], v[6:7], v[50:51]
	v_fma_f64 v[6:7], v[30:31], v[6:7], -v[8:9]
	s_waitcnt vmcnt(4) lgkmcnt(1)
	v_mul_f64 v[54:55], v[2:3], v[12:13]
	v_mul_f64 v[12:13], v[4:5], v[12:13]
	v_add_f64 v[8:9], v[40:41], v[38:39]
	v_add_f64 v[30:31], v[48:49], v[52:53]
	s_waitcnt vmcnt(3) lgkmcnt(0)
	v_mul_f64 v[38:39], v[34:35], v[16:17]
	v_mul_f64 v[16:17], v[36:37], v[16:17]
	v_fma_f64 v[40:41], v[4:5], v[10:11], v[54:55]
	v_fma_f64 v[10:11], v[2:3], v[10:11], -v[12:13]
	v_add_f64 v[12:13], v[8:9], v[6:7]
	v_add_f64 v[30:31], v[30:31], v[32:33]
	ds_load_b128 v[2:5], v1 offset:1872
	ds_load_b128 v[6:9], v1 offset:1888
	v_fma_f64 v[36:37], v[36:37], v[14:15], v[38:39]
	v_fma_f64 v[14:15], v[34:35], v[14:15], -v[16:17]
	s_waitcnt vmcnt(2) lgkmcnt(1)
	v_mul_f64 v[32:33], v[2:3], v[20:21]
	v_mul_f64 v[20:21], v[4:5], v[20:21]
	s_waitcnt vmcnt(1) lgkmcnt(0)
	v_mul_f64 v[16:17], v[6:7], v[24:25]
	v_mul_f64 v[24:25], v[8:9], v[24:25]
	v_add_f64 v[10:11], v[12:13], v[10:11]
	v_add_f64 v[12:13], v[30:31], v[40:41]
	v_fma_f64 v[30:31], v[4:5], v[18:19], v[32:33]
	v_fma_f64 v[18:19], v[2:3], v[18:19], -v[20:21]
	ds_load_b128 v[2:5], v1 offset:1904
	v_fma_f64 v[8:9], v[8:9], v[22:23], v[16:17]
	v_fma_f64 v[6:7], v[6:7], v[22:23], -v[24:25]
	v_add_f64 v[10:11], v[10:11], v[14:15]
	v_add_f64 v[12:13], v[12:13], v[36:37]
	s_waitcnt vmcnt(0) lgkmcnt(0)
	v_mul_f64 v[14:15], v[2:3], v[28:29]
	v_mul_f64 v[20:21], v[4:5], v[28:29]
	s_delay_alu instid0(VALU_DEP_4) | instskip(NEXT) | instid1(VALU_DEP_4)
	v_add_f64 v[10:11], v[10:11], v[18:19]
	v_add_f64 v[12:13], v[12:13], v[30:31]
	s_delay_alu instid0(VALU_DEP_4) | instskip(NEXT) | instid1(VALU_DEP_4)
	v_fma_f64 v[4:5], v[4:5], v[26:27], v[14:15]
	v_fma_f64 v[2:3], v[2:3], v[26:27], -v[20:21]
	s_delay_alu instid0(VALU_DEP_4) | instskip(NEXT) | instid1(VALU_DEP_4)
	v_add_f64 v[6:7], v[10:11], v[6:7]
	v_add_f64 v[8:9], v[12:13], v[8:9]
	s_delay_alu instid0(VALU_DEP_2) | instskip(NEXT) | instid1(VALU_DEP_2)
	v_add_f64 v[2:3], v[6:7], v[2:3]
	v_add_f64 v[4:5], v[8:9], v[4:5]
	s_delay_alu instid0(VALU_DEP_2) | instskip(NEXT) | instid1(VALU_DEP_2)
	v_add_f64 v[2:3], v[42:43], -v[2:3]
	v_add_f64 v[4:5], v[44:45], -v[4:5]
	scratch_store_b128 off, v[2:5], off offset:512
	v_cmpx_lt_u32_e32 31, v166
	s_cbranch_execz .LBB123_311
; %bb.310:
	scratch_load_b128 v[5:8], v195, off
	v_mov_b32_e32 v2, v1
	v_mov_b32_e32 v3, v1
	v_mov_b32_e32 v4, v1
	scratch_store_b128 off, v[1:4], off offset:496
	s_waitcnt vmcnt(0)
	ds_store_b128 v226, v[5:8]
.LBB123_311:
	s_or_b32 exec_lo, exec_lo, s2
	s_waitcnt lgkmcnt(0)
	s_waitcnt_vscnt null, 0x0
	s_barrier
	buffer_gl0_inv
	s_clause 0x8
	scratch_load_b128 v[2:5], off, off offset:512
	scratch_load_b128 v[6:9], off, off offset:528
	;; [unrolled: 1-line block ×9, first 2 shown]
	ds_load_b128 v[42:45], v1 offset:1472
	ds_load_b128 v[38:41], v1 offset:1488
	s_clause 0x1
	scratch_load_b128 v[48:51], off, off offset:496
	scratch_load_b128 v[176:179], off, off offset:656
	s_mov_b32 s2, exec_lo
	ds_load_b128 v[180:183], v1 offset:1520
	s_waitcnt vmcnt(10) lgkmcnt(2)
	v_mul_f64 v[52:53], v[44:45], v[4:5]
	v_mul_f64 v[4:5], v[42:43], v[4:5]
	s_waitcnt vmcnt(9) lgkmcnt(1)
	v_mul_f64 v[54:55], v[38:39], v[8:9]
	v_mul_f64 v[8:9], v[40:41], v[8:9]
	s_delay_alu instid0(VALU_DEP_4) | instskip(NEXT) | instid1(VALU_DEP_4)
	v_fma_f64 v[52:53], v[42:43], v[2:3], -v[52:53]
	v_fma_f64 v[56:57], v[44:45], v[2:3], v[4:5]
	ds_load_b128 v[2:5], v1 offset:1504
	scratch_load_b128 v[42:45], off, off offset:672
	v_fma_f64 v[40:41], v[40:41], v[6:7], v[54:55]
	v_fma_f64 v[38:39], v[38:39], v[6:7], -v[8:9]
	scratch_load_b128 v[6:9], off, off offset:688
	s_waitcnt vmcnt(10) lgkmcnt(0)
	v_mul_f64 v[58:59], v[2:3], v[12:13]
	v_mul_f64 v[12:13], v[4:5], v[12:13]
	v_add_f64 v[52:53], v[52:53], 0
	v_add_f64 v[54:55], v[56:57], 0
	s_waitcnt vmcnt(9)
	v_mul_f64 v[56:57], v[180:181], v[16:17]
	v_mul_f64 v[16:17], v[182:183], v[16:17]
	v_fma_f64 v[58:59], v[4:5], v[10:11], v[58:59]
	v_fma_f64 v[60:61], v[2:3], v[10:11], -v[12:13]
	ds_load_b128 v[2:5], v1 offset:1536
	scratch_load_b128 v[10:13], off, off offset:704
	v_add_f64 v[52:53], v[52:53], v[38:39]
	v_add_f64 v[54:55], v[54:55], v[40:41]
	ds_load_b128 v[38:41], v1 offset:1552
	v_fma_f64 v[56:57], v[182:183], v[14:15], v[56:57]
	v_fma_f64 v[64:65], v[180:181], v[14:15], -v[16:17]
	scratch_load_b128 v[14:17], off, off offset:720
	s_waitcnt vmcnt(10) lgkmcnt(1)
	v_mul_f64 v[62:63], v[2:3], v[20:21]
	v_mul_f64 v[20:21], v[4:5], v[20:21]
	ds_load_b128 v[180:183], v1 offset:1584
	v_add_f64 v[52:53], v[52:53], v[60:61]
	v_add_f64 v[54:55], v[54:55], v[58:59]
	s_waitcnt vmcnt(9) lgkmcnt(1)
	v_mul_f64 v[58:59], v[38:39], v[24:25]
	v_mul_f64 v[24:25], v[40:41], v[24:25]
	v_fma_f64 v[60:61], v[4:5], v[18:19], v[62:63]
	v_fma_f64 v[62:63], v[2:3], v[18:19], -v[20:21]
	ds_load_b128 v[2:5], v1 offset:1568
	scratch_load_b128 v[18:21], off, off offset:736
	v_add_f64 v[52:53], v[52:53], v[64:65]
	v_add_f64 v[54:55], v[54:55], v[56:57]
	s_waitcnt vmcnt(9) lgkmcnt(0)
	v_mul_f64 v[56:57], v[2:3], v[28:29]
	v_mul_f64 v[28:29], v[4:5], v[28:29]
	v_fma_f64 v[40:41], v[40:41], v[22:23], v[58:59]
	v_fma_f64 v[38:39], v[38:39], v[22:23], -v[24:25]
	scratch_load_b128 v[22:25], off, off offset:752
	s_waitcnt vmcnt(9)
	v_mul_f64 v[58:59], v[180:181], v[32:33]
	v_mul_f64 v[32:33], v[182:183], v[32:33]
	v_add_f64 v[52:53], v[52:53], v[62:63]
	v_add_f64 v[54:55], v[54:55], v[60:61]
	v_fma_f64 v[56:57], v[4:5], v[26:27], v[56:57]
	v_fma_f64 v[60:61], v[2:3], v[26:27], -v[28:29]
	ds_load_b128 v[2:5], v1 offset:1600
	scratch_load_b128 v[26:29], off, off offset:768
	v_fma_f64 v[58:59], v[182:183], v[30:31], v[58:59]
	v_fma_f64 v[64:65], v[180:181], v[30:31], -v[32:33]
	scratch_load_b128 v[30:33], off, off offset:784
	ds_load_b128 v[182:185], v1 offset:1680
	v_add_f64 v[52:53], v[52:53], v[38:39]
	v_add_f64 v[54:55], v[54:55], v[40:41]
	ds_load_b128 v[38:41], v1 offset:1616
	s_waitcnt vmcnt(10) lgkmcnt(2)
	v_mul_f64 v[62:63], v[2:3], v[36:37]
	v_mul_f64 v[36:37], v[4:5], v[36:37]
	v_add_f64 v[52:53], v[52:53], v[60:61]
	v_add_f64 v[54:55], v[54:55], v[56:57]
	s_waitcnt vmcnt(8) lgkmcnt(0)
	v_mul_f64 v[56:57], v[38:39], v[178:179]
	v_mul_f64 v[60:61], v[40:41], v[178:179]
	v_fma_f64 v[62:63], v[4:5], v[34:35], v[62:63]
	v_fma_f64 v[66:67], v[2:3], v[34:35], -v[36:37]
	ds_load_b128 v[2:5], v1 offset:1632
	ds_load_b128 v[178:181], v1 offset:1648
	scratch_load_b128 v[34:37], off, off offset:800
	v_add_f64 v[52:53], v[52:53], v[64:65]
	v_add_f64 v[54:55], v[54:55], v[58:59]
	v_fma_f64 v[56:57], v[40:41], v[176:177], v[56:57]
	v_fma_f64 v[60:61], v[38:39], v[176:177], -v[60:61]
	scratch_load_b128 v[38:41], off, off offset:816
	s_waitcnt vmcnt(9) lgkmcnt(1)
	v_mul_f64 v[58:59], v[2:3], v[44:45]
	v_mul_f64 v[44:45], v[4:5], v[44:45]
	v_add_f64 v[52:53], v[52:53], v[66:67]
	v_add_f64 v[54:55], v[54:55], v[62:63]
	s_waitcnt vmcnt(8) lgkmcnt(0)
	v_mul_f64 v[62:63], v[178:179], v[8:9]
	v_mul_f64 v[8:9], v[180:181], v[8:9]
	v_fma_f64 v[58:59], v[4:5], v[42:43], v[58:59]
	v_fma_f64 v[64:65], v[2:3], v[42:43], -v[44:45]
	ds_load_b128 v[2:5], v1 offset:1664
	scratch_load_b128 v[42:45], off, off offset:832
	v_add_f64 v[52:53], v[52:53], v[60:61]
	v_add_f64 v[54:55], v[54:55], v[56:57]
	v_fma_f64 v[60:61], v[180:181], v[6:7], v[62:63]
	s_waitcnt vmcnt(8) lgkmcnt(0)
	v_mul_f64 v[56:57], v[2:3], v[12:13]
	v_mul_f64 v[12:13], v[4:5], v[12:13]
	v_fma_f64 v[62:63], v[178:179], v[6:7], -v[8:9]
	scratch_load_b128 v[6:9], off, off offset:848
	ds_load_b128 v[176:179], v1 offset:1712
	v_add_f64 v[52:53], v[52:53], v[64:65]
	v_add_f64 v[54:55], v[54:55], v[58:59]
	s_waitcnt vmcnt(8)
	v_mul_f64 v[58:59], v[182:183], v[16:17]
	v_mul_f64 v[16:17], v[184:185], v[16:17]
	v_fma_f64 v[56:57], v[4:5], v[10:11], v[56:57]
	v_fma_f64 v[64:65], v[2:3], v[10:11], -v[12:13]
	ds_load_b128 v[2:5], v1 offset:1696
	scratch_load_b128 v[10:13], off, off offset:864
	v_add_f64 v[52:53], v[52:53], v[62:63]
	v_add_f64 v[54:55], v[54:55], v[60:61]
	s_waitcnt vmcnt(8) lgkmcnt(0)
	v_mul_f64 v[60:61], v[2:3], v[20:21]
	v_mul_f64 v[20:21], v[4:5], v[20:21]
	v_fma_f64 v[58:59], v[184:185], v[14:15], v[58:59]
	v_fma_f64 v[62:63], v[182:183], v[14:15], -v[16:17]
	scratch_load_b128 v[14:17], off, off offset:880
	ds_load_b128 v[180:183], v1 offset:1744
	v_add_f64 v[52:53], v[52:53], v[64:65]
	v_add_f64 v[54:55], v[54:55], v[56:57]
	s_waitcnt vmcnt(8)
	v_mul_f64 v[56:57], v[176:177], v[24:25]
	v_mul_f64 v[24:25], v[178:179], v[24:25]
	v_fma_f64 v[60:61], v[4:5], v[18:19], v[60:61]
	v_fma_f64 v[64:65], v[2:3], v[18:19], -v[20:21]
	ds_load_b128 v[2:5], v1 offset:1728
	scratch_load_b128 v[18:21], off, off offset:896
	v_add_f64 v[52:53], v[52:53], v[62:63]
	v_add_f64 v[54:55], v[54:55], v[58:59]
	s_waitcnt vmcnt(8) lgkmcnt(0)
	v_mul_f64 v[58:59], v[2:3], v[28:29]
	v_mul_f64 v[28:29], v[4:5], v[28:29]
	v_fma_f64 v[56:57], v[178:179], v[22:23], v[56:57]
	;; [unrolled: 18-line block ×3, first 2 shown]
	v_fma_f64 v[62:63], v[180:181], v[30:31], -v[32:33]
	scratch_load_b128 v[30:33], off, off offset:944
	v_add_f64 v[52:53], v[52:53], v[64:65]
	v_add_f64 v[54:55], v[54:55], v[58:59]
	s_waitcnt vmcnt(8)
	v_mul_f64 v[58:59], v[176:177], v[40:41]
	v_mul_f64 v[40:41], v[178:179], v[40:41]
	v_fma_f64 v[56:57], v[4:5], v[34:35], v[56:57]
	v_fma_f64 v[64:65], v[2:3], v[34:35], -v[36:37]
	ds_load_b128 v[2:5], v1 offset:1792
	ds_load_b128 v[34:37], v1 offset:1808
	v_add_f64 v[52:53], v[52:53], v[62:63]
	v_add_f64 v[54:55], v[54:55], v[60:61]
	s_waitcnt vmcnt(7) lgkmcnt(1)
	v_mul_f64 v[60:61], v[2:3], v[44:45]
	v_mul_f64 v[44:45], v[4:5], v[44:45]
	v_fma_f64 v[58:59], v[178:179], v[38:39], v[58:59]
	v_fma_f64 v[38:39], v[176:177], v[38:39], -v[40:41]
	v_add_f64 v[40:41], v[52:53], v[64:65]
	v_add_f64 v[52:53], v[54:55], v[56:57]
	s_waitcnt vmcnt(6) lgkmcnt(0)
	v_mul_f64 v[54:55], v[34:35], v[8:9]
	v_mul_f64 v[8:9], v[36:37], v[8:9]
	v_fma_f64 v[56:57], v[4:5], v[42:43], v[60:61]
	v_fma_f64 v[42:43], v[2:3], v[42:43], -v[44:45]
	v_add_f64 v[44:45], v[40:41], v[38:39]
	v_add_f64 v[52:53], v[52:53], v[58:59]
	ds_load_b128 v[2:5], v1 offset:1824
	ds_load_b128 v[38:41], v1 offset:1840
	v_fma_f64 v[36:37], v[36:37], v[6:7], v[54:55]
	v_fma_f64 v[6:7], v[34:35], v[6:7], -v[8:9]
	s_waitcnt vmcnt(5) lgkmcnt(1)
	v_mul_f64 v[58:59], v[2:3], v[12:13]
	v_mul_f64 v[12:13], v[4:5], v[12:13]
	v_add_f64 v[8:9], v[44:45], v[42:43]
	v_add_f64 v[34:35], v[52:53], v[56:57]
	s_waitcnt vmcnt(4) lgkmcnt(0)
	v_mul_f64 v[42:43], v[38:39], v[16:17]
	v_mul_f64 v[16:17], v[40:41], v[16:17]
	v_fma_f64 v[44:45], v[4:5], v[10:11], v[58:59]
	v_fma_f64 v[10:11], v[2:3], v[10:11], -v[12:13]
	v_add_f64 v[12:13], v[8:9], v[6:7]
	v_add_f64 v[34:35], v[34:35], v[36:37]
	ds_load_b128 v[2:5], v1 offset:1856
	ds_load_b128 v[6:9], v1 offset:1872
	v_fma_f64 v[40:41], v[40:41], v[14:15], v[42:43]
	v_fma_f64 v[14:15], v[38:39], v[14:15], -v[16:17]
	s_waitcnt vmcnt(3) lgkmcnt(1)
	v_mul_f64 v[36:37], v[2:3], v[20:21]
	v_mul_f64 v[20:21], v[4:5], v[20:21]
	s_waitcnt vmcnt(2) lgkmcnt(0)
	v_mul_f64 v[16:17], v[6:7], v[24:25]
	v_mul_f64 v[24:25], v[8:9], v[24:25]
	v_add_f64 v[10:11], v[12:13], v[10:11]
	v_add_f64 v[12:13], v[34:35], v[44:45]
	v_fma_f64 v[34:35], v[4:5], v[18:19], v[36:37]
	v_fma_f64 v[18:19], v[2:3], v[18:19], -v[20:21]
	v_fma_f64 v[8:9], v[8:9], v[22:23], v[16:17]
	v_fma_f64 v[6:7], v[6:7], v[22:23], -v[24:25]
	v_add_f64 v[14:15], v[10:11], v[14:15]
	v_add_f64 v[20:21], v[12:13], v[40:41]
	ds_load_b128 v[2:5], v1 offset:1888
	ds_load_b128 v[10:13], v1 offset:1904
	s_waitcnt vmcnt(1) lgkmcnt(1)
	v_mul_f64 v[36:37], v[2:3], v[28:29]
	v_mul_f64 v[28:29], v[4:5], v[28:29]
	v_add_f64 v[14:15], v[14:15], v[18:19]
	v_add_f64 v[16:17], v[20:21], v[34:35]
	s_waitcnt vmcnt(0) lgkmcnt(0)
	v_mul_f64 v[18:19], v[10:11], v[32:33]
	v_mul_f64 v[20:21], v[12:13], v[32:33]
	v_fma_f64 v[4:5], v[4:5], v[26:27], v[36:37]
	v_fma_f64 v[1:2], v[2:3], v[26:27], -v[28:29]
	v_add_f64 v[6:7], v[14:15], v[6:7]
	v_add_f64 v[8:9], v[16:17], v[8:9]
	v_fma_f64 v[12:13], v[12:13], v[30:31], v[18:19]
	v_fma_f64 v[10:11], v[10:11], v[30:31], -v[20:21]
	s_delay_alu instid0(VALU_DEP_4) | instskip(NEXT) | instid1(VALU_DEP_4)
	v_add_f64 v[1:2], v[6:7], v[1:2]
	v_add_f64 v[3:4], v[8:9], v[4:5]
	s_delay_alu instid0(VALU_DEP_2) | instskip(NEXT) | instid1(VALU_DEP_2)
	v_add_f64 v[1:2], v[1:2], v[10:11]
	v_add_f64 v[3:4], v[3:4], v[12:13]
	s_delay_alu instid0(VALU_DEP_2) | instskip(NEXT) | instid1(VALU_DEP_2)
	v_add_f64 v[1:2], v[48:49], -v[1:2]
	v_add_f64 v[3:4], v[50:51], -v[3:4]
	scratch_store_b128 off, v[1:4], off offset:496
	v_cmpx_lt_u32_e32 30, v166
	s_cbranch_execz .LBB123_313
; %bb.312:
	scratch_load_b128 v[1:4], v215, off
	v_mov_b32_e32 v5, 0
	s_delay_alu instid0(VALU_DEP_1)
	v_mov_b32_e32 v6, v5
	v_mov_b32_e32 v7, v5
	;; [unrolled: 1-line block ×3, first 2 shown]
	scratch_store_b128 off, v[5:8], off offset:480
	s_waitcnt vmcnt(0)
	ds_store_b128 v226, v[1:4]
.LBB123_313:
	s_or_b32 exec_lo, exec_lo, s2
	s_waitcnt lgkmcnt(0)
	s_waitcnt_vscnt null, 0x0
	s_barrier
	buffer_gl0_inv
	s_clause 0x7
	scratch_load_b128 v[2:5], off, off offset:496
	scratch_load_b128 v[6:9], off, off offset:512
	;; [unrolled: 1-line block ×8, first 2 shown]
	v_mov_b32_e32 v1, 0
	s_mov_b32 s2, exec_lo
	ds_load_b128 v[38:41], v1 offset:1456
	s_clause 0x1
	scratch_load_b128 v[34:37], off, off offset:624
	scratch_load_b128 v[42:45], off, off offset:480
	ds_load_b128 v[48:51], v1 offset:1472
	scratch_load_b128 v[176:179], off, off offset:640
	ds_load_b128 v[180:183], v1 offset:1504
	s_waitcnt vmcnt(10) lgkmcnt(2)
	v_mul_f64 v[52:53], v[40:41], v[4:5]
	v_mul_f64 v[4:5], v[38:39], v[4:5]
	s_delay_alu instid0(VALU_DEP_2) | instskip(NEXT) | instid1(VALU_DEP_2)
	v_fma_f64 v[52:53], v[38:39], v[2:3], -v[52:53]
	v_fma_f64 v[56:57], v[40:41], v[2:3], v[4:5]
	ds_load_b128 v[2:5], v1 offset:1488
	s_waitcnt vmcnt(9) lgkmcnt(2)
	v_mul_f64 v[54:55], v[48:49], v[8:9]
	v_mul_f64 v[8:9], v[50:51], v[8:9]
	scratch_load_b128 v[38:41], off, off offset:656
	s_waitcnt vmcnt(9) lgkmcnt(0)
	v_mul_f64 v[58:59], v[2:3], v[12:13]
	v_mul_f64 v[12:13], v[4:5], v[12:13]
	v_add_f64 v[52:53], v[52:53], 0
	v_fma_f64 v[50:51], v[50:51], v[6:7], v[54:55]
	v_fma_f64 v[48:49], v[48:49], v[6:7], -v[8:9]
	v_add_f64 v[54:55], v[56:57], 0
	scratch_load_b128 v[6:9], off, off offset:672
	v_fma_f64 v[58:59], v[4:5], v[10:11], v[58:59]
	v_fma_f64 v[60:61], v[2:3], v[10:11], -v[12:13]
	scratch_load_b128 v[10:13], off, off offset:688
	ds_load_b128 v[2:5], v1 offset:1520
	s_waitcnt vmcnt(10)
	v_mul_f64 v[56:57], v[180:181], v[16:17]
	v_mul_f64 v[16:17], v[182:183], v[16:17]
	v_add_f64 v[52:53], v[52:53], v[48:49]
	v_add_f64 v[54:55], v[54:55], v[50:51]
	ds_load_b128 v[48:51], v1 offset:1536
	s_waitcnt vmcnt(9) lgkmcnt(1)
	v_mul_f64 v[62:63], v[2:3], v[20:21]
	v_mul_f64 v[20:21], v[4:5], v[20:21]
	v_fma_f64 v[56:57], v[182:183], v[14:15], v[56:57]
	v_fma_f64 v[64:65], v[180:181], v[14:15], -v[16:17]
	scratch_load_b128 v[14:17], off, off offset:704
	ds_load_b128 v[180:183], v1 offset:1568
	v_add_f64 v[52:53], v[52:53], v[60:61]
	v_add_f64 v[54:55], v[54:55], v[58:59]
	v_fma_f64 v[60:61], v[4:5], v[18:19], v[62:63]
	v_fma_f64 v[62:63], v[2:3], v[18:19], -v[20:21]
	ds_load_b128 v[2:5], v1 offset:1552
	s_waitcnt vmcnt(9) lgkmcnt(2)
	v_mul_f64 v[58:59], v[48:49], v[24:25]
	v_mul_f64 v[24:25], v[50:51], v[24:25]
	scratch_load_b128 v[18:21], off, off offset:720
	v_add_f64 v[52:53], v[52:53], v[64:65]
	v_add_f64 v[54:55], v[54:55], v[56:57]
	s_waitcnt vmcnt(9) lgkmcnt(0)
	v_mul_f64 v[56:57], v[2:3], v[28:29]
	v_mul_f64 v[28:29], v[4:5], v[28:29]
	v_fma_f64 v[50:51], v[50:51], v[22:23], v[58:59]
	v_fma_f64 v[48:49], v[48:49], v[22:23], -v[24:25]
	scratch_load_b128 v[22:25], off, off offset:736
	v_add_f64 v[52:53], v[52:53], v[62:63]
	v_add_f64 v[54:55], v[54:55], v[60:61]
	v_fma_f64 v[56:57], v[4:5], v[26:27], v[56:57]
	v_fma_f64 v[60:61], v[2:3], v[26:27], -v[28:29]
	scratch_load_b128 v[26:29], off, off offset:752
	ds_load_b128 v[2:5], v1 offset:1584
	s_waitcnt vmcnt(10)
	v_mul_f64 v[58:59], v[180:181], v[32:33]
	v_mul_f64 v[32:33], v[182:183], v[32:33]
	s_waitcnt vmcnt(9) lgkmcnt(0)
	v_mul_f64 v[62:63], v[2:3], v[36:37]
	v_mul_f64 v[36:37], v[4:5], v[36:37]
	v_add_f64 v[52:53], v[52:53], v[48:49]
	v_add_f64 v[54:55], v[54:55], v[50:51]
	ds_load_b128 v[48:51], v1 offset:1600
	v_fma_f64 v[58:59], v[182:183], v[30:31], v[58:59]
	v_fma_f64 v[64:65], v[180:181], v[30:31], -v[32:33]
	scratch_load_b128 v[30:33], off, off offset:768
	ds_load_b128 v[182:185], v1 offset:1664
	v_fma_f64 v[62:63], v[4:5], v[34:35], v[62:63]
	v_fma_f64 v[66:67], v[2:3], v[34:35], -v[36:37]
	ds_load_b128 v[2:5], v1 offset:1616
	scratch_load_b128 v[34:37], off, off offset:784
	v_add_f64 v[52:53], v[52:53], v[60:61]
	v_add_f64 v[54:55], v[54:55], v[56:57]
	s_waitcnt vmcnt(9) lgkmcnt(2)
	v_mul_f64 v[56:57], v[48:49], v[178:179]
	v_mul_f64 v[60:61], v[50:51], v[178:179]
	ds_load_b128 v[178:181], v1 offset:1632
	v_add_f64 v[52:53], v[52:53], v[64:65]
	v_add_f64 v[54:55], v[54:55], v[58:59]
	v_fma_f64 v[56:57], v[50:51], v[176:177], v[56:57]
	v_fma_f64 v[60:61], v[48:49], v[176:177], -v[60:61]
	scratch_load_b128 v[48:51], off, off offset:800
	s_waitcnt vmcnt(9) lgkmcnt(1)
	v_mul_f64 v[58:59], v[2:3], v[40:41]
	v_mul_f64 v[40:41], v[4:5], v[40:41]
	v_add_f64 v[52:53], v[52:53], v[66:67]
	v_add_f64 v[54:55], v[54:55], v[62:63]
	s_delay_alu instid0(VALU_DEP_4) | instskip(NEXT) | instid1(VALU_DEP_4)
	v_fma_f64 v[58:59], v[4:5], v[38:39], v[58:59]
	v_fma_f64 v[64:65], v[2:3], v[38:39], -v[40:41]
	scratch_load_b128 v[38:41], off, off offset:816
	ds_load_b128 v[2:5], v1 offset:1648
	s_waitcnt vmcnt(9) lgkmcnt(1)
	v_mul_f64 v[62:63], v[178:179], v[8:9]
	v_mul_f64 v[8:9], v[180:181], v[8:9]
	v_add_f64 v[52:53], v[52:53], v[60:61]
	v_add_f64 v[54:55], v[54:55], v[56:57]
	s_waitcnt vmcnt(8) lgkmcnt(0)
	v_mul_f64 v[56:57], v[2:3], v[12:13]
	v_mul_f64 v[12:13], v[4:5], v[12:13]
	v_fma_f64 v[60:61], v[180:181], v[6:7], v[62:63]
	v_fma_f64 v[62:63], v[178:179], v[6:7], -v[8:9]
	scratch_load_b128 v[6:9], off, off offset:832
	ds_load_b128 v[176:179], v1 offset:1696
	v_add_f64 v[52:53], v[52:53], v[64:65]
	v_add_f64 v[54:55], v[54:55], v[58:59]
	v_fma_f64 v[56:57], v[4:5], v[10:11], v[56:57]
	v_fma_f64 v[64:65], v[2:3], v[10:11], -v[12:13]
	ds_load_b128 v[2:5], v1 offset:1680
	s_waitcnt vmcnt(8)
	v_mul_f64 v[58:59], v[182:183], v[16:17]
	v_mul_f64 v[16:17], v[184:185], v[16:17]
	scratch_load_b128 v[10:13], off, off offset:848
	v_add_f64 v[52:53], v[52:53], v[62:63]
	v_add_f64 v[54:55], v[54:55], v[60:61]
	s_waitcnt vmcnt(8) lgkmcnt(0)
	v_mul_f64 v[60:61], v[2:3], v[20:21]
	v_mul_f64 v[20:21], v[4:5], v[20:21]
	v_fma_f64 v[58:59], v[184:185], v[14:15], v[58:59]
	v_fma_f64 v[62:63], v[182:183], v[14:15], -v[16:17]
	scratch_load_b128 v[14:17], off, off offset:864
	ds_load_b128 v[180:183], v1 offset:1728
	v_add_f64 v[52:53], v[52:53], v[64:65]
	v_add_f64 v[54:55], v[54:55], v[56:57]
	v_fma_f64 v[60:61], v[4:5], v[18:19], v[60:61]
	v_fma_f64 v[64:65], v[2:3], v[18:19], -v[20:21]
	ds_load_b128 v[2:5], v1 offset:1712
	s_waitcnt vmcnt(8)
	v_mul_f64 v[56:57], v[176:177], v[24:25]
	v_mul_f64 v[24:25], v[178:179], v[24:25]
	scratch_load_b128 v[18:21], off, off offset:880
	;; [unrolled: 18-line block ×3, first 2 shown]
	v_add_f64 v[52:53], v[52:53], v[62:63]
	v_add_f64 v[54:55], v[54:55], v[56:57]
	s_waitcnt vmcnt(8) lgkmcnt(0)
	v_mul_f64 v[56:57], v[2:3], v[36:37]
	v_mul_f64 v[36:37], v[4:5], v[36:37]
	v_fma_f64 v[60:61], v[182:183], v[30:31], v[60:61]
	v_fma_f64 v[62:63], v[180:181], v[30:31], -v[32:33]
	scratch_load_b128 v[30:33], off, off offset:928
	ds_load_b128 v[180:183], v1 offset:1792
	v_add_f64 v[52:53], v[52:53], v[64:65]
	v_add_f64 v[54:55], v[54:55], v[58:59]
	v_fma_f64 v[56:57], v[4:5], v[34:35], v[56:57]
	v_fma_f64 v[64:65], v[2:3], v[34:35], -v[36:37]
	scratch_load_b128 v[34:37], off, off offset:944
	ds_load_b128 v[2:5], v1 offset:1776
	s_waitcnt vmcnt(9)
	v_mul_f64 v[58:59], v[176:177], v[50:51]
	v_mul_f64 v[50:51], v[178:179], v[50:51]
	v_add_f64 v[52:53], v[52:53], v[62:63]
	v_add_f64 v[54:55], v[54:55], v[60:61]
	s_waitcnt vmcnt(8) lgkmcnt(0)
	v_mul_f64 v[60:61], v[2:3], v[40:41]
	v_mul_f64 v[40:41], v[4:5], v[40:41]
	v_fma_f64 v[58:59], v[178:179], v[48:49], v[58:59]
	v_fma_f64 v[48:49], v[176:177], v[48:49], -v[50:51]
	v_add_f64 v[50:51], v[52:53], v[64:65]
	v_add_f64 v[52:53], v[54:55], v[56:57]
	s_waitcnt vmcnt(7)
	v_mul_f64 v[54:55], v[180:181], v[8:9]
	v_mul_f64 v[8:9], v[182:183], v[8:9]
	v_fma_f64 v[56:57], v[4:5], v[38:39], v[60:61]
	v_fma_f64 v[60:61], v[2:3], v[38:39], -v[40:41]
	ds_load_b128 v[2:5], v1 offset:1808
	ds_load_b128 v[38:41], v1 offset:1824
	v_add_f64 v[48:49], v[50:51], v[48:49]
	v_add_f64 v[50:51], v[52:53], v[58:59]
	s_waitcnt vmcnt(6) lgkmcnt(1)
	v_mul_f64 v[52:53], v[2:3], v[12:13]
	v_mul_f64 v[12:13], v[4:5], v[12:13]
	v_fma_f64 v[54:55], v[182:183], v[6:7], v[54:55]
	v_fma_f64 v[6:7], v[180:181], v[6:7], -v[8:9]
	v_add_f64 v[8:9], v[48:49], v[60:61]
	v_add_f64 v[48:49], v[50:51], v[56:57]
	s_waitcnt vmcnt(5) lgkmcnt(0)
	v_mul_f64 v[50:51], v[38:39], v[16:17]
	v_mul_f64 v[16:17], v[40:41], v[16:17]
	v_fma_f64 v[52:53], v[4:5], v[10:11], v[52:53]
	v_fma_f64 v[10:11], v[2:3], v[10:11], -v[12:13]
	v_add_f64 v[12:13], v[8:9], v[6:7]
	v_add_f64 v[48:49], v[48:49], v[54:55]
	ds_load_b128 v[2:5], v1 offset:1840
	ds_load_b128 v[6:9], v1 offset:1856
	v_fma_f64 v[40:41], v[40:41], v[14:15], v[50:51]
	v_fma_f64 v[14:15], v[38:39], v[14:15], -v[16:17]
	s_waitcnt vmcnt(4) lgkmcnt(1)
	v_mul_f64 v[54:55], v[2:3], v[20:21]
	v_mul_f64 v[20:21], v[4:5], v[20:21]
	s_waitcnt vmcnt(3) lgkmcnt(0)
	v_mul_f64 v[16:17], v[6:7], v[24:25]
	v_mul_f64 v[24:25], v[8:9], v[24:25]
	v_add_f64 v[10:11], v[12:13], v[10:11]
	v_add_f64 v[12:13], v[48:49], v[52:53]
	v_fma_f64 v[38:39], v[4:5], v[18:19], v[54:55]
	v_fma_f64 v[18:19], v[2:3], v[18:19], -v[20:21]
	v_fma_f64 v[8:9], v[8:9], v[22:23], v[16:17]
	v_fma_f64 v[6:7], v[6:7], v[22:23], -v[24:25]
	v_add_f64 v[14:15], v[10:11], v[14:15]
	v_add_f64 v[20:21], v[12:13], v[40:41]
	ds_load_b128 v[2:5], v1 offset:1872
	ds_load_b128 v[10:13], v1 offset:1888
	s_waitcnt vmcnt(2) lgkmcnt(1)
	v_mul_f64 v[40:41], v[2:3], v[28:29]
	v_mul_f64 v[28:29], v[4:5], v[28:29]
	v_add_f64 v[14:15], v[14:15], v[18:19]
	v_add_f64 v[16:17], v[20:21], v[38:39]
	s_waitcnt vmcnt(1) lgkmcnt(0)
	v_mul_f64 v[18:19], v[10:11], v[32:33]
	v_mul_f64 v[20:21], v[12:13], v[32:33]
	v_fma_f64 v[22:23], v[4:5], v[26:27], v[40:41]
	v_fma_f64 v[24:25], v[2:3], v[26:27], -v[28:29]
	ds_load_b128 v[2:5], v1 offset:1904
	v_add_f64 v[6:7], v[14:15], v[6:7]
	v_add_f64 v[8:9], v[16:17], v[8:9]
	v_fma_f64 v[12:13], v[12:13], v[30:31], v[18:19]
	v_fma_f64 v[10:11], v[10:11], v[30:31], -v[20:21]
	s_waitcnt vmcnt(0) lgkmcnt(0)
	v_mul_f64 v[14:15], v[2:3], v[36:37]
	v_mul_f64 v[16:17], v[4:5], v[36:37]
	v_add_f64 v[6:7], v[6:7], v[24:25]
	v_add_f64 v[8:9], v[8:9], v[22:23]
	s_delay_alu instid0(VALU_DEP_4) | instskip(NEXT) | instid1(VALU_DEP_4)
	v_fma_f64 v[4:5], v[4:5], v[34:35], v[14:15]
	v_fma_f64 v[2:3], v[2:3], v[34:35], -v[16:17]
	s_delay_alu instid0(VALU_DEP_4) | instskip(NEXT) | instid1(VALU_DEP_4)
	v_add_f64 v[6:7], v[6:7], v[10:11]
	v_add_f64 v[8:9], v[8:9], v[12:13]
	s_delay_alu instid0(VALU_DEP_2) | instskip(NEXT) | instid1(VALU_DEP_2)
	v_add_f64 v[2:3], v[6:7], v[2:3]
	v_add_f64 v[4:5], v[8:9], v[4:5]
	s_delay_alu instid0(VALU_DEP_2) | instskip(NEXT) | instid1(VALU_DEP_2)
	v_add_f64 v[2:3], v[42:43], -v[2:3]
	v_add_f64 v[4:5], v[44:45], -v[4:5]
	scratch_store_b128 off, v[2:5], off offset:480
	v_cmpx_lt_u32_e32 29, v166
	s_cbranch_execz .LBB123_315
; %bb.314:
	scratch_load_b128 v[5:8], v216, off
	v_mov_b32_e32 v2, v1
	v_mov_b32_e32 v3, v1
	v_mov_b32_e32 v4, v1
	scratch_store_b128 off, v[1:4], off offset:464
	s_waitcnt vmcnt(0)
	ds_store_b128 v226, v[5:8]
.LBB123_315:
	s_or_b32 exec_lo, exec_lo, s2
	s_waitcnt lgkmcnt(0)
	s_waitcnt_vscnt null, 0x0
	s_barrier
	buffer_gl0_inv
	s_clause 0x8
	scratch_load_b128 v[2:5], off, off offset:480
	scratch_load_b128 v[6:9], off, off offset:496
	;; [unrolled: 1-line block ×9, first 2 shown]
	ds_load_b128 v[42:45], v1 offset:1440
	ds_load_b128 v[38:41], v1 offset:1456
	s_clause 0x1
	scratch_load_b128 v[48:51], off, off offset:464
	scratch_load_b128 v[176:179], off, off offset:624
	s_mov_b32 s2, exec_lo
	ds_load_b128 v[180:183], v1 offset:1488
	s_waitcnt vmcnt(10) lgkmcnt(2)
	v_mul_f64 v[52:53], v[44:45], v[4:5]
	v_mul_f64 v[4:5], v[42:43], v[4:5]
	s_waitcnt vmcnt(9) lgkmcnt(1)
	v_mul_f64 v[54:55], v[38:39], v[8:9]
	v_mul_f64 v[8:9], v[40:41], v[8:9]
	s_delay_alu instid0(VALU_DEP_4) | instskip(NEXT) | instid1(VALU_DEP_4)
	v_fma_f64 v[52:53], v[42:43], v[2:3], -v[52:53]
	v_fma_f64 v[56:57], v[44:45], v[2:3], v[4:5]
	ds_load_b128 v[2:5], v1 offset:1472
	scratch_load_b128 v[42:45], off, off offset:640
	v_fma_f64 v[40:41], v[40:41], v[6:7], v[54:55]
	v_fma_f64 v[38:39], v[38:39], v[6:7], -v[8:9]
	scratch_load_b128 v[6:9], off, off offset:656
	s_waitcnt vmcnt(10) lgkmcnt(0)
	v_mul_f64 v[58:59], v[2:3], v[12:13]
	v_mul_f64 v[12:13], v[4:5], v[12:13]
	v_add_f64 v[52:53], v[52:53], 0
	v_add_f64 v[54:55], v[56:57], 0
	s_waitcnt vmcnt(9)
	v_mul_f64 v[56:57], v[180:181], v[16:17]
	v_mul_f64 v[16:17], v[182:183], v[16:17]
	v_fma_f64 v[58:59], v[4:5], v[10:11], v[58:59]
	v_fma_f64 v[60:61], v[2:3], v[10:11], -v[12:13]
	ds_load_b128 v[2:5], v1 offset:1504
	scratch_load_b128 v[10:13], off, off offset:672
	v_add_f64 v[52:53], v[52:53], v[38:39]
	v_add_f64 v[54:55], v[54:55], v[40:41]
	ds_load_b128 v[38:41], v1 offset:1520
	v_fma_f64 v[56:57], v[182:183], v[14:15], v[56:57]
	v_fma_f64 v[64:65], v[180:181], v[14:15], -v[16:17]
	scratch_load_b128 v[14:17], off, off offset:688
	s_waitcnt vmcnt(10) lgkmcnt(1)
	v_mul_f64 v[62:63], v[2:3], v[20:21]
	v_mul_f64 v[20:21], v[4:5], v[20:21]
	ds_load_b128 v[180:183], v1 offset:1552
	v_add_f64 v[52:53], v[52:53], v[60:61]
	v_add_f64 v[54:55], v[54:55], v[58:59]
	s_waitcnt vmcnt(9) lgkmcnt(1)
	v_mul_f64 v[58:59], v[38:39], v[24:25]
	v_mul_f64 v[24:25], v[40:41], v[24:25]
	v_fma_f64 v[60:61], v[4:5], v[18:19], v[62:63]
	v_fma_f64 v[62:63], v[2:3], v[18:19], -v[20:21]
	ds_load_b128 v[2:5], v1 offset:1536
	scratch_load_b128 v[18:21], off, off offset:704
	v_add_f64 v[52:53], v[52:53], v[64:65]
	v_add_f64 v[54:55], v[54:55], v[56:57]
	s_waitcnt vmcnt(9) lgkmcnt(0)
	v_mul_f64 v[56:57], v[2:3], v[28:29]
	v_mul_f64 v[28:29], v[4:5], v[28:29]
	v_fma_f64 v[40:41], v[40:41], v[22:23], v[58:59]
	v_fma_f64 v[38:39], v[38:39], v[22:23], -v[24:25]
	scratch_load_b128 v[22:25], off, off offset:720
	s_waitcnt vmcnt(9)
	v_mul_f64 v[58:59], v[180:181], v[32:33]
	v_mul_f64 v[32:33], v[182:183], v[32:33]
	v_add_f64 v[52:53], v[52:53], v[62:63]
	v_add_f64 v[54:55], v[54:55], v[60:61]
	v_fma_f64 v[56:57], v[4:5], v[26:27], v[56:57]
	v_fma_f64 v[60:61], v[2:3], v[26:27], -v[28:29]
	ds_load_b128 v[2:5], v1 offset:1568
	scratch_load_b128 v[26:29], off, off offset:736
	v_fma_f64 v[58:59], v[182:183], v[30:31], v[58:59]
	v_fma_f64 v[64:65], v[180:181], v[30:31], -v[32:33]
	scratch_load_b128 v[30:33], off, off offset:752
	ds_load_b128 v[182:185], v1 offset:1648
	v_add_f64 v[52:53], v[52:53], v[38:39]
	v_add_f64 v[54:55], v[54:55], v[40:41]
	ds_load_b128 v[38:41], v1 offset:1584
	s_waitcnt vmcnt(10) lgkmcnt(2)
	v_mul_f64 v[62:63], v[2:3], v[36:37]
	v_mul_f64 v[36:37], v[4:5], v[36:37]
	v_add_f64 v[52:53], v[52:53], v[60:61]
	v_add_f64 v[54:55], v[54:55], v[56:57]
	s_waitcnt vmcnt(8) lgkmcnt(0)
	v_mul_f64 v[56:57], v[38:39], v[178:179]
	v_mul_f64 v[60:61], v[40:41], v[178:179]
	v_fma_f64 v[62:63], v[4:5], v[34:35], v[62:63]
	v_fma_f64 v[66:67], v[2:3], v[34:35], -v[36:37]
	ds_load_b128 v[2:5], v1 offset:1600
	ds_load_b128 v[178:181], v1 offset:1616
	scratch_load_b128 v[34:37], off, off offset:768
	v_add_f64 v[52:53], v[52:53], v[64:65]
	v_add_f64 v[54:55], v[54:55], v[58:59]
	v_fma_f64 v[56:57], v[40:41], v[176:177], v[56:57]
	v_fma_f64 v[60:61], v[38:39], v[176:177], -v[60:61]
	scratch_load_b128 v[38:41], off, off offset:784
	s_waitcnt vmcnt(9) lgkmcnt(1)
	v_mul_f64 v[58:59], v[2:3], v[44:45]
	v_mul_f64 v[44:45], v[4:5], v[44:45]
	v_add_f64 v[52:53], v[52:53], v[66:67]
	v_add_f64 v[54:55], v[54:55], v[62:63]
	s_waitcnt vmcnt(8) lgkmcnt(0)
	v_mul_f64 v[62:63], v[178:179], v[8:9]
	v_mul_f64 v[8:9], v[180:181], v[8:9]
	v_fma_f64 v[58:59], v[4:5], v[42:43], v[58:59]
	v_fma_f64 v[64:65], v[2:3], v[42:43], -v[44:45]
	ds_load_b128 v[2:5], v1 offset:1632
	scratch_load_b128 v[42:45], off, off offset:800
	v_add_f64 v[52:53], v[52:53], v[60:61]
	v_add_f64 v[54:55], v[54:55], v[56:57]
	v_fma_f64 v[60:61], v[180:181], v[6:7], v[62:63]
	s_waitcnt vmcnt(8) lgkmcnt(0)
	v_mul_f64 v[56:57], v[2:3], v[12:13]
	v_mul_f64 v[12:13], v[4:5], v[12:13]
	v_fma_f64 v[62:63], v[178:179], v[6:7], -v[8:9]
	scratch_load_b128 v[6:9], off, off offset:816
	ds_load_b128 v[176:179], v1 offset:1680
	v_add_f64 v[52:53], v[52:53], v[64:65]
	v_add_f64 v[54:55], v[54:55], v[58:59]
	s_waitcnt vmcnt(8)
	v_mul_f64 v[58:59], v[182:183], v[16:17]
	v_mul_f64 v[16:17], v[184:185], v[16:17]
	v_fma_f64 v[56:57], v[4:5], v[10:11], v[56:57]
	v_fma_f64 v[64:65], v[2:3], v[10:11], -v[12:13]
	ds_load_b128 v[2:5], v1 offset:1664
	scratch_load_b128 v[10:13], off, off offset:832
	v_add_f64 v[52:53], v[52:53], v[62:63]
	v_add_f64 v[54:55], v[54:55], v[60:61]
	s_waitcnt vmcnt(8) lgkmcnt(0)
	v_mul_f64 v[60:61], v[2:3], v[20:21]
	v_mul_f64 v[20:21], v[4:5], v[20:21]
	v_fma_f64 v[58:59], v[184:185], v[14:15], v[58:59]
	v_fma_f64 v[62:63], v[182:183], v[14:15], -v[16:17]
	scratch_load_b128 v[14:17], off, off offset:848
	ds_load_b128 v[180:183], v1 offset:1712
	v_add_f64 v[52:53], v[52:53], v[64:65]
	v_add_f64 v[54:55], v[54:55], v[56:57]
	s_waitcnt vmcnt(8)
	v_mul_f64 v[56:57], v[176:177], v[24:25]
	v_mul_f64 v[24:25], v[178:179], v[24:25]
	v_fma_f64 v[60:61], v[4:5], v[18:19], v[60:61]
	v_fma_f64 v[64:65], v[2:3], v[18:19], -v[20:21]
	ds_load_b128 v[2:5], v1 offset:1696
	scratch_load_b128 v[18:21], off, off offset:864
	v_add_f64 v[52:53], v[52:53], v[62:63]
	v_add_f64 v[54:55], v[54:55], v[58:59]
	s_waitcnt vmcnt(8) lgkmcnt(0)
	v_mul_f64 v[58:59], v[2:3], v[28:29]
	v_mul_f64 v[28:29], v[4:5], v[28:29]
	v_fma_f64 v[56:57], v[178:179], v[22:23], v[56:57]
	;; [unrolled: 18-line block ×4, first 2 shown]
	v_fma_f64 v[62:63], v[176:177], v[38:39], -v[40:41]
	scratch_load_b128 v[38:41], off, off offset:944
	v_add_f64 v[52:53], v[52:53], v[64:65]
	v_add_f64 v[54:55], v[54:55], v[56:57]
	s_waitcnt vmcnt(8)
	v_mul_f64 v[56:57], v[180:181], v[8:9]
	v_mul_f64 v[8:9], v[182:183], v[8:9]
	v_fma_f64 v[60:61], v[4:5], v[42:43], v[60:61]
	v_fma_f64 v[64:65], v[2:3], v[42:43], -v[44:45]
	ds_load_b128 v[2:5], v1 offset:1792
	ds_load_b128 v[42:45], v1 offset:1808
	v_add_f64 v[52:53], v[52:53], v[62:63]
	v_add_f64 v[54:55], v[54:55], v[58:59]
	s_waitcnt vmcnt(7) lgkmcnt(1)
	v_mul_f64 v[58:59], v[2:3], v[12:13]
	v_mul_f64 v[12:13], v[4:5], v[12:13]
	v_fma_f64 v[56:57], v[182:183], v[6:7], v[56:57]
	v_fma_f64 v[6:7], v[180:181], v[6:7], -v[8:9]
	v_add_f64 v[8:9], v[52:53], v[64:65]
	v_add_f64 v[52:53], v[54:55], v[60:61]
	s_waitcnt vmcnt(6) lgkmcnt(0)
	v_mul_f64 v[54:55], v[42:43], v[16:17]
	v_mul_f64 v[16:17], v[44:45], v[16:17]
	v_fma_f64 v[58:59], v[4:5], v[10:11], v[58:59]
	v_fma_f64 v[10:11], v[2:3], v[10:11], -v[12:13]
	v_add_f64 v[12:13], v[8:9], v[6:7]
	v_add_f64 v[52:53], v[52:53], v[56:57]
	ds_load_b128 v[2:5], v1 offset:1824
	ds_load_b128 v[6:9], v1 offset:1840
	v_fma_f64 v[44:45], v[44:45], v[14:15], v[54:55]
	v_fma_f64 v[14:15], v[42:43], v[14:15], -v[16:17]
	s_waitcnt vmcnt(5) lgkmcnt(1)
	v_mul_f64 v[56:57], v[2:3], v[20:21]
	v_mul_f64 v[20:21], v[4:5], v[20:21]
	s_waitcnt vmcnt(4) lgkmcnt(0)
	v_mul_f64 v[16:17], v[6:7], v[24:25]
	v_mul_f64 v[24:25], v[8:9], v[24:25]
	v_add_f64 v[10:11], v[12:13], v[10:11]
	v_add_f64 v[12:13], v[52:53], v[58:59]
	v_fma_f64 v[42:43], v[4:5], v[18:19], v[56:57]
	v_fma_f64 v[18:19], v[2:3], v[18:19], -v[20:21]
	v_fma_f64 v[8:9], v[8:9], v[22:23], v[16:17]
	v_fma_f64 v[6:7], v[6:7], v[22:23], -v[24:25]
	v_add_f64 v[14:15], v[10:11], v[14:15]
	v_add_f64 v[20:21], v[12:13], v[44:45]
	ds_load_b128 v[2:5], v1 offset:1856
	ds_load_b128 v[10:13], v1 offset:1872
	s_waitcnt vmcnt(3) lgkmcnt(1)
	v_mul_f64 v[44:45], v[2:3], v[28:29]
	v_mul_f64 v[28:29], v[4:5], v[28:29]
	v_add_f64 v[14:15], v[14:15], v[18:19]
	v_add_f64 v[16:17], v[20:21], v[42:43]
	s_waitcnt vmcnt(2) lgkmcnt(0)
	v_mul_f64 v[18:19], v[10:11], v[32:33]
	v_mul_f64 v[20:21], v[12:13], v[32:33]
	v_fma_f64 v[22:23], v[4:5], v[26:27], v[44:45]
	v_fma_f64 v[24:25], v[2:3], v[26:27], -v[28:29]
	v_add_f64 v[14:15], v[14:15], v[6:7]
	v_add_f64 v[16:17], v[16:17], v[8:9]
	ds_load_b128 v[2:5], v1 offset:1888
	ds_load_b128 v[6:9], v1 offset:1904
	v_fma_f64 v[12:13], v[12:13], v[30:31], v[18:19]
	v_fma_f64 v[10:11], v[10:11], v[30:31], -v[20:21]
	s_waitcnt vmcnt(1) lgkmcnt(1)
	v_mul_f64 v[26:27], v[2:3], v[36:37]
	v_mul_f64 v[28:29], v[4:5], v[36:37]
	s_waitcnt vmcnt(0) lgkmcnt(0)
	v_mul_f64 v[18:19], v[6:7], v[40:41]
	v_mul_f64 v[20:21], v[8:9], v[40:41]
	v_add_f64 v[14:15], v[14:15], v[24:25]
	v_add_f64 v[16:17], v[16:17], v[22:23]
	v_fma_f64 v[4:5], v[4:5], v[34:35], v[26:27]
	v_fma_f64 v[1:2], v[2:3], v[34:35], -v[28:29]
	v_fma_f64 v[8:9], v[8:9], v[38:39], v[18:19]
	v_fma_f64 v[6:7], v[6:7], v[38:39], -v[20:21]
	v_add_f64 v[10:11], v[14:15], v[10:11]
	v_add_f64 v[12:13], v[16:17], v[12:13]
	s_delay_alu instid0(VALU_DEP_2) | instskip(NEXT) | instid1(VALU_DEP_2)
	v_add_f64 v[1:2], v[10:11], v[1:2]
	v_add_f64 v[3:4], v[12:13], v[4:5]
	s_delay_alu instid0(VALU_DEP_2) | instskip(NEXT) | instid1(VALU_DEP_2)
	;; [unrolled: 3-line block ×3, first 2 shown]
	v_add_f64 v[1:2], v[48:49], -v[1:2]
	v_add_f64 v[3:4], v[50:51], -v[3:4]
	scratch_store_b128 off, v[1:4], off offset:464
	v_cmpx_lt_u32_e32 28, v166
	s_cbranch_execz .LBB123_317
; %bb.316:
	scratch_load_b128 v[1:4], v217, off
	v_mov_b32_e32 v5, 0
	s_delay_alu instid0(VALU_DEP_1)
	v_mov_b32_e32 v6, v5
	v_mov_b32_e32 v7, v5
	;; [unrolled: 1-line block ×3, first 2 shown]
	scratch_store_b128 off, v[5:8], off offset:448
	s_waitcnt vmcnt(0)
	ds_store_b128 v226, v[1:4]
.LBB123_317:
	s_or_b32 exec_lo, exec_lo, s2
	s_waitcnt lgkmcnt(0)
	s_waitcnt_vscnt null, 0x0
	s_barrier
	buffer_gl0_inv
	s_clause 0x7
	scratch_load_b128 v[2:5], off, off offset:464
	scratch_load_b128 v[6:9], off, off offset:480
	;; [unrolled: 1-line block ×8, first 2 shown]
	v_mov_b32_e32 v1, 0
	s_mov_b32 s2, exec_lo
	ds_load_b128 v[38:41], v1 offset:1424
	s_clause 0x1
	scratch_load_b128 v[34:37], off, off offset:592
	scratch_load_b128 v[42:45], off, off offset:448
	ds_load_b128 v[48:51], v1 offset:1440
	scratch_load_b128 v[176:179], off, off offset:608
	ds_load_b128 v[180:183], v1 offset:1472
	s_waitcnt vmcnt(10) lgkmcnt(2)
	v_mul_f64 v[52:53], v[40:41], v[4:5]
	v_mul_f64 v[4:5], v[38:39], v[4:5]
	s_delay_alu instid0(VALU_DEP_2) | instskip(NEXT) | instid1(VALU_DEP_2)
	v_fma_f64 v[52:53], v[38:39], v[2:3], -v[52:53]
	v_fma_f64 v[56:57], v[40:41], v[2:3], v[4:5]
	ds_load_b128 v[2:5], v1 offset:1456
	s_waitcnt vmcnt(9) lgkmcnt(2)
	v_mul_f64 v[54:55], v[48:49], v[8:9]
	v_mul_f64 v[8:9], v[50:51], v[8:9]
	scratch_load_b128 v[38:41], off, off offset:624
	s_waitcnt vmcnt(9) lgkmcnt(0)
	v_mul_f64 v[58:59], v[2:3], v[12:13]
	v_mul_f64 v[12:13], v[4:5], v[12:13]
	v_add_f64 v[52:53], v[52:53], 0
	v_fma_f64 v[50:51], v[50:51], v[6:7], v[54:55]
	v_fma_f64 v[48:49], v[48:49], v[6:7], -v[8:9]
	v_add_f64 v[54:55], v[56:57], 0
	scratch_load_b128 v[6:9], off, off offset:640
	v_fma_f64 v[58:59], v[4:5], v[10:11], v[58:59]
	v_fma_f64 v[60:61], v[2:3], v[10:11], -v[12:13]
	scratch_load_b128 v[10:13], off, off offset:656
	ds_load_b128 v[2:5], v1 offset:1488
	s_waitcnt vmcnt(10)
	v_mul_f64 v[56:57], v[180:181], v[16:17]
	v_mul_f64 v[16:17], v[182:183], v[16:17]
	v_add_f64 v[52:53], v[52:53], v[48:49]
	v_add_f64 v[54:55], v[54:55], v[50:51]
	ds_load_b128 v[48:51], v1 offset:1504
	s_waitcnt vmcnt(9) lgkmcnt(1)
	v_mul_f64 v[62:63], v[2:3], v[20:21]
	v_mul_f64 v[20:21], v[4:5], v[20:21]
	v_fma_f64 v[56:57], v[182:183], v[14:15], v[56:57]
	v_fma_f64 v[64:65], v[180:181], v[14:15], -v[16:17]
	scratch_load_b128 v[14:17], off, off offset:672
	ds_load_b128 v[180:183], v1 offset:1536
	v_add_f64 v[52:53], v[52:53], v[60:61]
	v_add_f64 v[54:55], v[54:55], v[58:59]
	v_fma_f64 v[60:61], v[4:5], v[18:19], v[62:63]
	v_fma_f64 v[62:63], v[2:3], v[18:19], -v[20:21]
	ds_load_b128 v[2:5], v1 offset:1520
	s_waitcnt vmcnt(9) lgkmcnt(2)
	v_mul_f64 v[58:59], v[48:49], v[24:25]
	v_mul_f64 v[24:25], v[50:51], v[24:25]
	scratch_load_b128 v[18:21], off, off offset:688
	v_add_f64 v[52:53], v[52:53], v[64:65]
	v_add_f64 v[54:55], v[54:55], v[56:57]
	s_waitcnt vmcnt(9) lgkmcnt(0)
	v_mul_f64 v[56:57], v[2:3], v[28:29]
	v_mul_f64 v[28:29], v[4:5], v[28:29]
	v_fma_f64 v[50:51], v[50:51], v[22:23], v[58:59]
	v_fma_f64 v[48:49], v[48:49], v[22:23], -v[24:25]
	scratch_load_b128 v[22:25], off, off offset:704
	v_add_f64 v[52:53], v[52:53], v[62:63]
	v_add_f64 v[54:55], v[54:55], v[60:61]
	v_fma_f64 v[56:57], v[4:5], v[26:27], v[56:57]
	v_fma_f64 v[60:61], v[2:3], v[26:27], -v[28:29]
	scratch_load_b128 v[26:29], off, off offset:720
	ds_load_b128 v[2:5], v1 offset:1552
	s_waitcnt vmcnt(10)
	v_mul_f64 v[58:59], v[180:181], v[32:33]
	v_mul_f64 v[32:33], v[182:183], v[32:33]
	s_waitcnt vmcnt(9) lgkmcnt(0)
	v_mul_f64 v[62:63], v[2:3], v[36:37]
	v_mul_f64 v[36:37], v[4:5], v[36:37]
	v_add_f64 v[52:53], v[52:53], v[48:49]
	v_add_f64 v[54:55], v[54:55], v[50:51]
	ds_load_b128 v[48:51], v1 offset:1568
	v_fma_f64 v[58:59], v[182:183], v[30:31], v[58:59]
	v_fma_f64 v[64:65], v[180:181], v[30:31], -v[32:33]
	scratch_load_b128 v[30:33], off, off offset:736
	ds_load_b128 v[182:185], v1 offset:1632
	v_fma_f64 v[62:63], v[4:5], v[34:35], v[62:63]
	v_fma_f64 v[66:67], v[2:3], v[34:35], -v[36:37]
	ds_load_b128 v[2:5], v1 offset:1584
	scratch_load_b128 v[34:37], off, off offset:752
	v_add_f64 v[52:53], v[52:53], v[60:61]
	v_add_f64 v[54:55], v[54:55], v[56:57]
	s_waitcnt vmcnt(9) lgkmcnt(2)
	v_mul_f64 v[56:57], v[48:49], v[178:179]
	v_mul_f64 v[60:61], v[50:51], v[178:179]
	ds_load_b128 v[178:181], v1 offset:1600
	v_add_f64 v[52:53], v[52:53], v[64:65]
	v_add_f64 v[54:55], v[54:55], v[58:59]
	v_fma_f64 v[56:57], v[50:51], v[176:177], v[56:57]
	v_fma_f64 v[60:61], v[48:49], v[176:177], -v[60:61]
	scratch_load_b128 v[48:51], off, off offset:768
	s_waitcnt vmcnt(9) lgkmcnt(1)
	v_mul_f64 v[58:59], v[2:3], v[40:41]
	v_mul_f64 v[40:41], v[4:5], v[40:41]
	v_add_f64 v[52:53], v[52:53], v[66:67]
	v_add_f64 v[54:55], v[54:55], v[62:63]
	s_delay_alu instid0(VALU_DEP_4) | instskip(NEXT) | instid1(VALU_DEP_4)
	v_fma_f64 v[58:59], v[4:5], v[38:39], v[58:59]
	v_fma_f64 v[64:65], v[2:3], v[38:39], -v[40:41]
	scratch_load_b128 v[38:41], off, off offset:784
	ds_load_b128 v[2:5], v1 offset:1616
	s_waitcnt vmcnt(9) lgkmcnt(1)
	v_mul_f64 v[62:63], v[178:179], v[8:9]
	v_mul_f64 v[8:9], v[180:181], v[8:9]
	v_add_f64 v[52:53], v[52:53], v[60:61]
	v_add_f64 v[54:55], v[54:55], v[56:57]
	s_waitcnt vmcnt(8) lgkmcnt(0)
	v_mul_f64 v[56:57], v[2:3], v[12:13]
	v_mul_f64 v[12:13], v[4:5], v[12:13]
	v_fma_f64 v[60:61], v[180:181], v[6:7], v[62:63]
	v_fma_f64 v[62:63], v[178:179], v[6:7], -v[8:9]
	scratch_load_b128 v[6:9], off, off offset:800
	ds_load_b128 v[176:179], v1 offset:1664
	v_add_f64 v[52:53], v[52:53], v[64:65]
	v_add_f64 v[54:55], v[54:55], v[58:59]
	v_fma_f64 v[56:57], v[4:5], v[10:11], v[56:57]
	v_fma_f64 v[64:65], v[2:3], v[10:11], -v[12:13]
	ds_load_b128 v[2:5], v1 offset:1648
	s_waitcnt vmcnt(8)
	v_mul_f64 v[58:59], v[182:183], v[16:17]
	v_mul_f64 v[16:17], v[184:185], v[16:17]
	scratch_load_b128 v[10:13], off, off offset:816
	v_add_f64 v[52:53], v[52:53], v[62:63]
	v_add_f64 v[54:55], v[54:55], v[60:61]
	s_waitcnt vmcnt(8) lgkmcnt(0)
	v_mul_f64 v[60:61], v[2:3], v[20:21]
	v_mul_f64 v[20:21], v[4:5], v[20:21]
	v_fma_f64 v[58:59], v[184:185], v[14:15], v[58:59]
	v_fma_f64 v[62:63], v[182:183], v[14:15], -v[16:17]
	scratch_load_b128 v[14:17], off, off offset:832
	ds_load_b128 v[180:183], v1 offset:1696
	v_add_f64 v[52:53], v[52:53], v[64:65]
	v_add_f64 v[54:55], v[54:55], v[56:57]
	v_fma_f64 v[60:61], v[4:5], v[18:19], v[60:61]
	v_fma_f64 v[64:65], v[2:3], v[18:19], -v[20:21]
	ds_load_b128 v[2:5], v1 offset:1680
	s_waitcnt vmcnt(8)
	v_mul_f64 v[56:57], v[176:177], v[24:25]
	v_mul_f64 v[24:25], v[178:179], v[24:25]
	scratch_load_b128 v[18:21], off, off offset:848
	;; [unrolled: 18-line block ×4, first 2 shown]
	v_add_f64 v[52:53], v[52:53], v[62:63]
	v_add_f64 v[54:55], v[54:55], v[60:61]
	s_waitcnt vmcnt(8) lgkmcnt(0)
	v_mul_f64 v[60:61], v[2:3], v[40:41]
	v_mul_f64 v[40:41], v[4:5], v[40:41]
	v_fma_f64 v[58:59], v[178:179], v[48:49], v[58:59]
	v_fma_f64 v[62:63], v[176:177], v[48:49], -v[50:51]
	scratch_load_b128 v[48:51], off, off offset:928
	ds_load_b128 v[176:179], v1 offset:1792
	v_add_f64 v[52:53], v[52:53], v[64:65]
	v_add_f64 v[54:55], v[54:55], v[56:57]
	v_fma_f64 v[60:61], v[4:5], v[38:39], v[60:61]
	v_fma_f64 v[64:65], v[2:3], v[38:39], -v[40:41]
	scratch_load_b128 v[38:41], off, off offset:944
	ds_load_b128 v[2:5], v1 offset:1776
	s_waitcnt vmcnt(9)
	v_mul_f64 v[56:57], v[180:181], v[8:9]
	v_mul_f64 v[8:9], v[182:183], v[8:9]
	v_add_f64 v[52:53], v[52:53], v[62:63]
	v_add_f64 v[54:55], v[54:55], v[58:59]
	s_waitcnt vmcnt(8) lgkmcnt(0)
	v_mul_f64 v[58:59], v[2:3], v[12:13]
	v_mul_f64 v[12:13], v[4:5], v[12:13]
	v_fma_f64 v[56:57], v[182:183], v[6:7], v[56:57]
	v_fma_f64 v[6:7], v[180:181], v[6:7], -v[8:9]
	v_add_f64 v[8:9], v[52:53], v[64:65]
	v_add_f64 v[52:53], v[54:55], v[60:61]
	s_waitcnt vmcnt(7)
	v_mul_f64 v[54:55], v[176:177], v[16:17]
	v_mul_f64 v[16:17], v[178:179], v[16:17]
	v_fma_f64 v[58:59], v[4:5], v[10:11], v[58:59]
	v_fma_f64 v[10:11], v[2:3], v[10:11], -v[12:13]
	v_add_f64 v[12:13], v[8:9], v[6:7]
	v_add_f64 v[52:53], v[52:53], v[56:57]
	ds_load_b128 v[2:5], v1 offset:1808
	ds_load_b128 v[6:9], v1 offset:1824
	v_fma_f64 v[54:55], v[178:179], v[14:15], v[54:55]
	v_fma_f64 v[14:15], v[176:177], v[14:15], -v[16:17]
	s_waitcnt vmcnt(6) lgkmcnt(1)
	v_mul_f64 v[56:57], v[2:3], v[20:21]
	v_mul_f64 v[20:21], v[4:5], v[20:21]
	s_waitcnt vmcnt(5) lgkmcnt(0)
	v_mul_f64 v[16:17], v[6:7], v[24:25]
	v_mul_f64 v[24:25], v[8:9], v[24:25]
	v_add_f64 v[10:11], v[12:13], v[10:11]
	v_add_f64 v[12:13], v[52:53], v[58:59]
	v_fma_f64 v[52:53], v[4:5], v[18:19], v[56:57]
	v_fma_f64 v[18:19], v[2:3], v[18:19], -v[20:21]
	v_fma_f64 v[8:9], v[8:9], v[22:23], v[16:17]
	v_fma_f64 v[6:7], v[6:7], v[22:23], -v[24:25]
	v_add_f64 v[14:15], v[10:11], v[14:15]
	v_add_f64 v[20:21], v[12:13], v[54:55]
	ds_load_b128 v[2:5], v1 offset:1840
	ds_load_b128 v[10:13], v1 offset:1856
	s_waitcnt vmcnt(4) lgkmcnt(1)
	v_mul_f64 v[54:55], v[2:3], v[28:29]
	v_mul_f64 v[28:29], v[4:5], v[28:29]
	v_add_f64 v[14:15], v[14:15], v[18:19]
	v_add_f64 v[16:17], v[20:21], v[52:53]
	s_waitcnt vmcnt(3) lgkmcnt(0)
	v_mul_f64 v[18:19], v[10:11], v[32:33]
	v_mul_f64 v[20:21], v[12:13], v[32:33]
	v_fma_f64 v[22:23], v[4:5], v[26:27], v[54:55]
	v_fma_f64 v[24:25], v[2:3], v[26:27], -v[28:29]
	v_add_f64 v[14:15], v[14:15], v[6:7]
	v_add_f64 v[16:17], v[16:17], v[8:9]
	ds_load_b128 v[2:5], v1 offset:1872
	ds_load_b128 v[6:9], v1 offset:1888
	v_fma_f64 v[12:13], v[12:13], v[30:31], v[18:19]
	v_fma_f64 v[10:11], v[10:11], v[30:31], -v[20:21]
	s_waitcnt vmcnt(2) lgkmcnt(1)
	v_mul_f64 v[26:27], v[2:3], v[36:37]
	v_mul_f64 v[28:29], v[4:5], v[36:37]
	s_waitcnt vmcnt(1) lgkmcnt(0)
	v_mul_f64 v[18:19], v[6:7], v[50:51]
	v_mul_f64 v[20:21], v[8:9], v[50:51]
	v_add_f64 v[14:15], v[14:15], v[24:25]
	v_add_f64 v[16:17], v[16:17], v[22:23]
	v_fma_f64 v[22:23], v[4:5], v[34:35], v[26:27]
	v_fma_f64 v[24:25], v[2:3], v[34:35], -v[28:29]
	ds_load_b128 v[2:5], v1 offset:1904
	v_fma_f64 v[8:9], v[8:9], v[48:49], v[18:19]
	v_fma_f64 v[6:7], v[6:7], v[48:49], -v[20:21]
	v_add_f64 v[10:11], v[14:15], v[10:11]
	v_add_f64 v[12:13], v[16:17], v[12:13]
	s_waitcnt vmcnt(0) lgkmcnt(0)
	v_mul_f64 v[14:15], v[2:3], v[40:41]
	v_mul_f64 v[16:17], v[4:5], v[40:41]
	s_delay_alu instid0(VALU_DEP_4) | instskip(NEXT) | instid1(VALU_DEP_4)
	v_add_f64 v[10:11], v[10:11], v[24:25]
	v_add_f64 v[12:13], v[12:13], v[22:23]
	s_delay_alu instid0(VALU_DEP_4) | instskip(NEXT) | instid1(VALU_DEP_4)
	v_fma_f64 v[4:5], v[4:5], v[38:39], v[14:15]
	v_fma_f64 v[2:3], v[2:3], v[38:39], -v[16:17]
	s_delay_alu instid0(VALU_DEP_4) | instskip(NEXT) | instid1(VALU_DEP_4)
	v_add_f64 v[6:7], v[10:11], v[6:7]
	v_add_f64 v[8:9], v[12:13], v[8:9]
	s_delay_alu instid0(VALU_DEP_2) | instskip(NEXT) | instid1(VALU_DEP_2)
	v_add_f64 v[2:3], v[6:7], v[2:3]
	v_add_f64 v[4:5], v[8:9], v[4:5]
	s_delay_alu instid0(VALU_DEP_2) | instskip(NEXT) | instid1(VALU_DEP_2)
	v_add_f64 v[2:3], v[42:43], -v[2:3]
	v_add_f64 v[4:5], v[44:45], -v[4:5]
	scratch_store_b128 off, v[2:5], off offset:448
	v_cmpx_lt_u32_e32 27, v166
	s_cbranch_execz .LBB123_319
; %bb.318:
	scratch_load_b128 v[5:8], v220, off
	v_mov_b32_e32 v2, v1
	v_mov_b32_e32 v3, v1
	;; [unrolled: 1-line block ×3, first 2 shown]
	scratch_store_b128 off, v[1:4], off offset:432
	s_waitcnt vmcnt(0)
	ds_store_b128 v226, v[5:8]
.LBB123_319:
	s_or_b32 exec_lo, exec_lo, s2
	s_waitcnt lgkmcnt(0)
	s_waitcnt_vscnt null, 0x0
	s_barrier
	buffer_gl0_inv
	s_clause 0x8
	scratch_load_b128 v[2:5], off, off offset:448
	scratch_load_b128 v[6:9], off, off offset:464
	;; [unrolled: 1-line block ×9, first 2 shown]
	ds_load_b128 v[42:45], v1 offset:1408
	ds_load_b128 v[38:41], v1 offset:1424
	s_clause 0x1
	scratch_load_b128 v[48:51], off, off offset:432
	scratch_load_b128 v[176:179], off, off offset:592
	s_mov_b32 s2, exec_lo
	ds_load_b128 v[180:183], v1 offset:1456
	s_waitcnt vmcnt(10) lgkmcnt(2)
	v_mul_f64 v[52:53], v[44:45], v[4:5]
	v_mul_f64 v[4:5], v[42:43], v[4:5]
	s_waitcnt vmcnt(9) lgkmcnt(1)
	v_mul_f64 v[54:55], v[38:39], v[8:9]
	v_mul_f64 v[8:9], v[40:41], v[8:9]
	s_delay_alu instid0(VALU_DEP_4) | instskip(NEXT) | instid1(VALU_DEP_4)
	v_fma_f64 v[52:53], v[42:43], v[2:3], -v[52:53]
	v_fma_f64 v[56:57], v[44:45], v[2:3], v[4:5]
	ds_load_b128 v[2:5], v1 offset:1440
	scratch_load_b128 v[42:45], off, off offset:608
	v_fma_f64 v[40:41], v[40:41], v[6:7], v[54:55]
	v_fma_f64 v[38:39], v[38:39], v[6:7], -v[8:9]
	scratch_load_b128 v[6:9], off, off offset:624
	s_waitcnt vmcnt(10) lgkmcnt(0)
	v_mul_f64 v[58:59], v[2:3], v[12:13]
	v_mul_f64 v[12:13], v[4:5], v[12:13]
	v_add_f64 v[52:53], v[52:53], 0
	v_add_f64 v[54:55], v[56:57], 0
	s_waitcnt vmcnt(9)
	v_mul_f64 v[56:57], v[180:181], v[16:17]
	v_mul_f64 v[16:17], v[182:183], v[16:17]
	v_fma_f64 v[58:59], v[4:5], v[10:11], v[58:59]
	v_fma_f64 v[60:61], v[2:3], v[10:11], -v[12:13]
	ds_load_b128 v[2:5], v1 offset:1472
	scratch_load_b128 v[10:13], off, off offset:640
	v_add_f64 v[52:53], v[52:53], v[38:39]
	v_add_f64 v[54:55], v[54:55], v[40:41]
	ds_load_b128 v[38:41], v1 offset:1488
	v_fma_f64 v[56:57], v[182:183], v[14:15], v[56:57]
	v_fma_f64 v[64:65], v[180:181], v[14:15], -v[16:17]
	scratch_load_b128 v[14:17], off, off offset:656
	s_waitcnt vmcnt(10) lgkmcnt(1)
	v_mul_f64 v[62:63], v[2:3], v[20:21]
	v_mul_f64 v[20:21], v[4:5], v[20:21]
	ds_load_b128 v[180:183], v1 offset:1520
	v_add_f64 v[52:53], v[52:53], v[60:61]
	v_add_f64 v[54:55], v[54:55], v[58:59]
	s_waitcnt vmcnt(9) lgkmcnt(1)
	v_mul_f64 v[58:59], v[38:39], v[24:25]
	v_mul_f64 v[24:25], v[40:41], v[24:25]
	v_fma_f64 v[60:61], v[4:5], v[18:19], v[62:63]
	v_fma_f64 v[62:63], v[2:3], v[18:19], -v[20:21]
	ds_load_b128 v[2:5], v1 offset:1504
	scratch_load_b128 v[18:21], off, off offset:672
	v_add_f64 v[52:53], v[52:53], v[64:65]
	v_add_f64 v[54:55], v[54:55], v[56:57]
	s_waitcnt vmcnt(9) lgkmcnt(0)
	v_mul_f64 v[56:57], v[2:3], v[28:29]
	v_mul_f64 v[28:29], v[4:5], v[28:29]
	v_fma_f64 v[40:41], v[40:41], v[22:23], v[58:59]
	v_fma_f64 v[38:39], v[38:39], v[22:23], -v[24:25]
	scratch_load_b128 v[22:25], off, off offset:688
	s_waitcnt vmcnt(9)
	v_mul_f64 v[58:59], v[180:181], v[32:33]
	v_mul_f64 v[32:33], v[182:183], v[32:33]
	v_add_f64 v[52:53], v[52:53], v[62:63]
	v_add_f64 v[54:55], v[54:55], v[60:61]
	v_fma_f64 v[56:57], v[4:5], v[26:27], v[56:57]
	v_fma_f64 v[60:61], v[2:3], v[26:27], -v[28:29]
	ds_load_b128 v[2:5], v1 offset:1536
	scratch_load_b128 v[26:29], off, off offset:704
	v_fma_f64 v[58:59], v[182:183], v[30:31], v[58:59]
	v_fma_f64 v[64:65], v[180:181], v[30:31], -v[32:33]
	scratch_load_b128 v[30:33], off, off offset:720
	ds_load_b128 v[182:185], v1 offset:1616
	v_add_f64 v[52:53], v[52:53], v[38:39]
	v_add_f64 v[54:55], v[54:55], v[40:41]
	ds_load_b128 v[38:41], v1 offset:1552
	s_waitcnt vmcnt(10) lgkmcnt(2)
	v_mul_f64 v[62:63], v[2:3], v[36:37]
	v_mul_f64 v[36:37], v[4:5], v[36:37]
	v_add_f64 v[52:53], v[52:53], v[60:61]
	v_add_f64 v[54:55], v[54:55], v[56:57]
	s_waitcnt vmcnt(8) lgkmcnt(0)
	v_mul_f64 v[56:57], v[38:39], v[178:179]
	v_mul_f64 v[60:61], v[40:41], v[178:179]
	v_fma_f64 v[62:63], v[4:5], v[34:35], v[62:63]
	v_fma_f64 v[66:67], v[2:3], v[34:35], -v[36:37]
	ds_load_b128 v[2:5], v1 offset:1568
	ds_load_b128 v[178:181], v1 offset:1584
	scratch_load_b128 v[34:37], off, off offset:736
	v_add_f64 v[52:53], v[52:53], v[64:65]
	v_add_f64 v[54:55], v[54:55], v[58:59]
	v_fma_f64 v[56:57], v[40:41], v[176:177], v[56:57]
	v_fma_f64 v[60:61], v[38:39], v[176:177], -v[60:61]
	scratch_load_b128 v[38:41], off, off offset:752
	s_waitcnt vmcnt(9) lgkmcnt(1)
	v_mul_f64 v[58:59], v[2:3], v[44:45]
	v_mul_f64 v[44:45], v[4:5], v[44:45]
	v_add_f64 v[52:53], v[52:53], v[66:67]
	v_add_f64 v[54:55], v[54:55], v[62:63]
	s_waitcnt vmcnt(8) lgkmcnt(0)
	v_mul_f64 v[62:63], v[178:179], v[8:9]
	v_mul_f64 v[8:9], v[180:181], v[8:9]
	v_fma_f64 v[58:59], v[4:5], v[42:43], v[58:59]
	v_fma_f64 v[64:65], v[2:3], v[42:43], -v[44:45]
	ds_load_b128 v[2:5], v1 offset:1600
	scratch_load_b128 v[42:45], off, off offset:768
	v_add_f64 v[52:53], v[52:53], v[60:61]
	v_add_f64 v[54:55], v[54:55], v[56:57]
	v_fma_f64 v[60:61], v[180:181], v[6:7], v[62:63]
	s_waitcnt vmcnt(8) lgkmcnt(0)
	v_mul_f64 v[56:57], v[2:3], v[12:13]
	v_mul_f64 v[12:13], v[4:5], v[12:13]
	v_fma_f64 v[62:63], v[178:179], v[6:7], -v[8:9]
	scratch_load_b128 v[6:9], off, off offset:784
	ds_load_b128 v[176:179], v1 offset:1648
	v_add_f64 v[52:53], v[52:53], v[64:65]
	v_add_f64 v[54:55], v[54:55], v[58:59]
	s_waitcnt vmcnt(8)
	v_mul_f64 v[58:59], v[182:183], v[16:17]
	v_mul_f64 v[16:17], v[184:185], v[16:17]
	v_fma_f64 v[56:57], v[4:5], v[10:11], v[56:57]
	v_fma_f64 v[64:65], v[2:3], v[10:11], -v[12:13]
	ds_load_b128 v[2:5], v1 offset:1632
	scratch_load_b128 v[10:13], off, off offset:800
	v_add_f64 v[52:53], v[52:53], v[62:63]
	v_add_f64 v[54:55], v[54:55], v[60:61]
	s_waitcnt vmcnt(8) lgkmcnt(0)
	v_mul_f64 v[60:61], v[2:3], v[20:21]
	v_mul_f64 v[20:21], v[4:5], v[20:21]
	v_fma_f64 v[58:59], v[184:185], v[14:15], v[58:59]
	v_fma_f64 v[62:63], v[182:183], v[14:15], -v[16:17]
	scratch_load_b128 v[14:17], off, off offset:816
	ds_load_b128 v[180:183], v1 offset:1680
	v_add_f64 v[52:53], v[52:53], v[64:65]
	v_add_f64 v[54:55], v[54:55], v[56:57]
	s_waitcnt vmcnt(8)
	v_mul_f64 v[56:57], v[176:177], v[24:25]
	v_mul_f64 v[24:25], v[178:179], v[24:25]
	v_fma_f64 v[60:61], v[4:5], v[18:19], v[60:61]
	v_fma_f64 v[64:65], v[2:3], v[18:19], -v[20:21]
	ds_load_b128 v[2:5], v1 offset:1664
	scratch_load_b128 v[18:21], off, off offset:832
	v_add_f64 v[52:53], v[52:53], v[62:63]
	v_add_f64 v[54:55], v[54:55], v[58:59]
	s_waitcnt vmcnt(8) lgkmcnt(0)
	v_mul_f64 v[58:59], v[2:3], v[28:29]
	v_mul_f64 v[28:29], v[4:5], v[28:29]
	v_fma_f64 v[56:57], v[178:179], v[22:23], v[56:57]
	;; [unrolled: 18-line block ×5, first 2 shown]
	v_fma_f64 v[62:63], v[180:181], v[6:7], -v[8:9]
	scratch_load_b128 v[6:9], off, off offset:944
	v_add_f64 v[52:53], v[52:53], v[64:65]
	v_add_f64 v[54:55], v[54:55], v[60:61]
	s_waitcnt vmcnt(8)
	v_mul_f64 v[60:61], v[176:177], v[16:17]
	v_mul_f64 v[16:17], v[178:179], v[16:17]
	v_fma_f64 v[58:59], v[4:5], v[10:11], v[58:59]
	v_fma_f64 v[64:65], v[2:3], v[10:11], -v[12:13]
	ds_load_b128 v[2:5], v1 offset:1792
	ds_load_b128 v[10:13], v1 offset:1808
	v_add_f64 v[52:53], v[52:53], v[62:63]
	v_add_f64 v[54:55], v[54:55], v[56:57]
	s_waitcnt vmcnt(7) lgkmcnt(1)
	v_mul_f64 v[56:57], v[2:3], v[20:21]
	v_mul_f64 v[20:21], v[4:5], v[20:21]
	v_fma_f64 v[60:61], v[178:179], v[14:15], v[60:61]
	v_fma_f64 v[14:15], v[176:177], v[14:15], -v[16:17]
	v_add_f64 v[16:17], v[52:53], v[64:65]
	v_add_f64 v[52:53], v[54:55], v[58:59]
	s_waitcnt vmcnt(6) lgkmcnt(0)
	v_mul_f64 v[54:55], v[10:11], v[24:25]
	v_mul_f64 v[24:25], v[12:13], v[24:25]
	v_fma_f64 v[56:57], v[4:5], v[18:19], v[56:57]
	v_fma_f64 v[18:19], v[2:3], v[18:19], -v[20:21]
	v_add_f64 v[20:21], v[16:17], v[14:15]
	v_add_f64 v[52:53], v[52:53], v[60:61]
	ds_load_b128 v[2:5], v1 offset:1824
	ds_load_b128 v[14:17], v1 offset:1840
	v_fma_f64 v[12:13], v[12:13], v[22:23], v[54:55]
	v_fma_f64 v[10:11], v[10:11], v[22:23], -v[24:25]
	s_waitcnt vmcnt(5) lgkmcnt(1)
	v_mul_f64 v[58:59], v[2:3], v[28:29]
	v_mul_f64 v[28:29], v[4:5], v[28:29]
	s_waitcnt vmcnt(4) lgkmcnt(0)
	v_mul_f64 v[22:23], v[14:15], v[32:33]
	v_mul_f64 v[24:25], v[16:17], v[32:33]
	v_add_f64 v[18:19], v[20:21], v[18:19]
	v_add_f64 v[20:21], v[52:53], v[56:57]
	v_fma_f64 v[32:33], v[4:5], v[26:27], v[58:59]
	v_fma_f64 v[26:27], v[2:3], v[26:27], -v[28:29]
	v_fma_f64 v[16:17], v[16:17], v[30:31], v[22:23]
	v_fma_f64 v[14:15], v[14:15], v[30:31], -v[24:25]
	v_add_f64 v[18:19], v[18:19], v[10:11]
	v_add_f64 v[20:21], v[20:21], v[12:13]
	ds_load_b128 v[2:5], v1 offset:1856
	ds_load_b128 v[10:13], v1 offset:1872
	s_waitcnt vmcnt(3) lgkmcnt(1)
	v_mul_f64 v[28:29], v[2:3], v[36:37]
	v_mul_f64 v[36:37], v[4:5], v[36:37]
	s_waitcnt vmcnt(2) lgkmcnt(0)
	v_mul_f64 v[22:23], v[10:11], v[40:41]
	v_mul_f64 v[24:25], v[12:13], v[40:41]
	v_add_f64 v[18:19], v[18:19], v[26:27]
	v_add_f64 v[20:21], v[20:21], v[32:33]
	v_fma_f64 v[26:27], v[4:5], v[34:35], v[28:29]
	v_fma_f64 v[28:29], v[2:3], v[34:35], -v[36:37]
	v_fma_f64 v[12:13], v[12:13], v[38:39], v[22:23]
	v_fma_f64 v[10:11], v[10:11], v[38:39], -v[24:25]
	v_add_f64 v[18:19], v[18:19], v[14:15]
	v_add_f64 v[20:21], v[20:21], v[16:17]
	ds_load_b128 v[2:5], v1 offset:1888
	ds_load_b128 v[14:17], v1 offset:1904
	s_waitcnt vmcnt(1) lgkmcnt(1)
	v_mul_f64 v[30:31], v[2:3], v[44:45]
	v_mul_f64 v[32:33], v[4:5], v[44:45]
	s_waitcnt vmcnt(0) lgkmcnt(0)
	v_mul_f64 v[22:23], v[14:15], v[8:9]
	v_mul_f64 v[8:9], v[16:17], v[8:9]
	v_add_f64 v[18:19], v[18:19], v[28:29]
	v_add_f64 v[20:21], v[20:21], v[26:27]
	v_fma_f64 v[4:5], v[4:5], v[42:43], v[30:31]
	v_fma_f64 v[1:2], v[2:3], v[42:43], -v[32:33]
	v_fma_f64 v[16:17], v[16:17], v[6:7], v[22:23]
	v_fma_f64 v[6:7], v[14:15], v[6:7], -v[8:9]
	v_add_f64 v[10:11], v[18:19], v[10:11]
	v_add_f64 v[12:13], v[20:21], v[12:13]
	s_delay_alu instid0(VALU_DEP_2) | instskip(NEXT) | instid1(VALU_DEP_2)
	v_add_f64 v[1:2], v[10:11], v[1:2]
	v_add_f64 v[3:4], v[12:13], v[4:5]
	s_delay_alu instid0(VALU_DEP_2) | instskip(NEXT) | instid1(VALU_DEP_2)
	;; [unrolled: 3-line block ×3, first 2 shown]
	v_add_f64 v[1:2], v[48:49], -v[1:2]
	v_add_f64 v[3:4], v[50:51], -v[3:4]
	scratch_store_b128 off, v[1:4], off offset:432
	v_cmpx_lt_u32_e32 26, v166
	s_cbranch_execz .LBB123_321
; %bb.320:
	scratch_load_b128 v[1:4], v221, off
	v_mov_b32_e32 v5, 0
	s_delay_alu instid0(VALU_DEP_1)
	v_mov_b32_e32 v6, v5
	v_mov_b32_e32 v7, v5
	v_mov_b32_e32 v8, v5
	scratch_store_b128 off, v[5:8], off offset:416
	s_waitcnt vmcnt(0)
	ds_store_b128 v226, v[1:4]
.LBB123_321:
	s_or_b32 exec_lo, exec_lo, s2
	s_waitcnt lgkmcnt(0)
	s_waitcnt_vscnt null, 0x0
	s_barrier
	buffer_gl0_inv
	s_clause 0x7
	scratch_load_b128 v[2:5], off, off offset:432
	scratch_load_b128 v[6:9], off, off offset:448
	;; [unrolled: 1-line block ×8, first 2 shown]
	v_mov_b32_e32 v1, 0
	s_mov_b32 s2, exec_lo
	ds_load_b128 v[38:41], v1 offset:1392
	s_clause 0x1
	scratch_load_b128 v[34:37], off, off offset:560
	scratch_load_b128 v[42:45], off, off offset:416
	ds_load_b128 v[48:51], v1 offset:1408
	scratch_load_b128 v[176:179], off, off offset:576
	ds_load_b128 v[180:183], v1 offset:1440
	s_waitcnt vmcnt(10) lgkmcnt(2)
	v_mul_f64 v[52:53], v[40:41], v[4:5]
	v_mul_f64 v[4:5], v[38:39], v[4:5]
	s_delay_alu instid0(VALU_DEP_2) | instskip(NEXT) | instid1(VALU_DEP_2)
	v_fma_f64 v[52:53], v[38:39], v[2:3], -v[52:53]
	v_fma_f64 v[56:57], v[40:41], v[2:3], v[4:5]
	ds_load_b128 v[2:5], v1 offset:1424
	s_waitcnt vmcnt(9) lgkmcnt(2)
	v_mul_f64 v[54:55], v[48:49], v[8:9]
	v_mul_f64 v[8:9], v[50:51], v[8:9]
	scratch_load_b128 v[38:41], off, off offset:592
	s_waitcnt vmcnt(9) lgkmcnt(0)
	v_mul_f64 v[58:59], v[2:3], v[12:13]
	v_mul_f64 v[12:13], v[4:5], v[12:13]
	v_add_f64 v[52:53], v[52:53], 0
	v_fma_f64 v[50:51], v[50:51], v[6:7], v[54:55]
	v_fma_f64 v[48:49], v[48:49], v[6:7], -v[8:9]
	v_add_f64 v[54:55], v[56:57], 0
	scratch_load_b128 v[6:9], off, off offset:608
	v_fma_f64 v[58:59], v[4:5], v[10:11], v[58:59]
	v_fma_f64 v[60:61], v[2:3], v[10:11], -v[12:13]
	scratch_load_b128 v[10:13], off, off offset:624
	ds_load_b128 v[2:5], v1 offset:1456
	s_waitcnt vmcnt(10)
	v_mul_f64 v[56:57], v[180:181], v[16:17]
	v_mul_f64 v[16:17], v[182:183], v[16:17]
	v_add_f64 v[52:53], v[52:53], v[48:49]
	v_add_f64 v[54:55], v[54:55], v[50:51]
	ds_load_b128 v[48:51], v1 offset:1472
	s_waitcnt vmcnt(9) lgkmcnt(1)
	v_mul_f64 v[62:63], v[2:3], v[20:21]
	v_mul_f64 v[20:21], v[4:5], v[20:21]
	v_fma_f64 v[56:57], v[182:183], v[14:15], v[56:57]
	v_fma_f64 v[64:65], v[180:181], v[14:15], -v[16:17]
	scratch_load_b128 v[14:17], off, off offset:640
	ds_load_b128 v[180:183], v1 offset:1504
	v_add_f64 v[52:53], v[52:53], v[60:61]
	v_add_f64 v[54:55], v[54:55], v[58:59]
	v_fma_f64 v[60:61], v[4:5], v[18:19], v[62:63]
	v_fma_f64 v[62:63], v[2:3], v[18:19], -v[20:21]
	ds_load_b128 v[2:5], v1 offset:1488
	s_waitcnt vmcnt(9) lgkmcnt(2)
	v_mul_f64 v[58:59], v[48:49], v[24:25]
	v_mul_f64 v[24:25], v[50:51], v[24:25]
	scratch_load_b128 v[18:21], off, off offset:656
	v_add_f64 v[52:53], v[52:53], v[64:65]
	v_add_f64 v[54:55], v[54:55], v[56:57]
	s_waitcnt vmcnt(9) lgkmcnt(0)
	v_mul_f64 v[56:57], v[2:3], v[28:29]
	v_mul_f64 v[28:29], v[4:5], v[28:29]
	v_fma_f64 v[50:51], v[50:51], v[22:23], v[58:59]
	v_fma_f64 v[48:49], v[48:49], v[22:23], -v[24:25]
	scratch_load_b128 v[22:25], off, off offset:672
	v_add_f64 v[52:53], v[52:53], v[62:63]
	v_add_f64 v[54:55], v[54:55], v[60:61]
	v_fma_f64 v[56:57], v[4:5], v[26:27], v[56:57]
	v_fma_f64 v[60:61], v[2:3], v[26:27], -v[28:29]
	scratch_load_b128 v[26:29], off, off offset:688
	ds_load_b128 v[2:5], v1 offset:1520
	s_waitcnt vmcnt(10)
	v_mul_f64 v[58:59], v[180:181], v[32:33]
	v_mul_f64 v[32:33], v[182:183], v[32:33]
	s_waitcnt vmcnt(9) lgkmcnt(0)
	v_mul_f64 v[62:63], v[2:3], v[36:37]
	v_mul_f64 v[36:37], v[4:5], v[36:37]
	v_add_f64 v[52:53], v[52:53], v[48:49]
	v_add_f64 v[54:55], v[54:55], v[50:51]
	ds_load_b128 v[48:51], v1 offset:1536
	v_fma_f64 v[58:59], v[182:183], v[30:31], v[58:59]
	v_fma_f64 v[64:65], v[180:181], v[30:31], -v[32:33]
	scratch_load_b128 v[30:33], off, off offset:704
	ds_load_b128 v[182:185], v1 offset:1600
	v_fma_f64 v[62:63], v[4:5], v[34:35], v[62:63]
	v_fma_f64 v[66:67], v[2:3], v[34:35], -v[36:37]
	ds_load_b128 v[2:5], v1 offset:1552
	scratch_load_b128 v[34:37], off, off offset:720
	v_add_f64 v[52:53], v[52:53], v[60:61]
	v_add_f64 v[54:55], v[54:55], v[56:57]
	s_waitcnt vmcnt(9) lgkmcnt(2)
	v_mul_f64 v[56:57], v[48:49], v[178:179]
	v_mul_f64 v[60:61], v[50:51], v[178:179]
	ds_load_b128 v[178:181], v1 offset:1568
	v_add_f64 v[52:53], v[52:53], v[64:65]
	v_add_f64 v[54:55], v[54:55], v[58:59]
	v_fma_f64 v[56:57], v[50:51], v[176:177], v[56:57]
	v_fma_f64 v[60:61], v[48:49], v[176:177], -v[60:61]
	scratch_load_b128 v[48:51], off, off offset:736
	s_waitcnt vmcnt(9) lgkmcnt(1)
	v_mul_f64 v[58:59], v[2:3], v[40:41]
	v_mul_f64 v[40:41], v[4:5], v[40:41]
	v_add_f64 v[52:53], v[52:53], v[66:67]
	v_add_f64 v[54:55], v[54:55], v[62:63]
	s_delay_alu instid0(VALU_DEP_4) | instskip(NEXT) | instid1(VALU_DEP_4)
	v_fma_f64 v[58:59], v[4:5], v[38:39], v[58:59]
	v_fma_f64 v[64:65], v[2:3], v[38:39], -v[40:41]
	scratch_load_b128 v[38:41], off, off offset:752
	ds_load_b128 v[2:5], v1 offset:1584
	s_waitcnt vmcnt(9) lgkmcnt(1)
	v_mul_f64 v[62:63], v[178:179], v[8:9]
	v_mul_f64 v[8:9], v[180:181], v[8:9]
	v_add_f64 v[52:53], v[52:53], v[60:61]
	v_add_f64 v[54:55], v[54:55], v[56:57]
	s_waitcnt vmcnt(8) lgkmcnt(0)
	v_mul_f64 v[56:57], v[2:3], v[12:13]
	v_mul_f64 v[12:13], v[4:5], v[12:13]
	v_fma_f64 v[60:61], v[180:181], v[6:7], v[62:63]
	v_fma_f64 v[62:63], v[178:179], v[6:7], -v[8:9]
	scratch_load_b128 v[6:9], off, off offset:768
	ds_load_b128 v[176:179], v1 offset:1632
	v_add_f64 v[52:53], v[52:53], v[64:65]
	v_add_f64 v[54:55], v[54:55], v[58:59]
	v_fma_f64 v[56:57], v[4:5], v[10:11], v[56:57]
	v_fma_f64 v[64:65], v[2:3], v[10:11], -v[12:13]
	ds_load_b128 v[2:5], v1 offset:1616
	s_waitcnt vmcnt(8)
	v_mul_f64 v[58:59], v[182:183], v[16:17]
	v_mul_f64 v[16:17], v[184:185], v[16:17]
	scratch_load_b128 v[10:13], off, off offset:784
	v_add_f64 v[52:53], v[52:53], v[62:63]
	v_add_f64 v[54:55], v[54:55], v[60:61]
	s_waitcnt vmcnt(8) lgkmcnt(0)
	v_mul_f64 v[60:61], v[2:3], v[20:21]
	v_mul_f64 v[20:21], v[4:5], v[20:21]
	v_fma_f64 v[58:59], v[184:185], v[14:15], v[58:59]
	v_fma_f64 v[62:63], v[182:183], v[14:15], -v[16:17]
	scratch_load_b128 v[14:17], off, off offset:800
	ds_load_b128 v[180:183], v1 offset:1664
	v_add_f64 v[52:53], v[52:53], v[64:65]
	v_add_f64 v[54:55], v[54:55], v[56:57]
	v_fma_f64 v[60:61], v[4:5], v[18:19], v[60:61]
	v_fma_f64 v[64:65], v[2:3], v[18:19], -v[20:21]
	ds_load_b128 v[2:5], v1 offset:1648
	s_waitcnt vmcnt(8)
	v_mul_f64 v[56:57], v[176:177], v[24:25]
	v_mul_f64 v[24:25], v[178:179], v[24:25]
	scratch_load_b128 v[18:21], off, off offset:816
	;; [unrolled: 18-line block ×5, first 2 shown]
	v_add_f64 v[52:53], v[52:53], v[62:63]
	v_add_f64 v[54:55], v[54:55], v[58:59]
	s_waitcnt vmcnt(8) lgkmcnt(0)
	v_mul_f64 v[58:59], v[2:3], v[12:13]
	v_mul_f64 v[12:13], v[4:5], v[12:13]
	v_fma_f64 v[56:57], v[182:183], v[6:7], v[56:57]
	v_fma_f64 v[62:63], v[180:181], v[6:7], -v[8:9]
	scratch_load_b128 v[6:9], off, off offset:928
	ds_load_b128 v[180:183], v1 offset:1792
	v_add_f64 v[52:53], v[52:53], v[64:65]
	v_add_f64 v[54:55], v[54:55], v[60:61]
	v_fma_f64 v[58:59], v[4:5], v[10:11], v[58:59]
	v_fma_f64 v[64:65], v[2:3], v[10:11], -v[12:13]
	scratch_load_b128 v[10:13], off, off offset:944
	ds_load_b128 v[2:5], v1 offset:1776
	s_waitcnt vmcnt(9)
	v_mul_f64 v[60:61], v[176:177], v[16:17]
	v_mul_f64 v[16:17], v[178:179], v[16:17]
	v_add_f64 v[52:53], v[52:53], v[62:63]
	v_add_f64 v[54:55], v[54:55], v[56:57]
	s_waitcnt vmcnt(8) lgkmcnt(0)
	v_mul_f64 v[56:57], v[2:3], v[20:21]
	v_mul_f64 v[20:21], v[4:5], v[20:21]
	v_fma_f64 v[60:61], v[178:179], v[14:15], v[60:61]
	v_fma_f64 v[14:15], v[176:177], v[14:15], -v[16:17]
	v_add_f64 v[16:17], v[52:53], v[64:65]
	v_add_f64 v[52:53], v[54:55], v[58:59]
	s_waitcnt vmcnt(7)
	v_mul_f64 v[54:55], v[180:181], v[24:25]
	v_mul_f64 v[24:25], v[182:183], v[24:25]
	v_fma_f64 v[56:57], v[4:5], v[18:19], v[56:57]
	v_fma_f64 v[18:19], v[2:3], v[18:19], -v[20:21]
	v_add_f64 v[20:21], v[16:17], v[14:15]
	v_add_f64 v[52:53], v[52:53], v[60:61]
	ds_load_b128 v[2:5], v1 offset:1808
	ds_load_b128 v[14:17], v1 offset:1824
	v_fma_f64 v[54:55], v[182:183], v[22:23], v[54:55]
	v_fma_f64 v[22:23], v[180:181], v[22:23], -v[24:25]
	s_waitcnt vmcnt(6) lgkmcnt(1)
	v_mul_f64 v[58:59], v[2:3], v[28:29]
	v_mul_f64 v[28:29], v[4:5], v[28:29]
	s_waitcnt vmcnt(5) lgkmcnt(0)
	v_mul_f64 v[24:25], v[14:15], v[32:33]
	v_mul_f64 v[32:33], v[16:17], v[32:33]
	v_add_f64 v[18:19], v[20:21], v[18:19]
	v_add_f64 v[20:21], v[52:53], v[56:57]
	v_fma_f64 v[52:53], v[4:5], v[26:27], v[58:59]
	v_fma_f64 v[26:27], v[2:3], v[26:27], -v[28:29]
	v_fma_f64 v[16:17], v[16:17], v[30:31], v[24:25]
	v_fma_f64 v[14:15], v[14:15], v[30:31], -v[32:33]
	v_add_f64 v[22:23], v[18:19], v[22:23]
	v_add_f64 v[28:29], v[20:21], v[54:55]
	ds_load_b128 v[2:5], v1 offset:1840
	ds_load_b128 v[18:21], v1 offset:1856
	s_waitcnt vmcnt(4) lgkmcnt(1)
	v_mul_f64 v[54:55], v[2:3], v[36:37]
	v_mul_f64 v[36:37], v[4:5], v[36:37]
	v_add_f64 v[22:23], v[22:23], v[26:27]
	v_add_f64 v[24:25], v[28:29], v[52:53]
	s_waitcnt vmcnt(3) lgkmcnt(0)
	v_mul_f64 v[26:27], v[18:19], v[50:51]
	v_mul_f64 v[28:29], v[20:21], v[50:51]
	v_fma_f64 v[30:31], v[4:5], v[34:35], v[54:55]
	v_fma_f64 v[32:33], v[2:3], v[34:35], -v[36:37]
	v_add_f64 v[22:23], v[22:23], v[14:15]
	v_add_f64 v[24:25], v[24:25], v[16:17]
	ds_load_b128 v[2:5], v1 offset:1872
	ds_load_b128 v[14:17], v1 offset:1888
	v_fma_f64 v[20:21], v[20:21], v[48:49], v[26:27]
	v_fma_f64 v[18:19], v[18:19], v[48:49], -v[28:29]
	s_waitcnt vmcnt(2) lgkmcnt(1)
	v_mul_f64 v[34:35], v[2:3], v[40:41]
	v_mul_f64 v[36:37], v[4:5], v[40:41]
	s_waitcnt vmcnt(1) lgkmcnt(0)
	v_mul_f64 v[26:27], v[14:15], v[8:9]
	v_mul_f64 v[8:9], v[16:17], v[8:9]
	v_add_f64 v[22:23], v[22:23], v[32:33]
	v_add_f64 v[24:25], v[24:25], v[30:31]
	v_fma_f64 v[28:29], v[4:5], v[38:39], v[34:35]
	v_fma_f64 v[30:31], v[2:3], v[38:39], -v[36:37]
	ds_load_b128 v[2:5], v1 offset:1904
	v_fma_f64 v[16:17], v[16:17], v[6:7], v[26:27]
	v_fma_f64 v[6:7], v[14:15], v[6:7], -v[8:9]
	v_add_f64 v[18:19], v[22:23], v[18:19]
	v_add_f64 v[20:21], v[24:25], v[20:21]
	s_waitcnt vmcnt(0) lgkmcnt(0)
	v_mul_f64 v[22:23], v[2:3], v[12:13]
	v_mul_f64 v[12:13], v[4:5], v[12:13]
	s_delay_alu instid0(VALU_DEP_4) | instskip(NEXT) | instid1(VALU_DEP_4)
	v_add_f64 v[8:9], v[18:19], v[30:31]
	v_add_f64 v[14:15], v[20:21], v[28:29]
	s_delay_alu instid0(VALU_DEP_4) | instskip(NEXT) | instid1(VALU_DEP_4)
	v_fma_f64 v[4:5], v[4:5], v[10:11], v[22:23]
	v_fma_f64 v[2:3], v[2:3], v[10:11], -v[12:13]
	s_delay_alu instid0(VALU_DEP_4) | instskip(NEXT) | instid1(VALU_DEP_4)
	v_add_f64 v[6:7], v[8:9], v[6:7]
	v_add_f64 v[8:9], v[14:15], v[16:17]
	s_delay_alu instid0(VALU_DEP_2) | instskip(NEXT) | instid1(VALU_DEP_2)
	v_add_f64 v[2:3], v[6:7], v[2:3]
	v_add_f64 v[4:5], v[8:9], v[4:5]
	s_delay_alu instid0(VALU_DEP_2) | instskip(NEXT) | instid1(VALU_DEP_2)
	v_add_f64 v[2:3], v[42:43], -v[2:3]
	v_add_f64 v[4:5], v[44:45], -v[4:5]
	scratch_store_b128 off, v[2:5], off offset:416
	v_cmpx_lt_u32_e32 25, v166
	s_cbranch_execz .LBB123_323
; %bb.322:
	scratch_load_b128 v[5:8], v222, off
	v_mov_b32_e32 v2, v1
	v_mov_b32_e32 v3, v1
	;; [unrolled: 1-line block ×3, first 2 shown]
	scratch_store_b128 off, v[1:4], off offset:400
	s_waitcnt vmcnt(0)
	ds_store_b128 v226, v[5:8]
.LBB123_323:
	s_or_b32 exec_lo, exec_lo, s2
	s_waitcnt lgkmcnt(0)
	s_waitcnt_vscnt null, 0x0
	s_barrier
	buffer_gl0_inv
	s_clause 0x8
	scratch_load_b128 v[2:5], off, off offset:416
	scratch_load_b128 v[6:9], off, off offset:432
	;; [unrolled: 1-line block ×9, first 2 shown]
	ds_load_b128 v[42:45], v1 offset:1376
	ds_load_b128 v[38:41], v1 offset:1392
	s_clause 0x1
	scratch_load_b128 v[48:51], off, off offset:400
	scratch_load_b128 v[176:179], off, off offset:560
	s_mov_b32 s2, exec_lo
	ds_load_b128 v[180:183], v1 offset:1424
	s_waitcnt vmcnt(10) lgkmcnt(2)
	v_mul_f64 v[52:53], v[44:45], v[4:5]
	v_mul_f64 v[4:5], v[42:43], v[4:5]
	s_waitcnt vmcnt(9) lgkmcnt(1)
	v_mul_f64 v[54:55], v[38:39], v[8:9]
	v_mul_f64 v[8:9], v[40:41], v[8:9]
	s_delay_alu instid0(VALU_DEP_4) | instskip(NEXT) | instid1(VALU_DEP_4)
	v_fma_f64 v[52:53], v[42:43], v[2:3], -v[52:53]
	v_fma_f64 v[56:57], v[44:45], v[2:3], v[4:5]
	ds_load_b128 v[2:5], v1 offset:1408
	scratch_load_b128 v[42:45], off, off offset:576
	v_fma_f64 v[40:41], v[40:41], v[6:7], v[54:55]
	v_fma_f64 v[38:39], v[38:39], v[6:7], -v[8:9]
	scratch_load_b128 v[6:9], off, off offset:592
	s_waitcnt vmcnt(10) lgkmcnt(0)
	v_mul_f64 v[58:59], v[2:3], v[12:13]
	v_mul_f64 v[12:13], v[4:5], v[12:13]
	v_add_f64 v[52:53], v[52:53], 0
	v_add_f64 v[54:55], v[56:57], 0
	s_waitcnt vmcnt(9)
	v_mul_f64 v[56:57], v[180:181], v[16:17]
	v_mul_f64 v[16:17], v[182:183], v[16:17]
	v_fma_f64 v[58:59], v[4:5], v[10:11], v[58:59]
	v_fma_f64 v[60:61], v[2:3], v[10:11], -v[12:13]
	ds_load_b128 v[2:5], v1 offset:1440
	scratch_load_b128 v[10:13], off, off offset:608
	v_add_f64 v[52:53], v[52:53], v[38:39]
	v_add_f64 v[54:55], v[54:55], v[40:41]
	ds_load_b128 v[38:41], v1 offset:1456
	v_fma_f64 v[56:57], v[182:183], v[14:15], v[56:57]
	v_fma_f64 v[64:65], v[180:181], v[14:15], -v[16:17]
	scratch_load_b128 v[14:17], off, off offset:624
	s_waitcnt vmcnt(10) lgkmcnt(1)
	v_mul_f64 v[62:63], v[2:3], v[20:21]
	v_mul_f64 v[20:21], v[4:5], v[20:21]
	ds_load_b128 v[180:183], v1 offset:1488
	v_add_f64 v[52:53], v[52:53], v[60:61]
	v_add_f64 v[54:55], v[54:55], v[58:59]
	s_waitcnt vmcnt(9) lgkmcnt(1)
	v_mul_f64 v[58:59], v[38:39], v[24:25]
	v_mul_f64 v[24:25], v[40:41], v[24:25]
	v_fma_f64 v[60:61], v[4:5], v[18:19], v[62:63]
	v_fma_f64 v[62:63], v[2:3], v[18:19], -v[20:21]
	ds_load_b128 v[2:5], v1 offset:1472
	scratch_load_b128 v[18:21], off, off offset:640
	v_add_f64 v[52:53], v[52:53], v[64:65]
	v_add_f64 v[54:55], v[54:55], v[56:57]
	s_waitcnt vmcnt(9) lgkmcnt(0)
	v_mul_f64 v[56:57], v[2:3], v[28:29]
	v_mul_f64 v[28:29], v[4:5], v[28:29]
	v_fma_f64 v[40:41], v[40:41], v[22:23], v[58:59]
	v_fma_f64 v[38:39], v[38:39], v[22:23], -v[24:25]
	scratch_load_b128 v[22:25], off, off offset:656
	s_waitcnt vmcnt(9)
	v_mul_f64 v[58:59], v[180:181], v[32:33]
	v_mul_f64 v[32:33], v[182:183], v[32:33]
	v_add_f64 v[52:53], v[52:53], v[62:63]
	v_add_f64 v[54:55], v[54:55], v[60:61]
	v_fma_f64 v[56:57], v[4:5], v[26:27], v[56:57]
	v_fma_f64 v[60:61], v[2:3], v[26:27], -v[28:29]
	ds_load_b128 v[2:5], v1 offset:1504
	scratch_load_b128 v[26:29], off, off offset:672
	v_fma_f64 v[58:59], v[182:183], v[30:31], v[58:59]
	v_fma_f64 v[64:65], v[180:181], v[30:31], -v[32:33]
	scratch_load_b128 v[30:33], off, off offset:688
	ds_load_b128 v[182:185], v1 offset:1584
	v_add_f64 v[52:53], v[52:53], v[38:39]
	v_add_f64 v[54:55], v[54:55], v[40:41]
	ds_load_b128 v[38:41], v1 offset:1520
	s_waitcnt vmcnt(10) lgkmcnt(2)
	v_mul_f64 v[62:63], v[2:3], v[36:37]
	v_mul_f64 v[36:37], v[4:5], v[36:37]
	v_add_f64 v[52:53], v[52:53], v[60:61]
	v_add_f64 v[54:55], v[54:55], v[56:57]
	s_waitcnt vmcnt(8) lgkmcnt(0)
	v_mul_f64 v[56:57], v[38:39], v[178:179]
	v_mul_f64 v[60:61], v[40:41], v[178:179]
	v_fma_f64 v[62:63], v[4:5], v[34:35], v[62:63]
	v_fma_f64 v[66:67], v[2:3], v[34:35], -v[36:37]
	ds_load_b128 v[2:5], v1 offset:1536
	ds_load_b128 v[178:181], v1 offset:1552
	scratch_load_b128 v[34:37], off, off offset:704
	v_add_f64 v[52:53], v[52:53], v[64:65]
	v_add_f64 v[54:55], v[54:55], v[58:59]
	v_fma_f64 v[56:57], v[40:41], v[176:177], v[56:57]
	v_fma_f64 v[60:61], v[38:39], v[176:177], -v[60:61]
	scratch_load_b128 v[38:41], off, off offset:720
	s_waitcnt vmcnt(9) lgkmcnt(1)
	v_mul_f64 v[58:59], v[2:3], v[44:45]
	v_mul_f64 v[44:45], v[4:5], v[44:45]
	v_add_f64 v[52:53], v[52:53], v[66:67]
	v_add_f64 v[54:55], v[54:55], v[62:63]
	s_waitcnt vmcnt(8) lgkmcnt(0)
	v_mul_f64 v[62:63], v[178:179], v[8:9]
	v_mul_f64 v[8:9], v[180:181], v[8:9]
	v_fma_f64 v[58:59], v[4:5], v[42:43], v[58:59]
	v_fma_f64 v[64:65], v[2:3], v[42:43], -v[44:45]
	ds_load_b128 v[2:5], v1 offset:1568
	scratch_load_b128 v[42:45], off, off offset:736
	v_add_f64 v[52:53], v[52:53], v[60:61]
	v_add_f64 v[54:55], v[54:55], v[56:57]
	v_fma_f64 v[60:61], v[180:181], v[6:7], v[62:63]
	s_waitcnt vmcnt(8) lgkmcnt(0)
	v_mul_f64 v[56:57], v[2:3], v[12:13]
	v_mul_f64 v[12:13], v[4:5], v[12:13]
	v_fma_f64 v[62:63], v[178:179], v[6:7], -v[8:9]
	scratch_load_b128 v[6:9], off, off offset:752
	ds_load_b128 v[176:179], v1 offset:1616
	v_add_f64 v[52:53], v[52:53], v[64:65]
	v_add_f64 v[54:55], v[54:55], v[58:59]
	s_waitcnt vmcnt(8)
	v_mul_f64 v[58:59], v[182:183], v[16:17]
	v_mul_f64 v[16:17], v[184:185], v[16:17]
	v_fma_f64 v[56:57], v[4:5], v[10:11], v[56:57]
	v_fma_f64 v[64:65], v[2:3], v[10:11], -v[12:13]
	ds_load_b128 v[2:5], v1 offset:1600
	scratch_load_b128 v[10:13], off, off offset:768
	v_add_f64 v[52:53], v[52:53], v[62:63]
	v_add_f64 v[54:55], v[54:55], v[60:61]
	s_waitcnt vmcnt(8) lgkmcnt(0)
	v_mul_f64 v[60:61], v[2:3], v[20:21]
	v_mul_f64 v[20:21], v[4:5], v[20:21]
	v_fma_f64 v[58:59], v[184:185], v[14:15], v[58:59]
	v_fma_f64 v[62:63], v[182:183], v[14:15], -v[16:17]
	scratch_load_b128 v[14:17], off, off offset:784
	ds_load_b128 v[180:183], v1 offset:1648
	v_add_f64 v[52:53], v[52:53], v[64:65]
	v_add_f64 v[54:55], v[54:55], v[56:57]
	s_waitcnt vmcnt(8)
	v_mul_f64 v[56:57], v[176:177], v[24:25]
	v_mul_f64 v[24:25], v[178:179], v[24:25]
	v_fma_f64 v[60:61], v[4:5], v[18:19], v[60:61]
	v_fma_f64 v[64:65], v[2:3], v[18:19], -v[20:21]
	ds_load_b128 v[2:5], v1 offset:1632
	scratch_load_b128 v[18:21], off, off offset:800
	v_add_f64 v[52:53], v[52:53], v[62:63]
	v_add_f64 v[54:55], v[54:55], v[58:59]
	s_waitcnt vmcnt(8) lgkmcnt(0)
	v_mul_f64 v[58:59], v[2:3], v[28:29]
	v_mul_f64 v[28:29], v[4:5], v[28:29]
	v_fma_f64 v[56:57], v[178:179], v[22:23], v[56:57]
	;; [unrolled: 18-line block ×6, first 2 shown]
	v_fma_f64 v[62:63], v[176:177], v[14:15], -v[16:17]
	scratch_load_b128 v[14:17], off, off offset:944
	v_add_f64 v[52:53], v[52:53], v[64:65]
	v_add_f64 v[54:55], v[54:55], v[58:59]
	s_waitcnt vmcnt(8)
	v_mul_f64 v[58:59], v[180:181], v[24:25]
	v_mul_f64 v[24:25], v[182:183], v[24:25]
	v_fma_f64 v[56:57], v[4:5], v[18:19], v[56:57]
	v_fma_f64 v[64:65], v[2:3], v[18:19], -v[20:21]
	ds_load_b128 v[2:5], v1 offset:1792
	ds_load_b128 v[18:21], v1 offset:1808
	v_add_f64 v[52:53], v[52:53], v[62:63]
	v_add_f64 v[54:55], v[54:55], v[60:61]
	s_waitcnt vmcnt(7) lgkmcnt(1)
	v_mul_f64 v[60:61], v[2:3], v[28:29]
	v_mul_f64 v[28:29], v[4:5], v[28:29]
	v_fma_f64 v[58:59], v[182:183], v[22:23], v[58:59]
	v_fma_f64 v[22:23], v[180:181], v[22:23], -v[24:25]
	v_add_f64 v[24:25], v[52:53], v[64:65]
	v_add_f64 v[52:53], v[54:55], v[56:57]
	s_waitcnt vmcnt(6) lgkmcnt(0)
	v_mul_f64 v[54:55], v[18:19], v[32:33]
	v_mul_f64 v[32:33], v[20:21], v[32:33]
	v_fma_f64 v[56:57], v[4:5], v[26:27], v[60:61]
	v_fma_f64 v[26:27], v[2:3], v[26:27], -v[28:29]
	v_add_f64 v[28:29], v[24:25], v[22:23]
	v_add_f64 v[52:53], v[52:53], v[58:59]
	ds_load_b128 v[2:5], v1 offset:1824
	ds_load_b128 v[22:25], v1 offset:1840
	v_fma_f64 v[20:21], v[20:21], v[30:31], v[54:55]
	v_fma_f64 v[18:19], v[18:19], v[30:31], -v[32:33]
	s_waitcnt vmcnt(5) lgkmcnt(1)
	v_mul_f64 v[58:59], v[2:3], v[36:37]
	v_mul_f64 v[36:37], v[4:5], v[36:37]
	s_waitcnt vmcnt(4) lgkmcnt(0)
	v_mul_f64 v[30:31], v[22:23], v[40:41]
	v_mul_f64 v[32:33], v[24:25], v[40:41]
	v_add_f64 v[26:27], v[28:29], v[26:27]
	v_add_f64 v[28:29], v[52:53], v[56:57]
	v_fma_f64 v[40:41], v[4:5], v[34:35], v[58:59]
	v_fma_f64 v[34:35], v[2:3], v[34:35], -v[36:37]
	v_fma_f64 v[24:25], v[24:25], v[38:39], v[30:31]
	v_fma_f64 v[22:23], v[22:23], v[38:39], -v[32:33]
	v_add_f64 v[26:27], v[26:27], v[18:19]
	v_add_f64 v[28:29], v[28:29], v[20:21]
	ds_load_b128 v[2:5], v1 offset:1856
	ds_load_b128 v[18:21], v1 offset:1872
	s_waitcnt vmcnt(3) lgkmcnt(1)
	v_mul_f64 v[36:37], v[2:3], v[44:45]
	v_mul_f64 v[44:45], v[4:5], v[44:45]
	s_waitcnt vmcnt(2) lgkmcnt(0)
	v_mul_f64 v[30:31], v[18:19], v[8:9]
	v_mul_f64 v[8:9], v[20:21], v[8:9]
	v_add_f64 v[26:27], v[26:27], v[34:35]
	v_add_f64 v[28:29], v[28:29], v[40:41]
	v_fma_f64 v[32:33], v[4:5], v[42:43], v[36:37]
	v_fma_f64 v[34:35], v[2:3], v[42:43], -v[44:45]
	v_fma_f64 v[20:21], v[20:21], v[6:7], v[30:31]
	v_fma_f64 v[6:7], v[18:19], v[6:7], -v[8:9]
	v_add_f64 v[26:27], v[26:27], v[22:23]
	v_add_f64 v[28:29], v[28:29], v[24:25]
	ds_load_b128 v[2:5], v1 offset:1888
	ds_load_b128 v[22:25], v1 offset:1904
	s_waitcnt vmcnt(1) lgkmcnt(1)
	v_mul_f64 v[36:37], v[2:3], v[12:13]
	v_mul_f64 v[12:13], v[4:5], v[12:13]
	v_add_f64 v[8:9], v[26:27], v[34:35]
	v_add_f64 v[18:19], v[28:29], v[32:33]
	s_waitcnt vmcnt(0) lgkmcnt(0)
	v_mul_f64 v[26:27], v[22:23], v[16:17]
	v_mul_f64 v[16:17], v[24:25], v[16:17]
	v_fma_f64 v[4:5], v[4:5], v[10:11], v[36:37]
	v_fma_f64 v[1:2], v[2:3], v[10:11], -v[12:13]
	v_add_f64 v[6:7], v[8:9], v[6:7]
	v_add_f64 v[8:9], v[18:19], v[20:21]
	v_fma_f64 v[10:11], v[24:25], v[14:15], v[26:27]
	v_fma_f64 v[12:13], v[22:23], v[14:15], -v[16:17]
	s_delay_alu instid0(VALU_DEP_4) | instskip(NEXT) | instid1(VALU_DEP_4)
	v_add_f64 v[1:2], v[6:7], v[1:2]
	v_add_f64 v[3:4], v[8:9], v[4:5]
	s_delay_alu instid0(VALU_DEP_2) | instskip(NEXT) | instid1(VALU_DEP_2)
	v_add_f64 v[1:2], v[1:2], v[12:13]
	v_add_f64 v[3:4], v[3:4], v[10:11]
	s_delay_alu instid0(VALU_DEP_2) | instskip(NEXT) | instid1(VALU_DEP_2)
	v_add_f64 v[1:2], v[48:49], -v[1:2]
	v_add_f64 v[3:4], v[50:51], -v[3:4]
	scratch_store_b128 off, v[1:4], off offset:400
	v_cmpx_lt_u32_e32 24, v166
	s_cbranch_execz .LBB123_325
; %bb.324:
	scratch_load_b128 v[1:4], v245, off
	v_mov_b32_e32 v5, 0
	s_delay_alu instid0(VALU_DEP_1)
	v_mov_b32_e32 v6, v5
	v_mov_b32_e32 v7, v5
	;; [unrolled: 1-line block ×3, first 2 shown]
	scratch_store_b128 off, v[5:8], off offset:384
	s_waitcnt vmcnt(0)
	ds_store_b128 v226, v[1:4]
.LBB123_325:
	s_or_b32 exec_lo, exec_lo, s2
	s_waitcnt lgkmcnt(0)
	s_waitcnt_vscnt null, 0x0
	s_barrier
	buffer_gl0_inv
	s_clause 0x7
	scratch_load_b128 v[2:5], off, off offset:400
	scratch_load_b128 v[6:9], off, off offset:416
	;; [unrolled: 1-line block ×8, first 2 shown]
	v_mov_b32_e32 v1, 0
	s_mov_b32 s2, exec_lo
	ds_load_b128 v[38:41], v1 offset:1360
	s_clause 0x1
	scratch_load_b128 v[34:37], off, off offset:528
	scratch_load_b128 v[42:45], off, off offset:384
	ds_load_b128 v[48:51], v1 offset:1376
	scratch_load_b128 v[176:179], off, off offset:544
	ds_load_b128 v[180:183], v1 offset:1408
	s_waitcnt vmcnt(10) lgkmcnt(2)
	v_mul_f64 v[52:53], v[40:41], v[4:5]
	v_mul_f64 v[4:5], v[38:39], v[4:5]
	s_delay_alu instid0(VALU_DEP_2) | instskip(NEXT) | instid1(VALU_DEP_2)
	v_fma_f64 v[52:53], v[38:39], v[2:3], -v[52:53]
	v_fma_f64 v[56:57], v[40:41], v[2:3], v[4:5]
	ds_load_b128 v[2:5], v1 offset:1392
	s_waitcnt vmcnt(9) lgkmcnt(2)
	v_mul_f64 v[54:55], v[48:49], v[8:9]
	v_mul_f64 v[8:9], v[50:51], v[8:9]
	scratch_load_b128 v[38:41], off, off offset:560
	s_waitcnt vmcnt(9) lgkmcnt(0)
	v_mul_f64 v[58:59], v[2:3], v[12:13]
	v_mul_f64 v[12:13], v[4:5], v[12:13]
	v_add_f64 v[52:53], v[52:53], 0
	v_fma_f64 v[50:51], v[50:51], v[6:7], v[54:55]
	v_fma_f64 v[48:49], v[48:49], v[6:7], -v[8:9]
	v_add_f64 v[54:55], v[56:57], 0
	scratch_load_b128 v[6:9], off, off offset:576
	v_fma_f64 v[58:59], v[4:5], v[10:11], v[58:59]
	v_fma_f64 v[60:61], v[2:3], v[10:11], -v[12:13]
	scratch_load_b128 v[10:13], off, off offset:592
	ds_load_b128 v[2:5], v1 offset:1424
	s_waitcnt vmcnt(10)
	v_mul_f64 v[56:57], v[180:181], v[16:17]
	v_mul_f64 v[16:17], v[182:183], v[16:17]
	v_add_f64 v[52:53], v[52:53], v[48:49]
	v_add_f64 v[54:55], v[54:55], v[50:51]
	ds_load_b128 v[48:51], v1 offset:1440
	s_waitcnt vmcnt(9) lgkmcnt(1)
	v_mul_f64 v[62:63], v[2:3], v[20:21]
	v_mul_f64 v[20:21], v[4:5], v[20:21]
	v_fma_f64 v[56:57], v[182:183], v[14:15], v[56:57]
	v_fma_f64 v[64:65], v[180:181], v[14:15], -v[16:17]
	scratch_load_b128 v[14:17], off, off offset:608
	ds_load_b128 v[180:183], v1 offset:1472
	v_add_f64 v[52:53], v[52:53], v[60:61]
	v_add_f64 v[54:55], v[54:55], v[58:59]
	v_fma_f64 v[60:61], v[4:5], v[18:19], v[62:63]
	v_fma_f64 v[62:63], v[2:3], v[18:19], -v[20:21]
	ds_load_b128 v[2:5], v1 offset:1456
	s_waitcnt vmcnt(9) lgkmcnt(2)
	v_mul_f64 v[58:59], v[48:49], v[24:25]
	v_mul_f64 v[24:25], v[50:51], v[24:25]
	scratch_load_b128 v[18:21], off, off offset:624
	v_add_f64 v[52:53], v[52:53], v[64:65]
	v_add_f64 v[54:55], v[54:55], v[56:57]
	s_waitcnt vmcnt(9) lgkmcnt(0)
	v_mul_f64 v[56:57], v[2:3], v[28:29]
	v_mul_f64 v[28:29], v[4:5], v[28:29]
	v_fma_f64 v[50:51], v[50:51], v[22:23], v[58:59]
	v_fma_f64 v[48:49], v[48:49], v[22:23], -v[24:25]
	scratch_load_b128 v[22:25], off, off offset:640
	v_add_f64 v[52:53], v[52:53], v[62:63]
	v_add_f64 v[54:55], v[54:55], v[60:61]
	v_fma_f64 v[56:57], v[4:5], v[26:27], v[56:57]
	v_fma_f64 v[60:61], v[2:3], v[26:27], -v[28:29]
	scratch_load_b128 v[26:29], off, off offset:656
	ds_load_b128 v[2:5], v1 offset:1488
	s_waitcnt vmcnt(10)
	v_mul_f64 v[58:59], v[180:181], v[32:33]
	v_mul_f64 v[32:33], v[182:183], v[32:33]
	s_waitcnt vmcnt(9) lgkmcnt(0)
	v_mul_f64 v[62:63], v[2:3], v[36:37]
	v_mul_f64 v[36:37], v[4:5], v[36:37]
	v_add_f64 v[52:53], v[52:53], v[48:49]
	v_add_f64 v[54:55], v[54:55], v[50:51]
	ds_load_b128 v[48:51], v1 offset:1504
	v_fma_f64 v[58:59], v[182:183], v[30:31], v[58:59]
	v_fma_f64 v[64:65], v[180:181], v[30:31], -v[32:33]
	scratch_load_b128 v[30:33], off, off offset:672
	ds_load_b128 v[182:185], v1 offset:1568
	v_fma_f64 v[62:63], v[4:5], v[34:35], v[62:63]
	v_fma_f64 v[66:67], v[2:3], v[34:35], -v[36:37]
	ds_load_b128 v[2:5], v1 offset:1520
	scratch_load_b128 v[34:37], off, off offset:688
	v_add_f64 v[52:53], v[52:53], v[60:61]
	v_add_f64 v[54:55], v[54:55], v[56:57]
	s_waitcnt vmcnt(9) lgkmcnt(2)
	v_mul_f64 v[56:57], v[48:49], v[178:179]
	v_mul_f64 v[60:61], v[50:51], v[178:179]
	ds_load_b128 v[178:181], v1 offset:1536
	v_add_f64 v[52:53], v[52:53], v[64:65]
	v_add_f64 v[54:55], v[54:55], v[58:59]
	v_fma_f64 v[56:57], v[50:51], v[176:177], v[56:57]
	v_fma_f64 v[60:61], v[48:49], v[176:177], -v[60:61]
	scratch_load_b128 v[48:51], off, off offset:704
	s_waitcnt vmcnt(9) lgkmcnt(1)
	v_mul_f64 v[58:59], v[2:3], v[40:41]
	v_mul_f64 v[40:41], v[4:5], v[40:41]
	v_add_f64 v[52:53], v[52:53], v[66:67]
	v_add_f64 v[54:55], v[54:55], v[62:63]
	s_delay_alu instid0(VALU_DEP_4) | instskip(NEXT) | instid1(VALU_DEP_4)
	v_fma_f64 v[58:59], v[4:5], v[38:39], v[58:59]
	v_fma_f64 v[64:65], v[2:3], v[38:39], -v[40:41]
	scratch_load_b128 v[38:41], off, off offset:720
	ds_load_b128 v[2:5], v1 offset:1552
	s_waitcnt vmcnt(9) lgkmcnt(1)
	v_mul_f64 v[62:63], v[178:179], v[8:9]
	v_mul_f64 v[8:9], v[180:181], v[8:9]
	v_add_f64 v[52:53], v[52:53], v[60:61]
	v_add_f64 v[54:55], v[54:55], v[56:57]
	s_waitcnt vmcnt(8) lgkmcnt(0)
	v_mul_f64 v[56:57], v[2:3], v[12:13]
	v_mul_f64 v[12:13], v[4:5], v[12:13]
	v_fma_f64 v[60:61], v[180:181], v[6:7], v[62:63]
	v_fma_f64 v[62:63], v[178:179], v[6:7], -v[8:9]
	scratch_load_b128 v[6:9], off, off offset:736
	ds_load_b128 v[176:179], v1 offset:1600
	v_add_f64 v[52:53], v[52:53], v[64:65]
	v_add_f64 v[54:55], v[54:55], v[58:59]
	v_fma_f64 v[56:57], v[4:5], v[10:11], v[56:57]
	v_fma_f64 v[64:65], v[2:3], v[10:11], -v[12:13]
	ds_load_b128 v[2:5], v1 offset:1584
	s_waitcnt vmcnt(8)
	v_mul_f64 v[58:59], v[182:183], v[16:17]
	v_mul_f64 v[16:17], v[184:185], v[16:17]
	scratch_load_b128 v[10:13], off, off offset:752
	v_add_f64 v[52:53], v[52:53], v[62:63]
	v_add_f64 v[54:55], v[54:55], v[60:61]
	s_waitcnt vmcnt(8) lgkmcnt(0)
	v_mul_f64 v[60:61], v[2:3], v[20:21]
	v_mul_f64 v[20:21], v[4:5], v[20:21]
	v_fma_f64 v[58:59], v[184:185], v[14:15], v[58:59]
	v_fma_f64 v[62:63], v[182:183], v[14:15], -v[16:17]
	scratch_load_b128 v[14:17], off, off offset:768
	ds_load_b128 v[180:183], v1 offset:1632
	v_add_f64 v[52:53], v[52:53], v[64:65]
	v_add_f64 v[54:55], v[54:55], v[56:57]
	v_fma_f64 v[60:61], v[4:5], v[18:19], v[60:61]
	v_fma_f64 v[64:65], v[2:3], v[18:19], -v[20:21]
	ds_load_b128 v[2:5], v1 offset:1616
	s_waitcnt vmcnt(8)
	v_mul_f64 v[56:57], v[176:177], v[24:25]
	v_mul_f64 v[24:25], v[178:179], v[24:25]
	scratch_load_b128 v[18:21], off, off offset:784
	;; [unrolled: 18-line block ×6, first 2 shown]
	v_add_f64 v[52:53], v[52:53], v[62:63]
	v_add_f64 v[54:55], v[54:55], v[56:57]
	s_waitcnt vmcnt(8) lgkmcnt(0)
	v_mul_f64 v[56:57], v[2:3], v[20:21]
	v_mul_f64 v[20:21], v[4:5], v[20:21]
	v_fma_f64 v[60:61], v[178:179], v[14:15], v[60:61]
	v_fma_f64 v[62:63], v[176:177], v[14:15], -v[16:17]
	scratch_load_b128 v[14:17], off, off offset:928
	ds_load_b128 v[176:179], v1 offset:1792
	v_add_f64 v[52:53], v[52:53], v[64:65]
	v_add_f64 v[54:55], v[54:55], v[58:59]
	v_fma_f64 v[56:57], v[4:5], v[18:19], v[56:57]
	v_fma_f64 v[64:65], v[2:3], v[18:19], -v[20:21]
	scratch_load_b128 v[18:21], off, off offset:944
	ds_load_b128 v[2:5], v1 offset:1776
	s_waitcnt vmcnt(9)
	v_mul_f64 v[58:59], v[180:181], v[24:25]
	v_mul_f64 v[24:25], v[182:183], v[24:25]
	v_add_f64 v[52:53], v[52:53], v[62:63]
	v_add_f64 v[54:55], v[54:55], v[60:61]
	s_waitcnt vmcnt(8) lgkmcnt(0)
	v_mul_f64 v[60:61], v[2:3], v[28:29]
	v_mul_f64 v[28:29], v[4:5], v[28:29]
	v_fma_f64 v[58:59], v[182:183], v[22:23], v[58:59]
	v_fma_f64 v[22:23], v[180:181], v[22:23], -v[24:25]
	v_add_f64 v[24:25], v[52:53], v[64:65]
	v_add_f64 v[52:53], v[54:55], v[56:57]
	s_waitcnt vmcnt(7)
	v_mul_f64 v[54:55], v[176:177], v[32:33]
	v_mul_f64 v[32:33], v[178:179], v[32:33]
	v_fma_f64 v[56:57], v[4:5], v[26:27], v[60:61]
	v_fma_f64 v[26:27], v[2:3], v[26:27], -v[28:29]
	v_add_f64 v[28:29], v[24:25], v[22:23]
	v_add_f64 v[52:53], v[52:53], v[58:59]
	ds_load_b128 v[2:5], v1 offset:1808
	ds_load_b128 v[22:25], v1 offset:1824
	v_fma_f64 v[54:55], v[178:179], v[30:31], v[54:55]
	v_fma_f64 v[30:31], v[176:177], v[30:31], -v[32:33]
	s_waitcnt vmcnt(6) lgkmcnt(1)
	v_mul_f64 v[58:59], v[2:3], v[36:37]
	v_mul_f64 v[36:37], v[4:5], v[36:37]
	s_waitcnt vmcnt(5) lgkmcnt(0)
	v_mul_f64 v[32:33], v[22:23], v[50:51]
	v_mul_f64 v[50:51], v[24:25], v[50:51]
	v_add_f64 v[26:27], v[28:29], v[26:27]
	v_add_f64 v[28:29], v[52:53], v[56:57]
	v_fma_f64 v[52:53], v[4:5], v[34:35], v[58:59]
	v_fma_f64 v[34:35], v[2:3], v[34:35], -v[36:37]
	v_fma_f64 v[24:25], v[24:25], v[48:49], v[32:33]
	v_fma_f64 v[22:23], v[22:23], v[48:49], -v[50:51]
	v_add_f64 v[30:31], v[26:27], v[30:31]
	v_add_f64 v[36:37], v[28:29], v[54:55]
	ds_load_b128 v[2:5], v1 offset:1840
	ds_load_b128 v[26:29], v1 offset:1856
	s_waitcnt vmcnt(4) lgkmcnt(1)
	v_mul_f64 v[54:55], v[2:3], v[40:41]
	v_mul_f64 v[40:41], v[4:5], v[40:41]
	v_add_f64 v[30:31], v[30:31], v[34:35]
	v_add_f64 v[32:33], v[36:37], v[52:53]
	s_waitcnt vmcnt(3) lgkmcnt(0)
	v_mul_f64 v[34:35], v[26:27], v[8:9]
	v_mul_f64 v[8:9], v[28:29], v[8:9]
	v_fma_f64 v[36:37], v[4:5], v[38:39], v[54:55]
	v_fma_f64 v[38:39], v[2:3], v[38:39], -v[40:41]
	v_add_f64 v[30:31], v[30:31], v[22:23]
	v_add_f64 v[32:33], v[32:33], v[24:25]
	ds_load_b128 v[2:5], v1 offset:1872
	ds_load_b128 v[22:25], v1 offset:1888
	v_fma_f64 v[28:29], v[28:29], v[6:7], v[34:35]
	v_fma_f64 v[6:7], v[26:27], v[6:7], -v[8:9]
	s_waitcnt vmcnt(2) lgkmcnt(1)
	v_mul_f64 v[40:41], v[2:3], v[12:13]
	v_mul_f64 v[12:13], v[4:5], v[12:13]
	v_add_f64 v[8:9], v[30:31], v[38:39]
	v_add_f64 v[26:27], v[32:33], v[36:37]
	s_waitcnt vmcnt(1) lgkmcnt(0)
	v_mul_f64 v[30:31], v[22:23], v[16:17]
	v_mul_f64 v[16:17], v[24:25], v[16:17]
	v_fma_f64 v[32:33], v[4:5], v[10:11], v[40:41]
	v_fma_f64 v[10:11], v[2:3], v[10:11], -v[12:13]
	ds_load_b128 v[2:5], v1 offset:1904
	v_add_f64 v[6:7], v[8:9], v[6:7]
	v_add_f64 v[8:9], v[26:27], v[28:29]
	v_fma_f64 v[24:25], v[24:25], v[14:15], v[30:31]
	v_fma_f64 v[14:15], v[22:23], v[14:15], -v[16:17]
	s_waitcnt vmcnt(0) lgkmcnt(0)
	v_mul_f64 v[12:13], v[2:3], v[20:21]
	v_mul_f64 v[20:21], v[4:5], v[20:21]
	v_add_f64 v[6:7], v[6:7], v[10:11]
	v_add_f64 v[8:9], v[8:9], v[32:33]
	s_delay_alu instid0(VALU_DEP_4) | instskip(NEXT) | instid1(VALU_DEP_4)
	v_fma_f64 v[4:5], v[4:5], v[18:19], v[12:13]
	v_fma_f64 v[2:3], v[2:3], v[18:19], -v[20:21]
	s_delay_alu instid0(VALU_DEP_4) | instskip(NEXT) | instid1(VALU_DEP_4)
	v_add_f64 v[6:7], v[6:7], v[14:15]
	v_add_f64 v[8:9], v[8:9], v[24:25]
	s_delay_alu instid0(VALU_DEP_2) | instskip(NEXT) | instid1(VALU_DEP_2)
	v_add_f64 v[2:3], v[6:7], v[2:3]
	v_add_f64 v[4:5], v[8:9], v[4:5]
	s_delay_alu instid0(VALU_DEP_2) | instskip(NEXT) | instid1(VALU_DEP_2)
	v_add_f64 v[2:3], v[42:43], -v[2:3]
	v_add_f64 v[4:5], v[44:45], -v[4:5]
	scratch_store_b128 off, v[2:5], off offset:384
	v_cmpx_lt_u32_e32 23, v166
	s_cbranch_execz .LBB123_327
; %bb.326:
	scratch_load_b128 v[5:8], v241, off
	v_mov_b32_e32 v2, v1
	v_mov_b32_e32 v3, v1
	;; [unrolled: 1-line block ×3, first 2 shown]
	scratch_store_b128 off, v[1:4], off offset:368
	s_waitcnt vmcnt(0)
	ds_store_b128 v226, v[5:8]
.LBB123_327:
	s_or_b32 exec_lo, exec_lo, s2
	s_waitcnt lgkmcnt(0)
	s_waitcnt_vscnt null, 0x0
	s_barrier
	buffer_gl0_inv
	s_clause 0x8
	scratch_load_b128 v[2:5], off, off offset:384
	scratch_load_b128 v[6:9], off, off offset:400
	;; [unrolled: 1-line block ×9, first 2 shown]
	ds_load_b128 v[42:45], v1 offset:1344
	ds_load_b128 v[38:41], v1 offset:1360
	s_clause 0x1
	scratch_load_b128 v[48:51], off, off offset:368
	scratch_load_b128 v[176:179], off, off offset:528
	s_mov_b32 s2, exec_lo
	ds_load_b128 v[180:183], v1 offset:1392
	s_waitcnt vmcnt(10) lgkmcnt(2)
	v_mul_f64 v[52:53], v[44:45], v[4:5]
	v_mul_f64 v[4:5], v[42:43], v[4:5]
	s_waitcnt vmcnt(9) lgkmcnt(1)
	v_mul_f64 v[54:55], v[38:39], v[8:9]
	v_mul_f64 v[8:9], v[40:41], v[8:9]
	s_delay_alu instid0(VALU_DEP_4) | instskip(NEXT) | instid1(VALU_DEP_4)
	v_fma_f64 v[52:53], v[42:43], v[2:3], -v[52:53]
	v_fma_f64 v[56:57], v[44:45], v[2:3], v[4:5]
	ds_load_b128 v[2:5], v1 offset:1376
	scratch_load_b128 v[42:45], off, off offset:544
	v_fma_f64 v[40:41], v[40:41], v[6:7], v[54:55]
	v_fma_f64 v[38:39], v[38:39], v[6:7], -v[8:9]
	scratch_load_b128 v[6:9], off, off offset:560
	s_waitcnt vmcnt(10) lgkmcnt(0)
	v_mul_f64 v[58:59], v[2:3], v[12:13]
	v_mul_f64 v[12:13], v[4:5], v[12:13]
	v_add_f64 v[52:53], v[52:53], 0
	v_add_f64 v[54:55], v[56:57], 0
	s_waitcnt vmcnt(9)
	v_mul_f64 v[56:57], v[180:181], v[16:17]
	v_mul_f64 v[16:17], v[182:183], v[16:17]
	v_fma_f64 v[58:59], v[4:5], v[10:11], v[58:59]
	v_fma_f64 v[60:61], v[2:3], v[10:11], -v[12:13]
	ds_load_b128 v[2:5], v1 offset:1408
	scratch_load_b128 v[10:13], off, off offset:576
	v_add_f64 v[52:53], v[52:53], v[38:39]
	v_add_f64 v[54:55], v[54:55], v[40:41]
	ds_load_b128 v[38:41], v1 offset:1424
	v_fma_f64 v[56:57], v[182:183], v[14:15], v[56:57]
	v_fma_f64 v[64:65], v[180:181], v[14:15], -v[16:17]
	scratch_load_b128 v[14:17], off, off offset:592
	s_waitcnt vmcnt(10) lgkmcnt(1)
	v_mul_f64 v[62:63], v[2:3], v[20:21]
	v_mul_f64 v[20:21], v[4:5], v[20:21]
	ds_load_b128 v[180:183], v1 offset:1456
	v_add_f64 v[52:53], v[52:53], v[60:61]
	v_add_f64 v[54:55], v[54:55], v[58:59]
	s_waitcnt vmcnt(9) lgkmcnt(1)
	v_mul_f64 v[58:59], v[38:39], v[24:25]
	v_mul_f64 v[24:25], v[40:41], v[24:25]
	v_fma_f64 v[60:61], v[4:5], v[18:19], v[62:63]
	v_fma_f64 v[62:63], v[2:3], v[18:19], -v[20:21]
	ds_load_b128 v[2:5], v1 offset:1440
	scratch_load_b128 v[18:21], off, off offset:608
	v_add_f64 v[52:53], v[52:53], v[64:65]
	v_add_f64 v[54:55], v[54:55], v[56:57]
	s_waitcnt vmcnt(9) lgkmcnt(0)
	v_mul_f64 v[56:57], v[2:3], v[28:29]
	v_mul_f64 v[28:29], v[4:5], v[28:29]
	v_fma_f64 v[40:41], v[40:41], v[22:23], v[58:59]
	v_fma_f64 v[38:39], v[38:39], v[22:23], -v[24:25]
	scratch_load_b128 v[22:25], off, off offset:624
	s_waitcnt vmcnt(9)
	v_mul_f64 v[58:59], v[180:181], v[32:33]
	v_mul_f64 v[32:33], v[182:183], v[32:33]
	v_add_f64 v[52:53], v[52:53], v[62:63]
	v_add_f64 v[54:55], v[54:55], v[60:61]
	v_fma_f64 v[56:57], v[4:5], v[26:27], v[56:57]
	v_fma_f64 v[60:61], v[2:3], v[26:27], -v[28:29]
	ds_load_b128 v[2:5], v1 offset:1472
	scratch_load_b128 v[26:29], off, off offset:640
	v_fma_f64 v[58:59], v[182:183], v[30:31], v[58:59]
	v_fma_f64 v[64:65], v[180:181], v[30:31], -v[32:33]
	scratch_load_b128 v[30:33], off, off offset:656
	ds_load_b128 v[182:185], v1 offset:1552
	v_add_f64 v[52:53], v[52:53], v[38:39]
	v_add_f64 v[54:55], v[54:55], v[40:41]
	ds_load_b128 v[38:41], v1 offset:1488
	s_waitcnt vmcnt(10) lgkmcnt(2)
	v_mul_f64 v[62:63], v[2:3], v[36:37]
	v_mul_f64 v[36:37], v[4:5], v[36:37]
	v_add_f64 v[52:53], v[52:53], v[60:61]
	v_add_f64 v[54:55], v[54:55], v[56:57]
	s_waitcnt vmcnt(8) lgkmcnt(0)
	v_mul_f64 v[56:57], v[38:39], v[178:179]
	v_mul_f64 v[60:61], v[40:41], v[178:179]
	v_fma_f64 v[62:63], v[4:5], v[34:35], v[62:63]
	v_fma_f64 v[66:67], v[2:3], v[34:35], -v[36:37]
	ds_load_b128 v[2:5], v1 offset:1504
	ds_load_b128 v[178:181], v1 offset:1520
	scratch_load_b128 v[34:37], off, off offset:672
	v_add_f64 v[52:53], v[52:53], v[64:65]
	v_add_f64 v[54:55], v[54:55], v[58:59]
	v_fma_f64 v[56:57], v[40:41], v[176:177], v[56:57]
	v_fma_f64 v[60:61], v[38:39], v[176:177], -v[60:61]
	scratch_load_b128 v[38:41], off, off offset:688
	s_waitcnt vmcnt(9) lgkmcnt(1)
	v_mul_f64 v[58:59], v[2:3], v[44:45]
	v_mul_f64 v[44:45], v[4:5], v[44:45]
	v_add_f64 v[52:53], v[52:53], v[66:67]
	v_add_f64 v[54:55], v[54:55], v[62:63]
	s_waitcnt vmcnt(8) lgkmcnt(0)
	v_mul_f64 v[62:63], v[178:179], v[8:9]
	v_mul_f64 v[8:9], v[180:181], v[8:9]
	v_fma_f64 v[58:59], v[4:5], v[42:43], v[58:59]
	v_fma_f64 v[64:65], v[2:3], v[42:43], -v[44:45]
	ds_load_b128 v[2:5], v1 offset:1536
	scratch_load_b128 v[42:45], off, off offset:704
	v_add_f64 v[52:53], v[52:53], v[60:61]
	v_add_f64 v[54:55], v[54:55], v[56:57]
	v_fma_f64 v[60:61], v[180:181], v[6:7], v[62:63]
	s_waitcnt vmcnt(8) lgkmcnt(0)
	v_mul_f64 v[56:57], v[2:3], v[12:13]
	v_mul_f64 v[12:13], v[4:5], v[12:13]
	v_fma_f64 v[62:63], v[178:179], v[6:7], -v[8:9]
	scratch_load_b128 v[6:9], off, off offset:720
	ds_load_b128 v[176:179], v1 offset:1584
	v_add_f64 v[52:53], v[52:53], v[64:65]
	v_add_f64 v[54:55], v[54:55], v[58:59]
	s_waitcnt vmcnt(8)
	v_mul_f64 v[58:59], v[182:183], v[16:17]
	v_mul_f64 v[16:17], v[184:185], v[16:17]
	v_fma_f64 v[56:57], v[4:5], v[10:11], v[56:57]
	v_fma_f64 v[64:65], v[2:3], v[10:11], -v[12:13]
	ds_load_b128 v[2:5], v1 offset:1568
	scratch_load_b128 v[10:13], off, off offset:736
	v_add_f64 v[52:53], v[52:53], v[62:63]
	v_add_f64 v[54:55], v[54:55], v[60:61]
	s_waitcnt vmcnt(8) lgkmcnt(0)
	v_mul_f64 v[60:61], v[2:3], v[20:21]
	v_mul_f64 v[20:21], v[4:5], v[20:21]
	v_fma_f64 v[58:59], v[184:185], v[14:15], v[58:59]
	v_fma_f64 v[62:63], v[182:183], v[14:15], -v[16:17]
	scratch_load_b128 v[14:17], off, off offset:752
	ds_load_b128 v[180:183], v1 offset:1616
	v_add_f64 v[52:53], v[52:53], v[64:65]
	v_add_f64 v[54:55], v[54:55], v[56:57]
	s_waitcnt vmcnt(8)
	v_mul_f64 v[56:57], v[176:177], v[24:25]
	v_mul_f64 v[24:25], v[178:179], v[24:25]
	v_fma_f64 v[60:61], v[4:5], v[18:19], v[60:61]
	v_fma_f64 v[64:65], v[2:3], v[18:19], -v[20:21]
	ds_load_b128 v[2:5], v1 offset:1600
	scratch_load_b128 v[18:21], off, off offset:768
	v_add_f64 v[52:53], v[52:53], v[62:63]
	v_add_f64 v[54:55], v[54:55], v[58:59]
	s_waitcnt vmcnt(8) lgkmcnt(0)
	v_mul_f64 v[58:59], v[2:3], v[28:29]
	v_mul_f64 v[28:29], v[4:5], v[28:29]
	v_fma_f64 v[56:57], v[178:179], v[22:23], v[56:57]
	;; [unrolled: 18-line block ×7, first 2 shown]
	v_fma_f64 v[62:63], v[180:181], v[22:23], -v[24:25]
	scratch_load_b128 v[22:25], off, off offset:944
	v_add_f64 v[52:53], v[52:53], v[64:65]
	v_add_f64 v[54:55], v[54:55], v[56:57]
	s_waitcnt vmcnt(8)
	v_mul_f64 v[56:57], v[176:177], v[32:33]
	v_mul_f64 v[32:33], v[178:179], v[32:33]
	v_fma_f64 v[60:61], v[4:5], v[26:27], v[60:61]
	v_fma_f64 v[64:65], v[2:3], v[26:27], -v[28:29]
	ds_load_b128 v[2:5], v1 offset:1792
	ds_load_b128 v[26:29], v1 offset:1808
	v_add_f64 v[52:53], v[52:53], v[62:63]
	v_add_f64 v[54:55], v[54:55], v[58:59]
	s_waitcnt vmcnt(7) lgkmcnt(1)
	v_mul_f64 v[58:59], v[2:3], v[36:37]
	v_mul_f64 v[36:37], v[4:5], v[36:37]
	v_fma_f64 v[56:57], v[178:179], v[30:31], v[56:57]
	v_fma_f64 v[30:31], v[176:177], v[30:31], -v[32:33]
	v_add_f64 v[32:33], v[52:53], v[64:65]
	v_add_f64 v[52:53], v[54:55], v[60:61]
	s_waitcnt vmcnt(6) lgkmcnt(0)
	v_mul_f64 v[54:55], v[26:27], v[40:41]
	v_mul_f64 v[40:41], v[28:29], v[40:41]
	v_fma_f64 v[58:59], v[4:5], v[34:35], v[58:59]
	v_fma_f64 v[34:35], v[2:3], v[34:35], -v[36:37]
	v_add_f64 v[36:37], v[32:33], v[30:31]
	v_add_f64 v[52:53], v[52:53], v[56:57]
	ds_load_b128 v[2:5], v1 offset:1824
	ds_load_b128 v[30:33], v1 offset:1840
	v_fma_f64 v[28:29], v[28:29], v[38:39], v[54:55]
	v_fma_f64 v[26:27], v[26:27], v[38:39], -v[40:41]
	s_waitcnt vmcnt(5) lgkmcnt(1)
	v_mul_f64 v[56:57], v[2:3], v[44:45]
	v_mul_f64 v[44:45], v[4:5], v[44:45]
	s_waitcnt vmcnt(4) lgkmcnt(0)
	v_mul_f64 v[38:39], v[30:31], v[8:9]
	v_mul_f64 v[8:9], v[32:33], v[8:9]
	v_add_f64 v[34:35], v[36:37], v[34:35]
	v_add_f64 v[36:37], v[52:53], v[58:59]
	v_fma_f64 v[40:41], v[4:5], v[42:43], v[56:57]
	v_fma_f64 v[42:43], v[2:3], v[42:43], -v[44:45]
	v_fma_f64 v[32:33], v[32:33], v[6:7], v[38:39]
	v_fma_f64 v[6:7], v[30:31], v[6:7], -v[8:9]
	v_add_f64 v[34:35], v[34:35], v[26:27]
	v_add_f64 v[36:37], v[36:37], v[28:29]
	ds_load_b128 v[2:5], v1 offset:1856
	ds_load_b128 v[26:29], v1 offset:1872
	s_waitcnt vmcnt(3) lgkmcnt(1)
	v_mul_f64 v[44:45], v[2:3], v[12:13]
	v_mul_f64 v[12:13], v[4:5], v[12:13]
	v_add_f64 v[8:9], v[34:35], v[42:43]
	v_add_f64 v[30:31], v[36:37], v[40:41]
	s_waitcnt vmcnt(2) lgkmcnt(0)
	v_mul_f64 v[34:35], v[26:27], v[16:17]
	v_mul_f64 v[16:17], v[28:29], v[16:17]
	v_fma_f64 v[36:37], v[4:5], v[10:11], v[44:45]
	v_fma_f64 v[10:11], v[2:3], v[10:11], -v[12:13]
	v_add_f64 v[12:13], v[8:9], v[6:7]
	v_add_f64 v[30:31], v[30:31], v[32:33]
	ds_load_b128 v[2:5], v1 offset:1888
	ds_load_b128 v[6:9], v1 offset:1904
	v_fma_f64 v[28:29], v[28:29], v[14:15], v[34:35]
	v_fma_f64 v[14:15], v[26:27], v[14:15], -v[16:17]
	s_waitcnt vmcnt(1) lgkmcnt(1)
	v_mul_f64 v[32:33], v[2:3], v[20:21]
	v_mul_f64 v[20:21], v[4:5], v[20:21]
	s_waitcnt vmcnt(0) lgkmcnt(0)
	v_mul_f64 v[16:17], v[6:7], v[24:25]
	v_mul_f64 v[24:25], v[8:9], v[24:25]
	v_add_f64 v[10:11], v[12:13], v[10:11]
	v_add_f64 v[12:13], v[30:31], v[36:37]
	v_fma_f64 v[4:5], v[4:5], v[18:19], v[32:33]
	v_fma_f64 v[1:2], v[2:3], v[18:19], -v[20:21]
	v_fma_f64 v[8:9], v[8:9], v[22:23], v[16:17]
	v_fma_f64 v[6:7], v[6:7], v[22:23], -v[24:25]
	v_add_f64 v[10:11], v[10:11], v[14:15]
	v_add_f64 v[12:13], v[12:13], v[28:29]
	s_delay_alu instid0(VALU_DEP_2) | instskip(NEXT) | instid1(VALU_DEP_2)
	v_add_f64 v[1:2], v[10:11], v[1:2]
	v_add_f64 v[3:4], v[12:13], v[4:5]
	s_delay_alu instid0(VALU_DEP_2) | instskip(NEXT) | instid1(VALU_DEP_2)
	;; [unrolled: 3-line block ×3, first 2 shown]
	v_add_f64 v[1:2], v[48:49], -v[1:2]
	v_add_f64 v[3:4], v[50:51], -v[3:4]
	scratch_store_b128 off, v[1:4], off offset:368
	v_cmpx_lt_u32_e32 22, v166
	s_cbranch_execz .LBB123_329
; %bb.328:
	scratch_load_b128 v[1:4], v237, off
	v_mov_b32_e32 v5, 0
	s_delay_alu instid0(VALU_DEP_1)
	v_mov_b32_e32 v6, v5
	v_mov_b32_e32 v7, v5
	;; [unrolled: 1-line block ×3, first 2 shown]
	scratch_store_b128 off, v[5:8], off offset:352
	s_waitcnt vmcnt(0)
	ds_store_b128 v226, v[1:4]
.LBB123_329:
	s_or_b32 exec_lo, exec_lo, s2
	s_waitcnt lgkmcnt(0)
	s_waitcnt_vscnt null, 0x0
	s_barrier
	buffer_gl0_inv
	s_clause 0x7
	scratch_load_b128 v[2:5], off, off offset:368
	scratch_load_b128 v[6:9], off, off offset:384
	;; [unrolled: 1-line block ×8, first 2 shown]
	v_mov_b32_e32 v1, 0
	s_mov_b32 s2, exec_lo
	ds_load_b128 v[38:41], v1 offset:1328
	s_clause 0x1
	scratch_load_b128 v[34:37], off, off offset:496
	scratch_load_b128 v[42:45], off, off offset:352
	ds_load_b128 v[48:51], v1 offset:1344
	scratch_load_b128 v[176:179], off, off offset:512
	ds_load_b128 v[180:183], v1 offset:1376
	s_waitcnt vmcnt(10) lgkmcnt(2)
	v_mul_f64 v[52:53], v[40:41], v[4:5]
	v_mul_f64 v[4:5], v[38:39], v[4:5]
	s_delay_alu instid0(VALU_DEP_2) | instskip(NEXT) | instid1(VALU_DEP_2)
	v_fma_f64 v[52:53], v[38:39], v[2:3], -v[52:53]
	v_fma_f64 v[56:57], v[40:41], v[2:3], v[4:5]
	ds_load_b128 v[2:5], v1 offset:1360
	s_waitcnt vmcnt(9) lgkmcnt(2)
	v_mul_f64 v[54:55], v[48:49], v[8:9]
	v_mul_f64 v[8:9], v[50:51], v[8:9]
	scratch_load_b128 v[38:41], off, off offset:528
	s_waitcnt vmcnt(9) lgkmcnt(0)
	v_mul_f64 v[58:59], v[2:3], v[12:13]
	v_mul_f64 v[12:13], v[4:5], v[12:13]
	v_add_f64 v[52:53], v[52:53], 0
	v_fma_f64 v[50:51], v[50:51], v[6:7], v[54:55]
	v_fma_f64 v[48:49], v[48:49], v[6:7], -v[8:9]
	v_add_f64 v[54:55], v[56:57], 0
	scratch_load_b128 v[6:9], off, off offset:544
	v_fma_f64 v[58:59], v[4:5], v[10:11], v[58:59]
	v_fma_f64 v[60:61], v[2:3], v[10:11], -v[12:13]
	scratch_load_b128 v[10:13], off, off offset:560
	ds_load_b128 v[2:5], v1 offset:1392
	s_waitcnt vmcnt(10)
	v_mul_f64 v[56:57], v[180:181], v[16:17]
	v_mul_f64 v[16:17], v[182:183], v[16:17]
	v_add_f64 v[52:53], v[52:53], v[48:49]
	v_add_f64 v[54:55], v[54:55], v[50:51]
	ds_load_b128 v[48:51], v1 offset:1408
	s_waitcnt vmcnt(9) lgkmcnt(1)
	v_mul_f64 v[62:63], v[2:3], v[20:21]
	v_mul_f64 v[20:21], v[4:5], v[20:21]
	v_fma_f64 v[56:57], v[182:183], v[14:15], v[56:57]
	v_fma_f64 v[64:65], v[180:181], v[14:15], -v[16:17]
	scratch_load_b128 v[14:17], off, off offset:576
	ds_load_b128 v[180:183], v1 offset:1440
	v_add_f64 v[52:53], v[52:53], v[60:61]
	v_add_f64 v[54:55], v[54:55], v[58:59]
	v_fma_f64 v[60:61], v[4:5], v[18:19], v[62:63]
	v_fma_f64 v[62:63], v[2:3], v[18:19], -v[20:21]
	ds_load_b128 v[2:5], v1 offset:1424
	s_waitcnt vmcnt(9) lgkmcnt(2)
	v_mul_f64 v[58:59], v[48:49], v[24:25]
	v_mul_f64 v[24:25], v[50:51], v[24:25]
	scratch_load_b128 v[18:21], off, off offset:592
	v_add_f64 v[52:53], v[52:53], v[64:65]
	v_add_f64 v[54:55], v[54:55], v[56:57]
	s_waitcnt vmcnt(9) lgkmcnt(0)
	v_mul_f64 v[56:57], v[2:3], v[28:29]
	v_mul_f64 v[28:29], v[4:5], v[28:29]
	v_fma_f64 v[50:51], v[50:51], v[22:23], v[58:59]
	v_fma_f64 v[48:49], v[48:49], v[22:23], -v[24:25]
	scratch_load_b128 v[22:25], off, off offset:608
	v_add_f64 v[52:53], v[52:53], v[62:63]
	v_add_f64 v[54:55], v[54:55], v[60:61]
	v_fma_f64 v[56:57], v[4:5], v[26:27], v[56:57]
	v_fma_f64 v[60:61], v[2:3], v[26:27], -v[28:29]
	scratch_load_b128 v[26:29], off, off offset:624
	ds_load_b128 v[2:5], v1 offset:1456
	s_waitcnt vmcnt(10)
	v_mul_f64 v[58:59], v[180:181], v[32:33]
	v_mul_f64 v[32:33], v[182:183], v[32:33]
	s_waitcnt vmcnt(9) lgkmcnt(0)
	v_mul_f64 v[62:63], v[2:3], v[36:37]
	v_mul_f64 v[36:37], v[4:5], v[36:37]
	v_add_f64 v[52:53], v[52:53], v[48:49]
	v_add_f64 v[54:55], v[54:55], v[50:51]
	ds_load_b128 v[48:51], v1 offset:1472
	v_fma_f64 v[58:59], v[182:183], v[30:31], v[58:59]
	v_fma_f64 v[64:65], v[180:181], v[30:31], -v[32:33]
	scratch_load_b128 v[30:33], off, off offset:640
	ds_load_b128 v[182:185], v1 offset:1536
	v_fma_f64 v[62:63], v[4:5], v[34:35], v[62:63]
	v_fma_f64 v[66:67], v[2:3], v[34:35], -v[36:37]
	ds_load_b128 v[2:5], v1 offset:1488
	scratch_load_b128 v[34:37], off, off offset:656
	v_add_f64 v[52:53], v[52:53], v[60:61]
	v_add_f64 v[54:55], v[54:55], v[56:57]
	s_waitcnt vmcnt(9) lgkmcnt(2)
	v_mul_f64 v[56:57], v[48:49], v[178:179]
	v_mul_f64 v[60:61], v[50:51], v[178:179]
	ds_load_b128 v[178:181], v1 offset:1504
	v_add_f64 v[52:53], v[52:53], v[64:65]
	v_add_f64 v[54:55], v[54:55], v[58:59]
	v_fma_f64 v[56:57], v[50:51], v[176:177], v[56:57]
	v_fma_f64 v[60:61], v[48:49], v[176:177], -v[60:61]
	scratch_load_b128 v[48:51], off, off offset:672
	s_waitcnt vmcnt(9) lgkmcnt(1)
	v_mul_f64 v[58:59], v[2:3], v[40:41]
	v_mul_f64 v[40:41], v[4:5], v[40:41]
	v_add_f64 v[52:53], v[52:53], v[66:67]
	v_add_f64 v[54:55], v[54:55], v[62:63]
	s_delay_alu instid0(VALU_DEP_4) | instskip(NEXT) | instid1(VALU_DEP_4)
	v_fma_f64 v[58:59], v[4:5], v[38:39], v[58:59]
	v_fma_f64 v[64:65], v[2:3], v[38:39], -v[40:41]
	scratch_load_b128 v[38:41], off, off offset:688
	ds_load_b128 v[2:5], v1 offset:1520
	s_waitcnt vmcnt(9) lgkmcnt(1)
	v_mul_f64 v[62:63], v[178:179], v[8:9]
	v_mul_f64 v[8:9], v[180:181], v[8:9]
	v_add_f64 v[52:53], v[52:53], v[60:61]
	v_add_f64 v[54:55], v[54:55], v[56:57]
	s_waitcnt vmcnt(8) lgkmcnt(0)
	v_mul_f64 v[56:57], v[2:3], v[12:13]
	v_mul_f64 v[12:13], v[4:5], v[12:13]
	v_fma_f64 v[60:61], v[180:181], v[6:7], v[62:63]
	v_fma_f64 v[62:63], v[178:179], v[6:7], -v[8:9]
	scratch_load_b128 v[6:9], off, off offset:704
	ds_load_b128 v[176:179], v1 offset:1568
	v_add_f64 v[52:53], v[52:53], v[64:65]
	v_add_f64 v[54:55], v[54:55], v[58:59]
	v_fma_f64 v[56:57], v[4:5], v[10:11], v[56:57]
	v_fma_f64 v[64:65], v[2:3], v[10:11], -v[12:13]
	ds_load_b128 v[2:5], v1 offset:1552
	s_waitcnt vmcnt(8)
	v_mul_f64 v[58:59], v[182:183], v[16:17]
	v_mul_f64 v[16:17], v[184:185], v[16:17]
	scratch_load_b128 v[10:13], off, off offset:720
	v_add_f64 v[52:53], v[52:53], v[62:63]
	v_add_f64 v[54:55], v[54:55], v[60:61]
	s_waitcnt vmcnt(8) lgkmcnt(0)
	v_mul_f64 v[60:61], v[2:3], v[20:21]
	v_mul_f64 v[20:21], v[4:5], v[20:21]
	v_fma_f64 v[58:59], v[184:185], v[14:15], v[58:59]
	v_fma_f64 v[62:63], v[182:183], v[14:15], -v[16:17]
	scratch_load_b128 v[14:17], off, off offset:736
	ds_load_b128 v[180:183], v1 offset:1600
	v_add_f64 v[52:53], v[52:53], v[64:65]
	v_add_f64 v[54:55], v[54:55], v[56:57]
	v_fma_f64 v[60:61], v[4:5], v[18:19], v[60:61]
	v_fma_f64 v[64:65], v[2:3], v[18:19], -v[20:21]
	ds_load_b128 v[2:5], v1 offset:1584
	s_waitcnt vmcnt(8)
	v_mul_f64 v[56:57], v[176:177], v[24:25]
	v_mul_f64 v[24:25], v[178:179], v[24:25]
	scratch_load_b128 v[18:21], off, off offset:752
	;; [unrolled: 18-line block ×7, first 2 shown]
	v_add_f64 v[52:53], v[52:53], v[62:63]
	v_add_f64 v[54:55], v[54:55], v[60:61]
	s_waitcnt vmcnt(8) lgkmcnt(0)
	v_mul_f64 v[60:61], v[2:3], v[28:29]
	v_mul_f64 v[28:29], v[4:5], v[28:29]
	v_fma_f64 v[58:59], v[182:183], v[22:23], v[58:59]
	v_fma_f64 v[62:63], v[180:181], v[22:23], -v[24:25]
	scratch_load_b128 v[22:25], off, off offset:928
	ds_load_b128 v[180:183], v1 offset:1792
	v_add_f64 v[52:53], v[52:53], v[64:65]
	v_add_f64 v[54:55], v[54:55], v[56:57]
	v_fma_f64 v[60:61], v[4:5], v[26:27], v[60:61]
	v_fma_f64 v[64:65], v[2:3], v[26:27], -v[28:29]
	scratch_load_b128 v[26:29], off, off offset:944
	ds_load_b128 v[2:5], v1 offset:1776
	s_waitcnt vmcnt(9)
	v_mul_f64 v[56:57], v[176:177], v[32:33]
	v_mul_f64 v[32:33], v[178:179], v[32:33]
	v_add_f64 v[52:53], v[52:53], v[62:63]
	v_add_f64 v[54:55], v[54:55], v[58:59]
	s_waitcnt vmcnt(8) lgkmcnt(0)
	v_mul_f64 v[58:59], v[2:3], v[36:37]
	v_mul_f64 v[36:37], v[4:5], v[36:37]
	v_fma_f64 v[56:57], v[178:179], v[30:31], v[56:57]
	v_fma_f64 v[30:31], v[176:177], v[30:31], -v[32:33]
	v_add_f64 v[32:33], v[52:53], v[64:65]
	v_add_f64 v[52:53], v[54:55], v[60:61]
	s_waitcnt vmcnt(7)
	v_mul_f64 v[54:55], v[180:181], v[50:51]
	v_mul_f64 v[50:51], v[182:183], v[50:51]
	v_fma_f64 v[58:59], v[4:5], v[34:35], v[58:59]
	v_fma_f64 v[34:35], v[2:3], v[34:35], -v[36:37]
	v_add_f64 v[36:37], v[32:33], v[30:31]
	v_add_f64 v[52:53], v[52:53], v[56:57]
	ds_load_b128 v[2:5], v1 offset:1808
	ds_load_b128 v[30:33], v1 offset:1824
	v_fma_f64 v[54:55], v[182:183], v[48:49], v[54:55]
	v_fma_f64 v[48:49], v[180:181], v[48:49], -v[50:51]
	s_waitcnt vmcnt(6) lgkmcnt(1)
	v_mul_f64 v[56:57], v[2:3], v[40:41]
	v_mul_f64 v[40:41], v[4:5], v[40:41]
	s_waitcnt vmcnt(5) lgkmcnt(0)
	v_mul_f64 v[50:51], v[30:31], v[8:9]
	v_mul_f64 v[8:9], v[32:33], v[8:9]
	v_add_f64 v[34:35], v[36:37], v[34:35]
	v_add_f64 v[36:37], v[52:53], v[58:59]
	v_fma_f64 v[52:53], v[4:5], v[38:39], v[56:57]
	v_fma_f64 v[38:39], v[2:3], v[38:39], -v[40:41]
	v_fma_f64 v[32:33], v[32:33], v[6:7], v[50:51]
	v_fma_f64 v[6:7], v[30:31], v[6:7], -v[8:9]
	v_add_f64 v[40:41], v[34:35], v[48:49]
	v_add_f64 v[48:49], v[36:37], v[54:55]
	ds_load_b128 v[2:5], v1 offset:1840
	ds_load_b128 v[34:37], v1 offset:1856
	s_waitcnt vmcnt(4) lgkmcnt(1)
	v_mul_f64 v[54:55], v[2:3], v[12:13]
	v_mul_f64 v[12:13], v[4:5], v[12:13]
	v_add_f64 v[8:9], v[40:41], v[38:39]
	v_add_f64 v[30:31], v[48:49], v[52:53]
	s_waitcnt vmcnt(3) lgkmcnt(0)
	v_mul_f64 v[38:39], v[34:35], v[16:17]
	v_mul_f64 v[16:17], v[36:37], v[16:17]
	v_fma_f64 v[40:41], v[4:5], v[10:11], v[54:55]
	v_fma_f64 v[10:11], v[2:3], v[10:11], -v[12:13]
	v_add_f64 v[12:13], v[8:9], v[6:7]
	v_add_f64 v[30:31], v[30:31], v[32:33]
	ds_load_b128 v[2:5], v1 offset:1872
	ds_load_b128 v[6:9], v1 offset:1888
	v_fma_f64 v[36:37], v[36:37], v[14:15], v[38:39]
	v_fma_f64 v[14:15], v[34:35], v[14:15], -v[16:17]
	s_waitcnt vmcnt(2) lgkmcnt(1)
	v_mul_f64 v[32:33], v[2:3], v[20:21]
	v_mul_f64 v[20:21], v[4:5], v[20:21]
	s_waitcnt vmcnt(1) lgkmcnt(0)
	v_mul_f64 v[16:17], v[6:7], v[24:25]
	v_mul_f64 v[24:25], v[8:9], v[24:25]
	v_add_f64 v[10:11], v[12:13], v[10:11]
	v_add_f64 v[12:13], v[30:31], v[40:41]
	v_fma_f64 v[30:31], v[4:5], v[18:19], v[32:33]
	v_fma_f64 v[18:19], v[2:3], v[18:19], -v[20:21]
	ds_load_b128 v[2:5], v1 offset:1904
	v_fma_f64 v[8:9], v[8:9], v[22:23], v[16:17]
	v_fma_f64 v[6:7], v[6:7], v[22:23], -v[24:25]
	v_add_f64 v[10:11], v[10:11], v[14:15]
	v_add_f64 v[12:13], v[12:13], v[36:37]
	s_waitcnt vmcnt(0) lgkmcnt(0)
	v_mul_f64 v[14:15], v[2:3], v[28:29]
	v_mul_f64 v[20:21], v[4:5], v[28:29]
	s_delay_alu instid0(VALU_DEP_4) | instskip(NEXT) | instid1(VALU_DEP_4)
	v_add_f64 v[10:11], v[10:11], v[18:19]
	v_add_f64 v[12:13], v[12:13], v[30:31]
	s_delay_alu instid0(VALU_DEP_4) | instskip(NEXT) | instid1(VALU_DEP_4)
	v_fma_f64 v[4:5], v[4:5], v[26:27], v[14:15]
	v_fma_f64 v[2:3], v[2:3], v[26:27], -v[20:21]
	s_delay_alu instid0(VALU_DEP_4) | instskip(NEXT) | instid1(VALU_DEP_4)
	v_add_f64 v[6:7], v[10:11], v[6:7]
	v_add_f64 v[8:9], v[12:13], v[8:9]
	s_delay_alu instid0(VALU_DEP_2) | instskip(NEXT) | instid1(VALU_DEP_2)
	v_add_f64 v[2:3], v[6:7], v[2:3]
	v_add_f64 v[4:5], v[8:9], v[4:5]
	s_delay_alu instid0(VALU_DEP_2) | instskip(NEXT) | instid1(VALU_DEP_2)
	v_add_f64 v[2:3], v[42:43], -v[2:3]
	v_add_f64 v[4:5], v[44:45], -v[4:5]
	scratch_store_b128 off, v[2:5], off offset:352
	v_cmpx_lt_u32_e32 21, v166
	s_cbranch_execz .LBB123_331
; %bb.330:
	scratch_load_b128 v[5:8], v233, off
	v_mov_b32_e32 v2, v1
	v_mov_b32_e32 v3, v1
	;; [unrolled: 1-line block ×3, first 2 shown]
	scratch_store_b128 off, v[1:4], off offset:336
	s_waitcnt vmcnt(0)
	ds_store_b128 v226, v[5:8]
.LBB123_331:
	s_or_b32 exec_lo, exec_lo, s2
	s_waitcnt lgkmcnt(0)
	s_waitcnt_vscnt null, 0x0
	s_barrier
	buffer_gl0_inv
	s_clause 0x8
	scratch_load_b128 v[2:5], off, off offset:352
	scratch_load_b128 v[6:9], off, off offset:368
	;; [unrolled: 1-line block ×9, first 2 shown]
	ds_load_b128 v[42:45], v1 offset:1312
	ds_load_b128 v[38:41], v1 offset:1328
	s_clause 0x1
	scratch_load_b128 v[48:51], off, off offset:336
	scratch_load_b128 v[176:179], off, off offset:496
	s_mov_b32 s2, exec_lo
	ds_load_b128 v[180:183], v1 offset:1360
	s_waitcnt vmcnt(10) lgkmcnt(2)
	v_mul_f64 v[52:53], v[44:45], v[4:5]
	v_mul_f64 v[4:5], v[42:43], v[4:5]
	s_waitcnt vmcnt(9) lgkmcnt(1)
	v_mul_f64 v[54:55], v[38:39], v[8:9]
	v_mul_f64 v[8:9], v[40:41], v[8:9]
	s_delay_alu instid0(VALU_DEP_4) | instskip(NEXT) | instid1(VALU_DEP_4)
	v_fma_f64 v[52:53], v[42:43], v[2:3], -v[52:53]
	v_fma_f64 v[56:57], v[44:45], v[2:3], v[4:5]
	ds_load_b128 v[2:5], v1 offset:1344
	scratch_load_b128 v[42:45], off, off offset:512
	v_fma_f64 v[40:41], v[40:41], v[6:7], v[54:55]
	v_fma_f64 v[38:39], v[38:39], v[6:7], -v[8:9]
	scratch_load_b128 v[6:9], off, off offset:528
	s_waitcnt vmcnt(10) lgkmcnt(0)
	v_mul_f64 v[58:59], v[2:3], v[12:13]
	v_mul_f64 v[12:13], v[4:5], v[12:13]
	v_add_f64 v[52:53], v[52:53], 0
	v_add_f64 v[54:55], v[56:57], 0
	s_waitcnt vmcnt(9)
	v_mul_f64 v[56:57], v[180:181], v[16:17]
	v_mul_f64 v[16:17], v[182:183], v[16:17]
	v_fma_f64 v[58:59], v[4:5], v[10:11], v[58:59]
	v_fma_f64 v[60:61], v[2:3], v[10:11], -v[12:13]
	ds_load_b128 v[2:5], v1 offset:1376
	scratch_load_b128 v[10:13], off, off offset:544
	v_add_f64 v[52:53], v[52:53], v[38:39]
	v_add_f64 v[54:55], v[54:55], v[40:41]
	ds_load_b128 v[38:41], v1 offset:1392
	v_fma_f64 v[56:57], v[182:183], v[14:15], v[56:57]
	v_fma_f64 v[64:65], v[180:181], v[14:15], -v[16:17]
	scratch_load_b128 v[14:17], off, off offset:560
	s_waitcnt vmcnt(10) lgkmcnt(1)
	v_mul_f64 v[62:63], v[2:3], v[20:21]
	v_mul_f64 v[20:21], v[4:5], v[20:21]
	ds_load_b128 v[180:183], v1 offset:1424
	v_add_f64 v[52:53], v[52:53], v[60:61]
	v_add_f64 v[54:55], v[54:55], v[58:59]
	s_waitcnt vmcnt(9) lgkmcnt(1)
	v_mul_f64 v[58:59], v[38:39], v[24:25]
	v_mul_f64 v[24:25], v[40:41], v[24:25]
	v_fma_f64 v[60:61], v[4:5], v[18:19], v[62:63]
	v_fma_f64 v[62:63], v[2:3], v[18:19], -v[20:21]
	ds_load_b128 v[2:5], v1 offset:1408
	scratch_load_b128 v[18:21], off, off offset:576
	v_add_f64 v[52:53], v[52:53], v[64:65]
	v_add_f64 v[54:55], v[54:55], v[56:57]
	s_waitcnt vmcnt(9) lgkmcnt(0)
	v_mul_f64 v[56:57], v[2:3], v[28:29]
	v_mul_f64 v[28:29], v[4:5], v[28:29]
	v_fma_f64 v[40:41], v[40:41], v[22:23], v[58:59]
	v_fma_f64 v[38:39], v[38:39], v[22:23], -v[24:25]
	scratch_load_b128 v[22:25], off, off offset:592
	s_waitcnt vmcnt(9)
	v_mul_f64 v[58:59], v[180:181], v[32:33]
	v_mul_f64 v[32:33], v[182:183], v[32:33]
	v_add_f64 v[52:53], v[52:53], v[62:63]
	v_add_f64 v[54:55], v[54:55], v[60:61]
	v_fma_f64 v[56:57], v[4:5], v[26:27], v[56:57]
	v_fma_f64 v[60:61], v[2:3], v[26:27], -v[28:29]
	ds_load_b128 v[2:5], v1 offset:1440
	scratch_load_b128 v[26:29], off, off offset:608
	v_fma_f64 v[58:59], v[182:183], v[30:31], v[58:59]
	v_fma_f64 v[64:65], v[180:181], v[30:31], -v[32:33]
	scratch_load_b128 v[30:33], off, off offset:624
	ds_load_b128 v[182:185], v1 offset:1520
	v_add_f64 v[52:53], v[52:53], v[38:39]
	v_add_f64 v[54:55], v[54:55], v[40:41]
	ds_load_b128 v[38:41], v1 offset:1456
	s_waitcnt vmcnt(10) lgkmcnt(2)
	v_mul_f64 v[62:63], v[2:3], v[36:37]
	v_mul_f64 v[36:37], v[4:5], v[36:37]
	v_add_f64 v[52:53], v[52:53], v[60:61]
	v_add_f64 v[54:55], v[54:55], v[56:57]
	s_waitcnt vmcnt(8) lgkmcnt(0)
	v_mul_f64 v[56:57], v[38:39], v[178:179]
	v_mul_f64 v[60:61], v[40:41], v[178:179]
	v_fma_f64 v[62:63], v[4:5], v[34:35], v[62:63]
	v_fma_f64 v[66:67], v[2:3], v[34:35], -v[36:37]
	ds_load_b128 v[2:5], v1 offset:1472
	ds_load_b128 v[178:181], v1 offset:1488
	scratch_load_b128 v[34:37], off, off offset:640
	v_add_f64 v[52:53], v[52:53], v[64:65]
	v_add_f64 v[54:55], v[54:55], v[58:59]
	v_fma_f64 v[56:57], v[40:41], v[176:177], v[56:57]
	v_fma_f64 v[60:61], v[38:39], v[176:177], -v[60:61]
	scratch_load_b128 v[38:41], off, off offset:656
	s_waitcnt vmcnt(9) lgkmcnt(1)
	v_mul_f64 v[58:59], v[2:3], v[44:45]
	v_mul_f64 v[44:45], v[4:5], v[44:45]
	v_add_f64 v[52:53], v[52:53], v[66:67]
	v_add_f64 v[54:55], v[54:55], v[62:63]
	s_waitcnt vmcnt(8) lgkmcnt(0)
	v_mul_f64 v[62:63], v[178:179], v[8:9]
	v_mul_f64 v[8:9], v[180:181], v[8:9]
	v_fma_f64 v[58:59], v[4:5], v[42:43], v[58:59]
	v_fma_f64 v[64:65], v[2:3], v[42:43], -v[44:45]
	ds_load_b128 v[2:5], v1 offset:1504
	scratch_load_b128 v[42:45], off, off offset:672
	v_add_f64 v[52:53], v[52:53], v[60:61]
	v_add_f64 v[54:55], v[54:55], v[56:57]
	v_fma_f64 v[60:61], v[180:181], v[6:7], v[62:63]
	s_waitcnt vmcnt(8) lgkmcnt(0)
	v_mul_f64 v[56:57], v[2:3], v[12:13]
	v_mul_f64 v[12:13], v[4:5], v[12:13]
	v_fma_f64 v[62:63], v[178:179], v[6:7], -v[8:9]
	scratch_load_b128 v[6:9], off, off offset:688
	ds_load_b128 v[176:179], v1 offset:1552
	v_add_f64 v[52:53], v[52:53], v[64:65]
	v_add_f64 v[54:55], v[54:55], v[58:59]
	s_waitcnt vmcnt(8)
	v_mul_f64 v[58:59], v[182:183], v[16:17]
	v_mul_f64 v[16:17], v[184:185], v[16:17]
	v_fma_f64 v[56:57], v[4:5], v[10:11], v[56:57]
	v_fma_f64 v[64:65], v[2:3], v[10:11], -v[12:13]
	ds_load_b128 v[2:5], v1 offset:1536
	scratch_load_b128 v[10:13], off, off offset:704
	v_add_f64 v[52:53], v[52:53], v[62:63]
	v_add_f64 v[54:55], v[54:55], v[60:61]
	s_waitcnt vmcnt(8) lgkmcnt(0)
	v_mul_f64 v[60:61], v[2:3], v[20:21]
	v_mul_f64 v[20:21], v[4:5], v[20:21]
	v_fma_f64 v[58:59], v[184:185], v[14:15], v[58:59]
	v_fma_f64 v[62:63], v[182:183], v[14:15], -v[16:17]
	scratch_load_b128 v[14:17], off, off offset:720
	ds_load_b128 v[180:183], v1 offset:1584
	v_add_f64 v[52:53], v[52:53], v[64:65]
	v_add_f64 v[54:55], v[54:55], v[56:57]
	s_waitcnt vmcnt(8)
	v_mul_f64 v[56:57], v[176:177], v[24:25]
	v_mul_f64 v[24:25], v[178:179], v[24:25]
	v_fma_f64 v[60:61], v[4:5], v[18:19], v[60:61]
	v_fma_f64 v[64:65], v[2:3], v[18:19], -v[20:21]
	ds_load_b128 v[2:5], v1 offset:1568
	scratch_load_b128 v[18:21], off, off offset:736
	v_add_f64 v[52:53], v[52:53], v[62:63]
	v_add_f64 v[54:55], v[54:55], v[58:59]
	s_waitcnt vmcnt(8) lgkmcnt(0)
	v_mul_f64 v[58:59], v[2:3], v[28:29]
	v_mul_f64 v[28:29], v[4:5], v[28:29]
	v_fma_f64 v[56:57], v[178:179], v[22:23], v[56:57]
	v_fma_f64 v[62:63], v[176:177], v[22:23], -v[24:25]
	scratch_load_b128 v[22:25], off, off offset:752
	ds_load_b128 v[176:179], v1 offset:1616
	v_add_f64 v[52:53], v[52:53], v[64:65]
	v_add_f64 v[54:55], v[54:55], v[60:61]
	s_waitcnt vmcnt(8)
	v_mul_f64 v[60:61], v[180:181], v[32:33]
	v_mul_f64 v[32:33], v[182:183], v[32:33]
	v_fma_f64 v[58:59], v[4:5], v[26:27], v[58:59]
	v_fma_f64 v[64:65], v[2:3], v[26:27], -v[28:29]
	ds_load_b128 v[2:5], v1 offset:1600
	scratch_load_b128 v[26:29], off, off offset:768
	v_add_f64 v[52:53], v[52:53], v[62:63]
	v_add_f64 v[54:55], v[54:55], v[56:57]
	s_waitcnt vmcnt(8) lgkmcnt(0)
	v_mul_f64 v[56:57], v[2:3], v[36:37]
	v_mul_f64 v[36:37], v[4:5], v[36:37]
	v_fma_f64 v[60:61], v[182:183], v[30:31], v[60:61]
	v_fma_f64 v[62:63], v[180:181], v[30:31], -v[32:33]
	scratch_load_b128 v[30:33], off, off offset:784
	ds_load_b128 v[180:183], v1 offset:1648
	v_add_f64 v[52:53], v[52:53], v[64:65]
	v_add_f64 v[54:55], v[54:55], v[58:59]
	s_waitcnt vmcnt(8)
	v_mul_f64 v[58:59], v[176:177], v[40:41]
	v_mul_f64 v[40:41], v[178:179], v[40:41]
	v_fma_f64 v[56:57], v[4:5], v[34:35], v[56:57]
	v_fma_f64 v[64:65], v[2:3], v[34:35], -v[36:37]
	ds_load_b128 v[2:5], v1 offset:1632
	scratch_load_b128 v[34:37], off, off offset:800
	v_add_f64 v[52:53], v[52:53], v[62:63]
	v_add_f64 v[54:55], v[54:55], v[60:61]
	s_waitcnt vmcnt(8) lgkmcnt(0)
	v_mul_f64 v[60:61], v[2:3], v[44:45]
	v_mul_f64 v[44:45], v[4:5], v[44:45]
	v_fma_f64 v[58:59], v[178:179], v[38:39], v[58:59]
	v_fma_f64 v[62:63], v[176:177], v[38:39], -v[40:41]
	scratch_load_b128 v[38:41], off, off offset:816
	ds_load_b128 v[176:179], v1 offset:1680
	v_add_f64 v[52:53], v[52:53], v[64:65]
	v_add_f64 v[54:55], v[54:55], v[56:57]
	s_waitcnt vmcnt(8)
	v_mul_f64 v[56:57], v[180:181], v[8:9]
	v_mul_f64 v[8:9], v[182:183], v[8:9]
	v_fma_f64 v[60:61], v[4:5], v[42:43], v[60:61]
	v_fma_f64 v[64:65], v[2:3], v[42:43], -v[44:45]
	ds_load_b128 v[2:5], v1 offset:1664
	scratch_load_b128 v[42:45], off, off offset:832
	v_add_f64 v[52:53], v[52:53], v[62:63]
	v_add_f64 v[54:55], v[54:55], v[58:59]
	s_waitcnt vmcnt(8) lgkmcnt(0)
	v_mul_f64 v[58:59], v[2:3], v[12:13]
	v_mul_f64 v[12:13], v[4:5], v[12:13]
	v_fma_f64 v[56:57], v[182:183], v[6:7], v[56:57]
	v_fma_f64 v[62:63], v[180:181], v[6:7], -v[8:9]
	scratch_load_b128 v[6:9], off, off offset:848
	ds_load_b128 v[180:183], v1 offset:1712
	v_add_f64 v[52:53], v[52:53], v[64:65]
	v_add_f64 v[54:55], v[54:55], v[60:61]
	s_waitcnt vmcnt(8)
	v_mul_f64 v[60:61], v[176:177], v[16:17]
	v_mul_f64 v[16:17], v[178:179], v[16:17]
	v_fma_f64 v[58:59], v[4:5], v[10:11], v[58:59]
	v_fma_f64 v[64:65], v[2:3], v[10:11], -v[12:13]
	ds_load_b128 v[2:5], v1 offset:1696
	scratch_load_b128 v[10:13], off, off offset:864
	v_add_f64 v[52:53], v[52:53], v[62:63]
	v_add_f64 v[54:55], v[54:55], v[56:57]
	s_waitcnt vmcnt(8) lgkmcnt(0)
	v_mul_f64 v[56:57], v[2:3], v[20:21]
	v_mul_f64 v[20:21], v[4:5], v[20:21]
	v_fma_f64 v[60:61], v[178:179], v[14:15], v[60:61]
	v_fma_f64 v[62:63], v[176:177], v[14:15], -v[16:17]
	scratch_load_b128 v[14:17], off, off offset:880
	ds_load_b128 v[176:179], v1 offset:1744
	v_add_f64 v[52:53], v[52:53], v[64:65]
	v_add_f64 v[54:55], v[54:55], v[58:59]
	s_waitcnt vmcnt(8)
	v_mul_f64 v[58:59], v[180:181], v[24:25]
	v_mul_f64 v[24:25], v[182:183], v[24:25]
	v_fma_f64 v[56:57], v[4:5], v[18:19], v[56:57]
	v_fma_f64 v[64:65], v[2:3], v[18:19], -v[20:21]
	ds_load_b128 v[2:5], v1 offset:1728
	scratch_load_b128 v[18:21], off, off offset:896
	v_add_f64 v[52:53], v[52:53], v[62:63]
	v_add_f64 v[54:55], v[54:55], v[60:61]
	s_waitcnt vmcnt(8) lgkmcnt(0)
	v_mul_f64 v[60:61], v[2:3], v[28:29]
	v_mul_f64 v[28:29], v[4:5], v[28:29]
	v_fma_f64 v[58:59], v[182:183], v[22:23], v[58:59]
	v_fma_f64 v[62:63], v[180:181], v[22:23], -v[24:25]
	scratch_load_b128 v[22:25], off, off offset:912
	ds_load_b128 v[180:183], v1 offset:1776
	v_add_f64 v[52:53], v[52:53], v[64:65]
	v_add_f64 v[54:55], v[54:55], v[56:57]
	s_waitcnt vmcnt(8)
	v_mul_f64 v[56:57], v[176:177], v[32:33]
	v_mul_f64 v[32:33], v[178:179], v[32:33]
	v_fma_f64 v[60:61], v[4:5], v[26:27], v[60:61]
	v_fma_f64 v[64:65], v[2:3], v[26:27], -v[28:29]
	ds_load_b128 v[2:5], v1 offset:1760
	scratch_load_b128 v[26:29], off, off offset:928
	v_add_f64 v[52:53], v[52:53], v[62:63]
	v_add_f64 v[54:55], v[54:55], v[58:59]
	s_waitcnt vmcnt(8) lgkmcnt(0)
	v_mul_f64 v[58:59], v[2:3], v[36:37]
	v_mul_f64 v[36:37], v[4:5], v[36:37]
	v_fma_f64 v[56:57], v[178:179], v[30:31], v[56:57]
	v_fma_f64 v[62:63], v[176:177], v[30:31], -v[32:33]
	scratch_load_b128 v[30:33], off, off offset:944
	v_add_f64 v[52:53], v[52:53], v[64:65]
	v_add_f64 v[54:55], v[54:55], v[60:61]
	s_waitcnt vmcnt(8)
	v_mul_f64 v[60:61], v[180:181], v[40:41]
	v_mul_f64 v[40:41], v[182:183], v[40:41]
	v_fma_f64 v[58:59], v[4:5], v[34:35], v[58:59]
	v_fma_f64 v[64:65], v[2:3], v[34:35], -v[36:37]
	ds_load_b128 v[2:5], v1 offset:1792
	ds_load_b128 v[34:37], v1 offset:1808
	v_add_f64 v[52:53], v[52:53], v[62:63]
	v_add_f64 v[54:55], v[54:55], v[56:57]
	s_waitcnt vmcnt(7) lgkmcnt(1)
	v_mul_f64 v[56:57], v[2:3], v[44:45]
	v_mul_f64 v[44:45], v[4:5], v[44:45]
	v_fma_f64 v[60:61], v[182:183], v[38:39], v[60:61]
	v_fma_f64 v[38:39], v[180:181], v[38:39], -v[40:41]
	v_add_f64 v[40:41], v[52:53], v[64:65]
	v_add_f64 v[52:53], v[54:55], v[58:59]
	s_waitcnt vmcnt(6) lgkmcnt(0)
	v_mul_f64 v[54:55], v[34:35], v[8:9]
	v_mul_f64 v[8:9], v[36:37], v[8:9]
	v_fma_f64 v[56:57], v[4:5], v[42:43], v[56:57]
	v_fma_f64 v[42:43], v[2:3], v[42:43], -v[44:45]
	v_add_f64 v[44:45], v[40:41], v[38:39]
	v_add_f64 v[52:53], v[52:53], v[60:61]
	ds_load_b128 v[2:5], v1 offset:1824
	ds_load_b128 v[38:41], v1 offset:1840
	v_fma_f64 v[36:37], v[36:37], v[6:7], v[54:55]
	v_fma_f64 v[6:7], v[34:35], v[6:7], -v[8:9]
	s_waitcnt vmcnt(5) lgkmcnt(1)
	v_mul_f64 v[58:59], v[2:3], v[12:13]
	v_mul_f64 v[12:13], v[4:5], v[12:13]
	v_add_f64 v[8:9], v[44:45], v[42:43]
	v_add_f64 v[34:35], v[52:53], v[56:57]
	s_waitcnt vmcnt(4) lgkmcnt(0)
	v_mul_f64 v[42:43], v[38:39], v[16:17]
	v_mul_f64 v[16:17], v[40:41], v[16:17]
	v_fma_f64 v[44:45], v[4:5], v[10:11], v[58:59]
	v_fma_f64 v[10:11], v[2:3], v[10:11], -v[12:13]
	v_add_f64 v[12:13], v[8:9], v[6:7]
	v_add_f64 v[34:35], v[34:35], v[36:37]
	ds_load_b128 v[2:5], v1 offset:1856
	ds_load_b128 v[6:9], v1 offset:1872
	v_fma_f64 v[40:41], v[40:41], v[14:15], v[42:43]
	v_fma_f64 v[14:15], v[38:39], v[14:15], -v[16:17]
	s_waitcnt vmcnt(3) lgkmcnt(1)
	v_mul_f64 v[36:37], v[2:3], v[20:21]
	v_mul_f64 v[20:21], v[4:5], v[20:21]
	s_waitcnt vmcnt(2) lgkmcnt(0)
	v_mul_f64 v[16:17], v[6:7], v[24:25]
	v_mul_f64 v[24:25], v[8:9], v[24:25]
	v_add_f64 v[10:11], v[12:13], v[10:11]
	v_add_f64 v[12:13], v[34:35], v[44:45]
	v_fma_f64 v[34:35], v[4:5], v[18:19], v[36:37]
	v_fma_f64 v[18:19], v[2:3], v[18:19], -v[20:21]
	v_fma_f64 v[8:9], v[8:9], v[22:23], v[16:17]
	v_fma_f64 v[6:7], v[6:7], v[22:23], -v[24:25]
	v_add_f64 v[14:15], v[10:11], v[14:15]
	v_add_f64 v[20:21], v[12:13], v[40:41]
	ds_load_b128 v[2:5], v1 offset:1888
	ds_load_b128 v[10:13], v1 offset:1904
	s_waitcnt vmcnt(1) lgkmcnt(1)
	v_mul_f64 v[36:37], v[2:3], v[28:29]
	v_mul_f64 v[28:29], v[4:5], v[28:29]
	v_add_f64 v[14:15], v[14:15], v[18:19]
	v_add_f64 v[16:17], v[20:21], v[34:35]
	s_waitcnt vmcnt(0) lgkmcnt(0)
	v_mul_f64 v[18:19], v[10:11], v[32:33]
	v_mul_f64 v[20:21], v[12:13], v[32:33]
	v_fma_f64 v[4:5], v[4:5], v[26:27], v[36:37]
	v_fma_f64 v[1:2], v[2:3], v[26:27], -v[28:29]
	v_add_f64 v[6:7], v[14:15], v[6:7]
	v_add_f64 v[8:9], v[16:17], v[8:9]
	v_fma_f64 v[12:13], v[12:13], v[30:31], v[18:19]
	v_fma_f64 v[10:11], v[10:11], v[30:31], -v[20:21]
	s_delay_alu instid0(VALU_DEP_4) | instskip(NEXT) | instid1(VALU_DEP_4)
	v_add_f64 v[1:2], v[6:7], v[1:2]
	v_add_f64 v[3:4], v[8:9], v[4:5]
	s_delay_alu instid0(VALU_DEP_2) | instskip(NEXT) | instid1(VALU_DEP_2)
	v_add_f64 v[1:2], v[1:2], v[10:11]
	v_add_f64 v[3:4], v[3:4], v[12:13]
	s_delay_alu instid0(VALU_DEP_2) | instskip(NEXT) | instid1(VALU_DEP_2)
	v_add_f64 v[1:2], v[48:49], -v[1:2]
	v_add_f64 v[3:4], v[50:51], -v[3:4]
	scratch_store_b128 off, v[1:4], off offset:336
	v_cmpx_lt_u32_e32 20, v166
	s_cbranch_execz .LBB123_333
; %bb.332:
	scratch_load_b128 v[1:4], v230, off
	v_mov_b32_e32 v5, 0
	s_delay_alu instid0(VALU_DEP_1)
	v_mov_b32_e32 v6, v5
	v_mov_b32_e32 v7, v5
	;; [unrolled: 1-line block ×3, first 2 shown]
	scratch_store_b128 off, v[5:8], off offset:320
	s_waitcnt vmcnt(0)
	ds_store_b128 v226, v[1:4]
.LBB123_333:
	s_or_b32 exec_lo, exec_lo, s2
	s_waitcnt lgkmcnt(0)
	s_waitcnt_vscnt null, 0x0
	s_barrier
	buffer_gl0_inv
	s_clause 0x7
	scratch_load_b128 v[2:5], off, off offset:336
	scratch_load_b128 v[6:9], off, off offset:352
	;; [unrolled: 1-line block ×8, first 2 shown]
	v_mov_b32_e32 v1, 0
	s_mov_b32 s2, exec_lo
	ds_load_b128 v[38:41], v1 offset:1296
	s_clause 0x1
	scratch_load_b128 v[34:37], off, off offset:464
	scratch_load_b128 v[42:45], off, off offset:320
	ds_load_b128 v[48:51], v1 offset:1312
	scratch_load_b128 v[176:179], off, off offset:480
	ds_load_b128 v[180:183], v1 offset:1344
	s_waitcnt vmcnt(10) lgkmcnt(2)
	v_mul_f64 v[52:53], v[40:41], v[4:5]
	v_mul_f64 v[4:5], v[38:39], v[4:5]
	s_delay_alu instid0(VALU_DEP_2) | instskip(NEXT) | instid1(VALU_DEP_2)
	v_fma_f64 v[52:53], v[38:39], v[2:3], -v[52:53]
	v_fma_f64 v[56:57], v[40:41], v[2:3], v[4:5]
	ds_load_b128 v[2:5], v1 offset:1328
	s_waitcnt vmcnt(9) lgkmcnt(2)
	v_mul_f64 v[54:55], v[48:49], v[8:9]
	v_mul_f64 v[8:9], v[50:51], v[8:9]
	scratch_load_b128 v[38:41], off, off offset:496
	s_waitcnt vmcnt(9) lgkmcnt(0)
	v_mul_f64 v[58:59], v[2:3], v[12:13]
	v_mul_f64 v[12:13], v[4:5], v[12:13]
	v_add_f64 v[52:53], v[52:53], 0
	v_fma_f64 v[50:51], v[50:51], v[6:7], v[54:55]
	v_fma_f64 v[48:49], v[48:49], v[6:7], -v[8:9]
	v_add_f64 v[54:55], v[56:57], 0
	scratch_load_b128 v[6:9], off, off offset:512
	v_fma_f64 v[58:59], v[4:5], v[10:11], v[58:59]
	v_fma_f64 v[60:61], v[2:3], v[10:11], -v[12:13]
	scratch_load_b128 v[10:13], off, off offset:528
	ds_load_b128 v[2:5], v1 offset:1360
	s_waitcnt vmcnt(10)
	v_mul_f64 v[56:57], v[180:181], v[16:17]
	v_mul_f64 v[16:17], v[182:183], v[16:17]
	v_add_f64 v[52:53], v[52:53], v[48:49]
	v_add_f64 v[54:55], v[54:55], v[50:51]
	ds_load_b128 v[48:51], v1 offset:1376
	s_waitcnt vmcnt(9) lgkmcnt(1)
	v_mul_f64 v[62:63], v[2:3], v[20:21]
	v_mul_f64 v[20:21], v[4:5], v[20:21]
	v_fma_f64 v[56:57], v[182:183], v[14:15], v[56:57]
	v_fma_f64 v[64:65], v[180:181], v[14:15], -v[16:17]
	scratch_load_b128 v[14:17], off, off offset:544
	ds_load_b128 v[180:183], v1 offset:1408
	v_add_f64 v[52:53], v[52:53], v[60:61]
	v_add_f64 v[54:55], v[54:55], v[58:59]
	v_fma_f64 v[60:61], v[4:5], v[18:19], v[62:63]
	v_fma_f64 v[62:63], v[2:3], v[18:19], -v[20:21]
	ds_load_b128 v[2:5], v1 offset:1392
	s_waitcnt vmcnt(9) lgkmcnt(2)
	v_mul_f64 v[58:59], v[48:49], v[24:25]
	v_mul_f64 v[24:25], v[50:51], v[24:25]
	scratch_load_b128 v[18:21], off, off offset:560
	v_add_f64 v[52:53], v[52:53], v[64:65]
	v_add_f64 v[54:55], v[54:55], v[56:57]
	s_waitcnt vmcnt(9) lgkmcnt(0)
	v_mul_f64 v[56:57], v[2:3], v[28:29]
	v_mul_f64 v[28:29], v[4:5], v[28:29]
	v_fma_f64 v[50:51], v[50:51], v[22:23], v[58:59]
	v_fma_f64 v[48:49], v[48:49], v[22:23], -v[24:25]
	scratch_load_b128 v[22:25], off, off offset:576
	v_add_f64 v[52:53], v[52:53], v[62:63]
	v_add_f64 v[54:55], v[54:55], v[60:61]
	v_fma_f64 v[56:57], v[4:5], v[26:27], v[56:57]
	v_fma_f64 v[60:61], v[2:3], v[26:27], -v[28:29]
	scratch_load_b128 v[26:29], off, off offset:592
	ds_load_b128 v[2:5], v1 offset:1424
	s_waitcnt vmcnt(10)
	v_mul_f64 v[58:59], v[180:181], v[32:33]
	v_mul_f64 v[32:33], v[182:183], v[32:33]
	s_waitcnt vmcnt(9) lgkmcnt(0)
	v_mul_f64 v[62:63], v[2:3], v[36:37]
	v_mul_f64 v[36:37], v[4:5], v[36:37]
	v_add_f64 v[52:53], v[52:53], v[48:49]
	v_add_f64 v[54:55], v[54:55], v[50:51]
	ds_load_b128 v[48:51], v1 offset:1440
	v_fma_f64 v[58:59], v[182:183], v[30:31], v[58:59]
	v_fma_f64 v[64:65], v[180:181], v[30:31], -v[32:33]
	scratch_load_b128 v[30:33], off, off offset:608
	ds_load_b128 v[182:185], v1 offset:1504
	v_fma_f64 v[62:63], v[4:5], v[34:35], v[62:63]
	v_fma_f64 v[66:67], v[2:3], v[34:35], -v[36:37]
	ds_load_b128 v[2:5], v1 offset:1456
	scratch_load_b128 v[34:37], off, off offset:624
	v_add_f64 v[52:53], v[52:53], v[60:61]
	v_add_f64 v[54:55], v[54:55], v[56:57]
	s_waitcnt vmcnt(9) lgkmcnt(2)
	v_mul_f64 v[56:57], v[48:49], v[178:179]
	v_mul_f64 v[60:61], v[50:51], v[178:179]
	ds_load_b128 v[178:181], v1 offset:1472
	v_add_f64 v[52:53], v[52:53], v[64:65]
	v_add_f64 v[54:55], v[54:55], v[58:59]
	v_fma_f64 v[56:57], v[50:51], v[176:177], v[56:57]
	v_fma_f64 v[60:61], v[48:49], v[176:177], -v[60:61]
	scratch_load_b128 v[48:51], off, off offset:640
	s_waitcnt vmcnt(9) lgkmcnt(1)
	v_mul_f64 v[58:59], v[2:3], v[40:41]
	v_mul_f64 v[40:41], v[4:5], v[40:41]
	v_add_f64 v[52:53], v[52:53], v[66:67]
	v_add_f64 v[54:55], v[54:55], v[62:63]
	s_delay_alu instid0(VALU_DEP_4) | instskip(NEXT) | instid1(VALU_DEP_4)
	v_fma_f64 v[58:59], v[4:5], v[38:39], v[58:59]
	v_fma_f64 v[64:65], v[2:3], v[38:39], -v[40:41]
	scratch_load_b128 v[38:41], off, off offset:656
	ds_load_b128 v[2:5], v1 offset:1488
	s_waitcnt vmcnt(9) lgkmcnt(1)
	v_mul_f64 v[62:63], v[178:179], v[8:9]
	v_mul_f64 v[8:9], v[180:181], v[8:9]
	v_add_f64 v[52:53], v[52:53], v[60:61]
	v_add_f64 v[54:55], v[54:55], v[56:57]
	s_waitcnt vmcnt(8) lgkmcnt(0)
	v_mul_f64 v[56:57], v[2:3], v[12:13]
	v_mul_f64 v[12:13], v[4:5], v[12:13]
	v_fma_f64 v[60:61], v[180:181], v[6:7], v[62:63]
	v_fma_f64 v[62:63], v[178:179], v[6:7], -v[8:9]
	scratch_load_b128 v[6:9], off, off offset:672
	ds_load_b128 v[176:179], v1 offset:1536
	v_add_f64 v[52:53], v[52:53], v[64:65]
	v_add_f64 v[54:55], v[54:55], v[58:59]
	v_fma_f64 v[56:57], v[4:5], v[10:11], v[56:57]
	v_fma_f64 v[64:65], v[2:3], v[10:11], -v[12:13]
	ds_load_b128 v[2:5], v1 offset:1520
	s_waitcnt vmcnt(8)
	v_mul_f64 v[58:59], v[182:183], v[16:17]
	v_mul_f64 v[16:17], v[184:185], v[16:17]
	scratch_load_b128 v[10:13], off, off offset:688
	v_add_f64 v[52:53], v[52:53], v[62:63]
	v_add_f64 v[54:55], v[54:55], v[60:61]
	s_waitcnt vmcnt(8) lgkmcnt(0)
	v_mul_f64 v[60:61], v[2:3], v[20:21]
	v_mul_f64 v[20:21], v[4:5], v[20:21]
	v_fma_f64 v[58:59], v[184:185], v[14:15], v[58:59]
	v_fma_f64 v[62:63], v[182:183], v[14:15], -v[16:17]
	scratch_load_b128 v[14:17], off, off offset:704
	ds_load_b128 v[180:183], v1 offset:1568
	v_add_f64 v[52:53], v[52:53], v[64:65]
	v_add_f64 v[54:55], v[54:55], v[56:57]
	v_fma_f64 v[60:61], v[4:5], v[18:19], v[60:61]
	v_fma_f64 v[64:65], v[2:3], v[18:19], -v[20:21]
	ds_load_b128 v[2:5], v1 offset:1552
	s_waitcnt vmcnt(8)
	v_mul_f64 v[56:57], v[176:177], v[24:25]
	v_mul_f64 v[24:25], v[178:179], v[24:25]
	scratch_load_b128 v[18:21], off, off offset:720
	v_add_f64 v[52:53], v[52:53], v[62:63]
	v_add_f64 v[54:55], v[54:55], v[58:59]
	s_waitcnt vmcnt(8) lgkmcnt(0)
	v_mul_f64 v[58:59], v[2:3], v[28:29]
	v_mul_f64 v[28:29], v[4:5], v[28:29]
	v_fma_f64 v[56:57], v[178:179], v[22:23], v[56:57]
	v_fma_f64 v[62:63], v[176:177], v[22:23], -v[24:25]
	scratch_load_b128 v[22:25], off, off offset:736
	ds_load_b128 v[176:179], v1 offset:1600
	v_add_f64 v[52:53], v[52:53], v[64:65]
	v_add_f64 v[54:55], v[54:55], v[60:61]
	v_fma_f64 v[58:59], v[4:5], v[26:27], v[58:59]
	v_fma_f64 v[64:65], v[2:3], v[26:27], -v[28:29]
	ds_load_b128 v[2:5], v1 offset:1584
	s_waitcnt vmcnt(8)
	v_mul_f64 v[60:61], v[180:181], v[32:33]
	v_mul_f64 v[32:33], v[182:183], v[32:33]
	scratch_load_b128 v[26:29], off, off offset:752
	v_add_f64 v[52:53], v[52:53], v[62:63]
	v_add_f64 v[54:55], v[54:55], v[56:57]
	s_waitcnt vmcnt(8) lgkmcnt(0)
	v_mul_f64 v[56:57], v[2:3], v[36:37]
	v_mul_f64 v[36:37], v[4:5], v[36:37]
	v_fma_f64 v[60:61], v[182:183], v[30:31], v[60:61]
	v_fma_f64 v[62:63], v[180:181], v[30:31], -v[32:33]
	scratch_load_b128 v[30:33], off, off offset:768
	ds_load_b128 v[180:183], v1 offset:1632
	v_add_f64 v[52:53], v[52:53], v[64:65]
	v_add_f64 v[54:55], v[54:55], v[58:59]
	v_fma_f64 v[56:57], v[4:5], v[34:35], v[56:57]
	v_fma_f64 v[64:65], v[2:3], v[34:35], -v[36:37]
	ds_load_b128 v[2:5], v1 offset:1616
	s_waitcnt vmcnt(8)
	v_mul_f64 v[58:59], v[176:177], v[50:51]
	v_mul_f64 v[50:51], v[178:179], v[50:51]
	scratch_load_b128 v[34:37], off, off offset:784
	v_add_f64 v[52:53], v[52:53], v[62:63]
	v_add_f64 v[54:55], v[54:55], v[60:61]
	s_waitcnt vmcnt(8) lgkmcnt(0)
	v_mul_f64 v[60:61], v[2:3], v[40:41]
	v_mul_f64 v[40:41], v[4:5], v[40:41]
	v_fma_f64 v[58:59], v[178:179], v[48:49], v[58:59]
	v_fma_f64 v[62:63], v[176:177], v[48:49], -v[50:51]
	scratch_load_b128 v[48:51], off, off offset:800
	ds_load_b128 v[176:179], v1 offset:1664
	v_add_f64 v[52:53], v[52:53], v[64:65]
	v_add_f64 v[54:55], v[54:55], v[56:57]
	v_fma_f64 v[60:61], v[4:5], v[38:39], v[60:61]
	v_fma_f64 v[64:65], v[2:3], v[38:39], -v[40:41]
	ds_load_b128 v[2:5], v1 offset:1648
	s_waitcnt vmcnt(8)
	v_mul_f64 v[56:57], v[180:181], v[8:9]
	v_mul_f64 v[8:9], v[182:183], v[8:9]
	scratch_load_b128 v[38:41], off, off offset:816
	v_add_f64 v[52:53], v[52:53], v[62:63]
	v_add_f64 v[54:55], v[54:55], v[58:59]
	s_waitcnt vmcnt(8) lgkmcnt(0)
	v_mul_f64 v[58:59], v[2:3], v[12:13]
	v_mul_f64 v[12:13], v[4:5], v[12:13]
	v_fma_f64 v[56:57], v[182:183], v[6:7], v[56:57]
	v_fma_f64 v[62:63], v[180:181], v[6:7], -v[8:9]
	scratch_load_b128 v[6:9], off, off offset:832
	ds_load_b128 v[180:183], v1 offset:1696
	v_add_f64 v[52:53], v[52:53], v[64:65]
	v_add_f64 v[54:55], v[54:55], v[60:61]
	v_fma_f64 v[58:59], v[4:5], v[10:11], v[58:59]
	v_fma_f64 v[64:65], v[2:3], v[10:11], -v[12:13]
	ds_load_b128 v[2:5], v1 offset:1680
	s_waitcnt vmcnt(8)
	v_mul_f64 v[60:61], v[176:177], v[16:17]
	v_mul_f64 v[16:17], v[178:179], v[16:17]
	scratch_load_b128 v[10:13], off, off offset:848
	v_add_f64 v[52:53], v[52:53], v[62:63]
	v_add_f64 v[54:55], v[54:55], v[56:57]
	s_waitcnt vmcnt(8) lgkmcnt(0)
	v_mul_f64 v[56:57], v[2:3], v[20:21]
	v_mul_f64 v[20:21], v[4:5], v[20:21]
	v_fma_f64 v[60:61], v[178:179], v[14:15], v[60:61]
	v_fma_f64 v[62:63], v[176:177], v[14:15], -v[16:17]
	scratch_load_b128 v[14:17], off, off offset:864
	ds_load_b128 v[176:179], v1 offset:1728
	v_add_f64 v[52:53], v[52:53], v[64:65]
	v_add_f64 v[54:55], v[54:55], v[58:59]
	v_fma_f64 v[56:57], v[4:5], v[18:19], v[56:57]
	v_fma_f64 v[64:65], v[2:3], v[18:19], -v[20:21]
	ds_load_b128 v[2:5], v1 offset:1712
	s_waitcnt vmcnt(8)
	v_mul_f64 v[58:59], v[180:181], v[24:25]
	v_mul_f64 v[24:25], v[182:183], v[24:25]
	scratch_load_b128 v[18:21], off, off offset:880
	v_add_f64 v[52:53], v[52:53], v[62:63]
	v_add_f64 v[54:55], v[54:55], v[60:61]
	s_waitcnt vmcnt(8) lgkmcnt(0)
	v_mul_f64 v[60:61], v[2:3], v[28:29]
	v_mul_f64 v[28:29], v[4:5], v[28:29]
	v_fma_f64 v[58:59], v[182:183], v[22:23], v[58:59]
	v_fma_f64 v[62:63], v[180:181], v[22:23], -v[24:25]
	scratch_load_b128 v[22:25], off, off offset:896
	ds_load_b128 v[180:183], v1 offset:1760
	v_add_f64 v[52:53], v[52:53], v[64:65]
	v_add_f64 v[54:55], v[54:55], v[56:57]
	v_fma_f64 v[60:61], v[4:5], v[26:27], v[60:61]
	v_fma_f64 v[64:65], v[2:3], v[26:27], -v[28:29]
	ds_load_b128 v[2:5], v1 offset:1744
	s_waitcnt vmcnt(8)
	v_mul_f64 v[56:57], v[176:177], v[32:33]
	v_mul_f64 v[32:33], v[178:179], v[32:33]
	scratch_load_b128 v[26:29], off, off offset:912
	v_add_f64 v[52:53], v[52:53], v[62:63]
	v_add_f64 v[54:55], v[54:55], v[58:59]
	s_waitcnt vmcnt(8) lgkmcnt(0)
	v_mul_f64 v[58:59], v[2:3], v[36:37]
	v_mul_f64 v[36:37], v[4:5], v[36:37]
	v_fma_f64 v[56:57], v[178:179], v[30:31], v[56:57]
	v_fma_f64 v[62:63], v[176:177], v[30:31], -v[32:33]
	scratch_load_b128 v[30:33], off, off offset:928
	ds_load_b128 v[176:179], v1 offset:1792
	v_add_f64 v[52:53], v[52:53], v[64:65]
	v_add_f64 v[54:55], v[54:55], v[60:61]
	v_fma_f64 v[58:59], v[4:5], v[34:35], v[58:59]
	v_fma_f64 v[64:65], v[2:3], v[34:35], -v[36:37]
	scratch_load_b128 v[34:37], off, off offset:944
	ds_load_b128 v[2:5], v1 offset:1776
	s_waitcnt vmcnt(9)
	v_mul_f64 v[60:61], v[180:181], v[50:51]
	v_mul_f64 v[50:51], v[182:183], v[50:51]
	v_add_f64 v[52:53], v[52:53], v[62:63]
	v_add_f64 v[54:55], v[54:55], v[56:57]
	s_waitcnt vmcnt(8) lgkmcnt(0)
	v_mul_f64 v[56:57], v[2:3], v[40:41]
	v_mul_f64 v[40:41], v[4:5], v[40:41]
	v_fma_f64 v[60:61], v[182:183], v[48:49], v[60:61]
	v_fma_f64 v[48:49], v[180:181], v[48:49], -v[50:51]
	v_add_f64 v[50:51], v[52:53], v[64:65]
	v_add_f64 v[52:53], v[54:55], v[58:59]
	s_waitcnt vmcnt(7)
	v_mul_f64 v[54:55], v[176:177], v[8:9]
	v_mul_f64 v[8:9], v[178:179], v[8:9]
	v_fma_f64 v[56:57], v[4:5], v[38:39], v[56:57]
	v_fma_f64 v[58:59], v[2:3], v[38:39], -v[40:41]
	ds_load_b128 v[2:5], v1 offset:1808
	ds_load_b128 v[38:41], v1 offset:1824
	v_add_f64 v[48:49], v[50:51], v[48:49]
	v_add_f64 v[50:51], v[52:53], v[60:61]
	s_waitcnt vmcnt(6) lgkmcnt(1)
	v_mul_f64 v[52:53], v[2:3], v[12:13]
	v_mul_f64 v[12:13], v[4:5], v[12:13]
	v_fma_f64 v[54:55], v[178:179], v[6:7], v[54:55]
	v_fma_f64 v[6:7], v[176:177], v[6:7], -v[8:9]
	v_add_f64 v[8:9], v[48:49], v[58:59]
	v_add_f64 v[48:49], v[50:51], v[56:57]
	s_waitcnt vmcnt(5) lgkmcnt(0)
	v_mul_f64 v[50:51], v[38:39], v[16:17]
	v_mul_f64 v[16:17], v[40:41], v[16:17]
	v_fma_f64 v[52:53], v[4:5], v[10:11], v[52:53]
	v_fma_f64 v[10:11], v[2:3], v[10:11], -v[12:13]
	v_add_f64 v[12:13], v[8:9], v[6:7]
	v_add_f64 v[48:49], v[48:49], v[54:55]
	ds_load_b128 v[2:5], v1 offset:1840
	ds_load_b128 v[6:9], v1 offset:1856
	v_fma_f64 v[40:41], v[40:41], v[14:15], v[50:51]
	v_fma_f64 v[14:15], v[38:39], v[14:15], -v[16:17]
	s_waitcnt vmcnt(4) lgkmcnt(1)
	v_mul_f64 v[54:55], v[2:3], v[20:21]
	v_mul_f64 v[20:21], v[4:5], v[20:21]
	s_waitcnt vmcnt(3) lgkmcnt(0)
	v_mul_f64 v[16:17], v[6:7], v[24:25]
	v_mul_f64 v[24:25], v[8:9], v[24:25]
	v_add_f64 v[10:11], v[12:13], v[10:11]
	v_add_f64 v[12:13], v[48:49], v[52:53]
	v_fma_f64 v[38:39], v[4:5], v[18:19], v[54:55]
	v_fma_f64 v[18:19], v[2:3], v[18:19], -v[20:21]
	v_fma_f64 v[8:9], v[8:9], v[22:23], v[16:17]
	v_fma_f64 v[6:7], v[6:7], v[22:23], -v[24:25]
	v_add_f64 v[14:15], v[10:11], v[14:15]
	v_add_f64 v[20:21], v[12:13], v[40:41]
	ds_load_b128 v[2:5], v1 offset:1872
	ds_load_b128 v[10:13], v1 offset:1888
	s_waitcnt vmcnt(2) lgkmcnt(1)
	v_mul_f64 v[40:41], v[2:3], v[28:29]
	v_mul_f64 v[28:29], v[4:5], v[28:29]
	v_add_f64 v[14:15], v[14:15], v[18:19]
	v_add_f64 v[16:17], v[20:21], v[38:39]
	s_waitcnt vmcnt(1) lgkmcnt(0)
	v_mul_f64 v[18:19], v[10:11], v[32:33]
	v_mul_f64 v[20:21], v[12:13], v[32:33]
	v_fma_f64 v[22:23], v[4:5], v[26:27], v[40:41]
	v_fma_f64 v[24:25], v[2:3], v[26:27], -v[28:29]
	ds_load_b128 v[2:5], v1 offset:1904
	v_add_f64 v[6:7], v[14:15], v[6:7]
	v_add_f64 v[8:9], v[16:17], v[8:9]
	v_fma_f64 v[12:13], v[12:13], v[30:31], v[18:19]
	v_fma_f64 v[10:11], v[10:11], v[30:31], -v[20:21]
	s_waitcnt vmcnt(0) lgkmcnt(0)
	v_mul_f64 v[14:15], v[2:3], v[36:37]
	v_mul_f64 v[16:17], v[4:5], v[36:37]
	v_add_f64 v[6:7], v[6:7], v[24:25]
	v_add_f64 v[8:9], v[8:9], v[22:23]
	s_delay_alu instid0(VALU_DEP_4) | instskip(NEXT) | instid1(VALU_DEP_4)
	v_fma_f64 v[4:5], v[4:5], v[34:35], v[14:15]
	v_fma_f64 v[2:3], v[2:3], v[34:35], -v[16:17]
	s_delay_alu instid0(VALU_DEP_4) | instskip(NEXT) | instid1(VALU_DEP_4)
	v_add_f64 v[6:7], v[6:7], v[10:11]
	v_add_f64 v[8:9], v[8:9], v[12:13]
	s_delay_alu instid0(VALU_DEP_2) | instskip(NEXT) | instid1(VALU_DEP_2)
	v_add_f64 v[2:3], v[6:7], v[2:3]
	v_add_f64 v[4:5], v[8:9], v[4:5]
	s_delay_alu instid0(VALU_DEP_2) | instskip(NEXT) | instid1(VALU_DEP_2)
	v_add_f64 v[2:3], v[42:43], -v[2:3]
	v_add_f64 v[4:5], v[44:45], -v[4:5]
	scratch_store_b128 off, v[2:5], off offset:320
	v_cmpx_lt_u32_e32 19, v166
	s_cbranch_execz .LBB123_335
; %bb.334:
	scratch_load_b32 v2, off, off offset:960 ; 4-byte Folded Reload
	v_mov_b32_e32 v3, v1
	v_mov_b32_e32 v4, v1
	s_waitcnt vmcnt(0)
	scratch_load_b128 v[5:8], v2, off
	v_mov_b32_e32 v2, v1
	scratch_store_b128 off, v[1:4], off offset:304
	s_waitcnt vmcnt(0)
	ds_store_b128 v226, v[5:8]
.LBB123_335:
	s_or_b32 exec_lo, exec_lo, s2
	s_waitcnt lgkmcnt(0)
	s_waitcnt_vscnt null, 0x0
	s_barrier
	buffer_gl0_inv
	s_clause 0x8
	scratch_load_b128 v[2:5], off, off offset:320
	scratch_load_b128 v[6:9], off, off offset:336
	;; [unrolled: 1-line block ×9, first 2 shown]
	ds_load_b128 v[42:45], v1 offset:1280
	ds_load_b128 v[38:41], v1 offset:1296
	s_clause 0x1
	scratch_load_b128 v[48:51], off, off offset:304
	scratch_load_b128 v[176:179], off, off offset:464
	s_mov_b32 s2, exec_lo
	ds_load_b128 v[180:183], v1 offset:1328
	s_waitcnt vmcnt(10) lgkmcnt(2)
	v_mul_f64 v[52:53], v[44:45], v[4:5]
	v_mul_f64 v[4:5], v[42:43], v[4:5]
	s_waitcnt vmcnt(9) lgkmcnt(1)
	v_mul_f64 v[54:55], v[38:39], v[8:9]
	v_mul_f64 v[8:9], v[40:41], v[8:9]
	s_delay_alu instid0(VALU_DEP_4) | instskip(NEXT) | instid1(VALU_DEP_4)
	v_fma_f64 v[52:53], v[42:43], v[2:3], -v[52:53]
	v_fma_f64 v[56:57], v[44:45], v[2:3], v[4:5]
	ds_load_b128 v[2:5], v1 offset:1312
	scratch_load_b128 v[42:45], off, off offset:480
	v_fma_f64 v[40:41], v[40:41], v[6:7], v[54:55]
	v_fma_f64 v[38:39], v[38:39], v[6:7], -v[8:9]
	scratch_load_b128 v[6:9], off, off offset:496
	s_waitcnt vmcnt(10) lgkmcnt(0)
	v_mul_f64 v[58:59], v[2:3], v[12:13]
	v_mul_f64 v[12:13], v[4:5], v[12:13]
	v_add_f64 v[52:53], v[52:53], 0
	v_add_f64 v[54:55], v[56:57], 0
	s_waitcnt vmcnt(9)
	v_mul_f64 v[56:57], v[180:181], v[16:17]
	v_mul_f64 v[16:17], v[182:183], v[16:17]
	v_fma_f64 v[58:59], v[4:5], v[10:11], v[58:59]
	v_fma_f64 v[60:61], v[2:3], v[10:11], -v[12:13]
	ds_load_b128 v[2:5], v1 offset:1344
	scratch_load_b128 v[10:13], off, off offset:512
	v_add_f64 v[52:53], v[52:53], v[38:39]
	v_add_f64 v[54:55], v[54:55], v[40:41]
	ds_load_b128 v[38:41], v1 offset:1360
	v_fma_f64 v[56:57], v[182:183], v[14:15], v[56:57]
	v_fma_f64 v[64:65], v[180:181], v[14:15], -v[16:17]
	scratch_load_b128 v[14:17], off, off offset:528
	s_waitcnt vmcnt(10) lgkmcnt(1)
	v_mul_f64 v[62:63], v[2:3], v[20:21]
	v_mul_f64 v[20:21], v[4:5], v[20:21]
	ds_load_b128 v[180:183], v1 offset:1392
	v_add_f64 v[52:53], v[52:53], v[60:61]
	v_add_f64 v[54:55], v[54:55], v[58:59]
	s_waitcnt vmcnt(9) lgkmcnt(1)
	v_mul_f64 v[58:59], v[38:39], v[24:25]
	v_mul_f64 v[24:25], v[40:41], v[24:25]
	v_fma_f64 v[60:61], v[4:5], v[18:19], v[62:63]
	v_fma_f64 v[62:63], v[2:3], v[18:19], -v[20:21]
	ds_load_b128 v[2:5], v1 offset:1376
	scratch_load_b128 v[18:21], off, off offset:544
	v_add_f64 v[52:53], v[52:53], v[64:65]
	v_add_f64 v[54:55], v[54:55], v[56:57]
	s_waitcnt vmcnt(9) lgkmcnt(0)
	v_mul_f64 v[56:57], v[2:3], v[28:29]
	v_mul_f64 v[28:29], v[4:5], v[28:29]
	v_fma_f64 v[40:41], v[40:41], v[22:23], v[58:59]
	v_fma_f64 v[38:39], v[38:39], v[22:23], -v[24:25]
	scratch_load_b128 v[22:25], off, off offset:560
	s_waitcnt vmcnt(9)
	v_mul_f64 v[58:59], v[180:181], v[32:33]
	v_mul_f64 v[32:33], v[182:183], v[32:33]
	v_add_f64 v[52:53], v[52:53], v[62:63]
	v_add_f64 v[54:55], v[54:55], v[60:61]
	v_fma_f64 v[56:57], v[4:5], v[26:27], v[56:57]
	v_fma_f64 v[60:61], v[2:3], v[26:27], -v[28:29]
	ds_load_b128 v[2:5], v1 offset:1408
	scratch_load_b128 v[26:29], off, off offset:576
	v_fma_f64 v[58:59], v[182:183], v[30:31], v[58:59]
	v_fma_f64 v[64:65], v[180:181], v[30:31], -v[32:33]
	scratch_load_b128 v[30:33], off, off offset:592
	ds_load_b128 v[182:185], v1 offset:1488
	v_add_f64 v[52:53], v[52:53], v[38:39]
	v_add_f64 v[54:55], v[54:55], v[40:41]
	ds_load_b128 v[38:41], v1 offset:1424
	s_waitcnt vmcnt(10) lgkmcnt(2)
	v_mul_f64 v[62:63], v[2:3], v[36:37]
	v_mul_f64 v[36:37], v[4:5], v[36:37]
	v_add_f64 v[52:53], v[52:53], v[60:61]
	v_add_f64 v[54:55], v[54:55], v[56:57]
	s_waitcnt vmcnt(8) lgkmcnt(0)
	v_mul_f64 v[56:57], v[38:39], v[178:179]
	v_mul_f64 v[60:61], v[40:41], v[178:179]
	v_fma_f64 v[62:63], v[4:5], v[34:35], v[62:63]
	v_fma_f64 v[66:67], v[2:3], v[34:35], -v[36:37]
	ds_load_b128 v[2:5], v1 offset:1440
	ds_load_b128 v[178:181], v1 offset:1456
	scratch_load_b128 v[34:37], off, off offset:608
	v_add_f64 v[52:53], v[52:53], v[64:65]
	v_add_f64 v[54:55], v[54:55], v[58:59]
	v_fma_f64 v[56:57], v[40:41], v[176:177], v[56:57]
	v_fma_f64 v[60:61], v[38:39], v[176:177], -v[60:61]
	scratch_load_b128 v[38:41], off, off offset:624
	s_waitcnt vmcnt(9) lgkmcnt(1)
	v_mul_f64 v[58:59], v[2:3], v[44:45]
	v_mul_f64 v[44:45], v[4:5], v[44:45]
	v_add_f64 v[52:53], v[52:53], v[66:67]
	v_add_f64 v[54:55], v[54:55], v[62:63]
	s_waitcnt vmcnt(8) lgkmcnt(0)
	v_mul_f64 v[62:63], v[178:179], v[8:9]
	v_mul_f64 v[8:9], v[180:181], v[8:9]
	v_fma_f64 v[58:59], v[4:5], v[42:43], v[58:59]
	v_fma_f64 v[64:65], v[2:3], v[42:43], -v[44:45]
	ds_load_b128 v[2:5], v1 offset:1472
	scratch_load_b128 v[42:45], off, off offset:640
	v_add_f64 v[52:53], v[52:53], v[60:61]
	v_add_f64 v[54:55], v[54:55], v[56:57]
	v_fma_f64 v[60:61], v[180:181], v[6:7], v[62:63]
	s_waitcnt vmcnt(8) lgkmcnt(0)
	v_mul_f64 v[56:57], v[2:3], v[12:13]
	v_mul_f64 v[12:13], v[4:5], v[12:13]
	v_fma_f64 v[62:63], v[178:179], v[6:7], -v[8:9]
	scratch_load_b128 v[6:9], off, off offset:656
	ds_load_b128 v[176:179], v1 offset:1520
	v_add_f64 v[52:53], v[52:53], v[64:65]
	v_add_f64 v[54:55], v[54:55], v[58:59]
	s_waitcnt vmcnt(8)
	v_mul_f64 v[58:59], v[182:183], v[16:17]
	v_mul_f64 v[16:17], v[184:185], v[16:17]
	v_fma_f64 v[56:57], v[4:5], v[10:11], v[56:57]
	v_fma_f64 v[64:65], v[2:3], v[10:11], -v[12:13]
	ds_load_b128 v[2:5], v1 offset:1504
	scratch_load_b128 v[10:13], off, off offset:672
	v_add_f64 v[52:53], v[52:53], v[62:63]
	v_add_f64 v[54:55], v[54:55], v[60:61]
	s_waitcnt vmcnt(8) lgkmcnt(0)
	v_mul_f64 v[60:61], v[2:3], v[20:21]
	v_mul_f64 v[20:21], v[4:5], v[20:21]
	v_fma_f64 v[58:59], v[184:185], v[14:15], v[58:59]
	v_fma_f64 v[62:63], v[182:183], v[14:15], -v[16:17]
	scratch_load_b128 v[14:17], off, off offset:688
	ds_load_b128 v[180:183], v1 offset:1552
	v_add_f64 v[52:53], v[52:53], v[64:65]
	v_add_f64 v[54:55], v[54:55], v[56:57]
	s_waitcnt vmcnt(8)
	v_mul_f64 v[56:57], v[176:177], v[24:25]
	v_mul_f64 v[24:25], v[178:179], v[24:25]
	v_fma_f64 v[60:61], v[4:5], v[18:19], v[60:61]
	v_fma_f64 v[64:65], v[2:3], v[18:19], -v[20:21]
	ds_load_b128 v[2:5], v1 offset:1536
	scratch_load_b128 v[18:21], off, off offset:704
	v_add_f64 v[52:53], v[52:53], v[62:63]
	v_add_f64 v[54:55], v[54:55], v[58:59]
	s_waitcnt vmcnt(8) lgkmcnt(0)
	v_mul_f64 v[58:59], v[2:3], v[28:29]
	v_mul_f64 v[28:29], v[4:5], v[28:29]
	v_fma_f64 v[56:57], v[178:179], v[22:23], v[56:57]
	;; [unrolled: 18-line block ×9, first 2 shown]
	v_fma_f64 v[62:63], v[180:181], v[38:39], -v[40:41]
	scratch_load_b128 v[38:41], off, off offset:944
	v_add_f64 v[52:53], v[52:53], v[64:65]
	v_add_f64 v[54:55], v[54:55], v[58:59]
	s_waitcnt vmcnt(8)
	v_mul_f64 v[58:59], v[176:177], v[8:9]
	v_mul_f64 v[8:9], v[178:179], v[8:9]
	v_fma_f64 v[56:57], v[4:5], v[42:43], v[56:57]
	v_fma_f64 v[64:65], v[2:3], v[42:43], -v[44:45]
	ds_load_b128 v[2:5], v1 offset:1792
	ds_load_b128 v[42:45], v1 offset:1808
	v_add_f64 v[52:53], v[52:53], v[62:63]
	v_add_f64 v[54:55], v[54:55], v[60:61]
	s_waitcnt vmcnt(7) lgkmcnt(1)
	v_mul_f64 v[60:61], v[2:3], v[12:13]
	v_mul_f64 v[12:13], v[4:5], v[12:13]
	v_fma_f64 v[58:59], v[178:179], v[6:7], v[58:59]
	v_fma_f64 v[6:7], v[176:177], v[6:7], -v[8:9]
	v_add_f64 v[8:9], v[52:53], v[64:65]
	v_add_f64 v[52:53], v[54:55], v[56:57]
	s_waitcnt vmcnt(6) lgkmcnt(0)
	v_mul_f64 v[54:55], v[42:43], v[16:17]
	v_mul_f64 v[16:17], v[44:45], v[16:17]
	v_fma_f64 v[56:57], v[4:5], v[10:11], v[60:61]
	v_fma_f64 v[10:11], v[2:3], v[10:11], -v[12:13]
	v_add_f64 v[12:13], v[8:9], v[6:7]
	v_add_f64 v[52:53], v[52:53], v[58:59]
	ds_load_b128 v[2:5], v1 offset:1824
	ds_load_b128 v[6:9], v1 offset:1840
	v_fma_f64 v[44:45], v[44:45], v[14:15], v[54:55]
	v_fma_f64 v[14:15], v[42:43], v[14:15], -v[16:17]
	s_waitcnt vmcnt(5) lgkmcnt(1)
	v_mul_f64 v[58:59], v[2:3], v[20:21]
	v_mul_f64 v[20:21], v[4:5], v[20:21]
	s_waitcnt vmcnt(4) lgkmcnt(0)
	v_mul_f64 v[16:17], v[6:7], v[24:25]
	v_mul_f64 v[24:25], v[8:9], v[24:25]
	v_add_f64 v[10:11], v[12:13], v[10:11]
	v_add_f64 v[12:13], v[52:53], v[56:57]
	v_fma_f64 v[42:43], v[4:5], v[18:19], v[58:59]
	v_fma_f64 v[18:19], v[2:3], v[18:19], -v[20:21]
	v_fma_f64 v[8:9], v[8:9], v[22:23], v[16:17]
	v_fma_f64 v[6:7], v[6:7], v[22:23], -v[24:25]
	v_add_f64 v[14:15], v[10:11], v[14:15]
	v_add_f64 v[20:21], v[12:13], v[44:45]
	ds_load_b128 v[2:5], v1 offset:1856
	ds_load_b128 v[10:13], v1 offset:1872
	s_waitcnt vmcnt(3) lgkmcnt(1)
	v_mul_f64 v[44:45], v[2:3], v[28:29]
	v_mul_f64 v[28:29], v[4:5], v[28:29]
	v_add_f64 v[14:15], v[14:15], v[18:19]
	v_add_f64 v[16:17], v[20:21], v[42:43]
	s_waitcnt vmcnt(2) lgkmcnt(0)
	v_mul_f64 v[18:19], v[10:11], v[32:33]
	v_mul_f64 v[20:21], v[12:13], v[32:33]
	v_fma_f64 v[22:23], v[4:5], v[26:27], v[44:45]
	v_fma_f64 v[24:25], v[2:3], v[26:27], -v[28:29]
	v_add_f64 v[14:15], v[14:15], v[6:7]
	v_add_f64 v[16:17], v[16:17], v[8:9]
	ds_load_b128 v[2:5], v1 offset:1888
	ds_load_b128 v[6:9], v1 offset:1904
	v_fma_f64 v[12:13], v[12:13], v[30:31], v[18:19]
	v_fma_f64 v[10:11], v[10:11], v[30:31], -v[20:21]
	s_waitcnt vmcnt(1) lgkmcnt(1)
	v_mul_f64 v[26:27], v[2:3], v[36:37]
	v_mul_f64 v[28:29], v[4:5], v[36:37]
	s_waitcnt vmcnt(0) lgkmcnt(0)
	v_mul_f64 v[18:19], v[6:7], v[40:41]
	v_mul_f64 v[20:21], v[8:9], v[40:41]
	v_add_f64 v[14:15], v[14:15], v[24:25]
	v_add_f64 v[16:17], v[16:17], v[22:23]
	v_fma_f64 v[4:5], v[4:5], v[34:35], v[26:27]
	v_fma_f64 v[1:2], v[2:3], v[34:35], -v[28:29]
	v_fma_f64 v[8:9], v[8:9], v[38:39], v[18:19]
	v_fma_f64 v[6:7], v[6:7], v[38:39], -v[20:21]
	v_add_f64 v[10:11], v[14:15], v[10:11]
	v_add_f64 v[12:13], v[16:17], v[12:13]
	s_delay_alu instid0(VALU_DEP_2) | instskip(NEXT) | instid1(VALU_DEP_2)
	v_add_f64 v[1:2], v[10:11], v[1:2]
	v_add_f64 v[3:4], v[12:13], v[4:5]
	s_delay_alu instid0(VALU_DEP_2) | instskip(NEXT) | instid1(VALU_DEP_2)
	;; [unrolled: 3-line block ×3, first 2 shown]
	v_add_f64 v[1:2], v[48:49], -v[1:2]
	v_add_f64 v[3:4], v[50:51], -v[3:4]
	scratch_store_b128 off, v[1:4], off offset:304
	v_cmpx_lt_u32_e32 18, v166
	s_cbranch_execz .LBB123_337
; %bb.336:
	scratch_load_b128 v[1:4], v228, off
	v_mov_b32_e32 v5, 0
	s_delay_alu instid0(VALU_DEP_1)
	v_mov_b32_e32 v6, v5
	v_mov_b32_e32 v7, v5
	;; [unrolled: 1-line block ×3, first 2 shown]
	scratch_store_b128 off, v[5:8], off offset:288
	s_waitcnt vmcnt(0)
	ds_store_b128 v226, v[1:4]
.LBB123_337:
	s_or_b32 exec_lo, exec_lo, s2
	s_waitcnt lgkmcnt(0)
	s_waitcnt_vscnt null, 0x0
	s_barrier
	buffer_gl0_inv
	s_clause 0x7
	scratch_load_b128 v[2:5], off, off offset:304
	scratch_load_b128 v[6:9], off, off offset:320
	;; [unrolled: 1-line block ×8, first 2 shown]
	v_mov_b32_e32 v1, 0
	s_mov_b32 s2, exec_lo
	ds_load_b128 v[38:41], v1 offset:1264
	s_clause 0x1
	scratch_load_b128 v[34:37], off, off offset:432
	scratch_load_b128 v[42:45], off, off offset:288
	ds_load_b128 v[48:51], v1 offset:1280
	scratch_load_b128 v[176:179], off, off offset:448
	ds_load_b128 v[180:183], v1 offset:1312
	s_waitcnt vmcnt(10) lgkmcnt(2)
	v_mul_f64 v[52:53], v[40:41], v[4:5]
	v_mul_f64 v[4:5], v[38:39], v[4:5]
	s_delay_alu instid0(VALU_DEP_2) | instskip(NEXT) | instid1(VALU_DEP_2)
	v_fma_f64 v[52:53], v[38:39], v[2:3], -v[52:53]
	v_fma_f64 v[56:57], v[40:41], v[2:3], v[4:5]
	ds_load_b128 v[2:5], v1 offset:1296
	s_waitcnt vmcnt(9) lgkmcnt(2)
	v_mul_f64 v[54:55], v[48:49], v[8:9]
	v_mul_f64 v[8:9], v[50:51], v[8:9]
	scratch_load_b128 v[38:41], off, off offset:464
	s_waitcnt vmcnt(9) lgkmcnt(0)
	v_mul_f64 v[58:59], v[2:3], v[12:13]
	v_mul_f64 v[12:13], v[4:5], v[12:13]
	v_add_f64 v[52:53], v[52:53], 0
	v_fma_f64 v[50:51], v[50:51], v[6:7], v[54:55]
	v_fma_f64 v[48:49], v[48:49], v[6:7], -v[8:9]
	v_add_f64 v[54:55], v[56:57], 0
	scratch_load_b128 v[6:9], off, off offset:480
	v_fma_f64 v[58:59], v[4:5], v[10:11], v[58:59]
	v_fma_f64 v[60:61], v[2:3], v[10:11], -v[12:13]
	scratch_load_b128 v[10:13], off, off offset:496
	ds_load_b128 v[2:5], v1 offset:1328
	s_waitcnt vmcnt(10)
	v_mul_f64 v[56:57], v[180:181], v[16:17]
	v_mul_f64 v[16:17], v[182:183], v[16:17]
	v_add_f64 v[52:53], v[52:53], v[48:49]
	v_add_f64 v[54:55], v[54:55], v[50:51]
	ds_load_b128 v[48:51], v1 offset:1344
	s_waitcnt vmcnt(9) lgkmcnt(1)
	v_mul_f64 v[62:63], v[2:3], v[20:21]
	v_mul_f64 v[20:21], v[4:5], v[20:21]
	v_fma_f64 v[56:57], v[182:183], v[14:15], v[56:57]
	v_fma_f64 v[64:65], v[180:181], v[14:15], -v[16:17]
	scratch_load_b128 v[14:17], off, off offset:512
	ds_load_b128 v[180:183], v1 offset:1376
	v_add_f64 v[52:53], v[52:53], v[60:61]
	v_add_f64 v[54:55], v[54:55], v[58:59]
	v_fma_f64 v[60:61], v[4:5], v[18:19], v[62:63]
	v_fma_f64 v[62:63], v[2:3], v[18:19], -v[20:21]
	ds_load_b128 v[2:5], v1 offset:1360
	s_waitcnt vmcnt(9) lgkmcnt(2)
	v_mul_f64 v[58:59], v[48:49], v[24:25]
	v_mul_f64 v[24:25], v[50:51], v[24:25]
	scratch_load_b128 v[18:21], off, off offset:528
	v_add_f64 v[52:53], v[52:53], v[64:65]
	v_add_f64 v[54:55], v[54:55], v[56:57]
	s_waitcnt vmcnt(9) lgkmcnt(0)
	v_mul_f64 v[56:57], v[2:3], v[28:29]
	v_mul_f64 v[28:29], v[4:5], v[28:29]
	v_fma_f64 v[50:51], v[50:51], v[22:23], v[58:59]
	v_fma_f64 v[48:49], v[48:49], v[22:23], -v[24:25]
	scratch_load_b128 v[22:25], off, off offset:544
	v_add_f64 v[52:53], v[52:53], v[62:63]
	v_add_f64 v[54:55], v[54:55], v[60:61]
	v_fma_f64 v[56:57], v[4:5], v[26:27], v[56:57]
	v_fma_f64 v[60:61], v[2:3], v[26:27], -v[28:29]
	scratch_load_b128 v[26:29], off, off offset:560
	ds_load_b128 v[2:5], v1 offset:1392
	s_waitcnt vmcnt(10)
	v_mul_f64 v[58:59], v[180:181], v[32:33]
	v_mul_f64 v[32:33], v[182:183], v[32:33]
	s_waitcnt vmcnt(9) lgkmcnt(0)
	v_mul_f64 v[62:63], v[2:3], v[36:37]
	v_mul_f64 v[36:37], v[4:5], v[36:37]
	v_add_f64 v[52:53], v[52:53], v[48:49]
	v_add_f64 v[54:55], v[54:55], v[50:51]
	ds_load_b128 v[48:51], v1 offset:1408
	v_fma_f64 v[58:59], v[182:183], v[30:31], v[58:59]
	v_fma_f64 v[64:65], v[180:181], v[30:31], -v[32:33]
	scratch_load_b128 v[30:33], off, off offset:576
	ds_load_b128 v[182:185], v1 offset:1472
	v_fma_f64 v[62:63], v[4:5], v[34:35], v[62:63]
	v_fma_f64 v[66:67], v[2:3], v[34:35], -v[36:37]
	ds_load_b128 v[2:5], v1 offset:1424
	scratch_load_b128 v[34:37], off, off offset:592
	v_add_f64 v[52:53], v[52:53], v[60:61]
	v_add_f64 v[54:55], v[54:55], v[56:57]
	s_waitcnt vmcnt(9) lgkmcnt(2)
	v_mul_f64 v[56:57], v[48:49], v[178:179]
	v_mul_f64 v[60:61], v[50:51], v[178:179]
	ds_load_b128 v[178:181], v1 offset:1440
	v_add_f64 v[52:53], v[52:53], v[64:65]
	v_add_f64 v[54:55], v[54:55], v[58:59]
	v_fma_f64 v[56:57], v[50:51], v[176:177], v[56:57]
	v_fma_f64 v[60:61], v[48:49], v[176:177], -v[60:61]
	scratch_load_b128 v[48:51], off, off offset:608
	s_waitcnt vmcnt(9) lgkmcnt(1)
	v_mul_f64 v[58:59], v[2:3], v[40:41]
	v_mul_f64 v[40:41], v[4:5], v[40:41]
	v_add_f64 v[52:53], v[52:53], v[66:67]
	v_add_f64 v[54:55], v[54:55], v[62:63]
	s_delay_alu instid0(VALU_DEP_4) | instskip(NEXT) | instid1(VALU_DEP_4)
	v_fma_f64 v[58:59], v[4:5], v[38:39], v[58:59]
	v_fma_f64 v[64:65], v[2:3], v[38:39], -v[40:41]
	scratch_load_b128 v[38:41], off, off offset:624
	ds_load_b128 v[2:5], v1 offset:1456
	s_waitcnt vmcnt(9) lgkmcnt(1)
	v_mul_f64 v[62:63], v[178:179], v[8:9]
	v_mul_f64 v[8:9], v[180:181], v[8:9]
	v_add_f64 v[52:53], v[52:53], v[60:61]
	v_add_f64 v[54:55], v[54:55], v[56:57]
	s_waitcnt vmcnt(8) lgkmcnt(0)
	v_mul_f64 v[56:57], v[2:3], v[12:13]
	v_mul_f64 v[12:13], v[4:5], v[12:13]
	v_fma_f64 v[60:61], v[180:181], v[6:7], v[62:63]
	v_fma_f64 v[62:63], v[178:179], v[6:7], -v[8:9]
	scratch_load_b128 v[6:9], off, off offset:640
	ds_load_b128 v[176:179], v1 offset:1504
	v_add_f64 v[52:53], v[52:53], v[64:65]
	v_add_f64 v[54:55], v[54:55], v[58:59]
	v_fma_f64 v[56:57], v[4:5], v[10:11], v[56:57]
	v_fma_f64 v[64:65], v[2:3], v[10:11], -v[12:13]
	ds_load_b128 v[2:5], v1 offset:1488
	s_waitcnt vmcnt(8)
	v_mul_f64 v[58:59], v[182:183], v[16:17]
	v_mul_f64 v[16:17], v[184:185], v[16:17]
	scratch_load_b128 v[10:13], off, off offset:656
	v_add_f64 v[52:53], v[52:53], v[62:63]
	v_add_f64 v[54:55], v[54:55], v[60:61]
	s_waitcnt vmcnt(8) lgkmcnt(0)
	v_mul_f64 v[60:61], v[2:3], v[20:21]
	v_mul_f64 v[20:21], v[4:5], v[20:21]
	v_fma_f64 v[58:59], v[184:185], v[14:15], v[58:59]
	v_fma_f64 v[62:63], v[182:183], v[14:15], -v[16:17]
	scratch_load_b128 v[14:17], off, off offset:672
	ds_load_b128 v[180:183], v1 offset:1536
	v_add_f64 v[52:53], v[52:53], v[64:65]
	v_add_f64 v[54:55], v[54:55], v[56:57]
	v_fma_f64 v[60:61], v[4:5], v[18:19], v[60:61]
	v_fma_f64 v[64:65], v[2:3], v[18:19], -v[20:21]
	ds_load_b128 v[2:5], v1 offset:1520
	s_waitcnt vmcnt(8)
	v_mul_f64 v[56:57], v[176:177], v[24:25]
	v_mul_f64 v[24:25], v[178:179], v[24:25]
	scratch_load_b128 v[18:21], off, off offset:688
	;; [unrolled: 18-line block ×9, first 2 shown]
	v_add_f64 v[52:53], v[52:53], v[62:63]
	v_add_f64 v[54:55], v[54:55], v[56:57]
	s_waitcnt vmcnt(8) lgkmcnt(0)
	v_mul_f64 v[56:57], v[2:3], v[40:41]
	v_mul_f64 v[40:41], v[4:5], v[40:41]
	v_fma_f64 v[60:61], v[182:183], v[48:49], v[60:61]
	v_fma_f64 v[62:63], v[180:181], v[48:49], -v[50:51]
	scratch_load_b128 v[48:51], off, off offset:928
	ds_load_b128 v[180:183], v1 offset:1792
	v_add_f64 v[52:53], v[52:53], v[64:65]
	v_add_f64 v[54:55], v[54:55], v[58:59]
	v_fma_f64 v[56:57], v[4:5], v[38:39], v[56:57]
	v_fma_f64 v[64:65], v[2:3], v[38:39], -v[40:41]
	scratch_load_b128 v[38:41], off, off offset:944
	ds_load_b128 v[2:5], v1 offset:1776
	s_waitcnt vmcnt(9)
	v_mul_f64 v[58:59], v[176:177], v[8:9]
	v_mul_f64 v[8:9], v[178:179], v[8:9]
	v_add_f64 v[52:53], v[52:53], v[62:63]
	v_add_f64 v[54:55], v[54:55], v[60:61]
	s_waitcnt vmcnt(8) lgkmcnt(0)
	v_mul_f64 v[60:61], v[2:3], v[12:13]
	v_mul_f64 v[12:13], v[4:5], v[12:13]
	v_fma_f64 v[58:59], v[178:179], v[6:7], v[58:59]
	v_fma_f64 v[6:7], v[176:177], v[6:7], -v[8:9]
	v_add_f64 v[8:9], v[52:53], v[64:65]
	v_add_f64 v[52:53], v[54:55], v[56:57]
	s_waitcnt vmcnt(7)
	v_mul_f64 v[54:55], v[180:181], v[16:17]
	v_mul_f64 v[16:17], v[182:183], v[16:17]
	v_fma_f64 v[56:57], v[4:5], v[10:11], v[60:61]
	v_fma_f64 v[10:11], v[2:3], v[10:11], -v[12:13]
	v_add_f64 v[12:13], v[8:9], v[6:7]
	v_add_f64 v[52:53], v[52:53], v[58:59]
	ds_load_b128 v[2:5], v1 offset:1808
	ds_load_b128 v[6:9], v1 offset:1824
	v_fma_f64 v[54:55], v[182:183], v[14:15], v[54:55]
	v_fma_f64 v[14:15], v[180:181], v[14:15], -v[16:17]
	s_waitcnt vmcnt(6) lgkmcnt(1)
	v_mul_f64 v[58:59], v[2:3], v[20:21]
	v_mul_f64 v[20:21], v[4:5], v[20:21]
	s_waitcnt vmcnt(5) lgkmcnt(0)
	v_mul_f64 v[16:17], v[6:7], v[24:25]
	v_mul_f64 v[24:25], v[8:9], v[24:25]
	v_add_f64 v[10:11], v[12:13], v[10:11]
	v_add_f64 v[12:13], v[52:53], v[56:57]
	v_fma_f64 v[52:53], v[4:5], v[18:19], v[58:59]
	v_fma_f64 v[18:19], v[2:3], v[18:19], -v[20:21]
	v_fma_f64 v[8:9], v[8:9], v[22:23], v[16:17]
	v_fma_f64 v[6:7], v[6:7], v[22:23], -v[24:25]
	v_add_f64 v[14:15], v[10:11], v[14:15]
	v_add_f64 v[20:21], v[12:13], v[54:55]
	ds_load_b128 v[2:5], v1 offset:1840
	ds_load_b128 v[10:13], v1 offset:1856
	s_waitcnt vmcnt(4) lgkmcnt(1)
	v_mul_f64 v[54:55], v[2:3], v[28:29]
	v_mul_f64 v[28:29], v[4:5], v[28:29]
	v_add_f64 v[14:15], v[14:15], v[18:19]
	v_add_f64 v[16:17], v[20:21], v[52:53]
	s_waitcnt vmcnt(3) lgkmcnt(0)
	v_mul_f64 v[18:19], v[10:11], v[32:33]
	v_mul_f64 v[20:21], v[12:13], v[32:33]
	v_fma_f64 v[22:23], v[4:5], v[26:27], v[54:55]
	v_fma_f64 v[24:25], v[2:3], v[26:27], -v[28:29]
	v_add_f64 v[14:15], v[14:15], v[6:7]
	v_add_f64 v[16:17], v[16:17], v[8:9]
	ds_load_b128 v[2:5], v1 offset:1872
	ds_load_b128 v[6:9], v1 offset:1888
	v_fma_f64 v[12:13], v[12:13], v[30:31], v[18:19]
	v_fma_f64 v[10:11], v[10:11], v[30:31], -v[20:21]
	s_waitcnt vmcnt(2) lgkmcnt(1)
	v_mul_f64 v[26:27], v[2:3], v[36:37]
	v_mul_f64 v[28:29], v[4:5], v[36:37]
	s_waitcnt vmcnt(1) lgkmcnt(0)
	v_mul_f64 v[18:19], v[6:7], v[50:51]
	v_mul_f64 v[20:21], v[8:9], v[50:51]
	v_add_f64 v[14:15], v[14:15], v[24:25]
	v_add_f64 v[16:17], v[16:17], v[22:23]
	v_fma_f64 v[22:23], v[4:5], v[34:35], v[26:27]
	v_fma_f64 v[24:25], v[2:3], v[34:35], -v[28:29]
	ds_load_b128 v[2:5], v1 offset:1904
	v_fma_f64 v[8:9], v[8:9], v[48:49], v[18:19]
	v_fma_f64 v[6:7], v[6:7], v[48:49], -v[20:21]
	v_add_f64 v[10:11], v[14:15], v[10:11]
	v_add_f64 v[12:13], v[16:17], v[12:13]
	s_waitcnt vmcnt(0) lgkmcnt(0)
	v_mul_f64 v[14:15], v[2:3], v[40:41]
	v_mul_f64 v[16:17], v[4:5], v[40:41]
	s_delay_alu instid0(VALU_DEP_4) | instskip(NEXT) | instid1(VALU_DEP_4)
	v_add_f64 v[10:11], v[10:11], v[24:25]
	v_add_f64 v[12:13], v[12:13], v[22:23]
	s_delay_alu instid0(VALU_DEP_4) | instskip(NEXT) | instid1(VALU_DEP_4)
	v_fma_f64 v[4:5], v[4:5], v[38:39], v[14:15]
	v_fma_f64 v[2:3], v[2:3], v[38:39], -v[16:17]
	s_delay_alu instid0(VALU_DEP_4) | instskip(NEXT) | instid1(VALU_DEP_4)
	v_add_f64 v[6:7], v[10:11], v[6:7]
	v_add_f64 v[8:9], v[12:13], v[8:9]
	s_delay_alu instid0(VALU_DEP_2) | instskip(NEXT) | instid1(VALU_DEP_2)
	v_add_f64 v[2:3], v[6:7], v[2:3]
	v_add_f64 v[4:5], v[8:9], v[4:5]
	s_delay_alu instid0(VALU_DEP_2) | instskip(NEXT) | instid1(VALU_DEP_2)
	v_add_f64 v[2:3], v[42:43], -v[2:3]
	v_add_f64 v[4:5], v[44:45], -v[4:5]
	scratch_store_b128 off, v[2:5], off offset:288
	v_cmpx_lt_u32_e32 17, v166
	s_cbranch_execz .LBB123_339
; %bb.338:
	scratch_load_b128 v[5:8], v229, off
	v_mov_b32_e32 v2, v1
	v_mov_b32_e32 v3, v1
	;; [unrolled: 1-line block ×3, first 2 shown]
	scratch_store_b128 off, v[1:4], off offset:272
	s_waitcnt vmcnt(0)
	ds_store_b128 v226, v[5:8]
.LBB123_339:
	s_or_b32 exec_lo, exec_lo, s2
	s_waitcnt lgkmcnt(0)
	s_waitcnt_vscnt null, 0x0
	s_barrier
	buffer_gl0_inv
	s_clause 0x8
	scratch_load_b128 v[2:5], off, off offset:288
	scratch_load_b128 v[6:9], off, off offset:304
	;; [unrolled: 1-line block ×9, first 2 shown]
	ds_load_b128 v[42:45], v1 offset:1248
	ds_load_b128 v[38:41], v1 offset:1264
	s_clause 0x1
	scratch_load_b128 v[48:51], off, off offset:272
	scratch_load_b128 v[176:179], off, off offset:432
	s_mov_b32 s2, exec_lo
	ds_load_b128 v[180:183], v1 offset:1296
	s_waitcnt vmcnt(10) lgkmcnt(2)
	v_mul_f64 v[52:53], v[44:45], v[4:5]
	v_mul_f64 v[4:5], v[42:43], v[4:5]
	s_waitcnt vmcnt(9) lgkmcnt(1)
	v_mul_f64 v[54:55], v[38:39], v[8:9]
	v_mul_f64 v[8:9], v[40:41], v[8:9]
	s_delay_alu instid0(VALU_DEP_4) | instskip(NEXT) | instid1(VALU_DEP_4)
	v_fma_f64 v[52:53], v[42:43], v[2:3], -v[52:53]
	v_fma_f64 v[56:57], v[44:45], v[2:3], v[4:5]
	ds_load_b128 v[2:5], v1 offset:1280
	scratch_load_b128 v[42:45], off, off offset:448
	v_fma_f64 v[40:41], v[40:41], v[6:7], v[54:55]
	v_fma_f64 v[38:39], v[38:39], v[6:7], -v[8:9]
	scratch_load_b128 v[6:9], off, off offset:464
	s_waitcnt vmcnt(10) lgkmcnt(0)
	v_mul_f64 v[58:59], v[2:3], v[12:13]
	v_mul_f64 v[12:13], v[4:5], v[12:13]
	v_add_f64 v[52:53], v[52:53], 0
	v_add_f64 v[54:55], v[56:57], 0
	s_waitcnt vmcnt(9)
	v_mul_f64 v[56:57], v[180:181], v[16:17]
	v_mul_f64 v[16:17], v[182:183], v[16:17]
	v_fma_f64 v[58:59], v[4:5], v[10:11], v[58:59]
	v_fma_f64 v[60:61], v[2:3], v[10:11], -v[12:13]
	ds_load_b128 v[2:5], v1 offset:1312
	scratch_load_b128 v[10:13], off, off offset:480
	v_add_f64 v[52:53], v[52:53], v[38:39]
	v_add_f64 v[54:55], v[54:55], v[40:41]
	ds_load_b128 v[38:41], v1 offset:1328
	v_fma_f64 v[56:57], v[182:183], v[14:15], v[56:57]
	v_fma_f64 v[64:65], v[180:181], v[14:15], -v[16:17]
	scratch_load_b128 v[14:17], off, off offset:496
	s_waitcnt vmcnt(10) lgkmcnt(1)
	v_mul_f64 v[62:63], v[2:3], v[20:21]
	v_mul_f64 v[20:21], v[4:5], v[20:21]
	ds_load_b128 v[180:183], v1 offset:1360
	v_add_f64 v[52:53], v[52:53], v[60:61]
	v_add_f64 v[54:55], v[54:55], v[58:59]
	s_waitcnt vmcnt(9) lgkmcnt(1)
	v_mul_f64 v[58:59], v[38:39], v[24:25]
	v_mul_f64 v[24:25], v[40:41], v[24:25]
	v_fma_f64 v[60:61], v[4:5], v[18:19], v[62:63]
	v_fma_f64 v[62:63], v[2:3], v[18:19], -v[20:21]
	ds_load_b128 v[2:5], v1 offset:1344
	scratch_load_b128 v[18:21], off, off offset:512
	v_add_f64 v[52:53], v[52:53], v[64:65]
	v_add_f64 v[54:55], v[54:55], v[56:57]
	s_waitcnt vmcnt(9) lgkmcnt(0)
	v_mul_f64 v[56:57], v[2:3], v[28:29]
	v_mul_f64 v[28:29], v[4:5], v[28:29]
	v_fma_f64 v[40:41], v[40:41], v[22:23], v[58:59]
	v_fma_f64 v[38:39], v[38:39], v[22:23], -v[24:25]
	scratch_load_b128 v[22:25], off, off offset:528
	s_waitcnt vmcnt(9)
	v_mul_f64 v[58:59], v[180:181], v[32:33]
	v_mul_f64 v[32:33], v[182:183], v[32:33]
	v_add_f64 v[52:53], v[52:53], v[62:63]
	v_add_f64 v[54:55], v[54:55], v[60:61]
	v_fma_f64 v[56:57], v[4:5], v[26:27], v[56:57]
	v_fma_f64 v[60:61], v[2:3], v[26:27], -v[28:29]
	ds_load_b128 v[2:5], v1 offset:1376
	scratch_load_b128 v[26:29], off, off offset:544
	v_fma_f64 v[58:59], v[182:183], v[30:31], v[58:59]
	v_fma_f64 v[64:65], v[180:181], v[30:31], -v[32:33]
	scratch_load_b128 v[30:33], off, off offset:560
	ds_load_b128 v[182:185], v1 offset:1456
	v_add_f64 v[52:53], v[52:53], v[38:39]
	v_add_f64 v[54:55], v[54:55], v[40:41]
	ds_load_b128 v[38:41], v1 offset:1392
	s_waitcnt vmcnt(10) lgkmcnt(2)
	v_mul_f64 v[62:63], v[2:3], v[36:37]
	v_mul_f64 v[36:37], v[4:5], v[36:37]
	v_add_f64 v[52:53], v[52:53], v[60:61]
	v_add_f64 v[54:55], v[54:55], v[56:57]
	s_waitcnt vmcnt(8) lgkmcnt(0)
	v_mul_f64 v[56:57], v[38:39], v[178:179]
	v_mul_f64 v[60:61], v[40:41], v[178:179]
	v_fma_f64 v[62:63], v[4:5], v[34:35], v[62:63]
	v_fma_f64 v[66:67], v[2:3], v[34:35], -v[36:37]
	ds_load_b128 v[2:5], v1 offset:1408
	ds_load_b128 v[178:181], v1 offset:1424
	scratch_load_b128 v[34:37], off, off offset:576
	v_add_f64 v[52:53], v[52:53], v[64:65]
	v_add_f64 v[54:55], v[54:55], v[58:59]
	v_fma_f64 v[56:57], v[40:41], v[176:177], v[56:57]
	v_fma_f64 v[60:61], v[38:39], v[176:177], -v[60:61]
	scratch_load_b128 v[38:41], off, off offset:592
	s_waitcnt vmcnt(9) lgkmcnt(1)
	v_mul_f64 v[58:59], v[2:3], v[44:45]
	v_mul_f64 v[44:45], v[4:5], v[44:45]
	v_add_f64 v[52:53], v[52:53], v[66:67]
	v_add_f64 v[54:55], v[54:55], v[62:63]
	s_waitcnt vmcnt(8) lgkmcnt(0)
	v_mul_f64 v[62:63], v[178:179], v[8:9]
	v_mul_f64 v[8:9], v[180:181], v[8:9]
	v_fma_f64 v[58:59], v[4:5], v[42:43], v[58:59]
	v_fma_f64 v[64:65], v[2:3], v[42:43], -v[44:45]
	ds_load_b128 v[2:5], v1 offset:1440
	scratch_load_b128 v[42:45], off, off offset:608
	v_add_f64 v[52:53], v[52:53], v[60:61]
	v_add_f64 v[54:55], v[54:55], v[56:57]
	v_fma_f64 v[60:61], v[180:181], v[6:7], v[62:63]
	s_waitcnt vmcnt(8) lgkmcnt(0)
	v_mul_f64 v[56:57], v[2:3], v[12:13]
	v_mul_f64 v[12:13], v[4:5], v[12:13]
	v_fma_f64 v[62:63], v[178:179], v[6:7], -v[8:9]
	scratch_load_b128 v[6:9], off, off offset:624
	ds_load_b128 v[176:179], v1 offset:1488
	v_add_f64 v[52:53], v[52:53], v[64:65]
	v_add_f64 v[54:55], v[54:55], v[58:59]
	s_waitcnt vmcnt(8)
	v_mul_f64 v[58:59], v[182:183], v[16:17]
	v_mul_f64 v[16:17], v[184:185], v[16:17]
	v_fma_f64 v[56:57], v[4:5], v[10:11], v[56:57]
	v_fma_f64 v[64:65], v[2:3], v[10:11], -v[12:13]
	ds_load_b128 v[2:5], v1 offset:1472
	scratch_load_b128 v[10:13], off, off offset:640
	v_add_f64 v[52:53], v[52:53], v[62:63]
	v_add_f64 v[54:55], v[54:55], v[60:61]
	s_waitcnt vmcnt(8) lgkmcnt(0)
	v_mul_f64 v[60:61], v[2:3], v[20:21]
	v_mul_f64 v[20:21], v[4:5], v[20:21]
	v_fma_f64 v[58:59], v[184:185], v[14:15], v[58:59]
	v_fma_f64 v[62:63], v[182:183], v[14:15], -v[16:17]
	scratch_load_b128 v[14:17], off, off offset:656
	ds_load_b128 v[180:183], v1 offset:1520
	v_add_f64 v[52:53], v[52:53], v[64:65]
	v_add_f64 v[54:55], v[54:55], v[56:57]
	s_waitcnt vmcnt(8)
	v_mul_f64 v[56:57], v[176:177], v[24:25]
	v_mul_f64 v[24:25], v[178:179], v[24:25]
	v_fma_f64 v[60:61], v[4:5], v[18:19], v[60:61]
	v_fma_f64 v[64:65], v[2:3], v[18:19], -v[20:21]
	ds_load_b128 v[2:5], v1 offset:1504
	scratch_load_b128 v[18:21], off, off offset:672
	v_add_f64 v[52:53], v[52:53], v[62:63]
	v_add_f64 v[54:55], v[54:55], v[58:59]
	s_waitcnt vmcnt(8) lgkmcnt(0)
	v_mul_f64 v[58:59], v[2:3], v[28:29]
	v_mul_f64 v[28:29], v[4:5], v[28:29]
	v_fma_f64 v[56:57], v[178:179], v[22:23], v[56:57]
	;; [unrolled: 18-line block ×10, first 2 shown]
	v_fma_f64 v[62:63], v[176:177], v[6:7], -v[8:9]
	scratch_load_b128 v[6:9], off, off offset:944
	v_add_f64 v[52:53], v[52:53], v[64:65]
	v_add_f64 v[54:55], v[54:55], v[56:57]
	s_waitcnt vmcnt(8)
	v_mul_f64 v[56:57], v[180:181], v[16:17]
	v_mul_f64 v[16:17], v[182:183], v[16:17]
	v_fma_f64 v[60:61], v[4:5], v[10:11], v[60:61]
	v_fma_f64 v[64:65], v[2:3], v[10:11], -v[12:13]
	ds_load_b128 v[2:5], v1 offset:1792
	ds_load_b128 v[10:13], v1 offset:1808
	v_add_f64 v[52:53], v[52:53], v[62:63]
	v_add_f64 v[54:55], v[54:55], v[58:59]
	s_waitcnt vmcnt(7) lgkmcnt(1)
	v_mul_f64 v[58:59], v[2:3], v[20:21]
	v_mul_f64 v[20:21], v[4:5], v[20:21]
	v_fma_f64 v[56:57], v[182:183], v[14:15], v[56:57]
	v_fma_f64 v[14:15], v[180:181], v[14:15], -v[16:17]
	v_add_f64 v[16:17], v[52:53], v[64:65]
	v_add_f64 v[52:53], v[54:55], v[60:61]
	s_waitcnt vmcnt(6) lgkmcnt(0)
	v_mul_f64 v[54:55], v[10:11], v[24:25]
	v_mul_f64 v[24:25], v[12:13], v[24:25]
	v_fma_f64 v[58:59], v[4:5], v[18:19], v[58:59]
	v_fma_f64 v[18:19], v[2:3], v[18:19], -v[20:21]
	v_add_f64 v[20:21], v[16:17], v[14:15]
	v_add_f64 v[52:53], v[52:53], v[56:57]
	ds_load_b128 v[2:5], v1 offset:1824
	ds_load_b128 v[14:17], v1 offset:1840
	v_fma_f64 v[12:13], v[12:13], v[22:23], v[54:55]
	v_fma_f64 v[10:11], v[10:11], v[22:23], -v[24:25]
	s_waitcnt vmcnt(5) lgkmcnt(1)
	v_mul_f64 v[56:57], v[2:3], v[28:29]
	v_mul_f64 v[28:29], v[4:5], v[28:29]
	s_waitcnt vmcnt(4) lgkmcnt(0)
	v_mul_f64 v[22:23], v[14:15], v[32:33]
	v_mul_f64 v[24:25], v[16:17], v[32:33]
	v_add_f64 v[18:19], v[20:21], v[18:19]
	v_add_f64 v[20:21], v[52:53], v[58:59]
	v_fma_f64 v[32:33], v[4:5], v[26:27], v[56:57]
	v_fma_f64 v[26:27], v[2:3], v[26:27], -v[28:29]
	v_fma_f64 v[16:17], v[16:17], v[30:31], v[22:23]
	v_fma_f64 v[14:15], v[14:15], v[30:31], -v[24:25]
	v_add_f64 v[18:19], v[18:19], v[10:11]
	v_add_f64 v[20:21], v[20:21], v[12:13]
	ds_load_b128 v[2:5], v1 offset:1856
	ds_load_b128 v[10:13], v1 offset:1872
	s_waitcnt vmcnt(3) lgkmcnt(1)
	v_mul_f64 v[28:29], v[2:3], v[36:37]
	v_mul_f64 v[36:37], v[4:5], v[36:37]
	s_waitcnt vmcnt(2) lgkmcnt(0)
	v_mul_f64 v[22:23], v[10:11], v[40:41]
	v_mul_f64 v[24:25], v[12:13], v[40:41]
	v_add_f64 v[18:19], v[18:19], v[26:27]
	v_add_f64 v[20:21], v[20:21], v[32:33]
	v_fma_f64 v[26:27], v[4:5], v[34:35], v[28:29]
	v_fma_f64 v[28:29], v[2:3], v[34:35], -v[36:37]
	v_fma_f64 v[12:13], v[12:13], v[38:39], v[22:23]
	v_fma_f64 v[10:11], v[10:11], v[38:39], -v[24:25]
	v_add_f64 v[18:19], v[18:19], v[14:15]
	v_add_f64 v[20:21], v[20:21], v[16:17]
	ds_load_b128 v[2:5], v1 offset:1888
	ds_load_b128 v[14:17], v1 offset:1904
	s_waitcnt vmcnt(1) lgkmcnt(1)
	v_mul_f64 v[30:31], v[2:3], v[44:45]
	v_mul_f64 v[32:33], v[4:5], v[44:45]
	s_waitcnt vmcnt(0) lgkmcnt(0)
	v_mul_f64 v[22:23], v[14:15], v[8:9]
	v_mul_f64 v[8:9], v[16:17], v[8:9]
	v_add_f64 v[18:19], v[18:19], v[28:29]
	v_add_f64 v[20:21], v[20:21], v[26:27]
	v_fma_f64 v[4:5], v[4:5], v[42:43], v[30:31]
	v_fma_f64 v[1:2], v[2:3], v[42:43], -v[32:33]
	v_fma_f64 v[16:17], v[16:17], v[6:7], v[22:23]
	v_fma_f64 v[6:7], v[14:15], v[6:7], -v[8:9]
	v_add_f64 v[10:11], v[18:19], v[10:11]
	v_add_f64 v[12:13], v[20:21], v[12:13]
	s_delay_alu instid0(VALU_DEP_2) | instskip(NEXT) | instid1(VALU_DEP_2)
	v_add_f64 v[1:2], v[10:11], v[1:2]
	v_add_f64 v[3:4], v[12:13], v[4:5]
	s_delay_alu instid0(VALU_DEP_2) | instskip(NEXT) | instid1(VALU_DEP_2)
	;; [unrolled: 3-line block ×3, first 2 shown]
	v_add_f64 v[1:2], v[48:49], -v[1:2]
	v_add_f64 v[3:4], v[50:51], -v[3:4]
	scratch_store_b128 off, v[1:4], off offset:272
	v_cmpx_lt_u32_e32 16, v166
	s_cbranch_execz .LBB123_341
; %bb.340:
	scratch_load_b32 v1, off, off offset:964 ; 4-byte Folded Reload
	v_mov_b32_e32 v5, 0
	s_delay_alu instid0(VALU_DEP_1)
	v_mov_b32_e32 v6, v5
	v_mov_b32_e32 v7, v5
	;; [unrolled: 1-line block ×3, first 2 shown]
	s_waitcnt vmcnt(0)
	scratch_load_b128 v[1:4], v1, off
	scratch_store_b128 off, v[5:8], off offset:256
	s_waitcnt vmcnt(0)
	ds_store_b128 v226, v[1:4]
.LBB123_341:
	s_or_b32 exec_lo, exec_lo, s2
	s_waitcnt lgkmcnt(0)
	s_waitcnt_vscnt null, 0x0
	s_barrier
	buffer_gl0_inv
	s_clause 0x7
	scratch_load_b128 v[2:5], off, off offset:272
	scratch_load_b128 v[6:9], off, off offset:288
	;; [unrolled: 1-line block ×8, first 2 shown]
	v_mov_b32_e32 v1, 0
	s_mov_b32 s2, exec_lo
	ds_load_b128 v[38:41], v1 offset:1232
	s_clause 0x1
	scratch_load_b128 v[34:37], off, off offset:400
	scratch_load_b128 v[42:45], off, off offset:256
	ds_load_b128 v[48:51], v1 offset:1248
	scratch_load_b128 v[176:179], off, off offset:416
	ds_load_b128 v[180:183], v1 offset:1280
	s_waitcnt vmcnt(10) lgkmcnt(2)
	v_mul_f64 v[52:53], v[40:41], v[4:5]
	v_mul_f64 v[4:5], v[38:39], v[4:5]
	s_delay_alu instid0(VALU_DEP_2) | instskip(NEXT) | instid1(VALU_DEP_2)
	v_fma_f64 v[52:53], v[38:39], v[2:3], -v[52:53]
	v_fma_f64 v[56:57], v[40:41], v[2:3], v[4:5]
	ds_load_b128 v[2:5], v1 offset:1264
	s_waitcnt vmcnt(9) lgkmcnt(2)
	v_mul_f64 v[54:55], v[48:49], v[8:9]
	v_mul_f64 v[8:9], v[50:51], v[8:9]
	scratch_load_b128 v[38:41], off, off offset:432
	s_waitcnt vmcnt(9) lgkmcnt(0)
	v_mul_f64 v[58:59], v[2:3], v[12:13]
	v_mul_f64 v[12:13], v[4:5], v[12:13]
	v_add_f64 v[52:53], v[52:53], 0
	v_fma_f64 v[50:51], v[50:51], v[6:7], v[54:55]
	v_fma_f64 v[48:49], v[48:49], v[6:7], -v[8:9]
	v_add_f64 v[54:55], v[56:57], 0
	scratch_load_b128 v[6:9], off, off offset:448
	v_fma_f64 v[58:59], v[4:5], v[10:11], v[58:59]
	v_fma_f64 v[60:61], v[2:3], v[10:11], -v[12:13]
	scratch_load_b128 v[10:13], off, off offset:464
	ds_load_b128 v[2:5], v1 offset:1296
	s_waitcnt vmcnt(10)
	v_mul_f64 v[56:57], v[180:181], v[16:17]
	v_mul_f64 v[16:17], v[182:183], v[16:17]
	v_add_f64 v[52:53], v[52:53], v[48:49]
	v_add_f64 v[54:55], v[54:55], v[50:51]
	ds_load_b128 v[48:51], v1 offset:1312
	s_waitcnt vmcnt(9) lgkmcnt(1)
	v_mul_f64 v[62:63], v[2:3], v[20:21]
	v_mul_f64 v[20:21], v[4:5], v[20:21]
	v_fma_f64 v[56:57], v[182:183], v[14:15], v[56:57]
	v_fma_f64 v[64:65], v[180:181], v[14:15], -v[16:17]
	scratch_load_b128 v[14:17], off, off offset:480
	ds_load_b128 v[180:183], v1 offset:1344
	v_add_f64 v[52:53], v[52:53], v[60:61]
	v_add_f64 v[54:55], v[54:55], v[58:59]
	v_fma_f64 v[60:61], v[4:5], v[18:19], v[62:63]
	v_fma_f64 v[62:63], v[2:3], v[18:19], -v[20:21]
	ds_load_b128 v[2:5], v1 offset:1328
	s_waitcnt vmcnt(9) lgkmcnt(2)
	v_mul_f64 v[58:59], v[48:49], v[24:25]
	v_mul_f64 v[24:25], v[50:51], v[24:25]
	scratch_load_b128 v[18:21], off, off offset:496
	v_add_f64 v[52:53], v[52:53], v[64:65]
	v_add_f64 v[54:55], v[54:55], v[56:57]
	s_waitcnt vmcnt(9) lgkmcnt(0)
	v_mul_f64 v[56:57], v[2:3], v[28:29]
	v_mul_f64 v[28:29], v[4:5], v[28:29]
	v_fma_f64 v[50:51], v[50:51], v[22:23], v[58:59]
	v_fma_f64 v[48:49], v[48:49], v[22:23], -v[24:25]
	scratch_load_b128 v[22:25], off, off offset:512
	v_add_f64 v[52:53], v[52:53], v[62:63]
	v_add_f64 v[54:55], v[54:55], v[60:61]
	v_fma_f64 v[56:57], v[4:5], v[26:27], v[56:57]
	v_fma_f64 v[60:61], v[2:3], v[26:27], -v[28:29]
	scratch_load_b128 v[26:29], off, off offset:528
	ds_load_b128 v[2:5], v1 offset:1360
	s_waitcnt vmcnt(10)
	v_mul_f64 v[58:59], v[180:181], v[32:33]
	v_mul_f64 v[32:33], v[182:183], v[32:33]
	s_waitcnt vmcnt(9) lgkmcnt(0)
	v_mul_f64 v[62:63], v[2:3], v[36:37]
	v_mul_f64 v[36:37], v[4:5], v[36:37]
	v_add_f64 v[52:53], v[52:53], v[48:49]
	v_add_f64 v[54:55], v[54:55], v[50:51]
	ds_load_b128 v[48:51], v1 offset:1376
	v_fma_f64 v[58:59], v[182:183], v[30:31], v[58:59]
	v_fma_f64 v[64:65], v[180:181], v[30:31], -v[32:33]
	scratch_load_b128 v[30:33], off, off offset:544
	ds_load_b128 v[182:185], v1 offset:1440
	v_fma_f64 v[62:63], v[4:5], v[34:35], v[62:63]
	v_fma_f64 v[66:67], v[2:3], v[34:35], -v[36:37]
	ds_load_b128 v[2:5], v1 offset:1392
	scratch_load_b128 v[34:37], off, off offset:560
	v_add_f64 v[52:53], v[52:53], v[60:61]
	v_add_f64 v[54:55], v[54:55], v[56:57]
	s_waitcnt vmcnt(9) lgkmcnt(2)
	v_mul_f64 v[56:57], v[48:49], v[178:179]
	v_mul_f64 v[60:61], v[50:51], v[178:179]
	ds_load_b128 v[178:181], v1 offset:1408
	v_add_f64 v[52:53], v[52:53], v[64:65]
	v_add_f64 v[54:55], v[54:55], v[58:59]
	v_fma_f64 v[56:57], v[50:51], v[176:177], v[56:57]
	v_fma_f64 v[60:61], v[48:49], v[176:177], -v[60:61]
	scratch_load_b128 v[48:51], off, off offset:576
	s_waitcnt vmcnt(9) lgkmcnt(1)
	v_mul_f64 v[58:59], v[2:3], v[40:41]
	v_mul_f64 v[40:41], v[4:5], v[40:41]
	v_add_f64 v[52:53], v[52:53], v[66:67]
	v_add_f64 v[54:55], v[54:55], v[62:63]
	s_delay_alu instid0(VALU_DEP_4) | instskip(NEXT) | instid1(VALU_DEP_4)
	v_fma_f64 v[58:59], v[4:5], v[38:39], v[58:59]
	v_fma_f64 v[64:65], v[2:3], v[38:39], -v[40:41]
	scratch_load_b128 v[38:41], off, off offset:592
	ds_load_b128 v[2:5], v1 offset:1424
	s_waitcnt vmcnt(9) lgkmcnt(1)
	v_mul_f64 v[62:63], v[178:179], v[8:9]
	v_mul_f64 v[8:9], v[180:181], v[8:9]
	v_add_f64 v[52:53], v[52:53], v[60:61]
	v_add_f64 v[54:55], v[54:55], v[56:57]
	s_waitcnt vmcnt(8) lgkmcnt(0)
	v_mul_f64 v[56:57], v[2:3], v[12:13]
	v_mul_f64 v[12:13], v[4:5], v[12:13]
	v_fma_f64 v[60:61], v[180:181], v[6:7], v[62:63]
	v_fma_f64 v[62:63], v[178:179], v[6:7], -v[8:9]
	scratch_load_b128 v[6:9], off, off offset:608
	ds_load_b128 v[176:179], v1 offset:1472
	v_add_f64 v[52:53], v[52:53], v[64:65]
	v_add_f64 v[54:55], v[54:55], v[58:59]
	v_fma_f64 v[56:57], v[4:5], v[10:11], v[56:57]
	v_fma_f64 v[64:65], v[2:3], v[10:11], -v[12:13]
	ds_load_b128 v[2:5], v1 offset:1456
	s_waitcnt vmcnt(8)
	v_mul_f64 v[58:59], v[182:183], v[16:17]
	v_mul_f64 v[16:17], v[184:185], v[16:17]
	scratch_load_b128 v[10:13], off, off offset:624
	v_add_f64 v[52:53], v[52:53], v[62:63]
	v_add_f64 v[54:55], v[54:55], v[60:61]
	s_waitcnt vmcnt(8) lgkmcnt(0)
	v_mul_f64 v[60:61], v[2:3], v[20:21]
	v_mul_f64 v[20:21], v[4:5], v[20:21]
	v_fma_f64 v[58:59], v[184:185], v[14:15], v[58:59]
	v_fma_f64 v[62:63], v[182:183], v[14:15], -v[16:17]
	scratch_load_b128 v[14:17], off, off offset:640
	ds_load_b128 v[180:183], v1 offset:1504
	v_add_f64 v[52:53], v[52:53], v[64:65]
	v_add_f64 v[54:55], v[54:55], v[56:57]
	v_fma_f64 v[60:61], v[4:5], v[18:19], v[60:61]
	v_fma_f64 v[64:65], v[2:3], v[18:19], -v[20:21]
	ds_load_b128 v[2:5], v1 offset:1488
	s_waitcnt vmcnt(8)
	v_mul_f64 v[56:57], v[176:177], v[24:25]
	v_mul_f64 v[24:25], v[178:179], v[24:25]
	scratch_load_b128 v[18:21], off, off offset:656
	v_add_f64 v[52:53], v[52:53], v[62:63]
	v_add_f64 v[54:55], v[54:55], v[58:59]
	s_waitcnt vmcnt(8) lgkmcnt(0)
	v_mul_f64 v[58:59], v[2:3], v[28:29]
	v_mul_f64 v[28:29], v[4:5], v[28:29]
	v_fma_f64 v[56:57], v[178:179], v[22:23], v[56:57]
	v_fma_f64 v[62:63], v[176:177], v[22:23], -v[24:25]
	scratch_load_b128 v[22:25], off, off offset:672
	ds_load_b128 v[176:179], v1 offset:1536
	v_add_f64 v[52:53], v[52:53], v[64:65]
	v_add_f64 v[54:55], v[54:55], v[60:61]
	v_fma_f64 v[58:59], v[4:5], v[26:27], v[58:59]
	v_fma_f64 v[64:65], v[2:3], v[26:27], -v[28:29]
	ds_load_b128 v[2:5], v1 offset:1520
	s_waitcnt vmcnt(8)
	v_mul_f64 v[60:61], v[180:181], v[32:33]
	v_mul_f64 v[32:33], v[182:183], v[32:33]
	scratch_load_b128 v[26:29], off, off offset:688
	v_add_f64 v[52:53], v[52:53], v[62:63]
	v_add_f64 v[54:55], v[54:55], v[56:57]
	s_waitcnt vmcnt(8) lgkmcnt(0)
	v_mul_f64 v[56:57], v[2:3], v[36:37]
	v_mul_f64 v[36:37], v[4:5], v[36:37]
	v_fma_f64 v[60:61], v[182:183], v[30:31], v[60:61]
	v_fma_f64 v[62:63], v[180:181], v[30:31], -v[32:33]
	scratch_load_b128 v[30:33], off, off offset:704
	ds_load_b128 v[180:183], v1 offset:1568
	v_add_f64 v[52:53], v[52:53], v[64:65]
	v_add_f64 v[54:55], v[54:55], v[58:59]
	v_fma_f64 v[56:57], v[4:5], v[34:35], v[56:57]
	v_fma_f64 v[64:65], v[2:3], v[34:35], -v[36:37]
	ds_load_b128 v[2:5], v1 offset:1552
	s_waitcnt vmcnt(8)
	v_mul_f64 v[58:59], v[176:177], v[50:51]
	v_mul_f64 v[50:51], v[178:179], v[50:51]
	scratch_load_b128 v[34:37], off, off offset:720
	v_add_f64 v[52:53], v[52:53], v[62:63]
	v_add_f64 v[54:55], v[54:55], v[60:61]
	s_waitcnt vmcnt(8) lgkmcnt(0)
	v_mul_f64 v[60:61], v[2:3], v[40:41]
	v_mul_f64 v[40:41], v[4:5], v[40:41]
	v_fma_f64 v[58:59], v[178:179], v[48:49], v[58:59]
	v_fma_f64 v[62:63], v[176:177], v[48:49], -v[50:51]
	scratch_load_b128 v[48:51], off, off offset:736
	ds_load_b128 v[176:179], v1 offset:1600
	v_add_f64 v[52:53], v[52:53], v[64:65]
	v_add_f64 v[54:55], v[54:55], v[56:57]
	v_fma_f64 v[60:61], v[4:5], v[38:39], v[60:61]
	v_fma_f64 v[64:65], v[2:3], v[38:39], -v[40:41]
	ds_load_b128 v[2:5], v1 offset:1584
	s_waitcnt vmcnt(8)
	v_mul_f64 v[56:57], v[180:181], v[8:9]
	v_mul_f64 v[8:9], v[182:183], v[8:9]
	scratch_load_b128 v[38:41], off, off offset:752
	v_add_f64 v[52:53], v[52:53], v[62:63]
	v_add_f64 v[54:55], v[54:55], v[58:59]
	s_waitcnt vmcnt(8) lgkmcnt(0)
	v_mul_f64 v[58:59], v[2:3], v[12:13]
	v_mul_f64 v[12:13], v[4:5], v[12:13]
	v_fma_f64 v[56:57], v[182:183], v[6:7], v[56:57]
	v_fma_f64 v[62:63], v[180:181], v[6:7], -v[8:9]
	scratch_load_b128 v[6:9], off, off offset:768
	ds_load_b128 v[180:183], v1 offset:1632
	v_add_f64 v[52:53], v[52:53], v[64:65]
	v_add_f64 v[54:55], v[54:55], v[60:61]
	v_fma_f64 v[58:59], v[4:5], v[10:11], v[58:59]
	v_fma_f64 v[64:65], v[2:3], v[10:11], -v[12:13]
	ds_load_b128 v[2:5], v1 offset:1616
	s_waitcnt vmcnt(8)
	v_mul_f64 v[60:61], v[176:177], v[16:17]
	v_mul_f64 v[16:17], v[178:179], v[16:17]
	scratch_load_b128 v[10:13], off, off offset:784
	v_add_f64 v[52:53], v[52:53], v[62:63]
	v_add_f64 v[54:55], v[54:55], v[56:57]
	s_waitcnt vmcnt(8) lgkmcnt(0)
	v_mul_f64 v[56:57], v[2:3], v[20:21]
	v_mul_f64 v[20:21], v[4:5], v[20:21]
	v_fma_f64 v[60:61], v[178:179], v[14:15], v[60:61]
	v_fma_f64 v[62:63], v[176:177], v[14:15], -v[16:17]
	scratch_load_b128 v[14:17], off, off offset:800
	ds_load_b128 v[176:179], v1 offset:1664
	v_add_f64 v[52:53], v[52:53], v[64:65]
	v_add_f64 v[54:55], v[54:55], v[58:59]
	v_fma_f64 v[56:57], v[4:5], v[18:19], v[56:57]
	v_fma_f64 v[64:65], v[2:3], v[18:19], -v[20:21]
	ds_load_b128 v[2:5], v1 offset:1648
	s_waitcnt vmcnt(8)
	v_mul_f64 v[58:59], v[180:181], v[24:25]
	v_mul_f64 v[24:25], v[182:183], v[24:25]
	scratch_load_b128 v[18:21], off, off offset:816
	v_add_f64 v[52:53], v[52:53], v[62:63]
	v_add_f64 v[54:55], v[54:55], v[60:61]
	s_waitcnt vmcnt(8) lgkmcnt(0)
	v_mul_f64 v[60:61], v[2:3], v[28:29]
	v_mul_f64 v[28:29], v[4:5], v[28:29]
	v_fma_f64 v[58:59], v[182:183], v[22:23], v[58:59]
	v_fma_f64 v[62:63], v[180:181], v[22:23], -v[24:25]
	scratch_load_b128 v[22:25], off, off offset:832
	ds_load_b128 v[180:183], v1 offset:1696
	v_add_f64 v[52:53], v[52:53], v[64:65]
	v_add_f64 v[54:55], v[54:55], v[56:57]
	v_fma_f64 v[60:61], v[4:5], v[26:27], v[60:61]
	v_fma_f64 v[64:65], v[2:3], v[26:27], -v[28:29]
	ds_load_b128 v[2:5], v1 offset:1680
	s_waitcnt vmcnt(8)
	v_mul_f64 v[56:57], v[176:177], v[32:33]
	v_mul_f64 v[32:33], v[178:179], v[32:33]
	scratch_load_b128 v[26:29], off, off offset:848
	v_add_f64 v[52:53], v[52:53], v[62:63]
	v_add_f64 v[54:55], v[54:55], v[58:59]
	s_waitcnt vmcnt(8) lgkmcnt(0)
	v_mul_f64 v[58:59], v[2:3], v[36:37]
	v_mul_f64 v[36:37], v[4:5], v[36:37]
	v_fma_f64 v[56:57], v[178:179], v[30:31], v[56:57]
	v_fma_f64 v[62:63], v[176:177], v[30:31], -v[32:33]
	scratch_load_b128 v[30:33], off, off offset:864
	ds_load_b128 v[176:179], v1 offset:1728
	v_add_f64 v[52:53], v[52:53], v[64:65]
	v_add_f64 v[54:55], v[54:55], v[60:61]
	v_fma_f64 v[58:59], v[4:5], v[34:35], v[58:59]
	v_fma_f64 v[64:65], v[2:3], v[34:35], -v[36:37]
	ds_load_b128 v[2:5], v1 offset:1712
	s_waitcnt vmcnt(8)
	v_mul_f64 v[60:61], v[180:181], v[50:51]
	v_mul_f64 v[50:51], v[182:183], v[50:51]
	scratch_load_b128 v[34:37], off, off offset:880
	v_add_f64 v[52:53], v[52:53], v[62:63]
	v_add_f64 v[54:55], v[54:55], v[56:57]
	s_waitcnt vmcnt(8) lgkmcnt(0)
	v_mul_f64 v[56:57], v[2:3], v[40:41]
	v_mul_f64 v[40:41], v[4:5], v[40:41]
	v_fma_f64 v[60:61], v[182:183], v[48:49], v[60:61]
	v_fma_f64 v[62:63], v[180:181], v[48:49], -v[50:51]
	scratch_load_b128 v[48:51], off, off offset:896
	ds_load_b128 v[180:183], v1 offset:1760
	v_add_f64 v[52:53], v[52:53], v[64:65]
	v_add_f64 v[54:55], v[54:55], v[58:59]
	v_fma_f64 v[56:57], v[4:5], v[38:39], v[56:57]
	v_fma_f64 v[64:65], v[2:3], v[38:39], -v[40:41]
	ds_load_b128 v[2:5], v1 offset:1744
	s_waitcnt vmcnt(8)
	v_mul_f64 v[58:59], v[176:177], v[8:9]
	v_mul_f64 v[8:9], v[178:179], v[8:9]
	scratch_load_b128 v[38:41], off, off offset:912
	v_add_f64 v[52:53], v[52:53], v[62:63]
	v_add_f64 v[54:55], v[54:55], v[60:61]
	s_waitcnt vmcnt(8) lgkmcnt(0)
	v_mul_f64 v[60:61], v[2:3], v[12:13]
	v_mul_f64 v[12:13], v[4:5], v[12:13]
	v_fma_f64 v[58:59], v[178:179], v[6:7], v[58:59]
	v_fma_f64 v[62:63], v[176:177], v[6:7], -v[8:9]
	scratch_load_b128 v[6:9], off, off offset:928
	ds_load_b128 v[176:179], v1 offset:1792
	v_add_f64 v[52:53], v[52:53], v[64:65]
	v_add_f64 v[54:55], v[54:55], v[56:57]
	v_fma_f64 v[60:61], v[4:5], v[10:11], v[60:61]
	v_fma_f64 v[64:65], v[2:3], v[10:11], -v[12:13]
	scratch_load_b128 v[10:13], off, off offset:944
	ds_load_b128 v[2:5], v1 offset:1776
	s_waitcnt vmcnt(9)
	v_mul_f64 v[56:57], v[180:181], v[16:17]
	v_mul_f64 v[16:17], v[182:183], v[16:17]
	v_add_f64 v[52:53], v[52:53], v[62:63]
	v_add_f64 v[54:55], v[54:55], v[58:59]
	s_waitcnt vmcnt(8) lgkmcnt(0)
	v_mul_f64 v[58:59], v[2:3], v[20:21]
	v_mul_f64 v[20:21], v[4:5], v[20:21]
	v_fma_f64 v[56:57], v[182:183], v[14:15], v[56:57]
	v_fma_f64 v[14:15], v[180:181], v[14:15], -v[16:17]
	v_add_f64 v[16:17], v[52:53], v[64:65]
	v_add_f64 v[52:53], v[54:55], v[60:61]
	s_waitcnt vmcnt(7)
	v_mul_f64 v[54:55], v[176:177], v[24:25]
	v_mul_f64 v[24:25], v[178:179], v[24:25]
	v_fma_f64 v[58:59], v[4:5], v[18:19], v[58:59]
	v_fma_f64 v[18:19], v[2:3], v[18:19], -v[20:21]
	v_add_f64 v[20:21], v[16:17], v[14:15]
	v_add_f64 v[52:53], v[52:53], v[56:57]
	ds_load_b128 v[2:5], v1 offset:1808
	ds_load_b128 v[14:17], v1 offset:1824
	v_fma_f64 v[54:55], v[178:179], v[22:23], v[54:55]
	v_fma_f64 v[22:23], v[176:177], v[22:23], -v[24:25]
	s_waitcnt vmcnt(6) lgkmcnt(1)
	v_mul_f64 v[56:57], v[2:3], v[28:29]
	v_mul_f64 v[28:29], v[4:5], v[28:29]
	s_waitcnt vmcnt(5) lgkmcnt(0)
	v_mul_f64 v[24:25], v[14:15], v[32:33]
	v_mul_f64 v[32:33], v[16:17], v[32:33]
	v_add_f64 v[18:19], v[20:21], v[18:19]
	v_add_f64 v[20:21], v[52:53], v[58:59]
	v_fma_f64 v[52:53], v[4:5], v[26:27], v[56:57]
	v_fma_f64 v[26:27], v[2:3], v[26:27], -v[28:29]
	v_fma_f64 v[16:17], v[16:17], v[30:31], v[24:25]
	v_fma_f64 v[14:15], v[14:15], v[30:31], -v[32:33]
	v_add_f64 v[22:23], v[18:19], v[22:23]
	v_add_f64 v[28:29], v[20:21], v[54:55]
	ds_load_b128 v[2:5], v1 offset:1840
	ds_load_b128 v[18:21], v1 offset:1856
	s_waitcnt vmcnt(4) lgkmcnt(1)
	v_mul_f64 v[54:55], v[2:3], v[36:37]
	v_mul_f64 v[36:37], v[4:5], v[36:37]
	v_add_f64 v[22:23], v[22:23], v[26:27]
	v_add_f64 v[24:25], v[28:29], v[52:53]
	s_waitcnt vmcnt(3) lgkmcnt(0)
	v_mul_f64 v[26:27], v[18:19], v[50:51]
	v_mul_f64 v[28:29], v[20:21], v[50:51]
	v_fma_f64 v[30:31], v[4:5], v[34:35], v[54:55]
	v_fma_f64 v[32:33], v[2:3], v[34:35], -v[36:37]
	v_add_f64 v[22:23], v[22:23], v[14:15]
	v_add_f64 v[24:25], v[24:25], v[16:17]
	ds_load_b128 v[2:5], v1 offset:1872
	ds_load_b128 v[14:17], v1 offset:1888
	v_fma_f64 v[20:21], v[20:21], v[48:49], v[26:27]
	v_fma_f64 v[18:19], v[18:19], v[48:49], -v[28:29]
	s_waitcnt vmcnt(2) lgkmcnt(1)
	v_mul_f64 v[34:35], v[2:3], v[40:41]
	v_mul_f64 v[36:37], v[4:5], v[40:41]
	s_waitcnt vmcnt(1) lgkmcnt(0)
	v_mul_f64 v[26:27], v[14:15], v[8:9]
	v_mul_f64 v[8:9], v[16:17], v[8:9]
	v_add_f64 v[22:23], v[22:23], v[32:33]
	v_add_f64 v[24:25], v[24:25], v[30:31]
	v_fma_f64 v[28:29], v[4:5], v[38:39], v[34:35]
	v_fma_f64 v[30:31], v[2:3], v[38:39], -v[36:37]
	ds_load_b128 v[2:5], v1 offset:1904
	v_fma_f64 v[16:17], v[16:17], v[6:7], v[26:27]
	v_fma_f64 v[6:7], v[14:15], v[6:7], -v[8:9]
	v_add_f64 v[18:19], v[22:23], v[18:19]
	v_add_f64 v[20:21], v[24:25], v[20:21]
	s_waitcnt vmcnt(0) lgkmcnt(0)
	v_mul_f64 v[22:23], v[2:3], v[12:13]
	v_mul_f64 v[12:13], v[4:5], v[12:13]
	s_delay_alu instid0(VALU_DEP_4) | instskip(NEXT) | instid1(VALU_DEP_4)
	v_add_f64 v[8:9], v[18:19], v[30:31]
	v_add_f64 v[14:15], v[20:21], v[28:29]
	s_delay_alu instid0(VALU_DEP_4) | instskip(NEXT) | instid1(VALU_DEP_4)
	v_fma_f64 v[4:5], v[4:5], v[10:11], v[22:23]
	v_fma_f64 v[2:3], v[2:3], v[10:11], -v[12:13]
	s_delay_alu instid0(VALU_DEP_4) | instskip(NEXT) | instid1(VALU_DEP_4)
	v_add_f64 v[6:7], v[8:9], v[6:7]
	v_add_f64 v[8:9], v[14:15], v[16:17]
	s_delay_alu instid0(VALU_DEP_2) | instskip(NEXT) | instid1(VALU_DEP_2)
	v_add_f64 v[2:3], v[6:7], v[2:3]
	v_add_f64 v[4:5], v[8:9], v[4:5]
	s_delay_alu instid0(VALU_DEP_2) | instskip(NEXT) | instid1(VALU_DEP_2)
	v_add_f64 v[2:3], v[42:43], -v[2:3]
	v_add_f64 v[4:5], v[44:45], -v[4:5]
	scratch_store_b128 off, v[2:5], off offset:256
	v_cmpx_lt_u32_e32 15, v166
	s_cbranch_execz .LBB123_343
; %bb.342:
	scratch_load_b128 v[5:8], v86, off
	v_mov_b32_e32 v2, v1
	v_mov_b32_e32 v3, v1
	;; [unrolled: 1-line block ×3, first 2 shown]
	scratch_store_b128 off, v[1:4], off offset:240
	s_waitcnt vmcnt(0)
	ds_store_b128 v226, v[5:8]
.LBB123_343:
	s_or_b32 exec_lo, exec_lo, s2
	s_waitcnt lgkmcnt(0)
	s_waitcnt_vscnt null, 0x0
	s_barrier
	buffer_gl0_inv
	s_clause 0x8
	scratch_load_b128 v[2:5], off, off offset:256
	scratch_load_b128 v[6:9], off, off offset:272
	;; [unrolled: 1-line block ×9, first 2 shown]
	ds_load_b128 v[42:45], v1 offset:1216
	ds_load_b128 v[38:41], v1 offset:1232
	s_clause 0x1
	scratch_load_b128 v[48:51], off, off offset:240
	scratch_load_b128 v[176:179], off, off offset:400
	s_mov_b32 s2, exec_lo
	ds_load_b128 v[180:183], v1 offset:1264
	s_waitcnt vmcnt(10) lgkmcnt(2)
	v_mul_f64 v[52:53], v[44:45], v[4:5]
	v_mul_f64 v[4:5], v[42:43], v[4:5]
	s_waitcnt vmcnt(9) lgkmcnt(1)
	v_mul_f64 v[54:55], v[38:39], v[8:9]
	v_mul_f64 v[8:9], v[40:41], v[8:9]
	s_delay_alu instid0(VALU_DEP_4) | instskip(NEXT) | instid1(VALU_DEP_4)
	v_fma_f64 v[52:53], v[42:43], v[2:3], -v[52:53]
	v_fma_f64 v[56:57], v[44:45], v[2:3], v[4:5]
	ds_load_b128 v[2:5], v1 offset:1248
	scratch_load_b128 v[42:45], off, off offset:416
	v_fma_f64 v[40:41], v[40:41], v[6:7], v[54:55]
	v_fma_f64 v[38:39], v[38:39], v[6:7], -v[8:9]
	scratch_load_b128 v[6:9], off, off offset:432
	s_waitcnt vmcnt(10) lgkmcnt(0)
	v_mul_f64 v[58:59], v[2:3], v[12:13]
	v_mul_f64 v[12:13], v[4:5], v[12:13]
	v_add_f64 v[52:53], v[52:53], 0
	v_add_f64 v[54:55], v[56:57], 0
	s_waitcnt vmcnt(9)
	v_mul_f64 v[56:57], v[180:181], v[16:17]
	v_mul_f64 v[16:17], v[182:183], v[16:17]
	v_fma_f64 v[58:59], v[4:5], v[10:11], v[58:59]
	v_fma_f64 v[60:61], v[2:3], v[10:11], -v[12:13]
	ds_load_b128 v[2:5], v1 offset:1280
	scratch_load_b128 v[10:13], off, off offset:448
	v_add_f64 v[52:53], v[52:53], v[38:39]
	v_add_f64 v[54:55], v[54:55], v[40:41]
	ds_load_b128 v[38:41], v1 offset:1296
	v_fma_f64 v[56:57], v[182:183], v[14:15], v[56:57]
	v_fma_f64 v[64:65], v[180:181], v[14:15], -v[16:17]
	scratch_load_b128 v[14:17], off, off offset:464
	s_waitcnt vmcnt(10) lgkmcnt(1)
	v_mul_f64 v[62:63], v[2:3], v[20:21]
	v_mul_f64 v[20:21], v[4:5], v[20:21]
	ds_load_b128 v[180:183], v1 offset:1328
	v_add_f64 v[52:53], v[52:53], v[60:61]
	v_add_f64 v[54:55], v[54:55], v[58:59]
	s_waitcnt vmcnt(9) lgkmcnt(1)
	v_mul_f64 v[58:59], v[38:39], v[24:25]
	v_mul_f64 v[24:25], v[40:41], v[24:25]
	v_fma_f64 v[60:61], v[4:5], v[18:19], v[62:63]
	v_fma_f64 v[62:63], v[2:3], v[18:19], -v[20:21]
	ds_load_b128 v[2:5], v1 offset:1312
	scratch_load_b128 v[18:21], off, off offset:480
	v_add_f64 v[52:53], v[52:53], v[64:65]
	v_add_f64 v[54:55], v[54:55], v[56:57]
	s_waitcnt vmcnt(9) lgkmcnt(0)
	v_mul_f64 v[56:57], v[2:3], v[28:29]
	v_mul_f64 v[28:29], v[4:5], v[28:29]
	v_fma_f64 v[40:41], v[40:41], v[22:23], v[58:59]
	v_fma_f64 v[38:39], v[38:39], v[22:23], -v[24:25]
	scratch_load_b128 v[22:25], off, off offset:496
	s_waitcnt vmcnt(9)
	v_mul_f64 v[58:59], v[180:181], v[32:33]
	v_mul_f64 v[32:33], v[182:183], v[32:33]
	v_add_f64 v[52:53], v[52:53], v[62:63]
	v_add_f64 v[54:55], v[54:55], v[60:61]
	v_fma_f64 v[56:57], v[4:5], v[26:27], v[56:57]
	v_fma_f64 v[60:61], v[2:3], v[26:27], -v[28:29]
	ds_load_b128 v[2:5], v1 offset:1344
	scratch_load_b128 v[26:29], off, off offset:512
	v_fma_f64 v[58:59], v[182:183], v[30:31], v[58:59]
	v_fma_f64 v[64:65], v[180:181], v[30:31], -v[32:33]
	scratch_load_b128 v[30:33], off, off offset:528
	ds_load_b128 v[182:185], v1 offset:1424
	v_add_f64 v[52:53], v[52:53], v[38:39]
	v_add_f64 v[54:55], v[54:55], v[40:41]
	ds_load_b128 v[38:41], v1 offset:1360
	s_waitcnt vmcnt(10) lgkmcnt(2)
	v_mul_f64 v[62:63], v[2:3], v[36:37]
	v_mul_f64 v[36:37], v[4:5], v[36:37]
	v_add_f64 v[52:53], v[52:53], v[60:61]
	v_add_f64 v[54:55], v[54:55], v[56:57]
	s_waitcnt vmcnt(8) lgkmcnt(0)
	v_mul_f64 v[56:57], v[38:39], v[178:179]
	v_mul_f64 v[60:61], v[40:41], v[178:179]
	v_fma_f64 v[62:63], v[4:5], v[34:35], v[62:63]
	v_fma_f64 v[66:67], v[2:3], v[34:35], -v[36:37]
	ds_load_b128 v[2:5], v1 offset:1376
	ds_load_b128 v[178:181], v1 offset:1392
	scratch_load_b128 v[34:37], off, off offset:544
	v_add_f64 v[52:53], v[52:53], v[64:65]
	v_add_f64 v[54:55], v[54:55], v[58:59]
	v_fma_f64 v[56:57], v[40:41], v[176:177], v[56:57]
	v_fma_f64 v[60:61], v[38:39], v[176:177], -v[60:61]
	scratch_load_b128 v[38:41], off, off offset:560
	s_waitcnt vmcnt(9) lgkmcnt(1)
	v_mul_f64 v[58:59], v[2:3], v[44:45]
	v_mul_f64 v[44:45], v[4:5], v[44:45]
	v_add_f64 v[52:53], v[52:53], v[66:67]
	v_add_f64 v[54:55], v[54:55], v[62:63]
	s_waitcnt vmcnt(8) lgkmcnt(0)
	v_mul_f64 v[62:63], v[178:179], v[8:9]
	v_mul_f64 v[8:9], v[180:181], v[8:9]
	v_fma_f64 v[58:59], v[4:5], v[42:43], v[58:59]
	v_fma_f64 v[64:65], v[2:3], v[42:43], -v[44:45]
	ds_load_b128 v[2:5], v1 offset:1408
	scratch_load_b128 v[42:45], off, off offset:576
	v_add_f64 v[52:53], v[52:53], v[60:61]
	v_add_f64 v[54:55], v[54:55], v[56:57]
	v_fma_f64 v[60:61], v[180:181], v[6:7], v[62:63]
	s_waitcnt vmcnt(8) lgkmcnt(0)
	v_mul_f64 v[56:57], v[2:3], v[12:13]
	v_mul_f64 v[12:13], v[4:5], v[12:13]
	v_fma_f64 v[62:63], v[178:179], v[6:7], -v[8:9]
	scratch_load_b128 v[6:9], off, off offset:592
	ds_load_b128 v[176:179], v1 offset:1456
	v_add_f64 v[52:53], v[52:53], v[64:65]
	v_add_f64 v[54:55], v[54:55], v[58:59]
	s_waitcnt vmcnt(8)
	v_mul_f64 v[58:59], v[182:183], v[16:17]
	v_mul_f64 v[16:17], v[184:185], v[16:17]
	v_fma_f64 v[56:57], v[4:5], v[10:11], v[56:57]
	v_fma_f64 v[64:65], v[2:3], v[10:11], -v[12:13]
	ds_load_b128 v[2:5], v1 offset:1440
	scratch_load_b128 v[10:13], off, off offset:608
	v_add_f64 v[52:53], v[52:53], v[62:63]
	v_add_f64 v[54:55], v[54:55], v[60:61]
	s_waitcnt vmcnt(8) lgkmcnt(0)
	v_mul_f64 v[60:61], v[2:3], v[20:21]
	v_mul_f64 v[20:21], v[4:5], v[20:21]
	v_fma_f64 v[58:59], v[184:185], v[14:15], v[58:59]
	v_fma_f64 v[62:63], v[182:183], v[14:15], -v[16:17]
	scratch_load_b128 v[14:17], off, off offset:624
	ds_load_b128 v[180:183], v1 offset:1488
	v_add_f64 v[52:53], v[52:53], v[64:65]
	v_add_f64 v[54:55], v[54:55], v[56:57]
	s_waitcnt vmcnt(8)
	v_mul_f64 v[56:57], v[176:177], v[24:25]
	v_mul_f64 v[24:25], v[178:179], v[24:25]
	v_fma_f64 v[60:61], v[4:5], v[18:19], v[60:61]
	v_fma_f64 v[64:65], v[2:3], v[18:19], -v[20:21]
	ds_load_b128 v[2:5], v1 offset:1472
	scratch_load_b128 v[18:21], off, off offset:640
	v_add_f64 v[52:53], v[52:53], v[62:63]
	v_add_f64 v[54:55], v[54:55], v[58:59]
	s_waitcnt vmcnt(8) lgkmcnt(0)
	v_mul_f64 v[58:59], v[2:3], v[28:29]
	v_mul_f64 v[28:29], v[4:5], v[28:29]
	v_fma_f64 v[56:57], v[178:179], v[22:23], v[56:57]
	;; [unrolled: 18-line block ×11, first 2 shown]
	v_fma_f64 v[62:63], v[180:181], v[14:15], -v[16:17]
	scratch_load_b128 v[14:17], off, off offset:944
	v_add_f64 v[52:53], v[52:53], v[64:65]
	v_add_f64 v[54:55], v[54:55], v[60:61]
	s_waitcnt vmcnt(8)
	v_mul_f64 v[60:61], v[176:177], v[24:25]
	v_mul_f64 v[24:25], v[178:179], v[24:25]
	v_fma_f64 v[58:59], v[4:5], v[18:19], v[58:59]
	v_fma_f64 v[64:65], v[2:3], v[18:19], -v[20:21]
	ds_load_b128 v[2:5], v1 offset:1792
	ds_load_b128 v[18:21], v1 offset:1808
	v_add_f64 v[52:53], v[52:53], v[62:63]
	v_add_f64 v[54:55], v[54:55], v[56:57]
	s_waitcnt vmcnt(7) lgkmcnt(1)
	v_mul_f64 v[56:57], v[2:3], v[28:29]
	v_mul_f64 v[28:29], v[4:5], v[28:29]
	v_fma_f64 v[60:61], v[178:179], v[22:23], v[60:61]
	v_fma_f64 v[22:23], v[176:177], v[22:23], -v[24:25]
	v_add_f64 v[24:25], v[52:53], v[64:65]
	v_add_f64 v[52:53], v[54:55], v[58:59]
	s_waitcnt vmcnt(6) lgkmcnt(0)
	v_mul_f64 v[54:55], v[18:19], v[32:33]
	v_mul_f64 v[32:33], v[20:21], v[32:33]
	v_fma_f64 v[56:57], v[4:5], v[26:27], v[56:57]
	v_fma_f64 v[26:27], v[2:3], v[26:27], -v[28:29]
	v_add_f64 v[28:29], v[24:25], v[22:23]
	v_add_f64 v[52:53], v[52:53], v[60:61]
	ds_load_b128 v[2:5], v1 offset:1824
	ds_load_b128 v[22:25], v1 offset:1840
	v_fma_f64 v[20:21], v[20:21], v[30:31], v[54:55]
	v_fma_f64 v[18:19], v[18:19], v[30:31], -v[32:33]
	s_waitcnt vmcnt(5) lgkmcnt(1)
	v_mul_f64 v[58:59], v[2:3], v[36:37]
	v_mul_f64 v[36:37], v[4:5], v[36:37]
	s_waitcnt vmcnt(4) lgkmcnt(0)
	v_mul_f64 v[30:31], v[22:23], v[40:41]
	v_mul_f64 v[32:33], v[24:25], v[40:41]
	v_add_f64 v[26:27], v[28:29], v[26:27]
	v_add_f64 v[28:29], v[52:53], v[56:57]
	v_fma_f64 v[40:41], v[4:5], v[34:35], v[58:59]
	v_fma_f64 v[34:35], v[2:3], v[34:35], -v[36:37]
	v_fma_f64 v[24:25], v[24:25], v[38:39], v[30:31]
	v_fma_f64 v[22:23], v[22:23], v[38:39], -v[32:33]
	v_add_f64 v[26:27], v[26:27], v[18:19]
	v_add_f64 v[28:29], v[28:29], v[20:21]
	ds_load_b128 v[2:5], v1 offset:1856
	ds_load_b128 v[18:21], v1 offset:1872
	s_waitcnt vmcnt(3) lgkmcnt(1)
	v_mul_f64 v[36:37], v[2:3], v[44:45]
	v_mul_f64 v[44:45], v[4:5], v[44:45]
	s_waitcnt vmcnt(2) lgkmcnt(0)
	v_mul_f64 v[30:31], v[18:19], v[8:9]
	v_mul_f64 v[8:9], v[20:21], v[8:9]
	v_add_f64 v[26:27], v[26:27], v[34:35]
	v_add_f64 v[28:29], v[28:29], v[40:41]
	v_fma_f64 v[32:33], v[4:5], v[42:43], v[36:37]
	v_fma_f64 v[34:35], v[2:3], v[42:43], -v[44:45]
	v_fma_f64 v[20:21], v[20:21], v[6:7], v[30:31]
	v_fma_f64 v[6:7], v[18:19], v[6:7], -v[8:9]
	v_add_f64 v[26:27], v[26:27], v[22:23]
	v_add_f64 v[28:29], v[28:29], v[24:25]
	ds_load_b128 v[2:5], v1 offset:1888
	ds_load_b128 v[22:25], v1 offset:1904
	s_waitcnt vmcnt(1) lgkmcnt(1)
	v_mul_f64 v[36:37], v[2:3], v[12:13]
	v_mul_f64 v[12:13], v[4:5], v[12:13]
	v_add_f64 v[8:9], v[26:27], v[34:35]
	v_add_f64 v[18:19], v[28:29], v[32:33]
	s_waitcnt vmcnt(0) lgkmcnt(0)
	v_mul_f64 v[26:27], v[22:23], v[16:17]
	v_mul_f64 v[16:17], v[24:25], v[16:17]
	v_fma_f64 v[4:5], v[4:5], v[10:11], v[36:37]
	v_fma_f64 v[1:2], v[2:3], v[10:11], -v[12:13]
	v_add_f64 v[6:7], v[8:9], v[6:7]
	v_add_f64 v[8:9], v[18:19], v[20:21]
	v_fma_f64 v[10:11], v[24:25], v[14:15], v[26:27]
	v_fma_f64 v[12:13], v[22:23], v[14:15], -v[16:17]
	s_delay_alu instid0(VALU_DEP_4) | instskip(NEXT) | instid1(VALU_DEP_4)
	v_add_f64 v[1:2], v[6:7], v[1:2]
	v_add_f64 v[3:4], v[8:9], v[4:5]
	s_delay_alu instid0(VALU_DEP_2) | instskip(NEXT) | instid1(VALU_DEP_2)
	v_add_f64 v[1:2], v[1:2], v[12:13]
	v_add_f64 v[3:4], v[3:4], v[10:11]
	s_delay_alu instid0(VALU_DEP_2) | instskip(NEXT) | instid1(VALU_DEP_2)
	v_add_f64 v[1:2], v[48:49], -v[1:2]
	v_add_f64 v[3:4], v[50:51], -v[3:4]
	scratch_store_b128 off, v[1:4], off offset:240
	v_cmpx_lt_u32_e32 14, v166
	s_cbranch_execz .LBB123_345
; %bb.344:
	scratch_load_b128 v[1:4], v212, off
	v_mov_b32_e32 v5, 0
	s_delay_alu instid0(VALU_DEP_1)
	v_mov_b32_e32 v6, v5
	v_mov_b32_e32 v7, v5
	;; [unrolled: 1-line block ×3, first 2 shown]
	scratch_store_b128 off, v[5:8], off offset:224
	s_waitcnt vmcnt(0)
	ds_store_b128 v226, v[1:4]
.LBB123_345:
	s_or_b32 exec_lo, exec_lo, s2
	s_waitcnt lgkmcnt(0)
	s_waitcnt_vscnt null, 0x0
	s_barrier
	buffer_gl0_inv
	s_clause 0x7
	scratch_load_b128 v[2:5], off, off offset:240
	scratch_load_b128 v[6:9], off, off offset:256
	;; [unrolled: 1-line block ×8, first 2 shown]
	v_mov_b32_e32 v1, 0
	s_mov_b32 s2, exec_lo
	ds_load_b128 v[38:41], v1 offset:1200
	s_clause 0x1
	scratch_load_b128 v[34:37], off, off offset:368
	scratch_load_b128 v[42:45], off, off offset:224
	ds_load_b128 v[48:51], v1 offset:1216
	scratch_load_b128 v[176:179], off, off offset:384
	ds_load_b128 v[180:183], v1 offset:1248
	s_waitcnt vmcnt(10) lgkmcnt(2)
	v_mul_f64 v[52:53], v[40:41], v[4:5]
	v_mul_f64 v[4:5], v[38:39], v[4:5]
	s_delay_alu instid0(VALU_DEP_2) | instskip(NEXT) | instid1(VALU_DEP_2)
	v_fma_f64 v[52:53], v[38:39], v[2:3], -v[52:53]
	v_fma_f64 v[56:57], v[40:41], v[2:3], v[4:5]
	ds_load_b128 v[2:5], v1 offset:1232
	s_waitcnt vmcnt(9) lgkmcnt(2)
	v_mul_f64 v[54:55], v[48:49], v[8:9]
	v_mul_f64 v[8:9], v[50:51], v[8:9]
	scratch_load_b128 v[38:41], off, off offset:400
	s_waitcnt vmcnt(9) lgkmcnt(0)
	v_mul_f64 v[58:59], v[2:3], v[12:13]
	v_mul_f64 v[12:13], v[4:5], v[12:13]
	v_add_f64 v[52:53], v[52:53], 0
	v_fma_f64 v[50:51], v[50:51], v[6:7], v[54:55]
	v_fma_f64 v[48:49], v[48:49], v[6:7], -v[8:9]
	v_add_f64 v[54:55], v[56:57], 0
	scratch_load_b128 v[6:9], off, off offset:416
	v_fma_f64 v[58:59], v[4:5], v[10:11], v[58:59]
	v_fma_f64 v[60:61], v[2:3], v[10:11], -v[12:13]
	scratch_load_b128 v[10:13], off, off offset:432
	ds_load_b128 v[2:5], v1 offset:1264
	s_waitcnt vmcnt(10)
	v_mul_f64 v[56:57], v[180:181], v[16:17]
	v_mul_f64 v[16:17], v[182:183], v[16:17]
	v_add_f64 v[52:53], v[52:53], v[48:49]
	v_add_f64 v[54:55], v[54:55], v[50:51]
	ds_load_b128 v[48:51], v1 offset:1280
	s_waitcnt vmcnt(9) lgkmcnt(1)
	v_mul_f64 v[62:63], v[2:3], v[20:21]
	v_mul_f64 v[20:21], v[4:5], v[20:21]
	v_fma_f64 v[56:57], v[182:183], v[14:15], v[56:57]
	v_fma_f64 v[64:65], v[180:181], v[14:15], -v[16:17]
	scratch_load_b128 v[14:17], off, off offset:448
	ds_load_b128 v[180:183], v1 offset:1312
	v_add_f64 v[52:53], v[52:53], v[60:61]
	v_add_f64 v[54:55], v[54:55], v[58:59]
	v_fma_f64 v[60:61], v[4:5], v[18:19], v[62:63]
	v_fma_f64 v[62:63], v[2:3], v[18:19], -v[20:21]
	ds_load_b128 v[2:5], v1 offset:1296
	s_waitcnt vmcnt(9) lgkmcnt(2)
	v_mul_f64 v[58:59], v[48:49], v[24:25]
	v_mul_f64 v[24:25], v[50:51], v[24:25]
	scratch_load_b128 v[18:21], off, off offset:464
	v_add_f64 v[52:53], v[52:53], v[64:65]
	v_add_f64 v[54:55], v[54:55], v[56:57]
	s_waitcnt vmcnt(9) lgkmcnt(0)
	v_mul_f64 v[56:57], v[2:3], v[28:29]
	v_mul_f64 v[28:29], v[4:5], v[28:29]
	v_fma_f64 v[50:51], v[50:51], v[22:23], v[58:59]
	v_fma_f64 v[48:49], v[48:49], v[22:23], -v[24:25]
	scratch_load_b128 v[22:25], off, off offset:480
	v_add_f64 v[52:53], v[52:53], v[62:63]
	v_add_f64 v[54:55], v[54:55], v[60:61]
	v_fma_f64 v[56:57], v[4:5], v[26:27], v[56:57]
	v_fma_f64 v[60:61], v[2:3], v[26:27], -v[28:29]
	scratch_load_b128 v[26:29], off, off offset:496
	ds_load_b128 v[2:5], v1 offset:1328
	s_waitcnt vmcnt(10)
	v_mul_f64 v[58:59], v[180:181], v[32:33]
	v_mul_f64 v[32:33], v[182:183], v[32:33]
	s_waitcnt vmcnt(9) lgkmcnt(0)
	v_mul_f64 v[62:63], v[2:3], v[36:37]
	v_mul_f64 v[36:37], v[4:5], v[36:37]
	v_add_f64 v[52:53], v[52:53], v[48:49]
	v_add_f64 v[54:55], v[54:55], v[50:51]
	ds_load_b128 v[48:51], v1 offset:1344
	v_fma_f64 v[58:59], v[182:183], v[30:31], v[58:59]
	v_fma_f64 v[64:65], v[180:181], v[30:31], -v[32:33]
	scratch_load_b128 v[30:33], off, off offset:512
	ds_load_b128 v[182:185], v1 offset:1408
	v_fma_f64 v[62:63], v[4:5], v[34:35], v[62:63]
	v_fma_f64 v[66:67], v[2:3], v[34:35], -v[36:37]
	ds_load_b128 v[2:5], v1 offset:1360
	scratch_load_b128 v[34:37], off, off offset:528
	v_add_f64 v[52:53], v[52:53], v[60:61]
	v_add_f64 v[54:55], v[54:55], v[56:57]
	s_waitcnt vmcnt(9) lgkmcnt(2)
	v_mul_f64 v[56:57], v[48:49], v[178:179]
	v_mul_f64 v[60:61], v[50:51], v[178:179]
	ds_load_b128 v[178:181], v1 offset:1376
	v_add_f64 v[52:53], v[52:53], v[64:65]
	v_add_f64 v[54:55], v[54:55], v[58:59]
	v_fma_f64 v[56:57], v[50:51], v[176:177], v[56:57]
	v_fma_f64 v[60:61], v[48:49], v[176:177], -v[60:61]
	scratch_load_b128 v[48:51], off, off offset:544
	s_waitcnt vmcnt(9) lgkmcnt(1)
	v_mul_f64 v[58:59], v[2:3], v[40:41]
	v_mul_f64 v[40:41], v[4:5], v[40:41]
	v_add_f64 v[52:53], v[52:53], v[66:67]
	v_add_f64 v[54:55], v[54:55], v[62:63]
	s_delay_alu instid0(VALU_DEP_4) | instskip(NEXT) | instid1(VALU_DEP_4)
	v_fma_f64 v[58:59], v[4:5], v[38:39], v[58:59]
	v_fma_f64 v[64:65], v[2:3], v[38:39], -v[40:41]
	scratch_load_b128 v[38:41], off, off offset:560
	ds_load_b128 v[2:5], v1 offset:1392
	s_waitcnt vmcnt(9) lgkmcnt(1)
	v_mul_f64 v[62:63], v[178:179], v[8:9]
	v_mul_f64 v[8:9], v[180:181], v[8:9]
	v_add_f64 v[52:53], v[52:53], v[60:61]
	v_add_f64 v[54:55], v[54:55], v[56:57]
	s_waitcnt vmcnt(8) lgkmcnt(0)
	v_mul_f64 v[56:57], v[2:3], v[12:13]
	v_mul_f64 v[12:13], v[4:5], v[12:13]
	v_fma_f64 v[60:61], v[180:181], v[6:7], v[62:63]
	v_fma_f64 v[62:63], v[178:179], v[6:7], -v[8:9]
	scratch_load_b128 v[6:9], off, off offset:576
	ds_load_b128 v[176:179], v1 offset:1440
	v_add_f64 v[52:53], v[52:53], v[64:65]
	v_add_f64 v[54:55], v[54:55], v[58:59]
	v_fma_f64 v[56:57], v[4:5], v[10:11], v[56:57]
	v_fma_f64 v[64:65], v[2:3], v[10:11], -v[12:13]
	ds_load_b128 v[2:5], v1 offset:1424
	s_waitcnt vmcnt(8)
	v_mul_f64 v[58:59], v[182:183], v[16:17]
	v_mul_f64 v[16:17], v[184:185], v[16:17]
	scratch_load_b128 v[10:13], off, off offset:592
	v_add_f64 v[52:53], v[52:53], v[62:63]
	v_add_f64 v[54:55], v[54:55], v[60:61]
	s_waitcnt vmcnt(8) lgkmcnt(0)
	v_mul_f64 v[60:61], v[2:3], v[20:21]
	v_mul_f64 v[20:21], v[4:5], v[20:21]
	v_fma_f64 v[58:59], v[184:185], v[14:15], v[58:59]
	v_fma_f64 v[62:63], v[182:183], v[14:15], -v[16:17]
	scratch_load_b128 v[14:17], off, off offset:608
	ds_load_b128 v[180:183], v1 offset:1472
	v_add_f64 v[52:53], v[52:53], v[64:65]
	v_add_f64 v[54:55], v[54:55], v[56:57]
	v_fma_f64 v[60:61], v[4:5], v[18:19], v[60:61]
	v_fma_f64 v[64:65], v[2:3], v[18:19], -v[20:21]
	ds_load_b128 v[2:5], v1 offset:1456
	s_waitcnt vmcnt(8)
	v_mul_f64 v[56:57], v[176:177], v[24:25]
	v_mul_f64 v[24:25], v[178:179], v[24:25]
	scratch_load_b128 v[18:21], off, off offset:624
	;; [unrolled: 18-line block ×11, first 2 shown]
	v_add_f64 v[52:53], v[52:53], v[62:63]
	v_add_f64 v[54:55], v[54:55], v[58:59]
	s_waitcnt vmcnt(8) lgkmcnt(0)
	v_mul_f64 v[58:59], v[2:3], v[20:21]
	v_mul_f64 v[20:21], v[4:5], v[20:21]
	v_fma_f64 v[56:57], v[182:183], v[14:15], v[56:57]
	v_fma_f64 v[62:63], v[180:181], v[14:15], -v[16:17]
	scratch_load_b128 v[14:17], off, off offset:928
	ds_load_b128 v[180:183], v1 offset:1792
	v_add_f64 v[52:53], v[52:53], v[64:65]
	v_add_f64 v[54:55], v[54:55], v[60:61]
	v_fma_f64 v[58:59], v[4:5], v[18:19], v[58:59]
	v_fma_f64 v[64:65], v[2:3], v[18:19], -v[20:21]
	scratch_load_b128 v[18:21], off, off offset:944
	ds_load_b128 v[2:5], v1 offset:1776
	s_waitcnt vmcnt(9)
	v_mul_f64 v[60:61], v[176:177], v[24:25]
	v_mul_f64 v[24:25], v[178:179], v[24:25]
	v_add_f64 v[52:53], v[52:53], v[62:63]
	v_add_f64 v[54:55], v[54:55], v[56:57]
	s_waitcnt vmcnt(8) lgkmcnt(0)
	v_mul_f64 v[56:57], v[2:3], v[28:29]
	v_mul_f64 v[28:29], v[4:5], v[28:29]
	v_fma_f64 v[60:61], v[178:179], v[22:23], v[60:61]
	v_fma_f64 v[22:23], v[176:177], v[22:23], -v[24:25]
	v_add_f64 v[24:25], v[52:53], v[64:65]
	v_add_f64 v[52:53], v[54:55], v[58:59]
	s_waitcnt vmcnt(7)
	v_mul_f64 v[54:55], v[180:181], v[32:33]
	v_mul_f64 v[32:33], v[182:183], v[32:33]
	v_fma_f64 v[56:57], v[4:5], v[26:27], v[56:57]
	v_fma_f64 v[26:27], v[2:3], v[26:27], -v[28:29]
	v_add_f64 v[28:29], v[24:25], v[22:23]
	v_add_f64 v[52:53], v[52:53], v[60:61]
	ds_load_b128 v[2:5], v1 offset:1808
	ds_load_b128 v[22:25], v1 offset:1824
	v_fma_f64 v[54:55], v[182:183], v[30:31], v[54:55]
	v_fma_f64 v[30:31], v[180:181], v[30:31], -v[32:33]
	s_waitcnt vmcnt(6) lgkmcnt(1)
	v_mul_f64 v[58:59], v[2:3], v[36:37]
	v_mul_f64 v[36:37], v[4:5], v[36:37]
	s_waitcnt vmcnt(5) lgkmcnt(0)
	v_mul_f64 v[32:33], v[22:23], v[50:51]
	v_mul_f64 v[50:51], v[24:25], v[50:51]
	v_add_f64 v[26:27], v[28:29], v[26:27]
	v_add_f64 v[28:29], v[52:53], v[56:57]
	v_fma_f64 v[52:53], v[4:5], v[34:35], v[58:59]
	v_fma_f64 v[34:35], v[2:3], v[34:35], -v[36:37]
	v_fma_f64 v[24:25], v[24:25], v[48:49], v[32:33]
	v_fma_f64 v[22:23], v[22:23], v[48:49], -v[50:51]
	v_add_f64 v[30:31], v[26:27], v[30:31]
	v_add_f64 v[36:37], v[28:29], v[54:55]
	ds_load_b128 v[2:5], v1 offset:1840
	ds_load_b128 v[26:29], v1 offset:1856
	s_waitcnt vmcnt(4) lgkmcnt(1)
	v_mul_f64 v[54:55], v[2:3], v[40:41]
	v_mul_f64 v[40:41], v[4:5], v[40:41]
	v_add_f64 v[30:31], v[30:31], v[34:35]
	v_add_f64 v[32:33], v[36:37], v[52:53]
	s_waitcnt vmcnt(3) lgkmcnt(0)
	v_mul_f64 v[34:35], v[26:27], v[8:9]
	v_mul_f64 v[8:9], v[28:29], v[8:9]
	v_fma_f64 v[36:37], v[4:5], v[38:39], v[54:55]
	v_fma_f64 v[38:39], v[2:3], v[38:39], -v[40:41]
	v_add_f64 v[30:31], v[30:31], v[22:23]
	v_add_f64 v[32:33], v[32:33], v[24:25]
	ds_load_b128 v[2:5], v1 offset:1872
	ds_load_b128 v[22:25], v1 offset:1888
	v_fma_f64 v[28:29], v[28:29], v[6:7], v[34:35]
	v_fma_f64 v[6:7], v[26:27], v[6:7], -v[8:9]
	s_waitcnt vmcnt(2) lgkmcnt(1)
	v_mul_f64 v[40:41], v[2:3], v[12:13]
	v_mul_f64 v[12:13], v[4:5], v[12:13]
	v_add_f64 v[8:9], v[30:31], v[38:39]
	v_add_f64 v[26:27], v[32:33], v[36:37]
	s_waitcnt vmcnt(1) lgkmcnt(0)
	v_mul_f64 v[30:31], v[22:23], v[16:17]
	v_mul_f64 v[16:17], v[24:25], v[16:17]
	v_fma_f64 v[32:33], v[4:5], v[10:11], v[40:41]
	v_fma_f64 v[10:11], v[2:3], v[10:11], -v[12:13]
	ds_load_b128 v[2:5], v1 offset:1904
	v_add_f64 v[6:7], v[8:9], v[6:7]
	v_add_f64 v[8:9], v[26:27], v[28:29]
	v_fma_f64 v[24:25], v[24:25], v[14:15], v[30:31]
	v_fma_f64 v[14:15], v[22:23], v[14:15], -v[16:17]
	s_waitcnt vmcnt(0) lgkmcnt(0)
	v_mul_f64 v[12:13], v[2:3], v[20:21]
	v_mul_f64 v[20:21], v[4:5], v[20:21]
	v_add_f64 v[6:7], v[6:7], v[10:11]
	v_add_f64 v[8:9], v[8:9], v[32:33]
	s_delay_alu instid0(VALU_DEP_4) | instskip(NEXT) | instid1(VALU_DEP_4)
	v_fma_f64 v[4:5], v[4:5], v[18:19], v[12:13]
	v_fma_f64 v[2:3], v[2:3], v[18:19], -v[20:21]
	s_delay_alu instid0(VALU_DEP_4) | instskip(NEXT) | instid1(VALU_DEP_4)
	v_add_f64 v[6:7], v[6:7], v[14:15]
	v_add_f64 v[8:9], v[8:9], v[24:25]
	s_delay_alu instid0(VALU_DEP_2) | instskip(NEXT) | instid1(VALU_DEP_2)
	v_add_f64 v[2:3], v[6:7], v[2:3]
	v_add_f64 v[4:5], v[8:9], v[4:5]
	s_delay_alu instid0(VALU_DEP_2) | instskip(NEXT) | instid1(VALU_DEP_2)
	v_add_f64 v[2:3], v[42:43], -v[2:3]
	v_add_f64 v[4:5], v[44:45], -v[4:5]
	scratch_store_b128 off, v[2:5], off offset:224
	v_cmpx_lt_u32_e32 13, v166
	s_cbranch_execz .LBB123_347
; %bb.346:
	scratch_load_b128 v[5:8], v213, off
	v_mov_b32_e32 v2, v1
	v_mov_b32_e32 v3, v1
	;; [unrolled: 1-line block ×3, first 2 shown]
	scratch_store_b128 off, v[1:4], off offset:208
	s_waitcnt vmcnt(0)
	ds_store_b128 v226, v[5:8]
.LBB123_347:
	s_or_b32 exec_lo, exec_lo, s2
	s_waitcnt lgkmcnt(0)
	s_waitcnt_vscnt null, 0x0
	s_barrier
	buffer_gl0_inv
	s_clause 0x8
	scratch_load_b128 v[2:5], off, off offset:224
	scratch_load_b128 v[6:9], off, off offset:240
	;; [unrolled: 1-line block ×9, first 2 shown]
	ds_load_b128 v[42:45], v1 offset:1184
	ds_load_b128 v[38:41], v1 offset:1200
	s_clause 0x1
	scratch_load_b128 v[48:51], off, off offset:208
	scratch_load_b128 v[176:179], off, off offset:368
	s_mov_b32 s2, exec_lo
	ds_load_b128 v[180:183], v1 offset:1232
	s_waitcnt vmcnt(10) lgkmcnt(2)
	v_mul_f64 v[52:53], v[44:45], v[4:5]
	v_mul_f64 v[4:5], v[42:43], v[4:5]
	s_waitcnt vmcnt(9) lgkmcnt(1)
	v_mul_f64 v[54:55], v[38:39], v[8:9]
	v_mul_f64 v[8:9], v[40:41], v[8:9]
	s_delay_alu instid0(VALU_DEP_4) | instskip(NEXT) | instid1(VALU_DEP_4)
	v_fma_f64 v[52:53], v[42:43], v[2:3], -v[52:53]
	v_fma_f64 v[56:57], v[44:45], v[2:3], v[4:5]
	ds_load_b128 v[2:5], v1 offset:1216
	scratch_load_b128 v[42:45], off, off offset:384
	v_fma_f64 v[40:41], v[40:41], v[6:7], v[54:55]
	v_fma_f64 v[38:39], v[38:39], v[6:7], -v[8:9]
	scratch_load_b128 v[6:9], off, off offset:400
	s_waitcnt vmcnt(10) lgkmcnt(0)
	v_mul_f64 v[58:59], v[2:3], v[12:13]
	v_mul_f64 v[12:13], v[4:5], v[12:13]
	v_add_f64 v[52:53], v[52:53], 0
	v_add_f64 v[54:55], v[56:57], 0
	s_waitcnt vmcnt(9)
	v_mul_f64 v[56:57], v[180:181], v[16:17]
	v_mul_f64 v[16:17], v[182:183], v[16:17]
	v_fma_f64 v[58:59], v[4:5], v[10:11], v[58:59]
	v_fma_f64 v[60:61], v[2:3], v[10:11], -v[12:13]
	ds_load_b128 v[2:5], v1 offset:1248
	scratch_load_b128 v[10:13], off, off offset:416
	v_add_f64 v[52:53], v[52:53], v[38:39]
	v_add_f64 v[54:55], v[54:55], v[40:41]
	ds_load_b128 v[38:41], v1 offset:1264
	v_fma_f64 v[56:57], v[182:183], v[14:15], v[56:57]
	v_fma_f64 v[64:65], v[180:181], v[14:15], -v[16:17]
	scratch_load_b128 v[14:17], off, off offset:432
	s_waitcnt vmcnt(10) lgkmcnt(1)
	v_mul_f64 v[62:63], v[2:3], v[20:21]
	v_mul_f64 v[20:21], v[4:5], v[20:21]
	ds_load_b128 v[180:183], v1 offset:1296
	v_add_f64 v[52:53], v[52:53], v[60:61]
	v_add_f64 v[54:55], v[54:55], v[58:59]
	s_waitcnt vmcnt(9) lgkmcnt(1)
	v_mul_f64 v[58:59], v[38:39], v[24:25]
	v_mul_f64 v[24:25], v[40:41], v[24:25]
	v_fma_f64 v[60:61], v[4:5], v[18:19], v[62:63]
	v_fma_f64 v[62:63], v[2:3], v[18:19], -v[20:21]
	ds_load_b128 v[2:5], v1 offset:1280
	scratch_load_b128 v[18:21], off, off offset:448
	v_add_f64 v[52:53], v[52:53], v[64:65]
	v_add_f64 v[54:55], v[54:55], v[56:57]
	s_waitcnt vmcnt(9) lgkmcnt(0)
	v_mul_f64 v[56:57], v[2:3], v[28:29]
	v_mul_f64 v[28:29], v[4:5], v[28:29]
	v_fma_f64 v[40:41], v[40:41], v[22:23], v[58:59]
	v_fma_f64 v[38:39], v[38:39], v[22:23], -v[24:25]
	scratch_load_b128 v[22:25], off, off offset:464
	s_waitcnt vmcnt(9)
	v_mul_f64 v[58:59], v[180:181], v[32:33]
	v_mul_f64 v[32:33], v[182:183], v[32:33]
	v_add_f64 v[52:53], v[52:53], v[62:63]
	v_add_f64 v[54:55], v[54:55], v[60:61]
	v_fma_f64 v[56:57], v[4:5], v[26:27], v[56:57]
	v_fma_f64 v[60:61], v[2:3], v[26:27], -v[28:29]
	ds_load_b128 v[2:5], v1 offset:1312
	scratch_load_b128 v[26:29], off, off offset:480
	v_fma_f64 v[58:59], v[182:183], v[30:31], v[58:59]
	v_fma_f64 v[64:65], v[180:181], v[30:31], -v[32:33]
	scratch_load_b128 v[30:33], off, off offset:496
	ds_load_b128 v[182:185], v1 offset:1392
	v_add_f64 v[52:53], v[52:53], v[38:39]
	v_add_f64 v[54:55], v[54:55], v[40:41]
	ds_load_b128 v[38:41], v1 offset:1328
	s_waitcnt vmcnt(10) lgkmcnt(2)
	v_mul_f64 v[62:63], v[2:3], v[36:37]
	v_mul_f64 v[36:37], v[4:5], v[36:37]
	v_add_f64 v[52:53], v[52:53], v[60:61]
	v_add_f64 v[54:55], v[54:55], v[56:57]
	s_waitcnt vmcnt(8) lgkmcnt(0)
	v_mul_f64 v[56:57], v[38:39], v[178:179]
	v_mul_f64 v[60:61], v[40:41], v[178:179]
	v_fma_f64 v[62:63], v[4:5], v[34:35], v[62:63]
	v_fma_f64 v[66:67], v[2:3], v[34:35], -v[36:37]
	ds_load_b128 v[2:5], v1 offset:1344
	ds_load_b128 v[178:181], v1 offset:1360
	scratch_load_b128 v[34:37], off, off offset:512
	v_add_f64 v[52:53], v[52:53], v[64:65]
	v_add_f64 v[54:55], v[54:55], v[58:59]
	v_fma_f64 v[56:57], v[40:41], v[176:177], v[56:57]
	v_fma_f64 v[60:61], v[38:39], v[176:177], -v[60:61]
	scratch_load_b128 v[38:41], off, off offset:528
	s_waitcnt vmcnt(9) lgkmcnt(1)
	v_mul_f64 v[58:59], v[2:3], v[44:45]
	v_mul_f64 v[44:45], v[4:5], v[44:45]
	v_add_f64 v[52:53], v[52:53], v[66:67]
	v_add_f64 v[54:55], v[54:55], v[62:63]
	s_waitcnt vmcnt(8) lgkmcnt(0)
	v_mul_f64 v[62:63], v[178:179], v[8:9]
	v_mul_f64 v[8:9], v[180:181], v[8:9]
	v_fma_f64 v[58:59], v[4:5], v[42:43], v[58:59]
	v_fma_f64 v[64:65], v[2:3], v[42:43], -v[44:45]
	ds_load_b128 v[2:5], v1 offset:1376
	scratch_load_b128 v[42:45], off, off offset:544
	v_add_f64 v[52:53], v[52:53], v[60:61]
	v_add_f64 v[54:55], v[54:55], v[56:57]
	v_fma_f64 v[60:61], v[180:181], v[6:7], v[62:63]
	s_waitcnt vmcnt(8) lgkmcnt(0)
	v_mul_f64 v[56:57], v[2:3], v[12:13]
	v_mul_f64 v[12:13], v[4:5], v[12:13]
	v_fma_f64 v[62:63], v[178:179], v[6:7], -v[8:9]
	scratch_load_b128 v[6:9], off, off offset:560
	ds_load_b128 v[176:179], v1 offset:1424
	v_add_f64 v[52:53], v[52:53], v[64:65]
	v_add_f64 v[54:55], v[54:55], v[58:59]
	s_waitcnt vmcnt(8)
	v_mul_f64 v[58:59], v[182:183], v[16:17]
	v_mul_f64 v[16:17], v[184:185], v[16:17]
	v_fma_f64 v[56:57], v[4:5], v[10:11], v[56:57]
	v_fma_f64 v[64:65], v[2:3], v[10:11], -v[12:13]
	ds_load_b128 v[2:5], v1 offset:1408
	scratch_load_b128 v[10:13], off, off offset:576
	v_add_f64 v[52:53], v[52:53], v[62:63]
	v_add_f64 v[54:55], v[54:55], v[60:61]
	s_waitcnt vmcnt(8) lgkmcnt(0)
	v_mul_f64 v[60:61], v[2:3], v[20:21]
	v_mul_f64 v[20:21], v[4:5], v[20:21]
	v_fma_f64 v[58:59], v[184:185], v[14:15], v[58:59]
	v_fma_f64 v[62:63], v[182:183], v[14:15], -v[16:17]
	scratch_load_b128 v[14:17], off, off offset:592
	ds_load_b128 v[180:183], v1 offset:1456
	v_add_f64 v[52:53], v[52:53], v[64:65]
	v_add_f64 v[54:55], v[54:55], v[56:57]
	s_waitcnt vmcnt(8)
	v_mul_f64 v[56:57], v[176:177], v[24:25]
	v_mul_f64 v[24:25], v[178:179], v[24:25]
	v_fma_f64 v[60:61], v[4:5], v[18:19], v[60:61]
	v_fma_f64 v[64:65], v[2:3], v[18:19], -v[20:21]
	ds_load_b128 v[2:5], v1 offset:1440
	scratch_load_b128 v[18:21], off, off offset:608
	v_add_f64 v[52:53], v[52:53], v[62:63]
	v_add_f64 v[54:55], v[54:55], v[58:59]
	s_waitcnt vmcnt(8) lgkmcnt(0)
	v_mul_f64 v[58:59], v[2:3], v[28:29]
	v_mul_f64 v[28:29], v[4:5], v[28:29]
	v_fma_f64 v[56:57], v[178:179], v[22:23], v[56:57]
	;; [unrolled: 18-line block ×12, first 2 shown]
	v_fma_f64 v[62:63], v[176:177], v[22:23], -v[24:25]
	scratch_load_b128 v[22:25], off, off offset:944
	v_add_f64 v[52:53], v[52:53], v[64:65]
	v_add_f64 v[54:55], v[54:55], v[58:59]
	s_waitcnt vmcnt(8)
	v_mul_f64 v[58:59], v[180:181], v[32:33]
	v_mul_f64 v[32:33], v[182:183], v[32:33]
	v_fma_f64 v[56:57], v[4:5], v[26:27], v[56:57]
	v_fma_f64 v[64:65], v[2:3], v[26:27], -v[28:29]
	ds_load_b128 v[2:5], v1 offset:1792
	ds_load_b128 v[26:29], v1 offset:1808
	v_add_f64 v[52:53], v[52:53], v[62:63]
	v_add_f64 v[54:55], v[54:55], v[60:61]
	s_waitcnt vmcnt(7) lgkmcnt(1)
	v_mul_f64 v[60:61], v[2:3], v[36:37]
	v_mul_f64 v[36:37], v[4:5], v[36:37]
	v_fma_f64 v[58:59], v[182:183], v[30:31], v[58:59]
	v_fma_f64 v[30:31], v[180:181], v[30:31], -v[32:33]
	v_add_f64 v[32:33], v[52:53], v[64:65]
	v_add_f64 v[52:53], v[54:55], v[56:57]
	s_waitcnt vmcnt(6) lgkmcnt(0)
	v_mul_f64 v[54:55], v[26:27], v[40:41]
	v_mul_f64 v[40:41], v[28:29], v[40:41]
	v_fma_f64 v[56:57], v[4:5], v[34:35], v[60:61]
	v_fma_f64 v[34:35], v[2:3], v[34:35], -v[36:37]
	v_add_f64 v[36:37], v[32:33], v[30:31]
	v_add_f64 v[52:53], v[52:53], v[58:59]
	ds_load_b128 v[2:5], v1 offset:1824
	ds_load_b128 v[30:33], v1 offset:1840
	v_fma_f64 v[28:29], v[28:29], v[38:39], v[54:55]
	v_fma_f64 v[26:27], v[26:27], v[38:39], -v[40:41]
	s_waitcnt vmcnt(5) lgkmcnt(1)
	v_mul_f64 v[58:59], v[2:3], v[44:45]
	v_mul_f64 v[44:45], v[4:5], v[44:45]
	s_waitcnt vmcnt(4) lgkmcnt(0)
	v_mul_f64 v[38:39], v[30:31], v[8:9]
	v_mul_f64 v[8:9], v[32:33], v[8:9]
	v_add_f64 v[34:35], v[36:37], v[34:35]
	v_add_f64 v[36:37], v[52:53], v[56:57]
	v_fma_f64 v[40:41], v[4:5], v[42:43], v[58:59]
	v_fma_f64 v[42:43], v[2:3], v[42:43], -v[44:45]
	v_fma_f64 v[32:33], v[32:33], v[6:7], v[38:39]
	v_fma_f64 v[6:7], v[30:31], v[6:7], -v[8:9]
	v_add_f64 v[34:35], v[34:35], v[26:27]
	v_add_f64 v[36:37], v[36:37], v[28:29]
	ds_load_b128 v[2:5], v1 offset:1856
	ds_load_b128 v[26:29], v1 offset:1872
	s_waitcnt vmcnt(3) lgkmcnt(1)
	v_mul_f64 v[44:45], v[2:3], v[12:13]
	v_mul_f64 v[12:13], v[4:5], v[12:13]
	v_add_f64 v[8:9], v[34:35], v[42:43]
	v_add_f64 v[30:31], v[36:37], v[40:41]
	s_waitcnt vmcnt(2) lgkmcnt(0)
	v_mul_f64 v[34:35], v[26:27], v[16:17]
	v_mul_f64 v[16:17], v[28:29], v[16:17]
	v_fma_f64 v[36:37], v[4:5], v[10:11], v[44:45]
	v_fma_f64 v[10:11], v[2:3], v[10:11], -v[12:13]
	v_add_f64 v[12:13], v[8:9], v[6:7]
	v_add_f64 v[30:31], v[30:31], v[32:33]
	ds_load_b128 v[2:5], v1 offset:1888
	ds_load_b128 v[6:9], v1 offset:1904
	v_fma_f64 v[28:29], v[28:29], v[14:15], v[34:35]
	v_fma_f64 v[14:15], v[26:27], v[14:15], -v[16:17]
	s_waitcnt vmcnt(1) lgkmcnt(1)
	v_mul_f64 v[32:33], v[2:3], v[20:21]
	v_mul_f64 v[20:21], v[4:5], v[20:21]
	s_waitcnt vmcnt(0) lgkmcnt(0)
	v_mul_f64 v[16:17], v[6:7], v[24:25]
	v_mul_f64 v[24:25], v[8:9], v[24:25]
	v_add_f64 v[10:11], v[12:13], v[10:11]
	v_add_f64 v[12:13], v[30:31], v[36:37]
	v_fma_f64 v[4:5], v[4:5], v[18:19], v[32:33]
	v_fma_f64 v[1:2], v[2:3], v[18:19], -v[20:21]
	v_fma_f64 v[8:9], v[8:9], v[22:23], v[16:17]
	v_fma_f64 v[6:7], v[6:7], v[22:23], -v[24:25]
	v_add_f64 v[10:11], v[10:11], v[14:15]
	v_add_f64 v[12:13], v[12:13], v[28:29]
	s_delay_alu instid0(VALU_DEP_2) | instskip(NEXT) | instid1(VALU_DEP_2)
	v_add_f64 v[1:2], v[10:11], v[1:2]
	v_add_f64 v[3:4], v[12:13], v[4:5]
	s_delay_alu instid0(VALU_DEP_2) | instskip(NEXT) | instid1(VALU_DEP_2)
	;; [unrolled: 3-line block ×3, first 2 shown]
	v_add_f64 v[1:2], v[48:49], -v[1:2]
	v_add_f64 v[3:4], v[50:51], -v[3:4]
	scratch_store_b128 off, v[1:4], off offset:208
	v_cmpx_lt_u32_e32 12, v166
	s_cbranch_execz .LBB123_349
; %bb.348:
	scratch_load_b128 v[1:4], v214, off
	v_mov_b32_e32 v5, 0
	s_delay_alu instid0(VALU_DEP_1)
	v_mov_b32_e32 v6, v5
	v_mov_b32_e32 v7, v5
	;; [unrolled: 1-line block ×3, first 2 shown]
	scratch_store_b128 off, v[5:8], off offset:192
	s_waitcnt vmcnt(0)
	ds_store_b128 v226, v[1:4]
.LBB123_349:
	s_or_b32 exec_lo, exec_lo, s2
	s_waitcnt lgkmcnt(0)
	s_waitcnt_vscnt null, 0x0
	s_barrier
	buffer_gl0_inv
	s_clause 0x7
	scratch_load_b128 v[2:5], off, off offset:208
	scratch_load_b128 v[6:9], off, off offset:224
	;; [unrolled: 1-line block ×8, first 2 shown]
	v_mov_b32_e32 v1, 0
	s_mov_b32 s2, exec_lo
	ds_load_b128 v[38:41], v1 offset:1168
	s_clause 0x1
	scratch_load_b128 v[34:37], off, off offset:336
	scratch_load_b128 v[42:45], off, off offset:192
	ds_load_b128 v[48:51], v1 offset:1184
	scratch_load_b128 v[176:179], off, off offset:352
	ds_load_b128 v[180:183], v1 offset:1216
	s_waitcnt vmcnt(10) lgkmcnt(2)
	v_mul_f64 v[52:53], v[40:41], v[4:5]
	v_mul_f64 v[4:5], v[38:39], v[4:5]
	s_delay_alu instid0(VALU_DEP_2) | instskip(NEXT) | instid1(VALU_DEP_2)
	v_fma_f64 v[52:53], v[38:39], v[2:3], -v[52:53]
	v_fma_f64 v[56:57], v[40:41], v[2:3], v[4:5]
	ds_load_b128 v[2:5], v1 offset:1200
	s_waitcnt vmcnt(9) lgkmcnt(2)
	v_mul_f64 v[54:55], v[48:49], v[8:9]
	v_mul_f64 v[8:9], v[50:51], v[8:9]
	scratch_load_b128 v[38:41], off, off offset:368
	s_waitcnt vmcnt(9) lgkmcnt(0)
	v_mul_f64 v[58:59], v[2:3], v[12:13]
	v_mul_f64 v[12:13], v[4:5], v[12:13]
	v_add_f64 v[52:53], v[52:53], 0
	v_fma_f64 v[50:51], v[50:51], v[6:7], v[54:55]
	v_fma_f64 v[48:49], v[48:49], v[6:7], -v[8:9]
	v_add_f64 v[54:55], v[56:57], 0
	scratch_load_b128 v[6:9], off, off offset:384
	v_fma_f64 v[58:59], v[4:5], v[10:11], v[58:59]
	v_fma_f64 v[60:61], v[2:3], v[10:11], -v[12:13]
	scratch_load_b128 v[10:13], off, off offset:400
	ds_load_b128 v[2:5], v1 offset:1232
	s_waitcnt vmcnt(10)
	v_mul_f64 v[56:57], v[180:181], v[16:17]
	v_mul_f64 v[16:17], v[182:183], v[16:17]
	v_add_f64 v[52:53], v[52:53], v[48:49]
	v_add_f64 v[54:55], v[54:55], v[50:51]
	ds_load_b128 v[48:51], v1 offset:1248
	s_waitcnt vmcnt(9) lgkmcnt(1)
	v_mul_f64 v[62:63], v[2:3], v[20:21]
	v_mul_f64 v[20:21], v[4:5], v[20:21]
	v_fma_f64 v[56:57], v[182:183], v[14:15], v[56:57]
	v_fma_f64 v[64:65], v[180:181], v[14:15], -v[16:17]
	scratch_load_b128 v[14:17], off, off offset:416
	ds_load_b128 v[180:183], v1 offset:1280
	v_add_f64 v[52:53], v[52:53], v[60:61]
	v_add_f64 v[54:55], v[54:55], v[58:59]
	v_fma_f64 v[60:61], v[4:5], v[18:19], v[62:63]
	v_fma_f64 v[62:63], v[2:3], v[18:19], -v[20:21]
	ds_load_b128 v[2:5], v1 offset:1264
	s_waitcnt vmcnt(9) lgkmcnt(2)
	v_mul_f64 v[58:59], v[48:49], v[24:25]
	v_mul_f64 v[24:25], v[50:51], v[24:25]
	scratch_load_b128 v[18:21], off, off offset:432
	v_add_f64 v[52:53], v[52:53], v[64:65]
	v_add_f64 v[54:55], v[54:55], v[56:57]
	s_waitcnt vmcnt(9) lgkmcnt(0)
	v_mul_f64 v[56:57], v[2:3], v[28:29]
	v_mul_f64 v[28:29], v[4:5], v[28:29]
	v_fma_f64 v[50:51], v[50:51], v[22:23], v[58:59]
	v_fma_f64 v[48:49], v[48:49], v[22:23], -v[24:25]
	scratch_load_b128 v[22:25], off, off offset:448
	v_add_f64 v[52:53], v[52:53], v[62:63]
	v_add_f64 v[54:55], v[54:55], v[60:61]
	v_fma_f64 v[56:57], v[4:5], v[26:27], v[56:57]
	v_fma_f64 v[60:61], v[2:3], v[26:27], -v[28:29]
	scratch_load_b128 v[26:29], off, off offset:464
	ds_load_b128 v[2:5], v1 offset:1296
	s_waitcnt vmcnt(10)
	v_mul_f64 v[58:59], v[180:181], v[32:33]
	v_mul_f64 v[32:33], v[182:183], v[32:33]
	s_waitcnt vmcnt(9) lgkmcnt(0)
	v_mul_f64 v[62:63], v[2:3], v[36:37]
	v_mul_f64 v[36:37], v[4:5], v[36:37]
	v_add_f64 v[52:53], v[52:53], v[48:49]
	v_add_f64 v[54:55], v[54:55], v[50:51]
	ds_load_b128 v[48:51], v1 offset:1312
	v_fma_f64 v[58:59], v[182:183], v[30:31], v[58:59]
	v_fma_f64 v[64:65], v[180:181], v[30:31], -v[32:33]
	scratch_load_b128 v[30:33], off, off offset:480
	ds_load_b128 v[182:185], v1 offset:1376
	v_fma_f64 v[62:63], v[4:5], v[34:35], v[62:63]
	v_fma_f64 v[66:67], v[2:3], v[34:35], -v[36:37]
	ds_load_b128 v[2:5], v1 offset:1328
	scratch_load_b128 v[34:37], off, off offset:496
	v_add_f64 v[52:53], v[52:53], v[60:61]
	v_add_f64 v[54:55], v[54:55], v[56:57]
	s_waitcnt vmcnt(9) lgkmcnt(2)
	v_mul_f64 v[56:57], v[48:49], v[178:179]
	v_mul_f64 v[60:61], v[50:51], v[178:179]
	ds_load_b128 v[178:181], v1 offset:1344
	v_add_f64 v[52:53], v[52:53], v[64:65]
	v_add_f64 v[54:55], v[54:55], v[58:59]
	v_fma_f64 v[56:57], v[50:51], v[176:177], v[56:57]
	v_fma_f64 v[60:61], v[48:49], v[176:177], -v[60:61]
	scratch_load_b128 v[48:51], off, off offset:512
	s_waitcnt vmcnt(9) lgkmcnt(1)
	v_mul_f64 v[58:59], v[2:3], v[40:41]
	v_mul_f64 v[40:41], v[4:5], v[40:41]
	v_add_f64 v[52:53], v[52:53], v[66:67]
	v_add_f64 v[54:55], v[54:55], v[62:63]
	s_delay_alu instid0(VALU_DEP_4) | instskip(NEXT) | instid1(VALU_DEP_4)
	v_fma_f64 v[58:59], v[4:5], v[38:39], v[58:59]
	v_fma_f64 v[64:65], v[2:3], v[38:39], -v[40:41]
	scratch_load_b128 v[38:41], off, off offset:528
	ds_load_b128 v[2:5], v1 offset:1360
	s_waitcnt vmcnt(9) lgkmcnt(1)
	v_mul_f64 v[62:63], v[178:179], v[8:9]
	v_mul_f64 v[8:9], v[180:181], v[8:9]
	v_add_f64 v[52:53], v[52:53], v[60:61]
	v_add_f64 v[54:55], v[54:55], v[56:57]
	s_waitcnt vmcnt(8) lgkmcnt(0)
	v_mul_f64 v[56:57], v[2:3], v[12:13]
	v_mul_f64 v[12:13], v[4:5], v[12:13]
	v_fma_f64 v[60:61], v[180:181], v[6:7], v[62:63]
	v_fma_f64 v[62:63], v[178:179], v[6:7], -v[8:9]
	scratch_load_b128 v[6:9], off, off offset:544
	ds_load_b128 v[176:179], v1 offset:1408
	v_add_f64 v[52:53], v[52:53], v[64:65]
	v_add_f64 v[54:55], v[54:55], v[58:59]
	v_fma_f64 v[56:57], v[4:5], v[10:11], v[56:57]
	v_fma_f64 v[64:65], v[2:3], v[10:11], -v[12:13]
	ds_load_b128 v[2:5], v1 offset:1392
	s_waitcnt vmcnt(8)
	v_mul_f64 v[58:59], v[182:183], v[16:17]
	v_mul_f64 v[16:17], v[184:185], v[16:17]
	scratch_load_b128 v[10:13], off, off offset:560
	v_add_f64 v[52:53], v[52:53], v[62:63]
	v_add_f64 v[54:55], v[54:55], v[60:61]
	s_waitcnt vmcnt(8) lgkmcnt(0)
	v_mul_f64 v[60:61], v[2:3], v[20:21]
	v_mul_f64 v[20:21], v[4:5], v[20:21]
	v_fma_f64 v[58:59], v[184:185], v[14:15], v[58:59]
	v_fma_f64 v[62:63], v[182:183], v[14:15], -v[16:17]
	scratch_load_b128 v[14:17], off, off offset:576
	ds_load_b128 v[180:183], v1 offset:1440
	v_add_f64 v[52:53], v[52:53], v[64:65]
	v_add_f64 v[54:55], v[54:55], v[56:57]
	v_fma_f64 v[60:61], v[4:5], v[18:19], v[60:61]
	v_fma_f64 v[64:65], v[2:3], v[18:19], -v[20:21]
	ds_load_b128 v[2:5], v1 offset:1424
	s_waitcnt vmcnt(8)
	v_mul_f64 v[56:57], v[176:177], v[24:25]
	v_mul_f64 v[24:25], v[178:179], v[24:25]
	scratch_load_b128 v[18:21], off, off offset:592
	;; [unrolled: 18-line block ×12, first 2 shown]
	v_add_f64 v[52:53], v[52:53], v[62:63]
	v_add_f64 v[54:55], v[54:55], v[56:57]
	s_waitcnt vmcnt(8) lgkmcnt(0)
	v_mul_f64 v[56:57], v[2:3], v[28:29]
	v_mul_f64 v[28:29], v[4:5], v[28:29]
	v_fma_f64 v[60:61], v[178:179], v[22:23], v[60:61]
	v_fma_f64 v[62:63], v[176:177], v[22:23], -v[24:25]
	scratch_load_b128 v[22:25], off, off offset:928
	ds_load_b128 v[176:179], v1 offset:1792
	v_add_f64 v[52:53], v[52:53], v[64:65]
	v_add_f64 v[54:55], v[54:55], v[58:59]
	v_fma_f64 v[56:57], v[4:5], v[26:27], v[56:57]
	v_fma_f64 v[64:65], v[2:3], v[26:27], -v[28:29]
	scratch_load_b128 v[26:29], off, off offset:944
	ds_load_b128 v[2:5], v1 offset:1776
	s_waitcnt vmcnt(9)
	v_mul_f64 v[58:59], v[180:181], v[32:33]
	v_mul_f64 v[32:33], v[182:183], v[32:33]
	v_add_f64 v[52:53], v[52:53], v[62:63]
	v_add_f64 v[54:55], v[54:55], v[60:61]
	s_waitcnt vmcnt(8) lgkmcnt(0)
	v_mul_f64 v[60:61], v[2:3], v[36:37]
	v_mul_f64 v[36:37], v[4:5], v[36:37]
	v_fma_f64 v[58:59], v[182:183], v[30:31], v[58:59]
	v_fma_f64 v[30:31], v[180:181], v[30:31], -v[32:33]
	v_add_f64 v[32:33], v[52:53], v[64:65]
	v_add_f64 v[52:53], v[54:55], v[56:57]
	s_waitcnt vmcnt(7)
	v_mul_f64 v[54:55], v[176:177], v[50:51]
	v_mul_f64 v[50:51], v[178:179], v[50:51]
	v_fma_f64 v[56:57], v[4:5], v[34:35], v[60:61]
	v_fma_f64 v[34:35], v[2:3], v[34:35], -v[36:37]
	v_add_f64 v[36:37], v[32:33], v[30:31]
	v_add_f64 v[52:53], v[52:53], v[58:59]
	ds_load_b128 v[2:5], v1 offset:1808
	ds_load_b128 v[30:33], v1 offset:1824
	v_fma_f64 v[54:55], v[178:179], v[48:49], v[54:55]
	v_fma_f64 v[48:49], v[176:177], v[48:49], -v[50:51]
	s_waitcnt vmcnt(6) lgkmcnt(1)
	v_mul_f64 v[58:59], v[2:3], v[40:41]
	v_mul_f64 v[40:41], v[4:5], v[40:41]
	s_waitcnt vmcnt(5) lgkmcnt(0)
	v_mul_f64 v[50:51], v[30:31], v[8:9]
	v_mul_f64 v[8:9], v[32:33], v[8:9]
	v_add_f64 v[34:35], v[36:37], v[34:35]
	v_add_f64 v[36:37], v[52:53], v[56:57]
	v_fma_f64 v[52:53], v[4:5], v[38:39], v[58:59]
	v_fma_f64 v[38:39], v[2:3], v[38:39], -v[40:41]
	v_fma_f64 v[32:33], v[32:33], v[6:7], v[50:51]
	v_fma_f64 v[6:7], v[30:31], v[6:7], -v[8:9]
	v_add_f64 v[40:41], v[34:35], v[48:49]
	v_add_f64 v[48:49], v[36:37], v[54:55]
	ds_load_b128 v[2:5], v1 offset:1840
	ds_load_b128 v[34:37], v1 offset:1856
	s_waitcnt vmcnt(4) lgkmcnt(1)
	v_mul_f64 v[54:55], v[2:3], v[12:13]
	v_mul_f64 v[12:13], v[4:5], v[12:13]
	v_add_f64 v[8:9], v[40:41], v[38:39]
	v_add_f64 v[30:31], v[48:49], v[52:53]
	s_waitcnt vmcnt(3) lgkmcnt(0)
	v_mul_f64 v[38:39], v[34:35], v[16:17]
	v_mul_f64 v[16:17], v[36:37], v[16:17]
	v_fma_f64 v[40:41], v[4:5], v[10:11], v[54:55]
	v_fma_f64 v[10:11], v[2:3], v[10:11], -v[12:13]
	v_add_f64 v[12:13], v[8:9], v[6:7]
	v_add_f64 v[30:31], v[30:31], v[32:33]
	ds_load_b128 v[2:5], v1 offset:1872
	ds_load_b128 v[6:9], v1 offset:1888
	v_fma_f64 v[36:37], v[36:37], v[14:15], v[38:39]
	v_fma_f64 v[14:15], v[34:35], v[14:15], -v[16:17]
	s_waitcnt vmcnt(2) lgkmcnt(1)
	v_mul_f64 v[32:33], v[2:3], v[20:21]
	v_mul_f64 v[20:21], v[4:5], v[20:21]
	s_waitcnt vmcnt(1) lgkmcnt(0)
	v_mul_f64 v[16:17], v[6:7], v[24:25]
	v_mul_f64 v[24:25], v[8:9], v[24:25]
	v_add_f64 v[10:11], v[12:13], v[10:11]
	v_add_f64 v[12:13], v[30:31], v[40:41]
	v_fma_f64 v[30:31], v[4:5], v[18:19], v[32:33]
	v_fma_f64 v[18:19], v[2:3], v[18:19], -v[20:21]
	ds_load_b128 v[2:5], v1 offset:1904
	v_fma_f64 v[8:9], v[8:9], v[22:23], v[16:17]
	v_fma_f64 v[6:7], v[6:7], v[22:23], -v[24:25]
	v_add_f64 v[10:11], v[10:11], v[14:15]
	v_add_f64 v[12:13], v[12:13], v[36:37]
	s_waitcnt vmcnt(0) lgkmcnt(0)
	v_mul_f64 v[14:15], v[2:3], v[28:29]
	v_mul_f64 v[20:21], v[4:5], v[28:29]
	s_delay_alu instid0(VALU_DEP_4) | instskip(NEXT) | instid1(VALU_DEP_4)
	v_add_f64 v[10:11], v[10:11], v[18:19]
	v_add_f64 v[12:13], v[12:13], v[30:31]
	s_delay_alu instid0(VALU_DEP_4) | instskip(NEXT) | instid1(VALU_DEP_4)
	v_fma_f64 v[4:5], v[4:5], v[26:27], v[14:15]
	v_fma_f64 v[2:3], v[2:3], v[26:27], -v[20:21]
	s_delay_alu instid0(VALU_DEP_4) | instskip(NEXT) | instid1(VALU_DEP_4)
	v_add_f64 v[6:7], v[10:11], v[6:7]
	v_add_f64 v[8:9], v[12:13], v[8:9]
	s_delay_alu instid0(VALU_DEP_2) | instskip(NEXT) | instid1(VALU_DEP_2)
	v_add_f64 v[2:3], v[6:7], v[2:3]
	v_add_f64 v[4:5], v[8:9], v[4:5]
	s_delay_alu instid0(VALU_DEP_2) | instskip(NEXT) | instid1(VALU_DEP_2)
	v_add_f64 v[2:3], v[42:43], -v[2:3]
	v_add_f64 v[4:5], v[44:45], -v[4:5]
	scratch_store_b128 off, v[2:5], off offset:192
	v_cmpx_lt_u32_e32 11, v166
	s_cbranch_execz .LBB123_351
; %bb.350:
	scratch_load_b128 v[5:8], v227, off
	v_mov_b32_e32 v2, v1
	v_mov_b32_e32 v3, v1
	;; [unrolled: 1-line block ×3, first 2 shown]
	scratch_store_b128 off, v[1:4], off offset:176
	s_waitcnt vmcnt(0)
	ds_store_b128 v226, v[5:8]
.LBB123_351:
	s_or_b32 exec_lo, exec_lo, s2
	s_waitcnt lgkmcnt(0)
	s_waitcnt_vscnt null, 0x0
	s_barrier
	buffer_gl0_inv
	s_clause 0x8
	scratch_load_b128 v[2:5], off, off offset:192
	scratch_load_b128 v[6:9], off, off offset:208
	;; [unrolled: 1-line block ×9, first 2 shown]
	ds_load_b128 v[42:45], v1 offset:1152
	ds_load_b128 v[38:41], v1 offset:1168
	s_clause 0x1
	scratch_load_b128 v[48:51], off, off offset:176
	scratch_load_b128 v[176:179], off, off offset:336
	s_mov_b32 s2, exec_lo
	ds_load_b128 v[180:183], v1 offset:1200
	s_waitcnt vmcnt(10) lgkmcnt(2)
	v_mul_f64 v[52:53], v[44:45], v[4:5]
	v_mul_f64 v[4:5], v[42:43], v[4:5]
	s_waitcnt vmcnt(9) lgkmcnt(1)
	v_mul_f64 v[54:55], v[38:39], v[8:9]
	v_mul_f64 v[8:9], v[40:41], v[8:9]
	s_delay_alu instid0(VALU_DEP_4) | instskip(NEXT) | instid1(VALU_DEP_4)
	v_fma_f64 v[52:53], v[42:43], v[2:3], -v[52:53]
	v_fma_f64 v[56:57], v[44:45], v[2:3], v[4:5]
	ds_load_b128 v[2:5], v1 offset:1184
	scratch_load_b128 v[42:45], off, off offset:352
	v_fma_f64 v[40:41], v[40:41], v[6:7], v[54:55]
	v_fma_f64 v[38:39], v[38:39], v[6:7], -v[8:9]
	scratch_load_b128 v[6:9], off, off offset:368
	s_waitcnt vmcnt(10) lgkmcnt(0)
	v_mul_f64 v[58:59], v[2:3], v[12:13]
	v_mul_f64 v[12:13], v[4:5], v[12:13]
	v_add_f64 v[52:53], v[52:53], 0
	v_add_f64 v[54:55], v[56:57], 0
	s_waitcnt vmcnt(9)
	v_mul_f64 v[56:57], v[180:181], v[16:17]
	v_mul_f64 v[16:17], v[182:183], v[16:17]
	v_fma_f64 v[58:59], v[4:5], v[10:11], v[58:59]
	v_fma_f64 v[60:61], v[2:3], v[10:11], -v[12:13]
	ds_load_b128 v[2:5], v1 offset:1216
	scratch_load_b128 v[10:13], off, off offset:384
	v_add_f64 v[52:53], v[52:53], v[38:39]
	v_add_f64 v[54:55], v[54:55], v[40:41]
	ds_load_b128 v[38:41], v1 offset:1232
	v_fma_f64 v[56:57], v[182:183], v[14:15], v[56:57]
	v_fma_f64 v[64:65], v[180:181], v[14:15], -v[16:17]
	scratch_load_b128 v[14:17], off, off offset:400
	s_waitcnt vmcnt(10) lgkmcnt(1)
	v_mul_f64 v[62:63], v[2:3], v[20:21]
	v_mul_f64 v[20:21], v[4:5], v[20:21]
	ds_load_b128 v[180:183], v1 offset:1264
	v_add_f64 v[52:53], v[52:53], v[60:61]
	v_add_f64 v[54:55], v[54:55], v[58:59]
	s_waitcnt vmcnt(9) lgkmcnt(1)
	v_mul_f64 v[58:59], v[38:39], v[24:25]
	v_mul_f64 v[24:25], v[40:41], v[24:25]
	v_fma_f64 v[60:61], v[4:5], v[18:19], v[62:63]
	v_fma_f64 v[62:63], v[2:3], v[18:19], -v[20:21]
	ds_load_b128 v[2:5], v1 offset:1248
	scratch_load_b128 v[18:21], off, off offset:416
	v_add_f64 v[52:53], v[52:53], v[64:65]
	v_add_f64 v[54:55], v[54:55], v[56:57]
	s_waitcnt vmcnt(9) lgkmcnt(0)
	v_mul_f64 v[56:57], v[2:3], v[28:29]
	v_mul_f64 v[28:29], v[4:5], v[28:29]
	v_fma_f64 v[40:41], v[40:41], v[22:23], v[58:59]
	v_fma_f64 v[38:39], v[38:39], v[22:23], -v[24:25]
	scratch_load_b128 v[22:25], off, off offset:432
	s_waitcnt vmcnt(9)
	v_mul_f64 v[58:59], v[180:181], v[32:33]
	v_mul_f64 v[32:33], v[182:183], v[32:33]
	v_add_f64 v[52:53], v[52:53], v[62:63]
	v_add_f64 v[54:55], v[54:55], v[60:61]
	v_fma_f64 v[56:57], v[4:5], v[26:27], v[56:57]
	v_fma_f64 v[60:61], v[2:3], v[26:27], -v[28:29]
	ds_load_b128 v[2:5], v1 offset:1280
	scratch_load_b128 v[26:29], off, off offset:448
	v_fma_f64 v[58:59], v[182:183], v[30:31], v[58:59]
	v_fma_f64 v[64:65], v[180:181], v[30:31], -v[32:33]
	scratch_load_b128 v[30:33], off, off offset:464
	ds_load_b128 v[182:185], v1 offset:1360
	v_add_f64 v[52:53], v[52:53], v[38:39]
	v_add_f64 v[54:55], v[54:55], v[40:41]
	ds_load_b128 v[38:41], v1 offset:1296
	s_waitcnt vmcnt(10) lgkmcnt(2)
	v_mul_f64 v[62:63], v[2:3], v[36:37]
	v_mul_f64 v[36:37], v[4:5], v[36:37]
	v_add_f64 v[52:53], v[52:53], v[60:61]
	v_add_f64 v[54:55], v[54:55], v[56:57]
	s_waitcnt vmcnt(8) lgkmcnt(0)
	v_mul_f64 v[56:57], v[38:39], v[178:179]
	v_mul_f64 v[60:61], v[40:41], v[178:179]
	v_fma_f64 v[62:63], v[4:5], v[34:35], v[62:63]
	v_fma_f64 v[66:67], v[2:3], v[34:35], -v[36:37]
	ds_load_b128 v[2:5], v1 offset:1312
	ds_load_b128 v[178:181], v1 offset:1328
	scratch_load_b128 v[34:37], off, off offset:480
	v_add_f64 v[52:53], v[52:53], v[64:65]
	v_add_f64 v[54:55], v[54:55], v[58:59]
	v_fma_f64 v[56:57], v[40:41], v[176:177], v[56:57]
	v_fma_f64 v[60:61], v[38:39], v[176:177], -v[60:61]
	scratch_load_b128 v[38:41], off, off offset:496
	s_waitcnt vmcnt(9) lgkmcnt(1)
	v_mul_f64 v[58:59], v[2:3], v[44:45]
	v_mul_f64 v[44:45], v[4:5], v[44:45]
	v_add_f64 v[52:53], v[52:53], v[66:67]
	v_add_f64 v[54:55], v[54:55], v[62:63]
	s_waitcnt vmcnt(8) lgkmcnt(0)
	v_mul_f64 v[62:63], v[178:179], v[8:9]
	v_mul_f64 v[8:9], v[180:181], v[8:9]
	v_fma_f64 v[58:59], v[4:5], v[42:43], v[58:59]
	v_fma_f64 v[64:65], v[2:3], v[42:43], -v[44:45]
	ds_load_b128 v[2:5], v1 offset:1344
	scratch_load_b128 v[42:45], off, off offset:512
	v_add_f64 v[52:53], v[52:53], v[60:61]
	v_add_f64 v[54:55], v[54:55], v[56:57]
	v_fma_f64 v[60:61], v[180:181], v[6:7], v[62:63]
	s_waitcnt vmcnt(8) lgkmcnt(0)
	v_mul_f64 v[56:57], v[2:3], v[12:13]
	v_mul_f64 v[12:13], v[4:5], v[12:13]
	v_fma_f64 v[62:63], v[178:179], v[6:7], -v[8:9]
	scratch_load_b128 v[6:9], off, off offset:528
	ds_load_b128 v[176:179], v1 offset:1392
	v_add_f64 v[52:53], v[52:53], v[64:65]
	v_add_f64 v[54:55], v[54:55], v[58:59]
	s_waitcnt vmcnt(8)
	v_mul_f64 v[58:59], v[182:183], v[16:17]
	v_mul_f64 v[16:17], v[184:185], v[16:17]
	v_fma_f64 v[56:57], v[4:5], v[10:11], v[56:57]
	v_fma_f64 v[64:65], v[2:3], v[10:11], -v[12:13]
	ds_load_b128 v[2:5], v1 offset:1376
	scratch_load_b128 v[10:13], off, off offset:544
	v_add_f64 v[52:53], v[52:53], v[62:63]
	v_add_f64 v[54:55], v[54:55], v[60:61]
	s_waitcnt vmcnt(8) lgkmcnt(0)
	v_mul_f64 v[60:61], v[2:3], v[20:21]
	v_mul_f64 v[20:21], v[4:5], v[20:21]
	v_fma_f64 v[58:59], v[184:185], v[14:15], v[58:59]
	v_fma_f64 v[62:63], v[182:183], v[14:15], -v[16:17]
	scratch_load_b128 v[14:17], off, off offset:560
	ds_load_b128 v[180:183], v1 offset:1424
	v_add_f64 v[52:53], v[52:53], v[64:65]
	v_add_f64 v[54:55], v[54:55], v[56:57]
	s_waitcnt vmcnt(8)
	v_mul_f64 v[56:57], v[176:177], v[24:25]
	v_mul_f64 v[24:25], v[178:179], v[24:25]
	v_fma_f64 v[60:61], v[4:5], v[18:19], v[60:61]
	v_fma_f64 v[64:65], v[2:3], v[18:19], -v[20:21]
	ds_load_b128 v[2:5], v1 offset:1408
	scratch_load_b128 v[18:21], off, off offset:576
	v_add_f64 v[52:53], v[52:53], v[62:63]
	v_add_f64 v[54:55], v[54:55], v[58:59]
	s_waitcnt vmcnt(8) lgkmcnt(0)
	v_mul_f64 v[58:59], v[2:3], v[28:29]
	v_mul_f64 v[28:29], v[4:5], v[28:29]
	v_fma_f64 v[56:57], v[178:179], v[22:23], v[56:57]
	;; [unrolled: 18-line block ×13, first 2 shown]
	v_fma_f64 v[62:63], v[180:181], v[30:31], -v[32:33]
	scratch_load_b128 v[30:33], off, off offset:944
	v_add_f64 v[52:53], v[52:53], v[64:65]
	v_add_f64 v[54:55], v[54:55], v[56:57]
	s_waitcnt vmcnt(8)
	v_mul_f64 v[56:57], v[176:177], v[40:41]
	v_mul_f64 v[40:41], v[178:179], v[40:41]
	v_fma_f64 v[60:61], v[4:5], v[34:35], v[60:61]
	v_fma_f64 v[64:65], v[2:3], v[34:35], -v[36:37]
	ds_load_b128 v[2:5], v1 offset:1792
	ds_load_b128 v[34:37], v1 offset:1808
	v_add_f64 v[52:53], v[52:53], v[62:63]
	v_add_f64 v[54:55], v[54:55], v[58:59]
	s_waitcnt vmcnt(7) lgkmcnt(1)
	v_mul_f64 v[58:59], v[2:3], v[44:45]
	v_mul_f64 v[44:45], v[4:5], v[44:45]
	v_fma_f64 v[56:57], v[178:179], v[38:39], v[56:57]
	v_fma_f64 v[38:39], v[176:177], v[38:39], -v[40:41]
	v_add_f64 v[40:41], v[52:53], v[64:65]
	v_add_f64 v[52:53], v[54:55], v[60:61]
	s_waitcnt vmcnt(6) lgkmcnt(0)
	v_mul_f64 v[54:55], v[34:35], v[8:9]
	v_mul_f64 v[8:9], v[36:37], v[8:9]
	v_fma_f64 v[58:59], v[4:5], v[42:43], v[58:59]
	v_fma_f64 v[42:43], v[2:3], v[42:43], -v[44:45]
	v_add_f64 v[44:45], v[40:41], v[38:39]
	v_add_f64 v[52:53], v[52:53], v[56:57]
	ds_load_b128 v[2:5], v1 offset:1824
	ds_load_b128 v[38:41], v1 offset:1840
	v_fma_f64 v[36:37], v[36:37], v[6:7], v[54:55]
	v_fma_f64 v[6:7], v[34:35], v[6:7], -v[8:9]
	s_waitcnt vmcnt(5) lgkmcnt(1)
	v_mul_f64 v[56:57], v[2:3], v[12:13]
	v_mul_f64 v[12:13], v[4:5], v[12:13]
	v_add_f64 v[8:9], v[44:45], v[42:43]
	v_add_f64 v[34:35], v[52:53], v[58:59]
	s_waitcnt vmcnt(4) lgkmcnt(0)
	v_mul_f64 v[42:43], v[38:39], v[16:17]
	v_mul_f64 v[16:17], v[40:41], v[16:17]
	v_fma_f64 v[44:45], v[4:5], v[10:11], v[56:57]
	v_fma_f64 v[10:11], v[2:3], v[10:11], -v[12:13]
	v_add_f64 v[12:13], v[8:9], v[6:7]
	v_add_f64 v[34:35], v[34:35], v[36:37]
	ds_load_b128 v[2:5], v1 offset:1856
	ds_load_b128 v[6:9], v1 offset:1872
	v_fma_f64 v[40:41], v[40:41], v[14:15], v[42:43]
	v_fma_f64 v[14:15], v[38:39], v[14:15], -v[16:17]
	s_waitcnt vmcnt(3) lgkmcnt(1)
	v_mul_f64 v[36:37], v[2:3], v[20:21]
	v_mul_f64 v[20:21], v[4:5], v[20:21]
	s_waitcnt vmcnt(2) lgkmcnt(0)
	v_mul_f64 v[16:17], v[6:7], v[24:25]
	v_mul_f64 v[24:25], v[8:9], v[24:25]
	v_add_f64 v[10:11], v[12:13], v[10:11]
	v_add_f64 v[12:13], v[34:35], v[44:45]
	v_fma_f64 v[34:35], v[4:5], v[18:19], v[36:37]
	v_fma_f64 v[18:19], v[2:3], v[18:19], -v[20:21]
	v_fma_f64 v[8:9], v[8:9], v[22:23], v[16:17]
	v_fma_f64 v[6:7], v[6:7], v[22:23], -v[24:25]
	v_add_f64 v[14:15], v[10:11], v[14:15]
	v_add_f64 v[20:21], v[12:13], v[40:41]
	ds_load_b128 v[2:5], v1 offset:1888
	ds_load_b128 v[10:13], v1 offset:1904
	s_waitcnt vmcnt(1) lgkmcnt(1)
	v_mul_f64 v[36:37], v[2:3], v[28:29]
	v_mul_f64 v[28:29], v[4:5], v[28:29]
	v_add_f64 v[14:15], v[14:15], v[18:19]
	v_add_f64 v[16:17], v[20:21], v[34:35]
	s_waitcnt vmcnt(0) lgkmcnt(0)
	v_mul_f64 v[18:19], v[10:11], v[32:33]
	v_mul_f64 v[20:21], v[12:13], v[32:33]
	v_fma_f64 v[4:5], v[4:5], v[26:27], v[36:37]
	v_fma_f64 v[1:2], v[2:3], v[26:27], -v[28:29]
	v_add_f64 v[6:7], v[14:15], v[6:7]
	v_add_f64 v[8:9], v[16:17], v[8:9]
	v_fma_f64 v[12:13], v[12:13], v[30:31], v[18:19]
	v_fma_f64 v[10:11], v[10:11], v[30:31], -v[20:21]
	s_delay_alu instid0(VALU_DEP_4) | instskip(NEXT) | instid1(VALU_DEP_4)
	v_add_f64 v[1:2], v[6:7], v[1:2]
	v_add_f64 v[3:4], v[8:9], v[4:5]
	s_delay_alu instid0(VALU_DEP_2) | instskip(NEXT) | instid1(VALU_DEP_2)
	v_add_f64 v[1:2], v[1:2], v[10:11]
	v_add_f64 v[3:4], v[3:4], v[12:13]
	s_delay_alu instid0(VALU_DEP_2) | instskip(NEXT) | instid1(VALU_DEP_2)
	v_add_f64 v[1:2], v[48:49], -v[1:2]
	v_add_f64 v[3:4], v[50:51], -v[3:4]
	scratch_store_b128 off, v[1:4], off offset:176
	v_cmpx_lt_u32_e32 10, v166
	s_cbranch_execz .LBB123_353
; %bb.352:
	scratch_load_b128 v[1:4], v208, off
	v_mov_b32_e32 v5, 0
	s_delay_alu instid0(VALU_DEP_1)
	v_mov_b32_e32 v6, v5
	v_mov_b32_e32 v7, v5
	;; [unrolled: 1-line block ×3, first 2 shown]
	scratch_store_b128 off, v[5:8], off offset:160
	s_waitcnt vmcnt(0)
	ds_store_b128 v226, v[1:4]
.LBB123_353:
	s_or_b32 exec_lo, exec_lo, s2
	s_waitcnt lgkmcnt(0)
	s_waitcnt_vscnt null, 0x0
	s_barrier
	buffer_gl0_inv
	s_clause 0x7
	scratch_load_b128 v[2:5], off, off offset:176
	scratch_load_b128 v[6:9], off, off offset:192
	;; [unrolled: 1-line block ×8, first 2 shown]
	v_mov_b32_e32 v1, 0
	s_mov_b32 s2, exec_lo
	ds_load_b128 v[38:41], v1 offset:1136
	s_clause 0x1
	scratch_load_b128 v[34:37], off, off offset:304
	scratch_load_b128 v[42:45], off, off offset:160
	ds_load_b128 v[48:51], v1 offset:1152
	scratch_load_b128 v[176:179], off, off offset:320
	ds_load_b128 v[180:183], v1 offset:1184
	s_waitcnt vmcnt(10) lgkmcnt(2)
	v_mul_f64 v[52:53], v[40:41], v[4:5]
	v_mul_f64 v[4:5], v[38:39], v[4:5]
	s_delay_alu instid0(VALU_DEP_2) | instskip(NEXT) | instid1(VALU_DEP_2)
	v_fma_f64 v[52:53], v[38:39], v[2:3], -v[52:53]
	v_fma_f64 v[56:57], v[40:41], v[2:3], v[4:5]
	ds_load_b128 v[2:5], v1 offset:1168
	s_waitcnt vmcnt(9) lgkmcnt(2)
	v_mul_f64 v[54:55], v[48:49], v[8:9]
	v_mul_f64 v[8:9], v[50:51], v[8:9]
	scratch_load_b128 v[38:41], off, off offset:336
	s_waitcnt vmcnt(9) lgkmcnt(0)
	v_mul_f64 v[58:59], v[2:3], v[12:13]
	v_mul_f64 v[12:13], v[4:5], v[12:13]
	v_add_f64 v[52:53], v[52:53], 0
	v_fma_f64 v[50:51], v[50:51], v[6:7], v[54:55]
	v_fma_f64 v[48:49], v[48:49], v[6:7], -v[8:9]
	v_add_f64 v[54:55], v[56:57], 0
	scratch_load_b128 v[6:9], off, off offset:352
	v_fma_f64 v[58:59], v[4:5], v[10:11], v[58:59]
	v_fma_f64 v[60:61], v[2:3], v[10:11], -v[12:13]
	scratch_load_b128 v[10:13], off, off offset:368
	ds_load_b128 v[2:5], v1 offset:1200
	s_waitcnt vmcnt(10)
	v_mul_f64 v[56:57], v[180:181], v[16:17]
	v_mul_f64 v[16:17], v[182:183], v[16:17]
	v_add_f64 v[52:53], v[52:53], v[48:49]
	v_add_f64 v[54:55], v[54:55], v[50:51]
	ds_load_b128 v[48:51], v1 offset:1216
	s_waitcnt vmcnt(9) lgkmcnt(1)
	v_mul_f64 v[62:63], v[2:3], v[20:21]
	v_mul_f64 v[20:21], v[4:5], v[20:21]
	v_fma_f64 v[56:57], v[182:183], v[14:15], v[56:57]
	v_fma_f64 v[64:65], v[180:181], v[14:15], -v[16:17]
	scratch_load_b128 v[14:17], off, off offset:384
	ds_load_b128 v[180:183], v1 offset:1248
	v_add_f64 v[52:53], v[52:53], v[60:61]
	v_add_f64 v[54:55], v[54:55], v[58:59]
	v_fma_f64 v[60:61], v[4:5], v[18:19], v[62:63]
	v_fma_f64 v[62:63], v[2:3], v[18:19], -v[20:21]
	ds_load_b128 v[2:5], v1 offset:1232
	s_waitcnt vmcnt(9) lgkmcnt(2)
	v_mul_f64 v[58:59], v[48:49], v[24:25]
	v_mul_f64 v[24:25], v[50:51], v[24:25]
	scratch_load_b128 v[18:21], off, off offset:400
	v_add_f64 v[52:53], v[52:53], v[64:65]
	v_add_f64 v[54:55], v[54:55], v[56:57]
	s_waitcnt vmcnt(9) lgkmcnt(0)
	v_mul_f64 v[56:57], v[2:3], v[28:29]
	v_mul_f64 v[28:29], v[4:5], v[28:29]
	v_fma_f64 v[50:51], v[50:51], v[22:23], v[58:59]
	v_fma_f64 v[48:49], v[48:49], v[22:23], -v[24:25]
	scratch_load_b128 v[22:25], off, off offset:416
	v_add_f64 v[52:53], v[52:53], v[62:63]
	v_add_f64 v[54:55], v[54:55], v[60:61]
	v_fma_f64 v[56:57], v[4:5], v[26:27], v[56:57]
	v_fma_f64 v[60:61], v[2:3], v[26:27], -v[28:29]
	scratch_load_b128 v[26:29], off, off offset:432
	ds_load_b128 v[2:5], v1 offset:1264
	s_waitcnt vmcnt(10)
	v_mul_f64 v[58:59], v[180:181], v[32:33]
	v_mul_f64 v[32:33], v[182:183], v[32:33]
	s_waitcnt vmcnt(9) lgkmcnt(0)
	v_mul_f64 v[62:63], v[2:3], v[36:37]
	v_mul_f64 v[36:37], v[4:5], v[36:37]
	v_add_f64 v[52:53], v[52:53], v[48:49]
	v_add_f64 v[54:55], v[54:55], v[50:51]
	ds_load_b128 v[48:51], v1 offset:1280
	v_fma_f64 v[58:59], v[182:183], v[30:31], v[58:59]
	v_fma_f64 v[64:65], v[180:181], v[30:31], -v[32:33]
	scratch_load_b128 v[30:33], off, off offset:448
	ds_load_b128 v[182:185], v1 offset:1344
	v_fma_f64 v[62:63], v[4:5], v[34:35], v[62:63]
	v_fma_f64 v[66:67], v[2:3], v[34:35], -v[36:37]
	ds_load_b128 v[2:5], v1 offset:1296
	scratch_load_b128 v[34:37], off, off offset:464
	v_add_f64 v[52:53], v[52:53], v[60:61]
	v_add_f64 v[54:55], v[54:55], v[56:57]
	s_waitcnt vmcnt(9) lgkmcnt(2)
	v_mul_f64 v[56:57], v[48:49], v[178:179]
	v_mul_f64 v[60:61], v[50:51], v[178:179]
	ds_load_b128 v[178:181], v1 offset:1312
	v_add_f64 v[52:53], v[52:53], v[64:65]
	v_add_f64 v[54:55], v[54:55], v[58:59]
	v_fma_f64 v[56:57], v[50:51], v[176:177], v[56:57]
	v_fma_f64 v[60:61], v[48:49], v[176:177], -v[60:61]
	scratch_load_b128 v[48:51], off, off offset:480
	s_waitcnt vmcnt(9) lgkmcnt(1)
	v_mul_f64 v[58:59], v[2:3], v[40:41]
	v_mul_f64 v[40:41], v[4:5], v[40:41]
	v_add_f64 v[52:53], v[52:53], v[66:67]
	v_add_f64 v[54:55], v[54:55], v[62:63]
	s_delay_alu instid0(VALU_DEP_4) | instskip(NEXT) | instid1(VALU_DEP_4)
	v_fma_f64 v[58:59], v[4:5], v[38:39], v[58:59]
	v_fma_f64 v[64:65], v[2:3], v[38:39], -v[40:41]
	scratch_load_b128 v[38:41], off, off offset:496
	ds_load_b128 v[2:5], v1 offset:1328
	s_waitcnt vmcnt(9) lgkmcnt(1)
	v_mul_f64 v[62:63], v[178:179], v[8:9]
	v_mul_f64 v[8:9], v[180:181], v[8:9]
	v_add_f64 v[52:53], v[52:53], v[60:61]
	v_add_f64 v[54:55], v[54:55], v[56:57]
	s_waitcnt vmcnt(8) lgkmcnt(0)
	v_mul_f64 v[56:57], v[2:3], v[12:13]
	v_mul_f64 v[12:13], v[4:5], v[12:13]
	v_fma_f64 v[60:61], v[180:181], v[6:7], v[62:63]
	v_fma_f64 v[62:63], v[178:179], v[6:7], -v[8:9]
	scratch_load_b128 v[6:9], off, off offset:512
	ds_load_b128 v[176:179], v1 offset:1376
	v_add_f64 v[52:53], v[52:53], v[64:65]
	v_add_f64 v[54:55], v[54:55], v[58:59]
	v_fma_f64 v[56:57], v[4:5], v[10:11], v[56:57]
	v_fma_f64 v[64:65], v[2:3], v[10:11], -v[12:13]
	ds_load_b128 v[2:5], v1 offset:1360
	s_waitcnt vmcnt(8)
	v_mul_f64 v[58:59], v[182:183], v[16:17]
	v_mul_f64 v[16:17], v[184:185], v[16:17]
	scratch_load_b128 v[10:13], off, off offset:528
	v_add_f64 v[52:53], v[52:53], v[62:63]
	v_add_f64 v[54:55], v[54:55], v[60:61]
	s_waitcnt vmcnt(8) lgkmcnt(0)
	v_mul_f64 v[60:61], v[2:3], v[20:21]
	v_mul_f64 v[20:21], v[4:5], v[20:21]
	v_fma_f64 v[58:59], v[184:185], v[14:15], v[58:59]
	v_fma_f64 v[62:63], v[182:183], v[14:15], -v[16:17]
	scratch_load_b128 v[14:17], off, off offset:544
	ds_load_b128 v[180:183], v1 offset:1408
	v_add_f64 v[52:53], v[52:53], v[64:65]
	v_add_f64 v[54:55], v[54:55], v[56:57]
	v_fma_f64 v[60:61], v[4:5], v[18:19], v[60:61]
	v_fma_f64 v[64:65], v[2:3], v[18:19], -v[20:21]
	ds_load_b128 v[2:5], v1 offset:1392
	s_waitcnt vmcnt(8)
	v_mul_f64 v[56:57], v[176:177], v[24:25]
	v_mul_f64 v[24:25], v[178:179], v[24:25]
	scratch_load_b128 v[18:21], off, off offset:560
	;; [unrolled: 18-line block ×13, first 2 shown]
	v_add_f64 v[52:53], v[52:53], v[62:63]
	v_add_f64 v[54:55], v[54:55], v[60:61]
	s_waitcnt vmcnt(8) lgkmcnt(0)
	v_mul_f64 v[60:61], v[2:3], v[36:37]
	v_mul_f64 v[36:37], v[4:5], v[36:37]
	v_fma_f64 v[58:59], v[182:183], v[30:31], v[58:59]
	v_fma_f64 v[62:63], v[180:181], v[30:31], -v[32:33]
	scratch_load_b128 v[30:33], off, off offset:928
	ds_load_b128 v[180:183], v1 offset:1792
	v_add_f64 v[52:53], v[52:53], v[64:65]
	v_add_f64 v[54:55], v[54:55], v[56:57]
	v_fma_f64 v[60:61], v[4:5], v[34:35], v[60:61]
	v_fma_f64 v[64:65], v[2:3], v[34:35], -v[36:37]
	scratch_load_b128 v[34:37], off, off offset:944
	ds_load_b128 v[2:5], v1 offset:1776
	s_waitcnt vmcnt(9)
	v_mul_f64 v[56:57], v[176:177], v[50:51]
	v_mul_f64 v[50:51], v[178:179], v[50:51]
	v_add_f64 v[52:53], v[52:53], v[62:63]
	v_add_f64 v[54:55], v[54:55], v[58:59]
	s_waitcnt vmcnt(8) lgkmcnt(0)
	v_mul_f64 v[58:59], v[2:3], v[40:41]
	v_mul_f64 v[40:41], v[4:5], v[40:41]
	v_fma_f64 v[56:57], v[178:179], v[48:49], v[56:57]
	v_fma_f64 v[48:49], v[176:177], v[48:49], -v[50:51]
	v_add_f64 v[50:51], v[52:53], v[64:65]
	v_add_f64 v[52:53], v[54:55], v[60:61]
	s_waitcnt vmcnt(7)
	v_mul_f64 v[54:55], v[180:181], v[8:9]
	v_mul_f64 v[8:9], v[182:183], v[8:9]
	v_fma_f64 v[58:59], v[4:5], v[38:39], v[58:59]
	v_fma_f64 v[60:61], v[2:3], v[38:39], -v[40:41]
	ds_load_b128 v[2:5], v1 offset:1808
	ds_load_b128 v[38:41], v1 offset:1824
	v_add_f64 v[48:49], v[50:51], v[48:49]
	v_add_f64 v[50:51], v[52:53], v[56:57]
	s_waitcnt vmcnt(6) lgkmcnt(1)
	v_mul_f64 v[52:53], v[2:3], v[12:13]
	v_mul_f64 v[12:13], v[4:5], v[12:13]
	v_fma_f64 v[54:55], v[182:183], v[6:7], v[54:55]
	v_fma_f64 v[6:7], v[180:181], v[6:7], -v[8:9]
	v_add_f64 v[8:9], v[48:49], v[60:61]
	v_add_f64 v[48:49], v[50:51], v[58:59]
	s_waitcnt vmcnt(5) lgkmcnt(0)
	v_mul_f64 v[50:51], v[38:39], v[16:17]
	v_mul_f64 v[16:17], v[40:41], v[16:17]
	v_fma_f64 v[52:53], v[4:5], v[10:11], v[52:53]
	v_fma_f64 v[10:11], v[2:3], v[10:11], -v[12:13]
	v_add_f64 v[12:13], v[8:9], v[6:7]
	v_add_f64 v[48:49], v[48:49], v[54:55]
	ds_load_b128 v[2:5], v1 offset:1840
	ds_load_b128 v[6:9], v1 offset:1856
	v_fma_f64 v[40:41], v[40:41], v[14:15], v[50:51]
	v_fma_f64 v[14:15], v[38:39], v[14:15], -v[16:17]
	s_waitcnt vmcnt(4) lgkmcnt(1)
	v_mul_f64 v[54:55], v[2:3], v[20:21]
	v_mul_f64 v[20:21], v[4:5], v[20:21]
	s_waitcnt vmcnt(3) lgkmcnt(0)
	v_mul_f64 v[16:17], v[6:7], v[24:25]
	v_mul_f64 v[24:25], v[8:9], v[24:25]
	v_add_f64 v[10:11], v[12:13], v[10:11]
	v_add_f64 v[12:13], v[48:49], v[52:53]
	v_fma_f64 v[38:39], v[4:5], v[18:19], v[54:55]
	v_fma_f64 v[18:19], v[2:3], v[18:19], -v[20:21]
	v_fma_f64 v[8:9], v[8:9], v[22:23], v[16:17]
	v_fma_f64 v[6:7], v[6:7], v[22:23], -v[24:25]
	v_add_f64 v[14:15], v[10:11], v[14:15]
	v_add_f64 v[20:21], v[12:13], v[40:41]
	ds_load_b128 v[2:5], v1 offset:1872
	ds_load_b128 v[10:13], v1 offset:1888
	s_waitcnt vmcnt(2) lgkmcnt(1)
	v_mul_f64 v[40:41], v[2:3], v[28:29]
	v_mul_f64 v[28:29], v[4:5], v[28:29]
	v_add_f64 v[14:15], v[14:15], v[18:19]
	v_add_f64 v[16:17], v[20:21], v[38:39]
	s_waitcnt vmcnt(1) lgkmcnt(0)
	v_mul_f64 v[18:19], v[10:11], v[32:33]
	v_mul_f64 v[20:21], v[12:13], v[32:33]
	v_fma_f64 v[22:23], v[4:5], v[26:27], v[40:41]
	v_fma_f64 v[24:25], v[2:3], v[26:27], -v[28:29]
	ds_load_b128 v[2:5], v1 offset:1904
	v_add_f64 v[6:7], v[14:15], v[6:7]
	v_add_f64 v[8:9], v[16:17], v[8:9]
	v_fma_f64 v[12:13], v[12:13], v[30:31], v[18:19]
	v_fma_f64 v[10:11], v[10:11], v[30:31], -v[20:21]
	s_waitcnt vmcnt(0) lgkmcnt(0)
	v_mul_f64 v[14:15], v[2:3], v[36:37]
	v_mul_f64 v[16:17], v[4:5], v[36:37]
	v_add_f64 v[6:7], v[6:7], v[24:25]
	v_add_f64 v[8:9], v[8:9], v[22:23]
	s_delay_alu instid0(VALU_DEP_4) | instskip(NEXT) | instid1(VALU_DEP_4)
	v_fma_f64 v[4:5], v[4:5], v[34:35], v[14:15]
	v_fma_f64 v[2:3], v[2:3], v[34:35], -v[16:17]
	s_delay_alu instid0(VALU_DEP_4) | instskip(NEXT) | instid1(VALU_DEP_4)
	v_add_f64 v[6:7], v[6:7], v[10:11]
	v_add_f64 v[8:9], v[8:9], v[12:13]
	s_delay_alu instid0(VALU_DEP_2) | instskip(NEXT) | instid1(VALU_DEP_2)
	v_add_f64 v[2:3], v[6:7], v[2:3]
	v_add_f64 v[4:5], v[8:9], v[4:5]
	s_delay_alu instid0(VALU_DEP_2) | instskip(NEXT) | instid1(VALU_DEP_2)
	v_add_f64 v[2:3], v[42:43], -v[2:3]
	v_add_f64 v[4:5], v[44:45], -v[4:5]
	scratch_store_b128 off, v[2:5], off offset:160
	v_cmpx_lt_u32_e32 9, v166
	s_cbranch_execz .LBB123_355
; %bb.354:
	scratch_load_b128 v[5:8], v211, off
	v_mov_b32_e32 v2, v1
	v_mov_b32_e32 v3, v1
	v_mov_b32_e32 v4, v1
	scratch_store_b128 off, v[1:4], off offset:144
	s_waitcnt vmcnt(0)
	ds_store_b128 v226, v[5:8]
.LBB123_355:
	s_or_b32 exec_lo, exec_lo, s2
	s_waitcnt lgkmcnt(0)
	s_waitcnt_vscnt null, 0x0
	s_barrier
	buffer_gl0_inv
	s_clause 0x8
	scratch_load_b128 v[2:5], off, off offset:160
	scratch_load_b128 v[6:9], off, off offset:176
	;; [unrolled: 1-line block ×9, first 2 shown]
	ds_load_b128 v[42:45], v1 offset:1120
	ds_load_b128 v[38:41], v1 offset:1136
	s_clause 0x1
	scratch_load_b128 v[48:51], off, off offset:144
	scratch_load_b128 v[176:179], off, off offset:304
	s_mov_b32 s2, exec_lo
	ds_load_b128 v[180:183], v1 offset:1168
	s_waitcnt vmcnt(10) lgkmcnt(2)
	v_mul_f64 v[52:53], v[44:45], v[4:5]
	v_mul_f64 v[4:5], v[42:43], v[4:5]
	s_waitcnt vmcnt(9) lgkmcnt(1)
	v_mul_f64 v[54:55], v[38:39], v[8:9]
	v_mul_f64 v[8:9], v[40:41], v[8:9]
	s_delay_alu instid0(VALU_DEP_4) | instskip(NEXT) | instid1(VALU_DEP_4)
	v_fma_f64 v[52:53], v[42:43], v[2:3], -v[52:53]
	v_fma_f64 v[56:57], v[44:45], v[2:3], v[4:5]
	ds_load_b128 v[2:5], v1 offset:1152
	scratch_load_b128 v[42:45], off, off offset:320
	v_fma_f64 v[40:41], v[40:41], v[6:7], v[54:55]
	v_fma_f64 v[38:39], v[38:39], v[6:7], -v[8:9]
	scratch_load_b128 v[6:9], off, off offset:336
	s_waitcnt vmcnt(10) lgkmcnt(0)
	v_mul_f64 v[58:59], v[2:3], v[12:13]
	v_mul_f64 v[12:13], v[4:5], v[12:13]
	v_add_f64 v[52:53], v[52:53], 0
	v_add_f64 v[54:55], v[56:57], 0
	s_waitcnt vmcnt(9)
	v_mul_f64 v[56:57], v[180:181], v[16:17]
	v_mul_f64 v[16:17], v[182:183], v[16:17]
	v_fma_f64 v[58:59], v[4:5], v[10:11], v[58:59]
	v_fma_f64 v[60:61], v[2:3], v[10:11], -v[12:13]
	ds_load_b128 v[2:5], v1 offset:1184
	scratch_load_b128 v[10:13], off, off offset:352
	v_add_f64 v[52:53], v[52:53], v[38:39]
	v_add_f64 v[54:55], v[54:55], v[40:41]
	ds_load_b128 v[38:41], v1 offset:1200
	v_fma_f64 v[56:57], v[182:183], v[14:15], v[56:57]
	v_fma_f64 v[64:65], v[180:181], v[14:15], -v[16:17]
	scratch_load_b128 v[14:17], off, off offset:368
	s_waitcnt vmcnt(10) lgkmcnt(1)
	v_mul_f64 v[62:63], v[2:3], v[20:21]
	v_mul_f64 v[20:21], v[4:5], v[20:21]
	ds_load_b128 v[180:183], v1 offset:1232
	v_add_f64 v[52:53], v[52:53], v[60:61]
	v_add_f64 v[54:55], v[54:55], v[58:59]
	s_waitcnt vmcnt(9) lgkmcnt(1)
	v_mul_f64 v[58:59], v[38:39], v[24:25]
	v_mul_f64 v[24:25], v[40:41], v[24:25]
	v_fma_f64 v[60:61], v[4:5], v[18:19], v[62:63]
	v_fma_f64 v[62:63], v[2:3], v[18:19], -v[20:21]
	ds_load_b128 v[2:5], v1 offset:1216
	scratch_load_b128 v[18:21], off, off offset:384
	v_add_f64 v[52:53], v[52:53], v[64:65]
	v_add_f64 v[54:55], v[54:55], v[56:57]
	s_waitcnt vmcnt(9) lgkmcnt(0)
	v_mul_f64 v[56:57], v[2:3], v[28:29]
	v_mul_f64 v[28:29], v[4:5], v[28:29]
	v_fma_f64 v[40:41], v[40:41], v[22:23], v[58:59]
	v_fma_f64 v[38:39], v[38:39], v[22:23], -v[24:25]
	scratch_load_b128 v[22:25], off, off offset:400
	s_waitcnt vmcnt(9)
	v_mul_f64 v[58:59], v[180:181], v[32:33]
	v_mul_f64 v[32:33], v[182:183], v[32:33]
	v_add_f64 v[52:53], v[52:53], v[62:63]
	v_add_f64 v[54:55], v[54:55], v[60:61]
	v_fma_f64 v[56:57], v[4:5], v[26:27], v[56:57]
	v_fma_f64 v[60:61], v[2:3], v[26:27], -v[28:29]
	ds_load_b128 v[2:5], v1 offset:1248
	scratch_load_b128 v[26:29], off, off offset:416
	v_fma_f64 v[58:59], v[182:183], v[30:31], v[58:59]
	v_fma_f64 v[64:65], v[180:181], v[30:31], -v[32:33]
	scratch_load_b128 v[30:33], off, off offset:432
	ds_load_b128 v[182:185], v1 offset:1328
	v_add_f64 v[52:53], v[52:53], v[38:39]
	v_add_f64 v[54:55], v[54:55], v[40:41]
	ds_load_b128 v[38:41], v1 offset:1264
	s_waitcnt vmcnt(10) lgkmcnt(2)
	v_mul_f64 v[62:63], v[2:3], v[36:37]
	v_mul_f64 v[36:37], v[4:5], v[36:37]
	v_add_f64 v[52:53], v[52:53], v[60:61]
	v_add_f64 v[54:55], v[54:55], v[56:57]
	s_waitcnt vmcnt(8) lgkmcnt(0)
	v_mul_f64 v[56:57], v[38:39], v[178:179]
	v_mul_f64 v[60:61], v[40:41], v[178:179]
	v_fma_f64 v[62:63], v[4:5], v[34:35], v[62:63]
	v_fma_f64 v[66:67], v[2:3], v[34:35], -v[36:37]
	ds_load_b128 v[2:5], v1 offset:1280
	ds_load_b128 v[178:181], v1 offset:1296
	scratch_load_b128 v[34:37], off, off offset:448
	v_add_f64 v[52:53], v[52:53], v[64:65]
	v_add_f64 v[54:55], v[54:55], v[58:59]
	v_fma_f64 v[56:57], v[40:41], v[176:177], v[56:57]
	v_fma_f64 v[60:61], v[38:39], v[176:177], -v[60:61]
	scratch_load_b128 v[38:41], off, off offset:464
	s_waitcnt vmcnt(9) lgkmcnt(1)
	v_mul_f64 v[58:59], v[2:3], v[44:45]
	v_mul_f64 v[44:45], v[4:5], v[44:45]
	v_add_f64 v[52:53], v[52:53], v[66:67]
	v_add_f64 v[54:55], v[54:55], v[62:63]
	s_waitcnt vmcnt(8) lgkmcnt(0)
	v_mul_f64 v[62:63], v[178:179], v[8:9]
	v_mul_f64 v[8:9], v[180:181], v[8:9]
	v_fma_f64 v[58:59], v[4:5], v[42:43], v[58:59]
	v_fma_f64 v[64:65], v[2:3], v[42:43], -v[44:45]
	ds_load_b128 v[2:5], v1 offset:1312
	scratch_load_b128 v[42:45], off, off offset:480
	v_add_f64 v[52:53], v[52:53], v[60:61]
	v_add_f64 v[54:55], v[54:55], v[56:57]
	v_fma_f64 v[60:61], v[180:181], v[6:7], v[62:63]
	s_waitcnt vmcnt(8) lgkmcnt(0)
	v_mul_f64 v[56:57], v[2:3], v[12:13]
	v_mul_f64 v[12:13], v[4:5], v[12:13]
	v_fma_f64 v[62:63], v[178:179], v[6:7], -v[8:9]
	scratch_load_b128 v[6:9], off, off offset:496
	ds_load_b128 v[176:179], v1 offset:1360
	v_add_f64 v[52:53], v[52:53], v[64:65]
	v_add_f64 v[54:55], v[54:55], v[58:59]
	s_waitcnt vmcnt(8)
	v_mul_f64 v[58:59], v[182:183], v[16:17]
	v_mul_f64 v[16:17], v[184:185], v[16:17]
	v_fma_f64 v[56:57], v[4:5], v[10:11], v[56:57]
	v_fma_f64 v[64:65], v[2:3], v[10:11], -v[12:13]
	ds_load_b128 v[2:5], v1 offset:1344
	scratch_load_b128 v[10:13], off, off offset:512
	v_add_f64 v[52:53], v[52:53], v[62:63]
	v_add_f64 v[54:55], v[54:55], v[60:61]
	s_waitcnt vmcnt(8) lgkmcnt(0)
	v_mul_f64 v[60:61], v[2:3], v[20:21]
	v_mul_f64 v[20:21], v[4:5], v[20:21]
	v_fma_f64 v[58:59], v[184:185], v[14:15], v[58:59]
	v_fma_f64 v[62:63], v[182:183], v[14:15], -v[16:17]
	scratch_load_b128 v[14:17], off, off offset:528
	ds_load_b128 v[180:183], v1 offset:1392
	v_add_f64 v[52:53], v[52:53], v[64:65]
	v_add_f64 v[54:55], v[54:55], v[56:57]
	s_waitcnt vmcnt(8)
	v_mul_f64 v[56:57], v[176:177], v[24:25]
	v_mul_f64 v[24:25], v[178:179], v[24:25]
	v_fma_f64 v[60:61], v[4:5], v[18:19], v[60:61]
	v_fma_f64 v[64:65], v[2:3], v[18:19], -v[20:21]
	ds_load_b128 v[2:5], v1 offset:1376
	scratch_load_b128 v[18:21], off, off offset:544
	v_add_f64 v[52:53], v[52:53], v[62:63]
	v_add_f64 v[54:55], v[54:55], v[58:59]
	s_waitcnt vmcnt(8) lgkmcnt(0)
	v_mul_f64 v[58:59], v[2:3], v[28:29]
	v_mul_f64 v[28:29], v[4:5], v[28:29]
	v_fma_f64 v[56:57], v[178:179], v[22:23], v[56:57]
	;; [unrolled: 18-line block ×14, first 2 shown]
	v_fma_f64 v[62:63], v[176:177], v[38:39], -v[40:41]
	scratch_load_b128 v[38:41], off, off offset:944
	v_add_f64 v[52:53], v[52:53], v[64:65]
	v_add_f64 v[54:55], v[54:55], v[60:61]
	s_waitcnt vmcnt(8)
	v_mul_f64 v[60:61], v[180:181], v[8:9]
	v_mul_f64 v[8:9], v[182:183], v[8:9]
	v_fma_f64 v[58:59], v[4:5], v[42:43], v[58:59]
	v_fma_f64 v[64:65], v[2:3], v[42:43], -v[44:45]
	ds_load_b128 v[2:5], v1 offset:1792
	ds_load_b128 v[42:45], v1 offset:1808
	v_add_f64 v[52:53], v[52:53], v[62:63]
	v_add_f64 v[54:55], v[54:55], v[56:57]
	s_waitcnt vmcnt(7) lgkmcnt(1)
	v_mul_f64 v[56:57], v[2:3], v[12:13]
	v_mul_f64 v[12:13], v[4:5], v[12:13]
	v_fma_f64 v[60:61], v[182:183], v[6:7], v[60:61]
	v_fma_f64 v[6:7], v[180:181], v[6:7], -v[8:9]
	v_add_f64 v[8:9], v[52:53], v[64:65]
	v_add_f64 v[52:53], v[54:55], v[58:59]
	s_waitcnt vmcnt(6) lgkmcnt(0)
	v_mul_f64 v[54:55], v[42:43], v[16:17]
	v_mul_f64 v[16:17], v[44:45], v[16:17]
	v_fma_f64 v[56:57], v[4:5], v[10:11], v[56:57]
	v_fma_f64 v[10:11], v[2:3], v[10:11], -v[12:13]
	v_add_f64 v[12:13], v[8:9], v[6:7]
	v_add_f64 v[52:53], v[52:53], v[60:61]
	ds_load_b128 v[2:5], v1 offset:1824
	ds_load_b128 v[6:9], v1 offset:1840
	v_fma_f64 v[44:45], v[44:45], v[14:15], v[54:55]
	v_fma_f64 v[14:15], v[42:43], v[14:15], -v[16:17]
	s_waitcnt vmcnt(5) lgkmcnt(1)
	v_mul_f64 v[58:59], v[2:3], v[20:21]
	v_mul_f64 v[20:21], v[4:5], v[20:21]
	s_waitcnt vmcnt(4) lgkmcnt(0)
	v_mul_f64 v[16:17], v[6:7], v[24:25]
	v_mul_f64 v[24:25], v[8:9], v[24:25]
	v_add_f64 v[10:11], v[12:13], v[10:11]
	v_add_f64 v[12:13], v[52:53], v[56:57]
	v_fma_f64 v[42:43], v[4:5], v[18:19], v[58:59]
	v_fma_f64 v[18:19], v[2:3], v[18:19], -v[20:21]
	v_fma_f64 v[8:9], v[8:9], v[22:23], v[16:17]
	v_fma_f64 v[6:7], v[6:7], v[22:23], -v[24:25]
	v_add_f64 v[14:15], v[10:11], v[14:15]
	v_add_f64 v[20:21], v[12:13], v[44:45]
	ds_load_b128 v[2:5], v1 offset:1856
	ds_load_b128 v[10:13], v1 offset:1872
	s_waitcnt vmcnt(3) lgkmcnt(1)
	v_mul_f64 v[44:45], v[2:3], v[28:29]
	v_mul_f64 v[28:29], v[4:5], v[28:29]
	v_add_f64 v[14:15], v[14:15], v[18:19]
	v_add_f64 v[16:17], v[20:21], v[42:43]
	s_waitcnt vmcnt(2) lgkmcnt(0)
	v_mul_f64 v[18:19], v[10:11], v[32:33]
	v_mul_f64 v[20:21], v[12:13], v[32:33]
	v_fma_f64 v[22:23], v[4:5], v[26:27], v[44:45]
	v_fma_f64 v[24:25], v[2:3], v[26:27], -v[28:29]
	v_add_f64 v[14:15], v[14:15], v[6:7]
	v_add_f64 v[16:17], v[16:17], v[8:9]
	ds_load_b128 v[2:5], v1 offset:1888
	ds_load_b128 v[6:9], v1 offset:1904
	v_fma_f64 v[12:13], v[12:13], v[30:31], v[18:19]
	v_fma_f64 v[10:11], v[10:11], v[30:31], -v[20:21]
	s_waitcnt vmcnt(1) lgkmcnt(1)
	v_mul_f64 v[26:27], v[2:3], v[36:37]
	v_mul_f64 v[28:29], v[4:5], v[36:37]
	s_waitcnt vmcnt(0) lgkmcnt(0)
	v_mul_f64 v[18:19], v[6:7], v[40:41]
	v_mul_f64 v[20:21], v[8:9], v[40:41]
	v_add_f64 v[14:15], v[14:15], v[24:25]
	v_add_f64 v[16:17], v[16:17], v[22:23]
	v_fma_f64 v[4:5], v[4:5], v[34:35], v[26:27]
	v_fma_f64 v[1:2], v[2:3], v[34:35], -v[28:29]
	v_fma_f64 v[8:9], v[8:9], v[38:39], v[18:19]
	v_fma_f64 v[6:7], v[6:7], v[38:39], -v[20:21]
	v_add_f64 v[10:11], v[14:15], v[10:11]
	v_add_f64 v[12:13], v[16:17], v[12:13]
	s_delay_alu instid0(VALU_DEP_2) | instskip(NEXT) | instid1(VALU_DEP_2)
	v_add_f64 v[1:2], v[10:11], v[1:2]
	v_add_f64 v[3:4], v[12:13], v[4:5]
	s_delay_alu instid0(VALU_DEP_2) | instskip(NEXT) | instid1(VALU_DEP_2)
	;; [unrolled: 3-line block ×3, first 2 shown]
	v_add_f64 v[1:2], v[48:49], -v[1:2]
	v_add_f64 v[3:4], v[50:51], -v[3:4]
	scratch_store_b128 off, v[1:4], off offset:144
	v_cmpx_lt_u32_e32 8, v166
	s_cbranch_execz .LBB123_357
; %bb.356:
	scratch_load_b128 v[1:4], v207, off
	v_mov_b32_e32 v5, 0
	s_delay_alu instid0(VALU_DEP_1)
	v_mov_b32_e32 v6, v5
	v_mov_b32_e32 v7, v5
	;; [unrolled: 1-line block ×3, first 2 shown]
	scratch_store_b128 off, v[5:8], off offset:128
	s_waitcnt vmcnt(0)
	ds_store_b128 v226, v[1:4]
.LBB123_357:
	s_or_b32 exec_lo, exec_lo, s2
	s_waitcnt lgkmcnt(0)
	s_waitcnt_vscnt null, 0x0
	s_barrier
	buffer_gl0_inv
	s_clause 0x7
	scratch_load_b128 v[2:5], off, off offset:144
	scratch_load_b128 v[6:9], off, off offset:160
	;; [unrolled: 1-line block ×8, first 2 shown]
	v_mov_b32_e32 v1, 0
	s_mov_b32 s2, exec_lo
	ds_load_b128 v[38:41], v1 offset:1104
	s_clause 0x1
	scratch_load_b128 v[34:37], off, off offset:272
	scratch_load_b128 v[42:45], off, off offset:128
	ds_load_b128 v[48:51], v1 offset:1120
	scratch_load_b128 v[176:179], off, off offset:288
	ds_load_b128 v[180:183], v1 offset:1152
	s_waitcnt vmcnt(10) lgkmcnt(2)
	v_mul_f64 v[52:53], v[40:41], v[4:5]
	v_mul_f64 v[4:5], v[38:39], v[4:5]
	s_delay_alu instid0(VALU_DEP_2) | instskip(NEXT) | instid1(VALU_DEP_2)
	v_fma_f64 v[52:53], v[38:39], v[2:3], -v[52:53]
	v_fma_f64 v[56:57], v[40:41], v[2:3], v[4:5]
	ds_load_b128 v[2:5], v1 offset:1136
	s_waitcnt vmcnt(9) lgkmcnt(2)
	v_mul_f64 v[54:55], v[48:49], v[8:9]
	v_mul_f64 v[8:9], v[50:51], v[8:9]
	scratch_load_b128 v[38:41], off, off offset:304
	s_waitcnt vmcnt(9) lgkmcnt(0)
	v_mul_f64 v[58:59], v[2:3], v[12:13]
	v_mul_f64 v[12:13], v[4:5], v[12:13]
	v_add_f64 v[52:53], v[52:53], 0
	v_fma_f64 v[50:51], v[50:51], v[6:7], v[54:55]
	v_fma_f64 v[48:49], v[48:49], v[6:7], -v[8:9]
	v_add_f64 v[54:55], v[56:57], 0
	scratch_load_b128 v[6:9], off, off offset:320
	v_fma_f64 v[58:59], v[4:5], v[10:11], v[58:59]
	v_fma_f64 v[60:61], v[2:3], v[10:11], -v[12:13]
	scratch_load_b128 v[10:13], off, off offset:336
	ds_load_b128 v[2:5], v1 offset:1168
	s_waitcnt vmcnt(10)
	v_mul_f64 v[56:57], v[180:181], v[16:17]
	v_mul_f64 v[16:17], v[182:183], v[16:17]
	v_add_f64 v[52:53], v[52:53], v[48:49]
	v_add_f64 v[54:55], v[54:55], v[50:51]
	ds_load_b128 v[48:51], v1 offset:1184
	s_waitcnt vmcnt(9) lgkmcnt(1)
	v_mul_f64 v[62:63], v[2:3], v[20:21]
	v_mul_f64 v[20:21], v[4:5], v[20:21]
	v_fma_f64 v[56:57], v[182:183], v[14:15], v[56:57]
	v_fma_f64 v[64:65], v[180:181], v[14:15], -v[16:17]
	scratch_load_b128 v[14:17], off, off offset:352
	ds_load_b128 v[180:183], v1 offset:1216
	v_add_f64 v[52:53], v[52:53], v[60:61]
	v_add_f64 v[54:55], v[54:55], v[58:59]
	v_fma_f64 v[60:61], v[4:5], v[18:19], v[62:63]
	v_fma_f64 v[62:63], v[2:3], v[18:19], -v[20:21]
	ds_load_b128 v[2:5], v1 offset:1200
	s_waitcnt vmcnt(9) lgkmcnt(2)
	v_mul_f64 v[58:59], v[48:49], v[24:25]
	v_mul_f64 v[24:25], v[50:51], v[24:25]
	scratch_load_b128 v[18:21], off, off offset:368
	v_add_f64 v[52:53], v[52:53], v[64:65]
	v_add_f64 v[54:55], v[54:55], v[56:57]
	s_waitcnt vmcnt(9) lgkmcnt(0)
	v_mul_f64 v[56:57], v[2:3], v[28:29]
	v_mul_f64 v[28:29], v[4:5], v[28:29]
	v_fma_f64 v[50:51], v[50:51], v[22:23], v[58:59]
	v_fma_f64 v[48:49], v[48:49], v[22:23], -v[24:25]
	scratch_load_b128 v[22:25], off, off offset:384
	v_add_f64 v[52:53], v[52:53], v[62:63]
	v_add_f64 v[54:55], v[54:55], v[60:61]
	v_fma_f64 v[56:57], v[4:5], v[26:27], v[56:57]
	v_fma_f64 v[60:61], v[2:3], v[26:27], -v[28:29]
	scratch_load_b128 v[26:29], off, off offset:400
	ds_load_b128 v[2:5], v1 offset:1232
	s_waitcnt vmcnt(10)
	v_mul_f64 v[58:59], v[180:181], v[32:33]
	v_mul_f64 v[32:33], v[182:183], v[32:33]
	s_waitcnt vmcnt(9) lgkmcnt(0)
	v_mul_f64 v[62:63], v[2:3], v[36:37]
	v_mul_f64 v[36:37], v[4:5], v[36:37]
	v_add_f64 v[52:53], v[52:53], v[48:49]
	v_add_f64 v[54:55], v[54:55], v[50:51]
	ds_load_b128 v[48:51], v1 offset:1248
	v_fma_f64 v[58:59], v[182:183], v[30:31], v[58:59]
	v_fma_f64 v[64:65], v[180:181], v[30:31], -v[32:33]
	scratch_load_b128 v[30:33], off, off offset:416
	ds_load_b128 v[182:185], v1 offset:1312
	v_fma_f64 v[62:63], v[4:5], v[34:35], v[62:63]
	v_fma_f64 v[66:67], v[2:3], v[34:35], -v[36:37]
	ds_load_b128 v[2:5], v1 offset:1264
	scratch_load_b128 v[34:37], off, off offset:432
	v_add_f64 v[52:53], v[52:53], v[60:61]
	v_add_f64 v[54:55], v[54:55], v[56:57]
	s_waitcnt vmcnt(9) lgkmcnt(2)
	v_mul_f64 v[56:57], v[48:49], v[178:179]
	v_mul_f64 v[60:61], v[50:51], v[178:179]
	ds_load_b128 v[178:181], v1 offset:1280
	v_add_f64 v[52:53], v[52:53], v[64:65]
	v_add_f64 v[54:55], v[54:55], v[58:59]
	v_fma_f64 v[56:57], v[50:51], v[176:177], v[56:57]
	v_fma_f64 v[60:61], v[48:49], v[176:177], -v[60:61]
	scratch_load_b128 v[48:51], off, off offset:448
	s_waitcnt vmcnt(9) lgkmcnt(1)
	v_mul_f64 v[58:59], v[2:3], v[40:41]
	v_mul_f64 v[40:41], v[4:5], v[40:41]
	v_add_f64 v[52:53], v[52:53], v[66:67]
	v_add_f64 v[54:55], v[54:55], v[62:63]
	s_delay_alu instid0(VALU_DEP_4) | instskip(NEXT) | instid1(VALU_DEP_4)
	v_fma_f64 v[58:59], v[4:5], v[38:39], v[58:59]
	v_fma_f64 v[64:65], v[2:3], v[38:39], -v[40:41]
	scratch_load_b128 v[38:41], off, off offset:464
	ds_load_b128 v[2:5], v1 offset:1296
	s_waitcnt vmcnt(9) lgkmcnt(1)
	v_mul_f64 v[62:63], v[178:179], v[8:9]
	v_mul_f64 v[8:9], v[180:181], v[8:9]
	v_add_f64 v[52:53], v[52:53], v[60:61]
	v_add_f64 v[54:55], v[54:55], v[56:57]
	s_waitcnt vmcnt(8) lgkmcnt(0)
	v_mul_f64 v[56:57], v[2:3], v[12:13]
	v_mul_f64 v[12:13], v[4:5], v[12:13]
	v_fma_f64 v[60:61], v[180:181], v[6:7], v[62:63]
	v_fma_f64 v[62:63], v[178:179], v[6:7], -v[8:9]
	scratch_load_b128 v[6:9], off, off offset:480
	ds_load_b128 v[176:179], v1 offset:1344
	v_add_f64 v[52:53], v[52:53], v[64:65]
	v_add_f64 v[54:55], v[54:55], v[58:59]
	v_fma_f64 v[56:57], v[4:5], v[10:11], v[56:57]
	v_fma_f64 v[64:65], v[2:3], v[10:11], -v[12:13]
	ds_load_b128 v[2:5], v1 offset:1328
	s_waitcnt vmcnt(8)
	v_mul_f64 v[58:59], v[182:183], v[16:17]
	v_mul_f64 v[16:17], v[184:185], v[16:17]
	scratch_load_b128 v[10:13], off, off offset:496
	v_add_f64 v[52:53], v[52:53], v[62:63]
	v_add_f64 v[54:55], v[54:55], v[60:61]
	s_waitcnt vmcnt(8) lgkmcnt(0)
	v_mul_f64 v[60:61], v[2:3], v[20:21]
	v_mul_f64 v[20:21], v[4:5], v[20:21]
	v_fma_f64 v[58:59], v[184:185], v[14:15], v[58:59]
	v_fma_f64 v[62:63], v[182:183], v[14:15], -v[16:17]
	scratch_load_b128 v[14:17], off, off offset:512
	ds_load_b128 v[180:183], v1 offset:1376
	v_add_f64 v[52:53], v[52:53], v[64:65]
	v_add_f64 v[54:55], v[54:55], v[56:57]
	v_fma_f64 v[60:61], v[4:5], v[18:19], v[60:61]
	v_fma_f64 v[64:65], v[2:3], v[18:19], -v[20:21]
	ds_load_b128 v[2:5], v1 offset:1360
	s_waitcnt vmcnt(8)
	v_mul_f64 v[56:57], v[176:177], v[24:25]
	v_mul_f64 v[24:25], v[178:179], v[24:25]
	scratch_load_b128 v[18:21], off, off offset:528
	;; [unrolled: 18-line block ×14, first 2 shown]
	v_add_f64 v[52:53], v[52:53], v[62:63]
	v_add_f64 v[54:55], v[54:55], v[58:59]
	s_waitcnt vmcnt(8) lgkmcnt(0)
	v_mul_f64 v[58:59], v[2:3], v[40:41]
	v_mul_f64 v[40:41], v[4:5], v[40:41]
	v_fma_f64 v[56:57], v[178:179], v[48:49], v[56:57]
	v_fma_f64 v[62:63], v[176:177], v[48:49], -v[50:51]
	scratch_load_b128 v[48:51], off, off offset:928
	ds_load_b128 v[176:179], v1 offset:1792
	v_add_f64 v[52:53], v[52:53], v[64:65]
	v_add_f64 v[54:55], v[54:55], v[60:61]
	v_fma_f64 v[58:59], v[4:5], v[38:39], v[58:59]
	v_fma_f64 v[64:65], v[2:3], v[38:39], -v[40:41]
	scratch_load_b128 v[38:41], off, off offset:944
	ds_load_b128 v[2:5], v1 offset:1776
	s_waitcnt vmcnt(9)
	v_mul_f64 v[60:61], v[180:181], v[8:9]
	v_mul_f64 v[8:9], v[182:183], v[8:9]
	v_add_f64 v[52:53], v[52:53], v[62:63]
	v_add_f64 v[54:55], v[54:55], v[56:57]
	s_waitcnt vmcnt(8) lgkmcnt(0)
	v_mul_f64 v[56:57], v[2:3], v[12:13]
	v_mul_f64 v[12:13], v[4:5], v[12:13]
	v_fma_f64 v[60:61], v[182:183], v[6:7], v[60:61]
	v_fma_f64 v[6:7], v[180:181], v[6:7], -v[8:9]
	v_add_f64 v[8:9], v[52:53], v[64:65]
	v_add_f64 v[52:53], v[54:55], v[58:59]
	s_waitcnt vmcnt(7)
	v_mul_f64 v[54:55], v[176:177], v[16:17]
	v_mul_f64 v[16:17], v[178:179], v[16:17]
	v_fma_f64 v[56:57], v[4:5], v[10:11], v[56:57]
	v_fma_f64 v[10:11], v[2:3], v[10:11], -v[12:13]
	v_add_f64 v[12:13], v[8:9], v[6:7]
	v_add_f64 v[52:53], v[52:53], v[60:61]
	ds_load_b128 v[2:5], v1 offset:1808
	ds_load_b128 v[6:9], v1 offset:1824
	v_fma_f64 v[54:55], v[178:179], v[14:15], v[54:55]
	v_fma_f64 v[14:15], v[176:177], v[14:15], -v[16:17]
	s_waitcnt vmcnt(6) lgkmcnt(1)
	v_mul_f64 v[58:59], v[2:3], v[20:21]
	v_mul_f64 v[20:21], v[4:5], v[20:21]
	s_waitcnt vmcnt(5) lgkmcnt(0)
	v_mul_f64 v[16:17], v[6:7], v[24:25]
	v_mul_f64 v[24:25], v[8:9], v[24:25]
	v_add_f64 v[10:11], v[12:13], v[10:11]
	v_add_f64 v[12:13], v[52:53], v[56:57]
	v_fma_f64 v[52:53], v[4:5], v[18:19], v[58:59]
	v_fma_f64 v[18:19], v[2:3], v[18:19], -v[20:21]
	v_fma_f64 v[8:9], v[8:9], v[22:23], v[16:17]
	v_fma_f64 v[6:7], v[6:7], v[22:23], -v[24:25]
	v_add_f64 v[14:15], v[10:11], v[14:15]
	v_add_f64 v[20:21], v[12:13], v[54:55]
	ds_load_b128 v[2:5], v1 offset:1840
	ds_load_b128 v[10:13], v1 offset:1856
	s_waitcnt vmcnt(4) lgkmcnt(1)
	v_mul_f64 v[54:55], v[2:3], v[28:29]
	v_mul_f64 v[28:29], v[4:5], v[28:29]
	v_add_f64 v[14:15], v[14:15], v[18:19]
	v_add_f64 v[16:17], v[20:21], v[52:53]
	s_waitcnt vmcnt(3) lgkmcnt(0)
	v_mul_f64 v[18:19], v[10:11], v[32:33]
	v_mul_f64 v[20:21], v[12:13], v[32:33]
	v_fma_f64 v[22:23], v[4:5], v[26:27], v[54:55]
	v_fma_f64 v[24:25], v[2:3], v[26:27], -v[28:29]
	v_add_f64 v[14:15], v[14:15], v[6:7]
	v_add_f64 v[16:17], v[16:17], v[8:9]
	ds_load_b128 v[2:5], v1 offset:1872
	ds_load_b128 v[6:9], v1 offset:1888
	v_fma_f64 v[12:13], v[12:13], v[30:31], v[18:19]
	v_fma_f64 v[10:11], v[10:11], v[30:31], -v[20:21]
	s_waitcnt vmcnt(2) lgkmcnt(1)
	v_mul_f64 v[26:27], v[2:3], v[36:37]
	v_mul_f64 v[28:29], v[4:5], v[36:37]
	s_waitcnt vmcnt(1) lgkmcnt(0)
	v_mul_f64 v[18:19], v[6:7], v[50:51]
	v_mul_f64 v[20:21], v[8:9], v[50:51]
	v_add_f64 v[14:15], v[14:15], v[24:25]
	v_add_f64 v[16:17], v[16:17], v[22:23]
	v_fma_f64 v[22:23], v[4:5], v[34:35], v[26:27]
	v_fma_f64 v[24:25], v[2:3], v[34:35], -v[28:29]
	ds_load_b128 v[2:5], v1 offset:1904
	v_fma_f64 v[8:9], v[8:9], v[48:49], v[18:19]
	v_fma_f64 v[6:7], v[6:7], v[48:49], -v[20:21]
	v_add_f64 v[10:11], v[14:15], v[10:11]
	v_add_f64 v[12:13], v[16:17], v[12:13]
	s_waitcnt vmcnt(0) lgkmcnt(0)
	v_mul_f64 v[14:15], v[2:3], v[40:41]
	v_mul_f64 v[16:17], v[4:5], v[40:41]
	s_delay_alu instid0(VALU_DEP_4) | instskip(NEXT) | instid1(VALU_DEP_4)
	v_add_f64 v[10:11], v[10:11], v[24:25]
	v_add_f64 v[12:13], v[12:13], v[22:23]
	s_delay_alu instid0(VALU_DEP_4) | instskip(NEXT) | instid1(VALU_DEP_4)
	v_fma_f64 v[4:5], v[4:5], v[38:39], v[14:15]
	v_fma_f64 v[2:3], v[2:3], v[38:39], -v[16:17]
	s_delay_alu instid0(VALU_DEP_4) | instskip(NEXT) | instid1(VALU_DEP_4)
	v_add_f64 v[6:7], v[10:11], v[6:7]
	v_add_f64 v[8:9], v[12:13], v[8:9]
	s_delay_alu instid0(VALU_DEP_2) | instskip(NEXT) | instid1(VALU_DEP_2)
	v_add_f64 v[2:3], v[6:7], v[2:3]
	v_add_f64 v[4:5], v[8:9], v[4:5]
	s_delay_alu instid0(VALU_DEP_2) | instskip(NEXT) | instid1(VALU_DEP_2)
	v_add_f64 v[2:3], v[42:43], -v[2:3]
	v_add_f64 v[4:5], v[44:45], -v[4:5]
	scratch_store_b128 off, v[2:5], off offset:128
	v_cmpx_lt_u32_e32 7, v166
	s_cbranch_execz .LBB123_359
; %bb.358:
	scratch_load_b128 v[5:8], v209, off
	v_mov_b32_e32 v2, v1
	v_mov_b32_e32 v3, v1
	;; [unrolled: 1-line block ×3, first 2 shown]
	scratch_store_b128 off, v[1:4], off offset:112
	s_waitcnt vmcnt(0)
	ds_store_b128 v226, v[5:8]
.LBB123_359:
	s_or_b32 exec_lo, exec_lo, s2
	s_waitcnt lgkmcnt(0)
	s_waitcnt_vscnt null, 0x0
	s_barrier
	buffer_gl0_inv
	s_clause 0x8
	scratch_load_b128 v[2:5], off, off offset:128
	scratch_load_b128 v[6:9], off, off offset:144
	;; [unrolled: 1-line block ×9, first 2 shown]
	ds_load_b128 v[42:45], v1 offset:1088
	ds_load_b128 v[38:41], v1 offset:1104
	s_clause 0x1
	scratch_load_b128 v[48:51], off, off offset:112
	scratch_load_b128 v[176:179], off, off offset:272
	s_mov_b32 s2, exec_lo
	ds_load_b128 v[180:183], v1 offset:1136
	s_waitcnt vmcnt(10) lgkmcnt(2)
	v_mul_f64 v[52:53], v[44:45], v[4:5]
	v_mul_f64 v[4:5], v[42:43], v[4:5]
	s_waitcnt vmcnt(9) lgkmcnt(1)
	v_mul_f64 v[54:55], v[38:39], v[8:9]
	v_mul_f64 v[8:9], v[40:41], v[8:9]
	s_delay_alu instid0(VALU_DEP_4) | instskip(NEXT) | instid1(VALU_DEP_4)
	v_fma_f64 v[52:53], v[42:43], v[2:3], -v[52:53]
	v_fma_f64 v[56:57], v[44:45], v[2:3], v[4:5]
	ds_load_b128 v[2:5], v1 offset:1120
	scratch_load_b128 v[42:45], off, off offset:288
	v_fma_f64 v[40:41], v[40:41], v[6:7], v[54:55]
	v_fma_f64 v[38:39], v[38:39], v[6:7], -v[8:9]
	scratch_load_b128 v[6:9], off, off offset:304
	s_waitcnt vmcnt(10) lgkmcnt(0)
	v_mul_f64 v[58:59], v[2:3], v[12:13]
	v_mul_f64 v[12:13], v[4:5], v[12:13]
	v_add_f64 v[52:53], v[52:53], 0
	v_add_f64 v[54:55], v[56:57], 0
	s_waitcnt vmcnt(9)
	v_mul_f64 v[56:57], v[180:181], v[16:17]
	v_mul_f64 v[16:17], v[182:183], v[16:17]
	v_fma_f64 v[58:59], v[4:5], v[10:11], v[58:59]
	v_fma_f64 v[60:61], v[2:3], v[10:11], -v[12:13]
	ds_load_b128 v[2:5], v1 offset:1152
	scratch_load_b128 v[10:13], off, off offset:320
	v_add_f64 v[52:53], v[52:53], v[38:39]
	v_add_f64 v[54:55], v[54:55], v[40:41]
	ds_load_b128 v[38:41], v1 offset:1168
	v_fma_f64 v[56:57], v[182:183], v[14:15], v[56:57]
	v_fma_f64 v[64:65], v[180:181], v[14:15], -v[16:17]
	scratch_load_b128 v[14:17], off, off offset:336
	s_waitcnt vmcnt(10) lgkmcnt(1)
	v_mul_f64 v[62:63], v[2:3], v[20:21]
	v_mul_f64 v[20:21], v[4:5], v[20:21]
	ds_load_b128 v[180:183], v1 offset:1200
	v_add_f64 v[52:53], v[52:53], v[60:61]
	v_add_f64 v[54:55], v[54:55], v[58:59]
	s_waitcnt vmcnt(9) lgkmcnt(1)
	v_mul_f64 v[58:59], v[38:39], v[24:25]
	v_mul_f64 v[24:25], v[40:41], v[24:25]
	v_fma_f64 v[60:61], v[4:5], v[18:19], v[62:63]
	v_fma_f64 v[62:63], v[2:3], v[18:19], -v[20:21]
	ds_load_b128 v[2:5], v1 offset:1184
	scratch_load_b128 v[18:21], off, off offset:352
	v_add_f64 v[52:53], v[52:53], v[64:65]
	v_add_f64 v[54:55], v[54:55], v[56:57]
	s_waitcnt vmcnt(9) lgkmcnt(0)
	v_mul_f64 v[56:57], v[2:3], v[28:29]
	v_mul_f64 v[28:29], v[4:5], v[28:29]
	v_fma_f64 v[40:41], v[40:41], v[22:23], v[58:59]
	v_fma_f64 v[38:39], v[38:39], v[22:23], -v[24:25]
	scratch_load_b128 v[22:25], off, off offset:368
	s_waitcnt vmcnt(9)
	v_mul_f64 v[58:59], v[180:181], v[32:33]
	v_mul_f64 v[32:33], v[182:183], v[32:33]
	v_add_f64 v[52:53], v[52:53], v[62:63]
	v_add_f64 v[54:55], v[54:55], v[60:61]
	v_fma_f64 v[56:57], v[4:5], v[26:27], v[56:57]
	v_fma_f64 v[60:61], v[2:3], v[26:27], -v[28:29]
	ds_load_b128 v[2:5], v1 offset:1216
	scratch_load_b128 v[26:29], off, off offset:384
	v_fma_f64 v[58:59], v[182:183], v[30:31], v[58:59]
	v_fma_f64 v[64:65], v[180:181], v[30:31], -v[32:33]
	scratch_load_b128 v[30:33], off, off offset:400
	ds_load_b128 v[182:185], v1 offset:1296
	v_add_f64 v[52:53], v[52:53], v[38:39]
	v_add_f64 v[54:55], v[54:55], v[40:41]
	ds_load_b128 v[38:41], v1 offset:1232
	s_waitcnt vmcnt(10) lgkmcnt(2)
	v_mul_f64 v[62:63], v[2:3], v[36:37]
	v_mul_f64 v[36:37], v[4:5], v[36:37]
	v_add_f64 v[52:53], v[52:53], v[60:61]
	v_add_f64 v[54:55], v[54:55], v[56:57]
	s_waitcnt vmcnt(8) lgkmcnt(0)
	v_mul_f64 v[56:57], v[38:39], v[178:179]
	v_mul_f64 v[60:61], v[40:41], v[178:179]
	v_fma_f64 v[62:63], v[4:5], v[34:35], v[62:63]
	v_fma_f64 v[66:67], v[2:3], v[34:35], -v[36:37]
	ds_load_b128 v[2:5], v1 offset:1248
	ds_load_b128 v[178:181], v1 offset:1264
	scratch_load_b128 v[34:37], off, off offset:416
	v_add_f64 v[52:53], v[52:53], v[64:65]
	v_add_f64 v[54:55], v[54:55], v[58:59]
	v_fma_f64 v[56:57], v[40:41], v[176:177], v[56:57]
	v_fma_f64 v[60:61], v[38:39], v[176:177], -v[60:61]
	scratch_load_b128 v[38:41], off, off offset:432
	s_waitcnt vmcnt(9) lgkmcnt(1)
	v_mul_f64 v[58:59], v[2:3], v[44:45]
	v_mul_f64 v[44:45], v[4:5], v[44:45]
	v_add_f64 v[52:53], v[52:53], v[66:67]
	v_add_f64 v[54:55], v[54:55], v[62:63]
	s_waitcnt vmcnt(8) lgkmcnt(0)
	v_mul_f64 v[62:63], v[178:179], v[8:9]
	v_mul_f64 v[8:9], v[180:181], v[8:9]
	v_fma_f64 v[58:59], v[4:5], v[42:43], v[58:59]
	v_fma_f64 v[64:65], v[2:3], v[42:43], -v[44:45]
	ds_load_b128 v[2:5], v1 offset:1280
	scratch_load_b128 v[42:45], off, off offset:448
	v_add_f64 v[52:53], v[52:53], v[60:61]
	v_add_f64 v[54:55], v[54:55], v[56:57]
	v_fma_f64 v[60:61], v[180:181], v[6:7], v[62:63]
	s_waitcnt vmcnt(8) lgkmcnt(0)
	v_mul_f64 v[56:57], v[2:3], v[12:13]
	v_mul_f64 v[12:13], v[4:5], v[12:13]
	v_fma_f64 v[62:63], v[178:179], v[6:7], -v[8:9]
	scratch_load_b128 v[6:9], off, off offset:464
	ds_load_b128 v[176:179], v1 offset:1328
	v_add_f64 v[52:53], v[52:53], v[64:65]
	v_add_f64 v[54:55], v[54:55], v[58:59]
	s_waitcnt vmcnt(8)
	v_mul_f64 v[58:59], v[182:183], v[16:17]
	v_mul_f64 v[16:17], v[184:185], v[16:17]
	v_fma_f64 v[56:57], v[4:5], v[10:11], v[56:57]
	v_fma_f64 v[64:65], v[2:3], v[10:11], -v[12:13]
	ds_load_b128 v[2:5], v1 offset:1312
	scratch_load_b128 v[10:13], off, off offset:480
	v_add_f64 v[52:53], v[52:53], v[62:63]
	v_add_f64 v[54:55], v[54:55], v[60:61]
	s_waitcnt vmcnt(8) lgkmcnt(0)
	v_mul_f64 v[60:61], v[2:3], v[20:21]
	v_mul_f64 v[20:21], v[4:5], v[20:21]
	v_fma_f64 v[58:59], v[184:185], v[14:15], v[58:59]
	v_fma_f64 v[62:63], v[182:183], v[14:15], -v[16:17]
	scratch_load_b128 v[14:17], off, off offset:496
	ds_load_b128 v[180:183], v1 offset:1360
	v_add_f64 v[52:53], v[52:53], v[64:65]
	v_add_f64 v[54:55], v[54:55], v[56:57]
	s_waitcnt vmcnt(8)
	v_mul_f64 v[56:57], v[176:177], v[24:25]
	v_mul_f64 v[24:25], v[178:179], v[24:25]
	v_fma_f64 v[60:61], v[4:5], v[18:19], v[60:61]
	v_fma_f64 v[64:65], v[2:3], v[18:19], -v[20:21]
	ds_load_b128 v[2:5], v1 offset:1344
	scratch_load_b128 v[18:21], off, off offset:512
	v_add_f64 v[52:53], v[52:53], v[62:63]
	v_add_f64 v[54:55], v[54:55], v[58:59]
	s_waitcnt vmcnt(8) lgkmcnt(0)
	v_mul_f64 v[58:59], v[2:3], v[28:29]
	v_mul_f64 v[28:29], v[4:5], v[28:29]
	v_fma_f64 v[56:57], v[178:179], v[22:23], v[56:57]
	;; [unrolled: 18-line block ×15, first 2 shown]
	v_fma_f64 v[62:63], v[180:181], v[6:7], -v[8:9]
	scratch_load_b128 v[6:9], off, off offset:944
	v_add_f64 v[52:53], v[52:53], v[64:65]
	v_add_f64 v[54:55], v[54:55], v[58:59]
	s_waitcnt vmcnt(8)
	v_mul_f64 v[58:59], v[176:177], v[16:17]
	v_mul_f64 v[16:17], v[178:179], v[16:17]
	v_fma_f64 v[56:57], v[4:5], v[10:11], v[56:57]
	v_fma_f64 v[64:65], v[2:3], v[10:11], -v[12:13]
	ds_load_b128 v[2:5], v1 offset:1792
	ds_load_b128 v[10:13], v1 offset:1808
	v_add_f64 v[52:53], v[52:53], v[62:63]
	v_add_f64 v[54:55], v[54:55], v[60:61]
	s_waitcnt vmcnt(7) lgkmcnt(1)
	v_mul_f64 v[60:61], v[2:3], v[20:21]
	v_mul_f64 v[20:21], v[4:5], v[20:21]
	v_fma_f64 v[58:59], v[178:179], v[14:15], v[58:59]
	v_fma_f64 v[14:15], v[176:177], v[14:15], -v[16:17]
	v_add_f64 v[16:17], v[52:53], v[64:65]
	v_add_f64 v[52:53], v[54:55], v[56:57]
	s_waitcnt vmcnt(6) lgkmcnt(0)
	v_mul_f64 v[54:55], v[10:11], v[24:25]
	v_mul_f64 v[24:25], v[12:13], v[24:25]
	v_fma_f64 v[56:57], v[4:5], v[18:19], v[60:61]
	v_fma_f64 v[18:19], v[2:3], v[18:19], -v[20:21]
	v_add_f64 v[20:21], v[16:17], v[14:15]
	v_add_f64 v[52:53], v[52:53], v[58:59]
	ds_load_b128 v[2:5], v1 offset:1824
	ds_load_b128 v[14:17], v1 offset:1840
	v_fma_f64 v[12:13], v[12:13], v[22:23], v[54:55]
	v_fma_f64 v[10:11], v[10:11], v[22:23], -v[24:25]
	s_waitcnt vmcnt(5) lgkmcnt(1)
	v_mul_f64 v[58:59], v[2:3], v[28:29]
	v_mul_f64 v[28:29], v[4:5], v[28:29]
	s_waitcnt vmcnt(4) lgkmcnt(0)
	v_mul_f64 v[22:23], v[14:15], v[32:33]
	v_mul_f64 v[24:25], v[16:17], v[32:33]
	v_add_f64 v[18:19], v[20:21], v[18:19]
	v_add_f64 v[20:21], v[52:53], v[56:57]
	v_fma_f64 v[32:33], v[4:5], v[26:27], v[58:59]
	v_fma_f64 v[26:27], v[2:3], v[26:27], -v[28:29]
	v_fma_f64 v[16:17], v[16:17], v[30:31], v[22:23]
	v_fma_f64 v[14:15], v[14:15], v[30:31], -v[24:25]
	v_add_f64 v[18:19], v[18:19], v[10:11]
	v_add_f64 v[20:21], v[20:21], v[12:13]
	ds_load_b128 v[2:5], v1 offset:1856
	ds_load_b128 v[10:13], v1 offset:1872
	s_waitcnt vmcnt(3) lgkmcnt(1)
	v_mul_f64 v[28:29], v[2:3], v[36:37]
	v_mul_f64 v[36:37], v[4:5], v[36:37]
	s_waitcnt vmcnt(2) lgkmcnt(0)
	v_mul_f64 v[22:23], v[10:11], v[40:41]
	v_mul_f64 v[24:25], v[12:13], v[40:41]
	v_add_f64 v[18:19], v[18:19], v[26:27]
	v_add_f64 v[20:21], v[20:21], v[32:33]
	v_fma_f64 v[26:27], v[4:5], v[34:35], v[28:29]
	v_fma_f64 v[28:29], v[2:3], v[34:35], -v[36:37]
	v_fma_f64 v[12:13], v[12:13], v[38:39], v[22:23]
	v_fma_f64 v[10:11], v[10:11], v[38:39], -v[24:25]
	v_add_f64 v[18:19], v[18:19], v[14:15]
	v_add_f64 v[20:21], v[20:21], v[16:17]
	ds_load_b128 v[2:5], v1 offset:1888
	ds_load_b128 v[14:17], v1 offset:1904
	s_waitcnt vmcnt(1) lgkmcnt(1)
	v_mul_f64 v[30:31], v[2:3], v[44:45]
	v_mul_f64 v[32:33], v[4:5], v[44:45]
	s_waitcnt vmcnt(0) lgkmcnt(0)
	v_mul_f64 v[22:23], v[14:15], v[8:9]
	v_mul_f64 v[8:9], v[16:17], v[8:9]
	v_add_f64 v[18:19], v[18:19], v[28:29]
	v_add_f64 v[20:21], v[20:21], v[26:27]
	v_fma_f64 v[4:5], v[4:5], v[42:43], v[30:31]
	v_fma_f64 v[1:2], v[2:3], v[42:43], -v[32:33]
	v_fma_f64 v[16:17], v[16:17], v[6:7], v[22:23]
	v_fma_f64 v[6:7], v[14:15], v[6:7], -v[8:9]
	v_add_f64 v[10:11], v[18:19], v[10:11]
	v_add_f64 v[12:13], v[20:21], v[12:13]
	s_delay_alu instid0(VALU_DEP_2) | instskip(NEXT) | instid1(VALU_DEP_2)
	v_add_f64 v[1:2], v[10:11], v[1:2]
	v_add_f64 v[3:4], v[12:13], v[4:5]
	s_delay_alu instid0(VALU_DEP_2) | instskip(NEXT) | instid1(VALU_DEP_2)
	;; [unrolled: 3-line block ×3, first 2 shown]
	v_add_f64 v[1:2], v[48:49], -v[1:2]
	v_add_f64 v[3:4], v[50:51], -v[3:4]
	scratch_store_b128 off, v[1:4], off offset:112
	v_cmpx_lt_u32_e32 6, v166
	s_cbranch_execz .LBB123_361
; %bb.360:
	scratch_load_b128 v[1:4], v210, off
	v_mov_b32_e32 v5, 0
	s_delay_alu instid0(VALU_DEP_1)
	v_mov_b32_e32 v6, v5
	v_mov_b32_e32 v7, v5
	;; [unrolled: 1-line block ×3, first 2 shown]
	scratch_store_b128 off, v[5:8], off offset:96
	s_waitcnt vmcnt(0)
	ds_store_b128 v226, v[1:4]
.LBB123_361:
	s_or_b32 exec_lo, exec_lo, s2
	s_waitcnt lgkmcnt(0)
	s_waitcnt_vscnt null, 0x0
	s_barrier
	buffer_gl0_inv
	s_clause 0x7
	scratch_load_b128 v[2:5], off, off offset:112
	scratch_load_b128 v[6:9], off, off offset:128
	;; [unrolled: 1-line block ×8, first 2 shown]
	v_mov_b32_e32 v1, 0
	s_mov_b32 s2, exec_lo
	ds_load_b128 v[38:41], v1 offset:1072
	s_clause 0x1
	scratch_load_b128 v[34:37], off, off offset:240
	scratch_load_b128 v[42:45], off, off offset:96
	ds_load_b128 v[48:51], v1 offset:1088
	scratch_load_b128 v[176:179], off, off offset:256
	ds_load_b128 v[180:183], v1 offset:1120
	s_waitcnt vmcnt(10) lgkmcnt(2)
	v_mul_f64 v[52:53], v[40:41], v[4:5]
	v_mul_f64 v[4:5], v[38:39], v[4:5]
	s_delay_alu instid0(VALU_DEP_2) | instskip(NEXT) | instid1(VALU_DEP_2)
	v_fma_f64 v[52:53], v[38:39], v[2:3], -v[52:53]
	v_fma_f64 v[56:57], v[40:41], v[2:3], v[4:5]
	ds_load_b128 v[2:5], v1 offset:1104
	s_waitcnt vmcnt(9) lgkmcnt(2)
	v_mul_f64 v[54:55], v[48:49], v[8:9]
	v_mul_f64 v[8:9], v[50:51], v[8:9]
	scratch_load_b128 v[38:41], off, off offset:272
	s_waitcnt vmcnt(9) lgkmcnt(0)
	v_mul_f64 v[58:59], v[2:3], v[12:13]
	v_mul_f64 v[12:13], v[4:5], v[12:13]
	v_add_f64 v[52:53], v[52:53], 0
	v_fma_f64 v[50:51], v[50:51], v[6:7], v[54:55]
	v_fma_f64 v[48:49], v[48:49], v[6:7], -v[8:9]
	v_add_f64 v[54:55], v[56:57], 0
	scratch_load_b128 v[6:9], off, off offset:288
	v_fma_f64 v[58:59], v[4:5], v[10:11], v[58:59]
	v_fma_f64 v[60:61], v[2:3], v[10:11], -v[12:13]
	scratch_load_b128 v[10:13], off, off offset:304
	ds_load_b128 v[2:5], v1 offset:1136
	s_waitcnt vmcnt(10)
	v_mul_f64 v[56:57], v[180:181], v[16:17]
	v_mul_f64 v[16:17], v[182:183], v[16:17]
	v_add_f64 v[52:53], v[52:53], v[48:49]
	v_add_f64 v[54:55], v[54:55], v[50:51]
	ds_load_b128 v[48:51], v1 offset:1152
	s_waitcnt vmcnt(9) lgkmcnt(1)
	v_mul_f64 v[62:63], v[2:3], v[20:21]
	v_mul_f64 v[20:21], v[4:5], v[20:21]
	v_fma_f64 v[56:57], v[182:183], v[14:15], v[56:57]
	v_fma_f64 v[64:65], v[180:181], v[14:15], -v[16:17]
	scratch_load_b128 v[14:17], off, off offset:320
	ds_load_b128 v[180:183], v1 offset:1184
	v_add_f64 v[52:53], v[52:53], v[60:61]
	v_add_f64 v[54:55], v[54:55], v[58:59]
	v_fma_f64 v[60:61], v[4:5], v[18:19], v[62:63]
	v_fma_f64 v[62:63], v[2:3], v[18:19], -v[20:21]
	ds_load_b128 v[2:5], v1 offset:1168
	s_waitcnt vmcnt(9) lgkmcnt(2)
	v_mul_f64 v[58:59], v[48:49], v[24:25]
	v_mul_f64 v[24:25], v[50:51], v[24:25]
	scratch_load_b128 v[18:21], off, off offset:336
	v_add_f64 v[52:53], v[52:53], v[64:65]
	v_add_f64 v[54:55], v[54:55], v[56:57]
	s_waitcnt vmcnt(9) lgkmcnt(0)
	v_mul_f64 v[56:57], v[2:3], v[28:29]
	v_mul_f64 v[28:29], v[4:5], v[28:29]
	v_fma_f64 v[50:51], v[50:51], v[22:23], v[58:59]
	v_fma_f64 v[48:49], v[48:49], v[22:23], -v[24:25]
	scratch_load_b128 v[22:25], off, off offset:352
	v_add_f64 v[52:53], v[52:53], v[62:63]
	v_add_f64 v[54:55], v[54:55], v[60:61]
	v_fma_f64 v[56:57], v[4:5], v[26:27], v[56:57]
	v_fma_f64 v[60:61], v[2:3], v[26:27], -v[28:29]
	scratch_load_b128 v[26:29], off, off offset:368
	ds_load_b128 v[2:5], v1 offset:1200
	s_waitcnt vmcnt(10)
	v_mul_f64 v[58:59], v[180:181], v[32:33]
	v_mul_f64 v[32:33], v[182:183], v[32:33]
	s_waitcnt vmcnt(9) lgkmcnt(0)
	v_mul_f64 v[62:63], v[2:3], v[36:37]
	v_mul_f64 v[36:37], v[4:5], v[36:37]
	v_add_f64 v[52:53], v[52:53], v[48:49]
	v_add_f64 v[54:55], v[54:55], v[50:51]
	ds_load_b128 v[48:51], v1 offset:1216
	v_fma_f64 v[58:59], v[182:183], v[30:31], v[58:59]
	v_fma_f64 v[64:65], v[180:181], v[30:31], -v[32:33]
	scratch_load_b128 v[30:33], off, off offset:384
	ds_load_b128 v[182:185], v1 offset:1280
	v_fma_f64 v[62:63], v[4:5], v[34:35], v[62:63]
	v_fma_f64 v[66:67], v[2:3], v[34:35], -v[36:37]
	ds_load_b128 v[2:5], v1 offset:1232
	scratch_load_b128 v[34:37], off, off offset:400
	v_add_f64 v[52:53], v[52:53], v[60:61]
	v_add_f64 v[54:55], v[54:55], v[56:57]
	s_waitcnt vmcnt(9) lgkmcnt(2)
	v_mul_f64 v[56:57], v[48:49], v[178:179]
	v_mul_f64 v[60:61], v[50:51], v[178:179]
	ds_load_b128 v[178:181], v1 offset:1248
	v_add_f64 v[52:53], v[52:53], v[64:65]
	v_add_f64 v[54:55], v[54:55], v[58:59]
	v_fma_f64 v[56:57], v[50:51], v[176:177], v[56:57]
	v_fma_f64 v[60:61], v[48:49], v[176:177], -v[60:61]
	scratch_load_b128 v[48:51], off, off offset:416
	s_waitcnt vmcnt(9) lgkmcnt(1)
	v_mul_f64 v[58:59], v[2:3], v[40:41]
	v_mul_f64 v[40:41], v[4:5], v[40:41]
	v_add_f64 v[52:53], v[52:53], v[66:67]
	v_add_f64 v[54:55], v[54:55], v[62:63]
	s_delay_alu instid0(VALU_DEP_4) | instskip(NEXT) | instid1(VALU_DEP_4)
	v_fma_f64 v[58:59], v[4:5], v[38:39], v[58:59]
	v_fma_f64 v[64:65], v[2:3], v[38:39], -v[40:41]
	scratch_load_b128 v[38:41], off, off offset:432
	ds_load_b128 v[2:5], v1 offset:1264
	s_waitcnt vmcnt(9) lgkmcnt(1)
	v_mul_f64 v[62:63], v[178:179], v[8:9]
	v_mul_f64 v[8:9], v[180:181], v[8:9]
	v_add_f64 v[52:53], v[52:53], v[60:61]
	v_add_f64 v[54:55], v[54:55], v[56:57]
	s_waitcnt vmcnt(8) lgkmcnt(0)
	v_mul_f64 v[56:57], v[2:3], v[12:13]
	v_mul_f64 v[12:13], v[4:5], v[12:13]
	v_fma_f64 v[60:61], v[180:181], v[6:7], v[62:63]
	v_fma_f64 v[62:63], v[178:179], v[6:7], -v[8:9]
	scratch_load_b128 v[6:9], off, off offset:448
	ds_load_b128 v[176:179], v1 offset:1312
	v_add_f64 v[52:53], v[52:53], v[64:65]
	v_add_f64 v[54:55], v[54:55], v[58:59]
	v_fma_f64 v[56:57], v[4:5], v[10:11], v[56:57]
	v_fma_f64 v[64:65], v[2:3], v[10:11], -v[12:13]
	ds_load_b128 v[2:5], v1 offset:1296
	s_waitcnt vmcnt(8)
	v_mul_f64 v[58:59], v[182:183], v[16:17]
	v_mul_f64 v[16:17], v[184:185], v[16:17]
	scratch_load_b128 v[10:13], off, off offset:464
	v_add_f64 v[52:53], v[52:53], v[62:63]
	v_add_f64 v[54:55], v[54:55], v[60:61]
	s_waitcnt vmcnt(8) lgkmcnt(0)
	v_mul_f64 v[60:61], v[2:3], v[20:21]
	v_mul_f64 v[20:21], v[4:5], v[20:21]
	v_fma_f64 v[58:59], v[184:185], v[14:15], v[58:59]
	v_fma_f64 v[62:63], v[182:183], v[14:15], -v[16:17]
	scratch_load_b128 v[14:17], off, off offset:480
	ds_load_b128 v[180:183], v1 offset:1344
	v_add_f64 v[52:53], v[52:53], v[64:65]
	v_add_f64 v[54:55], v[54:55], v[56:57]
	v_fma_f64 v[60:61], v[4:5], v[18:19], v[60:61]
	v_fma_f64 v[64:65], v[2:3], v[18:19], -v[20:21]
	ds_load_b128 v[2:5], v1 offset:1328
	s_waitcnt vmcnt(8)
	v_mul_f64 v[56:57], v[176:177], v[24:25]
	v_mul_f64 v[24:25], v[178:179], v[24:25]
	scratch_load_b128 v[18:21], off, off offset:496
	;; [unrolled: 18-line block ×15, first 2 shown]
	v_add_f64 v[52:53], v[52:53], v[62:63]
	v_add_f64 v[54:55], v[54:55], v[56:57]
	s_waitcnt vmcnt(8) lgkmcnt(0)
	v_mul_f64 v[56:57], v[2:3], v[12:13]
	v_mul_f64 v[12:13], v[4:5], v[12:13]
	v_fma_f64 v[60:61], v[182:183], v[6:7], v[60:61]
	v_fma_f64 v[62:63], v[180:181], v[6:7], -v[8:9]
	scratch_load_b128 v[6:9], off, off offset:928
	ds_load_b128 v[180:183], v1 offset:1792
	v_add_f64 v[52:53], v[52:53], v[64:65]
	v_add_f64 v[54:55], v[54:55], v[58:59]
	v_fma_f64 v[56:57], v[4:5], v[10:11], v[56:57]
	v_fma_f64 v[64:65], v[2:3], v[10:11], -v[12:13]
	scratch_load_b128 v[10:13], off, off offset:944
	ds_load_b128 v[2:5], v1 offset:1776
	s_waitcnt vmcnt(9)
	v_mul_f64 v[58:59], v[176:177], v[16:17]
	v_mul_f64 v[16:17], v[178:179], v[16:17]
	v_add_f64 v[52:53], v[52:53], v[62:63]
	v_add_f64 v[54:55], v[54:55], v[60:61]
	s_waitcnt vmcnt(8) lgkmcnt(0)
	v_mul_f64 v[60:61], v[2:3], v[20:21]
	v_mul_f64 v[20:21], v[4:5], v[20:21]
	v_fma_f64 v[58:59], v[178:179], v[14:15], v[58:59]
	v_fma_f64 v[14:15], v[176:177], v[14:15], -v[16:17]
	v_add_f64 v[16:17], v[52:53], v[64:65]
	v_add_f64 v[52:53], v[54:55], v[56:57]
	s_waitcnt vmcnt(7)
	v_mul_f64 v[54:55], v[180:181], v[24:25]
	v_mul_f64 v[24:25], v[182:183], v[24:25]
	v_fma_f64 v[56:57], v[4:5], v[18:19], v[60:61]
	v_fma_f64 v[18:19], v[2:3], v[18:19], -v[20:21]
	v_add_f64 v[20:21], v[16:17], v[14:15]
	v_add_f64 v[52:53], v[52:53], v[58:59]
	ds_load_b128 v[2:5], v1 offset:1808
	ds_load_b128 v[14:17], v1 offset:1824
	v_fma_f64 v[54:55], v[182:183], v[22:23], v[54:55]
	v_fma_f64 v[22:23], v[180:181], v[22:23], -v[24:25]
	s_waitcnt vmcnt(6) lgkmcnt(1)
	v_mul_f64 v[58:59], v[2:3], v[28:29]
	v_mul_f64 v[28:29], v[4:5], v[28:29]
	s_waitcnt vmcnt(5) lgkmcnt(0)
	v_mul_f64 v[24:25], v[14:15], v[32:33]
	v_mul_f64 v[32:33], v[16:17], v[32:33]
	v_add_f64 v[18:19], v[20:21], v[18:19]
	v_add_f64 v[20:21], v[52:53], v[56:57]
	v_fma_f64 v[52:53], v[4:5], v[26:27], v[58:59]
	v_fma_f64 v[26:27], v[2:3], v[26:27], -v[28:29]
	v_fma_f64 v[16:17], v[16:17], v[30:31], v[24:25]
	v_fma_f64 v[14:15], v[14:15], v[30:31], -v[32:33]
	v_add_f64 v[22:23], v[18:19], v[22:23]
	v_add_f64 v[28:29], v[20:21], v[54:55]
	ds_load_b128 v[2:5], v1 offset:1840
	ds_load_b128 v[18:21], v1 offset:1856
	s_waitcnt vmcnt(4) lgkmcnt(1)
	v_mul_f64 v[54:55], v[2:3], v[36:37]
	v_mul_f64 v[36:37], v[4:5], v[36:37]
	v_add_f64 v[22:23], v[22:23], v[26:27]
	v_add_f64 v[24:25], v[28:29], v[52:53]
	s_waitcnt vmcnt(3) lgkmcnt(0)
	v_mul_f64 v[26:27], v[18:19], v[50:51]
	v_mul_f64 v[28:29], v[20:21], v[50:51]
	v_fma_f64 v[30:31], v[4:5], v[34:35], v[54:55]
	v_fma_f64 v[32:33], v[2:3], v[34:35], -v[36:37]
	v_add_f64 v[22:23], v[22:23], v[14:15]
	v_add_f64 v[24:25], v[24:25], v[16:17]
	ds_load_b128 v[2:5], v1 offset:1872
	ds_load_b128 v[14:17], v1 offset:1888
	v_fma_f64 v[20:21], v[20:21], v[48:49], v[26:27]
	v_fma_f64 v[18:19], v[18:19], v[48:49], -v[28:29]
	s_waitcnt vmcnt(2) lgkmcnt(1)
	v_mul_f64 v[34:35], v[2:3], v[40:41]
	v_mul_f64 v[36:37], v[4:5], v[40:41]
	s_waitcnt vmcnt(1) lgkmcnt(0)
	v_mul_f64 v[26:27], v[14:15], v[8:9]
	v_mul_f64 v[8:9], v[16:17], v[8:9]
	v_add_f64 v[22:23], v[22:23], v[32:33]
	v_add_f64 v[24:25], v[24:25], v[30:31]
	v_fma_f64 v[28:29], v[4:5], v[38:39], v[34:35]
	v_fma_f64 v[30:31], v[2:3], v[38:39], -v[36:37]
	ds_load_b128 v[2:5], v1 offset:1904
	v_fma_f64 v[16:17], v[16:17], v[6:7], v[26:27]
	v_fma_f64 v[6:7], v[14:15], v[6:7], -v[8:9]
	v_add_f64 v[18:19], v[22:23], v[18:19]
	v_add_f64 v[20:21], v[24:25], v[20:21]
	s_waitcnt vmcnt(0) lgkmcnt(0)
	v_mul_f64 v[22:23], v[2:3], v[12:13]
	v_mul_f64 v[12:13], v[4:5], v[12:13]
	s_delay_alu instid0(VALU_DEP_4) | instskip(NEXT) | instid1(VALU_DEP_4)
	v_add_f64 v[8:9], v[18:19], v[30:31]
	v_add_f64 v[14:15], v[20:21], v[28:29]
	s_delay_alu instid0(VALU_DEP_4) | instskip(NEXT) | instid1(VALU_DEP_4)
	v_fma_f64 v[4:5], v[4:5], v[10:11], v[22:23]
	v_fma_f64 v[2:3], v[2:3], v[10:11], -v[12:13]
	s_delay_alu instid0(VALU_DEP_4) | instskip(NEXT) | instid1(VALU_DEP_4)
	v_add_f64 v[6:7], v[8:9], v[6:7]
	v_add_f64 v[8:9], v[14:15], v[16:17]
	s_delay_alu instid0(VALU_DEP_2) | instskip(NEXT) | instid1(VALU_DEP_2)
	v_add_f64 v[2:3], v[6:7], v[2:3]
	v_add_f64 v[4:5], v[8:9], v[4:5]
	s_delay_alu instid0(VALU_DEP_2) | instskip(NEXT) | instid1(VALU_DEP_2)
	v_add_f64 v[2:3], v[42:43], -v[2:3]
	v_add_f64 v[4:5], v[44:45], -v[4:5]
	scratch_store_b128 off, v[2:5], off offset:96
	v_cmpx_lt_u32_e32 5, v166
	s_cbranch_execz .LBB123_363
; %bb.362:
	scratch_load_b128 v[5:8], v205, off
	v_mov_b32_e32 v2, v1
	v_mov_b32_e32 v3, v1
	;; [unrolled: 1-line block ×3, first 2 shown]
	scratch_store_b128 off, v[1:4], off offset:80
	s_waitcnt vmcnt(0)
	ds_store_b128 v226, v[5:8]
.LBB123_363:
	s_or_b32 exec_lo, exec_lo, s2
	s_waitcnt lgkmcnt(0)
	s_waitcnt_vscnt null, 0x0
	s_barrier
	buffer_gl0_inv
	s_clause 0x8
	scratch_load_b128 v[2:5], off, off offset:96
	scratch_load_b128 v[6:9], off, off offset:112
	scratch_load_b128 v[10:13], off, off offset:128
	scratch_load_b128 v[14:17], off, off offset:144
	scratch_load_b128 v[18:21], off, off offset:160
	scratch_load_b128 v[22:25], off, off offset:176
	scratch_load_b128 v[26:29], off, off offset:192
	scratch_load_b128 v[30:33], off, off offset:208
	scratch_load_b128 v[34:37], off, off offset:224
	ds_load_b128 v[42:45], v1 offset:1056
	ds_load_b128 v[38:41], v1 offset:1072
	s_clause 0x1
	scratch_load_b128 v[48:51], off, off offset:80
	scratch_load_b128 v[176:179], off, off offset:240
	s_mov_b32 s2, exec_lo
	ds_load_b128 v[180:183], v1 offset:1104
	s_waitcnt vmcnt(10) lgkmcnt(2)
	v_mul_f64 v[52:53], v[44:45], v[4:5]
	v_mul_f64 v[4:5], v[42:43], v[4:5]
	s_waitcnt vmcnt(9) lgkmcnt(1)
	v_mul_f64 v[54:55], v[38:39], v[8:9]
	v_mul_f64 v[8:9], v[40:41], v[8:9]
	s_delay_alu instid0(VALU_DEP_4) | instskip(NEXT) | instid1(VALU_DEP_4)
	v_fma_f64 v[52:53], v[42:43], v[2:3], -v[52:53]
	v_fma_f64 v[56:57], v[44:45], v[2:3], v[4:5]
	ds_load_b128 v[2:5], v1 offset:1088
	scratch_load_b128 v[42:45], off, off offset:256
	v_fma_f64 v[40:41], v[40:41], v[6:7], v[54:55]
	v_fma_f64 v[38:39], v[38:39], v[6:7], -v[8:9]
	scratch_load_b128 v[6:9], off, off offset:272
	s_waitcnt vmcnt(10) lgkmcnt(0)
	v_mul_f64 v[58:59], v[2:3], v[12:13]
	v_mul_f64 v[12:13], v[4:5], v[12:13]
	v_add_f64 v[52:53], v[52:53], 0
	v_add_f64 v[54:55], v[56:57], 0
	s_waitcnt vmcnt(9)
	v_mul_f64 v[56:57], v[180:181], v[16:17]
	v_mul_f64 v[16:17], v[182:183], v[16:17]
	v_fma_f64 v[58:59], v[4:5], v[10:11], v[58:59]
	v_fma_f64 v[60:61], v[2:3], v[10:11], -v[12:13]
	ds_load_b128 v[2:5], v1 offset:1120
	scratch_load_b128 v[10:13], off, off offset:288
	v_add_f64 v[52:53], v[52:53], v[38:39]
	v_add_f64 v[54:55], v[54:55], v[40:41]
	ds_load_b128 v[38:41], v1 offset:1136
	v_fma_f64 v[56:57], v[182:183], v[14:15], v[56:57]
	v_fma_f64 v[64:65], v[180:181], v[14:15], -v[16:17]
	scratch_load_b128 v[14:17], off, off offset:304
	s_waitcnt vmcnt(10) lgkmcnt(1)
	v_mul_f64 v[62:63], v[2:3], v[20:21]
	v_mul_f64 v[20:21], v[4:5], v[20:21]
	ds_load_b128 v[180:183], v1 offset:1168
	v_add_f64 v[52:53], v[52:53], v[60:61]
	v_add_f64 v[54:55], v[54:55], v[58:59]
	s_waitcnt vmcnt(9) lgkmcnt(1)
	v_mul_f64 v[58:59], v[38:39], v[24:25]
	v_mul_f64 v[24:25], v[40:41], v[24:25]
	v_fma_f64 v[60:61], v[4:5], v[18:19], v[62:63]
	v_fma_f64 v[62:63], v[2:3], v[18:19], -v[20:21]
	ds_load_b128 v[2:5], v1 offset:1152
	scratch_load_b128 v[18:21], off, off offset:320
	v_add_f64 v[52:53], v[52:53], v[64:65]
	v_add_f64 v[54:55], v[54:55], v[56:57]
	s_waitcnt vmcnt(9) lgkmcnt(0)
	v_mul_f64 v[56:57], v[2:3], v[28:29]
	v_mul_f64 v[28:29], v[4:5], v[28:29]
	v_fma_f64 v[40:41], v[40:41], v[22:23], v[58:59]
	v_fma_f64 v[38:39], v[38:39], v[22:23], -v[24:25]
	scratch_load_b128 v[22:25], off, off offset:336
	s_waitcnt vmcnt(9)
	v_mul_f64 v[58:59], v[180:181], v[32:33]
	v_mul_f64 v[32:33], v[182:183], v[32:33]
	v_add_f64 v[52:53], v[52:53], v[62:63]
	v_add_f64 v[54:55], v[54:55], v[60:61]
	v_fma_f64 v[56:57], v[4:5], v[26:27], v[56:57]
	v_fma_f64 v[60:61], v[2:3], v[26:27], -v[28:29]
	ds_load_b128 v[2:5], v1 offset:1184
	scratch_load_b128 v[26:29], off, off offset:352
	v_fma_f64 v[58:59], v[182:183], v[30:31], v[58:59]
	v_fma_f64 v[64:65], v[180:181], v[30:31], -v[32:33]
	scratch_load_b128 v[30:33], off, off offset:368
	ds_load_b128 v[182:185], v1 offset:1264
	v_add_f64 v[52:53], v[52:53], v[38:39]
	v_add_f64 v[54:55], v[54:55], v[40:41]
	ds_load_b128 v[38:41], v1 offset:1200
	s_waitcnt vmcnt(10) lgkmcnt(2)
	v_mul_f64 v[62:63], v[2:3], v[36:37]
	v_mul_f64 v[36:37], v[4:5], v[36:37]
	v_add_f64 v[52:53], v[52:53], v[60:61]
	v_add_f64 v[54:55], v[54:55], v[56:57]
	s_waitcnt vmcnt(8) lgkmcnt(0)
	v_mul_f64 v[56:57], v[38:39], v[178:179]
	v_mul_f64 v[60:61], v[40:41], v[178:179]
	v_fma_f64 v[62:63], v[4:5], v[34:35], v[62:63]
	v_fma_f64 v[66:67], v[2:3], v[34:35], -v[36:37]
	ds_load_b128 v[2:5], v1 offset:1216
	ds_load_b128 v[178:181], v1 offset:1232
	scratch_load_b128 v[34:37], off, off offset:384
	v_add_f64 v[52:53], v[52:53], v[64:65]
	v_add_f64 v[54:55], v[54:55], v[58:59]
	v_fma_f64 v[56:57], v[40:41], v[176:177], v[56:57]
	v_fma_f64 v[60:61], v[38:39], v[176:177], -v[60:61]
	scratch_load_b128 v[38:41], off, off offset:400
	s_waitcnt vmcnt(9) lgkmcnt(1)
	v_mul_f64 v[58:59], v[2:3], v[44:45]
	v_mul_f64 v[44:45], v[4:5], v[44:45]
	v_add_f64 v[52:53], v[52:53], v[66:67]
	v_add_f64 v[54:55], v[54:55], v[62:63]
	s_waitcnt vmcnt(8) lgkmcnt(0)
	v_mul_f64 v[62:63], v[178:179], v[8:9]
	v_mul_f64 v[8:9], v[180:181], v[8:9]
	v_fma_f64 v[58:59], v[4:5], v[42:43], v[58:59]
	v_fma_f64 v[64:65], v[2:3], v[42:43], -v[44:45]
	ds_load_b128 v[2:5], v1 offset:1248
	scratch_load_b128 v[42:45], off, off offset:416
	v_add_f64 v[52:53], v[52:53], v[60:61]
	v_add_f64 v[54:55], v[54:55], v[56:57]
	v_fma_f64 v[60:61], v[180:181], v[6:7], v[62:63]
	s_waitcnt vmcnt(8) lgkmcnt(0)
	v_mul_f64 v[56:57], v[2:3], v[12:13]
	v_mul_f64 v[12:13], v[4:5], v[12:13]
	v_fma_f64 v[62:63], v[178:179], v[6:7], -v[8:9]
	scratch_load_b128 v[6:9], off, off offset:432
	ds_load_b128 v[176:179], v1 offset:1296
	v_add_f64 v[52:53], v[52:53], v[64:65]
	v_add_f64 v[54:55], v[54:55], v[58:59]
	s_waitcnt vmcnt(8)
	v_mul_f64 v[58:59], v[182:183], v[16:17]
	v_mul_f64 v[16:17], v[184:185], v[16:17]
	v_fma_f64 v[56:57], v[4:5], v[10:11], v[56:57]
	v_fma_f64 v[64:65], v[2:3], v[10:11], -v[12:13]
	ds_load_b128 v[2:5], v1 offset:1280
	scratch_load_b128 v[10:13], off, off offset:448
	v_add_f64 v[52:53], v[52:53], v[62:63]
	v_add_f64 v[54:55], v[54:55], v[60:61]
	s_waitcnt vmcnt(8) lgkmcnt(0)
	v_mul_f64 v[60:61], v[2:3], v[20:21]
	v_mul_f64 v[20:21], v[4:5], v[20:21]
	v_fma_f64 v[58:59], v[184:185], v[14:15], v[58:59]
	v_fma_f64 v[62:63], v[182:183], v[14:15], -v[16:17]
	scratch_load_b128 v[14:17], off, off offset:464
	ds_load_b128 v[180:183], v1 offset:1328
	v_add_f64 v[52:53], v[52:53], v[64:65]
	v_add_f64 v[54:55], v[54:55], v[56:57]
	s_waitcnt vmcnt(8)
	v_mul_f64 v[56:57], v[176:177], v[24:25]
	v_mul_f64 v[24:25], v[178:179], v[24:25]
	v_fma_f64 v[60:61], v[4:5], v[18:19], v[60:61]
	v_fma_f64 v[64:65], v[2:3], v[18:19], -v[20:21]
	ds_load_b128 v[2:5], v1 offset:1312
	scratch_load_b128 v[18:21], off, off offset:480
	v_add_f64 v[52:53], v[52:53], v[62:63]
	v_add_f64 v[54:55], v[54:55], v[58:59]
	s_waitcnt vmcnt(8) lgkmcnt(0)
	v_mul_f64 v[58:59], v[2:3], v[28:29]
	v_mul_f64 v[28:29], v[4:5], v[28:29]
	v_fma_f64 v[56:57], v[178:179], v[22:23], v[56:57]
	;; [unrolled: 18-line block ×16, first 2 shown]
	v_fma_f64 v[62:63], v[176:177], v[14:15], -v[16:17]
	scratch_load_b128 v[14:17], off, off offset:944
	v_add_f64 v[52:53], v[52:53], v[64:65]
	v_add_f64 v[54:55], v[54:55], v[56:57]
	s_waitcnt vmcnt(8)
	v_mul_f64 v[56:57], v[180:181], v[24:25]
	v_mul_f64 v[24:25], v[182:183], v[24:25]
	v_fma_f64 v[60:61], v[4:5], v[18:19], v[60:61]
	v_fma_f64 v[64:65], v[2:3], v[18:19], -v[20:21]
	ds_load_b128 v[2:5], v1 offset:1792
	ds_load_b128 v[18:21], v1 offset:1808
	v_add_f64 v[52:53], v[52:53], v[62:63]
	v_add_f64 v[54:55], v[54:55], v[58:59]
	s_waitcnt vmcnt(7) lgkmcnt(1)
	v_mul_f64 v[58:59], v[2:3], v[28:29]
	v_mul_f64 v[28:29], v[4:5], v[28:29]
	v_fma_f64 v[56:57], v[182:183], v[22:23], v[56:57]
	v_fma_f64 v[22:23], v[180:181], v[22:23], -v[24:25]
	v_add_f64 v[24:25], v[52:53], v[64:65]
	v_add_f64 v[52:53], v[54:55], v[60:61]
	s_waitcnt vmcnt(6) lgkmcnt(0)
	v_mul_f64 v[54:55], v[18:19], v[32:33]
	v_mul_f64 v[32:33], v[20:21], v[32:33]
	v_fma_f64 v[58:59], v[4:5], v[26:27], v[58:59]
	v_fma_f64 v[26:27], v[2:3], v[26:27], -v[28:29]
	v_add_f64 v[28:29], v[24:25], v[22:23]
	v_add_f64 v[52:53], v[52:53], v[56:57]
	ds_load_b128 v[2:5], v1 offset:1824
	ds_load_b128 v[22:25], v1 offset:1840
	v_fma_f64 v[20:21], v[20:21], v[30:31], v[54:55]
	v_fma_f64 v[18:19], v[18:19], v[30:31], -v[32:33]
	s_waitcnt vmcnt(5) lgkmcnt(1)
	v_mul_f64 v[56:57], v[2:3], v[36:37]
	v_mul_f64 v[36:37], v[4:5], v[36:37]
	s_waitcnt vmcnt(4) lgkmcnt(0)
	v_mul_f64 v[30:31], v[22:23], v[40:41]
	v_mul_f64 v[32:33], v[24:25], v[40:41]
	v_add_f64 v[26:27], v[28:29], v[26:27]
	v_add_f64 v[28:29], v[52:53], v[58:59]
	v_fma_f64 v[40:41], v[4:5], v[34:35], v[56:57]
	v_fma_f64 v[34:35], v[2:3], v[34:35], -v[36:37]
	v_fma_f64 v[24:25], v[24:25], v[38:39], v[30:31]
	v_fma_f64 v[22:23], v[22:23], v[38:39], -v[32:33]
	v_add_f64 v[26:27], v[26:27], v[18:19]
	v_add_f64 v[28:29], v[28:29], v[20:21]
	ds_load_b128 v[2:5], v1 offset:1856
	ds_load_b128 v[18:21], v1 offset:1872
	s_waitcnt vmcnt(3) lgkmcnt(1)
	v_mul_f64 v[36:37], v[2:3], v[44:45]
	v_mul_f64 v[44:45], v[4:5], v[44:45]
	s_waitcnt vmcnt(2) lgkmcnt(0)
	v_mul_f64 v[30:31], v[18:19], v[8:9]
	v_mul_f64 v[8:9], v[20:21], v[8:9]
	v_add_f64 v[26:27], v[26:27], v[34:35]
	v_add_f64 v[28:29], v[28:29], v[40:41]
	v_fma_f64 v[32:33], v[4:5], v[42:43], v[36:37]
	v_fma_f64 v[34:35], v[2:3], v[42:43], -v[44:45]
	v_fma_f64 v[20:21], v[20:21], v[6:7], v[30:31]
	v_fma_f64 v[6:7], v[18:19], v[6:7], -v[8:9]
	v_add_f64 v[26:27], v[26:27], v[22:23]
	v_add_f64 v[28:29], v[28:29], v[24:25]
	ds_load_b128 v[2:5], v1 offset:1888
	ds_load_b128 v[22:25], v1 offset:1904
	s_waitcnt vmcnt(1) lgkmcnt(1)
	v_mul_f64 v[36:37], v[2:3], v[12:13]
	v_mul_f64 v[12:13], v[4:5], v[12:13]
	v_add_f64 v[8:9], v[26:27], v[34:35]
	v_add_f64 v[18:19], v[28:29], v[32:33]
	s_waitcnt vmcnt(0) lgkmcnt(0)
	v_mul_f64 v[26:27], v[22:23], v[16:17]
	v_mul_f64 v[16:17], v[24:25], v[16:17]
	v_fma_f64 v[4:5], v[4:5], v[10:11], v[36:37]
	v_fma_f64 v[1:2], v[2:3], v[10:11], -v[12:13]
	v_add_f64 v[6:7], v[8:9], v[6:7]
	v_add_f64 v[8:9], v[18:19], v[20:21]
	v_fma_f64 v[10:11], v[24:25], v[14:15], v[26:27]
	v_fma_f64 v[12:13], v[22:23], v[14:15], -v[16:17]
	s_delay_alu instid0(VALU_DEP_4) | instskip(NEXT) | instid1(VALU_DEP_4)
	v_add_f64 v[1:2], v[6:7], v[1:2]
	v_add_f64 v[3:4], v[8:9], v[4:5]
	s_delay_alu instid0(VALU_DEP_2) | instskip(NEXT) | instid1(VALU_DEP_2)
	v_add_f64 v[1:2], v[1:2], v[12:13]
	v_add_f64 v[3:4], v[3:4], v[10:11]
	s_delay_alu instid0(VALU_DEP_2) | instskip(NEXT) | instid1(VALU_DEP_2)
	v_add_f64 v[1:2], v[48:49], -v[1:2]
	v_add_f64 v[3:4], v[50:51], -v[3:4]
	scratch_store_b128 off, v[1:4], off offset:80
	v_cmpx_lt_u32_e32 4, v166
	s_cbranch_execz .LBB123_365
; %bb.364:
	scratch_load_b128 v[1:4], v187, off
	v_mov_b32_e32 v5, 0
	s_delay_alu instid0(VALU_DEP_1)
	v_mov_b32_e32 v6, v5
	v_mov_b32_e32 v7, v5
	;; [unrolled: 1-line block ×3, first 2 shown]
	scratch_store_b128 off, v[5:8], off offset:64
	s_waitcnt vmcnt(0)
	ds_store_b128 v226, v[1:4]
.LBB123_365:
	s_or_b32 exec_lo, exec_lo, s2
	s_waitcnt lgkmcnt(0)
	s_waitcnt_vscnt null, 0x0
	s_barrier
	buffer_gl0_inv
	s_clause 0x7
	scratch_load_b128 v[2:5], off, off offset:80
	scratch_load_b128 v[6:9], off, off offset:96
	;; [unrolled: 1-line block ×8, first 2 shown]
	v_mov_b32_e32 v1, 0
	s_mov_b32 s2, exec_lo
	ds_load_b128 v[38:41], v1 offset:1040
	s_clause 0x1
	scratch_load_b128 v[34:37], off, off offset:208
	scratch_load_b128 v[42:45], off, off offset:64
	ds_load_b128 v[48:51], v1 offset:1056
	scratch_load_b128 v[176:179], off, off offset:224
	ds_load_b128 v[180:183], v1 offset:1088
	s_waitcnt vmcnt(10) lgkmcnt(2)
	v_mul_f64 v[52:53], v[40:41], v[4:5]
	v_mul_f64 v[4:5], v[38:39], v[4:5]
	s_delay_alu instid0(VALU_DEP_2) | instskip(NEXT) | instid1(VALU_DEP_2)
	v_fma_f64 v[52:53], v[38:39], v[2:3], -v[52:53]
	v_fma_f64 v[56:57], v[40:41], v[2:3], v[4:5]
	ds_load_b128 v[2:5], v1 offset:1072
	s_waitcnt vmcnt(9) lgkmcnt(2)
	v_mul_f64 v[54:55], v[48:49], v[8:9]
	v_mul_f64 v[8:9], v[50:51], v[8:9]
	scratch_load_b128 v[38:41], off, off offset:240
	s_waitcnt vmcnt(9) lgkmcnt(0)
	v_mul_f64 v[58:59], v[2:3], v[12:13]
	v_mul_f64 v[12:13], v[4:5], v[12:13]
	v_add_f64 v[52:53], v[52:53], 0
	v_fma_f64 v[50:51], v[50:51], v[6:7], v[54:55]
	v_fma_f64 v[48:49], v[48:49], v[6:7], -v[8:9]
	v_add_f64 v[54:55], v[56:57], 0
	scratch_load_b128 v[6:9], off, off offset:256
	v_fma_f64 v[58:59], v[4:5], v[10:11], v[58:59]
	v_fma_f64 v[60:61], v[2:3], v[10:11], -v[12:13]
	scratch_load_b128 v[10:13], off, off offset:272
	ds_load_b128 v[2:5], v1 offset:1104
	s_waitcnt vmcnt(10)
	v_mul_f64 v[56:57], v[180:181], v[16:17]
	v_mul_f64 v[16:17], v[182:183], v[16:17]
	v_add_f64 v[52:53], v[52:53], v[48:49]
	v_add_f64 v[54:55], v[54:55], v[50:51]
	ds_load_b128 v[48:51], v1 offset:1120
	s_waitcnt vmcnt(9) lgkmcnt(1)
	v_mul_f64 v[62:63], v[2:3], v[20:21]
	v_mul_f64 v[20:21], v[4:5], v[20:21]
	v_fma_f64 v[56:57], v[182:183], v[14:15], v[56:57]
	v_fma_f64 v[64:65], v[180:181], v[14:15], -v[16:17]
	scratch_load_b128 v[14:17], off, off offset:288
	ds_load_b128 v[180:183], v1 offset:1152
	v_add_f64 v[52:53], v[52:53], v[60:61]
	v_add_f64 v[54:55], v[54:55], v[58:59]
	v_fma_f64 v[60:61], v[4:5], v[18:19], v[62:63]
	v_fma_f64 v[62:63], v[2:3], v[18:19], -v[20:21]
	ds_load_b128 v[2:5], v1 offset:1136
	s_waitcnt vmcnt(9) lgkmcnt(2)
	v_mul_f64 v[58:59], v[48:49], v[24:25]
	v_mul_f64 v[24:25], v[50:51], v[24:25]
	scratch_load_b128 v[18:21], off, off offset:304
	v_add_f64 v[52:53], v[52:53], v[64:65]
	v_add_f64 v[54:55], v[54:55], v[56:57]
	s_waitcnt vmcnt(9) lgkmcnt(0)
	v_mul_f64 v[56:57], v[2:3], v[28:29]
	v_mul_f64 v[28:29], v[4:5], v[28:29]
	v_fma_f64 v[50:51], v[50:51], v[22:23], v[58:59]
	v_fma_f64 v[48:49], v[48:49], v[22:23], -v[24:25]
	scratch_load_b128 v[22:25], off, off offset:320
	v_add_f64 v[52:53], v[52:53], v[62:63]
	v_add_f64 v[54:55], v[54:55], v[60:61]
	v_fma_f64 v[56:57], v[4:5], v[26:27], v[56:57]
	v_fma_f64 v[60:61], v[2:3], v[26:27], -v[28:29]
	scratch_load_b128 v[26:29], off, off offset:336
	ds_load_b128 v[2:5], v1 offset:1168
	s_waitcnt vmcnt(10)
	v_mul_f64 v[58:59], v[180:181], v[32:33]
	v_mul_f64 v[32:33], v[182:183], v[32:33]
	s_waitcnt vmcnt(9) lgkmcnt(0)
	v_mul_f64 v[62:63], v[2:3], v[36:37]
	v_mul_f64 v[36:37], v[4:5], v[36:37]
	v_add_f64 v[52:53], v[52:53], v[48:49]
	v_add_f64 v[54:55], v[54:55], v[50:51]
	ds_load_b128 v[48:51], v1 offset:1184
	v_fma_f64 v[58:59], v[182:183], v[30:31], v[58:59]
	v_fma_f64 v[64:65], v[180:181], v[30:31], -v[32:33]
	scratch_load_b128 v[30:33], off, off offset:352
	ds_load_b128 v[182:185], v1 offset:1248
	v_fma_f64 v[62:63], v[4:5], v[34:35], v[62:63]
	v_fma_f64 v[66:67], v[2:3], v[34:35], -v[36:37]
	ds_load_b128 v[2:5], v1 offset:1200
	scratch_load_b128 v[34:37], off, off offset:368
	v_add_f64 v[52:53], v[52:53], v[60:61]
	v_add_f64 v[54:55], v[54:55], v[56:57]
	s_waitcnt vmcnt(9) lgkmcnt(2)
	v_mul_f64 v[56:57], v[48:49], v[178:179]
	v_mul_f64 v[60:61], v[50:51], v[178:179]
	ds_load_b128 v[178:181], v1 offset:1216
	v_add_f64 v[52:53], v[52:53], v[64:65]
	v_add_f64 v[54:55], v[54:55], v[58:59]
	v_fma_f64 v[56:57], v[50:51], v[176:177], v[56:57]
	v_fma_f64 v[60:61], v[48:49], v[176:177], -v[60:61]
	scratch_load_b128 v[48:51], off, off offset:384
	s_waitcnt vmcnt(9) lgkmcnt(1)
	v_mul_f64 v[58:59], v[2:3], v[40:41]
	v_mul_f64 v[40:41], v[4:5], v[40:41]
	v_add_f64 v[52:53], v[52:53], v[66:67]
	v_add_f64 v[54:55], v[54:55], v[62:63]
	s_delay_alu instid0(VALU_DEP_4) | instskip(NEXT) | instid1(VALU_DEP_4)
	v_fma_f64 v[58:59], v[4:5], v[38:39], v[58:59]
	v_fma_f64 v[64:65], v[2:3], v[38:39], -v[40:41]
	scratch_load_b128 v[38:41], off, off offset:400
	ds_load_b128 v[2:5], v1 offset:1232
	s_waitcnt vmcnt(9) lgkmcnt(1)
	v_mul_f64 v[62:63], v[178:179], v[8:9]
	v_mul_f64 v[8:9], v[180:181], v[8:9]
	v_add_f64 v[52:53], v[52:53], v[60:61]
	v_add_f64 v[54:55], v[54:55], v[56:57]
	s_waitcnt vmcnt(8) lgkmcnt(0)
	v_mul_f64 v[56:57], v[2:3], v[12:13]
	v_mul_f64 v[12:13], v[4:5], v[12:13]
	v_fma_f64 v[60:61], v[180:181], v[6:7], v[62:63]
	v_fma_f64 v[62:63], v[178:179], v[6:7], -v[8:9]
	scratch_load_b128 v[6:9], off, off offset:416
	ds_load_b128 v[176:179], v1 offset:1280
	v_add_f64 v[52:53], v[52:53], v[64:65]
	v_add_f64 v[54:55], v[54:55], v[58:59]
	v_fma_f64 v[56:57], v[4:5], v[10:11], v[56:57]
	v_fma_f64 v[64:65], v[2:3], v[10:11], -v[12:13]
	ds_load_b128 v[2:5], v1 offset:1264
	s_waitcnt vmcnt(8)
	v_mul_f64 v[58:59], v[182:183], v[16:17]
	v_mul_f64 v[16:17], v[184:185], v[16:17]
	scratch_load_b128 v[10:13], off, off offset:432
	v_add_f64 v[52:53], v[52:53], v[62:63]
	v_add_f64 v[54:55], v[54:55], v[60:61]
	s_waitcnt vmcnt(8) lgkmcnt(0)
	v_mul_f64 v[60:61], v[2:3], v[20:21]
	v_mul_f64 v[20:21], v[4:5], v[20:21]
	v_fma_f64 v[58:59], v[184:185], v[14:15], v[58:59]
	v_fma_f64 v[62:63], v[182:183], v[14:15], -v[16:17]
	scratch_load_b128 v[14:17], off, off offset:448
	ds_load_b128 v[180:183], v1 offset:1312
	v_add_f64 v[52:53], v[52:53], v[64:65]
	v_add_f64 v[54:55], v[54:55], v[56:57]
	v_fma_f64 v[60:61], v[4:5], v[18:19], v[60:61]
	v_fma_f64 v[64:65], v[2:3], v[18:19], -v[20:21]
	ds_load_b128 v[2:5], v1 offset:1296
	s_waitcnt vmcnt(8)
	v_mul_f64 v[56:57], v[176:177], v[24:25]
	v_mul_f64 v[24:25], v[178:179], v[24:25]
	scratch_load_b128 v[18:21], off, off offset:464
	;; [unrolled: 18-line block ×16, first 2 shown]
	v_add_f64 v[52:53], v[52:53], v[62:63]
	v_add_f64 v[54:55], v[54:55], v[60:61]
	s_waitcnt vmcnt(8) lgkmcnt(0)
	v_mul_f64 v[60:61], v[2:3], v[20:21]
	v_mul_f64 v[20:21], v[4:5], v[20:21]
	v_fma_f64 v[58:59], v[178:179], v[14:15], v[58:59]
	v_fma_f64 v[62:63], v[176:177], v[14:15], -v[16:17]
	scratch_load_b128 v[14:17], off, off offset:928
	ds_load_b128 v[176:179], v1 offset:1792
	v_add_f64 v[52:53], v[52:53], v[64:65]
	v_add_f64 v[54:55], v[54:55], v[56:57]
	v_fma_f64 v[60:61], v[4:5], v[18:19], v[60:61]
	v_fma_f64 v[64:65], v[2:3], v[18:19], -v[20:21]
	scratch_load_b128 v[18:21], off, off offset:944
	ds_load_b128 v[2:5], v1 offset:1776
	s_waitcnt vmcnt(9)
	v_mul_f64 v[56:57], v[180:181], v[24:25]
	v_mul_f64 v[24:25], v[182:183], v[24:25]
	v_add_f64 v[52:53], v[52:53], v[62:63]
	v_add_f64 v[54:55], v[54:55], v[58:59]
	s_waitcnt vmcnt(8) lgkmcnt(0)
	v_mul_f64 v[58:59], v[2:3], v[28:29]
	v_mul_f64 v[28:29], v[4:5], v[28:29]
	v_fma_f64 v[56:57], v[182:183], v[22:23], v[56:57]
	v_fma_f64 v[22:23], v[180:181], v[22:23], -v[24:25]
	v_add_f64 v[24:25], v[52:53], v[64:65]
	v_add_f64 v[52:53], v[54:55], v[60:61]
	s_waitcnt vmcnt(7)
	v_mul_f64 v[54:55], v[176:177], v[32:33]
	v_mul_f64 v[32:33], v[178:179], v[32:33]
	v_fma_f64 v[58:59], v[4:5], v[26:27], v[58:59]
	v_fma_f64 v[26:27], v[2:3], v[26:27], -v[28:29]
	v_add_f64 v[28:29], v[24:25], v[22:23]
	v_add_f64 v[52:53], v[52:53], v[56:57]
	ds_load_b128 v[2:5], v1 offset:1808
	ds_load_b128 v[22:25], v1 offset:1824
	v_fma_f64 v[54:55], v[178:179], v[30:31], v[54:55]
	v_fma_f64 v[30:31], v[176:177], v[30:31], -v[32:33]
	s_waitcnt vmcnt(6) lgkmcnt(1)
	v_mul_f64 v[56:57], v[2:3], v[36:37]
	v_mul_f64 v[36:37], v[4:5], v[36:37]
	s_waitcnt vmcnt(5) lgkmcnt(0)
	v_mul_f64 v[32:33], v[22:23], v[50:51]
	v_mul_f64 v[50:51], v[24:25], v[50:51]
	v_add_f64 v[26:27], v[28:29], v[26:27]
	v_add_f64 v[28:29], v[52:53], v[58:59]
	v_fma_f64 v[52:53], v[4:5], v[34:35], v[56:57]
	v_fma_f64 v[34:35], v[2:3], v[34:35], -v[36:37]
	v_fma_f64 v[24:25], v[24:25], v[48:49], v[32:33]
	v_fma_f64 v[22:23], v[22:23], v[48:49], -v[50:51]
	v_add_f64 v[30:31], v[26:27], v[30:31]
	v_add_f64 v[36:37], v[28:29], v[54:55]
	ds_load_b128 v[2:5], v1 offset:1840
	ds_load_b128 v[26:29], v1 offset:1856
	s_waitcnt vmcnt(4) lgkmcnt(1)
	v_mul_f64 v[54:55], v[2:3], v[40:41]
	v_mul_f64 v[40:41], v[4:5], v[40:41]
	v_add_f64 v[30:31], v[30:31], v[34:35]
	v_add_f64 v[32:33], v[36:37], v[52:53]
	s_waitcnt vmcnt(3) lgkmcnt(0)
	v_mul_f64 v[34:35], v[26:27], v[8:9]
	v_mul_f64 v[8:9], v[28:29], v[8:9]
	v_fma_f64 v[36:37], v[4:5], v[38:39], v[54:55]
	v_fma_f64 v[38:39], v[2:3], v[38:39], -v[40:41]
	v_add_f64 v[30:31], v[30:31], v[22:23]
	v_add_f64 v[32:33], v[32:33], v[24:25]
	ds_load_b128 v[2:5], v1 offset:1872
	ds_load_b128 v[22:25], v1 offset:1888
	v_fma_f64 v[28:29], v[28:29], v[6:7], v[34:35]
	v_fma_f64 v[6:7], v[26:27], v[6:7], -v[8:9]
	s_waitcnt vmcnt(2) lgkmcnt(1)
	v_mul_f64 v[40:41], v[2:3], v[12:13]
	v_mul_f64 v[12:13], v[4:5], v[12:13]
	v_add_f64 v[8:9], v[30:31], v[38:39]
	v_add_f64 v[26:27], v[32:33], v[36:37]
	s_waitcnt vmcnt(1) lgkmcnt(0)
	v_mul_f64 v[30:31], v[22:23], v[16:17]
	v_mul_f64 v[16:17], v[24:25], v[16:17]
	v_fma_f64 v[32:33], v[4:5], v[10:11], v[40:41]
	v_fma_f64 v[10:11], v[2:3], v[10:11], -v[12:13]
	ds_load_b128 v[2:5], v1 offset:1904
	v_add_f64 v[6:7], v[8:9], v[6:7]
	v_add_f64 v[8:9], v[26:27], v[28:29]
	v_fma_f64 v[24:25], v[24:25], v[14:15], v[30:31]
	v_fma_f64 v[14:15], v[22:23], v[14:15], -v[16:17]
	s_waitcnt vmcnt(0) lgkmcnt(0)
	v_mul_f64 v[12:13], v[2:3], v[20:21]
	v_mul_f64 v[20:21], v[4:5], v[20:21]
	v_add_f64 v[6:7], v[6:7], v[10:11]
	v_add_f64 v[8:9], v[8:9], v[32:33]
	s_delay_alu instid0(VALU_DEP_4) | instskip(NEXT) | instid1(VALU_DEP_4)
	v_fma_f64 v[4:5], v[4:5], v[18:19], v[12:13]
	v_fma_f64 v[2:3], v[2:3], v[18:19], -v[20:21]
	s_delay_alu instid0(VALU_DEP_4) | instskip(NEXT) | instid1(VALU_DEP_4)
	v_add_f64 v[6:7], v[6:7], v[14:15]
	v_add_f64 v[8:9], v[8:9], v[24:25]
	s_delay_alu instid0(VALU_DEP_2) | instskip(NEXT) | instid1(VALU_DEP_2)
	v_add_f64 v[2:3], v[6:7], v[2:3]
	v_add_f64 v[4:5], v[8:9], v[4:5]
	s_delay_alu instid0(VALU_DEP_2) | instskip(NEXT) | instid1(VALU_DEP_2)
	v_add_f64 v[2:3], v[42:43], -v[2:3]
	v_add_f64 v[4:5], v[44:45], -v[4:5]
	scratch_store_b128 off, v[2:5], off offset:64
	v_cmpx_lt_u32_e32 3, v166
	s_cbranch_execz .LBB123_367
; %bb.366:
	scratch_load_b128 v[5:8], v206, off
	v_mov_b32_e32 v2, v1
	v_mov_b32_e32 v3, v1
	;; [unrolled: 1-line block ×3, first 2 shown]
	scratch_store_b128 off, v[1:4], off offset:48
	s_waitcnt vmcnt(0)
	ds_store_b128 v226, v[5:8]
.LBB123_367:
	s_or_b32 exec_lo, exec_lo, s2
	s_waitcnt lgkmcnt(0)
	s_waitcnt_vscnt null, 0x0
	s_barrier
	buffer_gl0_inv
	s_clause 0x8
	scratch_load_b128 v[2:5], off, off offset:64
	scratch_load_b128 v[6:9], off, off offset:80
	;; [unrolled: 1-line block ×9, first 2 shown]
	ds_load_b128 v[42:45], v1 offset:1024
	ds_load_b128 v[38:41], v1 offset:1040
	s_clause 0x1
	scratch_load_b128 v[48:51], off, off offset:48
	scratch_load_b128 v[176:179], off, off offset:208
	s_mov_b32 s2, exec_lo
	ds_load_b128 v[180:183], v1 offset:1072
	s_waitcnt vmcnt(10) lgkmcnt(2)
	v_mul_f64 v[52:53], v[44:45], v[4:5]
	v_mul_f64 v[4:5], v[42:43], v[4:5]
	s_waitcnt vmcnt(9) lgkmcnt(1)
	v_mul_f64 v[54:55], v[38:39], v[8:9]
	v_mul_f64 v[8:9], v[40:41], v[8:9]
	s_delay_alu instid0(VALU_DEP_4) | instskip(NEXT) | instid1(VALU_DEP_4)
	v_fma_f64 v[52:53], v[42:43], v[2:3], -v[52:53]
	v_fma_f64 v[56:57], v[44:45], v[2:3], v[4:5]
	ds_load_b128 v[2:5], v1 offset:1056
	scratch_load_b128 v[42:45], off, off offset:224
	v_fma_f64 v[40:41], v[40:41], v[6:7], v[54:55]
	v_fma_f64 v[38:39], v[38:39], v[6:7], -v[8:9]
	scratch_load_b128 v[6:9], off, off offset:240
	s_waitcnt vmcnt(10) lgkmcnt(0)
	v_mul_f64 v[58:59], v[2:3], v[12:13]
	v_mul_f64 v[12:13], v[4:5], v[12:13]
	v_add_f64 v[52:53], v[52:53], 0
	v_add_f64 v[54:55], v[56:57], 0
	s_waitcnt vmcnt(9)
	v_mul_f64 v[56:57], v[180:181], v[16:17]
	v_mul_f64 v[16:17], v[182:183], v[16:17]
	v_fma_f64 v[58:59], v[4:5], v[10:11], v[58:59]
	v_fma_f64 v[60:61], v[2:3], v[10:11], -v[12:13]
	ds_load_b128 v[2:5], v1 offset:1088
	scratch_load_b128 v[10:13], off, off offset:256
	v_add_f64 v[52:53], v[52:53], v[38:39]
	v_add_f64 v[54:55], v[54:55], v[40:41]
	ds_load_b128 v[38:41], v1 offset:1104
	v_fma_f64 v[56:57], v[182:183], v[14:15], v[56:57]
	v_fma_f64 v[64:65], v[180:181], v[14:15], -v[16:17]
	scratch_load_b128 v[14:17], off, off offset:272
	s_waitcnt vmcnt(10) lgkmcnt(1)
	v_mul_f64 v[62:63], v[2:3], v[20:21]
	v_mul_f64 v[20:21], v[4:5], v[20:21]
	ds_load_b128 v[180:183], v1 offset:1136
	v_add_f64 v[52:53], v[52:53], v[60:61]
	v_add_f64 v[54:55], v[54:55], v[58:59]
	s_waitcnt vmcnt(9) lgkmcnt(1)
	v_mul_f64 v[58:59], v[38:39], v[24:25]
	v_mul_f64 v[24:25], v[40:41], v[24:25]
	v_fma_f64 v[60:61], v[4:5], v[18:19], v[62:63]
	v_fma_f64 v[62:63], v[2:3], v[18:19], -v[20:21]
	ds_load_b128 v[2:5], v1 offset:1120
	scratch_load_b128 v[18:21], off, off offset:288
	v_add_f64 v[52:53], v[52:53], v[64:65]
	v_add_f64 v[54:55], v[54:55], v[56:57]
	s_waitcnt vmcnt(9) lgkmcnt(0)
	v_mul_f64 v[56:57], v[2:3], v[28:29]
	v_mul_f64 v[28:29], v[4:5], v[28:29]
	v_fma_f64 v[40:41], v[40:41], v[22:23], v[58:59]
	v_fma_f64 v[38:39], v[38:39], v[22:23], -v[24:25]
	scratch_load_b128 v[22:25], off, off offset:304
	s_waitcnt vmcnt(9)
	v_mul_f64 v[58:59], v[180:181], v[32:33]
	v_mul_f64 v[32:33], v[182:183], v[32:33]
	v_add_f64 v[52:53], v[52:53], v[62:63]
	v_add_f64 v[54:55], v[54:55], v[60:61]
	v_fma_f64 v[56:57], v[4:5], v[26:27], v[56:57]
	v_fma_f64 v[60:61], v[2:3], v[26:27], -v[28:29]
	ds_load_b128 v[2:5], v1 offset:1152
	scratch_load_b128 v[26:29], off, off offset:320
	v_fma_f64 v[58:59], v[182:183], v[30:31], v[58:59]
	v_fma_f64 v[64:65], v[180:181], v[30:31], -v[32:33]
	scratch_load_b128 v[30:33], off, off offset:336
	ds_load_b128 v[182:185], v1 offset:1232
	v_add_f64 v[52:53], v[52:53], v[38:39]
	v_add_f64 v[54:55], v[54:55], v[40:41]
	ds_load_b128 v[38:41], v1 offset:1168
	s_waitcnt vmcnt(10) lgkmcnt(2)
	v_mul_f64 v[62:63], v[2:3], v[36:37]
	v_mul_f64 v[36:37], v[4:5], v[36:37]
	v_add_f64 v[52:53], v[52:53], v[60:61]
	v_add_f64 v[54:55], v[54:55], v[56:57]
	s_waitcnt vmcnt(8) lgkmcnt(0)
	v_mul_f64 v[56:57], v[38:39], v[178:179]
	v_mul_f64 v[60:61], v[40:41], v[178:179]
	v_fma_f64 v[62:63], v[4:5], v[34:35], v[62:63]
	v_fma_f64 v[66:67], v[2:3], v[34:35], -v[36:37]
	ds_load_b128 v[2:5], v1 offset:1184
	ds_load_b128 v[178:181], v1 offset:1200
	scratch_load_b128 v[34:37], off, off offset:352
	v_add_f64 v[52:53], v[52:53], v[64:65]
	v_add_f64 v[54:55], v[54:55], v[58:59]
	v_fma_f64 v[56:57], v[40:41], v[176:177], v[56:57]
	v_fma_f64 v[60:61], v[38:39], v[176:177], -v[60:61]
	scratch_load_b128 v[38:41], off, off offset:368
	s_waitcnt vmcnt(9) lgkmcnt(1)
	v_mul_f64 v[58:59], v[2:3], v[44:45]
	v_mul_f64 v[44:45], v[4:5], v[44:45]
	v_add_f64 v[52:53], v[52:53], v[66:67]
	v_add_f64 v[54:55], v[54:55], v[62:63]
	s_waitcnt vmcnt(8) lgkmcnt(0)
	v_mul_f64 v[62:63], v[178:179], v[8:9]
	v_mul_f64 v[8:9], v[180:181], v[8:9]
	v_fma_f64 v[58:59], v[4:5], v[42:43], v[58:59]
	v_fma_f64 v[64:65], v[2:3], v[42:43], -v[44:45]
	ds_load_b128 v[2:5], v1 offset:1216
	scratch_load_b128 v[42:45], off, off offset:384
	v_add_f64 v[52:53], v[52:53], v[60:61]
	v_add_f64 v[54:55], v[54:55], v[56:57]
	v_fma_f64 v[60:61], v[180:181], v[6:7], v[62:63]
	s_waitcnt vmcnt(8) lgkmcnt(0)
	v_mul_f64 v[56:57], v[2:3], v[12:13]
	v_mul_f64 v[12:13], v[4:5], v[12:13]
	v_fma_f64 v[62:63], v[178:179], v[6:7], -v[8:9]
	scratch_load_b128 v[6:9], off, off offset:400
	ds_load_b128 v[176:179], v1 offset:1264
	v_add_f64 v[52:53], v[52:53], v[64:65]
	v_add_f64 v[54:55], v[54:55], v[58:59]
	s_waitcnt vmcnt(8)
	v_mul_f64 v[58:59], v[182:183], v[16:17]
	v_mul_f64 v[16:17], v[184:185], v[16:17]
	v_fma_f64 v[56:57], v[4:5], v[10:11], v[56:57]
	v_fma_f64 v[64:65], v[2:3], v[10:11], -v[12:13]
	ds_load_b128 v[2:5], v1 offset:1248
	scratch_load_b128 v[10:13], off, off offset:416
	v_add_f64 v[52:53], v[52:53], v[62:63]
	v_add_f64 v[54:55], v[54:55], v[60:61]
	s_waitcnt vmcnt(8) lgkmcnt(0)
	v_mul_f64 v[60:61], v[2:3], v[20:21]
	v_mul_f64 v[20:21], v[4:5], v[20:21]
	v_fma_f64 v[58:59], v[184:185], v[14:15], v[58:59]
	v_fma_f64 v[62:63], v[182:183], v[14:15], -v[16:17]
	scratch_load_b128 v[14:17], off, off offset:432
	ds_load_b128 v[180:183], v1 offset:1296
	v_add_f64 v[52:53], v[52:53], v[64:65]
	v_add_f64 v[54:55], v[54:55], v[56:57]
	s_waitcnt vmcnt(8)
	v_mul_f64 v[56:57], v[176:177], v[24:25]
	v_mul_f64 v[24:25], v[178:179], v[24:25]
	v_fma_f64 v[60:61], v[4:5], v[18:19], v[60:61]
	v_fma_f64 v[64:65], v[2:3], v[18:19], -v[20:21]
	ds_load_b128 v[2:5], v1 offset:1280
	scratch_load_b128 v[18:21], off, off offset:448
	v_add_f64 v[52:53], v[52:53], v[62:63]
	v_add_f64 v[54:55], v[54:55], v[58:59]
	s_waitcnt vmcnt(8) lgkmcnt(0)
	v_mul_f64 v[58:59], v[2:3], v[28:29]
	v_mul_f64 v[28:29], v[4:5], v[28:29]
	v_fma_f64 v[56:57], v[178:179], v[22:23], v[56:57]
	;; [unrolled: 18-line block ×17, first 2 shown]
	v_fma_f64 v[62:63], v[180:181], v[22:23], -v[24:25]
	scratch_load_b128 v[22:25], off, off offset:944
	v_add_f64 v[52:53], v[52:53], v[64:65]
	v_add_f64 v[54:55], v[54:55], v[60:61]
	s_waitcnt vmcnt(8)
	v_mul_f64 v[60:61], v[176:177], v[32:33]
	v_mul_f64 v[32:33], v[178:179], v[32:33]
	v_fma_f64 v[58:59], v[4:5], v[26:27], v[58:59]
	v_fma_f64 v[64:65], v[2:3], v[26:27], -v[28:29]
	ds_load_b128 v[2:5], v1 offset:1792
	ds_load_b128 v[26:29], v1 offset:1808
	v_add_f64 v[52:53], v[52:53], v[62:63]
	v_add_f64 v[54:55], v[54:55], v[56:57]
	s_waitcnt vmcnt(7) lgkmcnt(1)
	v_mul_f64 v[56:57], v[2:3], v[36:37]
	v_mul_f64 v[36:37], v[4:5], v[36:37]
	v_fma_f64 v[60:61], v[178:179], v[30:31], v[60:61]
	v_fma_f64 v[30:31], v[176:177], v[30:31], -v[32:33]
	v_add_f64 v[32:33], v[52:53], v[64:65]
	v_add_f64 v[52:53], v[54:55], v[58:59]
	s_waitcnt vmcnt(6) lgkmcnt(0)
	v_mul_f64 v[54:55], v[26:27], v[40:41]
	v_mul_f64 v[40:41], v[28:29], v[40:41]
	v_fma_f64 v[56:57], v[4:5], v[34:35], v[56:57]
	v_fma_f64 v[34:35], v[2:3], v[34:35], -v[36:37]
	v_add_f64 v[36:37], v[32:33], v[30:31]
	v_add_f64 v[52:53], v[52:53], v[60:61]
	ds_load_b128 v[2:5], v1 offset:1824
	ds_load_b128 v[30:33], v1 offset:1840
	v_fma_f64 v[28:29], v[28:29], v[38:39], v[54:55]
	v_fma_f64 v[26:27], v[26:27], v[38:39], -v[40:41]
	s_waitcnt vmcnt(5) lgkmcnt(1)
	v_mul_f64 v[58:59], v[2:3], v[44:45]
	v_mul_f64 v[44:45], v[4:5], v[44:45]
	s_waitcnt vmcnt(4) lgkmcnt(0)
	v_mul_f64 v[38:39], v[30:31], v[8:9]
	v_mul_f64 v[8:9], v[32:33], v[8:9]
	v_add_f64 v[34:35], v[36:37], v[34:35]
	v_add_f64 v[36:37], v[52:53], v[56:57]
	v_fma_f64 v[40:41], v[4:5], v[42:43], v[58:59]
	v_fma_f64 v[42:43], v[2:3], v[42:43], -v[44:45]
	v_fma_f64 v[32:33], v[32:33], v[6:7], v[38:39]
	v_fma_f64 v[6:7], v[30:31], v[6:7], -v[8:9]
	v_add_f64 v[34:35], v[34:35], v[26:27]
	v_add_f64 v[36:37], v[36:37], v[28:29]
	ds_load_b128 v[2:5], v1 offset:1856
	ds_load_b128 v[26:29], v1 offset:1872
	s_waitcnt vmcnt(3) lgkmcnt(1)
	v_mul_f64 v[44:45], v[2:3], v[12:13]
	v_mul_f64 v[12:13], v[4:5], v[12:13]
	v_add_f64 v[8:9], v[34:35], v[42:43]
	v_add_f64 v[30:31], v[36:37], v[40:41]
	s_waitcnt vmcnt(2) lgkmcnt(0)
	v_mul_f64 v[34:35], v[26:27], v[16:17]
	v_mul_f64 v[16:17], v[28:29], v[16:17]
	v_fma_f64 v[36:37], v[4:5], v[10:11], v[44:45]
	v_fma_f64 v[10:11], v[2:3], v[10:11], -v[12:13]
	v_add_f64 v[12:13], v[8:9], v[6:7]
	v_add_f64 v[30:31], v[30:31], v[32:33]
	ds_load_b128 v[2:5], v1 offset:1888
	ds_load_b128 v[6:9], v1 offset:1904
	v_fma_f64 v[28:29], v[28:29], v[14:15], v[34:35]
	v_fma_f64 v[14:15], v[26:27], v[14:15], -v[16:17]
	s_waitcnt vmcnt(1) lgkmcnt(1)
	v_mul_f64 v[32:33], v[2:3], v[20:21]
	v_mul_f64 v[20:21], v[4:5], v[20:21]
	s_waitcnt vmcnt(0) lgkmcnt(0)
	v_mul_f64 v[16:17], v[6:7], v[24:25]
	v_mul_f64 v[24:25], v[8:9], v[24:25]
	v_add_f64 v[10:11], v[12:13], v[10:11]
	v_add_f64 v[12:13], v[30:31], v[36:37]
	v_fma_f64 v[4:5], v[4:5], v[18:19], v[32:33]
	v_fma_f64 v[1:2], v[2:3], v[18:19], -v[20:21]
	v_fma_f64 v[8:9], v[8:9], v[22:23], v[16:17]
	v_fma_f64 v[6:7], v[6:7], v[22:23], -v[24:25]
	v_add_f64 v[10:11], v[10:11], v[14:15]
	v_add_f64 v[12:13], v[12:13], v[28:29]
	s_delay_alu instid0(VALU_DEP_2) | instskip(NEXT) | instid1(VALU_DEP_2)
	v_add_f64 v[1:2], v[10:11], v[1:2]
	v_add_f64 v[3:4], v[12:13], v[4:5]
	s_delay_alu instid0(VALU_DEP_2) | instskip(NEXT) | instid1(VALU_DEP_2)
	v_add_f64 v[1:2], v[1:2], v[6:7]
	v_add_f64 v[3:4], v[3:4], v[8:9]
	s_delay_alu instid0(VALU_DEP_2) | instskip(NEXT) | instid1(VALU_DEP_2)
	v_add_f64 v[1:2], v[48:49], -v[1:2]
	v_add_f64 v[3:4], v[50:51], -v[3:4]
	scratch_store_b128 off, v[1:4], off offset:48
	v_cmpx_lt_u32_e32 2, v166
	s_cbranch_execz .LBB123_369
; %bb.368:
	scratch_load_b128 v[1:4], v200, off
	v_mov_b32_e32 v5, 0
	s_delay_alu instid0(VALU_DEP_1)
	v_mov_b32_e32 v6, v5
	v_mov_b32_e32 v7, v5
	;; [unrolled: 1-line block ×3, first 2 shown]
	scratch_store_b128 off, v[5:8], off offset:32
	s_waitcnt vmcnt(0)
	ds_store_b128 v226, v[1:4]
.LBB123_369:
	s_or_b32 exec_lo, exec_lo, s2
	s_waitcnt lgkmcnt(0)
	s_waitcnt_vscnt null, 0x0
	s_barrier
	buffer_gl0_inv
	s_clause 0x7
	scratch_load_b128 v[2:5], off, off offset:48
	scratch_load_b128 v[6:9], off, off offset:64
	;; [unrolled: 1-line block ×8, first 2 shown]
	v_mov_b32_e32 v1, 0
	s_mov_b32 s2, exec_lo
	ds_load_b128 v[38:41], v1 offset:1008
	s_clause 0x1
	scratch_load_b128 v[34:37], off, off offset:176
	scratch_load_b128 v[42:45], off, off offset:32
	ds_load_b128 v[48:51], v1 offset:1024
	scratch_load_b128 v[176:179], off, off offset:192
	ds_load_b128 v[180:183], v1 offset:1056
	s_waitcnt vmcnt(10) lgkmcnt(2)
	v_mul_f64 v[52:53], v[40:41], v[4:5]
	v_mul_f64 v[4:5], v[38:39], v[4:5]
	s_delay_alu instid0(VALU_DEP_2) | instskip(NEXT) | instid1(VALU_DEP_2)
	v_fma_f64 v[52:53], v[38:39], v[2:3], -v[52:53]
	v_fma_f64 v[56:57], v[40:41], v[2:3], v[4:5]
	ds_load_b128 v[2:5], v1 offset:1040
	s_waitcnt vmcnt(9) lgkmcnt(2)
	v_mul_f64 v[54:55], v[48:49], v[8:9]
	v_mul_f64 v[8:9], v[50:51], v[8:9]
	scratch_load_b128 v[38:41], off, off offset:208
	s_waitcnt vmcnt(9) lgkmcnt(0)
	v_mul_f64 v[58:59], v[2:3], v[12:13]
	v_mul_f64 v[12:13], v[4:5], v[12:13]
	v_add_f64 v[52:53], v[52:53], 0
	v_fma_f64 v[50:51], v[50:51], v[6:7], v[54:55]
	v_fma_f64 v[48:49], v[48:49], v[6:7], -v[8:9]
	v_add_f64 v[54:55], v[56:57], 0
	scratch_load_b128 v[6:9], off, off offset:224
	v_fma_f64 v[58:59], v[4:5], v[10:11], v[58:59]
	v_fma_f64 v[60:61], v[2:3], v[10:11], -v[12:13]
	scratch_load_b128 v[10:13], off, off offset:240
	ds_load_b128 v[2:5], v1 offset:1072
	s_waitcnt vmcnt(10)
	v_mul_f64 v[56:57], v[180:181], v[16:17]
	v_mul_f64 v[16:17], v[182:183], v[16:17]
	v_add_f64 v[52:53], v[52:53], v[48:49]
	v_add_f64 v[54:55], v[54:55], v[50:51]
	ds_load_b128 v[48:51], v1 offset:1088
	s_waitcnt vmcnt(9) lgkmcnt(1)
	v_mul_f64 v[62:63], v[2:3], v[20:21]
	v_mul_f64 v[20:21], v[4:5], v[20:21]
	v_fma_f64 v[56:57], v[182:183], v[14:15], v[56:57]
	v_fma_f64 v[64:65], v[180:181], v[14:15], -v[16:17]
	scratch_load_b128 v[14:17], off, off offset:256
	ds_load_b128 v[180:183], v1 offset:1120
	v_add_f64 v[52:53], v[52:53], v[60:61]
	v_add_f64 v[54:55], v[54:55], v[58:59]
	v_fma_f64 v[60:61], v[4:5], v[18:19], v[62:63]
	v_fma_f64 v[62:63], v[2:3], v[18:19], -v[20:21]
	ds_load_b128 v[2:5], v1 offset:1104
	s_waitcnt vmcnt(9) lgkmcnt(2)
	v_mul_f64 v[58:59], v[48:49], v[24:25]
	v_mul_f64 v[24:25], v[50:51], v[24:25]
	scratch_load_b128 v[18:21], off, off offset:272
	v_add_f64 v[52:53], v[52:53], v[64:65]
	v_add_f64 v[54:55], v[54:55], v[56:57]
	s_waitcnt vmcnt(9) lgkmcnt(0)
	v_mul_f64 v[56:57], v[2:3], v[28:29]
	v_mul_f64 v[28:29], v[4:5], v[28:29]
	v_fma_f64 v[50:51], v[50:51], v[22:23], v[58:59]
	v_fma_f64 v[48:49], v[48:49], v[22:23], -v[24:25]
	scratch_load_b128 v[22:25], off, off offset:288
	v_add_f64 v[52:53], v[52:53], v[62:63]
	v_add_f64 v[54:55], v[54:55], v[60:61]
	v_fma_f64 v[56:57], v[4:5], v[26:27], v[56:57]
	v_fma_f64 v[60:61], v[2:3], v[26:27], -v[28:29]
	scratch_load_b128 v[26:29], off, off offset:304
	ds_load_b128 v[2:5], v1 offset:1136
	s_waitcnt vmcnt(10)
	v_mul_f64 v[58:59], v[180:181], v[32:33]
	v_mul_f64 v[32:33], v[182:183], v[32:33]
	s_waitcnt vmcnt(9) lgkmcnt(0)
	v_mul_f64 v[62:63], v[2:3], v[36:37]
	v_mul_f64 v[36:37], v[4:5], v[36:37]
	v_add_f64 v[52:53], v[52:53], v[48:49]
	v_add_f64 v[54:55], v[54:55], v[50:51]
	ds_load_b128 v[48:51], v1 offset:1152
	v_fma_f64 v[58:59], v[182:183], v[30:31], v[58:59]
	v_fma_f64 v[64:65], v[180:181], v[30:31], -v[32:33]
	scratch_load_b128 v[30:33], off, off offset:320
	ds_load_b128 v[182:185], v1 offset:1216
	v_fma_f64 v[62:63], v[4:5], v[34:35], v[62:63]
	v_fma_f64 v[66:67], v[2:3], v[34:35], -v[36:37]
	ds_load_b128 v[2:5], v1 offset:1168
	scratch_load_b128 v[34:37], off, off offset:336
	v_add_f64 v[52:53], v[52:53], v[60:61]
	v_add_f64 v[54:55], v[54:55], v[56:57]
	s_waitcnt vmcnt(9) lgkmcnt(2)
	v_mul_f64 v[56:57], v[48:49], v[178:179]
	v_mul_f64 v[60:61], v[50:51], v[178:179]
	ds_load_b128 v[178:181], v1 offset:1184
	v_add_f64 v[52:53], v[52:53], v[64:65]
	v_add_f64 v[54:55], v[54:55], v[58:59]
	v_fma_f64 v[56:57], v[50:51], v[176:177], v[56:57]
	v_fma_f64 v[60:61], v[48:49], v[176:177], -v[60:61]
	scratch_load_b128 v[48:51], off, off offset:352
	s_waitcnt vmcnt(9) lgkmcnt(1)
	v_mul_f64 v[58:59], v[2:3], v[40:41]
	v_mul_f64 v[40:41], v[4:5], v[40:41]
	v_add_f64 v[52:53], v[52:53], v[66:67]
	v_add_f64 v[54:55], v[54:55], v[62:63]
	s_delay_alu instid0(VALU_DEP_4) | instskip(NEXT) | instid1(VALU_DEP_4)
	v_fma_f64 v[58:59], v[4:5], v[38:39], v[58:59]
	v_fma_f64 v[64:65], v[2:3], v[38:39], -v[40:41]
	scratch_load_b128 v[38:41], off, off offset:368
	ds_load_b128 v[2:5], v1 offset:1200
	s_waitcnt vmcnt(9) lgkmcnt(1)
	v_mul_f64 v[62:63], v[178:179], v[8:9]
	v_mul_f64 v[8:9], v[180:181], v[8:9]
	v_add_f64 v[52:53], v[52:53], v[60:61]
	v_add_f64 v[54:55], v[54:55], v[56:57]
	s_waitcnt vmcnt(8) lgkmcnt(0)
	v_mul_f64 v[56:57], v[2:3], v[12:13]
	v_mul_f64 v[12:13], v[4:5], v[12:13]
	v_fma_f64 v[60:61], v[180:181], v[6:7], v[62:63]
	v_fma_f64 v[62:63], v[178:179], v[6:7], -v[8:9]
	scratch_load_b128 v[6:9], off, off offset:384
	ds_load_b128 v[176:179], v1 offset:1248
	v_add_f64 v[52:53], v[52:53], v[64:65]
	v_add_f64 v[54:55], v[54:55], v[58:59]
	v_fma_f64 v[56:57], v[4:5], v[10:11], v[56:57]
	v_fma_f64 v[64:65], v[2:3], v[10:11], -v[12:13]
	ds_load_b128 v[2:5], v1 offset:1232
	s_waitcnt vmcnt(8)
	v_mul_f64 v[58:59], v[182:183], v[16:17]
	v_mul_f64 v[16:17], v[184:185], v[16:17]
	scratch_load_b128 v[10:13], off, off offset:400
	v_add_f64 v[52:53], v[52:53], v[62:63]
	v_add_f64 v[54:55], v[54:55], v[60:61]
	s_waitcnt vmcnt(8) lgkmcnt(0)
	v_mul_f64 v[60:61], v[2:3], v[20:21]
	v_mul_f64 v[20:21], v[4:5], v[20:21]
	v_fma_f64 v[58:59], v[184:185], v[14:15], v[58:59]
	v_fma_f64 v[62:63], v[182:183], v[14:15], -v[16:17]
	scratch_load_b128 v[14:17], off, off offset:416
	ds_load_b128 v[180:183], v1 offset:1280
	v_add_f64 v[52:53], v[52:53], v[64:65]
	v_add_f64 v[54:55], v[54:55], v[56:57]
	v_fma_f64 v[60:61], v[4:5], v[18:19], v[60:61]
	v_fma_f64 v[64:65], v[2:3], v[18:19], -v[20:21]
	ds_load_b128 v[2:5], v1 offset:1264
	s_waitcnt vmcnt(8)
	v_mul_f64 v[56:57], v[176:177], v[24:25]
	v_mul_f64 v[24:25], v[178:179], v[24:25]
	scratch_load_b128 v[18:21], off, off offset:432
	;; [unrolled: 18-line block ×17, first 2 shown]
	v_add_f64 v[52:53], v[52:53], v[62:63]
	v_add_f64 v[54:55], v[54:55], v[58:59]
	s_waitcnt vmcnt(8) lgkmcnt(0)
	v_mul_f64 v[58:59], v[2:3], v[28:29]
	v_mul_f64 v[28:29], v[4:5], v[28:29]
	v_fma_f64 v[56:57], v[182:183], v[22:23], v[56:57]
	v_fma_f64 v[62:63], v[180:181], v[22:23], -v[24:25]
	scratch_load_b128 v[22:25], off, off offset:928
	ds_load_b128 v[180:183], v1 offset:1792
	v_add_f64 v[52:53], v[52:53], v[64:65]
	v_add_f64 v[54:55], v[54:55], v[60:61]
	v_fma_f64 v[58:59], v[4:5], v[26:27], v[58:59]
	v_fma_f64 v[64:65], v[2:3], v[26:27], -v[28:29]
	scratch_load_b128 v[26:29], off, off offset:944
	ds_load_b128 v[2:5], v1 offset:1776
	s_waitcnt vmcnt(9)
	v_mul_f64 v[60:61], v[176:177], v[32:33]
	v_mul_f64 v[32:33], v[178:179], v[32:33]
	v_add_f64 v[52:53], v[52:53], v[62:63]
	v_add_f64 v[54:55], v[54:55], v[56:57]
	s_waitcnt vmcnt(8) lgkmcnt(0)
	v_mul_f64 v[56:57], v[2:3], v[36:37]
	v_mul_f64 v[36:37], v[4:5], v[36:37]
	v_fma_f64 v[60:61], v[178:179], v[30:31], v[60:61]
	v_fma_f64 v[30:31], v[176:177], v[30:31], -v[32:33]
	v_add_f64 v[32:33], v[52:53], v[64:65]
	v_add_f64 v[52:53], v[54:55], v[58:59]
	s_waitcnt vmcnt(7)
	v_mul_f64 v[54:55], v[180:181], v[50:51]
	v_mul_f64 v[50:51], v[182:183], v[50:51]
	v_fma_f64 v[56:57], v[4:5], v[34:35], v[56:57]
	v_fma_f64 v[34:35], v[2:3], v[34:35], -v[36:37]
	v_add_f64 v[36:37], v[32:33], v[30:31]
	v_add_f64 v[52:53], v[52:53], v[60:61]
	ds_load_b128 v[2:5], v1 offset:1808
	ds_load_b128 v[30:33], v1 offset:1824
	v_fma_f64 v[54:55], v[182:183], v[48:49], v[54:55]
	v_fma_f64 v[48:49], v[180:181], v[48:49], -v[50:51]
	s_waitcnt vmcnt(6) lgkmcnt(1)
	v_mul_f64 v[58:59], v[2:3], v[40:41]
	v_mul_f64 v[40:41], v[4:5], v[40:41]
	s_waitcnt vmcnt(5) lgkmcnt(0)
	v_mul_f64 v[50:51], v[30:31], v[8:9]
	v_mul_f64 v[8:9], v[32:33], v[8:9]
	v_add_f64 v[34:35], v[36:37], v[34:35]
	v_add_f64 v[36:37], v[52:53], v[56:57]
	v_fma_f64 v[52:53], v[4:5], v[38:39], v[58:59]
	v_fma_f64 v[38:39], v[2:3], v[38:39], -v[40:41]
	v_fma_f64 v[32:33], v[32:33], v[6:7], v[50:51]
	v_fma_f64 v[6:7], v[30:31], v[6:7], -v[8:9]
	v_add_f64 v[40:41], v[34:35], v[48:49]
	v_add_f64 v[48:49], v[36:37], v[54:55]
	ds_load_b128 v[2:5], v1 offset:1840
	ds_load_b128 v[34:37], v1 offset:1856
	s_waitcnt vmcnt(4) lgkmcnt(1)
	v_mul_f64 v[54:55], v[2:3], v[12:13]
	v_mul_f64 v[12:13], v[4:5], v[12:13]
	v_add_f64 v[8:9], v[40:41], v[38:39]
	v_add_f64 v[30:31], v[48:49], v[52:53]
	s_waitcnt vmcnt(3) lgkmcnt(0)
	v_mul_f64 v[38:39], v[34:35], v[16:17]
	v_mul_f64 v[16:17], v[36:37], v[16:17]
	v_fma_f64 v[40:41], v[4:5], v[10:11], v[54:55]
	v_fma_f64 v[10:11], v[2:3], v[10:11], -v[12:13]
	v_add_f64 v[12:13], v[8:9], v[6:7]
	v_add_f64 v[30:31], v[30:31], v[32:33]
	ds_load_b128 v[2:5], v1 offset:1872
	ds_load_b128 v[6:9], v1 offset:1888
	v_fma_f64 v[36:37], v[36:37], v[14:15], v[38:39]
	v_fma_f64 v[14:15], v[34:35], v[14:15], -v[16:17]
	s_waitcnt vmcnt(2) lgkmcnt(1)
	v_mul_f64 v[32:33], v[2:3], v[20:21]
	v_mul_f64 v[20:21], v[4:5], v[20:21]
	s_waitcnt vmcnt(1) lgkmcnt(0)
	v_mul_f64 v[16:17], v[6:7], v[24:25]
	v_mul_f64 v[24:25], v[8:9], v[24:25]
	v_add_f64 v[10:11], v[12:13], v[10:11]
	v_add_f64 v[12:13], v[30:31], v[40:41]
	v_fma_f64 v[30:31], v[4:5], v[18:19], v[32:33]
	v_fma_f64 v[18:19], v[2:3], v[18:19], -v[20:21]
	ds_load_b128 v[2:5], v1 offset:1904
	v_fma_f64 v[8:9], v[8:9], v[22:23], v[16:17]
	v_fma_f64 v[6:7], v[6:7], v[22:23], -v[24:25]
	v_add_f64 v[10:11], v[10:11], v[14:15]
	v_add_f64 v[12:13], v[12:13], v[36:37]
	s_waitcnt vmcnt(0) lgkmcnt(0)
	v_mul_f64 v[14:15], v[2:3], v[28:29]
	v_mul_f64 v[20:21], v[4:5], v[28:29]
	s_delay_alu instid0(VALU_DEP_4) | instskip(NEXT) | instid1(VALU_DEP_4)
	v_add_f64 v[10:11], v[10:11], v[18:19]
	v_add_f64 v[12:13], v[12:13], v[30:31]
	s_delay_alu instid0(VALU_DEP_4) | instskip(NEXT) | instid1(VALU_DEP_4)
	v_fma_f64 v[4:5], v[4:5], v[26:27], v[14:15]
	v_fma_f64 v[2:3], v[2:3], v[26:27], -v[20:21]
	s_delay_alu instid0(VALU_DEP_4) | instskip(NEXT) | instid1(VALU_DEP_4)
	v_add_f64 v[6:7], v[10:11], v[6:7]
	v_add_f64 v[8:9], v[12:13], v[8:9]
	s_delay_alu instid0(VALU_DEP_2) | instskip(NEXT) | instid1(VALU_DEP_2)
	v_add_f64 v[2:3], v[6:7], v[2:3]
	v_add_f64 v[4:5], v[8:9], v[4:5]
	s_delay_alu instid0(VALU_DEP_2) | instskip(NEXT) | instid1(VALU_DEP_2)
	v_add_f64 v[2:3], v[42:43], -v[2:3]
	v_add_f64 v[4:5], v[44:45], -v[4:5]
	scratch_store_b128 off, v[2:5], off offset:32
	v_cmpx_lt_u32_e32 1, v166
	s_cbranch_execz .LBB123_371
; %bb.370:
	scratch_load_b128 v[5:8], v225, off
	v_mov_b32_e32 v2, v1
	v_mov_b32_e32 v3, v1
	;; [unrolled: 1-line block ×3, first 2 shown]
	scratch_store_b128 off, v[1:4], off offset:16
	s_waitcnt vmcnt(0)
	ds_store_b128 v226, v[5:8]
.LBB123_371:
	s_or_b32 exec_lo, exec_lo, s2
	s_waitcnt lgkmcnt(0)
	s_waitcnt_vscnt null, 0x0
	s_barrier
	buffer_gl0_inv
	s_clause 0x8
	scratch_load_b128 v[2:5], off, off offset:32
	scratch_load_b128 v[6:9], off, off offset:48
	;; [unrolled: 1-line block ×9, first 2 shown]
	ds_load_b128 v[42:45], v1 offset:992
	ds_load_b128 v[38:41], v1 offset:1008
	s_clause 0x1
	scratch_load_b128 v[48:51], off, off offset:16
	scratch_load_b128 v[176:179], off, off offset:176
	s_mov_b32 s2, exec_lo
	ds_load_b128 v[180:183], v1 offset:1040
	s_waitcnt vmcnt(10) lgkmcnt(2)
	v_mul_f64 v[52:53], v[44:45], v[4:5]
	v_mul_f64 v[4:5], v[42:43], v[4:5]
	s_waitcnt vmcnt(9) lgkmcnt(1)
	v_mul_f64 v[54:55], v[38:39], v[8:9]
	v_mul_f64 v[8:9], v[40:41], v[8:9]
	s_delay_alu instid0(VALU_DEP_4) | instskip(NEXT) | instid1(VALU_DEP_4)
	v_fma_f64 v[52:53], v[42:43], v[2:3], -v[52:53]
	v_fma_f64 v[56:57], v[44:45], v[2:3], v[4:5]
	ds_load_b128 v[2:5], v1 offset:1024
	scratch_load_b128 v[42:45], off, off offset:192
	v_fma_f64 v[40:41], v[40:41], v[6:7], v[54:55]
	v_fma_f64 v[38:39], v[38:39], v[6:7], -v[8:9]
	scratch_load_b128 v[6:9], off, off offset:208
	s_waitcnt vmcnt(10) lgkmcnt(0)
	v_mul_f64 v[58:59], v[2:3], v[12:13]
	v_mul_f64 v[12:13], v[4:5], v[12:13]
	v_add_f64 v[52:53], v[52:53], 0
	v_add_f64 v[54:55], v[56:57], 0
	s_waitcnt vmcnt(9)
	v_mul_f64 v[56:57], v[180:181], v[16:17]
	v_mul_f64 v[16:17], v[182:183], v[16:17]
	v_fma_f64 v[58:59], v[4:5], v[10:11], v[58:59]
	v_fma_f64 v[60:61], v[2:3], v[10:11], -v[12:13]
	ds_load_b128 v[2:5], v1 offset:1056
	scratch_load_b128 v[10:13], off, off offset:224
	v_add_f64 v[52:53], v[52:53], v[38:39]
	v_add_f64 v[54:55], v[54:55], v[40:41]
	ds_load_b128 v[38:41], v1 offset:1072
	v_fma_f64 v[56:57], v[182:183], v[14:15], v[56:57]
	v_fma_f64 v[64:65], v[180:181], v[14:15], -v[16:17]
	scratch_load_b128 v[14:17], off, off offset:240
	s_waitcnt vmcnt(10) lgkmcnt(1)
	v_mul_f64 v[62:63], v[2:3], v[20:21]
	v_mul_f64 v[20:21], v[4:5], v[20:21]
	ds_load_b128 v[180:183], v1 offset:1104
	v_add_f64 v[52:53], v[52:53], v[60:61]
	v_add_f64 v[54:55], v[54:55], v[58:59]
	s_waitcnt vmcnt(9) lgkmcnt(1)
	v_mul_f64 v[58:59], v[38:39], v[24:25]
	v_mul_f64 v[24:25], v[40:41], v[24:25]
	v_fma_f64 v[60:61], v[4:5], v[18:19], v[62:63]
	v_fma_f64 v[62:63], v[2:3], v[18:19], -v[20:21]
	ds_load_b128 v[2:5], v1 offset:1088
	scratch_load_b128 v[18:21], off, off offset:256
	v_add_f64 v[52:53], v[52:53], v[64:65]
	v_add_f64 v[54:55], v[54:55], v[56:57]
	s_waitcnt vmcnt(9) lgkmcnt(0)
	v_mul_f64 v[56:57], v[2:3], v[28:29]
	v_mul_f64 v[28:29], v[4:5], v[28:29]
	v_fma_f64 v[40:41], v[40:41], v[22:23], v[58:59]
	v_fma_f64 v[38:39], v[38:39], v[22:23], -v[24:25]
	scratch_load_b128 v[22:25], off, off offset:272
	s_waitcnt vmcnt(9)
	v_mul_f64 v[58:59], v[180:181], v[32:33]
	v_mul_f64 v[32:33], v[182:183], v[32:33]
	v_add_f64 v[52:53], v[52:53], v[62:63]
	v_add_f64 v[54:55], v[54:55], v[60:61]
	v_fma_f64 v[56:57], v[4:5], v[26:27], v[56:57]
	v_fma_f64 v[60:61], v[2:3], v[26:27], -v[28:29]
	ds_load_b128 v[2:5], v1 offset:1120
	scratch_load_b128 v[26:29], off, off offset:288
	v_fma_f64 v[58:59], v[182:183], v[30:31], v[58:59]
	v_fma_f64 v[64:65], v[180:181], v[30:31], -v[32:33]
	scratch_load_b128 v[30:33], off, off offset:304
	ds_load_b128 v[182:185], v1 offset:1200
	v_add_f64 v[52:53], v[52:53], v[38:39]
	v_add_f64 v[54:55], v[54:55], v[40:41]
	ds_load_b128 v[38:41], v1 offset:1136
	s_waitcnt vmcnt(10) lgkmcnt(2)
	v_mul_f64 v[62:63], v[2:3], v[36:37]
	v_mul_f64 v[36:37], v[4:5], v[36:37]
	v_add_f64 v[52:53], v[52:53], v[60:61]
	v_add_f64 v[54:55], v[54:55], v[56:57]
	s_waitcnt vmcnt(8) lgkmcnt(0)
	v_mul_f64 v[56:57], v[38:39], v[178:179]
	v_mul_f64 v[60:61], v[40:41], v[178:179]
	v_fma_f64 v[62:63], v[4:5], v[34:35], v[62:63]
	v_fma_f64 v[66:67], v[2:3], v[34:35], -v[36:37]
	ds_load_b128 v[2:5], v1 offset:1152
	ds_load_b128 v[178:181], v1 offset:1168
	scratch_load_b128 v[34:37], off, off offset:320
	v_add_f64 v[52:53], v[52:53], v[64:65]
	v_add_f64 v[54:55], v[54:55], v[58:59]
	v_fma_f64 v[56:57], v[40:41], v[176:177], v[56:57]
	v_fma_f64 v[60:61], v[38:39], v[176:177], -v[60:61]
	scratch_load_b128 v[38:41], off, off offset:336
	s_waitcnt vmcnt(9) lgkmcnt(1)
	v_mul_f64 v[58:59], v[2:3], v[44:45]
	v_mul_f64 v[44:45], v[4:5], v[44:45]
	v_add_f64 v[52:53], v[52:53], v[66:67]
	v_add_f64 v[54:55], v[54:55], v[62:63]
	s_waitcnt vmcnt(8) lgkmcnt(0)
	v_mul_f64 v[62:63], v[178:179], v[8:9]
	v_mul_f64 v[8:9], v[180:181], v[8:9]
	v_fma_f64 v[58:59], v[4:5], v[42:43], v[58:59]
	v_fma_f64 v[64:65], v[2:3], v[42:43], -v[44:45]
	ds_load_b128 v[2:5], v1 offset:1184
	scratch_load_b128 v[42:45], off, off offset:352
	v_add_f64 v[52:53], v[52:53], v[60:61]
	v_add_f64 v[54:55], v[54:55], v[56:57]
	v_fma_f64 v[60:61], v[180:181], v[6:7], v[62:63]
	s_waitcnt vmcnt(8) lgkmcnt(0)
	v_mul_f64 v[56:57], v[2:3], v[12:13]
	v_mul_f64 v[12:13], v[4:5], v[12:13]
	v_fma_f64 v[62:63], v[178:179], v[6:7], -v[8:9]
	scratch_load_b128 v[6:9], off, off offset:368
	ds_load_b128 v[176:179], v1 offset:1232
	v_add_f64 v[52:53], v[52:53], v[64:65]
	v_add_f64 v[54:55], v[54:55], v[58:59]
	s_waitcnt vmcnt(8)
	v_mul_f64 v[58:59], v[182:183], v[16:17]
	v_mul_f64 v[16:17], v[184:185], v[16:17]
	v_fma_f64 v[56:57], v[4:5], v[10:11], v[56:57]
	v_fma_f64 v[64:65], v[2:3], v[10:11], -v[12:13]
	ds_load_b128 v[2:5], v1 offset:1216
	scratch_load_b128 v[10:13], off, off offset:384
	v_add_f64 v[52:53], v[52:53], v[62:63]
	v_add_f64 v[54:55], v[54:55], v[60:61]
	s_waitcnt vmcnt(8) lgkmcnt(0)
	v_mul_f64 v[60:61], v[2:3], v[20:21]
	v_mul_f64 v[20:21], v[4:5], v[20:21]
	v_fma_f64 v[58:59], v[184:185], v[14:15], v[58:59]
	v_fma_f64 v[62:63], v[182:183], v[14:15], -v[16:17]
	scratch_load_b128 v[14:17], off, off offset:400
	ds_load_b128 v[180:183], v1 offset:1264
	v_add_f64 v[52:53], v[52:53], v[64:65]
	v_add_f64 v[54:55], v[54:55], v[56:57]
	s_waitcnt vmcnt(8)
	v_mul_f64 v[56:57], v[176:177], v[24:25]
	v_mul_f64 v[24:25], v[178:179], v[24:25]
	v_fma_f64 v[60:61], v[4:5], v[18:19], v[60:61]
	v_fma_f64 v[64:65], v[2:3], v[18:19], -v[20:21]
	ds_load_b128 v[2:5], v1 offset:1248
	scratch_load_b128 v[18:21], off, off offset:416
	v_add_f64 v[52:53], v[52:53], v[62:63]
	v_add_f64 v[54:55], v[54:55], v[58:59]
	s_waitcnt vmcnt(8) lgkmcnt(0)
	v_mul_f64 v[58:59], v[2:3], v[28:29]
	v_mul_f64 v[28:29], v[4:5], v[28:29]
	v_fma_f64 v[56:57], v[178:179], v[22:23], v[56:57]
	;; [unrolled: 18-line block ×18, first 2 shown]
	v_fma_f64 v[62:63], v[176:177], v[30:31], -v[32:33]
	scratch_load_b128 v[30:33], off, off offset:944
	v_add_f64 v[52:53], v[52:53], v[64:65]
	v_add_f64 v[54:55], v[54:55], v[58:59]
	s_waitcnt vmcnt(8)
	v_mul_f64 v[58:59], v[180:181], v[40:41]
	v_mul_f64 v[40:41], v[182:183], v[40:41]
	v_fma_f64 v[56:57], v[4:5], v[34:35], v[56:57]
	v_fma_f64 v[64:65], v[2:3], v[34:35], -v[36:37]
	ds_load_b128 v[2:5], v1 offset:1792
	ds_load_b128 v[34:37], v1 offset:1808
	v_add_f64 v[52:53], v[52:53], v[62:63]
	v_add_f64 v[54:55], v[54:55], v[60:61]
	s_waitcnt vmcnt(7) lgkmcnt(1)
	v_mul_f64 v[60:61], v[2:3], v[44:45]
	v_mul_f64 v[44:45], v[4:5], v[44:45]
	v_fma_f64 v[58:59], v[182:183], v[38:39], v[58:59]
	v_fma_f64 v[38:39], v[180:181], v[38:39], -v[40:41]
	v_add_f64 v[40:41], v[52:53], v[64:65]
	v_add_f64 v[52:53], v[54:55], v[56:57]
	s_waitcnt vmcnt(6) lgkmcnt(0)
	v_mul_f64 v[54:55], v[34:35], v[8:9]
	v_mul_f64 v[8:9], v[36:37], v[8:9]
	v_fma_f64 v[56:57], v[4:5], v[42:43], v[60:61]
	v_fma_f64 v[42:43], v[2:3], v[42:43], -v[44:45]
	v_add_f64 v[44:45], v[40:41], v[38:39]
	v_add_f64 v[52:53], v[52:53], v[58:59]
	ds_load_b128 v[2:5], v1 offset:1824
	ds_load_b128 v[38:41], v1 offset:1840
	v_fma_f64 v[36:37], v[36:37], v[6:7], v[54:55]
	v_fma_f64 v[6:7], v[34:35], v[6:7], -v[8:9]
	s_waitcnt vmcnt(5) lgkmcnt(1)
	v_mul_f64 v[58:59], v[2:3], v[12:13]
	v_mul_f64 v[12:13], v[4:5], v[12:13]
	v_add_f64 v[8:9], v[44:45], v[42:43]
	v_add_f64 v[34:35], v[52:53], v[56:57]
	s_waitcnt vmcnt(4) lgkmcnt(0)
	v_mul_f64 v[42:43], v[38:39], v[16:17]
	v_mul_f64 v[16:17], v[40:41], v[16:17]
	v_fma_f64 v[44:45], v[4:5], v[10:11], v[58:59]
	v_fma_f64 v[10:11], v[2:3], v[10:11], -v[12:13]
	v_add_f64 v[12:13], v[8:9], v[6:7]
	v_add_f64 v[34:35], v[34:35], v[36:37]
	ds_load_b128 v[2:5], v1 offset:1856
	ds_load_b128 v[6:9], v1 offset:1872
	v_fma_f64 v[40:41], v[40:41], v[14:15], v[42:43]
	v_fma_f64 v[14:15], v[38:39], v[14:15], -v[16:17]
	s_waitcnt vmcnt(3) lgkmcnt(1)
	v_mul_f64 v[36:37], v[2:3], v[20:21]
	v_mul_f64 v[20:21], v[4:5], v[20:21]
	s_waitcnt vmcnt(2) lgkmcnt(0)
	v_mul_f64 v[16:17], v[6:7], v[24:25]
	v_mul_f64 v[24:25], v[8:9], v[24:25]
	v_add_f64 v[10:11], v[12:13], v[10:11]
	v_add_f64 v[12:13], v[34:35], v[44:45]
	v_fma_f64 v[34:35], v[4:5], v[18:19], v[36:37]
	v_fma_f64 v[18:19], v[2:3], v[18:19], -v[20:21]
	v_fma_f64 v[8:9], v[8:9], v[22:23], v[16:17]
	v_fma_f64 v[6:7], v[6:7], v[22:23], -v[24:25]
	v_add_f64 v[14:15], v[10:11], v[14:15]
	v_add_f64 v[20:21], v[12:13], v[40:41]
	ds_load_b128 v[2:5], v1 offset:1888
	ds_load_b128 v[10:13], v1 offset:1904
	s_waitcnt vmcnt(1) lgkmcnt(1)
	v_mul_f64 v[36:37], v[2:3], v[28:29]
	v_mul_f64 v[28:29], v[4:5], v[28:29]
	v_add_f64 v[14:15], v[14:15], v[18:19]
	v_add_f64 v[16:17], v[20:21], v[34:35]
	s_waitcnt vmcnt(0) lgkmcnt(0)
	v_mul_f64 v[18:19], v[10:11], v[32:33]
	v_mul_f64 v[20:21], v[12:13], v[32:33]
	v_fma_f64 v[4:5], v[4:5], v[26:27], v[36:37]
	v_fma_f64 v[1:2], v[2:3], v[26:27], -v[28:29]
	v_add_f64 v[6:7], v[14:15], v[6:7]
	v_add_f64 v[8:9], v[16:17], v[8:9]
	v_fma_f64 v[12:13], v[12:13], v[30:31], v[18:19]
	v_fma_f64 v[10:11], v[10:11], v[30:31], -v[20:21]
	s_delay_alu instid0(VALU_DEP_4) | instskip(NEXT) | instid1(VALU_DEP_4)
	v_add_f64 v[1:2], v[6:7], v[1:2]
	v_add_f64 v[3:4], v[8:9], v[4:5]
	s_delay_alu instid0(VALU_DEP_2) | instskip(NEXT) | instid1(VALU_DEP_2)
	v_add_f64 v[1:2], v[1:2], v[10:11]
	v_add_f64 v[3:4], v[3:4], v[12:13]
	s_delay_alu instid0(VALU_DEP_2) | instskip(NEXT) | instid1(VALU_DEP_2)
	v_add_f64 v[1:2], v[48:49], -v[1:2]
	v_add_f64 v[3:4], v[50:51], -v[3:4]
	scratch_store_b128 off, v[1:4], off offset:16
	v_cmpx_ne_u32_e32 0, v166
	s_cbranch_execz .LBB123_373
; %bb.372:
	scratch_load_b128 v[1:4], off, off
	v_mov_b32_e32 v5, 0
	s_delay_alu instid0(VALU_DEP_1)
	v_mov_b32_e32 v6, v5
	v_mov_b32_e32 v7, v5
	;; [unrolled: 1-line block ×3, first 2 shown]
	scratch_store_b128 off, v[5:8], off
	s_waitcnt vmcnt(0)
	ds_store_b128 v226, v[1:4]
.LBB123_373:
	s_or_b32 exec_lo, exec_lo, s2
	s_waitcnt lgkmcnt(0)
	s_waitcnt_vscnt null, 0x0
	s_barrier
	buffer_gl0_inv
	s_clause 0x7
	scratch_load_b128 v[1:4], off, off offset:16
	scratch_load_b128 v[5:8], off, off offset:32
	;; [unrolled: 1-line block ×8, first 2 shown]
	v_mov_b32_e32 v41, 0
	v_mov_b32_e32 v167, v223
	s_and_b32 vcc_lo, exec_lo, s14
	ds_load_b128 v[37:40], v41 offset:976
	s_clause 0x1
	scratch_load_b128 v[33:36], off, off offset:144
	scratch_load_b128 v[42:45], off, off
	ds_load_b128 v[48:51], v41 offset:992
	scratch_load_b128 v[176:179], off, off offset:160
	ds_load_b128 v[180:183], v41 offset:1024
	s_waitcnt vmcnt(10) lgkmcnt(2)
	v_mul_f64 v[52:53], v[39:40], v[3:4]
	v_mul_f64 v[3:4], v[37:38], v[3:4]
	s_delay_alu instid0(VALU_DEP_2) | instskip(NEXT) | instid1(VALU_DEP_2)
	v_fma_f64 v[52:53], v[37:38], v[1:2], -v[52:53]
	v_fma_f64 v[56:57], v[39:40], v[1:2], v[3:4]
	ds_load_b128 v[1:4], v41 offset:1008
	s_waitcnt vmcnt(9) lgkmcnt(2)
	v_mul_f64 v[54:55], v[48:49], v[7:8]
	v_mul_f64 v[7:8], v[50:51], v[7:8]
	scratch_load_b128 v[37:40], off, off offset:176
	s_waitcnt vmcnt(9) lgkmcnt(0)
	v_mul_f64 v[58:59], v[1:2], v[11:12]
	v_mul_f64 v[11:12], v[3:4], v[11:12]
	v_add_f64 v[52:53], v[52:53], 0
	v_fma_f64 v[50:51], v[50:51], v[5:6], v[54:55]
	v_fma_f64 v[48:49], v[48:49], v[5:6], -v[7:8]
	v_add_f64 v[54:55], v[56:57], 0
	scratch_load_b128 v[5:8], off, off offset:192
	v_fma_f64 v[58:59], v[3:4], v[9:10], v[58:59]
	v_fma_f64 v[60:61], v[1:2], v[9:10], -v[11:12]
	scratch_load_b128 v[9:12], off, off offset:208
	ds_load_b128 v[1:4], v41 offset:1040
	s_waitcnt vmcnt(10)
	v_mul_f64 v[56:57], v[180:181], v[15:16]
	v_mul_f64 v[15:16], v[182:183], v[15:16]
	v_add_f64 v[52:53], v[52:53], v[48:49]
	v_add_f64 v[54:55], v[54:55], v[50:51]
	ds_load_b128 v[48:51], v41 offset:1056
	s_waitcnt vmcnt(9) lgkmcnt(1)
	v_mul_f64 v[62:63], v[1:2], v[19:20]
	v_mul_f64 v[19:20], v[3:4], v[19:20]
	v_fma_f64 v[56:57], v[182:183], v[13:14], v[56:57]
	v_fma_f64 v[64:65], v[180:181], v[13:14], -v[15:16]
	scratch_load_b128 v[13:16], off, off offset:224
	ds_load_b128 v[180:183], v41 offset:1088
	v_add_f64 v[52:53], v[52:53], v[60:61]
	v_add_f64 v[54:55], v[54:55], v[58:59]
	v_fma_f64 v[60:61], v[3:4], v[17:18], v[62:63]
	v_fma_f64 v[62:63], v[1:2], v[17:18], -v[19:20]
	ds_load_b128 v[1:4], v41 offset:1072
	s_waitcnt vmcnt(9) lgkmcnt(2)
	v_mul_f64 v[58:59], v[48:49], v[23:24]
	v_mul_f64 v[23:24], v[50:51], v[23:24]
	scratch_load_b128 v[17:20], off, off offset:240
	v_add_f64 v[52:53], v[52:53], v[64:65]
	v_add_f64 v[54:55], v[54:55], v[56:57]
	s_waitcnt vmcnt(9) lgkmcnt(0)
	v_mul_f64 v[56:57], v[1:2], v[27:28]
	v_mul_f64 v[27:28], v[3:4], v[27:28]
	v_fma_f64 v[50:51], v[50:51], v[21:22], v[58:59]
	v_fma_f64 v[48:49], v[48:49], v[21:22], -v[23:24]
	scratch_load_b128 v[21:24], off, off offset:256
	v_add_f64 v[52:53], v[52:53], v[62:63]
	v_add_f64 v[54:55], v[54:55], v[60:61]
	v_fma_f64 v[56:57], v[3:4], v[25:26], v[56:57]
	v_fma_f64 v[60:61], v[1:2], v[25:26], -v[27:28]
	scratch_load_b128 v[25:28], off, off offset:272
	ds_load_b128 v[1:4], v41 offset:1104
	s_waitcnt vmcnt(10)
	v_mul_f64 v[58:59], v[180:181], v[31:32]
	v_mul_f64 v[31:32], v[182:183], v[31:32]
	s_waitcnt vmcnt(9) lgkmcnt(0)
	v_mul_f64 v[62:63], v[1:2], v[35:36]
	v_mul_f64 v[35:36], v[3:4], v[35:36]
	v_add_f64 v[52:53], v[52:53], v[48:49]
	v_add_f64 v[54:55], v[54:55], v[50:51]
	ds_load_b128 v[48:51], v41 offset:1120
	v_fma_f64 v[58:59], v[182:183], v[29:30], v[58:59]
	v_fma_f64 v[64:65], v[180:181], v[29:30], -v[31:32]
	scratch_load_b128 v[29:32], off, off offset:288
	ds_load_b128 v[182:185], v41 offset:1184
	v_fma_f64 v[62:63], v[3:4], v[33:34], v[62:63]
	v_fma_f64 v[66:67], v[1:2], v[33:34], -v[35:36]
	ds_load_b128 v[1:4], v41 offset:1136
	scratch_load_b128 v[33:36], off, off offset:304
	v_add_f64 v[52:53], v[52:53], v[60:61]
	v_add_f64 v[54:55], v[54:55], v[56:57]
	s_waitcnt vmcnt(9) lgkmcnt(2)
	v_mul_f64 v[56:57], v[48:49], v[178:179]
	v_mul_f64 v[60:61], v[50:51], v[178:179]
	ds_load_b128 v[178:181], v41 offset:1152
	v_add_f64 v[52:53], v[52:53], v[64:65]
	v_add_f64 v[54:55], v[54:55], v[58:59]
	v_fma_f64 v[56:57], v[50:51], v[176:177], v[56:57]
	v_fma_f64 v[60:61], v[48:49], v[176:177], -v[60:61]
	scratch_load_b128 v[48:51], off, off offset:320
	s_waitcnt vmcnt(9) lgkmcnt(1)
	v_mul_f64 v[58:59], v[1:2], v[39:40]
	v_mul_f64 v[39:40], v[3:4], v[39:40]
	v_add_f64 v[52:53], v[52:53], v[66:67]
	v_add_f64 v[54:55], v[54:55], v[62:63]
	s_delay_alu instid0(VALU_DEP_4) | instskip(NEXT) | instid1(VALU_DEP_4)
	v_fma_f64 v[58:59], v[3:4], v[37:38], v[58:59]
	v_fma_f64 v[64:65], v[1:2], v[37:38], -v[39:40]
	scratch_load_b128 v[37:40], off, off offset:336
	ds_load_b128 v[1:4], v41 offset:1168
	s_waitcnt vmcnt(9) lgkmcnt(1)
	v_mul_f64 v[62:63], v[178:179], v[7:8]
	v_mul_f64 v[7:8], v[180:181], v[7:8]
	v_add_f64 v[52:53], v[52:53], v[60:61]
	v_add_f64 v[54:55], v[54:55], v[56:57]
	s_waitcnt vmcnt(8) lgkmcnt(0)
	v_mul_f64 v[56:57], v[1:2], v[11:12]
	v_mul_f64 v[11:12], v[3:4], v[11:12]
	v_fma_f64 v[60:61], v[180:181], v[5:6], v[62:63]
	v_fma_f64 v[62:63], v[178:179], v[5:6], -v[7:8]
	scratch_load_b128 v[5:8], off, off offset:352
	ds_load_b128 v[176:179], v41 offset:1216
	v_add_f64 v[52:53], v[52:53], v[64:65]
	v_add_f64 v[54:55], v[54:55], v[58:59]
	v_fma_f64 v[56:57], v[3:4], v[9:10], v[56:57]
	v_fma_f64 v[64:65], v[1:2], v[9:10], -v[11:12]
	ds_load_b128 v[1:4], v41 offset:1200
	s_waitcnt vmcnt(8)
	v_mul_f64 v[58:59], v[182:183], v[15:16]
	v_mul_f64 v[15:16], v[184:185], v[15:16]
	scratch_load_b128 v[9:12], off, off offset:368
	v_add_f64 v[52:53], v[52:53], v[62:63]
	v_add_f64 v[54:55], v[54:55], v[60:61]
	s_waitcnt vmcnt(8) lgkmcnt(0)
	v_mul_f64 v[60:61], v[1:2], v[19:20]
	v_mul_f64 v[19:20], v[3:4], v[19:20]
	v_fma_f64 v[58:59], v[184:185], v[13:14], v[58:59]
	v_fma_f64 v[62:63], v[182:183], v[13:14], -v[15:16]
	scratch_load_b128 v[13:16], off, off offset:384
	ds_load_b128 v[180:183], v41 offset:1248
	v_add_f64 v[52:53], v[52:53], v[64:65]
	v_add_f64 v[54:55], v[54:55], v[56:57]
	v_fma_f64 v[60:61], v[3:4], v[17:18], v[60:61]
	v_fma_f64 v[64:65], v[1:2], v[17:18], -v[19:20]
	ds_load_b128 v[1:4], v41 offset:1232
	s_waitcnt vmcnt(8)
	v_mul_f64 v[56:57], v[176:177], v[23:24]
	v_mul_f64 v[23:24], v[178:179], v[23:24]
	scratch_load_b128 v[17:20], off, off offset:400
	;; [unrolled: 18-line block ×18, first 2 shown]
	v_add_f64 v[52:53], v[52:53], v[62:63]
	v_add_f64 v[54:55], v[54:55], v[56:57]
	s_waitcnt vmcnt(8) lgkmcnt(0)
	v_mul_f64 v[56:57], v[1:2], v[35:36]
	v_mul_f64 v[35:36], v[3:4], v[35:36]
	v_fma_f64 v[60:61], v[178:179], v[29:30], v[60:61]
	v_fma_f64 v[62:63], v[176:177], v[29:30], -v[31:32]
	scratch_load_b128 v[29:32], off, off offset:928
	ds_load_b128 v[176:179], v41 offset:1792
	v_add_f64 v[52:53], v[52:53], v[64:65]
	v_add_f64 v[54:55], v[54:55], v[58:59]
	v_fma_f64 v[56:57], v[3:4], v[33:34], v[56:57]
	v_fma_f64 v[64:65], v[1:2], v[33:34], -v[35:36]
	scratch_load_b128 v[33:36], off, off offset:944
	ds_load_b128 v[1:4], v41 offset:1776
	s_waitcnt vmcnt(9)
	v_mul_f64 v[58:59], v[180:181], v[50:51]
	v_mul_f64 v[50:51], v[182:183], v[50:51]
	v_add_f64 v[52:53], v[52:53], v[62:63]
	v_add_f64 v[54:55], v[54:55], v[60:61]
	s_waitcnt vmcnt(8) lgkmcnt(0)
	v_mul_f64 v[60:61], v[1:2], v[39:40]
	v_mul_f64 v[39:40], v[3:4], v[39:40]
	v_fma_f64 v[58:59], v[182:183], v[48:49], v[58:59]
	v_fma_f64 v[48:49], v[180:181], v[48:49], -v[50:51]
	v_add_f64 v[50:51], v[52:53], v[64:65]
	v_add_f64 v[52:53], v[54:55], v[56:57]
	s_waitcnt vmcnt(7)
	v_mul_f64 v[54:55], v[176:177], v[7:8]
	v_mul_f64 v[7:8], v[178:179], v[7:8]
	v_fma_f64 v[56:57], v[3:4], v[37:38], v[60:61]
	v_fma_f64 v[60:61], v[1:2], v[37:38], -v[39:40]
	ds_load_b128 v[1:4], v41 offset:1808
	ds_load_b128 v[37:40], v41 offset:1824
	v_add_f64 v[48:49], v[50:51], v[48:49]
	v_add_f64 v[50:51], v[52:53], v[58:59]
	s_waitcnt vmcnt(6) lgkmcnt(1)
	v_mul_f64 v[52:53], v[1:2], v[11:12]
	v_mul_f64 v[11:12], v[3:4], v[11:12]
	v_fma_f64 v[54:55], v[178:179], v[5:6], v[54:55]
	v_fma_f64 v[5:6], v[176:177], v[5:6], -v[7:8]
	v_add_f64 v[7:8], v[48:49], v[60:61]
	v_add_f64 v[48:49], v[50:51], v[56:57]
	s_waitcnt vmcnt(5) lgkmcnt(0)
	v_mul_f64 v[50:51], v[37:38], v[15:16]
	v_mul_f64 v[15:16], v[39:40], v[15:16]
	v_fma_f64 v[52:53], v[3:4], v[9:10], v[52:53]
	v_fma_f64 v[9:10], v[1:2], v[9:10], -v[11:12]
	v_add_f64 v[11:12], v[7:8], v[5:6]
	v_add_f64 v[48:49], v[48:49], v[54:55]
	ds_load_b128 v[1:4], v41 offset:1840
	ds_load_b128 v[5:8], v41 offset:1856
	v_fma_f64 v[39:40], v[39:40], v[13:14], v[50:51]
	v_fma_f64 v[13:14], v[37:38], v[13:14], -v[15:16]
	s_waitcnt vmcnt(4) lgkmcnt(1)
	v_mul_f64 v[54:55], v[1:2], v[19:20]
	v_mul_f64 v[19:20], v[3:4], v[19:20]
	s_waitcnt vmcnt(3) lgkmcnt(0)
	v_mul_f64 v[15:16], v[5:6], v[23:24]
	v_mul_f64 v[23:24], v[7:8], v[23:24]
	v_add_f64 v[9:10], v[11:12], v[9:10]
	v_add_f64 v[11:12], v[48:49], v[52:53]
	v_fma_f64 v[37:38], v[3:4], v[17:18], v[54:55]
	v_fma_f64 v[17:18], v[1:2], v[17:18], -v[19:20]
	v_fma_f64 v[7:8], v[7:8], v[21:22], v[15:16]
	v_fma_f64 v[5:6], v[5:6], v[21:22], -v[23:24]
	v_add_f64 v[13:14], v[9:10], v[13:14]
	v_add_f64 v[19:20], v[11:12], v[39:40]
	ds_load_b128 v[1:4], v41 offset:1872
	ds_load_b128 v[9:12], v41 offset:1888
	s_waitcnt vmcnt(2) lgkmcnt(1)
	v_mul_f64 v[39:40], v[1:2], v[27:28]
	v_mul_f64 v[27:28], v[3:4], v[27:28]
	v_add_f64 v[13:14], v[13:14], v[17:18]
	v_add_f64 v[15:16], v[19:20], v[37:38]
	s_waitcnt vmcnt(1) lgkmcnt(0)
	v_mul_f64 v[17:18], v[9:10], v[31:32]
	v_mul_f64 v[19:20], v[11:12], v[31:32]
	v_fma_f64 v[21:22], v[3:4], v[25:26], v[39:40]
	v_fma_f64 v[23:24], v[1:2], v[25:26], -v[27:28]
	ds_load_b128 v[1:4], v41 offset:1904
	v_add_f64 v[5:6], v[13:14], v[5:6]
	v_add_f64 v[7:8], v[15:16], v[7:8]
	v_fma_f64 v[11:12], v[11:12], v[29:30], v[17:18]
	v_fma_f64 v[9:10], v[9:10], v[29:30], -v[19:20]
	s_waitcnt vmcnt(0) lgkmcnt(0)
	v_mul_f64 v[13:14], v[1:2], v[35:36]
	v_mul_f64 v[15:16], v[3:4], v[35:36]
	v_add_f64 v[5:6], v[5:6], v[23:24]
	v_add_f64 v[7:8], v[7:8], v[21:22]
	s_delay_alu instid0(VALU_DEP_4) | instskip(NEXT) | instid1(VALU_DEP_4)
	v_fma_f64 v[3:4], v[3:4], v[33:34], v[13:14]
	v_fma_f64 v[1:2], v[1:2], v[33:34], -v[15:16]
	s_delay_alu instid0(VALU_DEP_4) | instskip(NEXT) | instid1(VALU_DEP_4)
	v_add_f64 v[5:6], v[5:6], v[9:10]
	v_add_f64 v[7:8], v[7:8], v[11:12]
	s_delay_alu instid0(VALU_DEP_2) | instskip(NEXT) | instid1(VALU_DEP_2)
	v_add_f64 v[1:2], v[5:6], v[1:2]
	v_add_f64 v[3:4], v[7:8], v[3:4]
	s_delay_alu instid0(VALU_DEP_2) | instskip(NEXT) | instid1(VALU_DEP_2)
	v_add_f64 v[1:2], v[42:43], -v[1:2]
	v_add_f64 v[3:4], v[44:45], -v[3:4]
	scratch_store_b128 off, v[1:4], off
	s_cbranch_vccz .LBB123_493
; %bb.374:
	v_dual_mov_b32 v1, s8 :: v_dual_mov_b32 v2, s9
	s_load_b64 s[0:1], s[0:1], 0x4
	flat_load_b32 v1, v[1:2] offset:232
	v_bfe_u32 v2, v0, 10, 10
	v_bfe_u32 v0, v0, 20, 10
	s_waitcnt lgkmcnt(0)
	s_lshr_b32 s0, s0, 16
	s_delay_alu instid0(VALU_DEP_2) | instskip(SKIP_1) | instid1(SALU_CYCLE_1)
	v_mul_u32_u24_e32 v2, s1, v2
	s_mul_i32 s0, s0, s1
	v_mul_u32_u24_e32 v3, s0, v166
	s_mov_b32 s0, exec_lo
	s_delay_alu instid0(VALU_DEP_1) | instskip(NEXT) | instid1(VALU_DEP_1)
	v_add3_u32 v0, v3, v2, v0
	v_lshl_add_u32 v0, v0, 4, 0x788
	s_waitcnt vmcnt(0)
	v_cmpx_ne_u32_e32 59, v1
	s_cbranch_execz .LBB123_376
; %bb.375:
	v_lshl_add_u32 v9, v1, 4, 0
	s_clause 0x1
	scratch_load_b128 v[1:4], v87, off
	scratch_load_b128 v[5:8], v9, off offset:-16
	s_waitcnt vmcnt(1)
	ds_store_2addr_b64 v0, v[1:2], v[3:4] offset1:1
	s_waitcnt vmcnt(0)
	s_clause 0x1
	scratch_store_b128 v87, v[5:8], off
	scratch_store_b128 v9, v[1:4], off offset:-16
.LBB123_376:
	s_or_b32 exec_lo, exec_lo, s0
	v_dual_mov_b32 v1, s8 :: v_dual_mov_b32 v2, s9
	flat_load_b32 v1, v[1:2] offset:228
	s_waitcnt vmcnt(0) lgkmcnt(0)
	v_cmp_ne_u32_e32 vcc_lo, 58, v1
	s_mov_b32 s0, exec_lo
	v_dual_mov_b32 v10, v167 :: v_dual_mov_b32 v11, v168
	v_dual_mov_b32 v12, v169 :: v_dual_mov_b32 v13, v188
	;; [unrolled: 1-line block ×7, first 2 shown]
	v_mov_b32_e32 v24, v245
	v_dual_mov_b32 v25, v241 :: v_dual_mov_b32 v28, v230
	v_mov_b32_e32 v26, v237
	v_mov_b32_e32 v27, v233
	s_and_b32 s1, s0, vcc_lo
	s_delay_alu instid0(SALU_CYCLE_1)
	s_mov_b32 exec_lo, s1
	s_cbranch_execz .LBB123_378
; %bb.377:
	v_lshl_add_u32 v9, v1, 4, 0
	s_clause 0x1
	scratch_load_b128 v[1:4], v82, off
	scratch_load_b128 v[5:8], v9, off offset:-16
	s_waitcnt vmcnt(1)
	ds_store_2addr_b64 v0, v[1:2], v[3:4] offset1:1
	s_waitcnt vmcnt(0)
	s_clause 0x1
	scratch_store_b128 v82, v[5:8], off
	scratch_store_b128 v9, v[1:4], off offset:-16
.LBB123_378:
	s_or_b32 exec_lo, exec_lo, s0
	v_dual_mov_b32 v1, s8 :: v_dual_mov_b32 v2, s9
	s_mov_b32 s0, exec_lo
	flat_load_b32 v1, v[1:2] offset:224
	s_waitcnt vmcnt(0) lgkmcnt(0)
	v_cmpx_ne_u32_e32 57, v1
	s_cbranch_execz .LBB123_380
; %bb.379:
	v_lshl_add_u32 v9, v1, 4, 0
	s_clause 0x1
	scratch_load_b128 v[1:4], v83, off
	scratch_load_b128 v[5:8], v9, off offset:-16
	s_waitcnt vmcnt(1)
	ds_store_2addr_b64 v0, v[1:2], v[3:4] offset1:1
	s_waitcnt vmcnt(0)
	s_clause 0x1
	scratch_store_b128 v83, v[5:8], off
	scratch_store_b128 v9, v[1:4], off offset:-16
.LBB123_380:
	s_or_b32 exec_lo, exec_lo, s0
	v_dual_mov_b32 v1, s8 :: v_dual_mov_b32 v2, s9
	s_mov_b32 s0, exec_lo
	flat_load_b32 v1, v[1:2] offset:220
	s_waitcnt vmcnt(0) lgkmcnt(0)
	v_cmpx_ne_u32_e32 56, v1
	;; [unrolled: 19-line block ×38, first 2 shown]
	s_cbranch_execz .LBB123_454
; %bb.453:
	scratch_load_b32 v10, off, off offset:960 ; 4-byte Folded Reload
	v_lshl_add_u32 v9, v1, 4, 0
	s_waitcnt vmcnt(0)
	s_clause 0x1
	scratch_load_b128 v[1:4], v10, off
	scratch_load_b128 v[5:8], v9, off offset:-16
	s_waitcnt vmcnt(1)
	ds_store_2addr_b64 v0, v[1:2], v[3:4] offset1:1
	s_waitcnt vmcnt(0)
	s_clause 0x1
	scratch_store_b128 v10, v[5:8], off
	scratch_store_b128 v9, v[1:4], off offset:-16
.LBB123_454:
	s_or_b32 exec_lo, exec_lo, s0
	v_dual_mov_b32 v1, s8 :: v_dual_mov_b32 v2, s9
	s_mov_b32 s0, exec_lo
	flat_load_b32 v1, v[1:2] offset:72
	s_waitcnt vmcnt(0) lgkmcnt(0)
	v_cmpx_ne_u32_e32 19, v1
	s_cbranch_execz .LBB123_456
; %bb.455:
	v_lshl_add_u32 v9, v1, 4, 0
	s_clause 0x1
	scratch_load_b128 v[1:4], v228, off
	scratch_load_b128 v[5:8], v9, off offset:-16
	s_waitcnt vmcnt(1)
	ds_store_2addr_b64 v0, v[1:2], v[3:4] offset1:1
	s_waitcnt vmcnt(0)
	s_clause 0x1
	scratch_store_b128 v228, v[5:8], off
	scratch_store_b128 v9, v[1:4], off offset:-16
.LBB123_456:
	s_or_b32 exec_lo, exec_lo, s0
	v_dual_mov_b32 v1, s8 :: v_dual_mov_b32 v2, s9
	s_mov_b32 s0, exec_lo
	flat_load_b32 v1, v[1:2] offset:68
	s_waitcnt vmcnt(0) lgkmcnt(0)
	v_cmpx_ne_u32_e32 18, v1
	s_cbranch_execz .LBB123_458
; %bb.457:
	v_lshl_add_u32 v9, v1, 4, 0
	s_clause 0x1
	scratch_load_b128 v[1:4], v229, off
	scratch_load_b128 v[5:8], v9, off offset:-16
	s_waitcnt vmcnt(1)
	ds_store_2addr_b64 v0, v[1:2], v[3:4] offset1:1
	s_waitcnt vmcnt(0)
	s_clause 0x1
	scratch_store_b128 v229, v[5:8], off
	scratch_store_b128 v9, v[1:4], off offset:-16
.LBB123_458:
	s_or_b32 exec_lo, exec_lo, s0
	v_dual_mov_b32 v1, s8 :: v_dual_mov_b32 v2, s9
	s_mov_b32 s0, exec_lo
	flat_load_b32 v1, v[1:2] offset:64
	s_waitcnt vmcnt(0) lgkmcnt(0)
	v_cmpx_ne_u32_e32 17, v1
	s_cbranch_execz .LBB123_460
; %bb.459:
	scratch_load_b32 v10, off, off offset:964 ; 4-byte Folded Reload
	v_lshl_add_u32 v9, v1, 4, 0
	s_waitcnt vmcnt(0)
	s_clause 0x1
	scratch_load_b128 v[1:4], v10, off
	scratch_load_b128 v[5:8], v9, off offset:-16
	s_waitcnt vmcnt(1)
	ds_store_2addr_b64 v0, v[1:2], v[3:4] offset1:1
	s_waitcnt vmcnt(0)
	s_clause 0x1
	scratch_store_b128 v10, v[5:8], off
	scratch_store_b128 v9, v[1:4], off offset:-16
.LBB123_460:
	s_or_b32 exec_lo, exec_lo, s0
	v_dual_mov_b32 v1, s8 :: v_dual_mov_b32 v2, s9
	s_mov_b32 s0, exec_lo
	flat_load_b32 v1, v[1:2] offset:60
	s_waitcnt vmcnt(0) lgkmcnt(0)
	v_cmpx_ne_u32_e32 16, v1
	s_cbranch_execz .LBB123_462
; %bb.461:
	v_lshl_add_u32 v9, v1, 4, 0
	s_clause 0x1
	scratch_load_b128 v[1:4], v86, off
	scratch_load_b128 v[5:8], v9, off offset:-16
	s_waitcnt vmcnt(1)
	ds_store_2addr_b64 v0, v[1:2], v[3:4] offset1:1
	s_waitcnt vmcnt(0)
	s_clause 0x1
	scratch_store_b128 v86, v[5:8], off
	scratch_store_b128 v9, v[1:4], off offset:-16
.LBB123_462:
	s_or_b32 exec_lo, exec_lo, s0
	v_dual_mov_b32 v1, s8 :: v_dual_mov_b32 v2, s9
	s_mov_b32 s0, exec_lo
	flat_load_b32 v1, v[1:2] offset:56
	s_waitcnt vmcnt(0) lgkmcnt(0)
	v_cmpx_ne_u32_e32 15, v1
	s_cbranch_execz .LBB123_464
; %bb.463:
	v_lshl_add_u32 v9, v1, 4, 0
	s_clause 0x1
	scratch_load_b128 v[1:4], v212, off
	scratch_load_b128 v[5:8], v9, off offset:-16
	s_waitcnt vmcnt(1)
	ds_store_2addr_b64 v0, v[1:2], v[3:4] offset1:1
	s_waitcnt vmcnt(0)
	s_clause 0x1
	scratch_store_b128 v212, v[5:8], off
	scratch_store_b128 v9, v[1:4], off offset:-16
.LBB123_464:
	;; [unrolled: 19-line block ×15, first 2 shown]
	s_or_b32 exec_lo, exec_lo, s0
	v_dual_mov_b32 v1, s8 :: v_dual_mov_b32 v2, s9
	s_mov_b32 s0, exec_lo
	flat_load_b32 v1, v[1:2]
	s_waitcnt vmcnt(0) lgkmcnt(0)
	v_cmpx_ne_u32_e32 1, v1
	s_cbranch_execz .LBB123_492
; %bb.491:
	v_lshl_add_u32 v9, v1, 4, 0
	scratch_load_b128 v[1:4], off, off
	scratch_load_b128 v[5:8], v9, off offset:-16
	s_waitcnt vmcnt(1)
	ds_store_2addr_b64 v0, v[1:2], v[3:4] offset1:1
	s_waitcnt vmcnt(0)
	scratch_store_b128 off, v[5:8], off
	scratch_store_b128 v9, v[1:4], off offset:-16
.LBB123_492:
	s_or_b32 exec_lo, exec_lo, s0
.LBB123_493:
	scratch_load_b128 v[0:3], off, off
	s_clause 0xe
	scratch_load_b128 v[4:7], v225, off
	scratch_load_b128 v[8:11], v200, off
	;; [unrolled: 1-line block ×15, first 2 shown]
	scratch_load_b32 v44, off, off offset:964 ; 4-byte Folded Reload
	s_waitcnt vmcnt(0)
	s_clause 0x2
	scratch_load_b128 v[202:205], v44, off
	scratch_load_b128 v[206:209], v229, off
	;; [unrolled: 1-line block ×3, first 2 shown]
	scratch_load_b32 v44, off, off offset:960 ; 4-byte Folded Reload
	s_waitcnt vmcnt(0)
	s_clause 0x4
	scratch_load_b128 v[225:228], v44, off
	scratch_load_b128 v[229:232], v230, off
	;; [unrolled: 1-line block ×5, first 2 shown]
	global_store_b128 v[46:47], v[0:3], off
	s_clause 0x1
	scratch_load_b128 v[0:3], v245, off
	scratch_load_b128 v[44:47], v222, off
	scratch_load_b64 v[52:53], off, off offset:968 ; 8-byte Folded Reload
	s_waitcnt vmcnt(0)
	global_store_b128 v[52:53], v[4:7], off
	s_clause 0x1
	scratch_load_b128 v[4:7], v221, off
	scratch_load_b128 v[245:248], v220, off
	scratch_load_b64 v[52:53], off, off offset:976 ; 8-byte Folded Reload
	s_waitcnt vmcnt(0)
	;; [unrolled: 6-line block ×10, first 2 shown]
	global_store_b128 v[64:65], v[40:43], off
	s_clause 0x1
	scratch_load_b128 v[40:43], v193, off
	scratch_load_b128 v[64:67], v192, off
	global_store_b128 v[68:69], v[48:51], off
	s_clause 0x1
	scratch_load_b128 v[48:51], v189, off
	scratch_load_b128 v[188:191], v174, off
	;; [unrolled: 4-line block ×7, first 2 shown]
	global_store_b128 v[84:85], v[206:209], off
	scratch_load_b128 v[206:209], v87, off
	scratch_load_b32 v84, off, off offset:1064 ; 4-byte Folded Reload
	s_waitcnt vmcnt(0)
	scratch_load_b128 v[84:87], v84, off
	scratch_load_b64 v[170:171], off, off offset:1048 ; 8-byte Folded Reload
	s_waitcnt vmcnt(0)
	s_clause 0x1
	global_store_b128 v[170:171], v[210:213], off
	global_store_b128 v[254:255], v[225:228], off
	scratch_load_b64 v[170:171], off, off offset:1056 ; 8-byte Folded Reload
	s_waitcnt vmcnt(0)
	s_clause 0x1f
	global_store_b128 v[170:171], v[229:232], off
	global_store_b128 v[88:89], v[233:236], off
	;; [unrolled: 1-line block ×32, first 2 shown]
	s_clause 0x7
	global_store_b128 v[152:153], v[72:75], off
	global_store_b128 v[154:155], v[184:187], off
	;; [unrolled: 1-line block ×8, first 2 shown]
	s_endpgm
	.section	.rodata,"a",@progbits
	.p2align	6, 0x0
	.amdhsa_kernel _ZN9rocsolver6v33100L18getri_kernel_smallILi60E19rocblas_complex_numIdEPKPS3_EEvT1_iilPiilS8_bb
		.amdhsa_group_segment_fixed_size 2952
		.amdhsa_private_segment_fixed_size 1072
		.amdhsa_kernarg_size 60
		.amdhsa_user_sgpr_count 15
		.amdhsa_user_sgpr_dispatch_ptr 1
		.amdhsa_user_sgpr_queue_ptr 0
		.amdhsa_user_sgpr_kernarg_segment_ptr 1
		.amdhsa_user_sgpr_dispatch_id 0
		.amdhsa_user_sgpr_private_segment_size 0
		.amdhsa_wavefront_size32 1
		.amdhsa_uses_dynamic_stack 0
		.amdhsa_enable_private_segment 1
		.amdhsa_system_sgpr_workgroup_id_x 1
		.amdhsa_system_sgpr_workgroup_id_y 0
		.amdhsa_system_sgpr_workgroup_id_z 0
		.amdhsa_system_sgpr_workgroup_info 0
		.amdhsa_system_vgpr_workitem_id 2
		.amdhsa_next_free_vgpr 256
		.amdhsa_next_free_sgpr 66
		.amdhsa_reserve_vcc 1
		.amdhsa_float_round_mode_32 0
		.amdhsa_float_round_mode_16_64 0
		.amdhsa_float_denorm_mode_32 3
		.amdhsa_float_denorm_mode_16_64 3
		.amdhsa_dx10_clamp 1
		.amdhsa_ieee_mode 1
		.amdhsa_fp16_overflow 0
		.amdhsa_workgroup_processor_mode 1
		.amdhsa_memory_ordered 1
		.amdhsa_forward_progress 0
		.amdhsa_shared_vgpr_count 0
		.amdhsa_exception_fp_ieee_invalid_op 0
		.amdhsa_exception_fp_denorm_src 0
		.amdhsa_exception_fp_ieee_div_zero 0
		.amdhsa_exception_fp_ieee_overflow 0
		.amdhsa_exception_fp_ieee_underflow 0
		.amdhsa_exception_fp_ieee_inexact 0
		.amdhsa_exception_int_div_zero 0
	.end_amdhsa_kernel
	.section	.text._ZN9rocsolver6v33100L18getri_kernel_smallILi60E19rocblas_complex_numIdEPKPS3_EEvT1_iilPiilS8_bb,"axG",@progbits,_ZN9rocsolver6v33100L18getri_kernel_smallILi60E19rocblas_complex_numIdEPKPS3_EEvT1_iilPiilS8_bb,comdat
.Lfunc_end123:
	.size	_ZN9rocsolver6v33100L18getri_kernel_smallILi60E19rocblas_complex_numIdEPKPS3_EEvT1_iilPiilS8_bb, .Lfunc_end123-_ZN9rocsolver6v33100L18getri_kernel_smallILi60E19rocblas_complex_numIdEPKPS3_EEvT1_iilPiilS8_bb
                                        ; -- End function
	.section	.AMDGPU.csdata,"",@progbits
; Kernel info:
; codeLenInByte = 157788
; NumSgprs: 68
; NumVgprs: 256
; ScratchSize: 1072
; MemoryBound: 0
; FloatMode: 240
; IeeeMode: 1
; LDSByteSize: 2952 bytes/workgroup (compile time only)
; SGPRBlocks: 8
; VGPRBlocks: 31
; NumSGPRsForWavesPerEU: 68
; NumVGPRsForWavesPerEU: 256
; Occupancy: 5
; WaveLimiterHint : 1
; COMPUTE_PGM_RSRC2:SCRATCH_EN: 1
; COMPUTE_PGM_RSRC2:USER_SGPR: 15
; COMPUTE_PGM_RSRC2:TRAP_HANDLER: 0
; COMPUTE_PGM_RSRC2:TGID_X_EN: 1
; COMPUTE_PGM_RSRC2:TGID_Y_EN: 0
; COMPUTE_PGM_RSRC2:TGID_Z_EN: 0
; COMPUTE_PGM_RSRC2:TIDIG_COMP_CNT: 2
	.section	.text._ZN9rocsolver6v33100L18getri_kernel_smallILi61E19rocblas_complex_numIdEPKPS3_EEvT1_iilPiilS8_bb,"axG",@progbits,_ZN9rocsolver6v33100L18getri_kernel_smallILi61E19rocblas_complex_numIdEPKPS3_EEvT1_iilPiilS8_bb,comdat
	.globl	_ZN9rocsolver6v33100L18getri_kernel_smallILi61E19rocblas_complex_numIdEPKPS3_EEvT1_iilPiilS8_bb ; -- Begin function _ZN9rocsolver6v33100L18getri_kernel_smallILi61E19rocblas_complex_numIdEPKPS3_EEvT1_iilPiilS8_bb
	.p2align	8
	.type	_ZN9rocsolver6v33100L18getri_kernel_smallILi61E19rocblas_complex_numIdEPKPS3_EEvT1_iilPiilS8_bb,@function
_ZN9rocsolver6v33100L18getri_kernel_smallILi61E19rocblas_complex_numIdEPKPS3_EEvT1_iilPiilS8_bb: ; @_ZN9rocsolver6v33100L18getri_kernel_smallILi61E19rocblas_complex_numIdEPKPS3_EEvT1_iilPiilS8_bb
; %bb.0:
	v_and_b32_e32 v169, 0x3ff, v0
	s_mov_b32 s4, exec_lo
	s_delay_alu instid0(VALU_DEP_1)
	v_cmpx_gt_u32_e32 61, v169
	s_cbranch_execz .LBB124_270
; %bb.1:
	s_mov_b32 s10, s15
	s_clause 0x2
	s_load_b32 s15, s[2:3], 0x38
	s_load_b64 s[8:9], s[2:3], 0x0
	s_load_b128 s[4:7], s[2:3], 0x28
	s_waitcnt lgkmcnt(0)
	s_bitcmp1_b32 s15, 8
	s_cselect_b32 s14, -1, 0
	s_ashr_i32 s11, s10, 31
	s_delay_alu instid0(SALU_CYCLE_1) | instskip(NEXT) | instid1(SALU_CYCLE_1)
	s_lshl_b64 s[12:13], s[10:11], 3
	s_add_u32 s8, s8, s12
	s_addc_u32 s9, s9, s13
	s_load_b64 s[12:13], s[8:9], 0x0
	s_bfe_u32 s8, s15, 0x10008
	s_delay_alu instid0(SALU_CYCLE_1)
	s_cmp_eq_u32 s8, 0
                                        ; implicit-def: $sgpr8_sgpr9
	s_cbranch_scc1 .LBB124_3
; %bb.2:
	s_clause 0x1
	s_load_b32 s8, s[2:3], 0x20
	s_load_b64 s[16:17], s[2:3], 0x18
	s_mul_i32 s5, s10, s5
	s_mul_hi_u32 s9, s10, s4
	s_mul_i32 s18, s11, s4
	s_add_i32 s5, s9, s5
	s_mul_i32 s4, s10, s4
	s_add_i32 s5, s5, s18
	s_delay_alu instid0(SALU_CYCLE_1)
	s_lshl_b64 s[4:5], s[4:5], 2
	s_waitcnt lgkmcnt(0)
	s_ashr_i32 s9, s8, 31
	s_add_u32 s16, s16, s4
	s_addc_u32 s17, s17, s5
	s_lshl_b64 s[4:5], s[8:9], 2
	s_delay_alu instid0(SALU_CYCLE_1)
	s_add_u32 s8, s16, s4
	s_addc_u32 s9, s17, s5
.LBB124_3:
	s_load_b64 s[2:3], s[2:3], 0x8
	v_lshlrev_b32_e32 v229, 4, v169
	s_movk_i32 s20, 0xf0
	s_movk_i32 s21, 0x100
	;; [unrolled: 1-line block ×18, first 2 shown]
	s_waitcnt lgkmcnt(0)
	v_add3_u32 v5, s3, s3, v169
	s_ashr_i32 s5, s2, 31
	s_mov_b32 s4, s2
	s_mov_b32 s16, s3
	s_lshl_b64 s[4:5], s[4:5], 4
	v_add_nc_u32_e32 v7, s3, v5
	s_add_u32 s4, s12, s4
	v_ashrrev_i32_e32 v6, 31, v5
	s_addc_u32 s5, s13, s5
	v_add_co_u32 v53, s2, s4, v229
	s_ashr_i32 s17, s3, 31
	v_add_co_ci_u32_e64 v54, null, s5, 0, s2
	v_add_nc_u32_e32 v9, s3, v7
	s_lshl_b64 s[12:13], s[16:17], 4
	v_ashrrev_i32_e32 v8, 31, v7
	v_lshlrev_b64 v[5:6], 4, v[5:6]
	v_add_co_u32 v14, vcc_lo, v53, s12
	v_add_co_ci_u32_e32 v15, vcc_lo, s13, v54, vcc_lo
	v_add_nc_u32_e32 v13, s3, v9
	v_lshlrev_b64 v[11:12], 4, v[7:8]
	v_ashrrev_i32_e32 v10, 31, v9
	v_add_co_u32 v17, vcc_lo, s4, v5
	global_load_b128 v[1:4], v229, s[4:5]
	v_add_co_ci_u32_e32 v18, vcc_lo, s5, v6, vcc_lo
	global_load_b128 v[5:8], v[14:15], off
	scratch_store_b64 off, v[14:15], off offset:1044 ; 8-byte Folded Spill
	v_ashrrev_i32_e32 v14, 31, v13
	v_add_nc_u32_e32 v15, s3, v13
	v_lshlrev_b64 v[9:10], 4, v[9:10]
	v_add_co_u32 v19, vcc_lo, s4, v11
	v_add_co_ci_u32_e32 v20, vcc_lo, s5, v12, vcc_lo
	scratch_store_b64 off, v[17:18], off offset:1052 ; 8-byte Folded Spill
	v_lshlrev_b64 v[11:12], 4, v[13:14]
	v_ashrrev_i32_e32 v16, 31, v15
	v_add_nc_u32_e32 v13, s3, v15
	v_add_co_u32 v21, vcc_lo, s4, v9
	v_add_co_ci_u32_e32 v22, vcc_lo, s5, v10, vcc_lo
	scratch_store_b64 off, v[19:20], off offset:1060 ; 8-byte Folded Spill
	v_lshlrev_b64 v[9:10], 4, v[15:16]
	v_ashrrev_i32_e32 v14, 31, v13
	scratch_store_b64 off, v[21:22], off offset:1068 ; 8-byte Folded Spill
	v_add_nc_u32_e32 v15, s3, v13
	v_add_co_u32 v23, vcc_lo, s4, v11
	v_add_co_ci_u32_e32 v24, vcc_lo, s5, v12, vcc_lo
	v_lshlrev_b64 v[11:12], 4, v[13:14]
	s_delay_alu instid0(VALU_DEP_4) | instskip(SKIP_3) | instid1(VALU_DEP_4)
	v_ashrrev_i32_e32 v16, 31, v15
	v_add_nc_u32_e32 v13, s3, v15
	v_add_co_u32 v25, vcc_lo, s4, v9
	v_add_co_ci_u32_e32 v26, vcc_lo, s5, v10, vcc_lo
	v_lshlrev_b64 v[9:10], 4, v[15:16]
	s_delay_alu instid0(VALU_DEP_4) | instskip(SKIP_3) | instid1(VALU_DEP_4)
	v_ashrrev_i32_e32 v14, 31, v13
	;; [unrolled: 6-line block ×8, first 2 shown]
	v_add_nc_u32_e32 v15, s3, v13
	v_add_co_u32 v79, vcc_lo, s4, v11
	v_add_co_ci_u32_e32 v80, vcc_lo, s5, v12, vcc_lo
	v_lshlrev_b64 v[11:12], 4, v[13:14]
	s_delay_alu instid0(VALU_DEP_4)
	v_ashrrev_i32_e32 v16, 31, v15
	v_add_nc_u32_e32 v13, s3, v15
	v_add_co_u32 v81, vcc_lo, s4, v9
	s_clause 0x1
	global_load_b128 v[141:144], v[17:18], off
	global_load_b128 v[145:148], v[19:20], off
	v_add_co_ci_u32_e32 v82, vcc_lo, s5, v10, vcc_lo
	v_lshlrev_b64 v[9:10], 4, v[15:16]
	v_ashrrev_i32_e32 v14, 31, v13
	v_add_nc_u32_e32 v15, s3, v13
	s_clause 0x1
	global_load_b128 v[149:152], v[21:22], off
	global_load_b128 v[153:156], v[23:24], off
	v_add_co_u32 v83, vcc_lo, s4, v11
	v_add_co_ci_u32_e32 v84, vcc_lo, s5, v12, vcc_lo
	v_lshlrev_b64 v[11:12], 4, v[13:14]
	v_ashrrev_i32_e32 v16, 31, v15
	v_add_nc_u32_e32 v13, s3, v15
	v_add_co_u32 v85, vcc_lo, s4, v9
	v_add_co_ci_u32_e32 v86, vcc_lo, s5, v10, vcc_lo
	s_delay_alu instid0(VALU_DEP_4) | instskip(NEXT) | instid1(VALU_DEP_4)
	v_lshlrev_b64 v[9:10], 4, v[15:16]
	v_ashrrev_i32_e32 v14, 31, v13
	v_add_nc_u32_e32 v15, s3, v13
	s_clause 0x1
	global_load_b128 v[157:160], v[25:26], off
	global_load_b128 v[161:164], v[254:255], off
	v_add_co_u32 v87, vcc_lo, s4, v11
	v_add_co_ci_u32_e32 v88, vcc_lo, s5, v12, vcc_lo
	v_lshlrev_b64 v[11:12], 4, v[13:14]
	v_ashrrev_i32_e32 v16, 31, v15
	v_add_nc_u32_e32 v13, s3, v15
	v_add_co_u32 v89, vcc_lo, s4, v9
	v_add_co_ci_u32_e32 v90, vcc_lo, s5, v10, vcc_lo
	s_delay_alu instid0(VALU_DEP_4) | instskip(NEXT) | instid1(VALU_DEP_4)
	v_lshlrev_b64 v[9:10], 4, v[15:16]
	v_add_nc_u32_e32 v15, s3, v13
	v_ashrrev_i32_e32 v14, 31, v13
	v_add_co_u32 v17, vcc_lo, s4, v11
	v_add_co_ci_u32_e32 v18, vcc_lo, s5, v12, vcc_lo
	s_delay_alu instid0(VALU_DEP_4) | instskip(NEXT) | instid1(VALU_DEP_4)
	v_ashrrev_i32_e32 v16, 31, v15
	v_lshlrev_b64 v[11:12], 4, v[13:14]
	v_add_nc_u32_e32 v13, s3, v15
	v_add_co_u32 v93, vcc_lo, s4, v9
	v_add_co_ci_u32_e32 v94, vcc_lo, s5, v10, vcc_lo
	v_lshlrev_b64 v[9:10], 4, v[15:16]
	s_delay_alu instid0(VALU_DEP_4)
	v_ashrrev_i32_e32 v14, 31, v13
	v_add_nc_u32_e32 v15, s3, v13
	v_add_co_u32 v95, vcc_lo, s4, v11
	v_add_co_ci_u32_e32 v96, vcc_lo, s5, v12, vcc_lo
	s_clause 0x1
	scratch_store_b64 off, v[23:24], off offset:1076
	scratch_store_b64 off, v[25:26], off offset:1084
	v_lshlrev_b64 v[11:12], 4, v[13:14]
	v_add_co_u32 v97, vcc_lo, s4, v9
	v_add_nc_u32_e32 v9, s3, v15
	s_clause 0x1
	global_load_b128 v[165:168], v[226:227], off
	global_load_b128 v[170:173], v[71:72], off
	v_ashrrev_i32_e32 v16, 31, v15
	v_add_co_ci_u32_e32 v98, vcc_lo, s5, v10, vcc_lo
	v_ashrrev_i32_e32 v10, 31, v9
	v_add_co_u32 v99, vcc_lo, s4, v11
	v_add_nc_u32_e32 v11, s3, v9
	v_lshlrev_b64 v[13:14], 4, v[15:16]
	s_delay_alu instid0(VALU_DEP_4) | instskip(SKIP_1) | instid1(VALU_DEP_4)
	v_lshlrev_b64 v[9:10], 4, v[9:10]
	v_add_co_ci_u32_e32 v100, vcc_lo, s5, v12, vcc_lo
	v_add_nc_u32_e32 v15, s3, v11
	v_ashrrev_i32_e32 v12, 31, v11
	v_add_co_u32 v101, vcc_lo, s4, v13
	v_add_co_ci_u32_e32 v102, vcc_lo, s5, v14, vcc_lo
	s_delay_alu instid0(VALU_DEP_4)
	v_ashrrev_i32_e32 v16, 31, v15
	v_add_co_u32 v103, vcc_lo, s4, v9
	s_clause 0x2
	global_load_b128 v[174:177], v[73:74], off
	global_load_b128 v[178:181], v[75:76], off
	;; [unrolled: 1-line block ×3, first 2 shown]
	v_add_co_ci_u32_e32 v104, vcc_lo, s5, v10, vcc_lo
	v_lshlrev_b64 v[9:10], 4, v[11:12]
	s_clause 0x5
	global_load_b128 v[186:189], v[79:80], off
	global_load_b128 v[190:193], v[81:82], off
	;; [unrolled: 1-line block ×6, first 2 shown]
	scratch_store_b64 off, v[17:18], off offset:1092 ; 8-byte Folded Spill
	s_clause 0x4
	global_load_b128 v[210:213], v[17:18], off
	global_load_b128 v[214:217], v[93:94], off
	;; [unrolled: 1-line block ×5, first 2 shown]
	v_lshlrev_b64 v[11:12], 4, v[15:16]
	v_add_co_u32 v105, vcc_lo, s4, v9
	v_add_co_ci_u32_e32 v106, vcc_lo, s5, v10, vcc_lo
	v_add_nc_u32_e32 v9, s3, v15
	s_delay_alu instid0(VALU_DEP_4) | instskip(SKIP_1) | instid1(VALU_DEP_3)
	v_add_co_u32 v107, vcc_lo, s4, v11
	v_add_co_ci_u32_e32 v108, vcc_lo, s5, v12, vcc_lo
	v_ashrrev_i32_e32 v10, 31, v9
	s_clause 0x3
	global_load_b128 v[234:237], v[101:102], off
	global_load_b128 v[238:241], v[103:104], off
	;; [unrolled: 1-line block ×4, first 2 shown]
	s_movk_i32 s2, 0x50
	v_lshlrev_b64 v[10:11], 4, v[9:10]
	v_add_nc_u32_e32 v9, s3, v9
	s_movk_i32 s12, 0x90
	s_movk_i32 s13, 0xa0
	;; [unrolled: 1-line block ×4, first 2 shown]
	v_add_co_u32 v109, vcc_lo, s4, v10
	v_add_co_ci_u32_e32 v110, vcc_lo, s5, v11, vcc_lo
	v_add_nc_u32_e32 v11, s3, v9
	v_ashrrev_i32_e32 v10, 31, v9
	s_movk_i32 s19, 0xe0
	global_load_b128 v[33:36], v[109:110], off
	s_movk_i32 s38, 0x200
	v_add_nc_u32_e32 v13, s3, v11
	v_lshlrev_b64 v[9:10], 4, v[9:10]
	v_ashrrev_i32_e32 v12, 31, v11
	s_movk_i32 s39, 0x210
	s_movk_i32 s40, 0x220
	v_ashrrev_i32_e32 v14, 31, v13
	v_add_nc_u32_e32 v15, s3, v13
	v_add_co_u32 v111, vcc_lo, s4, v9
	v_add_co_ci_u32_e32 v112, vcc_lo, s5, v10, vcc_lo
	s_delay_alu instid0(VALU_DEP_4) | instskip(NEXT) | instid1(VALU_DEP_4)
	v_lshlrev_b64 v[9:10], 4, v[13:14]
	v_add_nc_u32_e32 v13, s3, v15
	v_lshlrev_b64 v[11:12], 4, v[11:12]
	v_ashrrev_i32_e32 v16, 31, v15
	s_movk_i32 s41, 0x230
	s_movk_i32 s42, 0x240
	v_add_nc_u32_e32 v21, s3, v13
	v_ashrrev_i32_e32 v14, 31, v13
	v_add_co_u32 v113, vcc_lo, s4, v11
	v_lshlrev_b64 v[15:16], 4, v[15:16]
	s_delay_alu instid0(VALU_DEP_4) | instskip(SKIP_3) | instid1(VALU_DEP_4)
	v_add_nc_u32_e32 v25, s3, v21
	v_ashrrev_i32_e32 v22, 31, v21
	v_add_co_ci_u32_e32 v114, vcc_lo, s5, v12, vcc_lo
	v_add_co_u32 v115, vcc_lo, s4, v9
	v_add_nc_u32_e32 v29, s3, v25
	v_lshlrev_b64 v[13:14], 4, v[13:14]
	v_ashrrev_i32_e32 v26, 31, v25
	v_add_co_ci_u32_e32 v116, vcc_lo, s5, v10, vcc_lo
	s_delay_alu instid0(VALU_DEP_4) | instskip(SKIP_3) | instid1(VALU_DEP_4)
	v_add_nc_u32_e32 v37, s3, v29
	v_add_co_u32 v117, vcc_lo, s4, v15
	v_lshlrev_b64 v[27:28], 4, v[21:22]
	v_ashrrev_i32_e32 v30, 31, v29
	v_add_nc_u32_e32 v41, s3, v37
	v_add_co_ci_u32_e32 v118, vcc_lo, s5, v16, vcc_lo
	v_add_co_u32 v119, vcc_lo, s4, v13
	v_lshlrev_b64 v[25:26], 4, v[25:26]
	v_ashrrev_i32_e32 v38, 31, v37
	v_add_co_ci_u32_e32 v120, vcc_lo, s5, v14, vcc_lo
	v_add_nc_u32_e32 v55, s3, v41
	v_add_co_u32 v121, vcc_lo, s4, v27
	v_lshlrev_b64 v[39:40], 4, v[29:30]
	v_ashrrev_i32_e32 v42, 31, v41
	v_add_co_ci_u32_e32 v122, vcc_lo, s5, v28, vcc_lo
	v_add_co_u32 v123, vcc_lo, s4, v25
	v_lshlrev_b64 v[37:38], 4, v[37:38]
	v_add_nc_u32_e32 v59, s3, v55
	v_add_co_ci_u32_e32 v124, vcc_lo, s5, v26, vcc_lo
	v_add_co_u32 v125, vcc_lo, s4, v39
	v_lshlrev_b64 v[57:58], 4, v[41:42]
	v_ashrrev_i32_e32 v56, 31, v55
	v_add_co_ci_u32_e32 v126, vcc_lo, s5, v40, vcc_lo
	v_add_co_u32 v127, vcc_lo, s4, v37
	v_ashrrev_i32_e32 v60, 31, v59
	v_add_nc_u32_e32 v61, s3, v59
	v_add_co_ci_u32_e32 v128, vcc_lo, s5, v38, vcc_lo
	v_lshlrev_b64 v[55:56], 4, v[55:56]
	v_add_co_u32 v129, vcc_lo, s4, v57
	v_add_co_ci_u32_e32 v130, vcc_lo, s5, v58, vcc_lo
	v_lshlrev_b64 v[57:58], 4, v[59:60]
	v_ashrrev_i32_e32 v62, 31, v61
	v_add_nc_u32_e32 v59, s3, v61
	v_add_co_u32 v131, vcc_lo, s4, v55
	v_add_co_ci_u32_e32 v132, vcc_lo, s5, v56, vcc_lo
	s_delay_alu instid0(VALU_DEP_4) | instskip(NEXT) | instid1(VALU_DEP_4)
	v_lshlrev_b64 v[55:56], 4, v[61:62]
	v_ashrrev_i32_e32 v60, 31, v59
	v_add_nc_u32_e32 v61, s3, v59
	v_add_co_u32 v133, vcc_lo, s4, v57
	v_add_co_ci_u32_e32 v134, vcc_lo, s5, v58, vcc_lo
	s_delay_alu instid0(VALU_DEP_4) | instskip(NEXT) | instid1(VALU_DEP_4)
	;; [unrolled: 6-line block ×3, first 2 shown]
	v_lshlrev_b64 v[55:56], 4, v[61:62]
	v_add_nc_u32_e32 v61, s3, v59
	s_clause 0x1
	global_load_b128 v[17:20], v[111:112], off
	global_load_b128 v[9:12], v[113:114], off
	v_ashrrev_i32_e32 v60, 31, v59
	v_add_co_u32 v137, vcc_lo, s4, v57
	v_add_nc_u32_e32 v63, s3, v61
	v_add_co_ci_u32_e32 v138, vcc_lo, s5, v58, vcc_lo
	v_ashrrev_i32_e32 v62, 31, v61
	s_clause 0x1
	global_load_b128 v[21:24], v[115:116], off
	global_load_b128 v[13:16], v[117:118], off
	v_add_nc_u32_e32 v67, s3, v63
	s_clause 0x5
	global_load_b128 v[29:32], v[119:120], off
	global_load_b128 v[25:28], v[121:122], off
	;; [unrolled: 1-line block ×6, first 2 shown]
	s_waitcnt vmcnt(38)
	scratch_store_b128 off, v[1:4], off
	v_add_nc_u32_e32 v91, s3, v67
	v_add_co_u32 v139, vcc_lo, s4, v55
	s_clause 0x1
	global_load_b128 v[1:4], v[131:132], off
	global_load_b128 v[250:253], v[133:134], off
	s_waitcnt vmcnt(39)
	scratch_store_b128 off, v[5:8], off offset:16
	v_lshlrev_b64 v[59:60], 4, v[59:60]
	s_waitcnt vmcnt(38)
	scratch_store_b128 off, v[141:144], off offset:32
	s_waitcnt vmcnt(37)
	scratch_store_b128 off, v[145:148], off offset:48
	v_add_co_ci_u32_e32 v140, vcc_lo, s5, v56, vcc_lo
	s_clause 0x1
	global_load_b128 v[5:8], v[135:136], off
	global_load_b128 v[55:58], v[137:138], off
	v_ashrrev_i32_e32 v64, 31, v63
	v_lshlrev_b64 v[61:62], 4, v[61:62]
	v_ashrrev_i32_e32 v68, 31, v67
	s_waitcnt vmcnt(38)
	scratch_store_b128 off, v[149:152], off offset:64
	v_add_nc_u32_e32 v149, s3, v91
	v_add_co_u32 v141, vcc_lo, s4, v59
	v_lshlrev_b64 v[69:70], 4, v[63:64]
	v_ashrrev_i32_e32 v92, 31, v91
	s_delay_alu instid0(VALU_DEP_4)
	v_add_nc_u32_e32 v151, s3, v149
	v_add_co_ci_u32_e32 v142, vcc_lo, s5, v60, vcc_lo
	v_add_co_u32 v143, vcc_lo, s4, v61
	v_lshlrev_b64 v[67:68], 4, v[67:68]
	v_add_co_ci_u32_e32 v144, vcc_lo, s5, v62, vcc_lo
	s_waitcnt vmcnt(37)
	scratch_store_b128 off, v[153:156], off offset:80
	s_waitcnt vmcnt(36)
	scratch_store_b128 off, v[157:160], off offset:96
	v_add_nc_u32_e32 v155, s3, v151
	v_add_co_u32 v145, vcc_lo, s4, v69
	v_lshlrev_b64 v[91:92], 4, v[91:92]
	v_ashrrev_i32_e32 v150, 31, v149
	v_add_co_ci_u32_e32 v146, vcc_lo, s5, v70, vcc_lo
	v_add_co_u32 v147, vcc_lo, s4, v67
	v_ashrrev_i32_e32 v152, 31, v151
	v_add_nc_u32_e32 v157, s3, v155
	v_add_co_ci_u32_e32 v148, vcc_lo, s5, v68, vcc_lo
	v_lshlrev_b64 v[153:154], 4, v[149:150]
	v_add_co_u32 v149, vcc_lo, s4, v91
	v_add_co_ci_u32_e32 v150, vcc_lo, s5, v92, vcc_lo
	v_lshlrev_b64 v[91:92], 4, v[151:152]
	v_ashrrev_i32_e32 v156, 31, v155
	v_add_nc_u32_e32 v159, s3, v157
	v_add_co_u32 v151, vcc_lo, s4, v153
	v_ashrrev_i32_e32 v158, 31, v157
	v_add_co_ci_u32_e32 v152, vcc_lo, s5, v154, vcc_lo
	v_lshlrev_b64 v[155:156], 4, v[155:156]
	s_clause 0x1
	global_load_b128 v[59:62], v[139:140], off
	global_load_b128 v[63:66], v[141:142], off
	s_waitcnt vmcnt(37)
	scratch_store_b128 off, v[161:164], off offset:112
	v_add_co_u32 v153, vcc_lo, s4, v91
	v_add_nc_u32_e32 v161, s3, v159
	v_add_co_ci_u32_e32 v154, vcc_lo, s5, v92, vcc_lo
	v_lshlrev_b64 v[91:92], 4, v[157:158]
	v_ashrrev_i32_e32 v160, 31, v159
	v_add_co_u32 v155, vcc_lo, s4, v155
	v_ashrrev_i32_e32 v162, 31, v161
	v_add_nc_u32_e32 v163, s3, v161
	v_add_co_ci_u32_e32 v156, vcc_lo, s5, v156, vcc_lo
	v_lshlrev_b64 v[159:160], 4, v[159:160]
	v_add_co_u32 v157, vcc_lo, s4, v91
	v_add_co_ci_u32_e32 v158, vcc_lo, s5, v92, vcc_lo
	v_lshlrev_b64 v[91:92], 4, v[161:162]
	s_waitcnt vmcnt(36)
	scratch_store_b128 off, v[165:168], off offset:128
	s_waitcnt vmcnt(35)
	scratch_store_b128 off, v[170:173], off offset:144
	v_add_nc_u32_e32 v165, s3, v163
	v_add_co_u32 v159, vcc_lo, s4, v159
	v_add_co_ci_u32_e32 v160, vcc_lo, s5, v160, vcc_lo
	v_add_co_u32 v161, vcc_lo, s4, v91
	s_delay_alu instid0(VALU_DEP_4) | instskip(SKIP_3) | instid1(VALU_DEP_4)
	v_add_nc_u32_e32 v91, s3, v165
	v_ashrrev_i32_e32 v164, 31, v163
	v_add_co_ci_u32_e32 v162, vcc_lo, s5, v92, vcc_lo
	v_ashrrev_i32_e32 v166, 31, v165
	v_ashrrev_i32_e32 v92, 31, v91
	s_delay_alu instid0(VALU_DEP_4)
	v_lshlrev_b64 v[163:164], 4, v[163:164]
	s_clause 0x1
	global_load_b128 v[170:173], v[143:144], off
	global_load_b128 v[67:70], v[145:146], off
	s_waitcnt vmcnt(36)
	scratch_store_b128 off, v[174:177], off offset:160
	v_lshlrev_b64 v[165:166], 4, v[165:166]
	v_lshlrev_b64 v[167:168], 4, v[91:92]
	v_add_nc_u32_e32 v91, s3, v91
	s_waitcnt vmcnt(35)
	scratch_store_b128 off, v[178:181], off offset:176
	s_waitcnt vmcnt(34)
	scratch_store_b128 off, v[182:185], off offset:192
	s_clause 0x1
	global_load_b128 v[174:177], v[147:148], off
	global_load_b128 v[178:181], v[149:150], off
	s_waitcnt vmcnt(35)
	scratch_store_b128 off, v[186:189], off offset:208
	s_waitcnt vmcnt(34)
	scratch_store_b128 off, v[190:193], off offset:224
	;; [unrolled: 2-line block ×3, first 2 shown]
	s_clause 0x1
	global_load_b128 v[182:185], v[151:152], off
	global_load_b128 v[186:189], v[153:154], off
	s_waitcnt vmcnt(34)
	scratch_store_b128 off, v[198:201], off offset:256
	s_waitcnt vmcnt(33)
	scratch_store_b128 off, v[202:205], off offset:272
	;; [unrolled: 2-line block ×3, first 2 shown]
	v_add_co_u32 v163, vcc_lo, s4, v163
	s_clause 0x1
	global_load_b128 v[190:193], v[155:156], off
	global_load_b128 v[194:197], v[157:158], off
	s_waitcnt vmcnt(33)
	scratch_store_b128 off, v[210:213], off offset:304
	s_waitcnt vmcnt(32)
	scratch_store_b128 off, v[214:217], off offset:320
	;; [unrolled: 2-line block ×5, first 2 shown]
	v_add_nc_u32_e32 v214, s3, v91
	v_add_co_ci_u32_e32 v164, vcc_lo, s5, v164, vcc_lo
	v_add_co_u32 v165, vcc_lo, s4, v165
	v_add_co_ci_u32_e32 v166, vcc_lo, s5, v166, vcc_lo
	v_ashrrev_i32_e32 v92, 31, v91
	v_add_co_u32 v167, vcc_lo, s4, v167
	v_add_nc_u32_e32 v216, s3, v214
	v_add_co_ci_u32_e32 v168, vcc_lo, s5, v168, vcc_lo
	v_ashrrev_i32_e32 v215, 31, v214
	v_lshlrev_b64 v[91:92], 4, v[91:92]
	s_delay_alu instid0(VALU_DEP_4)
	v_ashrrev_i32_e32 v217, 31, v216
	s_clause 0x3
	global_load_b128 v[198:201], v[159:160], off
	global_load_b128 v[202:205], v[161:162], off
	;; [unrolled: 1-line block ×4, first 2 shown]
	s_waitcnt vmcnt(32)
	scratch_store_b128 off, v[234:237], off offset:384
	s_waitcnt vmcnt(31)
	scratch_store_b128 off, v[238:241], off offset:400
	global_load_b128 v[232:235], v[167:168], off
	s_waitcnt vmcnt(31)
	scratch_store_b128 off, v[45:48], off offset:416
	s_waitcnt vmcnt(30)
	scratch_store_b128 off, v[49:52], off offset:432
	v_lshlrev_b64 v[48:49], 4, v[214:215]
	v_add_co_u32 v46, vcc_lo, s4, v91
	v_lshlrev_b64 v[50:51], 4, v[216:217]
	v_add_co_ci_u32_e32 v47, vcc_lo, s5, v92, vcc_lo
	s_delay_alu instid0(VALU_DEP_4) | instskip(SKIP_1) | instid1(VALU_DEP_4)
	v_add_co_u32 v48, vcc_lo, s4, v48
	v_add_co_ci_u32_e32 v49, vcc_lo, s5, v49, vcc_lo
	v_add_co_u32 v50, vcc_lo, s4, v50
	v_add_co_ci_u32_e32 v51, vcc_lo, s5, v51, vcc_lo
	s_clause 0x1
	global_load_b128 v[238:241], v[46:47], off
	global_load_b128 v[214:217], v[48:49], off
	s_waitcnt vmcnt(31)
	scratch_store_b128 off, v[33:36], off offset:448
	s_movk_i32 s3, 0x60
	global_load_b128 v[33:36], v[50:51], off
	s_movk_i32 s4, 0x70
	s_movk_i32 s5, 0x80
	;; [unrolled: 1-line block ×26, first 2 shown]
	v_add_nc_u32_e64 v228, 0, 16
	v_add_nc_u32_e64 v231, 0, 32
	;; [unrolled: 1-line block ×14, first 2 shown]
	s_bitcmp0_b32 s15, 0
	s_mov_b32 s3, -1
	s_waitcnt vmcnt(31)
	scratch_store_b128 off, v[17:20], off offset:464
	s_waitcnt vmcnt(30)
	scratch_store_b128 off, v[9:12], off offset:480
	v_add_nc_u32_e64 v9, s20, 0
	scratch_store_b32 off, v9, off offset:1040 ; 4-byte Folded Spill
	s_waitcnt vmcnt(29)
	scratch_store_b128 off, v[21:24], off offset:496
	s_waitcnt vmcnt(28)
	scratch_store_b128 off, v[13:16], off offset:512
	v_add_nc_u32_e64 v9, s21, 0
	scratch_store_b32 off, v9, off offset:1036 ; 4-byte Folded Spill
	s_waitcnt vmcnt(27)
	scratch_store_b128 off, v[29:32], off offset:528
	v_add_nc_u32_e64 v9, s22, 0
	scratch_store_b32 off, v9, off offset:1032 ; 4-byte Folded Spill
	v_add_nc_u32_e64 v9, s23, 0
	scratch_store_b32 off, v9, off offset:1028 ; 4-byte Folded Spill
	v_add_nc_u32_e64 v9, s24, 0
	scratch_store_b32 off, v9, off offset:1024 ; 4-byte Folded Spill
	v_add_nc_u32_e64 v9, s25, 0
	scratch_store_b32 off, v9, off offset:1020 ; 4-byte Folded Spill
	s_waitcnt vmcnt(26)
	scratch_store_b128 off, v[25:28], off offset:544
	v_add_nc_u32_e64 v9, s26, 0
	scratch_store_b32 off, v9, off offset:1016 ; 4-byte Folded Spill
	v_add_nc_u32_e64 v9, s27, 0
	scratch_store_b32 off, v9, off offset:1012 ; 4-byte Folded Spill
	v_add_nc_u32_e64 v9, s28, 0
	scratch_store_b32 off, v9, off offset:1008 ; 4-byte Folded Spill
	;; [unrolled: 10-line block ×4, first 2 shown]
	s_waitcnt vmcnt(23)
	scratch_store_b128 off, v[242:245], off offset:592
	s_waitcnt vmcnt(22)
	scratch_store_b128 off, v[246:249], off offset:608
	;; [unrolled: 2-line block ×21, first 2 shown]
	v_add_nc_u32_e64 v56, s38, 0
	v_add_nc_u32_e64 v203, s39, 0
	;; [unrolled: 1-line block ×29, first 2 shown]
	s_waitcnt vmcnt(2)
	scratch_store_b128 off, v[238:241], off offset:928
	s_waitcnt vmcnt(1)
	scratch_store_b128 off, v[214:217], off offset:944
	;; [unrolled: 2-line block ×3, first 2 shown]
	s_cbranch_scc1 .LBB124_268
; %bb.4:
	v_cmp_eq_u32_e64 s2, 0, v169
	s_delay_alu instid0(VALU_DEP_1)
	s_and_saveexec_b32 s3, s2
	s_cbranch_execz .LBB124_6
; %bb.5:
	v_mov_b32_e32 v1, 0
	ds_store_b32 v1, v1 offset:1952
.LBB124_6:
	s_or_b32 exec_lo, exec_lo, s3
	s_waitcnt lgkmcnt(0)
	s_waitcnt_vscnt null, 0x0
	s_barrier
	buffer_gl0_inv
	scratch_load_b128 v[1:4], v229, off
	s_waitcnt vmcnt(0)
	v_cmp_eq_f64_e32 vcc_lo, 0, v[1:2]
	v_cmp_eq_f64_e64 s3, 0, v[3:4]
	s_delay_alu instid0(VALU_DEP_1) | instskip(NEXT) | instid1(SALU_CYCLE_1)
	s_and_b32 s3, vcc_lo, s3
	s_and_saveexec_b32 s4, s3
	s_cbranch_execz .LBB124_10
; %bb.7:
	v_mov_b32_e32 v1, 0
	s_mov_b32 s5, 0
	ds_load_b32 v2, v1 offset:1952
	s_waitcnt lgkmcnt(0)
	v_readfirstlane_b32 s3, v2
	v_add_nc_u32_e32 v2, 1, v169
	s_delay_alu instid0(VALU_DEP_2) | instskip(NEXT) | instid1(VALU_DEP_1)
	s_cmp_eq_u32 s3, 0
	v_cmp_gt_i32_e32 vcc_lo, s3, v2
	s_cselect_b32 s12, -1, 0
	s_delay_alu instid0(SALU_CYCLE_1) | instskip(NEXT) | instid1(SALU_CYCLE_1)
	s_or_b32 s12, s12, vcc_lo
	s_and_b32 exec_lo, exec_lo, s12
	s_cbranch_execz .LBB124_10
; %bb.8:
	v_mov_b32_e32 v3, s3
.LBB124_9:                              ; =>This Inner Loop Header: Depth=1
	ds_cmpstore_rtn_b32 v3, v1, v2, v3 offset:1952
	s_waitcnt lgkmcnt(0)
	v_cmp_ne_u32_e32 vcc_lo, 0, v3
	v_cmp_le_i32_e64 s3, v3, v2
	s_delay_alu instid0(VALU_DEP_1) | instskip(NEXT) | instid1(SALU_CYCLE_1)
	s_and_b32 s3, vcc_lo, s3
	s_and_b32 s3, exec_lo, s3
	s_delay_alu instid0(SALU_CYCLE_1) | instskip(NEXT) | instid1(SALU_CYCLE_1)
	s_or_b32 s5, s3, s5
	s_and_not1_b32 exec_lo, exec_lo, s5
	s_cbranch_execnz .LBB124_9
.LBB124_10:
	s_or_b32 exec_lo, exec_lo, s4
	v_mov_b32_e32 v1, 0
	s_barrier
	buffer_gl0_inv
	ds_load_b32 v2, v1 offset:1952
	s_and_saveexec_b32 s3, s2
	s_cbranch_execz .LBB124_12
; %bb.11:
	s_lshl_b64 s[4:5], s[10:11], 2
	s_delay_alu instid0(SALU_CYCLE_1)
	s_add_u32 s4, s6, s4
	s_addc_u32 s5, s7, s5
	s_waitcnt lgkmcnt(0)
	global_store_b32 v1, v2, s[4:5]
.LBB124_12:
	s_or_b32 exec_lo, exec_lo, s3
	s_waitcnt lgkmcnt(0)
	v_cmp_ne_u32_e32 vcc_lo, 0, v2
	s_mov_b32 s3, 0
	s_cbranch_vccnz .LBB124_268
; %bb.13:
	v_add_nc_u32_e32 v13, 0, v229
                                        ; implicit-def: $vgpr9_vgpr10
	scratch_load_b128 v[1:4], v13, off
	s_waitcnt vmcnt(0)
	v_cmp_gt_f64_e32 vcc_lo, 0, v[1:2]
	v_xor_b32_e32 v6, 0x80000000, v2
	v_xor_b32_e32 v7, 0x80000000, v4
	s_delay_alu instid0(VALU_DEP_2) | instskip(SKIP_1) | instid1(VALU_DEP_3)
	v_cndmask_b32_e32 v6, v2, v6, vcc_lo
	v_cmp_gt_f64_e32 vcc_lo, 0, v[3:4]
	v_dual_mov_b32 v5, v1 :: v_dual_cndmask_b32 v8, v4, v7
	v_mov_b32_e32 v7, v3
	s_delay_alu instid0(VALU_DEP_1) | instskip(SKIP_1) | instid1(SALU_CYCLE_1)
	v_cmp_ngt_f64_e32 vcc_lo, v[5:6], v[7:8]
                                        ; implicit-def: $vgpr5_vgpr6
	s_and_saveexec_b32 s3, vcc_lo
	s_xor_b32 s3, exec_lo, s3
	s_cbranch_execz .LBB124_15
; %bb.14:
	v_div_scale_f64 v[5:6], null, v[3:4], v[3:4], v[1:2]
	v_div_scale_f64 v[11:12], vcc_lo, v[1:2], v[3:4], v[1:2]
	s_delay_alu instid0(VALU_DEP_2) | instskip(SKIP_2) | instid1(VALU_DEP_1)
	v_rcp_f64_e32 v[7:8], v[5:6]
	s_waitcnt_depctr 0xfff
	v_fma_f64 v[9:10], -v[5:6], v[7:8], 1.0
	v_fma_f64 v[7:8], v[7:8], v[9:10], v[7:8]
	s_delay_alu instid0(VALU_DEP_1) | instskip(NEXT) | instid1(VALU_DEP_1)
	v_fma_f64 v[9:10], -v[5:6], v[7:8], 1.0
	v_fma_f64 v[7:8], v[7:8], v[9:10], v[7:8]
	s_delay_alu instid0(VALU_DEP_1) | instskip(NEXT) | instid1(VALU_DEP_1)
	v_mul_f64 v[9:10], v[11:12], v[7:8]
	v_fma_f64 v[5:6], -v[5:6], v[9:10], v[11:12]
	s_delay_alu instid0(VALU_DEP_1) | instskip(NEXT) | instid1(VALU_DEP_1)
	v_div_fmas_f64 v[5:6], v[5:6], v[7:8], v[9:10]
	v_div_fixup_f64 v[5:6], v[5:6], v[3:4], v[1:2]
	s_delay_alu instid0(VALU_DEP_1) | instskip(NEXT) | instid1(VALU_DEP_1)
	v_fma_f64 v[1:2], v[1:2], v[5:6], v[3:4]
	v_div_scale_f64 v[3:4], null, v[1:2], v[1:2], 1.0
	v_div_scale_f64 v[11:12], vcc_lo, 1.0, v[1:2], 1.0
	s_delay_alu instid0(VALU_DEP_2) | instskip(SKIP_2) | instid1(VALU_DEP_1)
	v_rcp_f64_e32 v[7:8], v[3:4]
	s_waitcnt_depctr 0xfff
	v_fma_f64 v[9:10], -v[3:4], v[7:8], 1.0
	v_fma_f64 v[7:8], v[7:8], v[9:10], v[7:8]
	s_delay_alu instid0(VALU_DEP_1) | instskip(NEXT) | instid1(VALU_DEP_1)
	v_fma_f64 v[9:10], -v[3:4], v[7:8], 1.0
	v_fma_f64 v[7:8], v[7:8], v[9:10], v[7:8]
	s_delay_alu instid0(VALU_DEP_1) | instskip(NEXT) | instid1(VALU_DEP_1)
	v_mul_f64 v[9:10], v[11:12], v[7:8]
	v_fma_f64 v[3:4], -v[3:4], v[9:10], v[11:12]
	s_delay_alu instid0(VALU_DEP_1) | instskip(NEXT) | instid1(VALU_DEP_1)
	v_div_fmas_f64 v[3:4], v[3:4], v[7:8], v[9:10]
	v_div_fixup_f64 v[7:8], v[3:4], v[1:2], 1.0
                                        ; implicit-def: $vgpr1_vgpr2
	s_delay_alu instid0(VALU_DEP_1) | instskip(SKIP_1) | instid1(VALU_DEP_2)
	v_mul_f64 v[5:6], v[5:6], v[7:8]
	v_xor_b32_e32 v8, 0x80000000, v8
	v_xor_b32_e32 v10, 0x80000000, v6
	s_delay_alu instid0(VALU_DEP_3)
	v_mov_b32_e32 v9, v5
.LBB124_15:
	s_and_not1_saveexec_b32 s3, s3
	s_cbranch_execz .LBB124_17
; %bb.16:
	v_div_scale_f64 v[5:6], null, v[1:2], v[1:2], v[3:4]
	v_div_scale_f64 v[11:12], vcc_lo, v[3:4], v[1:2], v[3:4]
	s_delay_alu instid0(VALU_DEP_2) | instskip(SKIP_2) | instid1(VALU_DEP_1)
	v_rcp_f64_e32 v[7:8], v[5:6]
	s_waitcnt_depctr 0xfff
	v_fma_f64 v[9:10], -v[5:6], v[7:8], 1.0
	v_fma_f64 v[7:8], v[7:8], v[9:10], v[7:8]
	s_delay_alu instid0(VALU_DEP_1) | instskip(NEXT) | instid1(VALU_DEP_1)
	v_fma_f64 v[9:10], -v[5:6], v[7:8], 1.0
	v_fma_f64 v[7:8], v[7:8], v[9:10], v[7:8]
	s_delay_alu instid0(VALU_DEP_1) | instskip(NEXT) | instid1(VALU_DEP_1)
	v_mul_f64 v[9:10], v[11:12], v[7:8]
	v_fma_f64 v[5:6], -v[5:6], v[9:10], v[11:12]
	s_delay_alu instid0(VALU_DEP_1) | instskip(NEXT) | instid1(VALU_DEP_1)
	v_div_fmas_f64 v[5:6], v[5:6], v[7:8], v[9:10]
	v_div_fixup_f64 v[7:8], v[5:6], v[1:2], v[3:4]
	s_delay_alu instid0(VALU_DEP_1) | instskip(NEXT) | instid1(VALU_DEP_1)
	v_fma_f64 v[1:2], v[3:4], v[7:8], v[1:2]
	v_div_scale_f64 v[3:4], null, v[1:2], v[1:2], 1.0
	s_delay_alu instid0(VALU_DEP_1) | instskip(SKIP_2) | instid1(VALU_DEP_1)
	v_rcp_f64_e32 v[5:6], v[3:4]
	s_waitcnt_depctr 0xfff
	v_fma_f64 v[9:10], -v[3:4], v[5:6], 1.0
	v_fma_f64 v[5:6], v[5:6], v[9:10], v[5:6]
	s_delay_alu instid0(VALU_DEP_1) | instskip(NEXT) | instid1(VALU_DEP_1)
	v_fma_f64 v[9:10], -v[3:4], v[5:6], 1.0
	v_fma_f64 v[5:6], v[5:6], v[9:10], v[5:6]
	v_div_scale_f64 v[9:10], vcc_lo, 1.0, v[1:2], 1.0
	s_delay_alu instid0(VALU_DEP_1) | instskip(NEXT) | instid1(VALU_DEP_1)
	v_mul_f64 v[11:12], v[9:10], v[5:6]
	v_fma_f64 v[3:4], -v[3:4], v[11:12], v[9:10]
	s_delay_alu instid0(VALU_DEP_1) | instskip(NEXT) | instid1(VALU_DEP_1)
	v_div_fmas_f64 v[3:4], v[3:4], v[5:6], v[11:12]
	v_div_fixup_f64 v[5:6], v[3:4], v[1:2], 1.0
	s_delay_alu instid0(VALU_DEP_1)
	v_mul_f64 v[7:8], v[7:8], -v[5:6]
	v_xor_b32_e32 v10, 0x80000000, v6
	v_mov_b32_e32 v9, v5
.LBB124_17:
	s_or_b32 exec_lo, exec_lo, s3
	scratch_store_b128 v13, v[5:8], off
	scratch_load_b128 v[1:4], v228, off
	v_xor_b32_e32 v12, 0x80000000, v8
	v_mov_b32_e32 v11, v7
	v_add_nc_u32_e32 v5, 0x3d0, v229
	ds_store_b128 v229, v[9:12]
	s_waitcnt vmcnt(0)
	ds_store_b128 v229, v[1:4] offset:976
	s_waitcnt lgkmcnt(0)
	s_waitcnt_vscnt null, 0x0
	s_barrier
	buffer_gl0_inv
	s_and_saveexec_b32 s3, s2
	s_cbranch_execz .LBB124_19
; %bb.18:
	scratch_load_b128 v[1:4], v13, off
	ds_load_b128 v[6:9], v5
	v_mov_b32_e32 v10, 0
	ds_load_b128 v[14:17], v10 offset:16
	s_waitcnt vmcnt(0) lgkmcnt(1)
	v_mul_f64 v[10:11], v[6:7], v[3:4]
	v_mul_f64 v[3:4], v[8:9], v[3:4]
	s_delay_alu instid0(VALU_DEP_2) | instskip(NEXT) | instid1(VALU_DEP_2)
	v_fma_f64 v[8:9], v[8:9], v[1:2], v[10:11]
	v_fma_f64 v[1:2], v[6:7], v[1:2], -v[3:4]
	s_delay_alu instid0(VALU_DEP_2) | instskip(NEXT) | instid1(VALU_DEP_2)
	v_add_f64 v[3:4], v[8:9], 0
	v_add_f64 v[1:2], v[1:2], 0
	s_waitcnt lgkmcnt(0)
	s_delay_alu instid0(VALU_DEP_2) | instskip(NEXT) | instid1(VALU_DEP_2)
	v_mul_f64 v[6:7], v[3:4], v[16:17]
	v_mul_f64 v[8:9], v[1:2], v[16:17]
	s_delay_alu instid0(VALU_DEP_2) | instskip(NEXT) | instid1(VALU_DEP_2)
	v_fma_f64 v[1:2], v[1:2], v[14:15], -v[6:7]
	v_fma_f64 v[3:4], v[3:4], v[14:15], v[8:9]
	scratch_store_b128 off, v[1:4], off offset:16
.LBB124_19:
	s_or_b32 exec_lo, exec_lo, s3
	s_waitcnt_vscnt null, 0x0
	s_barrier
	buffer_gl0_inv
	scratch_load_b128 v[1:4], v231, off
	v_cmp_gt_u32_e32 vcc_lo, 2, v169
	s_waitcnt vmcnt(0)
	ds_store_b128 v5, v[1:4]
	s_waitcnt lgkmcnt(0)
	s_barrier
	buffer_gl0_inv
	s_and_saveexec_b32 s3, vcc_lo
	s_cbranch_execz .LBB124_23
; %bb.20:
	scratch_load_b128 v[1:4], v13, off
	ds_load_b128 v[6:9], v5
	s_waitcnt vmcnt(0) lgkmcnt(0)
	v_mul_f64 v[10:11], v[8:9], v[3:4]
	v_mul_f64 v[3:4], v[6:7], v[3:4]
	s_delay_alu instid0(VALU_DEP_2) | instskip(NEXT) | instid1(VALU_DEP_2)
	v_fma_f64 v[6:7], v[6:7], v[1:2], -v[10:11]
	v_fma_f64 v[3:4], v[8:9], v[1:2], v[3:4]
	s_delay_alu instid0(VALU_DEP_2) | instskip(NEXT) | instid1(VALU_DEP_2)
	v_add_f64 v[1:2], v[6:7], 0
	v_add_f64 v[3:4], v[3:4], 0
	s_and_saveexec_b32 s4, s2
	s_cbranch_execz .LBB124_22
; %bb.21:
	scratch_load_b128 v[6:9], off, off offset:16
	v_mov_b32_e32 v10, 0
	ds_load_b128 v[14:17], v10 offset:992
	s_waitcnt vmcnt(0) lgkmcnt(0)
	v_mul_f64 v[10:11], v[14:15], v[8:9]
	v_mul_f64 v[8:9], v[16:17], v[8:9]
	s_delay_alu instid0(VALU_DEP_2) | instskip(NEXT) | instid1(VALU_DEP_2)
	v_fma_f64 v[10:11], v[16:17], v[6:7], v[10:11]
	v_fma_f64 v[6:7], v[14:15], v[6:7], -v[8:9]
	s_delay_alu instid0(VALU_DEP_2) | instskip(NEXT) | instid1(VALU_DEP_2)
	v_add_f64 v[3:4], v[3:4], v[10:11]
	v_add_f64 v[1:2], v[1:2], v[6:7]
.LBB124_22:
	s_or_b32 exec_lo, exec_lo, s4
	v_mov_b32_e32 v6, 0
	ds_load_b128 v[6:9], v6 offset:32
	s_waitcnt lgkmcnt(0)
	v_mul_f64 v[10:11], v[3:4], v[8:9]
	v_mul_f64 v[8:9], v[1:2], v[8:9]
	s_delay_alu instid0(VALU_DEP_2) | instskip(NEXT) | instid1(VALU_DEP_2)
	v_fma_f64 v[1:2], v[1:2], v[6:7], -v[10:11]
	v_fma_f64 v[3:4], v[3:4], v[6:7], v[8:9]
	scratch_store_b128 off, v[1:4], off offset:32
.LBB124_23:
	s_or_b32 exec_lo, exec_lo, s3
	s_waitcnt_vscnt null, 0x0
	s_barrier
	buffer_gl0_inv
	scratch_load_b128 v[1:4], v230, off
	v_add_nc_u32_e32 v6, -1, v169
	s_mov_b32 s4, exec_lo
	s_waitcnt vmcnt(0)
	ds_store_b128 v5, v[1:4]
	s_waitcnt lgkmcnt(0)
	s_barrier
	buffer_gl0_inv
	v_cmpx_gt_u32_e32 3, v169
	s_cbranch_execz .LBB124_27
; %bb.24:
	v_dual_mov_b32 v1, 0 :: v_dual_add_nc_u32 v8, 0x3d0, v229
	v_dual_mov_b32 v2, 0 :: v_dual_add_nc_u32 v7, -1, v169
	v_or_b32_e32 v9, 8, v13
	s_mov_b32 s5, 0
	s_delay_alu instid0(VALU_DEP_2)
	v_dual_mov_b32 v4, v2 :: v_dual_mov_b32 v3, v1
	.p2align	6
.LBB124_25:                             ; =>This Inner Loop Header: Depth=1
	scratch_load_b128 v[14:17], v9, off offset:-8
	ds_load_b128 v[18:21], v8
	v_add_nc_u32_e32 v7, 1, v7
	v_add_nc_u32_e32 v8, 16, v8
	;; [unrolled: 1-line block ×3, first 2 shown]
	s_delay_alu instid0(VALU_DEP_3) | instskip(NEXT) | instid1(VALU_DEP_1)
	v_cmp_lt_u32_e64 s3, 1, v7
	s_or_b32 s5, s3, s5
	s_waitcnt vmcnt(0) lgkmcnt(0)
	v_mul_f64 v[10:11], v[20:21], v[16:17]
	v_mul_f64 v[16:17], v[18:19], v[16:17]
	s_delay_alu instid0(VALU_DEP_2) | instskip(NEXT) | instid1(VALU_DEP_2)
	v_fma_f64 v[10:11], v[18:19], v[14:15], -v[10:11]
	v_fma_f64 v[14:15], v[20:21], v[14:15], v[16:17]
	s_delay_alu instid0(VALU_DEP_2) | instskip(NEXT) | instid1(VALU_DEP_2)
	v_add_f64 v[3:4], v[3:4], v[10:11]
	v_add_f64 v[1:2], v[1:2], v[14:15]
	s_and_not1_b32 exec_lo, exec_lo, s5
	s_cbranch_execnz .LBB124_25
; %bb.26:
	s_or_b32 exec_lo, exec_lo, s5
	v_mov_b32_e32 v7, 0
	ds_load_b128 v[7:10], v7 offset:48
	s_waitcnt lgkmcnt(0)
	v_mul_f64 v[11:12], v[1:2], v[9:10]
	v_mul_f64 v[14:15], v[3:4], v[9:10]
	s_delay_alu instid0(VALU_DEP_2) | instskip(NEXT) | instid1(VALU_DEP_2)
	v_fma_f64 v[9:10], v[3:4], v[7:8], -v[11:12]
	v_fma_f64 v[11:12], v[1:2], v[7:8], v[14:15]
	scratch_store_b128 off, v[9:12], off offset:48
.LBB124_27:
	s_or_b32 exec_lo, exec_lo, s4
	s_waitcnt_vscnt null, 0x0
	s_barrier
	buffer_gl0_inv
	scratch_load_b128 v[1:4], v225, off
	v_cmp_gt_u32_e64 s3, 4, v169
	s_waitcnt vmcnt(0)
	ds_store_b128 v5, v[1:4]
	s_waitcnt lgkmcnt(0)
	s_barrier
	buffer_gl0_inv
	s_and_saveexec_b32 s5, s3
	s_cbranch_execz .LBB124_31
; %bb.28:
	v_dual_mov_b32 v1, 0 :: v_dual_add_nc_u32 v8, 0x3d0, v229
	v_dual_mov_b32 v2, 0 :: v_dual_add_nc_u32 v7, -1, v169
	v_or_b32_e32 v9, 8, v13
	s_mov_b32 s12, 0
	s_delay_alu instid0(VALU_DEP_2)
	v_dual_mov_b32 v4, v2 :: v_dual_mov_b32 v3, v1
	.p2align	6
.LBB124_29:                             ; =>This Inner Loop Header: Depth=1
	scratch_load_b128 v[14:17], v9, off offset:-8
	ds_load_b128 v[18:21], v8
	v_add_nc_u32_e32 v7, 1, v7
	v_add_nc_u32_e32 v8, 16, v8
	;; [unrolled: 1-line block ×3, first 2 shown]
	s_delay_alu instid0(VALU_DEP_3) | instskip(NEXT) | instid1(VALU_DEP_1)
	v_cmp_lt_u32_e64 s4, 2, v7
	s_or_b32 s12, s4, s12
	s_waitcnt vmcnt(0) lgkmcnt(0)
	v_mul_f64 v[10:11], v[20:21], v[16:17]
	v_mul_f64 v[16:17], v[18:19], v[16:17]
	s_delay_alu instid0(VALU_DEP_2) | instskip(NEXT) | instid1(VALU_DEP_2)
	v_fma_f64 v[10:11], v[18:19], v[14:15], -v[10:11]
	v_fma_f64 v[14:15], v[20:21], v[14:15], v[16:17]
	s_delay_alu instid0(VALU_DEP_2) | instskip(NEXT) | instid1(VALU_DEP_2)
	v_add_f64 v[3:4], v[3:4], v[10:11]
	v_add_f64 v[1:2], v[1:2], v[14:15]
	s_and_not1_b32 exec_lo, exec_lo, s12
	s_cbranch_execnz .LBB124_29
; %bb.30:
	s_or_b32 exec_lo, exec_lo, s12
	v_mov_b32_e32 v7, 0
	ds_load_b128 v[7:10], v7 offset:64
	s_waitcnt lgkmcnt(0)
	v_mul_f64 v[11:12], v[1:2], v[9:10]
	v_mul_f64 v[14:15], v[3:4], v[9:10]
	s_delay_alu instid0(VALU_DEP_2) | instskip(NEXT) | instid1(VALU_DEP_2)
	v_fma_f64 v[9:10], v[3:4], v[7:8], -v[11:12]
	v_fma_f64 v[11:12], v[1:2], v[7:8], v[14:15]
	scratch_store_b128 off, v[9:12], off offset:64
.LBB124_31:
	s_or_b32 exec_lo, exec_lo, s5
	s_waitcnt_vscnt null, 0x0
	s_barrier
	buffer_gl0_inv
	scratch_load_b128 v[1:4], v224, off
	s_mov_b32 s5, exec_lo
	s_waitcnt vmcnt(0)
	ds_store_b128 v5, v[1:4]
	s_waitcnt lgkmcnt(0)
	s_barrier
	buffer_gl0_inv
	v_cmpx_gt_u32_e32 5, v169
	s_cbranch_execz .LBB124_35
; %bb.32:
	v_dual_mov_b32 v1, 0 :: v_dual_add_nc_u32 v8, 0x3d0, v229
	v_dual_mov_b32 v2, 0 :: v_dual_add_nc_u32 v7, -1, v169
	v_or_b32_e32 v9, 8, v13
	s_mov_b32 s12, 0
	s_delay_alu instid0(VALU_DEP_2)
	v_dual_mov_b32 v4, v2 :: v_dual_mov_b32 v3, v1
	.p2align	6
.LBB124_33:                             ; =>This Inner Loop Header: Depth=1
	scratch_load_b128 v[14:17], v9, off offset:-8
	ds_load_b128 v[18:21], v8
	v_add_nc_u32_e32 v7, 1, v7
	v_add_nc_u32_e32 v8, 16, v8
	;; [unrolled: 1-line block ×3, first 2 shown]
	s_delay_alu instid0(VALU_DEP_3) | instskip(NEXT) | instid1(VALU_DEP_1)
	v_cmp_lt_u32_e64 s4, 3, v7
	s_or_b32 s12, s4, s12
	s_waitcnt vmcnt(0) lgkmcnt(0)
	v_mul_f64 v[10:11], v[20:21], v[16:17]
	v_mul_f64 v[16:17], v[18:19], v[16:17]
	s_delay_alu instid0(VALU_DEP_2) | instskip(NEXT) | instid1(VALU_DEP_2)
	v_fma_f64 v[10:11], v[18:19], v[14:15], -v[10:11]
	v_fma_f64 v[14:15], v[20:21], v[14:15], v[16:17]
	s_delay_alu instid0(VALU_DEP_2) | instskip(NEXT) | instid1(VALU_DEP_2)
	v_add_f64 v[3:4], v[3:4], v[10:11]
	v_add_f64 v[1:2], v[1:2], v[14:15]
	s_and_not1_b32 exec_lo, exec_lo, s12
	s_cbranch_execnz .LBB124_33
; %bb.34:
	s_or_b32 exec_lo, exec_lo, s12
	v_mov_b32_e32 v7, 0
	ds_load_b128 v[7:10], v7 offset:80
	s_waitcnt lgkmcnt(0)
	v_mul_f64 v[11:12], v[1:2], v[9:10]
	v_mul_f64 v[14:15], v[3:4], v[9:10]
	s_delay_alu instid0(VALU_DEP_2) | instskip(NEXT) | instid1(VALU_DEP_2)
	v_fma_f64 v[9:10], v[3:4], v[7:8], -v[11:12]
	v_fma_f64 v[11:12], v[1:2], v[7:8], v[14:15]
	scratch_store_b128 off, v[9:12], off offset:80
.LBB124_35:
	s_or_b32 exec_lo, exec_lo, s5
	s_waitcnt_vscnt null, 0x0
	s_barrier
	buffer_gl0_inv
	scratch_load_b128 v[1:4], v223, off
	v_cmp_gt_u32_e64 s4, 6, v169
	s_waitcnt vmcnt(0)
	ds_store_b128 v5, v[1:4]
	s_waitcnt lgkmcnt(0)
	s_barrier
	buffer_gl0_inv
	s_and_saveexec_b32 s12, s4
	s_cbranch_execz .LBB124_39
; %bb.36:
	v_dual_mov_b32 v1, 0 :: v_dual_add_nc_u32 v8, 0x3d0, v229
	v_dual_mov_b32 v2, 0 :: v_dual_add_nc_u32 v7, -1, v169
	v_or_b32_e32 v9, 8, v13
	s_mov_b32 s13, 0
	s_delay_alu instid0(VALU_DEP_2)
	v_dual_mov_b32 v4, v2 :: v_dual_mov_b32 v3, v1
	.p2align	6
.LBB124_37:                             ; =>This Inner Loop Header: Depth=1
	scratch_load_b128 v[14:17], v9, off offset:-8
	ds_load_b128 v[18:21], v8
	v_add_nc_u32_e32 v7, 1, v7
	v_add_nc_u32_e32 v8, 16, v8
	;; [unrolled: 1-line block ×3, first 2 shown]
	s_delay_alu instid0(VALU_DEP_3) | instskip(NEXT) | instid1(VALU_DEP_1)
	v_cmp_lt_u32_e64 s5, 4, v7
	s_or_b32 s13, s5, s13
	s_waitcnt vmcnt(0) lgkmcnt(0)
	v_mul_f64 v[10:11], v[20:21], v[16:17]
	v_mul_f64 v[16:17], v[18:19], v[16:17]
	s_delay_alu instid0(VALU_DEP_2) | instskip(NEXT) | instid1(VALU_DEP_2)
	v_fma_f64 v[10:11], v[18:19], v[14:15], -v[10:11]
	v_fma_f64 v[14:15], v[20:21], v[14:15], v[16:17]
	s_delay_alu instid0(VALU_DEP_2) | instskip(NEXT) | instid1(VALU_DEP_2)
	v_add_f64 v[3:4], v[3:4], v[10:11]
	v_add_f64 v[1:2], v[1:2], v[14:15]
	s_and_not1_b32 exec_lo, exec_lo, s13
	s_cbranch_execnz .LBB124_37
; %bb.38:
	s_or_b32 exec_lo, exec_lo, s13
	v_mov_b32_e32 v7, 0
	ds_load_b128 v[7:10], v7 offset:96
	s_waitcnt lgkmcnt(0)
	v_mul_f64 v[11:12], v[1:2], v[9:10]
	v_mul_f64 v[14:15], v[3:4], v[9:10]
	s_delay_alu instid0(VALU_DEP_2) | instskip(NEXT) | instid1(VALU_DEP_2)
	v_fma_f64 v[9:10], v[3:4], v[7:8], -v[11:12]
	v_fma_f64 v[11:12], v[1:2], v[7:8], v[14:15]
	scratch_store_b128 off, v[9:12], off offset:96
.LBB124_39:
	s_or_b32 exec_lo, exec_lo, s12
	s_waitcnt_vscnt null, 0x0
	s_barrier
	buffer_gl0_inv
	scratch_load_b128 v[1:4], v222, off
	s_mov_b32 s12, exec_lo
	s_waitcnt vmcnt(0)
	ds_store_b128 v5, v[1:4]
	s_waitcnt lgkmcnt(0)
	s_barrier
	buffer_gl0_inv
	v_cmpx_gt_u32_e32 7, v169
	s_cbranch_execz .LBB124_43
; %bb.40:
	v_dual_mov_b32 v1, 0 :: v_dual_add_nc_u32 v8, 0x3d0, v229
	v_dual_mov_b32 v2, 0 :: v_dual_add_nc_u32 v7, -1, v169
	v_or_b32_e32 v9, 8, v13
	s_mov_b32 s13, 0
	s_delay_alu instid0(VALU_DEP_2)
	v_dual_mov_b32 v4, v2 :: v_dual_mov_b32 v3, v1
	.p2align	6
.LBB124_41:                             ; =>This Inner Loop Header: Depth=1
	scratch_load_b128 v[14:17], v9, off offset:-8
	ds_load_b128 v[18:21], v8
	v_add_nc_u32_e32 v7, 1, v7
	v_add_nc_u32_e32 v8, 16, v8
	;; [unrolled: 1-line block ×3, first 2 shown]
	s_delay_alu instid0(VALU_DEP_3) | instskip(NEXT) | instid1(VALU_DEP_1)
	v_cmp_lt_u32_e64 s5, 5, v7
	s_or_b32 s13, s5, s13
	s_waitcnt vmcnt(0) lgkmcnt(0)
	v_mul_f64 v[10:11], v[20:21], v[16:17]
	v_mul_f64 v[16:17], v[18:19], v[16:17]
	s_delay_alu instid0(VALU_DEP_2) | instskip(NEXT) | instid1(VALU_DEP_2)
	v_fma_f64 v[10:11], v[18:19], v[14:15], -v[10:11]
	v_fma_f64 v[14:15], v[20:21], v[14:15], v[16:17]
	s_delay_alu instid0(VALU_DEP_2) | instskip(NEXT) | instid1(VALU_DEP_2)
	v_add_f64 v[3:4], v[3:4], v[10:11]
	v_add_f64 v[1:2], v[1:2], v[14:15]
	s_and_not1_b32 exec_lo, exec_lo, s13
	s_cbranch_execnz .LBB124_41
; %bb.42:
	s_or_b32 exec_lo, exec_lo, s13
	v_mov_b32_e32 v7, 0
	ds_load_b128 v[7:10], v7 offset:112
	s_waitcnt lgkmcnt(0)
	v_mul_f64 v[11:12], v[1:2], v[9:10]
	v_mul_f64 v[14:15], v[3:4], v[9:10]
	s_delay_alu instid0(VALU_DEP_2) | instskip(NEXT) | instid1(VALU_DEP_2)
	v_fma_f64 v[9:10], v[3:4], v[7:8], -v[11:12]
	v_fma_f64 v[11:12], v[1:2], v[7:8], v[14:15]
	scratch_store_b128 off, v[9:12], off offset:112
.LBB124_43:
	s_or_b32 exec_lo, exec_lo, s12
	s_waitcnt_vscnt null, 0x0
	s_barrier
	buffer_gl0_inv
	scratch_load_b128 v[1:4], v221, off
	s_mov_b32 s12, exec_lo
	s_waitcnt vmcnt(0)
	ds_store_b128 v5, v[1:4]
	s_waitcnt lgkmcnt(0)
	s_barrier
	buffer_gl0_inv
	v_cmpx_gt_u32_e32 8, v169
	s_cbranch_execz .LBB124_59
; %bb.44:
	scratch_load_b128 v[1:4], v13, off
	ds_load_b128 v[7:10], v5
	s_mov_b32 s13, exec_lo
	s_waitcnt vmcnt(0) lgkmcnt(0)
	v_mul_f64 v[11:12], v[9:10], v[3:4]
	v_mul_f64 v[3:4], v[7:8], v[3:4]
	s_delay_alu instid0(VALU_DEP_2) | instskip(NEXT) | instid1(VALU_DEP_2)
	v_fma_f64 v[7:8], v[7:8], v[1:2], -v[11:12]
	v_fma_f64 v[1:2], v[9:10], v[1:2], v[3:4]
	s_delay_alu instid0(VALU_DEP_2) | instskip(NEXT) | instid1(VALU_DEP_2)
	v_add_f64 v[3:4], v[7:8], 0
	v_add_f64 v[1:2], v[1:2], 0
	v_cmpx_ne_u32_e32 7, v169
	s_cbranch_execz .LBB124_58
; %bb.45:
	scratch_load_b128 v[7:10], v13, off offset:16
	ds_load_b128 v[14:17], v5 offset:16
	s_waitcnt vmcnt(0) lgkmcnt(0)
	v_mul_f64 v[11:12], v[16:17], v[9:10]
	v_mul_f64 v[9:10], v[14:15], v[9:10]
	s_delay_alu instid0(VALU_DEP_2) | instskip(NEXT) | instid1(VALU_DEP_2)
	v_fma_f64 v[11:12], v[14:15], v[7:8], -v[11:12]
	v_fma_f64 v[7:8], v[16:17], v[7:8], v[9:10]
	s_delay_alu instid0(VALU_DEP_2) | instskip(NEXT) | instid1(VALU_DEP_2)
	v_add_f64 v[3:4], v[3:4], v[11:12]
	v_add_f64 v[1:2], v[1:2], v[7:8]
	s_and_saveexec_b32 s5, s4
	s_cbranch_execz .LBB124_57
; %bb.46:
	scratch_load_b128 v[7:10], v13, off offset:32
	ds_load_b128 v[14:17], v5 offset:32
	s_mov_b32 s15, exec_lo
	s_waitcnt vmcnt(0) lgkmcnt(0)
	v_mul_f64 v[11:12], v[16:17], v[9:10]
	v_mul_f64 v[9:10], v[14:15], v[9:10]
	s_delay_alu instid0(VALU_DEP_2) | instskip(NEXT) | instid1(VALU_DEP_2)
	v_fma_f64 v[11:12], v[14:15], v[7:8], -v[11:12]
	v_fma_f64 v[7:8], v[16:17], v[7:8], v[9:10]
	s_delay_alu instid0(VALU_DEP_2) | instskip(NEXT) | instid1(VALU_DEP_2)
	v_add_f64 v[3:4], v[3:4], v[11:12]
	v_add_f64 v[1:2], v[1:2], v[7:8]
	v_cmpx_ne_u32_e32 5, v169
	s_cbranch_execz .LBB124_56
; %bb.47:
	scratch_load_b128 v[7:10], v13, off offset:48
	ds_load_b128 v[14:17], v5 offset:48
	s_waitcnt vmcnt(0) lgkmcnt(0)
	v_mul_f64 v[11:12], v[16:17], v[9:10]
	v_mul_f64 v[9:10], v[14:15], v[9:10]
	s_delay_alu instid0(VALU_DEP_2) | instskip(NEXT) | instid1(VALU_DEP_2)
	v_fma_f64 v[11:12], v[14:15], v[7:8], -v[11:12]
	v_fma_f64 v[7:8], v[16:17], v[7:8], v[9:10]
	s_delay_alu instid0(VALU_DEP_2) | instskip(NEXT) | instid1(VALU_DEP_2)
	v_add_f64 v[3:4], v[3:4], v[11:12]
	v_add_f64 v[1:2], v[1:2], v[7:8]
	s_and_saveexec_b32 s4, s3
	s_cbranch_execz .LBB124_55
; %bb.48:
	scratch_load_b128 v[7:10], v13, off offset:64
	ds_load_b128 v[14:17], v5 offset:64
	s_mov_b32 s16, exec_lo
	s_waitcnt vmcnt(0) lgkmcnt(0)
	v_mul_f64 v[11:12], v[16:17], v[9:10]
	v_mul_f64 v[9:10], v[14:15], v[9:10]
	s_delay_alu instid0(VALU_DEP_2) | instskip(NEXT) | instid1(VALU_DEP_2)
	v_fma_f64 v[11:12], v[14:15], v[7:8], -v[11:12]
	v_fma_f64 v[7:8], v[16:17], v[7:8], v[9:10]
	s_delay_alu instid0(VALU_DEP_2) | instskip(NEXT) | instid1(VALU_DEP_2)
	v_add_f64 v[3:4], v[3:4], v[11:12]
	v_add_f64 v[1:2], v[1:2], v[7:8]
	v_cmpx_ne_u32_e32 3, v169
	s_cbranch_execz .LBB124_54
; %bb.49:
	scratch_load_b128 v[7:10], v13, off offset:80
	ds_load_b128 v[14:17], v5 offset:80
	s_waitcnt vmcnt(0) lgkmcnt(0)
	v_mul_f64 v[11:12], v[16:17], v[9:10]
	v_mul_f64 v[9:10], v[14:15], v[9:10]
	s_delay_alu instid0(VALU_DEP_2) | instskip(NEXT) | instid1(VALU_DEP_2)
	v_fma_f64 v[11:12], v[14:15], v[7:8], -v[11:12]
	v_fma_f64 v[7:8], v[16:17], v[7:8], v[9:10]
	s_delay_alu instid0(VALU_DEP_2) | instskip(NEXT) | instid1(VALU_DEP_2)
	v_add_f64 v[3:4], v[3:4], v[11:12]
	v_add_f64 v[1:2], v[1:2], v[7:8]
	s_and_saveexec_b32 s3, vcc_lo
	s_cbranch_execz .LBB124_53
; %bb.50:
	scratch_load_b128 v[7:10], v13, off offset:96
	ds_load_b128 v[14:17], v5 offset:96
	s_waitcnt vmcnt(0) lgkmcnt(0)
	v_mul_f64 v[11:12], v[16:17], v[9:10]
	v_mul_f64 v[9:10], v[14:15], v[9:10]
	s_delay_alu instid0(VALU_DEP_2) | instskip(NEXT) | instid1(VALU_DEP_2)
	v_fma_f64 v[11:12], v[14:15], v[7:8], -v[11:12]
	v_fma_f64 v[7:8], v[16:17], v[7:8], v[9:10]
	s_delay_alu instid0(VALU_DEP_2) | instskip(NEXT) | instid1(VALU_DEP_2)
	v_add_f64 v[3:4], v[3:4], v[11:12]
	v_add_f64 v[1:2], v[1:2], v[7:8]
	s_and_saveexec_b32 s17, s2
	s_cbranch_execz .LBB124_52
; %bb.51:
	scratch_load_b128 v[7:10], v13, off offset:112
	ds_load_b128 v[14:17], v5 offset:112
	s_waitcnt vmcnt(0) lgkmcnt(0)
	v_mul_f64 v[11:12], v[16:17], v[9:10]
	v_mul_f64 v[9:10], v[14:15], v[9:10]
	s_delay_alu instid0(VALU_DEP_2) | instskip(NEXT) | instid1(VALU_DEP_2)
	v_fma_f64 v[11:12], v[14:15], v[7:8], -v[11:12]
	v_fma_f64 v[7:8], v[16:17], v[7:8], v[9:10]
	s_delay_alu instid0(VALU_DEP_2) | instskip(NEXT) | instid1(VALU_DEP_2)
	v_add_f64 v[3:4], v[3:4], v[11:12]
	v_add_f64 v[1:2], v[1:2], v[7:8]
.LBB124_52:
	s_or_b32 exec_lo, exec_lo, s17
.LBB124_53:
	s_delay_alu instid0(SALU_CYCLE_1)
	s_or_b32 exec_lo, exec_lo, s3
.LBB124_54:
	s_delay_alu instid0(SALU_CYCLE_1)
	s_or_b32 exec_lo, exec_lo, s16
.LBB124_55:
	s_delay_alu instid0(SALU_CYCLE_1)
	s_or_b32 exec_lo, exec_lo, s4
.LBB124_56:
	s_delay_alu instid0(SALU_CYCLE_1)
	s_or_b32 exec_lo, exec_lo, s15
.LBB124_57:
	s_delay_alu instid0(SALU_CYCLE_1)
	s_or_b32 exec_lo, exec_lo, s5
.LBB124_58:
	s_delay_alu instid0(SALU_CYCLE_1)
	s_or_b32 exec_lo, exec_lo, s13
	v_mov_b32_e32 v7, 0
	ds_load_b128 v[7:10], v7 offset:128
	s_waitcnt lgkmcnt(0)
	v_mul_f64 v[11:12], v[1:2], v[9:10]
	v_mul_f64 v[14:15], v[3:4], v[9:10]
	s_delay_alu instid0(VALU_DEP_2) | instskip(NEXT) | instid1(VALU_DEP_2)
	v_fma_f64 v[9:10], v[3:4], v[7:8], -v[11:12]
	v_fma_f64 v[11:12], v[1:2], v[7:8], v[14:15]
	scratch_store_b128 off, v[9:12], off offset:128
.LBB124_59:
	s_or_b32 exec_lo, exec_lo, s12
	s_waitcnt_vscnt null, 0x0
	s_barrier
	buffer_gl0_inv
	scratch_load_b128 v[1:4], v220, off
	s_mov_b32 s2, exec_lo
	s_waitcnt vmcnt(0)
	ds_store_b128 v5, v[1:4]
	s_waitcnt lgkmcnt(0)
	s_barrier
	buffer_gl0_inv
	v_cmpx_gt_u32_e32 9, v169
	s_cbranch_execz .LBB124_63
; %bb.60:
	v_dual_mov_b32 v1, 0 :: v_dual_add_nc_u32 v8, 0x3d0, v229
	v_dual_mov_b32 v2, 0 :: v_dual_add_nc_u32 v7, -1, v169
	v_or_b32_e32 v9, 8, v13
	s_mov_b32 s3, 0
	s_delay_alu instid0(VALU_DEP_2)
	v_dual_mov_b32 v4, v2 :: v_dual_mov_b32 v3, v1
	.p2align	6
.LBB124_61:                             ; =>This Inner Loop Header: Depth=1
	scratch_load_b128 v[14:17], v9, off offset:-8
	ds_load_b128 v[18:21], v8
	v_add_nc_u32_e32 v7, 1, v7
	v_add_nc_u32_e32 v8, 16, v8
	;; [unrolled: 1-line block ×3, first 2 shown]
	s_delay_alu instid0(VALU_DEP_3) | instskip(SKIP_4) | instid1(VALU_DEP_2)
	v_cmp_lt_u32_e32 vcc_lo, 7, v7
	s_or_b32 s3, vcc_lo, s3
	s_waitcnt vmcnt(0) lgkmcnt(0)
	v_mul_f64 v[10:11], v[20:21], v[16:17]
	v_mul_f64 v[16:17], v[18:19], v[16:17]
	v_fma_f64 v[10:11], v[18:19], v[14:15], -v[10:11]
	s_delay_alu instid0(VALU_DEP_2) | instskip(NEXT) | instid1(VALU_DEP_2)
	v_fma_f64 v[14:15], v[20:21], v[14:15], v[16:17]
	v_add_f64 v[3:4], v[3:4], v[10:11]
	s_delay_alu instid0(VALU_DEP_2)
	v_add_f64 v[1:2], v[1:2], v[14:15]
	s_and_not1_b32 exec_lo, exec_lo, s3
	s_cbranch_execnz .LBB124_61
; %bb.62:
	s_or_b32 exec_lo, exec_lo, s3
	v_mov_b32_e32 v7, 0
	ds_load_b128 v[7:10], v7 offset:144
	s_waitcnt lgkmcnt(0)
	v_mul_f64 v[11:12], v[1:2], v[9:10]
	v_mul_f64 v[14:15], v[3:4], v[9:10]
	s_delay_alu instid0(VALU_DEP_2) | instskip(NEXT) | instid1(VALU_DEP_2)
	v_fma_f64 v[9:10], v[3:4], v[7:8], -v[11:12]
	v_fma_f64 v[11:12], v[1:2], v[7:8], v[14:15]
	scratch_store_b128 off, v[9:12], off offset:144
.LBB124_63:
	s_or_b32 exec_lo, exec_lo, s2
	s_waitcnt_vscnt null, 0x0
	s_barrier
	buffer_gl0_inv
	scratch_load_b128 v[1:4], v219, off
	s_mov_b32 s2, exec_lo
	s_waitcnt vmcnt(0)
	ds_store_b128 v5, v[1:4]
	s_waitcnt lgkmcnt(0)
	s_barrier
	buffer_gl0_inv
	v_cmpx_gt_u32_e32 10, v169
	s_cbranch_execz .LBB124_67
; %bb.64:
	v_dual_mov_b32 v1, 0 :: v_dual_add_nc_u32 v8, 0x3d0, v229
	v_dual_mov_b32 v2, 0 :: v_dual_add_nc_u32 v7, -1, v169
	v_or_b32_e32 v9, 8, v13
	s_mov_b32 s3, 0
	s_delay_alu instid0(VALU_DEP_2)
	v_dual_mov_b32 v4, v2 :: v_dual_mov_b32 v3, v1
	.p2align	6
.LBB124_65:                             ; =>This Inner Loop Header: Depth=1
	scratch_load_b128 v[14:17], v9, off offset:-8
	ds_load_b128 v[18:21], v8
	v_add_nc_u32_e32 v7, 1, v7
	v_add_nc_u32_e32 v8, 16, v8
	;; [unrolled: 1-line block ×3, first 2 shown]
	s_delay_alu instid0(VALU_DEP_3) | instskip(SKIP_4) | instid1(VALU_DEP_2)
	v_cmp_lt_u32_e32 vcc_lo, 8, v7
	s_or_b32 s3, vcc_lo, s3
	s_waitcnt vmcnt(0) lgkmcnt(0)
	v_mul_f64 v[10:11], v[20:21], v[16:17]
	v_mul_f64 v[16:17], v[18:19], v[16:17]
	v_fma_f64 v[10:11], v[18:19], v[14:15], -v[10:11]
	s_delay_alu instid0(VALU_DEP_2) | instskip(NEXT) | instid1(VALU_DEP_2)
	v_fma_f64 v[14:15], v[20:21], v[14:15], v[16:17]
	v_add_f64 v[3:4], v[3:4], v[10:11]
	s_delay_alu instid0(VALU_DEP_2)
	v_add_f64 v[1:2], v[1:2], v[14:15]
	s_and_not1_b32 exec_lo, exec_lo, s3
	s_cbranch_execnz .LBB124_65
; %bb.66:
	s_or_b32 exec_lo, exec_lo, s3
	v_mov_b32_e32 v7, 0
	ds_load_b128 v[7:10], v7 offset:160
	s_waitcnt lgkmcnt(0)
	v_mul_f64 v[11:12], v[1:2], v[9:10]
	v_mul_f64 v[14:15], v[3:4], v[9:10]
	s_delay_alu instid0(VALU_DEP_2) | instskip(NEXT) | instid1(VALU_DEP_2)
	v_fma_f64 v[9:10], v[3:4], v[7:8], -v[11:12]
	v_fma_f64 v[11:12], v[1:2], v[7:8], v[14:15]
	scratch_store_b128 off, v[9:12], off offset:160
.LBB124_67:
	s_or_b32 exec_lo, exec_lo, s2
	s_waitcnt_vscnt null, 0x0
	s_barrier
	buffer_gl0_inv
	scratch_load_b128 v[1:4], v218, off
	s_mov_b32 s2, exec_lo
	s_waitcnt vmcnt(0)
	ds_store_b128 v5, v[1:4]
	s_waitcnt lgkmcnt(0)
	s_barrier
	buffer_gl0_inv
	v_cmpx_gt_u32_e32 11, v169
	s_cbranch_execz .LBB124_71
; %bb.68:
	v_dual_mov_b32 v1, 0 :: v_dual_add_nc_u32 v8, 0x3d0, v229
	v_dual_mov_b32 v2, 0 :: v_dual_add_nc_u32 v7, -1, v169
	v_or_b32_e32 v9, 8, v13
	s_mov_b32 s3, 0
	s_delay_alu instid0(VALU_DEP_2)
	v_dual_mov_b32 v4, v2 :: v_dual_mov_b32 v3, v1
	.p2align	6
.LBB124_69:                             ; =>This Inner Loop Header: Depth=1
	scratch_load_b128 v[14:17], v9, off offset:-8
	ds_load_b128 v[18:21], v8
	v_add_nc_u32_e32 v7, 1, v7
	v_add_nc_u32_e32 v8, 16, v8
	;; [unrolled: 1-line block ×3, first 2 shown]
	s_delay_alu instid0(VALU_DEP_3) | instskip(SKIP_4) | instid1(VALU_DEP_2)
	v_cmp_lt_u32_e32 vcc_lo, 9, v7
	s_or_b32 s3, vcc_lo, s3
	s_waitcnt vmcnt(0) lgkmcnt(0)
	v_mul_f64 v[10:11], v[20:21], v[16:17]
	v_mul_f64 v[16:17], v[18:19], v[16:17]
	v_fma_f64 v[10:11], v[18:19], v[14:15], -v[10:11]
	s_delay_alu instid0(VALU_DEP_2) | instskip(NEXT) | instid1(VALU_DEP_2)
	v_fma_f64 v[14:15], v[20:21], v[14:15], v[16:17]
	v_add_f64 v[3:4], v[3:4], v[10:11]
	s_delay_alu instid0(VALU_DEP_2)
	v_add_f64 v[1:2], v[1:2], v[14:15]
	s_and_not1_b32 exec_lo, exec_lo, s3
	s_cbranch_execnz .LBB124_69
; %bb.70:
	s_or_b32 exec_lo, exec_lo, s3
	v_mov_b32_e32 v7, 0
	ds_load_b128 v[7:10], v7 offset:176
	s_waitcnt lgkmcnt(0)
	v_mul_f64 v[11:12], v[1:2], v[9:10]
	v_mul_f64 v[14:15], v[3:4], v[9:10]
	s_delay_alu instid0(VALU_DEP_2) | instskip(NEXT) | instid1(VALU_DEP_2)
	v_fma_f64 v[9:10], v[3:4], v[7:8], -v[11:12]
	v_fma_f64 v[11:12], v[1:2], v[7:8], v[14:15]
	scratch_store_b128 off, v[9:12], off offset:176
.LBB124_71:
	s_or_b32 exec_lo, exec_lo, s2
	s_waitcnt_vscnt null, 0x0
	s_barrier
	buffer_gl0_inv
	scratch_load_b128 v[1:4], v237, off
	s_mov_b32 s2, exec_lo
	s_waitcnt vmcnt(0)
	ds_store_b128 v5, v[1:4]
	s_waitcnt lgkmcnt(0)
	s_barrier
	buffer_gl0_inv
	v_cmpx_gt_u32_e32 12, v169
	s_cbranch_execz .LBB124_75
; %bb.72:
	v_dual_mov_b32 v1, 0 :: v_dual_add_nc_u32 v8, 0x3d0, v229
	v_dual_mov_b32 v2, 0 :: v_dual_add_nc_u32 v7, -1, v169
	v_or_b32_e32 v9, 8, v13
	s_mov_b32 s3, 0
	s_delay_alu instid0(VALU_DEP_2)
	v_dual_mov_b32 v4, v2 :: v_dual_mov_b32 v3, v1
	.p2align	6
.LBB124_73:                             ; =>This Inner Loop Header: Depth=1
	scratch_load_b128 v[14:17], v9, off offset:-8
	ds_load_b128 v[18:21], v8
	v_add_nc_u32_e32 v7, 1, v7
	v_add_nc_u32_e32 v8, 16, v8
	;; [unrolled: 1-line block ×3, first 2 shown]
	s_delay_alu instid0(VALU_DEP_3) | instskip(SKIP_4) | instid1(VALU_DEP_2)
	v_cmp_lt_u32_e32 vcc_lo, 10, v7
	s_or_b32 s3, vcc_lo, s3
	s_waitcnt vmcnt(0) lgkmcnt(0)
	v_mul_f64 v[10:11], v[20:21], v[16:17]
	v_mul_f64 v[16:17], v[18:19], v[16:17]
	v_fma_f64 v[10:11], v[18:19], v[14:15], -v[10:11]
	s_delay_alu instid0(VALU_DEP_2) | instskip(NEXT) | instid1(VALU_DEP_2)
	v_fma_f64 v[14:15], v[20:21], v[14:15], v[16:17]
	v_add_f64 v[3:4], v[3:4], v[10:11]
	s_delay_alu instid0(VALU_DEP_2)
	v_add_f64 v[1:2], v[1:2], v[14:15]
	s_and_not1_b32 exec_lo, exec_lo, s3
	s_cbranch_execnz .LBB124_73
; %bb.74:
	s_or_b32 exec_lo, exec_lo, s3
	v_mov_b32_e32 v7, 0
	ds_load_b128 v[7:10], v7 offset:192
	s_waitcnt lgkmcnt(0)
	v_mul_f64 v[11:12], v[1:2], v[9:10]
	v_mul_f64 v[14:15], v[3:4], v[9:10]
	s_delay_alu instid0(VALU_DEP_2) | instskip(NEXT) | instid1(VALU_DEP_2)
	v_fma_f64 v[9:10], v[3:4], v[7:8], -v[11:12]
	v_fma_f64 v[11:12], v[1:2], v[7:8], v[14:15]
	scratch_store_b128 off, v[9:12], off offset:192
.LBB124_75:
	s_or_b32 exec_lo, exec_lo, s2
	s_waitcnt_vscnt null, 0x0
	s_barrier
	buffer_gl0_inv
	scratch_load_b128 v[1:4], v236, off
	s_mov_b32 s2, exec_lo
	s_waitcnt vmcnt(0)
	ds_store_b128 v5, v[1:4]
	s_waitcnt lgkmcnt(0)
	s_barrier
	buffer_gl0_inv
	v_cmpx_gt_u32_e32 13, v169
	s_cbranch_execz .LBB124_79
; %bb.76:
	v_dual_mov_b32 v1, 0 :: v_dual_add_nc_u32 v8, 0x3d0, v229
	v_dual_mov_b32 v2, 0 :: v_dual_add_nc_u32 v7, -1, v169
	v_or_b32_e32 v9, 8, v13
	s_mov_b32 s3, 0
	s_delay_alu instid0(VALU_DEP_2)
	v_dual_mov_b32 v4, v2 :: v_dual_mov_b32 v3, v1
	.p2align	6
.LBB124_77:                             ; =>This Inner Loop Header: Depth=1
	scratch_load_b128 v[14:17], v9, off offset:-8
	ds_load_b128 v[18:21], v8
	v_add_nc_u32_e32 v7, 1, v7
	v_add_nc_u32_e32 v8, 16, v8
	v_add_nc_u32_e32 v9, 16, v9
	s_delay_alu instid0(VALU_DEP_3) | instskip(SKIP_4) | instid1(VALU_DEP_2)
	v_cmp_lt_u32_e32 vcc_lo, 11, v7
	s_or_b32 s3, vcc_lo, s3
	s_waitcnt vmcnt(0) lgkmcnt(0)
	v_mul_f64 v[10:11], v[20:21], v[16:17]
	v_mul_f64 v[16:17], v[18:19], v[16:17]
	v_fma_f64 v[10:11], v[18:19], v[14:15], -v[10:11]
	s_delay_alu instid0(VALU_DEP_2) | instskip(NEXT) | instid1(VALU_DEP_2)
	v_fma_f64 v[14:15], v[20:21], v[14:15], v[16:17]
	v_add_f64 v[3:4], v[3:4], v[10:11]
	s_delay_alu instid0(VALU_DEP_2)
	v_add_f64 v[1:2], v[1:2], v[14:15]
	s_and_not1_b32 exec_lo, exec_lo, s3
	s_cbranch_execnz .LBB124_77
; %bb.78:
	s_or_b32 exec_lo, exec_lo, s3
	v_mov_b32_e32 v7, 0
	ds_load_b128 v[7:10], v7 offset:208
	s_waitcnt lgkmcnt(0)
	v_mul_f64 v[11:12], v[1:2], v[9:10]
	v_mul_f64 v[14:15], v[3:4], v[9:10]
	s_delay_alu instid0(VALU_DEP_2) | instskip(NEXT) | instid1(VALU_DEP_2)
	v_fma_f64 v[9:10], v[3:4], v[7:8], -v[11:12]
	v_fma_f64 v[11:12], v[1:2], v[7:8], v[14:15]
	scratch_store_b128 off, v[9:12], off offset:208
.LBB124_79:
	s_or_b32 exec_lo, exec_lo, s2
	s_waitcnt_vscnt null, 0x0
	s_barrier
	buffer_gl0_inv
	scratch_load_b128 v[1:4], v52, off
	s_mov_b32 s2, exec_lo
	s_waitcnt vmcnt(0)
	ds_store_b128 v5, v[1:4]
	s_waitcnt lgkmcnt(0)
	s_barrier
	buffer_gl0_inv
	v_cmpx_gt_u32_e32 14, v169
	s_cbranch_execz .LBB124_83
; %bb.80:
	v_dual_mov_b32 v1, 0 :: v_dual_add_nc_u32 v8, 0x3d0, v229
	v_dual_mov_b32 v2, 0 :: v_dual_add_nc_u32 v7, -1, v169
	v_or_b32_e32 v9, 8, v13
	s_mov_b32 s3, 0
	s_delay_alu instid0(VALU_DEP_2)
	v_dual_mov_b32 v4, v2 :: v_dual_mov_b32 v3, v1
	.p2align	6
.LBB124_81:                             ; =>This Inner Loop Header: Depth=1
	scratch_load_b128 v[14:17], v9, off offset:-8
	ds_load_b128 v[18:21], v8
	v_add_nc_u32_e32 v7, 1, v7
	v_add_nc_u32_e32 v8, 16, v8
	;; [unrolled: 1-line block ×3, first 2 shown]
	s_delay_alu instid0(VALU_DEP_3) | instskip(SKIP_4) | instid1(VALU_DEP_2)
	v_cmp_lt_u32_e32 vcc_lo, 12, v7
	s_or_b32 s3, vcc_lo, s3
	s_waitcnt vmcnt(0) lgkmcnt(0)
	v_mul_f64 v[10:11], v[20:21], v[16:17]
	v_mul_f64 v[16:17], v[18:19], v[16:17]
	v_fma_f64 v[10:11], v[18:19], v[14:15], -v[10:11]
	s_delay_alu instid0(VALU_DEP_2) | instskip(NEXT) | instid1(VALU_DEP_2)
	v_fma_f64 v[14:15], v[20:21], v[14:15], v[16:17]
	v_add_f64 v[3:4], v[3:4], v[10:11]
	s_delay_alu instid0(VALU_DEP_2)
	v_add_f64 v[1:2], v[1:2], v[14:15]
	s_and_not1_b32 exec_lo, exec_lo, s3
	s_cbranch_execnz .LBB124_81
; %bb.82:
	s_or_b32 exec_lo, exec_lo, s3
	v_mov_b32_e32 v7, 0
	ds_load_b128 v[7:10], v7 offset:224
	s_waitcnt lgkmcnt(0)
	v_mul_f64 v[11:12], v[1:2], v[9:10]
	v_mul_f64 v[14:15], v[3:4], v[9:10]
	s_delay_alu instid0(VALU_DEP_2) | instskip(NEXT) | instid1(VALU_DEP_2)
	v_fma_f64 v[9:10], v[3:4], v[7:8], -v[11:12]
	v_fma_f64 v[11:12], v[1:2], v[7:8], v[14:15]
	scratch_store_b128 off, v[9:12], off offset:224
.LBB124_83:
	s_or_b32 exec_lo, exec_lo, s2
	s_waitcnt_vscnt null, 0x0
	s_barrier
	buffer_gl0_inv
	scratch_load_b32 v1, off, off offset:1040 ; 4-byte Folded Reload
	s_mov_b32 s2, exec_lo
	s_waitcnt vmcnt(0)
	scratch_load_b128 v[1:4], v1, off
	s_waitcnt vmcnt(0)
	ds_store_b128 v5, v[1:4]
	s_waitcnt lgkmcnt(0)
	s_barrier
	buffer_gl0_inv
	v_cmpx_gt_u32_e32 15, v169
	s_cbranch_execz .LBB124_87
; %bb.84:
	v_dual_mov_b32 v1, 0 :: v_dual_add_nc_u32 v8, 0x3d0, v229
	v_dual_mov_b32 v2, 0 :: v_dual_add_nc_u32 v7, -1, v169
	v_or_b32_e32 v9, 8, v13
	s_mov_b32 s3, 0
	s_delay_alu instid0(VALU_DEP_2)
	v_dual_mov_b32 v4, v2 :: v_dual_mov_b32 v3, v1
	.p2align	6
.LBB124_85:                             ; =>This Inner Loop Header: Depth=1
	scratch_load_b128 v[14:17], v9, off offset:-8
	ds_load_b128 v[18:21], v8
	v_add_nc_u32_e32 v7, 1, v7
	v_add_nc_u32_e32 v8, 16, v8
	;; [unrolled: 1-line block ×3, first 2 shown]
	s_delay_alu instid0(VALU_DEP_3) | instskip(SKIP_4) | instid1(VALU_DEP_2)
	v_cmp_lt_u32_e32 vcc_lo, 13, v7
	s_or_b32 s3, vcc_lo, s3
	s_waitcnt vmcnt(0) lgkmcnt(0)
	v_mul_f64 v[10:11], v[20:21], v[16:17]
	v_mul_f64 v[16:17], v[18:19], v[16:17]
	v_fma_f64 v[10:11], v[18:19], v[14:15], -v[10:11]
	s_delay_alu instid0(VALU_DEP_2) | instskip(NEXT) | instid1(VALU_DEP_2)
	v_fma_f64 v[14:15], v[20:21], v[14:15], v[16:17]
	v_add_f64 v[3:4], v[3:4], v[10:11]
	s_delay_alu instid0(VALU_DEP_2)
	v_add_f64 v[1:2], v[1:2], v[14:15]
	s_and_not1_b32 exec_lo, exec_lo, s3
	s_cbranch_execnz .LBB124_85
; %bb.86:
	s_or_b32 exec_lo, exec_lo, s3
	v_mov_b32_e32 v7, 0
	ds_load_b128 v[7:10], v7 offset:240
	s_waitcnt lgkmcnt(0)
	v_mul_f64 v[11:12], v[1:2], v[9:10]
	v_mul_f64 v[14:15], v[3:4], v[9:10]
	s_delay_alu instid0(VALU_DEP_2) | instskip(NEXT) | instid1(VALU_DEP_2)
	v_fma_f64 v[9:10], v[3:4], v[7:8], -v[11:12]
	v_fma_f64 v[11:12], v[1:2], v[7:8], v[14:15]
	scratch_store_b128 off, v[9:12], off offset:240
.LBB124_87:
	s_or_b32 exec_lo, exec_lo, s2
	s_waitcnt_vscnt null, 0x0
	s_barrier
	buffer_gl0_inv
	scratch_load_b32 v1, off, off offset:1036 ; 4-byte Folded Reload
	s_mov_b32 s2, exec_lo
	s_waitcnt vmcnt(0)
	scratch_load_b128 v[1:4], v1, off
	s_waitcnt vmcnt(0)
	ds_store_b128 v5, v[1:4]
	s_waitcnt lgkmcnt(0)
	s_barrier
	buffer_gl0_inv
	v_cmpx_gt_u32_e32 16, v169
	s_cbranch_execz .LBB124_91
; %bb.88:
	v_dual_mov_b32 v1, 0 :: v_dual_add_nc_u32 v8, 0x3d0, v229
	v_dual_mov_b32 v2, 0 :: v_dual_add_nc_u32 v7, -1, v169
	v_or_b32_e32 v9, 8, v13
	s_mov_b32 s3, 0
	s_delay_alu instid0(VALU_DEP_2)
	v_dual_mov_b32 v4, v2 :: v_dual_mov_b32 v3, v1
	.p2align	6
.LBB124_89:                             ; =>This Inner Loop Header: Depth=1
	scratch_load_b128 v[14:17], v9, off offset:-8
	ds_load_b128 v[18:21], v8
	v_add_nc_u32_e32 v7, 1, v7
	v_add_nc_u32_e32 v8, 16, v8
	;; [unrolled: 1-line block ×3, first 2 shown]
	s_delay_alu instid0(VALU_DEP_3) | instskip(SKIP_4) | instid1(VALU_DEP_2)
	v_cmp_lt_u32_e32 vcc_lo, 14, v7
	s_or_b32 s3, vcc_lo, s3
	s_waitcnt vmcnt(0) lgkmcnt(0)
	v_mul_f64 v[10:11], v[20:21], v[16:17]
	v_mul_f64 v[16:17], v[18:19], v[16:17]
	v_fma_f64 v[10:11], v[18:19], v[14:15], -v[10:11]
	s_delay_alu instid0(VALU_DEP_2) | instskip(NEXT) | instid1(VALU_DEP_2)
	v_fma_f64 v[14:15], v[20:21], v[14:15], v[16:17]
	v_add_f64 v[3:4], v[3:4], v[10:11]
	s_delay_alu instid0(VALU_DEP_2)
	v_add_f64 v[1:2], v[1:2], v[14:15]
	s_and_not1_b32 exec_lo, exec_lo, s3
	s_cbranch_execnz .LBB124_89
; %bb.90:
	s_or_b32 exec_lo, exec_lo, s3
	v_mov_b32_e32 v7, 0
	ds_load_b128 v[7:10], v7 offset:256
	s_waitcnt lgkmcnt(0)
	v_mul_f64 v[11:12], v[1:2], v[9:10]
	v_mul_f64 v[14:15], v[3:4], v[9:10]
	s_delay_alu instid0(VALU_DEP_2) | instskip(NEXT) | instid1(VALU_DEP_2)
	v_fma_f64 v[9:10], v[3:4], v[7:8], -v[11:12]
	v_fma_f64 v[11:12], v[1:2], v[7:8], v[14:15]
	scratch_store_b128 off, v[9:12], off offset:256
.LBB124_91:
	s_or_b32 exec_lo, exec_lo, s2
	s_waitcnt_vscnt null, 0x0
	s_barrier
	buffer_gl0_inv
	scratch_load_b32 v1, off, off offset:1032 ; 4-byte Folded Reload
	s_mov_b32 s2, exec_lo
	s_waitcnt vmcnt(0)
	scratch_load_b128 v[1:4], v1, off
	s_waitcnt vmcnt(0)
	ds_store_b128 v5, v[1:4]
	s_waitcnt lgkmcnt(0)
	s_barrier
	buffer_gl0_inv
	v_cmpx_gt_u32_e32 17, v169
	s_cbranch_execz .LBB124_95
; %bb.92:
	v_dual_mov_b32 v1, 0 :: v_dual_add_nc_u32 v8, 0x3d0, v229
	v_dual_mov_b32 v2, 0 :: v_dual_add_nc_u32 v7, -1, v169
	v_or_b32_e32 v9, 8, v13
	s_mov_b32 s3, 0
	s_delay_alu instid0(VALU_DEP_2)
	v_dual_mov_b32 v4, v2 :: v_dual_mov_b32 v3, v1
	.p2align	6
.LBB124_93:                             ; =>This Inner Loop Header: Depth=1
	scratch_load_b128 v[14:17], v9, off offset:-8
	ds_load_b128 v[18:21], v8
	v_add_nc_u32_e32 v7, 1, v7
	v_add_nc_u32_e32 v8, 16, v8
	;; [unrolled: 1-line block ×3, first 2 shown]
	s_delay_alu instid0(VALU_DEP_3) | instskip(SKIP_4) | instid1(VALU_DEP_2)
	v_cmp_lt_u32_e32 vcc_lo, 15, v7
	s_or_b32 s3, vcc_lo, s3
	s_waitcnt vmcnt(0) lgkmcnt(0)
	v_mul_f64 v[10:11], v[20:21], v[16:17]
	v_mul_f64 v[16:17], v[18:19], v[16:17]
	v_fma_f64 v[10:11], v[18:19], v[14:15], -v[10:11]
	s_delay_alu instid0(VALU_DEP_2) | instskip(NEXT) | instid1(VALU_DEP_2)
	v_fma_f64 v[14:15], v[20:21], v[14:15], v[16:17]
	v_add_f64 v[3:4], v[3:4], v[10:11]
	s_delay_alu instid0(VALU_DEP_2)
	v_add_f64 v[1:2], v[1:2], v[14:15]
	s_and_not1_b32 exec_lo, exec_lo, s3
	s_cbranch_execnz .LBB124_93
; %bb.94:
	s_or_b32 exec_lo, exec_lo, s3
	v_mov_b32_e32 v7, 0
	ds_load_b128 v[7:10], v7 offset:272
	s_waitcnt lgkmcnt(0)
	v_mul_f64 v[11:12], v[1:2], v[9:10]
	v_mul_f64 v[14:15], v[3:4], v[9:10]
	s_delay_alu instid0(VALU_DEP_2) | instskip(NEXT) | instid1(VALU_DEP_2)
	v_fma_f64 v[9:10], v[3:4], v[7:8], -v[11:12]
	v_fma_f64 v[11:12], v[1:2], v[7:8], v[14:15]
	scratch_store_b128 off, v[9:12], off offset:272
.LBB124_95:
	s_or_b32 exec_lo, exec_lo, s2
	s_waitcnt_vscnt null, 0x0
	s_barrier
	buffer_gl0_inv
	scratch_load_b32 v1, off, off offset:1028 ; 4-byte Folded Reload
	s_mov_b32 s2, exec_lo
	s_waitcnt vmcnt(0)
	scratch_load_b128 v[1:4], v1, off
	s_waitcnt vmcnt(0)
	ds_store_b128 v5, v[1:4]
	s_waitcnt lgkmcnt(0)
	s_barrier
	buffer_gl0_inv
	v_cmpx_gt_u32_e32 18, v169
	s_cbranch_execz .LBB124_99
; %bb.96:
	v_dual_mov_b32 v1, 0 :: v_dual_add_nc_u32 v8, 0x3d0, v229
	v_dual_mov_b32 v2, 0 :: v_dual_add_nc_u32 v7, -1, v169
	v_or_b32_e32 v9, 8, v13
	s_mov_b32 s3, 0
	s_delay_alu instid0(VALU_DEP_2)
	v_dual_mov_b32 v4, v2 :: v_dual_mov_b32 v3, v1
	.p2align	6
.LBB124_97:                             ; =>This Inner Loop Header: Depth=1
	scratch_load_b128 v[14:17], v9, off offset:-8
	ds_load_b128 v[18:21], v8
	v_add_nc_u32_e32 v7, 1, v7
	v_add_nc_u32_e32 v8, 16, v8
	;; [unrolled: 1-line block ×3, first 2 shown]
	s_delay_alu instid0(VALU_DEP_3) | instskip(SKIP_4) | instid1(VALU_DEP_2)
	v_cmp_lt_u32_e32 vcc_lo, 16, v7
	s_or_b32 s3, vcc_lo, s3
	s_waitcnt vmcnt(0) lgkmcnt(0)
	v_mul_f64 v[10:11], v[20:21], v[16:17]
	v_mul_f64 v[16:17], v[18:19], v[16:17]
	v_fma_f64 v[10:11], v[18:19], v[14:15], -v[10:11]
	s_delay_alu instid0(VALU_DEP_2) | instskip(NEXT) | instid1(VALU_DEP_2)
	v_fma_f64 v[14:15], v[20:21], v[14:15], v[16:17]
	v_add_f64 v[3:4], v[3:4], v[10:11]
	s_delay_alu instid0(VALU_DEP_2)
	v_add_f64 v[1:2], v[1:2], v[14:15]
	s_and_not1_b32 exec_lo, exec_lo, s3
	s_cbranch_execnz .LBB124_97
; %bb.98:
	s_or_b32 exec_lo, exec_lo, s3
	v_mov_b32_e32 v7, 0
	ds_load_b128 v[7:10], v7 offset:288
	s_waitcnt lgkmcnt(0)
	v_mul_f64 v[11:12], v[1:2], v[9:10]
	v_mul_f64 v[14:15], v[3:4], v[9:10]
	s_delay_alu instid0(VALU_DEP_2) | instskip(NEXT) | instid1(VALU_DEP_2)
	v_fma_f64 v[9:10], v[3:4], v[7:8], -v[11:12]
	v_fma_f64 v[11:12], v[1:2], v[7:8], v[14:15]
	scratch_store_b128 off, v[9:12], off offset:288
.LBB124_99:
	s_or_b32 exec_lo, exec_lo, s2
	s_waitcnt_vscnt null, 0x0
	s_barrier
	buffer_gl0_inv
	scratch_load_b32 v1, off, off offset:1024 ; 4-byte Folded Reload
	s_mov_b32 s2, exec_lo
	s_waitcnt vmcnt(0)
	scratch_load_b128 v[1:4], v1, off
	s_waitcnt vmcnt(0)
	ds_store_b128 v5, v[1:4]
	s_waitcnt lgkmcnt(0)
	s_barrier
	buffer_gl0_inv
	v_cmpx_gt_u32_e32 19, v169
	s_cbranch_execz .LBB124_103
; %bb.100:
	v_dual_mov_b32 v1, 0 :: v_dual_add_nc_u32 v8, 0x3d0, v229
	v_dual_mov_b32 v2, 0 :: v_dual_add_nc_u32 v7, -1, v169
	v_or_b32_e32 v9, 8, v13
	s_mov_b32 s3, 0
	s_delay_alu instid0(VALU_DEP_2)
	v_dual_mov_b32 v4, v2 :: v_dual_mov_b32 v3, v1
	.p2align	6
.LBB124_101:                            ; =>This Inner Loop Header: Depth=1
	scratch_load_b128 v[14:17], v9, off offset:-8
	ds_load_b128 v[18:21], v8
	v_add_nc_u32_e32 v7, 1, v7
	v_add_nc_u32_e32 v8, 16, v8
	;; [unrolled: 1-line block ×3, first 2 shown]
	s_delay_alu instid0(VALU_DEP_3) | instskip(SKIP_4) | instid1(VALU_DEP_2)
	v_cmp_lt_u32_e32 vcc_lo, 17, v7
	s_or_b32 s3, vcc_lo, s3
	s_waitcnt vmcnt(0) lgkmcnt(0)
	v_mul_f64 v[10:11], v[20:21], v[16:17]
	v_mul_f64 v[16:17], v[18:19], v[16:17]
	v_fma_f64 v[10:11], v[18:19], v[14:15], -v[10:11]
	s_delay_alu instid0(VALU_DEP_2) | instskip(NEXT) | instid1(VALU_DEP_2)
	v_fma_f64 v[14:15], v[20:21], v[14:15], v[16:17]
	v_add_f64 v[3:4], v[3:4], v[10:11]
	s_delay_alu instid0(VALU_DEP_2)
	v_add_f64 v[1:2], v[1:2], v[14:15]
	s_and_not1_b32 exec_lo, exec_lo, s3
	s_cbranch_execnz .LBB124_101
; %bb.102:
	s_or_b32 exec_lo, exec_lo, s3
	v_mov_b32_e32 v7, 0
	ds_load_b128 v[7:10], v7 offset:304
	s_waitcnt lgkmcnt(0)
	v_mul_f64 v[11:12], v[1:2], v[9:10]
	v_mul_f64 v[14:15], v[3:4], v[9:10]
	s_delay_alu instid0(VALU_DEP_2) | instskip(NEXT) | instid1(VALU_DEP_2)
	v_fma_f64 v[9:10], v[3:4], v[7:8], -v[11:12]
	v_fma_f64 v[11:12], v[1:2], v[7:8], v[14:15]
	scratch_store_b128 off, v[9:12], off offset:304
.LBB124_103:
	s_or_b32 exec_lo, exec_lo, s2
	s_waitcnt_vscnt null, 0x0
	s_barrier
	buffer_gl0_inv
	scratch_load_b32 v1, off, off offset:1020 ; 4-byte Folded Reload
	s_mov_b32 s2, exec_lo
	s_waitcnt vmcnt(0)
	scratch_load_b128 v[1:4], v1, off
	s_waitcnt vmcnt(0)
	ds_store_b128 v5, v[1:4]
	s_waitcnt lgkmcnt(0)
	s_barrier
	buffer_gl0_inv
	v_cmpx_gt_u32_e32 20, v169
	s_cbranch_execz .LBB124_107
; %bb.104:
	v_dual_mov_b32 v1, 0 :: v_dual_add_nc_u32 v8, 0x3d0, v229
	v_dual_mov_b32 v2, 0 :: v_dual_add_nc_u32 v7, -1, v169
	v_or_b32_e32 v9, 8, v13
	s_mov_b32 s3, 0
	s_delay_alu instid0(VALU_DEP_2)
	v_dual_mov_b32 v4, v2 :: v_dual_mov_b32 v3, v1
	.p2align	6
.LBB124_105:                            ; =>This Inner Loop Header: Depth=1
	scratch_load_b128 v[14:17], v9, off offset:-8
	ds_load_b128 v[18:21], v8
	v_add_nc_u32_e32 v7, 1, v7
	v_add_nc_u32_e32 v8, 16, v8
	;; [unrolled: 1-line block ×3, first 2 shown]
	s_delay_alu instid0(VALU_DEP_3) | instskip(SKIP_4) | instid1(VALU_DEP_2)
	v_cmp_lt_u32_e32 vcc_lo, 18, v7
	s_or_b32 s3, vcc_lo, s3
	s_waitcnt vmcnt(0) lgkmcnt(0)
	v_mul_f64 v[10:11], v[20:21], v[16:17]
	v_mul_f64 v[16:17], v[18:19], v[16:17]
	v_fma_f64 v[10:11], v[18:19], v[14:15], -v[10:11]
	s_delay_alu instid0(VALU_DEP_2) | instskip(NEXT) | instid1(VALU_DEP_2)
	v_fma_f64 v[14:15], v[20:21], v[14:15], v[16:17]
	v_add_f64 v[3:4], v[3:4], v[10:11]
	s_delay_alu instid0(VALU_DEP_2)
	v_add_f64 v[1:2], v[1:2], v[14:15]
	s_and_not1_b32 exec_lo, exec_lo, s3
	s_cbranch_execnz .LBB124_105
; %bb.106:
	s_or_b32 exec_lo, exec_lo, s3
	v_mov_b32_e32 v7, 0
	ds_load_b128 v[7:10], v7 offset:320
	s_waitcnt lgkmcnt(0)
	v_mul_f64 v[11:12], v[1:2], v[9:10]
	v_mul_f64 v[14:15], v[3:4], v[9:10]
	s_delay_alu instid0(VALU_DEP_2) | instskip(NEXT) | instid1(VALU_DEP_2)
	v_fma_f64 v[9:10], v[3:4], v[7:8], -v[11:12]
	v_fma_f64 v[11:12], v[1:2], v[7:8], v[14:15]
	scratch_store_b128 off, v[9:12], off offset:320
.LBB124_107:
	s_or_b32 exec_lo, exec_lo, s2
	s_waitcnt_vscnt null, 0x0
	s_barrier
	buffer_gl0_inv
	scratch_load_b32 v1, off, off offset:1016 ; 4-byte Folded Reload
	s_mov_b32 s2, exec_lo
	s_waitcnt vmcnt(0)
	scratch_load_b128 v[1:4], v1, off
	s_waitcnt vmcnt(0)
	ds_store_b128 v5, v[1:4]
	s_waitcnt lgkmcnt(0)
	s_barrier
	buffer_gl0_inv
	v_cmpx_gt_u32_e32 21, v169
	s_cbranch_execz .LBB124_111
; %bb.108:
	v_dual_mov_b32 v1, 0 :: v_dual_add_nc_u32 v8, 0x3d0, v229
	v_dual_mov_b32 v2, 0 :: v_dual_add_nc_u32 v7, -1, v169
	v_or_b32_e32 v9, 8, v13
	s_mov_b32 s3, 0
	s_delay_alu instid0(VALU_DEP_2)
	v_dual_mov_b32 v4, v2 :: v_dual_mov_b32 v3, v1
	.p2align	6
.LBB124_109:                            ; =>This Inner Loop Header: Depth=1
	scratch_load_b128 v[14:17], v9, off offset:-8
	ds_load_b128 v[18:21], v8
	v_add_nc_u32_e32 v7, 1, v7
	v_add_nc_u32_e32 v8, 16, v8
	;; [unrolled: 1-line block ×3, first 2 shown]
	s_delay_alu instid0(VALU_DEP_3) | instskip(SKIP_4) | instid1(VALU_DEP_2)
	v_cmp_lt_u32_e32 vcc_lo, 19, v7
	s_or_b32 s3, vcc_lo, s3
	s_waitcnt vmcnt(0) lgkmcnt(0)
	v_mul_f64 v[10:11], v[20:21], v[16:17]
	v_mul_f64 v[16:17], v[18:19], v[16:17]
	v_fma_f64 v[10:11], v[18:19], v[14:15], -v[10:11]
	s_delay_alu instid0(VALU_DEP_2) | instskip(NEXT) | instid1(VALU_DEP_2)
	v_fma_f64 v[14:15], v[20:21], v[14:15], v[16:17]
	v_add_f64 v[3:4], v[3:4], v[10:11]
	s_delay_alu instid0(VALU_DEP_2)
	v_add_f64 v[1:2], v[1:2], v[14:15]
	s_and_not1_b32 exec_lo, exec_lo, s3
	s_cbranch_execnz .LBB124_109
; %bb.110:
	s_or_b32 exec_lo, exec_lo, s3
	v_mov_b32_e32 v7, 0
	ds_load_b128 v[7:10], v7 offset:336
	s_waitcnt lgkmcnt(0)
	v_mul_f64 v[11:12], v[1:2], v[9:10]
	v_mul_f64 v[14:15], v[3:4], v[9:10]
	s_delay_alu instid0(VALU_DEP_2) | instskip(NEXT) | instid1(VALU_DEP_2)
	v_fma_f64 v[9:10], v[3:4], v[7:8], -v[11:12]
	v_fma_f64 v[11:12], v[1:2], v[7:8], v[14:15]
	scratch_store_b128 off, v[9:12], off offset:336
.LBB124_111:
	s_or_b32 exec_lo, exec_lo, s2
	s_waitcnt_vscnt null, 0x0
	s_barrier
	buffer_gl0_inv
	scratch_load_b32 v1, off, off offset:1012 ; 4-byte Folded Reload
	s_mov_b32 s2, exec_lo
	s_waitcnt vmcnt(0)
	scratch_load_b128 v[1:4], v1, off
	s_waitcnt vmcnt(0)
	ds_store_b128 v5, v[1:4]
	s_waitcnt lgkmcnt(0)
	s_barrier
	buffer_gl0_inv
	v_cmpx_gt_u32_e32 22, v169
	s_cbranch_execz .LBB124_115
; %bb.112:
	v_dual_mov_b32 v1, 0 :: v_dual_add_nc_u32 v8, 0x3d0, v229
	v_dual_mov_b32 v2, 0 :: v_dual_add_nc_u32 v7, -1, v169
	v_or_b32_e32 v9, 8, v13
	s_mov_b32 s3, 0
	s_delay_alu instid0(VALU_DEP_2)
	v_dual_mov_b32 v4, v2 :: v_dual_mov_b32 v3, v1
	.p2align	6
.LBB124_113:                            ; =>This Inner Loop Header: Depth=1
	scratch_load_b128 v[14:17], v9, off offset:-8
	ds_load_b128 v[18:21], v8
	v_add_nc_u32_e32 v7, 1, v7
	v_add_nc_u32_e32 v8, 16, v8
	;; [unrolled: 1-line block ×3, first 2 shown]
	s_delay_alu instid0(VALU_DEP_3) | instskip(SKIP_4) | instid1(VALU_DEP_2)
	v_cmp_lt_u32_e32 vcc_lo, 20, v7
	s_or_b32 s3, vcc_lo, s3
	s_waitcnt vmcnt(0) lgkmcnt(0)
	v_mul_f64 v[10:11], v[20:21], v[16:17]
	v_mul_f64 v[16:17], v[18:19], v[16:17]
	v_fma_f64 v[10:11], v[18:19], v[14:15], -v[10:11]
	s_delay_alu instid0(VALU_DEP_2) | instskip(NEXT) | instid1(VALU_DEP_2)
	v_fma_f64 v[14:15], v[20:21], v[14:15], v[16:17]
	v_add_f64 v[3:4], v[3:4], v[10:11]
	s_delay_alu instid0(VALU_DEP_2)
	v_add_f64 v[1:2], v[1:2], v[14:15]
	s_and_not1_b32 exec_lo, exec_lo, s3
	s_cbranch_execnz .LBB124_113
; %bb.114:
	s_or_b32 exec_lo, exec_lo, s3
	v_mov_b32_e32 v7, 0
	ds_load_b128 v[7:10], v7 offset:352
	s_waitcnt lgkmcnt(0)
	v_mul_f64 v[11:12], v[1:2], v[9:10]
	v_mul_f64 v[14:15], v[3:4], v[9:10]
	s_delay_alu instid0(VALU_DEP_2) | instskip(NEXT) | instid1(VALU_DEP_2)
	v_fma_f64 v[9:10], v[3:4], v[7:8], -v[11:12]
	v_fma_f64 v[11:12], v[1:2], v[7:8], v[14:15]
	scratch_store_b128 off, v[9:12], off offset:352
.LBB124_115:
	s_or_b32 exec_lo, exec_lo, s2
	s_waitcnt_vscnt null, 0x0
	s_barrier
	buffer_gl0_inv
	scratch_load_b32 v1, off, off offset:1008 ; 4-byte Folded Reload
	s_mov_b32 s2, exec_lo
	s_waitcnt vmcnt(0)
	scratch_load_b128 v[1:4], v1, off
	s_waitcnt vmcnt(0)
	ds_store_b128 v5, v[1:4]
	s_waitcnt lgkmcnt(0)
	s_barrier
	buffer_gl0_inv
	v_cmpx_gt_u32_e32 23, v169
	s_cbranch_execz .LBB124_119
; %bb.116:
	v_dual_mov_b32 v1, 0 :: v_dual_add_nc_u32 v8, 0x3d0, v229
	v_dual_mov_b32 v2, 0 :: v_dual_add_nc_u32 v7, -1, v169
	v_or_b32_e32 v9, 8, v13
	s_mov_b32 s3, 0
	s_delay_alu instid0(VALU_DEP_2)
	v_dual_mov_b32 v4, v2 :: v_dual_mov_b32 v3, v1
	.p2align	6
.LBB124_117:                            ; =>This Inner Loop Header: Depth=1
	scratch_load_b128 v[14:17], v9, off offset:-8
	ds_load_b128 v[18:21], v8
	v_add_nc_u32_e32 v7, 1, v7
	v_add_nc_u32_e32 v8, 16, v8
	;; [unrolled: 1-line block ×3, first 2 shown]
	s_delay_alu instid0(VALU_DEP_3) | instskip(SKIP_4) | instid1(VALU_DEP_2)
	v_cmp_lt_u32_e32 vcc_lo, 21, v7
	s_or_b32 s3, vcc_lo, s3
	s_waitcnt vmcnt(0) lgkmcnt(0)
	v_mul_f64 v[10:11], v[20:21], v[16:17]
	v_mul_f64 v[16:17], v[18:19], v[16:17]
	v_fma_f64 v[10:11], v[18:19], v[14:15], -v[10:11]
	s_delay_alu instid0(VALU_DEP_2) | instskip(NEXT) | instid1(VALU_DEP_2)
	v_fma_f64 v[14:15], v[20:21], v[14:15], v[16:17]
	v_add_f64 v[3:4], v[3:4], v[10:11]
	s_delay_alu instid0(VALU_DEP_2)
	v_add_f64 v[1:2], v[1:2], v[14:15]
	s_and_not1_b32 exec_lo, exec_lo, s3
	s_cbranch_execnz .LBB124_117
; %bb.118:
	s_or_b32 exec_lo, exec_lo, s3
	v_mov_b32_e32 v7, 0
	ds_load_b128 v[7:10], v7 offset:368
	s_waitcnt lgkmcnt(0)
	v_mul_f64 v[11:12], v[1:2], v[9:10]
	v_mul_f64 v[14:15], v[3:4], v[9:10]
	s_delay_alu instid0(VALU_DEP_2) | instskip(NEXT) | instid1(VALU_DEP_2)
	v_fma_f64 v[9:10], v[3:4], v[7:8], -v[11:12]
	v_fma_f64 v[11:12], v[1:2], v[7:8], v[14:15]
	scratch_store_b128 off, v[9:12], off offset:368
.LBB124_119:
	s_or_b32 exec_lo, exec_lo, s2
	s_waitcnt_vscnt null, 0x0
	s_barrier
	buffer_gl0_inv
	scratch_load_b32 v1, off, off offset:1004 ; 4-byte Folded Reload
	s_mov_b32 s2, exec_lo
	s_waitcnt vmcnt(0)
	scratch_load_b128 v[1:4], v1, off
	s_waitcnt vmcnt(0)
	ds_store_b128 v5, v[1:4]
	s_waitcnt lgkmcnt(0)
	s_barrier
	buffer_gl0_inv
	v_cmpx_gt_u32_e32 24, v169
	s_cbranch_execz .LBB124_123
; %bb.120:
	v_dual_mov_b32 v1, 0 :: v_dual_add_nc_u32 v8, 0x3d0, v229
	v_dual_mov_b32 v2, 0 :: v_dual_add_nc_u32 v7, -1, v169
	v_or_b32_e32 v9, 8, v13
	s_mov_b32 s3, 0
	s_delay_alu instid0(VALU_DEP_2)
	v_dual_mov_b32 v4, v2 :: v_dual_mov_b32 v3, v1
	.p2align	6
.LBB124_121:                            ; =>This Inner Loop Header: Depth=1
	scratch_load_b128 v[14:17], v9, off offset:-8
	ds_load_b128 v[18:21], v8
	v_add_nc_u32_e32 v7, 1, v7
	v_add_nc_u32_e32 v8, 16, v8
	;; [unrolled: 1-line block ×3, first 2 shown]
	s_delay_alu instid0(VALU_DEP_3) | instskip(SKIP_4) | instid1(VALU_DEP_2)
	v_cmp_lt_u32_e32 vcc_lo, 22, v7
	s_or_b32 s3, vcc_lo, s3
	s_waitcnt vmcnt(0) lgkmcnt(0)
	v_mul_f64 v[10:11], v[20:21], v[16:17]
	v_mul_f64 v[16:17], v[18:19], v[16:17]
	v_fma_f64 v[10:11], v[18:19], v[14:15], -v[10:11]
	s_delay_alu instid0(VALU_DEP_2) | instskip(NEXT) | instid1(VALU_DEP_2)
	v_fma_f64 v[14:15], v[20:21], v[14:15], v[16:17]
	v_add_f64 v[3:4], v[3:4], v[10:11]
	s_delay_alu instid0(VALU_DEP_2)
	v_add_f64 v[1:2], v[1:2], v[14:15]
	s_and_not1_b32 exec_lo, exec_lo, s3
	s_cbranch_execnz .LBB124_121
; %bb.122:
	s_or_b32 exec_lo, exec_lo, s3
	v_mov_b32_e32 v7, 0
	ds_load_b128 v[7:10], v7 offset:384
	s_waitcnt lgkmcnt(0)
	v_mul_f64 v[11:12], v[1:2], v[9:10]
	v_mul_f64 v[14:15], v[3:4], v[9:10]
	s_delay_alu instid0(VALU_DEP_2) | instskip(NEXT) | instid1(VALU_DEP_2)
	v_fma_f64 v[9:10], v[3:4], v[7:8], -v[11:12]
	v_fma_f64 v[11:12], v[1:2], v[7:8], v[14:15]
	scratch_store_b128 off, v[9:12], off offset:384
.LBB124_123:
	s_or_b32 exec_lo, exec_lo, s2
	s_waitcnt_vscnt null, 0x0
	s_barrier
	buffer_gl0_inv
	scratch_load_b32 v1, off, off offset:1000 ; 4-byte Folded Reload
	s_mov_b32 s2, exec_lo
	s_waitcnt vmcnt(0)
	scratch_load_b128 v[1:4], v1, off
	s_waitcnt vmcnt(0)
	ds_store_b128 v5, v[1:4]
	s_waitcnt lgkmcnt(0)
	s_barrier
	buffer_gl0_inv
	v_cmpx_gt_u32_e32 25, v169
	s_cbranch_execz .LBB124_127
; %bb.124:
	v_dual_mov_b32 v1, 0 :: v_dual_add_nc_u32 v8, 0x3d0, v229
	v_dual_mov_b32 v2, 0 :: v_dual_add_nc_u32 v7, -1, v169
	v_or_b32_e32 v9, 8, v13
	s_mov_b32 s3, 0
	s_delay_alu instid0(VALU_DEP_2)
	v_dual_mov_b32 v4, v2 :: v_dual_mov_b32 v3, v1
	.p2align	6
.LBB124_125:                            ; =>This Inner Loop Header: Depth=1
	scratch_load_b128 v[14:17], v9, off offset:-8
	ds_load_b128 v[18:21], v8
	v_add_nc_u32_e32 v7, 1, v7
	v_add_nc_u32_e32 v8, 16, v8
	;; [unrolled: 1-line block ×3, first 2 shown]
	s_delay_alu instid0(VALU_DEP_3) | instskip(SKIP_4) | instid1(VALU_DEP_2)
	v_cmp_lt_u32_e32 vcc_lo, 23, v7
	s_or_b32 s3, vcc_lo, s3
	s_waitcnt vmcnt(0) lgkmcnt(0)
	v_mul_f64 v[10:11], v[20:21], v[16:17]
	v_mul_f64 v[16:17], v[18:19], v[16:17]
	v_fma_f64 v[10:11], v[18:19], v[14:15], -v[10:11]
	s_delay_alu instid0(VALU_DEP_2) | instskip(NEXT) | instid1(VALU_DEP_2)
	v_fma_f64 v[14:15], v[20:21], v[14:15], v[16:17]
	v_add_f64 v[3:4], v[3:4], v[10:11]
	s_delay_alu instid0(VALU_DEP_2)
	v_add_f64 v[1:2], v[1:2], v[14:15]
	s_and_not1_b32 exec_lo, exec_lo, s3
	s_cbranch_execnz .LBB124_125
; %bb.126:
	s_or_b32 exec_lo, exec_lo, s3
	v_mov_b32_e32 v7, 0
	ds_load_b128 v[7:10], v7 offset:400
	s_waitcnt lgkmcnt(0)
	v_mul_f64 v[11:12], v[1:2], v[9:10]
	v_mul_f64 v[14:15], v[3:4], v[9:10]
	s_delay_alu instid0(VALU_DEP_2) | instskip(NEXT) | instid1(VALU_DEP_2)
	v_fma_f64 v[9:10], v[3:4], v[7:8], -v[11:12]
	v_fma_f64 v[11:12], v[1:2], v[7:8], v[14:15]
	scratch_store_b128 off, v[9:12], off offset:400
.LBB124_127:
	s_or_b32 exec_lo, exec_lo, s2
	s_waitcnt_vscnt null, 0x0
	s_barrier
	buffer_gl0_inv
	scratch_load_b32 v1, off, off offset:996 ; 4-byte Folded Reload
	s_mov_b32 s2, exec_lo
	s_waitcnt vmcnt(0)
	scratch_load_b128 v[1:4], v1, off
	s_waitcnt vmcnt(0)
	ds_store_b128 v5, v[1:4]
	s_waitcnt lgkmcnt(0)
	s_barrier
	buffer_gl0_inv
	v_cmpx_gt_u32_e32 26, v169
	s_cbranch_execz .LBB124_131
; %bb.128:
	v_dual_mov_b32 v1, 0 :: v_dual_add_nc_u32 v8, 0x3d0, v229
	v_dual_mov_b32 v2, 0 :: v_dual_add_nc_u32 v7, -1, v169
	v_or_b32_e32 v9, 8, v13
	s_mov_b32 s3, 0
	s_delay_alu instid0(VALU_DEP_2)
	v_dual_mov_b32 v4, v2 :: v_dual_mov_b32 v3, v1
	.p2align	6
.LBB124_129:                            ; =>This Inner Loop Header: Depth=1
	scratch_load_b128 v[14:17], v9, off offset:-8
	ds_load_b128 v[18:21], v8
	v_add_nc_u32_e32 v7, 1, v7
	v_add_nc_u32_e32 v8, 16, v8
	;; [unrolled: 1-line block ×3, first 2 shown]
	s_delay_alu instid0(VALU_DEP_3) | instskip(SKIP_4) | instid1(VALU_DEP_2)
	v_cmp_lt_u32_e32 vcc_lo, 24, v7
	s_or_b32 s3, vcc_lo, s3
	s_waitcnt vmcnt(0) lgkmcnt(0)
	v_mul_f64 v[10:11], v[20:21], v[16:17]
	v_mul_f64 v[16:17], v[18:19], v[16:17]
	v_fma_f64 v[10:11], v[18:19], v[14:15], -v[10:11]
	s_delay_alu instid0(VALU_DEP_2) | instskip(NEXT) | instid1(VALU_DEP_2)
	v_fma_f64 v[14:15], v[20:21], v[14:15], v[16:17]
	v_add_f64 v[3:4], v[3:4], v[10:11]
	s_delay_alu instid0(VALU_DEP_2)
	v_add_f64 v[1:2], v[1:2], v[14:15]
	s_and_not1_b32 exec_lo, exec_lo, s3
	s_cbranch_execnz .LBB124_129
; %bb.130:
	s_or_b32 exec_lo, exec_lo, s3
	v_mov_b32_e32 v7, 0
	ds_load_b128 v[7:10], v7 offset:416
	s_waitcnt lgkmcnt(0)
	v_mul_f64 v[11:12], v[1:2], v[9:10]
	v_mul_f64 v[14:15], v[3:4], v[9:10]
	s_delay_alu instid0(VALU_DEP_2) | instskip(NEXT) | instid1(VALU_DEP_2)
	v_fma_f64 v[9:10], v[3:4], v[7:8], -v[11:12]
	v_fma_f64 v[11:12], v[1:2], v[7:8], v[14:15]
	scratch_store_b128 off, v[9:12], off offset:416
.LBB124_131:
	s_or_b32 exec_lo, exec_lo, s2
	s_waitcnt_vscnt null, 0x0
	s_barrier
	buffer_gl0_inv
	scratch_load_b32 v1, off, off offset:992 ; 4-byte Folded Reload
	s_mov_b32 s2, exec_lo
	s_waitcnt vmcnt(0)
	scratch_load_b128 v[1:4], v1, off
	s_waitcnt vmcnt(0)
	ds_store_b128 v5, v[1:4]
	s_waitcnt lgkmcnt(0)
	s_barrier
	buffer_gl0_inv
	v_cmpx_gt_u32_e32 27, v169
	s_cbranch_execz .LBB124_135
; %bb.132:
	v_dual_mov_b32 v1, 0 :: v_dual_add_nc_u32 v8, 0x3d0, v229
	v_dual_mov_b32 v2, 0 :: v_dual_add_nc_u32 v7, -1, v169
	v_or_b32_e32 v9, 8, v13
	s_mov_b32 s3, 0
	s_delay_alu instid0(VALU_DEP_2)
	v_dual_mov_b32 v4, v2 :: v_dual_mov_b32 v3, v1
	.p2align	6
.LBB124_133:                            ; =>This Inner Loop Header: Depth=1
	scratch_load_b128 v[14:17], v9, off offset:-8
	ds_load_b128 v[18:21], v8
	v_add_nc_u32_e32 v7, 1, v7
	v_add_nc_u32_e32 v8, 16, v8
	;; [unrolled: 1-line block ×3, first 2 shown]
	s_delay_alu instid0(VALU_DEP_3) | instskip(SKIP_4) | instid1(VALU_DEP_2)
	v_cmp_lt_u32_e32 vcc_lo, 25, v7
	s_or_b32 s3, vcc_lo, s3
	s_waitcnt vmcnt(0) lgkmcnt(0)
	v_mul_f64 v[10:11], v[20:21], v[16:17]
	v_mul_f64 v[16:17], v[18:19], v[16:17]
	v_fma_f64 v[10:11], v[18:19], v[14:15], -v[10:11]
	s_delay_alu instid0(VALU_DEP_2) | instskip(NEXT) | instid1(VALU_DEP_2)
	v_fma_f64 v[14:15], v[20:21], v[14:15], v[16:17]
	v_add_f64 v[3:4], v[3:4], v[10:11]
	s_delay_alu instid0(VALU_DEP_2)
	v_add_f64 v[1:2], v[1:2], v[14:15]
	s_and_not1_b32 exec_lo, exec_lo, s3
	s_cbranch_execnz .LBB124_133
; %bb.134:
	s_or_b32 exec_lo, exec_lo, s3
	v_mov_b32_e32 v7, 0
	ds_load_b128 v[7:10], v7 offset:432
	s_waitcnt lgkmcnt(0)
	v_mul_f64 v[11:12], v[1:2], v[9:10]
	v_mul_f64 v[14:15], v[3:4], v[9:10]
	s_delay_alu instid0(VALU_DEP_2) | instskip(NEXT) | instid1(VALU_DEP_2)
	v_fma_f64 v[9:10], v[3:4], v[7:8], -v[11:12]
	v_fma_f64 v[11:12], v[1:2], v[7:8], v[14:15]
	scratch_store_b128 off, v[9:12], off offset:432
.LBB124_135:
	s_or_b32 exec_lo, exec_lo, s2
	s_waitcnt_vscnt null, 0x0
	s_barrier
	buffer_gl0_inv
	scratch_load_b32 v1, off, off offset:988 ; 4-byte Folded Reload
	s_mov_b32 s2, exec_lo
	s_waitcnt vmcnt(0)
	scratch_load_b128 v[1:4], v1, off
	s_waitcnt vmcnt(0)
	ds_store_b128 v5, v[1:4]
	s_waitcnt lgkmcnt(0)
	s_barrier
	buffer_gl0_inv
	v_cmpx_gt_u32_e32 28, v169
	s_cbranch_execz .LBB124_139
; %bb.136:
	v_dual_mov_b32 v1, 0 :: v_dual_add_nc_u32 v8, 0x3d0, v229
	v_dual_mov_b32 v2, 0 :: v_dual_add_nc_u32 v7, -1, v169
	v_or_b32_e32 v9, 8, v13
	s_mov_b32 s3, 0
	s_delay_alu instid0(VALU_DEP_2)
	v_dual_mov_b32 v4, v2 :: v_dual_mov_b32 v3, v1
	.p2align	6
.LBB124_137:                            ; =>This Inner Loop Header: Depth=1
	scratch_load_b128 v[14:17], v9, off offset:-8
	ds_load_b128 v[18:21], v8
	v_add_nc_u32_e32 v7, 1, v7
	v_add_nc_u32_e32 v8, 16, v8
	;; [unrolled: 1-line block ×3, first 2 shown]
	s_delay_alu instid0(VALU_DEP_3) | instskip(SKIP_4) | instid1(VALU_DEP_2)
	v_cmp_lt_u32_e32 vcc_lo, 26, v7
	s_or_b32 s3, vcc_lo, s3
	s_waitcnt vmcnt(0) lgkmcnt(0)
	v_mul_f64 v[10:11], v[20:21], v[16:17]
	v_mul_f64 v[16:17], v[18:19], v[16:17]
	v_fma_f64 v[10:11], v[18:19], v[14:15], -v[10:11]
	s_delay_alu instid0(VALU_DEP_2) | instskip(NEXT) | instid1(VALU_DEP_2)
	v_fma_f64 v[14:15], v[20:21], v[14:15], v[16:17]
	v_add_f64 v[3:4], v[3:4], v[10:11]
	s_delay_alu instid0(VALU_DEP_2)
	v_add_f64 v[1:2], v[1:2], v[14:15]
	s_and_not1_b32 exec_lo, exec_lo, s3
	s_cbranch_execnz .LBB124_137
; %bb.138:
	s_or_b32 exec_lo, exec_lo, s3
	v_mov_b32_e32 v7, 0
	ds_load_b128 v[7:10], v7 offset:448
	s_waitcnt lgkmcnt(0)
	v_mul_f64 v[11:12], v[1:2], v[9:10]
	v_mul_f64 v[14:15], v[3:4], v[9:10]
	s_delay_alu instid0(VALU_DEP_2) | instskip(NEXT) | instid1(VALU_DEP_2)
	v_fma_f64 v[9:10], v[3:4], v[7:8], -v[11:12]
	v_fma_f64 v[11:12], v[1:2], v[7:8], v[14:15]
	scratch_store_b128 off, v[9:12], off offset:448
.LBB124_139:
	s_or_b32 exec_lo, exec_lo, s2
	s_waitcnt_vscnt null, 0x0
	s_barrier
	buffer_gl0_inv
	scratch_load_b32 v1, off, off offset:984 ; 4-byte Folded Reload
	s_mov_b32 s2, exec_lo
	s_waitcnt vmcnt(0)
	scratch_load_b128 v[1:4], v1, off
	s_waitcnt vmcnt(0)
	ds_store_b128 v5, v[1:4]
	s_waitcnt lgkmcnt(0)
	s_barrier
	buffer_gl0_inv
	v_cmpx_gt_u32_e32 29, v169
	s_cbranch_execz .LBB124_143
; %bb.140:
	v_dual_mov_b32 v1, 0 :: v_dual_add_nc_u32 v8, 0x3d0, v229
	v_dual_mov_b32 v2, 0 :: v_dual_add_nc_u32 v7, -1, v169
	v_or_b32_e32 v9, 8, v13
	s_mov_b32 s3, 0
	s_delay_alu instid0(VALU_DEP_2)
	v_dual_mov_b32 v4, v2 :: v_dual_mov_b32 v3, v1
	.p2align	6
.LBB124_141:                            ; =>This Inner Loop Header: Depth=1
	scratch_load_b128 v[14:17], v9, off offset:-8
	ds_load_b128 v[18:21], v8
	v_add_nc_u32_e32 v7, 1, v7
	v_add_nc_u32_e32 v8, 16, v8
	;; [unrolled: 1-line block ×3, first 2 shown]
	s_delay_alu instid0(VALU_DEP_3) | instskip(SKIP_4) | instid1(VALU_DEP_2)
	v_cmp_lt_u32_e32 vcc_lo, 27, v7
	s_or_b32 s3, vcc_lo, s3
	s_waitcnt vmcnt(0) lgkmcnt(0)
	v_mul_f64 v[10:11], v[20:21], v[16:17]
	v_mul_f64 v[16:17], v[18:19], v[16:17]
	v_fma_f64 v[10:11], v[18:19], v[14:15], -v[10:11]
	s_delay_alu instid0(VALU_DEP_2) | instskip(NEXT) | instid1(VALU_DEP_2)
	v_fma_f64 v[14:15], v[20:21], v[14:15], v[16:17]
	v_add_f64 v[3:4], v[3:4], v[10:11]
	s_delay_alu instid0(VALU_DEP_2)
	v_add_f64 v[1:2], v[1:2], v[14:15]
	s_and_not1_b32 exec_lo, exec_lo, s3
	s_cbranch_execnz .LBB124_141
; %bb.142:
	s_or_b32 exec_lo, exec_lo, s3
	v_mov_b32_e32 v7, 0
	ds_load_b128 v[7:10], v7 offset:464
	s_waitcnt lgkmcnt(0)
	v_mul_f64 v[11:12], v[1:2], v[9:10]
	v_mul_f64 v[14:15], v[3:4], v[9:10]
	s_delay_alu instid0(VALU_DEP_2) | instskip(NEXT) | instid1(VALU_DEP_2)
	v_fma_f64 v[9:10], v[3:4], v[7:8], -v[11:12]
	v_fma_f64 v[11:12], v[1:2], v[7:8], v[14:15]
	scratch_store_b128 off, v[9:12], off offset:464
.LBB124_143:
	s_or_b32 exec_lo, exec_lo, s2
	s_waitcnt_vscnt null, 0x0
	s_barrier
	buffer_gl0_inv
	scratch_load_b32 v1, off, off offset:980 ; 4-byte Folded Reload
	s_mov_b32 s2, exec_lo
	s_waitcnt vmcnt(0)
	scratch_load_b128 v[1:4], v1, off
	s_waitcnt vmcnt(0)
	ds_store_b128 v5, v[1:4]
	s_waitcnt lgkmcnt(0)
	s_barrier
	buffer_gl0_inv
	v_cmpx_gt_u32_e32 30, v169
	s_cbranch_execz .LBB124_147
; %bb.144:
	v_dual_mov_b32 v1, 0 :: v_dual_add_nc_u32 v8, 0x3d0, v229
	v_dual_mov_b32 v2, 0 :: v_dual_add_nc_u32 v7, -1, v169
	v_or_b32_e32 v9, 8, v13
	s_mov_b32 s3, 0
	s_delay_alu instid0(VALU_DEP_2)
	v_dual_mov_b32 v4, v2 :: v_dual_mov_b32 v3, v1
	.p2align	6
.LBB124_145:                            ; =>This Inner Loop Header: Depth=1
	scratch_load_b128 v[14:17], v9, off offset:-8
	ds_load_b128 v[18:21], v8
	v_add_nc_u32_e32 v7, 1, v7
	v_add_nc_u32_e32 v8, 16, v8
	;; [unrolled: 1-line block ×3, first 2 shown]
	s_delay_alu instid0(VALU_DEP_3) | instskip(SKIP_4) | instid1(VALU_DEP_2)
	v_cmp_lt_u32_e32 vcc_lo, 28, v7
	s_or_b32 s3, vcc_lo, s3
	s_waitcnt vmcnt(0) lgkmcnt(0)
	v_mul_f64 v[10:11], v[20:21], v[16:17]
	v_mul_f64 v[16:17], v[18:19], v[16:17]
	v_fma_f64 v[10:11], v[18:19], v[14:15], -v[10:11]
	s_delay_alu instid0(VALU_DEP_2) | instskip(NEXT) | instid1(VALU_DEP_2)
	v_fma_f64 v[14:15], v[20:21], v[14:15], v[16:17]
	v_add_f64 v[3:4], v[3:4], v[10:11]
	s_delay_alu instid0(VALU_DEP_2)
	v_add_f64 v[1:2], v[1:2], v[14:15]
	s_and_not1_b32 exec_lo, exec_lo, s3
	s_cbranch_execnz .LBB124_145
; %bb.146:
	s_or_b32 exec_lo, exec_lo, s3
	v_mov_b32_e32 v7, 0
	ds_load_b128 v[7:10], v7 offset:480
	s_waitcnt lgkmcnt(0)
	v_mul_f64 v[11:12], v[1:2], v[9:10]
	v_mul_f64 v[14:15], v[3:4], v[9:10]
	s_delay_alu instid0(VALU_DEP_2) | instskip(NEXT) | instid1(VALU_DEP_2)
	v_fma_f64 v[9:10], v[3:4], v[7:8], -v[11:12]
	v_fma_f64 v[11:12], v[1:2], v[7:8], v[14:15]
	scratch_store_b128 off, v[9:12], off offset:480
.LBB124_147:
	s_or_b32 exec_lo, exec_lo, s2
	s_waitcnt_vscnt null, 0x0
	s_barrier
	buffer_gl0_inv
	scratch_load_b32 v1, off, off offset:976 ; 4-byte Folded Reload
	s_mov_b32 s2, exec_lo
	s_waitcnt vmcnt(0)
	scratch_load_b128 v[1:4], v1, off
	s_waitcnt vmcnt(0)
	ds_store_b128 v5, v[1:4]
	s_waitcnt lgkmcnt(0)
	s_barrier
	buffer_gl0_inv
	v_cmpx_gt_u32_e32 31, v169
	s_cbranch_execz .LBB124_151
; %bb.148:
	v_dual_mov_b32 v1, 0 :: v_dual_add_nc_u32 v8, 0x3d0, v229
	v_dual_mov_b32 v2, 0 :: v_dual_add_nc_u32 v7, -1, v169
	v_or_b32_e32 v9, 8, v13
	s_mov_b32 s3, 0
	s_delay_alu instid0(VALU_DEP_2)
	v_dual_mov_b32 v4, v2 :: v_dual_mov_b32 v3, v1
	.p2align	6
.LBB124_149:                            ; =>This Inner Loop Header: Depth=1
	scratch_load_b128 v[14:17], v9, off offset:-8
	ds_load_b128 v[18:21], v8
	v_add_nc_u32_e32 v7, 1, v7
	v_add_nc_u32_e32 v8, 16, v8
	;; [unrolled: 1-line block ×3, first 2 shown]
	s_delay_alu instid0(VALU_DEP_3) | instskip(SKIP_4) | instid1(VALU_DEP_2)
	v_cmp_lt_u32_e32 vcc_lo, 29, v7
	s_or_b32 s3, vcc_lo, s3
	s_waitcnt vmcnt(0) lgkmcnt(0)
	v_mul_f64 v[10:11], v[20:21], v[16:17]
	v_mul_f64 v[16:17], v[18:19], v[16:17]
	v_fma_f64 v[10:11], v[18:19], v[14:15], -v[10:11]
	s_delay_alu instid0(VALU_DEP_2) | instskip(NEXT) | instid1(VALU_DEP_2)
	v_fma_f64 v[14:15], v[20:21], v[14:15], v[16:17]
	v_add_f64 v[3:4], v[3:4], v[10:11]
	s_delay_alu instid0(VALU_DEP_2)
	v_add_f64 v[1:2], v[1:2], v[14:15]
	s_and_not1_b32 exec_lo, exec_lo, s3
	s_cbranch_execnz .LBB124_149
; %bb.150:
	s_or_b32 exec_lo, exec_lo, s3
	v_mov_b32_e32 v7, 0
	ds_load_b128 v[7:10], v7 offset:496
	s_waitcnt lgkmcnt(0)
	v_mul_f64 v[11:12], v[1:2], v[9:10]
	v_mul_f64 v[14:15], v[3:4], v[9:10]
	s_delay_alu instid0(VALU_DEP_2) | instskip(NEXT) | instid1(VALU_DEP_2)
	v_fma_f64 v[9:10], v[3:4], v[7:8], -v[11:12]
	v_fma_f64 v[11:12], v[1:2], v[7:8], v[14:15]
	scratch_store_b128 off, v[9:12], off offset:496
.LBB124_151:
	s_or_b32 exec_lo, exec_lo, s2
	s_waitcnt_vscnt null, 0x0
	s_barrier
	buffer_gl0_inv
	scratch_load_b128 v[1:4], v56, off
	s_mov_b32 s2, exec_lo
	s_waitcnt vmcnt(0)
	ds_store_b128 v5, v[1:4]
	s_waitcnt lgkmcnt(0)
	s_barrier
	buffer_gl0_inv
	v_cmpx_gt_u32_e32 32, v169
	s_cbranch_execz .LBB124_155
; %bb.152:
	v_dual_mov_b32 v1, 0 :: v_dual_add_nc_u32 v8, 0x3d0, v229
	v_dual_mov_b32 v2, 0 :: v_dual_add_nc_u32 v7, -1, v169
	v_or_b32_e32 v9, 8, v13
	s_mov_b32 s3, 0
	s_delay_alu instid0(VALU_DEP_2)
	v_dual_mov_b32 v4, v2 :: v_dual_mov_b32 v3, v1
	.p2align	6
.LBB124_153:                            ; =>This Inner Loop Header: Depth=1
	scratch_load_b128 v[14:17], v9, off offset:-8
	ds_load_b128 v[18:21], v8
	v_add_nc_u32_e32 v7, 1, v7
	v_add_nc_u32_e32 v8, 16, v8
	v_add_nc_u32_e32 v9, 16, v9
	s_delay_alu instid0(VALU_DEP_3) | instskip(SKIP_4) | instid1(VALU_DEP_2)
	v_cmp_lt_u32_e32 vcc_lo, 30, v7
	s_or_b32 s3, vcc_lo, s3
	s_waitcnt vmcnt(0) lgkmcnt(0)
	v_mul_f64 v[10:11], v[20:21], v[16:17]
	v_mul_f64 v[16:17], v[18:19], v[16:17]
	v_fma_f64 v[10:11], v[18:19], v[14:15], -v[10:11]
	s_delay_alu instid0(VALU_DEP_2) | instskip(NEXT) | instid1(VALU_DEP_2)
	v_fma_f64 v[14:15], v[20:21], v[14:15], v[16:17]
	v_add_f64 v[3:4], v[3:4], v[10:11]
	s_delay_alu instid0(VALU_DEP_2)
	v_add_f64 v[1:2], v[1:2], v[14:15]
	s_and_not1_b32 exec_lo, exec_lo, s3
	s_cbranch_execnz .LBB124_153
; %bb.154:
	s_or_b32 exec_lo, exec_lo, s3
	v_mov_b32_e32 v7, 0
	ds_load_b128 v[7:10], v7 offset:512
	s_waitcnt lgkmcnt(0)
	v_mul_f64 v[11:12], v[1:2], v[9:10]
	v_mul_f64 v[14:15], v[3:4], v[9:10]
	s_delay_alu instid0(VALU_DEP_2) | instskip(NEXT) | instid1(VALU_DEP_2)
	v_fma_f64 v[9:10], v[3:4], v[7:8], -v[11:12]
	v_fma_f64 v[11:12], v[1:2], v[7:8], v[14:15]
	scratch_store_b128 off, v[9:12], off offset:512
.LBB124_155:
	s_or_b32 exec_lo, exec_lo, s2
	s_waitcnt_vscnt null, 0x0
	s_barrier
	buffer_gl0_inv
	scratch_load_b128 v[1:4], v203, off
	s_mov_b32 s2, exec_lo
	s_waitcnt vmcnt(0)
	ds_store_b128 v5, v[1:4]
	s_waitcnt lgkmcnt(0)
	s_barrier
	buffer_gl0_inv
	v_cmpx_gt_u32_e32 33, v169
	s_cbranch_execz .LBB124_159
; %bb.156:
	v_dual_mov_b32 v1, 0 :: v_dual_add_nc_u32 v8, 0x3d0, v229
	v_dual_mov_b32 v2, 0 :: v_dual_add_nc_u32 v7, -1, v169
	v_or_b32_e32 v9, 8, v13
	s_mov_b32 s3, 0
	s_delay_alu instid0(VALU_DEP_2)
	v_dual_mov_b32 v4, v2 :: v_dual_mov_b32 v3, v1
	.p2align	6
.LBB124_157:                            ; =>This Inner Loop Header: Depth=1
	scratch_load_b128 v[14:17], v9, off offset:-8
	ds_load_b128 v[18:21], v8
	v_add_nc_u32_e32 v7, 1, v7
	v_add_nc_u32_e32 v8, 16, v8
	;; [unrolled: 1-line block ×3, first 2 shown]
	s_delay_alu instid0(VALU_DEP_3) | instskip(SKIP_4) | instid1(VALU_DEP_2)
	v_cmp_lt_u32_e32 vcc_lo, 31, v7
	s_or_b32 s3, vcc_lo, s3
	s_waitcnt vmcnt(0) lgkmcnt(0)
	v_mul_f64 v[10:11], v[20:21], v[16:17]
	v_mul_f64 v[16:17], v[18:19], v[16:17]
	v_fma_f64 v[10:11], v[18:19], v[14:15], -v[10:11]
	s_delay_alu instid0(VALU_DEP_2) | instskip(NEXT) | instid1(VALU_DEP_2)
	v_fma_f64 v[14:15], v[20:21], v[14:15], v[16:17]
	v_add_f64 v[3:4], v[3:4], v[10:11]
	s_delay_alu instid0(VALU_DEP_2)
	v_add_f64 v[1:2], v[1:2], v[14:15]
	s_and_not1_b32 exec_lo, exec_lo, s3
	s_cbranch_execnz .LBB124_157
; %bb.158:
	s_or_b32 exec_lo, exec_lo, s3
	v_mov_b32_e32 v7, 0
	ds_load_b128 v[7:10], v7 offset:528
	s_waitcnt lgkmcnt(0)
	v_mul_f64 v[11:12], v[1:2], v[9:10]
	v_mul_f64 v[14:15], v[3:4], v[9:10]
	s_delay_alu instid0(VALU_DEP_2) | instskip(NEXT) | instid1(VALU_DEP_2)
	v_fma_f64 v[9:10], v[3:4], v[7:8], -v[11:12]
	v_fma_f64 v[11:12], v[1:2], v[7:8], v[14:15]
	scratch_store_b128 off, v[9:12], off offset:528
.LBB124_159:
	s_or_b32 exec_lo, exec_lo, s2
	s_waitcnt_vscnt null, 0x0
	s_barrier
	buffer_gl0_inv
	scratch_load_b128 v[1:4], v211, off
	s_mov_b32 s2, exec_lo
	s_waitcnt vmcnt(0)
	ds_store_b128 v5, v[1:4]
	s_waitcnt lgkmcnt(0)
	s_barrier
	buffer_gl0_inv
	v_cmpx_gt_u32_e32 34, v169
	s_cbranch_execz .LBB124_163
; %bb.160:
	v_dual_mov_b32 v1, 0 :: v_dual_add_nc_u32 v8, 0x3d0, v229
	v_dual_mov_b32 v2, 0 :: v_dual_add_nc_u32 v7, -1, v169
	v_or_b32_e32 v9, 8, v13
	s_mov_b32 s3, 0
	s_delay_alu instid0(VALU_DEP_2)
	v_dual_mov_b32 v4, v2 :: v_dual_mov_b32 v3, v1
	.p2align	6
.LBB124_161:                            ; =>This Inner Loop Header: Depth=1
	scratch_load_b128 v[14:17], v9, off offset:-8
	ds_load_b128 v[18:21], v8
	v_add_nc_u32_e32 v7, 1, v7
	v_add_nc_u32_e32 v8, 16, v8
	;; [unrolled: 1-line block ×3, first 2 shown]
	s_delay_alu instid0(VALU_DEP_3) | instskip(SKIP_4) | instid1(VALU_DEP_2)
	v_cmp_lt_u32_e32 vcc_lo, 32, v7
	s_or_b32 s3, vcc_lo, s3
	s_waitcnt vmcnt(0) lgkmcnt(0)
	v_mul_f64 v[10:11], v[20:21], v[16:17]
	v_mul_f64 v[16:17], v[18:19], v[16:17]
	v_fma_f64 v[10:11], v[18:19], v[14:15], -v[10:11]
	s_delay_alu instid0(VALU_DEP_2) | instskip(NEXT) | instid1(VALU_DEP_2)
	v_fma_f64 v[14:15], v[20:21], v[14:15], v[16:17]
	v_add_f64 v[3:4], v[3:4], v[10:11]
	s_delay_alu instid0(VALU_DEP_2)
	v_add_f64 v[1:2], v[1:2], v[14:15]
	s_and_not1_b32 exec_lo, exec_lo, s3
	s_cbranch_execnz .LBB124_161
; %bb.162:
	s_or_b32 exec_lo, exec_lo, s3
	v_mov_b32_e32 v7, 0
	ds_load_b128 v[7:10], v7 offset:544
	s_waitcnt lgkmcnt(0)
	v_mul_f64 v[11:12], v[1:2], v[9:10]
	v_mul_f64 v[14:15], v[3:4], v[9:10]
	s_delay_alu instid0(VALU_DEP_2) | instskip(NEXT) | instid1(VALU_DEP_2)
	v_fma_f64 v[9:10], v[3:4], v[7:8], -v[11:12]
	v_fma_f64 v[11:12], v[1:2], v[7:8], v[14:15]
	scratch_store_b128 off, v[9:12], off offset:544
.LBB124_163:
	s_or_b32 exec_lo, exec_lo, s2
	s_waitcnt_vscnt null, 0x0
	s_barrier
	buffer_gl0_inv
	scratch_load_b128 v[1:4], v190, off
	s_mov_b32 s2, exec_lo
	s_waitcnt vmcnt(0)
	ds_store_b128 v5, v[1:4]
	s_waitcnt lgkmcnt(0)
	s_barrier
	buffer_gl0_inv
	v_cmpx_gt_u32_e32 35, v169
	s_cbranch_execz .LBB124_167
; %bb.164:
	v_dual_mov_b32 v1, 0 :: v_dual_add_nc_u32 v8, 0x3d0, v229
	v_dual_mov_b32 v2, 0 :: v_dual_add_nc_u32 v7, -1, v169
	v_or_b32_e32 v9, 8, v13
	s_mov_b32 s3, 0
	s_delay_alu instid0(VALU_DEP_2)
	v_dual_mov_b32 v4, v2 :: v_dual_mov_b32 v3, v1
	.p2align	6
.LBB124_165:                            ; =>This Inner Loop Header: Depth=1
	scratch_load_b128 v[14:17], v9, off offset:-8
	ds_load_b128 v[18:21], v8
	v_add_nc_u32_e32 v7, 1, v7
	v_add_nc_u32_e32 v8, 16, v8
	;; [unrolled: 1-line block ×3, first 2 shown]
	s_delay_alu instid0(VALU_DEP_3) | instskip(SKIP_4) | instid1(VALU_DEP_2)
	v_cmp_lt_u32_e32 vcc_lo, 33, v7
	s_or_b32 s3, vcc_lo, s3
	s_waitcnt vmcnt(0) lgkmcnt(0)
	v_mul_f64 v[10:11], v[20:21], v[16:17]
	v_mul_f64 v[16:17], v[18:19], v[16:17]
	v_fma_f64 v[10:11], v[18:19], v[14:15], -v[10:11]
	s_delay_alu instid0(VALU_DEP_2) | instskip(NEXT) | instid1(VALU_DEP_2)
	v_fma_f64 v[14:15], v[20:21], v[14:15], v[16:17]
	v_add_f64 v[3:4], v[3:4], v[10:11]
	s_delay_alu instid0(VALU_DEP_2)
	v_add_f64 v[1:2], v[1:2], v[14:15]
	s_and_not1_b32 exec_lo, exec_lo, s3
	s_cbranch_execnz .LBB124_165
; %bb.166:
	s_or_b32 exec_lo, exec_lo, s3
	v_mov_b32_e32 v7, 0
	ds_load_b128 v[7:10], v7 offset:560
	s_waitcnt lgkmcnt(0)
	v_mul_f64 v[11:12], v[1:2], v[9:10]
	v_mul_f64 v[14:15], v[3:4], v[9:10]
	s_delay_alu instid0(VALU_DEP_2) | instskip(NEXT) | instid1(VALU_DEP_2)
	v_fma_f64 v[9:10], v[3:4], v[7:8], -v[11:12]
	v_fma_f64 v[11:12], v[1:2], v[7:8], v[14:15]
	scratch_store_b128 off, v[9:12], off offset:560
.LBB124_167:
	s_or_b32 exec_lo, exec_lo, s2
	s_waitcnt_vscnt null, 0x0
	s_barrier
	buffer_gl0_inv
	scratch_load_b128 v[1:4], v205, off
	s_mov_b32 s2, exec_lo
	s_waitcnt vmcnt(0)
	ds_store_b128 v5, v[1:4]
	s_waitcnt lgkmcnt(0)
	s_barrier
	buffer_gl0_inv
	v_cmpx_gt_u32_e32 36, v169
	s_cbranch_execz .LBB124_171
; %bb.168:
	v_dual_mov_b32 v1, 0 :: v_dual_add_nc_u32 v8, 0x3d0, v229
	v_dual_mov_b32 v2, 0 :: v_dual_add_nc_u32 v7, -1, v169
	v_or_b32_e32 v9, 8, v13
	s_mov_b32 s3, 0
	s_delay_alu instid0(VALU_DEP_2)
	v_dual_mov_b32 v4, v2 :: v_dual_mov_b32 v3, v1
	.p2align	6
.LBB124_169:                            ; =>This Inner Loop Header: Depth=1
	scratch_load_b128 v[14:17], v9, off offset:-8
	ds_load_b128 v[18:21], v8
	v_add_nc_u32_e32 v7, 1, v7
	v_add_nc_u32_e32 v8, 16, v8
	;; [unrolled: 1-line block ×3, first 2 shown]
	s_delay_alu instid0(VALU_DEP_3) | instskip(SKIP_4) | instid1(VALU_DEP_2)
	v_cmp_lt_u32_e32 vcc_lo, 34, v7
	s_or_b32 s3, vcc_lo, s3
	s_waitcnt vmcnt(0) lgkmcnt(0)
	v_mul_f64 v[10:11], v[20:21], v[16:17]
	v_mul_f64 v[16:17], v[18:19], v[16:17]
	v_fma_f64 v[10:11], v[18:19], v[14:15], -v[10:11]
	s_delay_alu instid0(VALU_DEP_2) | instskip(NEXT) | instid1(VALU_DEP_2)
	v_fma_f64 v[14:15], v[20:21], v[14:15], v[16:17]
	v_add_f64 v[3:4], v[3:4], v[10:11]
	s_delay_alu instid0(VALU_DEP_2)
	v_add_f64 v[1:2], v[1:2], v[14:15]
	s_and_not1_b32 exec_lo, exec_lo, s3
	s_cbranch_execnz .LBB124_169
; %bb.170:
	s_or_b32 exec_lo, exec_lo, s3
	v_mov_b32_e32 v7, 0
	ds_load_b128 v[7:10], v7 offset:576
	s_waitcnt lgkmcnt(0)
	v_mul_f64 v[11:12], v[1:2], v[9:10]
	v_mul_f64 v[14:15], v[3:4], v[9:10]
	s_delay_alu instid0(VALU_DEP_2) | instskip(NEXT) | instid1(VALU_DEP_2)
	v_fma_f64 v[9:10], v[3:4], v[7:8], -v[11:12]
	v_fma_f64 v[11:12], v[1:2], v[7:8], v[14:15]
	scratch_store_b128 off, v[9:12], off offset:576
.LBB124_171:
	s_or_b32 exec_lo, exec_lo, s2
	s_waitcnt_vscnt null, 0x0
	s_barrier
	buffer_gl0_inv
	scratch_load_b128 v[1:4], v201, off
	s_mov_b32 s2, exec_lo
	s_waitcnt vmcnt(0)
	ds_store_b128 v5, v[1:4]
	s_waitcnt lgkmcnt(0)
	s_barrier
	buffer_gl0_inv
	v_cmpx_gt_u32_e32 37, v169
	s_cbranch_execz .LBB124_175
; %bb.172:
	v_dual_mov_b32 v1, 0 :: v_dual_add_nc_u32 v8, 0x3d0, v229
	v_dual_mov_b32 v2, 0 :: v_dual_add_nc_u32 v7, -1, v169
	v_or_b32_e32 v9, 8, v13
	s_mov_b32 s3, 0
	s_delay_alu instid0(VALU_DEP_2)
	v_dual_mov_b32 v4, v2 :: v_dual_mov_b32 v3, v1
	.p2align	6
.LBB124_173:                            ; =>This Inner Loop Header: Depth=1
	scratch_load_b128 v[14:17], v9, off offset:-8
	ds_load_b128 v[18:21], v8
	v_add_nc_u32_e32 v7, 1, v7
	v_add_nc_u32_e32 v8, 16, v8
	;; [unrolled: 1-line block ×3, first 2 shown]
	s_delay_alu instid0(VALU_DEP_3) | instskip(SKIP_4) | instid1(VALU_DEP_2)
	v_cmp_lt_u32_e32 vcc_lo, 35, v7
	s_or_b32 s3, vcc_lo, s3
	s_waitcnt vmcnt(0) lgkmcnt(0)
	v_mul_f64 v[10:11], v[20:21], v[16:17]
	v_mul_f64 v[16:17], v[18:19], v[16:17]
	v_fma_f64 v[10:11], v[18:19], v[14:15], -v[10:11]
	s_delay_alu instid0(VALU_DEP_2) | instskip(NEXT) | instid1(VALU_DEP_2)
	v_fma_f64 v[14:15], v[20:21], v[14:15], v[16:17]
	v_add_f64 v[3:4], v[3:4], v[10:11]
	s_delay_alu instid0(VALU_DEP_2)
	v_add_f64 v[1:2], v[1:2], v[14:15]
	s_and_not1_b32 exec_lo, exec_lo, s3
	s_cbranch_execnz .LBB124_173
; %bb.174:
	s_or_b32 exec_lo, exec_lo, s3
	v_mov_b32_e32 v7, 0
	ds_load_b128 v[7:10], v7 offset:592
	s_waitcnt lgkmcnt(0)
	v_mul_f64 v[11:12], v[1:2], v[9:10]
	v_mul_f64 v[14:15], v[3:4], v[9:10]
	s_delay_alu instid0(VALU_DEP_2) | instskip(NEXT) | instid1(VALU_DEP_2)
	v_fma_f64 v[9:10], v[3:4], v[7:8], -v[11:12]
	v_fma_f64 v[11:12], v[1:2], v[7:8], v[14:15]
	scratch_store_b128 off, v[9:12], off offset:592
.LBB124_175:
	s_or_b32 exec_lo, exec_lo, s2
	s_waitcnt_vscnt null, 0x0
	s_barrier
	buffer_gl0_inv
	scratch_load_b128 v[1:4], v200, off
	s_mov_b32 s2, exec_lo
	s_waitcnt vmcnt(0)
	ds_store_b128 v5, v[1:4]
	s_waitcnt lgkmcnt(0)
	s_barrier
	buffer_gl0_inv
	v_cmpx_gt_u32_e32 38, v169
	s_cbranch_execz .LBB124_179
; %bb.176:
	v_dual_mov_b32 v1, 0 :: v_dual_add_nc_u32 v8, 0x3d0, v229
	v_dual_mov_b32 v2, 0 :: v_dual_add_nc_u32 v7, -1, v169
	v_or_b32_e32 v9, 8, v13
	s_mov_b32 s3, 0
	s_delay_alu instid0(VALU_DEP_2)
	v_dual_mov_b32 v4, v2 :: v_dual_mov_b32 v3, v1
	.p2align	6
.LBB124_177:                            ; =>This Inner Loop Header: Depth=1
	scratch_load_b128 v[14:17], v9, off offset:-8
	ds_load_b128 v[18:21], v8
	v_add_nc_u32_e32 v7, 1, v7
	v_add_nc_u32_e32 v8, 16, v8
	;; [unrolled: 1-line block ×3, first 2 shown]
	s_delay_alu instid0(VALU_DEP_3) | instskip(SKIP_4) | instid1(VALU_DEP_2)
	v_cmp_lt_u32_e32 vcc_lo, 36, v7
	s_or_b32 s3, vcc_lo, s3
	s_waitcnt vmcnt(0) lgkmcnt(0)
	v_mul_f64 v[10:11], v[20:21], v[16:17]
	v_mul_f64 v[16:17], v[18:19], v[16:17]
	v_fma_f64 v[10:11], v[18:19], v[14:15], -v[10:11]
	s_delay_alu instid0(VALU_DEP_2) | instskip(NEXT) | instid1(VALU_DEP_2)
	v_fma_f64 v[14:15], v[20:21], v[14:15], v[16:17]
	v_add_f64 v[3:4], v[3:4], v[10:11]
	s_delay_alu instid0(VALU_DEP_2)
	v_add_f64 v[1:2], v[1:2], v[14:15]
	s_and_not1_b32 exec_lo, exec_lo, s3
	s_cbranch_execnz .LBB124_177
; %bb.178:
	s_or_b32 exec_lo, exec_lo, s3
	v_mov_b32_e32 v7, 0
	ds_load_b128 v[7:10], v7 offset:608
	s_waitcnt lgkmcnt(0)
	v_mul_f64 v[11:12], v[1:2], v[9:10]
	v_mul_f64 v[14:15], v[3:4], v[9:10]
	s_delay_alu instid0(VALU_DEP_2) | instskip(NEXT) | instid1(VALU_DEP_2)
	v_fma_f64 v[9:10], v[3:4], v[7:8], -v[11:12]
	v_fma_f64 v[11:12], v[1:2], v[7:8], v[14:15]
	scratch_store_b128 off, v[9:12], off offset:608
.LBB124_179:
	s_or_b32 exec_lo, exec_lo, s2
	s_waitcnt_vscnt null, 0x0
	s_barrier
	buffer_gl0_inv
	scratch_load_b128 v[1:4], v197, off
	s_mov_b32 s2, exec_lo
	s_waitcnt vmcnt(0)
	ds_store_b128 v5, v[1:4]
	s_waitcnt lgkmcnt(0)
	s_barrier
	buffer_gl0_inv
	v_cmpx_gt_u32_e32 39, v169
	s_cbranch_execz .LBB124_183
; %bb.180:
	v_dual_mov_b32 v1, 0 :: v_dual_add_nc_u32 v8, 0x3d0, v229
	v_dual_mov_b32 v2, 0 :: v_dual_add_nc_u32 v7, -1, v169
	v_or_b32_e32 v9, 8, v13
	s_mov_b32 s3, 0
	s_delay_alu instid0(VALU_DEP_2)
	v_dual_mov_b32 v4, v2 :: v_dual_mov_b32 v3, v1
	.p2align	6
.LBB124_181:                            ; =>This Inner Loop Header: Depth=1
	scratch_load_b128 v[14:17], v9, off offset:-8
	ds_load_b128 v[18:21], v8
	v_add_nc_u32_e32 v7, 1, v7
	v_add_nc_u32_e32 v8, 16, v8
	;; [unrolled: 1-line block ×3, first 2 shown]
	s_delay_alu instid0(VALU_DEP_3) | instskip(SKIP_4) | instid1(VALU_DEP_2)
	v_cmp_lt_u32_e32 vcc_lo, 37, v7
	s_or_b32 s3, vcc_lo, s3
	s_waitcnt vmcnt(0) lgkmcnt(0)
	v_mul_f64 v[10:11], v[20:21], v[16:17]
	v_mul_f64 v[16:17], v[18:19], v[16:17]
	v_fma_f64 v[10:11], v[18:19], v[14:15], -v[10:11]
	s_delay_alu instid0(VALU_DEP_2) | instskip(NEXT) | instid1(VALU_DEP_2)
	v_fma_f64 v[14:15], v[20:21], v[14:15], v[16:17]
	v_add_f64 v[3:4], v[3:4], v[10:11]
	s_delay_alu instid0(VALU_DEP_2)
	v_add_f64 v[1:2], v[1:2], v[14:15]
	s_and_not1_b32 exec_lo, exec_lo, s3
	s_cbranch_execnz .LBB124_181
; %bb.182:
	s_or_b32 exec_lo, exec_lo, s3
	v_mov_b32_e32 v7, 0
	ds_load_b128 v[7:10], v7 offset:624
	s_waitcnt lgkmcnt(0)
	v_mul_f64 v[11:12], v[1:2], v[9:10]
	v_mul_f64 v[14:15], v[3:4], v[9:10]
	s_delay_alu instid0(VALU_DEP_2) | instskip(NEXT) | instid1(VALU_DEP_2)
	v_fma_f64 v[9:10], v[3:4], v[7:8], -v[11:12]
	v_fma_f64 v[11:12], v[1:2], v[7:8], v[14:15]
	scratch_store_b128 off, v[9:12], off offset:624
.LBB124_183:
	s_or_b32 exec_lo, exec_lo, s2
	s_waitcnt_vscnt null, 0x0
	s_barrier
	buffer_gl0_inv
	scratch_load_b128 v[1:4], v195, off
	s_mov_b32 s2, exec_lo
	s_waitcnt vmcnt(0)
	ds_store_b128 v5, v[1:4]
	s_waitcnt lgkmcnt(0)
	s_barrier
	buffer_gl0_inv
	v_cmpx_gt_u32_e32 40, v169
	s_cbranch_execz .LBB124_187
; %bb.184:
	v_dual_mov_b32 v1, 0 :: v_dual_add_nc_u32 v8, 0x3d0, v229
	v_dual_mov_b32 v2, 0 :: v_dual_add_nc_u32 v7, -1, v169
	v_or_b32_e32 v9, 8, v13
	s_mov_b32 s3, 0
	s_delay_alu instid0(VALU_DEP_2)
	v_dual_mov_b32 v4, v2 :: v_dual_mov_b32 v3, v1
	.p2align	6
.LBB124_185:                            ; =>This Inner Loop Header: Depth=1
	scratch_load_b128 v[14:17], v9, off offset:-8
	ds_load_b128 v[18:21], v8
	v_add_nc_u32_e32 v7, 1, v7
	v_add_nc_u32_e32 v8, 16, v8
	;; [unrolled: 1-line block ×3, first 2 shown]
	s_delay_alu instid0(VALU_DEP_3) | instskip(SKIP_4) | instid1(VALU_DEP_2)
	v_cmp_lt_u32_e32 vcc_lo, 38, v7
	s_or_b32 s3, vcc_lo, s3
	s_waitcnt vmcnt(0) lgkmcnt(0)
	v_mul_f64 v[10:11], v[20:21], v[16:17]
	v_mul_f64 v[16:17], v[18:19], v[16:17]
	v_fma_f64 v[10:11], v[18:19], v[14:15], -v[10:11]
	s_delay_alu instid0(VALU_DEP_2) | instskip(NEXT) | instid1(VALU_DEP_2)
	v_fma_f64 v[14:15], v[20:21], v[14:15], v[16:17]
	v_add_f64 v[3:4], v[3:4], v[10:11]
	s_delay_alu instid0(VALU_DEP_2)
	v_add_f64 v[1:2], v[1:2], v[14:15]
	s_and_not1_b32 exec_lo, exec_lo, s3
	s_cbranch_execnz .LBB124_185
; %bb.186:
	s_or_b32 exec_lo, exec_lo, s3
	v_mov_b32_e32 v7, 0
	ds_load_b128 v[7:10], v7 offset:640
	s_waitcnt lgkmcnt(0)
	v_mul_f64 v[11:12], v[1:2], v[9:10]
	v_mul_f64 v[14:15], v[3:4], v[9:10]
	s_delay_alu instid0(VALU_DEP_2) | instskip(NEXT) | instid1(VALU_DEP_2)
	v_fma_f64 v[9:10], v[3:4], v[7:8], -v[11:12]
	v_fma_f64 v[11:12], v[1:2], v[7:8], v[14:15]
	scratch_store_b128 off, v[9:12], off offset:640
.LBB124_187:
	s_or_b32 exec_lo, exec_lo, s2
	s_waitcnt_vscnt null, 0x0
	s_barrier
	buffer_gl0_inv
	scratch_load_b128 v[1:4], v193, off
	s_mov_b32 s2, exec_lo
	s_waitcnt vmcnt(0)
	ds_store_b128 v5, v[1:4]
	s_waitcnt lgkmcnt(0)
	s_barrier
	buffer_gl0_inv
	v_cmpx_gt_u32_e32 41, v169
	s_cbranch_execz .LBB124_191
; %bb.188:
	v_dual_mov_b32 v1, 0 :: v_dual_add_nc_u32 v8, 0x3d0, v229
	v_dual_mov_b32 v2, 0 :: v_dual_add_nc_u32 v7, -1, v169
	v_or_b32_e32 v9, 8, v13
	s_mov_b32 s3, 0
	s_delay_alu instid0(VALU_DEP_2)
	v_dual_mov_b32 v4, v2 :: v_dual_mov_b32 v3, v1
	.p2align	6
.LBB124_189:                            ; =>This Inner Loop Header: Depth=1
	scratch_load_b128 v[14:17], v9, off offset:-8
	ds_load_b128 v[18:21], v8
	v_add_nc_u32_e32 v7, 1, v7
	v_add_nc_u32_e32 v8, 16, v8
	;; [unrolled: 1-line block ×3, first 2 shown]
	s_delay_alu instid0(VALU_DEP_3) | instskip(SKIP_4) | instid1(VALU_DEP_2)
	v_cmp_lt_u32_e32 vcc_lo, 39, v7
	s_or_b32 s3, vcc_lo, s3
	s_waitcnt vmcnt(0) lgkmcnt(0)
	v_mul_f64 v[10:11], v[20:21], v[16:17]
	v_mul_f64 v[16:17], v[18:19], v[16:17]
	v_fma_f64 v[10:11], v[18:19], v[14:15], -v[10:11]
	s_delay_alu instid0(VALU_DEP_2) | instskip(NEXT) | instid1(VALU_DEP_2)
	v_fma_f64 v[14:15], v[20:21], v[14:15], v[16:17]
	v_add_f64 v[3:4], v[3:4], v[10:11]
	s_delay_alu instid0(VALU_DEP_2)
	v_add_f64 v[1:2], v[1:2], v[14:15]
	s_and_not1_b32 exec_lo, exec_lo, s3
	s_cbranch_execnz .LBB124_189
; %bb.190:
	s_or_b32 exec_lo, exec_lo, s3
	v_mov_b32_e32 v7, 0
	ds_load_b128 v[7:10], v7 offset:656
	s_waitcnt lgkmcnt(0)
	v_mul_f64 v[11:12], v[1:2], v[9:10]
	v_mul_f64 v[14:15], v[3:4], v[9:10]
	s_delay_alu instid0(VALU_DEP_2) | instskip(NEXT) | instid1(VALU_DEP_2)
	v_fma_f64 v[9:10], v[3:4], v[7:8], -v[11:12]
	v_fma_f64 v[11:12], v[1:2], v[7:8], v[14:15]
	scratch_store_b128 off, v[9:12], off offset:656
.LBB124_191:
	s_or_b32 exec_lo, exec_lo, s2
	s_waitcnt_vscnt null, 0x0
	s_barrier
	buffer_gl0_inv
	scratch_load_b128 v[1:4], v191, off
	s_mov_b32 s2, exec_lo
	s_waitcnt vmcnt(0)
	ds_store_b128 v5, v[1:4]
	s_waitcnt lgkmcnt(0)
	s_barrier
	buffer_gl0_inv
	v_cmpx_gt_u32_e32 42, v169
	s_cbranch_execz .LBB124_195
; %bb.192:
	v_dual_mov_b32 v1, 0 :: v_dual_add_nc_u32 v8, 0x3d0, v229
	v_dual_mov_b32 v2, 0 :: v_dual_add_nc_u32 v7, -1, v169
	v_or_b32_e32 v9, 8, v13
	s_mov_b32 s3, 0
	s_delay_alu instid0(VALU_DEP_2)
	v_dual_mov_b32 v4, v2 :: v_dual_mov_b32 v3, v1
	.p2align	6
.LBB124_193:                            ; =>This Inner Loop Header: Depth=1
	scratch_load_b128 v[14:17], v9, off offset:-8
	ds_load_b128 v[18:21], v8
	v_add_nc_u32_e32 v7, 1, v7
	v_add_nc_u32_e32 v8, 16, v8
	;; [unrolled: 1-line block ×3, first 2 shown]
	s_delay_alu instid0(VALU_DEP_3) | instskip(SKIP_4) | instid1(VALU_DEP_2)
	v_cmp_lt_u32_e32 vcc_lo, 40, v7
	s_or_b32 s3, vcc_lo, s3
	s_waitcnt vmcnt(0) lgkmcnt(0)
	v_mul_f64 v[10:11], v[20:21], v[16:17]
	v_mul_f64 v[16:17], v[18:19], v[16:17]
	v_fma_f64 v[10:11], v[18:19], v[14:15], -v[10:11]
	s_delay_alu instid0(VALU_DEP_2) | instskip(NEXT) | instid1(VALU_DEP_2)
	v_fma_f64 v[14:15], v[20:21], v[14:15], v[16:17]
	v_add_f64 v[3:4], v[3:4], v[10:11]
	s_delay_alu instid0(VALU_DEP_2)
	v_add_f64 v[1:2], v[1:2], v[14:15]
	s_and_not1_b32 exec_lo, exec_lo, s3
	s_cbranch_execnz .LBB124_193
; %bb.194:
	s_or_b32 exec_lo, exec_lo, s3
	v_mov_b32_e32 v7, 0
	ds_load_b128 v[7:10], v7 offset:672
	s_waitcnt lgkmcnt(0)
	v_mul_f64 v[11:12], v[1:2], v[9:10]
	v_mul_f64 v[14:15], v[3:4], v[9:10]
	s_delay_alu instid0(VALU_DEP_2) | instskip(NEXT) | instid1(VALU_DEP_2)
	v_fma_f64 v[9:10], v[3:4], v[7:8], -v[11:12]
	v_fma_f64 v[11:12], v[1:2], v[7:8], v[14:15]
	scratch_store_b128 off, v[9:12], off offset:672
.LBB124_195:
	s_or_b32 exec_lo, exec_lo, s2
	s_waitcnt_vscnt null, 0x0
	s_barrier
	buffer_gl0_inv
	scratch_load_b128 v[1:4], v188, off
	s_mov_b32 s2, exec_lo
	s_waitcnt vmcnt(0)
	ds_store_b128 v5, v[1:4]
	s_waitcnt lgkmcnt(0)
	s_barrier
	buffer_gl0_inv
	v_cmpx_gt_u32_e32 43, v169
	s_cbranch_execz .LBB124_199
; %bb.196:
	v_dual_mov_b32 v1, 0 :: v_dual_add_nc_u32 v8, 0x3d0, v229
	v_dual_mov_b32 v2, 0 :: v_dual_add_nc_u32 v7, -1, v169
	v_or_b32_e32 v9, 8, v13
	s_mov_b32 s3, 0
	s_delay_alu instid0(VALU_DEP_2)
	v_dual_mov_b32 v4, v2 :: v_dual_mov_b32 v3, v1
	.p2align	6
.LBB124_197:                            ; =>This Inner Loop Header: Depth=1
	scratch_load_b128 v[14:17], v9, off offset:-8
	ds_load_b128 v[18:21], v8
	v_add_nc_u32_e32 v7, 1, v7
	v_add_nc_u32_e32 v8, 16, v8
	;; [unrolled: 1-line block ×3, first 2 shown]
	s_delay_alu instid0(VALU_DEP_3) | instskip(SKIP_4) | instid1(VALU_DEP_2)
	v_cmp_lt_u32_e32 vcc_lo, 41, v7
	s_or_b32 s3, vcc_lo, s3
	s_waitcnt vmcnt(0) lgkmcnt(0)
	v_mul_f64 v[10:11], v[20:21], v[16:17]
	v_mul_f64 v[16:17], v[18:19], v[16:17]
	v_fma_f64 v[10:11], v[18:19], v[14:15], -v[10:11]
	s_delay_alu instid0(VALU_DEP_2) | instskip(NEXT) | instid1(VALU_DEP_2)
	v_fma_f64 v[14:15], v[20:21], v[14:15], v[16:17]
	v_add_f64 v[3:4], v[3:4], v[10:11]
	s_delay_alu instid0(VALU_DEP_2)
	v_add_f64 v[1:2], v[1:2], v[14:15]
	s_and_not1_b32 exec_lo, exec_lo, s3
	s_cbranch_execnz .LBB124_197
; %bb.198:
	s_or_b32 exec_lo, exec_lo, s3
	v_mov_b32_e32 v7, 0
	ds_load_b128 v[7:10], v7 offset:688
	s_waitcnt lgkmcnt(0)
	v_mul_f64 v[11:12], v[1:2], v[9:10]
	v_mul_f64 v[14:15], v[3:4], v[9:10]
	s_delay_alu instid0(VALU_DEP_2) | instskip(NEXT) | instid1(VALU_DEP_2)
	v_fma_f64 v[9:10], v[3:4], v[7:8], -v[11:12]
	v_fma_f64 v[11:12], v[1:2], v[7:8], v[14:15]
	scratch_store_b128 off, v[9:12], off offset:688
.LBB124_199:
	s_or_b32 exec_lo, exec_lo, s2
	s_waitcnt_vscnt null, 0x0
	s_barrier
	buffer_gl0_inv
	scratch_load_b128 v[1:4], v204, off
	s_mov_b32 s2, exec_lo
	s_waitcnt vmcnt(0)
	ds_store_b128 v5, v[1:4]
	s_waitcnt lgkmcnt(0)
	s_barrier
	buffer_gl0_inv
	v_cmpx_gt_u32_e32 44, v169
	s_cbranch_execz .LBB124_203
; %bb.200:
	v_dual_mov_b32 v1, 0 :: v_dual_add_nc_u32 v8, 0x3d0, v229
	v_dual_mov_b32 v2, 0 :: v_dual_add_nc_u32 v7, -1, v169
	v_or_b32_e32 v9, 8, v13
	s_mov_b32 s3, 0
	s_delay_alu instid0(VALU_DEP_2)
	v_dual_mov_b32 v4, v2 :: v_dual_mov_b32 v3, v1
	.p2align	6
.LBB124_201:                            ; =>This Inner Loop Header: Depth=1
	scratch_load_b128 v[14:17], v9, off offset:-8
	ds_load_b128 v[18:21], v8
	v_add_nc_u32_e32 v7, 1, v7
	v_add_nc_u32_e32 v8, 16, v8
	;; [unrolled: 1-line block ×3, first 2 shown]
	s_delay_alu instid0(VALU_DEP_3) | instskip(SKIP_4) | instid1(VALU_DEP_2)
	v_cmp_lt_u32_e32 vcc_lo, 42, v7
	s_or_b32 s3, vcc_lo, s3
	s_waitcnt vmcnt(0) lgkmcnt(0)
	v_mul_f64 v[10:11], v[20:21], v[16:17]
	v_mul_f64 v[16:17], v[18:19], v[16:17]
	v_fma_f64 v[10:11], v[18:19], v[14:15], -v[10:11]
	s_delay_alu instid0(VALU_DEP_2) | instskip(NEXT) | instid1(VALU_DEP_2)
	v_fma_f64 v[14:15], v[20:21], v[14:15], v[16:17]
	v_add_f64 v[3:4], v[3:4], v[10:11]
	s_delay_alu instid0(VALU_DEP_2)
	v_add_f64 v[1:2], v[1:2], v[14:15]
	s_and_not1_b32 exec_lo, exec_lo, s3
	s_cbranch_execnz .LBB124_201
; %bb.202:
	s_or_b32 exec_lo, exec_lo, s3
	v_mov_b32_e32 v7, 0
	ds_load_b128 v[7:10], v7 offset:704
	s_waitcnt lgkmcnt(0)
	v_mul_f64 v[11:12], v[1:2], v[9:10]
	v_mul_f64 v[14:15], v[3:4], v[9:10]
	s_delay_alu instid0(VALU_DEP_2) | instskip(NEXT) | instid1(VALU_DEP_2)
	v_fma_f64 v[9:10], v[3:4], v[7:8], -v[11:12]
	v_fma_f64 v[11:12], v[1:2], v[7:8], v[14:15]
	scratch_store_b128 off, v[9:12], off offset:704
.LBB124_203:
	s_or_b32 exec_lo, exec_lo, s2
	s_waitcnt_vscnt null, 0x0
	s_barrier
	buffer_gl0_inv
	scratch_load_b128 v[1:4], v187, off
	s_mov_b32 s2, exec_lo
	s_waitcnt vmcnt(0)
	ds_store_b128 v5, v[1:4]
	s_waitcnt lgkmcnt(0)
	s_barrier
	buffer_gl0_inv
	v_cmpx_gt_u32_e32 45, v169
	s_cbranch_execz .LBB124_207
; %bb.204:
	v_dual_mov_b32 v1, 0 :: v_dual_add_nc_u32 v8, 0x3d0, v229
	v_dual_mov_b32 v2, 0 :: v_dual_add_nc_u32 v7, -1, v169
	v_or_b32_e32 v9, 8, v13
	s_mov_b32 s3, 0
	s_delay_alu instid0(VALU_DEP_2)
	v_dual_mov_b32 v4, v2 :: v_dual_mov_b32 v3, v1
	.p2align	6
.LBB124_205:                            ; =>This Inner Loop Header: Depth=1
	scratch_load_b128 v[14:17], v9, off offset:-8
	ds_load_b128 v[18:21], v8
	v_add_nc_u32_e32 v7, 1, v7
	v_add_nc_u32_e32 v8, 16, v8
	;; [unrolled: 1-line block ×3, first 2 shown]
	s_delay_alu instid0(VALU_DEP_3) | instskip(SKIP_4) | instid1(VALU_DEP_2)
	v_cmp_lt_u32_e32 vcc_lo, 43, v7
	s_or_b32 s3, vcc_lo, s3
	s_waitcnt vmcnt(0) lgkmcnt(0)
	v_mul_f64 v[10:11], v[20:21], v[16:17]
	v_mul_f64 v[16:17], v[18:19], v[16:17]
	v_fma_f64 v[10:11], v[18:19], v[14:15], -v[10:11]
	s_delay_alu instid0(VALU_DEP_2) | instskip(NEXT) | instid1(VALU_DEP_2)
	v_fma_f64 v[14:15], v[20:21], v[14:15], v[16:17]
	v_add_f64 v[3:4], v[3:4], v[10:11]
	s_delay_alu instid0(VALU_DEP_2)
	v_add_f64 v[1:2], v[1:2], v[14:15]
	s_and_not1_b32 exec_lo, exec_lo, s3
	s_cbranch_execnz .LBB124_205
; %bb.206:
	s_or_b32 exec_lo, exec_lo, s3
	v_mov_b32_e32 v7, 0
	ds_load_b128 v[7:10], v7 offset:720
	s_waitcnt lgkmcnt(0)
	v_mul_f64 v[11:12], v[1:2], v[9:10]
	v_mul_f64 v[14:15], v[3:4], v[9:10]
	s_delay_alu instid0(VALU_DEP_2) | instskip(NEXT) | instid1(VALU_DEP_2)
	v_fma_f64 v[9:10], v[3:4], v[7:8], -v[11:12]
	v_fma_f64 v[11:12], v[1:2], v[7:8], v[14:15]
	scratch_store_b128 off, v[9:12], off offset:720
.LBB124_207:
	s_or_b32 exec_lo, exec_lo, s2
	s_waitcnt_vscnt null, 0x0
	s_barrier
	buffer_gl0_inv
	scratch_load_b128 v[1:4], v252, off
	s_mov_b32 s2, exec_lo
	s_waitcnt vmcnt(0)
	ds_store_b128 v5, v[1:4]
	s_waitcnt lgkmcnt(0)
	s_barrier
	buffer_gl0_inv
	v_cmpx_gt_u32_e32 46, v169
	s_cbranch_execz .LBB124_211
; %bb.208:
	v_dual_mov_b32 v1, 0 :: v_dual_add_nc_u32 v8, 0x3d0, v229
	v_dual_mov_b32 v2, 0 :: v_dual_add_nc_u32 v7, -1, v169
	v_or_b32_e32 v9, 8, v13
	s_mov_b32 s3, 0
	s_delay_alu instid0(VALU_DEP_2)
	v_dual_mov_b32 v4, v2 :: v_dual_mov_b32 v3, v1
	.p2align	6
.LBB124_209:                            ; =>This Inner Loop Header: Depth=1
	scratch_load_b128 v[14:17], v9, off offset:-8
	ds_load_b128 v[18:21], v8
	v_add_nc_u32_e32 v7, 1, v7
	v_add_nc_u32_e32 v8, 16, v8
	;; [unrolled: 1-line block ×3, first 2 shown]
	s_delay_alu instid0(VALU_DEP_3) | instskip(SKIP_4) | instid1(VALU_DEP_2)
	v_cmp_lt_u32_e32 vcc_lo, 44, v7
	s_or_b32 s3, vcc_lo, s3
	s_waitcnt vmcnt(0) lgkmcnt(0)
	v_mul_f64 v[10:11], v[20:21], v[16:17]
	v_mul_f64 v[16:17], v[18:19], v[16:17]
	v_fma_f64 v[10:11], v[18:19], v[14:15], -v[10:11]
	s_delay_alu instid0(VALU_DEP_2) | instskip(NEXT) | instid1(VALU_DEP_2)
	v_fma_f64 v[14:15], v[20:21], v[14:15], v[16:17]
	v_add_f64 v[3:4], v[3:4], v[10:11]
	s_delay_alu instid0(VALU_DEP_2)
	v_add_f64 v[1:2], v[1:2], v[14:15]
	s_and_not1_b32 exec_lo, exec_lo, s3
	s_cbranch_execnz .LBB124_209
; %bb.210:
	s_or_b32 exec_lo, exec_lo, s3
	v_mov_b32_e32 v7, 0
	ds_load_b128 v[7:10], v7 offset:736
	s_waitcnt lgkmcnt(0)
	v_mul_f64 v[11:12], v[1:2], v[9:10]
	v_mul_f64 v[14:15], v[3:4], v[9:10]
	s_delay_alu instid0(VALU_DEP_2) | instskip(NEXT) | instid1(VALU_DEP_2)
	v_fma_f64 v[9:10], v[3:4], v[7:8], -v[11:12]
	v_fma_f64 v[11:12], v[1:2], v[7:8], v[14:15]
	scratch_store_b128 off, v[9:12], off offset:736
.LBB124_211:
	s_or_b32 exec_lo, exec_lo, s2
	s_waitcnt_vscnt null, 0x0
	s_barrier
	buffer_gl0_inv
	scratch_load_b128 v[1:4], v186, off
	s_mov_b32 s2, exec_lo
	s_waitcnt vmcnt(0)
	ds_store_b128 v5, v[1:4]
	s_waitcnt lgkmcnt(0)
	s_barrier
	buffer_gl0_inv
	v_cmpx_gt_u32_e32 47, v169
	s_cbranch_execz .LBB124_215
; %bb.212:
	v_dual_mov_b32 v1, 0 :: v_dual_add_nc_u32 v8, 0x3d0, v229
	v_dual_mov_b32 v2, 0 :: v_dual_add_nc_u32 v7, -1, v169
	v_or_b32_e32 v9, 8, v13
	s_mov_b32 s3, 0
	s_delay_alu instid0(VALU_DEP_2)
	v_dual_mov_b32 v4, v2 :: v_dual_mov_b32 v3, v1
	.p2align	6
.LBB124_213:                            ; =>This Inner Loop Header: Depth=1
	scratch_load_b128 v[14:17], v9, off offset:-8
	ds_load_b128 v[18:21], v8
	v_add_nc_u32_e32 v7, 1, v7
	v_add_nc_u32_e32 v8, 16, v8
	v_add_nc_u32_e32 v9, 16, v9
	s_delay_alu instid0(VALU_DEP_3) | instskip(SKIP_4) | instid1(VALU_DEP_2)
	v_cmp_lt_u32_e32 vcc_lo, 45, v7
	s_or_b32 s3, vcc_lo, s3
	s_waitcnt vmcnt(0) lgkmcnt(0)
	v_mul_f64 v[10:11], v[20:21], v[16:17]
	v_mul_f64 v[16:17], v[18:19], v[16:17]
	v_fma_f64 v[10:11], v[18:19], v[14:15], -v[10:11]
	s_delay_alu instid0(VALU_DEP_2) | instskip(NEXT) | instid1(VALU_DEP_2)
	v_fma_f64 v[14:15], v[20:21], v[14:15], v[16:17]
	v_add_f64 v[3:4], v[3:4], v[10:11]
	s_delay_alu instid0(VALU_DEP_2)
	v_add_f64 v[1:2], v[1:2], v[14:15]
	s_and_not1_b32 exec_lo, exec_lo, s3
	s_cbranch_execnz .LBB124_213
; %bb.214:
	s_or_b32 exec_lo, exec_lo, s3
	v_mov_b32_e32 v7, 0
	ds_load_b128 v[7:10], v7 offset:752
	s_waitcnt lgkmcnt(0)
	v_mul_f64 v[11:12], v[1:2], v[9:10]
	v_mul_f64 v[14:15], v[3:4], v[9:10]
	s_delay_alu instid0(VALU_DEP_2) | instskip(NEXT) | instid1(VALU_DEP_2)
	v_fma_f64 v[9:10], v[3:4], v[7:8], -v[11:12]
	v_fma_f64 v[11:12], v[1:2], v[7:8], v[14:15]
	scratch_store_b128 off, v[9:12], off offset:752
.LBB124_215:
	s_or_b32 exec_lo, exec_lo, s2
	s_waitcnt_vscnt null, 0x0
	s_barrier
	buffer_gl0_inv
	scratch_load_b128 v[1:4], v253, off
	s_mov_b32 s2, exec_lo
	s_waitcnt vmcnt(0)
	ds_store_b128 v5, v[1:4]
	s_waitcnt lgkmcnt(0)
	s_barrier
	buffer_gl0_inv
	v_cmpx_gt_u32_e32 48, v169
	s_cbranch_execz .LBB124_219
; %bb.216:
	v_dual_mov_b32 v1, 0 :: v_dual_add_nc_u32 v8, 0x3d0, v229
	v_dual_mov_b32 v2, 0 :: v_dual_add_nc_u32 v7, -1, v169
	v_or_b32_e32 v9, 8, v13
	s_mov_b32 s3, 0
	s_delay_alu instid0(VALU_DEP_2)
	v_dual_mov_b32 v4, v2 :: v_dual_mov_b32 v3, v1
	.p2align	6
.LBB124_217:                            ; =>This Inner Loop Header: Depth=1
	scratch_load_b128 v[14:17], v9, off offset:-8
	ds_load_b128 v[18:21], v8
	v_add_nc_u32_e32 v7, 1, v7
	v_add_nc_u32_e32 v8, 16, v8
	;; [unrolled: 1-line block ×3, first 2 shown]
	s_delay_alu instid0(VALU_DEP_3) | instskip(SKIP_4) | instid1(VALU_DEP_2)
	v_cmp_lt_u32_e32 vcc_lo, 46, v7
	s_or_b32 s3, vcc_lo, s3
	s_waitcnt vmcnt(0) lgkmcnt(0)
	v_mul_f64 v[10:11], v[20:21], v[16:17]
	v_mul_f64 v[16:17], v[18:19], v[16:17]
	v_fma_f64 v[10:11], v[18:19], v[14:15], -v[10:11]
	s_delay_alu instid0(VALU_DEP_2) | instskip(NEXT) | instid1(VALU_DEP_2)
	v_fma_f64 v[14:15], v[20:21], v[14:15], v[16:17]
	v_add_f64 v[3:4], v[3:4], v[10:11]
	s_delay_alu instid0(VALU_DEP_2)
	v_add_f64 v[1:2], v[1:2], v[14:15]
	s_and_not1_b32 exec_lo, exec_lo, s3
	s_cbranch_execnz .LBB124_217
; %bb.218:
	s_or_b32 exec_lo, exec_lo, s3
	v_mov_b32_e32 v7, 0
	ds_load_b128 v[7:10], v7 offset:768
	s_waitcnt lgkmcnt(0)
	v_mul_f64 v[11:12], v[1:2], v[9:10]
	v_mul_f64 v[14:15], v[3:4], v[9:10]
	s_delay_alu instid0(VALU_DEP_2) | instskip(NEXT) | instid1(VALU_DEP_2)
	v_fma_f64 v[9:10], v[3:4], v[7:8], -v[11:12]
	v_fma_f64 v[11:12], v[1:2], v[7:8], v[14:15]
	scratch_store_b128 off, v[9:12], off offset:768
.LBB124_219:
	s_or_b32 exec_lo, exec_lo, s2
	s_waitcnt_vscnt null, 0x0
	s_barrier
	buffer_gl0_inv
	scratch_load_b128 v[1:4], v213, off
	s_mov_b32 s2, exec_lo
	s_waitcnt vmcnt(0)
	ds_store_b128 v5, v[1:4]
	s_waitcnt lgkmcnt(0)
	s_barrier
	buffer_gl0_inv
	v_cmpx_gt_u32_e32 49, v169
	s_cbranch_execz .LBB124_223
; %bb.220:
	v_dual_mov_b32 v1, 0 :: v_dual_add_nc_u32 v8, 0x3d0, v229
	v_dual_mov_b32 v2, 0 :: v_dual_add_nc_u32 v7, -1, v169
	v_or_b32_e32 v9, 8, v13
	s_mov_b32 s3, 0
	s_delay_alu instid0(VALU_DEP_2)
	v_dual_mov_b32 v4, v2 :: v_dual_mov_b32 v3, v1
	.p2align	6
.LBB124_221:                            ; =>This Inner Loop Header: Depth=1
	scratch_load_b128 v[14:17], v9, off offset:-8
	ds_load_b128 v[18:21], v8
	v_add_nc_u32_e32 v7, 1, v7
	v_add_nc_u32_e32 v8, 16, v8
	;; [unrolled: 1-line block ×3, first 2 shown]
	s_delay_alu instid0(VALU_DEP_3) | instskip(SKIP_4) | instid1(VALU_DEP_2)
	v_cmp_lt_u32_e32 vcc_lo, 47, v7
	s_or_b32 s3, vcc_lo, s3
	s_waitcnt vmcnt(0) lgkmcnt(0)
	v_mul_f64 v[10:11], v[20:21], v[16:17]
	v_mul_f64 v[16:17], v[18:19], v[16:17]
	v_fma_f64 v[10:11], v[18:19], v[14:15], -v[10:11]
	s_delay_alu instid0(VALU_DEP_2) | instskip(NEXT) | instid1(VALU_DEP_2)
	v_fma_f64 v[14:15], v[20:21], v[14:15], v[16:17]
	v_add_f64 v[3:4], v[3:4], v[10:11]
	s_delay_alu instid0(VALU_DEP_2)
	v_add_f64 v[1:2], v[1:2], v[14:15]
	s_and_not1_b32 exec_lo, exec_lo, s3
	s_cbranch_execnz .LBB124_221
; %bb.222:
	s_or_b32 exec_lo, exec_lo, s3
	v_mov_b32_e32 v7, 0
	ds_load_b128 v[7:10], v7 offset:784
	s_waitcnt lgkmcnt(0)
	v_mul_f64 v[11:12], v[1:2], v[9:10]
	v_mul_f64 v[14:15], v[3:4], v[9:10]
	s_delay_alu instid0(VALU_DEP_2) | instskip(NEXT) | instid1(VALU_DEP_2)
	v_fma_f64 v[9:10], v[3:4], v[7:8], -v[11:12]
	v_fma_f64 v[11:12], v[1:2], v[7:8], v[14:15]
	scratch_store_b128 off, v[9:12], off offset:784
.LBB124_223:
	s_or_b32 exec_lo, exec_lo, s2
	s_waitcnt_vscnt null, 0x0
	s_barrier
	buffer_gl0_inv
	scratch_load_b128 v[1:4], v198, off
	s_mov_b32 s2, exec_lo
	s_waitcnt vmcnt(0)
	ds_store_b128 v5, v[1:4]
	s_waitcnt lgkmcnt(0)
	s_barrier
	buffer_gl0_inv
	v_cmpx_gt_u32_e32 50, v169
	s_cbranch_execz .LBB124_227
; %bb.224:
	v_dual_mov_b32 v1, 0 :: v_dual_add_nc_u32 v8, 0x3d0, v229
	v_dual_mov_b32 v2, 0 :: v_dual_add_nc_u32 v7, -1, v169
	v_or_b32_e32 v9, 8, v13
	s_mov_b32 s3, 0
	s_delay_alu instid0(VALU_DEP_2)
	v_dual_mov_b32 v4, v2 :: v_dual_mov_b32 v3, v1
	.p2align	6
.LBB124_225:                            ; =>This Inner Loop Header: Depth=1
	scratch_load_b128 v[14:17], v9, off offset:-8
	ds_load_b128 v[18:21], v8
	v_add_nc_u32_e32 v7, 1, v7
	v_add_nc_u32_e32 v8, 16, v8
	;; [unrolled: 1-line block ×3, first 2 shown]
	s_delay_alu instid0(VALU_DEP_3) | instskip(SKIP_4) | instid1(VALU_DEP_2)
	v_cmp_lt_u32_e32 vcc_lo, 48, v7
	s_or_b32 s3, vcc_lo, s3
	s_waitcnt vmcnt(0) lgkmcnt(0)
	v_mul_f64 v[10:11], v[20:21], v[16:17]
	v_mul_f64 v[16:17], v[18:19], v[16:17]
	v_fma_f64 v[10:11], v[18:19], v[14:15], -v[10:11]
	s_delay_alu instid0(VALU_DEP_2) | instskip(NEXT) | instid1(VALU_DEP_2)
	v_fma_f64 v[14:15], v[20:21], v[14:15], v[16:17]
	v_add_f64 v[3:4], v[3:4], v[10:11]
	s_delay_alu instid0(VALU_DEP_2)
	v_add_f64 v[1:2], v[1:2], v[14:15]
	s_and_not1_b32 exec_lo, exec_lo, s3
	s_cbranch_execnz .LBB124_225
; %bb.226:
	s_or_b32 exec_lo, exec_lo, s3
	v_mov_b32_e32 v7, 0
	ds_load_b128 v[7:10], v7 offset:800
	s_waitcnt lgkmcnt(0)
	v_mul_f64 v[11:12], v[1:2], v[9:10]
	v_mul_f64 v[14:15], v[3:4], v[9:10]
	s_delay_alu instid0(VALU_DEP_2) | instskip(NEXT) | instid1(VALU_DEP_2)
	v_fma_f64 v[9:10], v[3:4], v[7:8], -v[11:12]
	v_fma_f64 v[11:12], v[1:2], v[7:8], v[14:15]
	scratch_store_b128 off, v[9:12], off offset:800
.LBB124_227:
	s_or_b32 exec_lo, exec_lo, s2
	s_waitcnt_vscnt null, 0x0
	s_barrier
	buffer_gl0_inv
	scratch_load_b128 v[1:4], v196, off
	s_mov_b32 s2, exec_lo
	s_waitcnt vmcnt(0)
	ds_store_b128 v5, v[1:4]
	s_waitcnt lgkmcnt(0)
	s_barrier
	buffer_gl0_inv
	v_cmpx_gt_u32_e32 51, v169
	s_cbranch_execz .LBB124_231
; %bb.228:
	v_dual_mov_b32 v1, 0 :: v_dual_add_nc_u32 v8, 0x3d0, v229
	v_dual_mov_b32 v2, 0 :: v_dual_add_nc_u32 v7, -1, v169
	v_or_b32_e32 v9, 8, v13
	s_mov_b32 s3, 0
	s_delay_alu instid0(VALU_DEP_2)
	v_dual_mov_b32 v4, v2 :: v_dual_mov_b32 v3, v1
	.p2align	6
.LBB124_229:                            ; =>This Inner Loop Header: Depth=1
	scratch_load_b128 v[14:17], v9, off offset:-8
	ds_load_b128 v[18:21], v8
	v_add_nc_u32_e32 v7, 1, v7
	v_add_nc_u32_e32 v8, 16, v8
	;; [unrolled: 1-line block ×3, first 2 shown]
	s_delay_alu instid0(VALU_DEP_3) | instskip(SKIP_4) | instid1(VALU_DEP_2)
	v_cmp_lt_u32_e32 vcc_lo, 49, v7
	s_or_b32 s3, vcc_lo, s3
	s_waitcnt vmcnt(0) lgkmcnt(0)
	v_mul_f64 v[10:11], v[20:21], v[16:17]
	v_mul_f64 v[16:17], v[18:19], v[16:17]
	v_fma_f64 v[10:11], v[18:19], v[14:15], -v[10:11]
	s_delay_alu instid0(VALU_DEP_2) | instskip(NEXT) | instid1(VALU_DEP_2)
	v_fma_f64 v[14:15], v[20:21], v[14:15], v[16:17]
	v_add_f64 v[3:4], v[3:4], v[10:11]
	s_delay_alu instid0(VALU_DEP_2)
	v_add_f64 v[1:2], v[1:2], v[14:15]
	s_and_not1_b32 exec_lo, exec_lo, s3
	s_cbranch_execnz .LBB124_229
; %bb.230:
	s_or_b32 exec_lo, exec_lo, s3
	v_mov_b32_e32 v7, 0
	ds_load_b128 v[7:10], v7 offset:816
	s_waitcnt lgkmcnt(0)
	v_mul_f64 v[11:12], v[1:2], v[9:10]
	v_mul_f64 v[14:15], v[3:4], v[9:10]
	s_delay_alu instid0(VALU_DEP_2) | instskip(NEXT) | instid1(VALU_DEP_2)
	v_fma_f64 v[9:10], v[3:4], v[7:8], -v[11:12]
	v_fma_f64 v[11:12], v[1:2], v[7:8], v[14:15]
	scratch_store_b128 off, v[9:12], off offset:816
.LBB124_231:
	s_or_b32 exec_lo, exec_lo, s2
	s_waitcnt_vscnt null, 0x0
	s_barrier
	buffer_gl0_inv
	scratch_load_b128 v[1:4], v212, off
	s_mov_b32 s2, exec_lo
	s_waitcnt vmcnt(0)
	ds_store_b128 v5, v[1:4]
	s_waitcnt lgkmcnt(0)
	s_barrier
	buffer_gl0_inv
	v_cmpx_gt_u32_e32 52, v169
	s_cbranch_execz .LBB124_235
; %bb.232:
	v_dual_mov_b32 v1, 0 :: v_dual_add_nc_u32 v8, 0x3d0, v229
	v_dual_mov_b32 v2, 0 :: v_dual_add_nc_u32 v7, -1, v169
	v_or_b32_e32 v9, 8, v13
	s_mov_b32 s3, 0
	s_delay_alu instid0(VALU_DEP_2)
	v_dual_mov_b32 v4, v2 :: v_dual_mov_b32 v3, v1
	.p2align	6
.LBB124_233:                            ; =>This Inner Loop Header: Depth=1
	scratch_load_b128 v[14:17], v9, off offset:-8
	ds_load_b128 v[18:21], v8
	v_add_nc_u32_e32 v7, 1, v7
	v_add_nc_u32_e32 v8, 16, v8
	;; [unrolled: 1-line block ×3, first 2 shown]
	s_delay_alu instid0(VALU_DEP_3) | instskip(SKIP_4) | instid1(VALU_DEP_2)
	v_cmp_lt_u32_e32 vcc_lo, 50, v7
	s_or_b32 s3, vcc_lo, s3
	s_waitcnt vmcnt(0) lgkmcnt(0)
	v_mul_f64 v[10:11], v[20:21], v[16:17]
	v_mul_f64 v[16:17], v[18:19], v[16:17]
	v_fma_f64 v[10:11], v[18:19], v[14:15], -v[10:11]
	s_delay_alu instid0(VALU_DEP_2) | instskip(NEXT) | instid1(VALU_DEP_2)
	v_fma_f64 v[14:15], v[20:21], v[14:15], v[16:17]
	v_add_f64 v[3:4], v[3:4], v[10:11]
	s_delay_alu instid0(VALU_DEP_2)
	v_add_f64 v[1:2], v[1:2], v[14:15]
	s_and_not1_b32 exec_lo, exec_lo, s3
	s_cbranch_execnz .LBB124_233
; %bb.234:
	s_or_b32 exec_lo, exec_lo, s3
	v_mov_b32_e32 v7, 0
	ds_load_b128 v[7:10], v7 offset:832
	s_waitcnt lgkmcnt(0)
	v_mul_f64 v[11:12], v[1:2], v[9:10]
	v_mul_f64 v[14:15], v[3:4], v[9:10]
	s_delay_alu instid0(VALU_DEP_2) | instskip(NEXT) | instid1(VALU_DEP_2)
	v_fma_f64 v[9:10], v[3:4], v[7:8], -v[11:12]
	v_fma_f64 v[11:12], v[1:2], v[7:8], v[14:15]
	scratch_store_b128 off, v[9:12], off offset:832
.LBB124_235:
	s_or_b32 exec_lo, exec_lo, s2
	s_waitcnt_vscnt null, 0x0
	s_barrier
	buffer_gl0_inv
	scratch_load_b128 v[1:4], v192, off
	s_mov_b32 s2, exec_lo
	s_waitcnt vmcnt(0)
	ds_store_b128 v5, v[1:4]
	s_waitcnt lgkmcnt(0)
	s_barrier
	buffer_gl0_inv
	v_cmpx_gt_u32_e32 53, v169
	s_cbranch_execz .LBB124_239
; %bb.236:
	v_dual_mov_b32 v1, 0 :: v_dual_add_nc_u32 v8, 0x3d0, v229
	v_dual_mov_b32 v2, 0 :: v_dual_add_nc_u32 v7, -1, v169
	v_or_b32_e32 v9, 8, v13
	s_mov_b32 s3, 0
	s_delay_alu instid0(VALU_DEP_2)
	v_dual_mov_b32 v4, v2 :: v_dual_mov_b32 v3, v1
	.p2align	6
.LBB124_237:                            ; =>This Inner Loop Header: Depth=1
	scratch_load_b128 v[14:17], v9, off offset:-8
	ds_load_b128 v[18:21], v8
	v_add_nc_u32_e32 v7, 1, v7
	v_add_nc_u32_e32 v8, 16, v8
	;; [unrolled: 1-line block ×3, first 2 shown]
	s_delay_alu instid0(VALU_DEP_3) | instskip(SKIP_4) | instid1(VALU_DEP_2)
	v_cmp_lt_u32_e32 vcc_lo, 51, v7
	s_or_b32 s3, vcc_lo, s3
	s_waitcnt vmcnt(0) lgkmcnt(0)
	v_mul_f64 v[10:11], v[20:21], v[16:17]
	v_mul_f64 v[16:17], v[18:19], v[16:17]
	v_fma_f64 v[10:11], v[18:19], v[14:15], -v[10:11]
	s_delay_alu instid0(VALU_DEP_2) | instskip(NEXT) | instid1(VALU_DEP_2)
	v_fma_f64 v[14:15], v[20:21], v[14:15], v[16:17]
	v_add_f64 v[3:4], v[3:4], v[10:11]
	s_delay_alu instid0(VALU_DEP_2)
	v_add_f64 v[1:2], v[1:2], v[14:15]
	s_and_not1_b32 exec_lo, exec_lo, s3
	s_cbranch_execnz .LBB124_237
; %bb.238:
	s_or_b32 exec_lo, exec_lo, s3
	v_mov_b32_e32 v7, 0
	ds_load_b128 v[7:10], v7 offset:848
	s_waitcnt lgkmcnt(0)
	v_mul_f64 v[11:12], v[1:2], v[9:10]
	v_mul_f64 v[14:15], v[3:4], v[9:10]
	s_delay_alu instid0(VALU_DEP_2) | instskip(NEXT) | instid1(VALU_DEP_2)
	v_fma_f64 v[9:10], v[3:4], v[7:8], -v[11:12]
	v_fma_f64 v[11:12], v[1:2], v[7:8], v[14:15]
	scratch_store_b128 off, v[9:12], off offset:848
.LBB124_239:
	s_or_b32 exec_lo, exec_lo, s2
	s_waitcnt_vscnt null, 0x0
	s_barrier
	buffer_gl0_inv
	scratch_load_b128 v[1:4], v189, off
	s_mov_b32 s2, exec_lo
	s_waitcnt vmcnt(0)
	ds_store_b128 v5, v[1:4]
	s_waitcnt lgkmcnt(0)
	s_barrier
	buffer_gl0_inv
	v_cmpx_gt_u32_e32 54, v169
	s_cbranch_execz .LBB124_243
; %bb.240:
	v_dual_mov_b32 v1, 0 :: v_dual_add_nc_u32 v8, 0x3d0, v229
	v_dual_mov_b32 v2, 0 :: v_dual_add_nc_u32 v7, -1, v169
	v_or_b32_e32 v9, 8, v13
	s_mov_b32 s3, 0
	s_delay_alu instid0(VALU_DEP_2)
	v_dual_mov_b32 v4, v2 :: v_dual_mov_b32 v3, v1
	.p2align	6
.LBB124_241:                            ; =>This Inner Loop Header: Depth=1
	scratch_load_b128 v[14:17], v9, off offset:-8
	ds_load_b128 v[18:21], v8
	v_add_nc_u32_e32 v7, 1, v7
	v_add_nc_u32_e32 v8, 16, v8
	;; [unrolled: 1-line block ×3, first 2 shown]
	s_delay_alu instid0(VALU_DEP_3) | instskip(SKIP_4) | instid1(VALU_DEP_2)
	v_cmp_lt_u32_e32 vcc_lo, 52, v7
	s_or_b32 s3, vcc_lo, s3
	s_waitcnt vmcnt(0) lgkmcnt(0)
	v_mul_f64 v[10:11], v[20:21], v[16:17]
	v_mul_f64 v[16:17], v[18:19], v[16:17]
	v_fma_f64 v[10:11], v[18:19], v[14:15], -v[10:11]
	s_delay_alu instid0(VALU_DEP_2) | instskip(NEXT) | instid1(VALU_DEP_2)
	v_fma_f64 v[14:15], v[20:21], v[14:15], v[16:17]
	v_add_f64 v[3:4], v[3:4], v[10:11]
	s_delay_alu instid0(VALU_DEP_2)
	v_add_f64 v[1:2], v[1:2], v[14:15]
	s_and_not1_b32 exec_lo, exec_lo, s3
	s_cbranch_execnz .LBB124_241
; %bb.242:
	s_or_b32 exec_lo, exec_lo, s3
	v_mov_b32_e32 v7, 0
	ds_load_b128 v[7:10], v7 offset:864
	s_waitcnt lgkmcnt(0)
	v_mul_f64 v[11:12], v[1:2], v[9:10]
	v_mul_f64 v[14:15], v[3:4], v[9:10]
	s_delay_alu instid0(VALU_DEP_2) | instskip(NEXT) | instid1(VALU_DEP_2)
	v_fma_f64 v[9:10], v[3:4], v[7:8], -v[11:12]
	v_fma_f64 v[11:12], v[1:2], v[7:8], v[14:15]
	scratch_store_b128 off, v[9:12], off offset:864
.LBB124_243:
	s_or_b32 exec_lo, exec_lo, s2
	s_waitcnt_vscnt null, 0x0
	s_barrier
	buffer_gl0_inv
	scratch_load_b128 v[1:4], v184, off
	s_mov_b32 s2, exec_lo
	s_waitcnt vmcnt(0)
	ds_store_b128 v5, v[1:4]
	s_waitcnt lgkmcnt(0)
	s_barrier
	buffer_gl0_inv
	v_cmpx_gt_u32_e32 55, v169
	s_cbranch_execz .LBB124_247
; %bb.244:
	v_dual_mov_b32 v1, 0 :: v_dual_add_nc_u32 v8, 0x3d0, v229
	v_dual_mov_b32 v2, 0 :: v_dual_add_nc_u32 v7, -1, v169
	v_or_b32_e32 v9, 8, v13
	s_mov_b32 s3, 0
	s_delay_alu instid0(VALU_DEP_2)
	v_dual_mov_b32 v4, v2 :: v_dual_mov_b32 v3, v1
	.p2align	6
.LBB124_245:                            ; =>This Inner Loop Header: Depth=1
	scratch_load_b128 v[14:17], v9, off offset:-8
	ds_load_b128 v[18:21], v8
	v_add_nc_u32_e32 v7, 1, v7
	v_add_nc_u32_e32 v8, 16, v8
	;; [unrolled: 1-line block ×3, first 2 shown]
	s_delay_alu instid0(VALU_DEP_3) | instskip(SKIP_4) | instid1(VALU_DEP_2)
	v_cmp_lt_u32_e32 vcc_lo, 53, v7
	s_or_b32 s3, vcc_lo, s3
	s_waitcnt vmcnt(0) lgkmcnt(0)
	v_mul_f64 v[10:11], v[20:21], v[16:17]
	v_mul_f64 v[16:17], v[18:19], v[16:17]
	v_fma_f64 v[10:11], v[18:19], v[14:15], -v[10:11]
	s_delay_alu instid0(VALU_DEP_2) | instskip(NEXT) | instid1(VALU_DEP_2)
	v_fma_f64 v[14:15], v[20:21], v[14:15], v[16:17]
	v_add_f64 v[3:4], v[3:4], v[10:11]
	s_delay_alu instid0(VALU_DEP_2)
	v_add_f64 v[1:2], v[1:2], v[14:15]
	s_and_not1_b32 exec_lo, exec_lo, s3
	s_cbranch_execnz .LBB124_245
; %bb.246:
	s_or_b32 exec_lo, exec_lo, s3
	v_mov_b32_e32 v7, 0
	ds_load_b128 v[7:10], v7 offset:880
	s_waitcnt lgkmcnt(0)
	v_mul_f64 v[11:12], v[1:2], v[9:10]
	v_mul_f64 v[14:15], v[3:4], v[9:10]
	s_delay_alu instid0(VALU_DEP_2) | instskip(NEXT) | instid1(VALU_DEP_2)
	v_fma_f64 v[9:10], v[3:4], v[7:8], -v[11:12]
	v_fma_f64 v[11:12], v[1:2], v[7:8], v[14:15]
	scratch_store_b128 off, v[9:12], off offset:880
.LBB124_247:
	s_or_b32 exec_lo, exec_lo, s2
	s_waitcnt_vscnt null, 0x0
	s_barrier
	buffer_gl0_inv
	scratch_load_b128 v[1:4], v206, off
	s_mov_b32 s2, exec_lo
	s_waitcnt vmcnt(0)
	ds_store_b128 v5, v[1:4]
	s_waitcnt lgkmcnt(0)
	s_barrier
	buffer_gl0_inv
	v_cmpx_gt_u32_e32 56, v169
	s_cbranch_execz .LBB124_251
; %bb.248:
	v_dual_mov_b32 v1, 0 :: v_dual_add_nc_u32 v8, 0x3d0, v229
	v_dual_mov_b32 v2, 0 :: v_dual_add_nc_u32 v7, -1, v169
	v_or_b32_e32 v9, 8, v13
	s_mov_b32 s3, 0
	s_delay_alu instid0(VALU_DEP_2)
	v_dual_mov_b32 v4, v2 :: v_dual_mov_b32 v3, v1
	.p2align	6
.LBB124_249:                            ; =>This Inner Loop Header: Depth=1
	scratch_load_b128 v[14:17], v9, off offset:-8
	ds_load_b128 v[18:21], v8
	v_add_nc_u32_e32 v7, 1, v7
	v_add_nc_u32_e32 v8, 16, v8
	;; [unrolled: 1-line block ×3, first 2 shown]
	s_delay_alu instid0(VALU_DEP_3) | instskip(SKIP_4) | instid1(VALU_DEP_2)
	v_cmp_lt_u32_e32 vcc_lo, 54, v7
	s_or_b32 s3, vcc_lo, s3
	s_waitcnt vmcnt(0) lgkmcnt(0)
	v_mul_f64 v[10:11], v[20:21], v[16:17]
	v_mul_f64 v[16:17], v[18:19], v[16:17]
	v_fma_f64 v[10:11], v[18:19], v[14:15], -v[10:11]
	s_delay_alu instid0(VALU_DEP_2) | instskip(NEXT) | instid1(VALU_DEP_2)
	v_fma_f64 v[14:15], v[20:21], v[14:15], v[16:17]
	v_add_f64 v[3:4], v[3:4], v[10:11]
	s_delay_alu instid0(VALU_DEP_2)
	v_add_f64 v[1:2], v[1:2], v[14:15]
	s_and_not1_b32 exec_lo, exec_lo, s3
	s_cbranch_execnz .LBB124_249
; %bb.250:
	s_or_b32 exec_lo, exec_lo, s3
	v_mov_b32_e32 v7, 0
	ds_load_b128 v[7:10], v7 offset:896
	s_waitcnt lgkmcnt(0)
	v_mul_f64 v[11:12], v[1:2], v[9:10]
	v_mul_f64 v[14:15], v[3:4], v[9:10]
	s_delay_alu instid0(VALU_DEP_2) | instskip(NEXT) | instid1(VALU_DEP_2)
	v_fma_f64 v[9:10], v[3:4], v[7:8], -v[11:12]
	v_fma_f64 v[11:12], v[1:2], v[7:8], v[14:15]
	scratch_store_b128 off, v[9:12], off offset:896
.LBB124_251:
	s_or_b32 exec_lo, exec_lo, s2
	s_waitcnt_vscnt null, 0x0
	s_barrier
	buffer_gl0_inv
	scratch_load_b128 v[1:4], v182, off
	s_mov_b32 s2, exec_lo
	s_waitcnt vmcnt(0)
	ds_store_b128 v5, v[1:4]
	s_waitcnt lgkmcnt(0)
	s_barrier
	buffer_gl0_inv
	v_cmpx_gt_u32_e32 57, v169
	s_cbranch_execz .LBB124_255
; %bb.252:
	v_dual_mov_b32 v1, 0 :: v_dual_add_nc_u32 v8, 0x3d0, v229
	v_dual_mov_b32 v2, 0 :: v_dual_add_nc_u32 v7, -1, v169
	v_or_b32_e32 v9, 8, v13
	s_mov_b32 s3, 0
	s_delay_alu instid0(VALU_DEP_2)
	v_dual_mov_b32 v4, v2 :: v_dual_mov_b32 v3, v1
	.p2align	6
.LBB124_253:                            ; =>This Inner Loop Header: Depth=1
	scratch_load_b128 v[14:17], v9, off offset:-8
	ds_load_b128 v[18:21], v8
	v_add_nc_u32_e32 v7, 1, v7
	v_add_nc_u32_e32 v8, 16, v8
	v_add_nc_u32_e32 v9, 16, v9
	s_delay_alu instid0(VALU_DEP_3) | instskip(SKIP_4) | instid1(VALU_DEP_2)
	v_cmp_lt_u32_e32 vcc_lo, 55, v7
	s_or_b32 s3, vcc_lo, s3
	s_waitcnt vmcnt(0) lgkmcnt(0)
	v_mul_f64 v[10:11], v[20:21], v[16:17]
	v_mul_f64 v[16:17], v[18:19], v[16:17]
	v_fma_f64 v[10:11], v[18:19], v[14:15], -v[10:11]
	s_delay_alu instid0(VALU_DEP_2) | instskip(NEXT) | instid1(VALU_DEP_2)
	v_fma_f64 v[14:15], v[20:21], v[14:15], v[16:17]
	v_add_f64 v[3:4], v[3:4], v[10:11]
	s_delay_alu instid0(VALU_DEP_2)
	v_add_f64 v[1:2], v[1:2], v[14:15]
	s_and_not1_b32 exec_lo, exec_lo, s3
	s_cbranch_execnz .LBB124_253
; %bb.254:
	s_or_b32 exec_lo, exec_lo, s3
	v_mov_b32_e32 v7, 0
	ds_load_b128 v[7:10], v7 offset:912
	s_waitcnt lgkmcnt(0)
	v_mul_f64 v[11:12], v[1:2], v[9:10]
	v_mul_f64 v[14:15], v[3:4], v[9:10]
	s_delay_alu instid0(VALU_DEP_2) | instskip(NEXT) | instid1(VALU_DEP_2)
	v_fma_f64 v[9:10], v[3:4], v[7:8], -v[11:12]
	v_fma_f64 v[11:12], v[1:2], v[7:8], v[14:15]
	scratch_store_b128 off, v[9:12], off offset:912
.LBB124_255:
	s_or_b32 exec_lo, exec_lo, s2
	s_waitcnt_vscnt null, 0x0
	s_barrier
	buffer_gl0_inv
	scratch_load_b128 v[1:4], v207, off
	s_mov_b32 s2, exec_lo
	s_waitcnt vmcnt(0)
	ds_store_b128 v5, v[1:4]
	s_waitcnt lgkmcnt(0)
	s_barrier
	buffer_gl0_inv
	v_cmpx_gt_u32_e32 58, v169
	s_cbranch_execz .LBB124_259
; %bb.256:
	v_dual_mov_b32 v1, 0 :: v_dual_add_nc_u32 v8, 0x3d0, v229
	v_dual_mov_b32 v2, 0 :: v_dual_add_nc_u32 v7, -1, v169
	v_or_b32_e32 v9, 8, v13
	s_mov_b32 s3, 0
	s_delay_alu instid0(VALU_DEP_2)
	v_dual_mov_b32 v4, v2 :: v_dual_mov_b32 v3, v1
	.p2align	6
.LBB124_257:                            ; =>This Inner Loop Header: Depth=1
	scratch_load_b128 v[14:17], v9, off offset:-8
	ds_load_b128 v[18:21], v8
	v_add_nc_u32_e32 v7, 1, v7
	v_add_nc_u32_e32 v8, 16, v8
	;; [unrolled: 1-line block ×3, first 2 shown]
	s_delay_alu instid0(VALU_DEP_3) | instskip(SKIP_4) | instid1(VALU_DEP_2)
	v_cmp_lt_u32_e32 vcc_lo, 56, v7
	s_or_b32 s3, vcc_lo, s3
	s_waitcnt vmcnt(0) lgkmcnt(0)
	v_mul_f64 v[10:11], v[20:21], v[16:17]
	v_mul_f64 v[16:17], v[18:19], v[16:17]
	v_fma_f64 v[10:11], v[18:19], v[14:15], -v[10:11]
	s_delay_alu instid0(VALU_DEP_2) | instskip(NEXT) | instid1(VALU_DEP_2)
	v_fma_f64 v[14:15], v[20:21], v[14:15], v[16:17]
	v_add_f64 v[3:4], v[3:4], v[10:11]
	s_delay_alu instid0(VALU_DEP_2)
	v_add_f64 v[1:2], v[1:2], v[14:15]
	s_and_not1_b32 exec_lo, exec_lo, s3
	s_cbranch_execnz .LBB124_257
; %bb.258:
	s_or_b32 exec_lo, exec_lo, s3
	v_mov_b32_e32 v7, 0
	ds_load_b128 v[7:10], v7 offset:928
	s_waitcnt lgkmcnt(0)
	v_mul_f64 v[11:12], v[1:2], v[9:10]
	v_mul_f64 v[14:15], v[3:4], v[9:10]
	s_delay_alu instid0(VALU_DEP_2) | instskip(NEXT) | instid1(VALU_DEP_2)
	v_fma_f64 v[9:10], v[3:4], v[7:8], -v[11:12]
	v_fma_f64 v[11:12], v[1:2], v[7:8], v[14:15]
	scratch_store_b128 off, v[9:12], off offset:928
.LBB124_259:
	s_or_b32 exec_lo, exec_lo, s2
	s_waitcnt_vscnt null, 0x0
	s_barrier
	buffer_gl0_inv
	scratch_load_b128 v[1:4], v180, off
	s_mov_b32 s2, exec_lo
	s_waitcnt vmcnt(0)
	ds_store_b128 v5, v[1:4]
	s_waitcnt lgkmcnt(0)
	s_barrier
	buffer_gl0_inv
	v_cmpx_gt_u32_e32 59, v169
	s_cbranch_execz .LBB124_263
; %bb.260:
	v_dual_mov_b32 v1, 0 :: v_dual_add_nc_u32 v8, 0x3d0, v229
	v_dual_mov_b32 v2, 0 :: v_dual_add_nc_u32 v7, -1, v169
	v_or_b32_e32 v9, 8, v13
	s_mov_b32 s3, 0
	s_delay_alu instid0(VALU_DEP_2)
	v_dual_mov_b32 v4, v2 :: v_dual_mov_b32 v3, v1
	.p2align	6
.LBB124_261:                            ; =>This Inner Loop Header: Depth=1
	scratch_load_b128 v[14:17], v9, off offset:-8
	ds_load_b128 v[18:21], v8
	v_add_nc_u32_e32 v7, 1, v7
	v_add_nc_u32_e32 v8, 16, v8
	;; [unrolled: 1-line block ×3, first 2 shown]
	s_delay_alu instid0(VALU_DEP_3) | instskip(SKIP_4) | instid1(VALU_DEP_2)
	v_cmp_lt_u32_e32 vcc_lo, 57, v7
	s_or_b32 s3, vcc_lo, s3
	s_waitcnt vmcnt(0) lgkmcnt(0)
	v_mul_f64 v[10:11], v[20:21], v[16:17]
	v_mul_f64 v[16:17], v[18:19], v[16:17]
	v_fma_f64 v[10:11], v[18:19], v[14:15], -v[10:11]
	s_delay_alu instid0(VALU_DEP_2) | instskip(NEXT) | instid1(VALU_DEP_2)
	v_fma_f64 v[14:15], v[20:21], v[14:15], v[16:17]
	v_add_f64 v[3:4], v[3:4], v[10:11]
	s_delay_alu instid0(VALU_DEP_2)
	v_add_f64 v[1:2], v[1:2], v[14:15]
	s_and_not1_b32 exec_lo, exec_lo, s3
	s_cbranch_execnz .LBB124_261
; %bb.262:
	s_or_b32 exec_lo, exec_lo, s3
	v_mov_b32_e32 v7, 0
	ds_load_b128 v[7:10], v7 offset:944
	s_waitcnt lgkmcnt(0)
	v_mul_f64 v[11:12], v[1:2], v[9:10]
	v_mul_f64 v[14:15], v[3:4], v[9:10]
	s_delay_alu instid0(VALU_DEP_2) | instskip(NEXT) | instid1(VALU_DEP_2)
	v_fma_f64 v[9:10], v[3:4], v[7:8], -v[11:12]
	v_fma_f64 v[11:12], v[1:2], v[7:8], v[14:15]
	scratch_store_b128 off, v[9:12], off offset:944
.LBB124_263:
	s_or_b32 exec_lo, exec_lo, s2
	s_waitcnt_vscnt null, 0x0
	s_barrier
	buffer_gl0_inv
	scratch_load_b128 v[1:4], v55, off
	s_mov_b32 s2, exec_lo
	s_waitcnt vmcnt(0)
	ds_store_b128 v5, v[1:4]
	s_waitcnt lgkmcnt(0)
	s_barrier
	buffer_gl0_inv
	v_cmpx_ne_u32_e32 60, v169
	s_cbranch_execz .LBB124_267
; %bb.264:
	v_mov_b32_e32 v1, 0
	v_mov_b32_e32 v2, 0
	v_or_b32_e32 v7, 8, v13
	s_mov_b32 s3, 0
	s_delay_alu instid0(VALU_DEP_2)
	v_dual_mov_b32 v4, v2 :: v_dual_mov_b32 v3, v1
	.p2align	6
.LBB124_265:                            ; =>This Inner Loop Header: Depth=1
	scratch_load_b128 v[8:11], v7, off offset:-8
	ds_load_b128 v[12:15], v5
	v_add_nc_u32_e32 v6, 1, v6
	v_add_nc_u32_e32 v5, 16, v5
	;; [unrolled: 1-line block ×3, first 2 shown]
	s_delay_alu instid0(VALU_DEP_3) | instskip(SKIP_4) | instid1(VALU_DEP_2)
	v_cmp_lt_u32_e32 vcc_lo, 58, v6
	s_or_b32 s3, vcc_lo, s3
	s_waitcnt vmcnt(0) lgkmcnt(0)
	v_mul_f64 v[16:17], v[14:15], v[10:11]
	v_mul_f64 v[10:11], v[12:13], v[10:11]
	v_fma_f64 v[12:13], v[12:13], v[8:9], -v[16:17]
	s_delay_alu instid0(VALU_DEP_2) | instskip(NEXT) | instid1(VALU_DEP_2)
	v_fma_f64 v[8:9], v[14:15], v[8:9], v[10:11]
	v_add_f64 v[3:4], v[3:4], v[12:13]
	s_delay_alu instid0(VALU_DEP_2)
	v_add_f64 v[1:2], v[1:2], v[8:9]
	s_and_not1_b32 exec_lo, exec_lo, s3
	s_cbranch_execnz .LBB124_265
; %bb.266:
	s_or_b32 exec_lo, exec_lo, s3
	v_mov_b32_e32 v5, 0
	ds_load_b128 v[5:8], v5 offset:960
	s_waitcnt lgkmcnt(0)
	v_mul_f64 v[9:10], v[1:2], v[7:8]
	v_mul_f64 v[7:8], v[3:4], v[7:8]
	s_delay_alu instid0(VALU_DEP_2) | instskip(NEXT) | instid1(VALU_DEP_2)
	v_fma_f64 v[3:4], v[3:4], v[5:6], -v[9:10]
	v_fma_f64 v[5:6], v[1:2], v[5:6], v[7:8]
	scratch_store_b128 off, v[3:6], off offset:960
.LBB124_267:
	s_or_b32 exec_lo, exec_lo, s2
	s_mov_b32 s3, -1
	s_waitcnt_vscnt null, 0x0
	s_barrier
	buffer_gl0_inv
.LBB124_268:
	s_and_b32 vcc_lo, exec_lo, s3
	s_cbranch_vccz .LBB124_270
; %bb.269:
	s_lshl_b64 s[2:3], s[10:11], 2
	v_mov_b32_e32 v1, 0
	s_add_u32 s2, s6, s2
	s_addc_u32 s3, s7, s3
	global_load_b32 v1, v1, s[2:3]
	s_waitcnt vmcnt(0)
	v_cmp_ne_u32_e32 vcc_lo, 0, v1
	s_cbranch_vccz .LBB124_271
.LBB124_270:
	s_endpgm
.LBB124_271:
	v_lshl_add_u32 v229, v169, 4, 0x3d0
	s_mov_b32 s2, exec_lo
	v_cmpx_eq_u32_e32 60, v169
	s_cbranch_execz .LBB124_273
; %bb.272:
	scratch_load_b128 v[1:4], v180, off
	v_mov_b32_e32 v5, 0
	s_delay_alu instid0(VALU_DEP_1)
	v_mov_b32_e32 v6, v5
	v_mov_b32_e32 v7, v5
	v_mov_b32_e32 v8, v5
	scratch_store_b128 off, v[5:8], off offset:944
	s_waitcnt vmcnt(0)
	ds_store_b128 v229, v[1:4]
.LBB124_273:
	s_or_b32 exec_lo, exec_lo, s2
	s_waitcnt lgkmcnt(0)
	s_waitcnt_vscnt null, 0x0
	s_barrier
	buffer_gl0_inv
	s_clause 0x1
	scratch_load_b128 v[2:5], off, off offset:960
	scratch_load_b128 v[6:9], off, off offset:944
	v_mov_b32_e32 v1, 0
	s_mov_b32 s2, exec_lo
	ds_load_b128 v[10:13], v1 offset:1936
	s_waitcnt vmcnt(1) lgkmcnt(0)
	v_mul_f64 v[14:15], v[12:13], v[4:5]
	v_mul_f64 v[4:5], v[10:11], v[4:5]
	s_delay_alu instid0(VALU_DEP_2) | instskip(NEXT) | instid1(VALU_DEP_2)
	v_fma_f64 v[10:11], v[10:11], v[2:3], -v[14:15]
	v_fma_f64 v[2:3], v[12:13], v[2:3], v[4:5]
	s_delay_alu instid0(VALU_DEP_2) | instskip(NEXT) | instid1(VALU_DEP_2)
	v_add_f64 v[4:5], v[10:11], 0
	v_add_f64 v[10:11], v[2:3], 0
	s_waitcnt vmcnt(0)
	s_delay_alu instid0(VALU_DEP_2) | instskip(NEXT) | instid1(VALU_DEP_2)
	v_add_f64 v[2:3], v[6:7], -v[4:5]
	v_add_f64 v[4:5], v[8:9], -v[10:11]
	scratch_store_b128 off, v[2:5], off offset:944
	v_cmpx_lt_u32_e32 58, v169
	s_cbranch_execz .LBB124_275
; %bb.274:
	scratch_load_b128 v[5:8], v207, off
	v_mov_b32_e32 v2, v1
	v_mov_b32_e32 v3, v1
	;; [unrolled: 1-line block ×3, first 2 shown]
	scratch_store_b128 off, v[1:4], off offset:928
	s_waitcnt vmcnt(0)
	ds_store_b128 v229, v[5:8]
.LBB124_275:
	s_or_b32 exec_lo, exec_lo, s2
	s_waitcnt lgkmcnt(0)
	s_waitcnt_vscnt null, 0x0
	s_barrier
	buffer_gl0_inv
	s_clause 0x2
	scratch_load_b128 v[2:5], off, off offset:944
	scratch_load_b128 v[6:9], off, off offset:960
	;; [unrolled: 1-line block ×3, first 2 shown]
	ds_load_b128 v[14:17], v1 offset:1920
	ds_load_b128 v[18:21], v1 offset:1936
	s_mov_b32 s2, exec_lo
	s_waitcnt vmcnt(2) lgkmcnt(1)
	v_mul_f64 v[22:23], v[16:17], v[4:5]
	v_mul_f64 v[4:5], v[14:15], v[4:5]
	s_waitcnt vmcnt(1) lgkmcnt(0)
	v_mul_f64 v[24:25], v[18:19], v[8:9]
	v_mul_f64 v[8:9], v[20:21], v[8:9]
	s_delay_alu instid0(VALU_DEP_4) | instskip(NEXT) | instid1(VALU_DEP_4)
	v_fma_f64 v[14:15], v[14:15], v[2:3], -v[22:23]
	v_fma_f64 v[1:2], v[16:17], v[2:3], v[4:5]
	s_delay_alu instid0(VALU_DEP_4) | instskip(NEXT) | instid1(VALU_DEP_4)
	v_fma_f64 v[3:4], v[20:21], v[6:7], v[24:25]
	v_fma_f64 v[5:6], v[18:19], v[6:7], -v[8:9]
	s_delay_alu instid0(VALU_DEP_4) | instskip(NEXT) | instid1(VALU_DEP_4)
	v_add_f64 v[7:8], v[14:15], 0
	v_add_f64 v[1:2], v[1:2], 0
	s_delay_alu instid0(VALU_DEP_2) | instskip(NEXT) | instid1(VALU_DEP_2)
	v_add_f64 v[5:6], v[7:8], v[5:6]
	v_add_f64 v[3:4], v[1:2], v[3:4]
	s_waitcnt vmcnt(0)
	s_delay_alu instid0(VALU_DEP_2) | instskip(NEXT) | instid1(VALU_DEP_2)
	v_add_f64 v[1:2], v[10:11], -v[5:6]
	v_add_f64 v[3:4], v[12:13], -v[3:4]
	scratch_store_b128 off, v[1:4], off offset:928
	v_cmpx_lt_u32_e32 57, v169
	s_cbranch_execz .LBB124_277
; %bb.276:
	scratch_load_b128 v[1:4], v182, off
	v_mov_b32_e32 v5, 0
	s_delay_alu instid0(VALU_DEP_1)
	v_mov_b32_e32 v6, v5
	v_mov_b32_e32 v7, v5
	;; [unrolled: 1-line block ×3, first 2 shown]
	scratch_store_b128 off, v[5:8], off offset:912
	s_waitcnt vmcnt(0)
	ds_store_b128 v229, v[1:4]
.LBB124_277:
	s_or_b32 exec_lo, exec_lo, s2
	s_waitcnt lgkmcnt(0)
	s_waitcnt_vscnt null, 0x0
	s_barrier
	buffer_gl0_inv
	s_clause 0x3
	scratch_load_b128 v[2:5], off, off offset:928
	scratch_load_b128 v[6:9], off, off offset:944
	;; [unrolled: 1-line block ×4, first 2 shown]
	v_mov_b32_e32 v1, 0
	ds_load_b128 v[18:21], v1 offset:1904
	ds_load_b128 v[22:25], v1 offset:1920
	s_mov_b32 s2, exec_lo
	s_waitcnt vmcnt(3) lgkmcnt(1)
	v_mul_f64 v[26:27], v[20:21], v[4:5]
	v_mul_f64 v[4:5], v[18:19], v[4:5]
	s_waitcnt vmcnt(2) lgkmcnt(0)
	v_mul_f64 v[28:29], v[22:23], v[8:9]
	v_mul_f64 v[8:9], v[24:25], v[8:9]
	s_delay_alu instid0(VALU_DEP_4) | instskip(NEXT) | instid1(VALU_DEP_4)
	v_fma_f64 v[18:19], v[18:19], v[2:3], -v[26:27]
	v_fma_f64 v[20:21], v[20:21], v[2:3], v[4:5]
	ds_load_b128 v[2:5], v1 offset:1936
	v_fma_f64 v[24:25], v[24:25], v[6:7], v[28:29]
	v_fma_f64 v[6:7], v[22:23], v[6:7], -v[8:9]
	s_waitcnt vmcnt(1) lgkmcnt(0)
	v_mul_f64 v[26:27], v[2:3], v[12:13]
	v_mul_f64 v[12:13], v[4:5], v[12:13]
	v_add_f64 v[8:9], v[18:19], 0
	v_add_f64 v[18:19], v[20:21], 0
	s_delay_alu instid0(VALU_DEP_4) | instskip(NEXT) | instid1(VALU_DEP_4)
	v_fma_f64 v[4:5], v[4:5], v[10:11], v[26:27]
	v_fma_f64 v[2:3], v[2:3], v[10:11], -v[12:13]
	s_delay_alu instid0(VALU_DEP_4) | instskip(NEXT) | instid1(VALU_DEP_4)
	v_add_f64 v[6:7], v[8:9], v[6:7]
	v_add_f64 v[8:9], v[18:19], v[24:25]
	s_delay_alu instid0(VALU_DEP_2) | instskip(NEXT) | instid1(VALU_DEP_2)
	v_add_f64 v[2:3], v[6:7], v[2:3]
	v_add_f64 v[4:5], v[8:9], v[4:5]
	s_waitcnt vmcnt(0)
	s_delay_alu instid0(VALU_DEP_2) | instskip(NEXT) | instid1(VALU_DEP_2)
	v_add_f64 v[2:3], v[14:15], -v[2:3]
	v_add_f64 v[4:5], v[16:17], -v[4:5]
	scratch_store_b128 off, v[2:5], off offset:912
	v_cmpx_lt_u32_e32 56, v169
	s_cbranch_execz .LBB124_279
; %bb.278:
	scratch_load_b128 v[5:8], v206, off
	v_mov_b32_e32 v2, v1
	v_mov_b32_e32 v3, v1
	;; [unrolled: 1-line block ×3, first 2 shown]
	scratch_store_b128 off, v[1:4], off offset:896
	s_waitcnt vmcnt(0)
	ds_store_b128 v229, v[5:8]
.LBB124_279:
	s_or_b32 exec_lo, exec_lo, s2
	s_waitcnt lgkmcnt(0)
	s_waitcnt_vscnt null, 0x0
	s_barrier
	buffer_gl0_inv
	s_clause 0x4
	scratch_load_b128 v[2:5], off, off offset:912
	scratch_load_b128 v[6:9], off, off offset:928
	;; [unrolled: 1-line block ×5, first 2 shown]
	ds_load_b128 v[22:25], v1 offset:1888
	ds_load_b128 v[26:29], v1 offset:1904
	s_mov_b32 s2, exec_lo
	s_waitcnt vmcnt(4) lgkmcnt(1)
	v_mul_f64 v[30:31], v[24:25], v[4:5]
	v_mul_f64 v[4:5], v[22:23], v[4:5]
	s_waitcnt vmcnt(3) lgkmcnt(0)
	v_mul_f64 v[32:33], v[26:27], v[8:9]
	v_mul_f64 v[8:9], v[28:29], v[8:9]
	s_delay_alu instid0(VALU_DEP_4) | instskip(NEXT) | instid1(VALU_DEP_4)
	v_fma_f64 v[30:31], v[22:23], v[2:3], -v[30:31]
	v_fma_f64 v[34:35], v[24:25], v[2:3], v[4:5]
	ds_load_b128 v[2:5], v1 offset:1920
	ds_load_b128 v[22:25], v1 offset:1936
	v_fma_f64 v[28:29], v[28:29], v[6:7], v[32:33]
	v_fma_f64 v[6:7], v[26:27], v[6:7], -v[8:9]
	s_waitcnt vmcnt(2) lgkmcnt(1)
	v_mul_f64 v[36:37], v[2:3], v[12:13]
	v_mul_f64 v[12:13], v[4:5], v[12:13]
	v_add_f64 v[8:9], v[30:31], 0
	v_add_f64 v[26:27], v[34:35], 0
	s_waitcnt vmcnt(1) lgkmcnt(0)
	v_mul_f64 v[30:31], v[22:23], v[16:17]
	v_mul_f64 v[16:17], v[24:25], v[16:17]
	v_fma_f64 v[4:5], v[4:5], v[10:11], v[36:37]
	v_fma_f64 v[1:2], v[2:3], v[10:11], -v[12:13]
	v_add_f64 v[6:7], v[8:9], v[6:7]
	v_add_f64 v[8:9], v[26:27], v[28:29]
	v_fma_f64 v[10:11], v[24:25], v[14:15], v[30:31]
	v_fma_f64 v[12:13], v[22:23], v[14:15], -v[16:17]
	s_delay_alu instid0(VALU_DEP_4) | instskip(NEXT) | instid1(VALU_DEP_4)
	v_add_f64 v[1:2], v[6:7], v[1:2]
	v_add_f64 v[3:4], v[8:9], v[4:5]
	s_delay_alu instid0(VALU_DEP_2) | instskip(NEXT) | instid1(VALU_DEP_2)
	v_add_f64 v[1:2], v[1:2], v[12:13]
	v_add_f64 v[3:4], v[3:4], v[10:11]
	s_waitcnt vmcnt(0)
	s_delay_alu instid0(VALU_DEP_2) | instskip(NEXT) | instid1(VALU_DEP_2)
	v_add_f64 v[1:2], v[18:19], -v[1:2]
	v_add_f64 v[3:4], v[20:21], -v[3:4]
	scratch_store_b128 off, v[1:4], off offset:896
	v_cmpx_lt_u32_e32 55, v169
	s_cbranch_execz .LBB124_281
; %bb.280:
	scratch_load_b128 v[1:4], v184, off
	v_mov_b32_e32 v5, 0
	s_delay_alu instid0(VALU_DEP_1)
	v_mov_b32_e32 v6, v5
	v_mov_b32_e32 v7, v5
	;; [unrolled: 1-line block ×3, first 2 shown]
	scratch_store_b128 off, v[5:8], off offset:880
	s_waitcnt vmcnt(0)
	ds_store_b128 v229, v[1:4]
.LBB124_281:
	s_or_b32 exec_lo, exec_lo, s2
	s_waitcnt lgkmcnt(0)
	s_waitcnt_vscnt null, 0x0
	s_barrier
	buffer_gl0_inv
	s_clause 0x5
	scratch_load_b128 v[2:5], off, off offset:896
	scratch_load_b128 v[6:9], off, off offset:912
	;; [unrolled: 1-line block ×6, first 2 shown]
	v_mov_b32_e32 v1, 0
	ds_load_b128 v[26:29], v1 offset:1872
	ds_load_b128 v[30:33], v1 offset:1888
	s_mov_b32 s2, exec_lo
	s_waitcnt vmcnt(5) lgkmcnt(1)
	v_mul_f64 v[34:35], v[28:29], v[4:5]
	v_mul_f64 v[4:5], v[26:27], v[4:5]
	s_waitcnt vmcnt(4) lgkmcnt(0)
	v_mul_f64 v[36:37], v[30:31], v[8:9]
	v_mul_f64 v[8:9], v[32:33], v[8:9]
	s_delay_alu instid0(VALU_DEP_4) | instskip(NEXT) | instid1(VALU_DEP_4)
	v_fma_f64 v[34:35], v[26:27], v[2:3], -v[34:35]
	v_fma_f64 v[38:39], v[28:29], v[2:3], v[4:5]
	ds_load_b128 v[2:5], v1 offset:1904
	ds_load_b128 v[26:29], v1 offset:1920
	v_fma_f64 v[32:33], v[32:33], v[6:7], v[36:37]
	v_fma_f64 v[6:7], v[30:31], v[6:7], -v[8:9]
	s_waitcnt vmcnt(3) lgkmcnt(1)
	v_mul_f64 v[40:41], v[2:3], v[12:13]
	v_mul_f64 v[12:13], v[4:5], v[12:13]
	v_add_f64 v[8:9], v[34:35], 0
	v_add_f64 v[30:31], v[38:39], 0
	s_waitcnt vmcnt(2) lgkmcnt(0)
	v_mul_f64 v[34:35], v[26:27], v[16:17]
	v_mul_f64 v[16:17], v[28:29], v[16:17]
	v_fma_f64 v[36:37], v[4:5], v[10:11], v[40:41]
	v_fma_f64 v[10:11], v[2:3], v[10:11], -v[12:13]
	ds_load_b128 v[2:5], v1 offset:1936
	v_add_f64 v[6:7], v[8:9], v[6:7]
	v_add_f64 v[8:9], v[30:31], v[32:33]
	v_fma_f64 v[28:29], v[28:29], v[14:15], v[34:35]
	v_fma_f64 v[14:15], v[26:27], v[14:15], -v[16:17]
	s_waitcnt vmcnt(1) lgkmcnt(0)
	v_mul_f64 v[12:13], v[2:3], v[20:21]
	v_mul_f64 v[20:21], v[4:5], v[20:21]
	v_add_f64 v[6:7], v[6:7], v[10:11]
	v_add_f64 v[8:9], v[8:9], v[36:37]
	s_delay_alu instid0(VALU_DEP_4) | instskip(NEXT) | instid1(VALU_DEP_4)
	v_fma_f64 v[4:5], v[4:5], v[18:19], v[12:13]
	v_fma_f64 v[2:3], v[2:3], v[18:19], -v[20:21]
	s_delay_alu instid0(VALU_DEP_4) | instskip(NEXT) | instid1(VALU_DEP_4)
	v_add_f64 v[6:7], v[6:7], v[14:15]
	v_add_f64 v[8:9], v[8:9], v[28:29]
	s_delay_alu instid0(VALU_DEP_2) | instskip(NEXT) | instid1(VALU_DEP_2)
	v_add_f64 v[2:3], v[6:7], v[2:3]
	v_add_f64 v[4:5], v[8:9], v[4:5]
	s_waitcnt vmcnt(0)
	s_delay_alu instid0(VALU_DEP_2) | instskip(NEXT) | instid1(VALU_DEP_2)
	v_add_f64 v[2:3], v[22:23], -v[2:3]
	v_add_f64 v[4:5], v[24:25], -v[4:5]
	scratch_store_b128 off, v[2:5], off offset:880
	v_cmpx_lt_u32_e32 54, v169
	s_cbranch_execz .LBB124_283
; %bb.282:
	scratch_load_b128 v[5:8], v189, off
	v_mov_b32_e32 v2, v1
	v_mov_b32_e32 v3, v1
	;; [unrolled: 1-line block ×3, first 2 shown]
	scratch_store_b128 off, v[1:4], off offset:864
	s_waitcnt vmcnt(0)
	ds_store_b128 v229, v[5:8]
.LBB124_283:
	s_or_b32 exec_lo, exec_lo, s2
	s_waitcnt lgkmcnt(0)
	s_waitcnt_vscnt null, 0x0
	s_barrier
	buffer_gl0_inv
	s_clause 0x5
	scratch_load_b128 v[2:5], off, off offset:880
	scratch_load_b128 v[6:9], off, off offset:896
	;; [unrolled: 1-line block ×6, first 2 shown]
	ds_load_b128 v[26:29], v1 offset:1856
	ds_load_b128 v[34:37], v1 offset:1872
	scratch_load_b128 v[30:33], off, off offset:864
	s_mov_b32 s2, exec_lo
	s_waitcnt vmcnt(6) lgkmcnt(1)
	v_mul_f64 v[38:39], v[28:29], v[4:5]
	v_mul_f64 v[4:5], v[26:27], v[4:5]
	s_waitcnt vmcnt(5) lgkmcnt(0)
	v_mul_f64 v[40:41], v[34:35], v[8:9]
	v_mul_f64 v[8:9], v[36:37], v[8:9]
	s_delay_alu instid0(VALU_DEP_4) | instskip(NEXT) | instid1(VALU_DEP_4)
	v_fma_f64 v[38:39], v[26:27], v[2:3], -v[38:39]
	v_fma_f64 v[42:43], v[28:29], v[2:3], v[4:5]
	ds_load_b128 v[2:5], v1 offset:1888
	ds_load_b128 v[26:29], v1 offset:1904
	v_fma_f64 v[36:37], v[36:37], v[6:7], v[40:41]
	v_fma_f64 v[6:7], v[34:35], v[6:7], -v[8:9]
	s_waitcnt vmcnt(4) lgkmcnt(1)
	v_mul_f64 v[44:45], v[2:3], v[12:13]
	v_mul_f64 v[12:13], v[4:5], v[12:13]
	v_add_f64 v[8:9], v[38:39], 0
	v_add_f64 v[34:35], v[42:43], 0
	s_waitcnt vmcnt(3) lgkmcnt(0)
	v_mul_f64 v[38:39], v[26:27], v[16:17]
	v_mul_f64 v[16:17], v[28:29], v[16:17]
	v_fma_f64 v[40:41], v[4:5], v[10:11], v[44:45]
	v_fma_f64 v[10:11], v[2:3], v[10:11], -v[12:13]
	v_add_f64 v[12:13], v[8:9], v[6:7]
	v_add_f64 v[34:35], v[34:35], v[36:37]
	ds_load_b128 v[2:5], v1 offset:1920
	ds_load_b128 v[6:9], v1 offset:1936
	v_fma_f64 v[28:29], v[28:29], v[14:15], v[38:39]
	v_fma_f64 v[14:15], v[26:27], v[14:15], -v[16:17]
	s_waitcnt vmcnt(2) lgkmcnt(1)
	v_mul_f64 v[36:37], v[2:3], v[20:21]
	v_mul_f64 v[20:21], v[4:5], v[20:21]
	s_waitcnt vmcnt(1) lgkmcnt(0)
	v_mul_f64 v[16:17], v[6:7], v[24:25]
	v_mul_f64 v[24:25], v[8:9], v[24:25]
	v_add_f64 v[10:11], v[12:13], v[10:11]
	v_add_f64 v[12:13], v[34:35], v[40:41]
	v_fma_f64 v[4:5], v[4:5], v[18:19], v[36:37]
	v_fma_f64 v[1:2], v[2:3], v[18:19], -v[20:21]
	v_fma_f64 v[8:9], v[8:9], v[22:23], v[16:17]
	v_fma_f64 v[6:7], v[6:7], v[22:23], -v[24:25]
	v_add_f64 v[10:11], v[10:11], v[14:15]
	v_add_f64 v[12:13], v[12:13], v[28:29]
	s_delay_alu instid0(VALU_DEP_2) | instskip(NEXT) | instid1(VALU_DEP_2)
	v_add_f64 v[1:2], v[10:11], v[1:2]
	v_add_f64 v[3:4], v[12:13], v[4:5]
	s_delay_alu instid0(VALU_DEP_2) | instskip(NEXT) | instid1(VALU_DEP_2)
	v_add_f64 v[1:2], v[1:2], v[6:7]
	v_add_f64 v[3:4], v[3:4], v[8:9]
	s_waitcnt vmcnt(0)
	s_delay_alu instid0(VALU_DEP_2) | instskip(NEXT) | instid1(VALU_DEP_2)
	v_add_f64 v[1:2], v[30:31], -v[1:2]
	v_add_f64 v[3:4], v[32:33], -v[3:4]
	scratch_store_b128 off, v[1:4], off offset:864
	v_cmpx_lt_u32_e32 53, v169
	s_cbranch_execz .LBB124_285
; %bb.284:
	scratch_load_b128 v[1:4], v192, off
	v_mov_b32_e32 v5, 0
	s_delay_alu instid0(VALU_DEP_1)
	v_mov_b32_e32 v6, v5
	v_mov_b32_e32 v7, v5
	;; [unrolled: 1-line block ×3, first 2 shown]
	scratch_store_b128 off, v[5:8], off offset:848
	s_waitcnt vmcnt(0)
	ds_store_b128 v229, v[1:4]
.LBB124_285:
	s_or_b32 exec_lo, exec_lo, s2
	s_waitcnt lgkmcnt(0)
	s_waitcnt_vscnt null, 0x0
	s_barrier
	buffer_gl0_inv
	s_clause 0x6
	scratch_load_b128 v[2:5], off, off offset:864
	scratch_load_b128 v[6:9], off, off offset:880
	;; [unrolled: 1-line block ×7, first 2 shown]
	v_mov_b32_e32 v1, 0
	scratch_load_b128 v[34:37], off, off offset:848
	s_mov_b32 s2, exec_lo
	ds_load_b128 v[30:33], v1 offset:1840
	ds_load_b128 v[38:41], v1 offset:1856
	s_waitcnt vmcnt(7) lgkmcnt(1)
	v_mul_f64 v[42:43], v[32:33], v[4:5]
	v_mul_f64 v[4:5], v[30:31], v[4:5]
	s_waitcnt vmcnt(6) lgkmcnt(0)
	v_mul_f64 v[44:45], v[38:39], v[8:9]
	v_mul_f64 v[8:9], v[40:41], v[8:9]
	s_delay_alu instid0(VALU_DEP_4) | instskip(NEXT) | instid1(VALU_DEP_4)
	v_fma_f64 v[42:43], v[30:31], v[2:3], -v[42:43]
	v_fma_f64 v[57:58], v[32:33], v[2:3], v[4:5]
	ds_load_b128 v[2:5], v1 offset:1872
	ds_load_b128 v[30:33], v1 offset:1888
	v_fma_f64 v[40:41], v[40:41], v[6:7], v[44:45]
	v_fma_f64 v[6:7], v[38:39], v[6:7], -v[8:9]
	s_waitcnt vmcnt(5) lgkmcnt(1)
	v_mul_f64 v[59:60], v[2:3], v[12:13]
	v_mul_f64 v[12:13], v[4:5], v[12:13]
	v_add_f64 v[8:9], v[42:43], 0
	v_add_f64 v[38:39], v[57:58], 0
	s_waitcnt vmcnt(4) lgkmcnt(0)
	v_mul_f64 v[42:43], v[30:31], v[16:17]
	v_mul_f64 v[16:17], v[32:33], v[16:17]
	v_fma_f64 v[44:45], v[4:5], v[10:11], v[59:60]
	v_fma_f64 v[10:11], v[2:3], v[10:11], -v[12:13]
	v_add_f64 v[12:13], v[8:9], v[6:7]
	v_add_f64 v[38:39], v[38:39], v[40:41]
	ds_load_b128 v[2:5], v1 offset:1904
	ds_load_b128 v[6:9], v1 offset:1920
	v_fma_f64 v[32:33], v[32:33], v[14:15], v[42:43]
	v_fma_f64 v[14:15], v[30:31], v[14:15], -v[16:17]
	s_waitcnt vmcnt(3) lgkmcnt(1)
	v_mul_f64 v[40:41], v[2:3], v[20:21]
	v_mul_f64 v[20:21], v[4:5], v[20:21]
	s_waitcnt vmcnt(2) lgkmcnt(0)
	v_mul_f64 v[16:17], v[6:7], v[24:25]
	v_mul_f64 v[24:25], v[8:9], v[24:25]
	v_add_f64 v[10:11], v[12:13], v[10:11]
	v_add_f64 v[12:13], v[38:39], v[44:45]
	v_fma_f64 v[30:31], v[4:5], v[18:19], v[40:41]
	v_fma_f64 v[18:19], v[2:3], v[18:19], -v[20:21]
	ds_load_b128 v[2:5], v1 offset:1936
	v_fma_f64 v[8:9], v[8:9], v[22:23], v[16:17]
	v_fma_f64 v[6:7], v[6:7], v[22:23], -v[24:25]
	v_add_f64 v[10:11], v[10:11], v[14:15]
	v_add_f64 v[12:13], v[12:13], v[32:33]
	s_waitcnt vmcnt(1) lgkmcnt(0)
	v_mul_f64 v[14:15], v[2:3], v[28:29]
	v_mul_f64 v[20:21], v[4:5], v[28:29]
	s_delay_alu instid0(VALU_DEP_4) | instskip(NEXT) | instid1(VALU_DEP_4)
	v_add_f64 v[10:11], v[10:11], v[18:19]
	v_add_f64 v[12:13], v[12:13], v[30:31]
	s_delay_alu instid0(VALU_DEP_4) | instskip(NEXT) | instid1(VALU_DEP_4)
	v_fma_f64 v[4:5], v[4:5], v[26:27], v[14:15]
	v_fma_f64 v[2:3], v[2:3], v[26:27], -v[20:21]
	s_delay_alu instid0(VALU_DEP_4) | instskip(NEXT) | instid1(VALU_DEP_4)
	v_add_f64 v[6:7], v[10:11], v[6:7]
	v_add_f64 v[8:9], v[12:13], v[8:9]
	s_delay_alu instid0(VALU_DEP_2) | instskip(NEXT) | instid1(VALU_DEP_2)
	v_add_f64 v[2:3], v[6:7], v[2:3]
	v_add_f64 v[4:5], v[8:9], v[4:5]
	s_waitcnt vmcnt(0)
	s_delay_alu instid0(VALU_DEP_2) | instskip(NEXT) | instid1(VALU_DEP_2)
	v_add_f64 v[2:3], v[34:35], -v[2:3]
	v_add_f64 v[4:5], v[36:37], -v[4:5]
	scratch_store_b128 off, v[2:5], off offset:848
	v_cmpx_lt_u32_e32 52, v169
	s_cbranch_execz .LBB124_287
; %bb.286:
	scratch_load_b128 v[5:8], v212, off
	v_mov_b32_e32 v2, v1
	v_mov_b32_e32 v3, v1
	v_mov_b32_e32 v4, v1
	scratch_store_b128 off, v[1:4], off offset:832
	s_waitcnt vmcnt(0)
	ds_store_b128 v229, v[5:8]
.LBB124_287:
	s_or_b32 exec_lo, exec_lo, s2
	s_waitcnt lgkmcnt(0)
	s_waitcnt_vscnt null, 0x0
	s_barrier
	buffer_gl0_inv
	s_clause 0x7
	scratch_load_b128 v[2:5], off, off offset:848
	scratch_load_b128 v[6:9], off, off offset:864
	;; [unrolled: 1-line block ×8, first 2 shown]
	ds_load_b128 v[34:37], v1 offset:1824
	ds_load_b128 v[38:41], v1 offset:1840
	scratch_load_b128 v[42:45], off, off offset:832
	s_mov_b32 s2, exec_lo
	s_waitcnt vmcnt(8) lgkmcnt(1)
	v_mul_f64 v[57:58], v[36:37], v[4:5]
	v_mul_f64 v[4:5], v[34:35], v[4:5]
	s_waitcnt vmcnt(7) lgkmcnt(0)
	v_mul_f64 v[59:60], v[38:39], v[8:9]
	v_mul_f64 v[8:9], v[40:41], v[8:9]
	s_delay_alu instid0(VALU_DEP_4) | instskip(NEXT) | instid1(VALU_DEP_4)
	v_fma_f64 v[57:58], v[34:35], v[2:3], -v[57:58]
	v_fma_f64 v[61:62], v[36:37], v[2:3], v[4:5]
	ds_load_b128 v[2:5], v1 offset:1856
	ds_load_b128 v[34:37], v1 offset:1872
	v_fma_f64 v[40:41], v[40:41], v[6:7], v[59:60]
	v_fma_f64 v[6:7], v[38:39], v[6:7], -v[8:9]
	s_waitcnt vmcnt(6) lgkmcnt(1)
	v_mul_f64 v[63:64], v[2:3], v[12:13]
	v_mul_f64 v[12:13], v[4:5], v[12:13]
	v_add_f64 v[8:9], v[57:58], 0
	v_add_f64 v[38:39], v[61:62], 0
	s_waitcnt vmcnt(5) lgkmcnt(0)
	v_mul_f64 v[57:58], v[34:35], v[16:17]
	v_mul_f64 v[16:17], v[36:37], v[16:17]
	v_fma_f64 v[59:60], v[4:5], v[10:11], v[63:64]
	v_fma_f64 v[10:11], v[2:3], v[10:11], -v[12:13]
	v_add_f64 v[12:13], v[8:9], v[6:7]
	v_add_f64 v[38:39], v[38:39], v[40:41]
	ds_load_b128 v[2:5], v1 offset:1888
	ds_load_b128 v[6:9], v1 offset:1904
	v_fma_f64 v[36:37], v[36:37], v[14:15], v[57:58]
	v_fma_f64 v[14:15], v[34:35], v[14:15], -v[16:17]
	s_waitcnt vmcnt(4) lgkmcnt(1)
	v_mul_f64 v[40:41], v[2:3], v[20:21]
	v_mul_f64 v[20:21], v[4:5], v[20:21]
	s_waitcnt vmcnt(3) lgkmcnt(0)
	v_mul_f64 v[16:17], v[6:7], v[24:25]
	v_mul_f64 v[24:25], v[8:9], v[24:25]
	v_add_f64 v[10:11], v[12:13], v[10:11]
	v_add_f64 v[12:13], v[38:39], v[59:60]
	v_fma_f64 v[34:35], v[4:5], v[18:19], v[40:41]
	v_fma_f64 v[18:19], v[2:3], v[18:19], -v[20:21]
	v_fma_f64 v[8:9], v[8:9], v[22:23], v[16:17]
	v_fma_f64 v[6:7], v[6:7], v[22:23], -v[24:25]
	v_add_f64 v[14:15], v[10:11], v[14:15]
	v_add_f64 v[20:21], v[12:13], v[36:37]
	ds_load_b128 v[2:5], v1 offset:1920
	ds_load_b128 v[10:13], v1 offset:1936
	s_waitcnt vmcnt(2) lgkmcnt(1)
	v_mul_f64 v[36:37], v[2:3], v[28:29]
	v_mul_f64 v[28:29], v[4:5], v[28:29]
	v_add_f64 v[14:15], v[14:15], v[18:19]
	v_add_f64 v[16:17], v[20:21], v[34:35]
	s_waitcnt vmcnt(1) lgkmcnt(0)
	v_mul_f64 v[18:19], v[10:11], v[32:33]
	v_mul_f64 v[20:21], v[12:13], v[32:33]
	v_fma_f64 v[4:5], v[4:5], v[26:27], v[36:37]
	v_fma_f64 v[1:2], v[2:3], v[26:27], -v[28:29]
	v_add_f64 v[6:7], v[14:15], v[6:7]
	v_add_f64 v[8:9], v[16:17], v[8:9]
	v_fma_f64 v[12:13], v[12:13], v[30:31], v[18:19]
	v_fma_f64 v[10:11], v[10:11], v[30:31], -v[20:21]
	s_delay_alu instid0(VALU_DEP_4) | instskip(NEXT) | instid1(VALU_DEP_4)
	v_add_f64 v[1:2], v[6:7], v[1:2]
	v_add_f64 v[3:4], v[8:9], v[4:5]
	s_delay_alu instid0(VALU_DEP_2) | instskip(NEXT) | instid1(VALU_DEP_2)
	v_add_f64 v[1:2], v[1:2], v[10:11]
	v_add_f64 v[3:4], v[3:4], v[12:13]
	s_waitcnt vmcnt(0)
	s_delay_alu instid0(VALU_DEP_2) | instskip(NEXT) | instid1(VALU_DEP_2)
	v_add_f64 v[1:2], v[42:43], -v[1:2]
	v_add_f64 v[3:4], v[44:45], -v[3:4]
	scratch_store_b128 off, v[1:4], off offset:832
	v_cmpx_lt_u32_e32 51, v169
	s_cbranch_execz .LBB124_289
; %bb.288:
	scratch_load_b128 v[1:4], v196, off
	v_mov_b32_e32 v5, 0
	s_delay_alu instid0(VALU_DEP_1)
	v_mov_b32_e32 v6, v5
	v_mov_b32_e32 v7, v5
	;; [unrolled: 1-line block ×3, first 2 shown]
	scratch_store_b128 off, v[5:8], off offset:816
	s_waitcnt vmcnt(0)
	ds_store_b128 v229, v[1:4]
.LBB124_289:
	s_or_b32 exec_lo, exec_lo, s2
	s_waitcnt lgkmcnt(0)
	s_waitcnt_vscnt null, 0x0
	s_barrier
	buffer_gl0_inv
	s_clause 0x7
	scratch_load_b128 v[2:5], off, off offset:832
	scratch_load_b128 v[6:9], off, off offset:848
	;; [unrolled: 1-line block ×8, first 2 shown]
	v_mov_b32_e32 v1, 0
	scratch_load_b128 v[38:41], off, off offset:960
	s_mov_b32 s2, exec_lo
	ds_load_b128 v[34:37], v1 offset:1808
	ds_load_b128 v[42:45], v1 offset:1824
	s_waitcnt vmcnt(8) lgkmcnt(1)
	v_mul_f64 v[57:58], v[36:37], v[4:5]
	v_mul_f64 v[4:5], v[34:35], v[4:5]
	s_waitcnt vmcnt(7) lgkmcnt(0)
	v_mul_f64 v[59:60], v[42:43], v[8:9]
	v_mul_f64 v[8:9], v[44:45], v[8:9]
	s_delay_alu instid0(VALU_DEP_4) | instskip(NEXT) | instid1(VALU_DEP_4)
	v_fma_f64 v[34:35], v[34:35], v[2:3], -v[57:58]
	v_fma_f64 v[36:37], v[36:37], v[2:3], v[4:5]
	ds_load_b128 v[2:5], v1 offset:1840
	v_fma_f64 v[44:45], v[44:45], v[6:7], v[59:60]
	v_fma_f64 v[42:43], v[42:43], v[6:7], -v[8:9]
	ds_load_b128 v[6:9], v1 offset:1856
	s_waitcnt vmcnt(6) lgkmcnt(1)
	v_mul_f64 v[57:58], v[2:3], v[12:13]
	v_mul_f64 v[12:13], v[4:5], v[12:13]
	s_waitcnt vmcnt(5) lgkmcnt(0)
	v_mul_f64 v[63:64], v[6:7], v[16:17]
	v_mul_f64 v[16:17], v[8:9], v[16:17]
	v_add_f64 v[59:60], v[34:35], 0
	v_add_f64 v[61:62], v[36:37], 0
	scratch_load_b128 v[34:37], off, off offset:816
	v_fma_f64 v[57:58], v[4:5], v[10:11], v[57:58]
	v_fma_f64 v[10:11], v[2:3], v[10:11], -v[12:13]
	ds_load_b128 v[2:5], v1 offset:1872
	v_add_f64 v[12:13], v[59:60], v[42:43]
	v_add_f64 v[42:43], v[61:62], v[44:45]
	v_fma_f64 v[59:60], v[8:9], v[14:15], v[63:64]
	v_fma_f64 v[14:15], v[6:7], v[14:15], -v[16:17]
	ds_load_b128 v[6:9], v1 offset:1888
	s_waitcnt vmcnt(5) lgkmcnt(1)
	v_mul_f64 v[44:45], v[2:3], v[20:21]
	v_mul_f64 v[20:21], v[4:5], v[20:21]
	s_waitcnt vmcnt(4) lgkmcnt(0)
	v_mul_f64 v[16:17], v[6:7], v[24:25]
	v_mul_f64 v[24:25], v[8:9], v[24:25]
	v_add_f64 v[10:11], v[12:13], v[10:11]
	v_add_f64 v[12:13], v[42:43], v[57:58]
	v_fma_f64 v[42:43], v[4:5], v[18:19], v[44:45]
	v_fma_f64 v[18:19], v[2:3], v[18:19], -v[20:21]
	ds_load_b128 v[2:5], v1 offset:1904
	v_fma_f64 v[16:17], v[8:9], v[22:23], v[16:17]
	v_fma_f64 v[22:23], v[6:7], v[22:23], -v[24:25]
	ds_load_b128 v[6:9], v1 offset:1920
	s_waitcnt vmcnt(3) lgkmcnt(1)
	v_mul_f64 v[20:21], v[4:5], v[28:29]
	v_add_f64 v[10:11], v[10:11], v[14:15]
	v_add_f64 v[12:13], v[12:13], v[59:60]
	v_mul_f64 v[14:15], v[2:3], v[28:29]
	s_waitcnt vmcnt(2) lgkmcnt(0)
	v_mul_f64 v[24:25], v[8:9], v[32:33]
	v_fma_f64 v[20:21], v[2:3], v[26:27], -v[20:21]
	v_add_f64 v[10:11], v[10:11], v[18:19]
	v_add_f64 v[12:13], v[12:13], v[42:43]
	v_mul_f64 v[18:19], v[6:7], v[32:33]
	v_fma_f64 v[14:15], v[4:5], v[26:27], v[14:15]
	ds_load_b128 v[2:5], v1 offset:1936
	v_fma_f64 v[6:7], v[6:7], v[30:31], -v[24:25]
	v_add_f64 v[10:11], v[10:11], v[22:23]
	v_add_f64 v[12:13], v[12:13], v[16:17]
	s_waitcnt vmcnt(1) lgkmcnt(0)
	v_mul_f64 v[16:17], v[2:3], v[40:41]
	v_mul_f64 v[22:23], v[4:5], v[40:41]
	v_fma_f64 v[8:9], v[8:9], v[30:31], v[18:19]
	v_add_f64 v[10:11], v[10:11], v[20:21]
	v_add_f64 v[12:13], v[12:13], v[14:15]
	v_fma_f64 v[4:5], v[4:5], v[38:39], v[16:17]
	v_fma_f64 v[2:3], v[2:3], v[38:39], -v[22:23]
	s_delay_alu instid0(VALU_DEP_4) | instskip(NEXT) | instid1(VALU_DEP_4)
	v_add_f64 v[6:7], v[10:11], v[6:7]
	v_add_f64 v[8:9], v[12:13], v[8:9]
	s_delay_alu instid0(VALU_DEP_2) | instskip(NEXT) | instid1(VALU_DEP_2)
	v_add_f64 v[2:3], v[6:7], v[2:3]
	v_add_f64 v[4:5], v[8:9], v[4:5]
	s_waitcnt vmcnt(0)
	s_delay_alu instid0(VALU_DEP_2) | instskip(NEXT) | instid1(VALU_DEP_2)
	v_add_f64 v[2:3], v[34:35], -v[2:3]
	v_add_f64 v[4:5], v[36:37], -v[4:5]
	scratch_store_b128 off, v[2:5], off offset:816
	v_cmpx_lt_u32_e32 50, v169
	s_cbranch_execz .LBB124_291
; %bb.290:
	scratch_load_b128 v[5:8], v198, off
	v_mov_b32_e32 v2, v1
	v_mov_b32_e32 v3, v1
	;; [unrolled: 1-line block ×3, first 2 shown]
	scratch_store_b128 off, v[1:4], off offset:800
	s_waitcnt vmcnt(0)
	ds_store_b128 v229, v[5:8]
.LBB124_291:
	s_or_b32 exec_lo, exec_lo, s2
	s_waitcnt lgkmcnt(0)
	s_waitcnt_vscnt null, 0x0
	s_barrier
	buffer_gl0_inv
	s_clause 0x7
	scratch_load_b128 v[2:5], off, off offset:816
	scratch_load_b128 v[6:9], off, off offset:832
	;; [unrolled: 1-line block ×8, first 2 shown]
	ds_load_b128 v[34:37], v1 offset:1792
	ds_load_b128 v[42:45], v1 offset:1808
	s_clause 0x1
	scratch_load_b128 v[38:41], off, off offset:944
	scratch_load_b128 v[57:60], off, off offset:960
	s_mov_b32 s2, exec_lo
	s_waitcnt vmcnt(9) lgkmcnt(1)
	v_mul_f64 v[61:62], v[36:37], v[4:5]
	v_mul_f64 v[4:5], v[34:35], v[4:5]
	s_waitcnt vmcnt(8) lgkmcnt(0)
	v_mul_f64 v[63:64], v[42:43], v[8:9]
	v_mul_f64 v[8:9], v[44:45], v[8:9]
	s_delay_alu instid0(VALU_DEP_4) | instskip(NEXT) | instid1(VALU_DEP_4)
	v_fma_f64 v[34:35], v[34:35], v[2:3], -v[61:62]
	v_fma_f64 v[36:37], v[36:37], v[2:3], v[4:5]
	ds_load_b128 v[2:5], v1 offset:1824
	v_fma_f64 v[44:45], v[44:45], v[6:7], v[63:64]
	v_fma_f64 v[42:43], v[42:43], v[6:7], -v[8:9]
	ds_load_b128 v[6:9], v1 offset:1840
	s_waitcnt vmcnt(7) lgkmcnt(1)
	v_mul_f64 v[61:62], v[2:3], v[12:13]
	v_mul_f64 v[12:13], v[4:5], v[12:13]
	s_waitcnt vmcnt(6) lgkmcnt(0)
	v_mul_f64 v[63:64], v[6:7], v[16:17]
	v_mul_f64 v[16:17], v[8:9], v[16:17]
	v_add_f64 v[34:35], v[34:35], 0
	v_add_f64 v[36:37], v[36:37], 0
	v_fma_f64 v[61:62], v[4:5], v[10:11], v[61:62]
	v_fma_f64 v[65:66], v[2:3], v[10:11], -v[12:13]
	ds_load_b128 v[2:5], v1 offset:1856
	scratch_load_b128 v[10:13], off, off offset:800
	v_add_f64 v[34:35], v[34:35], v[42:43]
	v_add_f64 v[36:37], v[36:37], v[44:45]
	v_fma_f64 v[44:45], v[8:9], v[14:15], v[63:64]
	v_fma_f64 v[14:15], v[6:7], v[14:15], -v[16:17]
	ds_load_b128 v[6:9], v1 offset:1872
	s_waitcnt vmcnt(6) lgkmcnt(1)
	v_mul_f64 v[42:43], v[2:3], v[20:21]
	v_mul_f64 v[20:21], v[4:5], v[20:21]
	v_add_f64 v[16:17], v[34:35], v[65:66]
	v_add_f64 v[34:35], v[36:37], v[61:62]
	s_waitcnt vmcnt(5) lgkmcnt(0)
	v_mul_f64 v[36:37], v[6:7], v[24:25]
	v_mul_f64 v[24:25], v[8:9], v[24:25]
	v_fma_f64 v[42:43], v[4:5], v[18:19], v[42:43]
	v_fma_f64 v[18:19], v[2:3], v[18:19], -v[20:21]
	ds_load_b128 v[2:5], v1 offset:1888
	v_add_f64 v[14:15], v[16:17], v[14:15]
	v_add_f64 v[16:17], v[34:35], v[44:45]
	v_fma_f64 v[34:35], v[8:9], v[22:23], v[36:37]
	v_fma_f64 v[22:23], v[6:7], v[22:23], -v[24:25]
	ds_load_b128 v[6:9], v1 offset:1904
	s_waitcnt vmcnt(4) lgkmcnt(1)
	v_mul_f64 v[20:21], v[2:3], v[28:29]
	v_mul_f64 v[28:29], v[4:5], v[28:29]
	s_waitcnt vmcnt(3) lgkmcnt(0)
	v_mul_f64 v[24:25], v[8:9], v[32:33]
	v_add_f64 v[14:15], v[14:15], v[18:19]
	v_add_f64 v[16:17], v[16:17], v[42:43]
	v_mul_f64 v[18:19], v[6:7], v[32:33]
	v_fma_f64 v[20:21], v[4:5], v[26:27], v[20:21]
	v_fma_f64 v[26:27], v[2:3], v[26:27], -v[28:29]
	ds_load_b128 v[2:5], v1 offset:1920
	v_fma_f64 v[24:25], v[6:7], v[30:31], -v[24:25]
	v_add_f64 v[14:15], v[14:15], v[22:23]
	v_add_f64 v[16:17], v[16:17], v[34:35]
	v_fma_f64 v[18:19], v[8:9], v[30:31], v[18:19]
	ds_load_b128 v[6:9], v1 offset:1936
	s_waitcnt vmcnt(2) lgkmcnt(1)
	v_mul_f64 v[22:23], v[2:3], v[40:41]
	v_mul_f64 v[28:29], v[4:5], v[40:41]
	v_add_f64 v[14:15], v[14:15], v[26:27]
	v_add_f64 v[16:17], v[16:17], v[20:21]
	s_waitcnt vmcnt(1) lgkmcnt(0)
	v_mul_f64 v[20:21], v[6:7], v[59:60]
	v_mul_f64 v[26:27], v[8:9], v[59:60]
	v_fma_f64 v[4:5], v[4:5], v[38:39], v[22:23]
	v_fma_f64 v[1:2], v[2:3], v[38:39], -v[28:29]
	v_add_f64 v[14:15], v[14:15], v[24:25]
	v_add_f64 v[16:17], v[16:17], v[18:19]
	v_fma_f64 v[8:9], v[8:9], v[57:58], v[20:21]
	v_fma_f64 v[6:7], v[6:7], v[57:58], -v[26:27]
	s_delay_alu instid0(VALU_DEP_4) | instskip(NEXT) | instid1(VALU_DEP_4)
	v_add_f64 v[1:2], v[14:15], v[1:2]
	v_add_f64 v[3:4], v[16:17], v[4:5]
	s_delay_alu instid0(VALU_DEP_2) | instskip(NEXT) | instid1(VALU_DEP_2)
	v_add_f64 v[1:2], v[1:2], v[6:7]
	v_add_f64 v[3:4], v[3:4], v[8:9]
	s_waitcnt vmcnt(0)
	s_delay_alu instid0(VALU_DEP_2) | instskip(NEXT) | instid1(VALU_DEP_2)
	v_add_f64 v[1:2], v[10:11], -v[1:2]
	v_add_f64 v[3:4], v[12:13], -v[3:4]
	scratch_store_b128 off, v[1:4], off offset:800
	v_cmpx_lt_u32_e32 49, v169
	s_cbranch_execz .LBB124_293
; %bb.292:
	scratch_load_b128 v[1:4], v213, off
	v_mov_b32_e32 v5, 0
	s_delay_alu instid0(VALU_DEP_1)
	v_mov_b32_e32 v6, v5
	v_mov_b32_e32 v7, v5
	;; [unrolled: 1-line block ×3, first 2 shown]
	scratch_store_b128 off, v[5:8], off offset:784
	s_waitcnt vmcnt(0)
	ds_store_b128 v229, v[1:4]
.LBB124_293:
	s_or_b32 exec_lo, exec_lo, s2
	s_waitcnt lgkmcnt(0)
	s_waitcnt_vscnt null, 0x0
	s_barrier
	buffer_gl0_inv
	s_clause 0x7
	scratch_load_b128 v[2:5], off, off offset:800
	scratch_load_b128 v[6:9], off, off offset:816
	;; [unrolled: 1-line block ×8, first 2 shown]
	v_mov_b32_e32 v1, 0
	s_clause 0x1
	scratch_load_b128 v[38:41], off, off offset:928
	scratch_load_b128 v[57:60], off, off offset:944
	s_mov_b32 s2, exec_lo
	ds_load_b128 v[34:37], v1 offset:1776
	ds_load_b128 v[42:45], v1 offset:1792
	s_waitcnt vmcnt(9) lgkmcnt(1)
	v_mul_f64 v[61:62], v[36:37], v[4:5]
	v_mul_f64 v[4:5], v[34:35], v[4:5]
	s_waitcnt vmcnt(8) lgkmcnt(0)
	v_mul_f64 v[63:64], v[42:43], v[8:9]
	v_mul_f64 v[8:9], v[44:45], v[8:9]
	s_delay_alu instid0(VALU_DEP_4) | instskip(NEXT) | instid1(VALU_DEP_4)
	v_fma_f64 v[61:62], v[34:35], v[2:3], -v[61:62]
	v_fma_f64 v[65:66], v[36:37], v[2:3], v[4:5]
	ds_load_b128 v[2:5], v1 offset:1808
	scratch_load_b128 v[34:37], off, off offset:960
	v_fma_f64 v[44:45], v[44:45], v[6:7], v[63:64]
	v_fma_f64 v[42:43], v[42:43], v[6:7], -v[8:9]
	ds_load_b128 v[6:9], v1 offset:1824
	s_waitcnt vmcnt(8) lgkmcnt(1)
	v_mul_f64 v[67:68], v[2:3], v[12:13]
	v_mul_f64 v[12:13], v[4:5], v[12:13]
	v_add_f64 v[61:62], v[61:62], 0
	v_add_f64 v[63:64], v[65:66], 0
	s_waitcnt vmcnt(7) lgkmcnt(0)
	v_mul_f64 v[65:66], v[6:7], v[16:17]
	v_mul_f64 v[16:17], v[8:9], v[16:17]
	v_fma_f64 v[67:68], v[4:5], v[10:11], v[67:68]
	v_fma_f64 v[10:11], v[2:3], v[10:11], -v[12:13]
	ds_load_b128 v[2:5], v1 offset:1840
	v_add_f64 v[12:13], v[61:62], v[42:43]
	v_add_f64 v[42:43], v[63:64], v[44:45]
	v_fma_f64 v[61:62], v[8:9], v[14:15], v[65:66]
	v_fma_f64 v[14:15], v[6:7], v[14:15], -v[16:17]
	ds_load_b128 v[6:9], v1 offset:1856
	s_waitcnt vmcnt(6) lgkmcnt(1)
	v_mul_f64 v[44:45], v[2:3], v[20:21]
	v_mul_f64 v[20:21], v[4:5], v[20:21]
	s_waitcnt vmcnt(5) lgkmcnt(0)
	v_mul_f64 v[63:64], v[6:7], v[24:25]
	v_mul_f64 v[24:25], v[8:9], v[24:25]
	v_add_f64 v[16:17], v[12:13], v[10:11]
	v_add_f64 v[42:43], v[42:43], v[67:68]
	scratch_load_b128 v[10:13], off, off offset:784
	v_fma_f64 v[44:45], v[4:5], v[18:19], v[44:45]
	v_fma_f64 v[18:19], v[2:3], v[18:19], -v[20:21]
	ds_load_b128 v[2:5], v1 offset:1872
	v_add_f64 v[14:15], v[16:17], v[14:15]
	v_add_f64 v[16:17], v[42:43], v[61:62]
	v_fma_f64 v[42:43], v[8:9], v[22:23], v[63:64]
	v_fma_f64 v[22:23], v[6:7], v[22:23], -v[24:25]
	ds_load_b128 v[6:9], v1 offset:1888
	s_waitcnt vmcnt(5) lgkmcnt(1)
	v_mul_f64 v[20:21], v[2:3], v[28:29]
	v_mul_f64 v[28:29], v[4:5], v[28:29]
	s_waitcnt vmcnt(4) lgkmcnt(0)
	v_mul_f64 v[24:25], v[8:9], v[32:33]
	v_add_f64 v[14:15], v[14:15], v[18:19]
	v_add_f64 v[16:17], v[16:17], v[44:45]
	v_mul_f64 v[18:19], v[6:7], v[32:33]
	v_fma_f64 v[20:21], v[4:5], v[26:27], v[20:21]
	v_fma_f64 v[26:27], v[2:3], v[26:27], -v[28:29]
	ds_load_b128 v[2:5], v1 offset:1904
	v_fma_f64 v[24:25], v[6:7], v[30:31], -v[24:25]
	v_add_f64 v[14:15], v[14:15], v[22:23]
	v_add_f64 v[16:17], v[16:17], v[42:43]
	v_fma_f64 v[18:19], v[8:9], v[30:31], v[18:19]
	ds_load_b128 v[6:9], v1 offset:1920
	s_waitcnt vmcnt(3) lgkmcnt(1)
	v_mul_f64 v[22:23], v[2:3], v[40:41]
	v_mul_f64 v[28:29], v[4:5], v[40:41]
	v_add_f64 v[14:15], v[14:15], v[26:27]
	v_add_f64 v[16:17], v[16:17], v[20:21]
	s_waitcnt vmcnt(2) lgkmcnt(0)
	v_mul_f64 v[20:21], v[6:7], v[59:60]
	v_mul_f64 v[26:27], v[8:9], v[59:60]
	v_fma_f64 v[22:23], v[4:5], v[38:39], v[22:23]
	v_fma_f64 v[28:29], v[2:3], v[38:39], -v[28:29]
	ds_load_b128 v[2:5], v1 offset:1936
	v_add_f64 v[14:15], v[14:15], v[24:25]
	v_add_f64 v[16:17], v[16:17], v[18:19]
	v_fma_f64 v[8:9], v[8:9], v[57:58], v[20:21]
	v_fma_f64 v[6:7], v[6:7], v[57:58], -v[26:27]
	s_waitcnt vmcnt(1) lgkmcnt(0)
	v_mul_f64 v[18:19], v[2:3], v[36:37]
	v_mul_f64 v[24:25], v[4:5], v[36:37]
	v_add_f64 v[14:15], v[14:15], v[28:29]
	v_add_f64 v[16:17], v[16:17], v[22:23]
	s_delay_alu instid0(VALU_DEP_4) | instskip(NEXT) | instid1(VALU_DEP_4)
	v_fma_f64 v[4:5], v[4:5], v[34:35], v[18:19]
	v_fma_f64 v[2:3], v[2:3], v[34:35], -v[24:25]
	s_delay_alu instid0(VALU_DEP_4) | instskip(NEXT) | instid1(VALU_DEP_4)
	v_add_f64 v[6:7], v[14:15], v[6:7]
	v_add_f64 v[8:9], v[16:17], v[8:9]
	s_delay_alu instid0(VALU_DEP_2) | instskip(NEXT) | instid1(VALU_DEP_2)
	v_add_f64 v[2:3], v[6:7], v[2:3]
	v_add_f64 v[4:5], v[8:9], v[4:5]
	s_waitcnt vmcnt(0)
	s_delay_alu instid0(VALU_DEP_2) | instskip(NEXT) | instid1(VALU_DEP_2)
	v_add_f64 v[2:3], v[10:11], -v[2:3]
	v_add_f64 v[4:5], v[12:13], -v[4:5]
	scratch_store_b128 off, v[2:5], off offset:784
	v_cmpx_lt_u32_e32 48, v169
	s_cbranch_execz .LBB124_295
; %bb.294:
	scratch_load_b128 v[5:8], v253, off
	v_mov_b32_e32 v2, v1
	v_mov_b32_e32 v3, v1
	;; [unrolled: 1-line block ×3, first 2 shown]
	scratch_store_b128 off, v[1:4], off offset:768
	s_waitcnt vmcnt(0)
	ds_store_b128 v229, v[5:8]
.LBB124_295:
	s_or_b32 exec_lo, exec_lo, s2
	s_waitcnt lgkmcnt(0)
	s_waitcnt_vscnt null, 0x0
	s_barrier
	buffer_gl0_inv
	s_clause 0x8
	scratch_load_b128 v[2:5], off, off offset:784
	scratch_load_b128 v[6:9], off, off offset:800
	;; [unrolled: 1-line block ×9, first 2 shown]
	ds_load_b128 v[38:41], v1 offset:1760
	ds_load_b128 v[42:45], v1 offset:1776
	s_clause 0x1
	scratch_load_b128 v[57:60], off, off offset:768
	scratch_load_b128 v[61:64], off, off offset:928
	s_mov_b32 s2, exec_lo
	s_waitcnt vmcnt(10) lgkmcnt(1)
	v_mul_f64 v[65:66], v[40:41], v[4:5]
	v_mul_f64 v[4:5], v[38:39], v[4:5]
	s_waitcnt vmcnt(9) lgkmcnt(0)
	v_mul_f64 v[69:70], v[42:43], v[8:9]
	v_mul_f64 v[8:9], v[44:45], v[8:9]
	s_delay_alu instid0(VALU_DEP_4) | instskip(NEXT) | instid1(VALU_DEP_4)
	v_fma_f64 v[91:92], v[38:39], v[2:3], -v[65:66]
	v_fma_f64 v[170:171], v[40:41], v[2:3], v[4:5]
	ds_load_b128 v[2:5], v1 offset:1792
	ds_load_b128 v[65:68], v1 offset:1808
	scratch_load_b128 v[38:41], off, off offset:944
	v_fma_f64 v[44:45], v[44:45], v[6:7], v[69:70]
	v_fma_f64 v[42:43], v[42:43], v[6:7], -v[8:9]
	scratch_load_b128 v[6:9], off, off offset:960
	s_waitcnt vmcnt(10) lgkmcnt(1)
	v_mul_f64 v[172:173], v[2:3], v[12:13]
	v_mul_f64 v[12:13], v[4:5], v[12:13]
	v_add_f64 v[69:70], v[91:92], 0
	v_add_f64 v[91:92], v[170:171], 0
	s_waitcnt vmcnt(9) lgkmcnt(0)
	v_mul_f64 v[170:171], v[65:66], v[16:17]
	v_mul_f64 v[16:17], v[67:68], v[16:17]
	v_fma_f64 v[172:173], v[4:5], v[10:11], v[172:173]
	v_fma_f64 v[174:175], v[2:3], v[10:11], -v[12:13]
	ds_load_b128 v[2:5], v1 offset:1824
	ds_load_b128 v[10:13], v1 offset:1840
	v_add_f64 v[42:43], v[69:70], v[42:43]
	v_add_f64 v[44:45], v[91:92], v[44:45]
	v_fma_f64 v[67:68], v[67:68], v[14:15], v[170:171]
	v_fma_f64 v[14:15], v[65:66], v[14:15], -v[16:17]
	s_waitcnt vmcnt(8) lgkmcnt(1)
	v_mul_f64 v[69:70], v[2:3], v[20:21]
	v_mul_f64 v[20:21], v[4:5], v[20:21]
	v_add_f64 v[16:17], v[42:43], v[174:175]
	v_add_f64 v[42:43], v[44:45], v[172:173]
	s_waitcnt vmcnt(7) lgkmcnt(0)
	v_mul_f64 v[44:45], v[10:11], v[24:25]
	v_mul_f64 v[24:25], v[12:13], v[24:25]
	v_fma_f64 v[65:66], v[4:5], v[18:19], v[69:70]
	v_fma_f64 v[18:19], v[2:3], v[18:19], -v[20:21]
	v_add_f64 v[20:21], v[16:17], v[14:15]
	v_add_f64 v[42:43], v[42:43], v[67:68]
	ds_load_b128 v[2:5], v1 offset:1856
	ds_load_b128 v[14:17], v1 offset:1872
	v_fma_f64 v[12:13], v[12:13], v[22:23], v[44:45]
	v_fma_f64 v[10:11], v[10:11], v[22:23], -v[24:25]
	s_waitcnt vmcnt(6) lgkmcnt(1)
	v_mul_f64 v[67:68], v[2:3], v[28:29]
	v_mul_f64 v[28:29], v[4:5], v[28:29]
	s_waitcnt vmcnt(5) lgkmcnt(0)
	v_mul_f64 v[22:23], v[14:15], v[32:33]
	v_mul_f64 v[24:25], v[16:17], v[32:33]
	v_add_f64 v[18:19], v[20:21], v[18:19]
	v_add_f64 v[20:21], v[42:43], v[65:66]
	v_fma_f64 v[32:33], v[4:5], v[26:27], v[67:68]
	v_fma_f64 v[26:27], v[2:3], v[26:27], -v[28:29]
	v_fma_f64 v[16:17], v[16:17], v[30:31], v[22:23]
	v_fma_f64 v[14:15], v[14:15], v[30:31], -v[24:25]
	v_add_f64 v[18:19], v[18:19], v[10:11]
	v_add_f64 v[20:21], v[20:21], v[12:13]
	ds_load_b128 v[2:5], v1 offset:1888
	ds_load_b128 v[10:13], v1 offset:1904
	s_waitcnt vmcnt(4) lgkmcnt(1)
	v_mul_f64 v[28:29], v[2:3], v[36:37]
	v_mul_f64 v[36:37], v[4:5], v[36:37]
	s_waitcnt vmcnt(2) lgkmcnt(0)
	v_mul_f64 v[22:23], v[10:11], v[63:64]
	v_mul_f64 v[24:25], v[12:13], v[63:64]
	v_add_f64 v[18:19], v[18:19], v[26:27]
	v_add_f64 v[20:21], v[20:21], v[32:33]
	v_fma_f64 v[26:27], v[4:5], v[34:35], v[28:29]
	v_fma_f64 v[28:29], v[2:3], v[34:35], -v[36:37]
	v_fma_f64 v[12:13], v[12:13], v[61:62], v[22:23]
	v_fma_f64 v[10:11], v[10:11], v[61:62], -v[24:25]
	v_add_f64 v[18:19], v[18:19], v[14:15]
	v_add_f64 v[20:21], v[20:21], v[16:17]
	ds_load_b128 v[2:5], v1 offset:1920
	ds_load_b128 v[14:17], v1 offset:1936
	s_waitcnt vmcnt(1) lgkmcnt(1)
	v_mul_f64 v[30:31], v[2:3], v[40:41]
	v_mul_f64 v[32:33], v[4:5], v[40:41]
	s_waitcnt vmcnt(0) lgkmcnt(0)
	v_mul_f64 v[22:23], v[14:15], v[8:9]
	v_mul_f64 v[8:9], v[16:17], v[8:9]
	v_add_f64 v[18:19], v[18:19], v[28:29]
	v_add_f64 v[20:21], v[20:21], v[26:27]
	v_fma_f64 v[4:5], v[4:5], v[38:39], v[30:31]
	v_fma_f64 v[1:2], v[2:3], v[38:39], -v[32:33]
	v_fma_f64 v[16:17], v[16:17], v[6:7], v[22:23]
	v_fma_f64 v[6:7], v[14:15], v[6:7], -v[8:9]
	v_add_f64 v[10:11], v[18:19], v[10:11]
	v_add_f64 v[12:13], v[20:21], v[12:13]
	s_delay_alu instid0(VALU_DEP_2) | instskip(NEXT) | instid1(VALU_DEP_2)
	v_add_f64 v[1:2], v[10:11], v[1:2]
	v_add_f64 v[3:4], v[12:13], v[4:5]
	s_delay_alu instid0(VALU_DEP_2) | instskip(NEXT) | instid1(VALU_DEP_2)
	;; [unrolled: 3-line block ×3, first 2 shown]
	v_add_f64 v[1:2], v[57:58], -v[1:2]
	v_add_f64 v[3:4], v[59:60], -v[3:4]
	scratch_store_b128 off, v[1:4], off offset:768
	v_cmpx_lt_u32_e32 47, v169
	s_cbranch_execz .LBB124_297
; %bb.296:
	scratch_load_b128 v[1:4], v186, off
	v_mov_b32_e32 v5, 0
	s_delay_alu instid0(VALU_DEP_1)
	v_mov_b32_e32 v6, v5
	v_mov_b32_e32 v7, v5
	;; [unrolled: 1-line block ×3, first 2 shown]
	scratch_store_b128 off, v[5:8], off offset:752
	s_waitcnt vmcnt(0)
	ds_store_b128 v229, v[1:4]
.LBB124_297:
	s_or_b32 exec_lo, exec_lo, s2
	s_waitcnt lgkmcnt(0)
	s_waitcnt_vscnt null, 0x0
	s_barrier
	buffer_gl0_inv
	s_clause 0x7
	scratch_load_b128 v[2:5], off, off offset:768
	scratch_load_b128 v[6:9], off, off offset:784
	;; [unrolled: 1-line block ×8, first 2 shown]
	v_mov_b32_e32 v1, 0
	s_mov_b32 s2, exec_lo
	ds_load_b128 v[34:37], v1 offset:1744
	s_clause 0x1
	scratch_load_b128 v[38:41], off, off offset:896
	scratch_load_b128 v[42:45], off, off offset:752
	ds_load_b128 v[57:60], v1 offset:1760
	scratch_load_b128 v[61:64], off, off offset:912
	s_waitcnt vmcnt(10) lgkmcnt(1)
	v_mul_f64 v[65:66], v[36:37], v[4:5]
	v_mul_f64 v[4:5], v[34:35], v[4:5]
	s_delay_alu instid0(VALU_DEP_2) | instskip(NEXT) | instid1(VALU_DEP_2)
	v_fma_f64 v[91:92], v[34:35], v[2:3], -v[65:66]
	v_fma_f64 v[170:171], v[36:37], v[2:3], v[4:5]
	scratch_load_b128 v[34:37], off, off offset:928
	ds_load_b128 v[2:5], v1 offset:1776
	s_waitcnt vmcnt(10) lgkmcnt(1)
	v_mul_f64 v[69:70], v[57:58], v[8:9]
	v_mul_f64 v[8:9], v[59:60], v[8:9]
	ds_load_b128 v[65:68], v1 offset:1792
	s_waitcnt vmcnt(9) lgkmcnt(1)
	v_mul_f64 v[172:173], v[2:3], v[12:13]
	v_mul_f64 v[12:13], v[4:5], v[12:13]
	v_fma_f64 v[59:60], v[59:60], v[6:7], v[69:70]
	v_fma_f64 v[57:58], v[57:58], v[6:7], -v[8:9]
	v_add_f64 v[69:70], v[91:92], 0
	v_add_f64 v[91:92], v[170:171], 0
	scratch_load_b128 v[6:9], off, off offset:944
	v_fma_f64 v[172:173], v[4:5], v[10:11], v[172:173]
	v_fma_f64 v[174:175], v[2:3], v[10:11], -v[12:13]
	scratch_load_b128 v[10:13], off, off offset:960
	ds_load_b128 v[2:5], v1 offset:1808
	s_waitcnt vmcnt(10) lgkmcnt(1)
	v_mul_f64 v[170:171], v[65:66], v[16:17]
	v_mul_f64 v[16:17], v[67:68], v[16:17]
	v_add_f64 v[69:70], v[69:70], v[57:58]
	v_add_f64 v[91:92], v[91:92], v[59:60]
	s_waitcnt vmcnt(9) lgkmcnt(0)
	v_mul_f64 v[176:177], v[2:3], v[20:21]
	v_mul_f64 v[20:21], v[4:5], v[20:21]
	ds_load_b128 v[57:60], v1 offset:1824
	v_fma_f64 v[67:68], v[67:68], v[14:15], v[170:171]
	v_fma_f64 v[14:15], v[65:66], v[14:15], -v[16:17]
	v_add_f64 v[16:17], v[69:70], v[174:175]
	v_add_f64 v[65:66], v[91:92], v[172:173]
	s_waitcnt vmcnt(8) lgkmcnt(0)
	v_mul_f64 v[69:70], v[57:58], v[24:25]
	v_mul_f64 v[24:25], v[59:60], v[24:25]
	v_fma_f64 v[91:92], v[4:5], v[18:19], v[176:177]
	v_fma_f64 v[18:19], v[2:3], v[18:19], -v[20:21]
	v_add_f64 v[20:21], v[16:17], v[14:15]
	v_add_f64 v[65:66], v[65:66], v[67:68]
	ds_load_b128 v[2:5], v1 offset:1840
	ds_load_b128 v[14:17], v1 offset:1856
	v_fma_f64 v[59:60], v[59:60], v[22:23], v[69:70]
	v_fma_f64 v[22:23], v[57:58], v[22:23], -v[24:25]
	s_waitcnt vmcnt(7) lgkmcnt(1)
	v_mul_f64 v[67:68], v[2:3], v[28:29]
	v_mul_f64 v[28:29], v[4:5], v[28:29]
	s_waitcnt vmcnt(6) lgkmcnt(0)
	v_mul_f64 v[24:25], v[14:15], v[32:33]
	v_mul_f64 v[32:33], v[16:17], v[32:33]
	v_add_f64 v[18:19], v[20:21], v[18:19]
	v_add_f64 v[20:21], v[65:66], v[91:92]
	v_fma_f64 v[57:58], v[4:5], v[26:27], v[67:68]
	v_fma_f64 v[26:27], v[2:3], v[26:27], -v[28:29]
	v_fma_f64 v[16:17], v[16:17], v[30:31], v[24:25]
	v_fma_f64 v[14:15], v[14:15], v[30:31], -v[32:33]
	v_add_f64 v[22:23], v[18:19], v[22:23]
	v_add_f64 v[28:29], v[20:21], v[59:60]
	ds_load_b128 v[2:5], v1 offset:1872
	ds_load_b128 v[18:21], v1 offset:1888
	s_waitcnt vmcnt(5) lgkmcnt(1)
	v_mul_f64 v[59:60], v[2:3], v[40:41]
	v_mul_f64 v[40:41], v[4:5], v[40:41]
	v_add_f64 v[22:23], v[22:23], v[26:27]
	v_add_f64 v[24:25], v[28:29], v[57:58]
	s_waitcnt vmcnt(3) lgkmcnt(0)
	v_mul_f64 v[26:27], v[18:19], v[63:64]
	v_mul_f64 v[28:29], v[20:21], v[63:64]
	v_fma_f64 v[30:31], v[4:5], v[38:39], v[59:60]
	v_fma_f64 v[32:33], v[2:3], v[38:39], -v[40:41]
	v_add_f64 v[22:23], v[22:23], v[14:15]
	v_add_f64 v[24:25], v[24:25], v[16:17]
	ds_load_b128 v[2:5], v1 offset:1904
	ds_load_b128 v[14:17], v1 offset:1920
	v_fma_f64 v[20:21], v[20:21], v[61:62], v[26:27]
	v_fma_f64 v[18:19], v[18:19], v[61:62], -v[28:29]
	s_waitcnt vmcnt(2) lgkmcnt(1)
	v_mul_f64 v[38:39], v[2:3], v[36:37]
	v_mul_f64 v[36:37], v[4:5], v[36:37]
	v_add_f64 v[22:23], v[22:23], v[32:33]
	v_add_f64 v[24:25], v[24:25], v[30:31]
	s_waitcnt vmcnt(1) lgkmcnt(0)
	v_mul_f64 v[26:27], v[14:15], v[8:9]
	v_mul_f64 v[8:9], v[16:17], v[8:9]
	v_fma_f64 v[28:29], v[4:5], v[34:35], v[38:39]
	v_fma_f64 v[30:31], v[2:3], v[34:35], -v[36:37]
	ds_load_b128 v[2:5], v1 offset:1936
	v_add_f64 v[18:19], v[22:23], v[18:19]
	v_add_f64 v[20:21], v[24:25], v[20:21]
	s_waitcnt vmcnt(0) lgkmcnt(0)
	v_mul_f64 v[22:23], v[2:3], v[12:13]
	v_mul_f64 v[12:13], v[4:5], v[12:13]
	v_fma_f64 v[16:17], v[16:17], v[6:7], v[26:27]
	v_fma_f64 v[6:7], v[14:15], v[6:7], -v[8:9]
	v_add_f64 v[8:9], v[18:19], v[30:31]
	v_add_f64 v[14:15], v[20:21], v[28:29]
	v_fma_f64 v[4:5], v[4:5], v[10:11], v[22:23]
	v_fma_f64 v[2:3], v[2:3], v[10:11], -v[12:13]
	s_delay_alu instid0(VALU_DEP_4) | instskip(NEXT) | instid1(VALU_DEP_4)
	v_add_f64 v[6:7], v[8:9], v[6:7]
	v_add_f64 v[8:9], v[14:15], v[16:17]
	s_delay_alu instid0(VALU_DEP_2) | instskip(NEXT) | instid1(VALU_DEP_2)
	v_add_f64 v[2:3], v[6:7], v[2:3]
	v_add_f64 v[4:5], v[8:9], v[4:5]
	s_delay_alu instid0(VALU_DEP_2) | instskip(NEXT) | instid1(VALU_DEP_2)
	v_add_f64 v[2:3], v[42:43], -v[2:3]
	v_add_f64 v[4:5], v[44:45], -v[4:5]
	scratch_store_b128 off, v[2:5], off offset:752
	v_cmpx_lt_u32_e32 46, v169
	s_cbranch_execz .LBB124_299
; %bb.298:
	scratch_load_b128 v[5:8], v252, off
	v_mov_b32_e32 v2, v1
	v_mov_b32_e32 v3, v1
	v_mov_b32_e32 v4, v1
	scratch_store_b128 off, v[1:4], off offset:736
	s_waitcnt vmcnt(0)
	ds_store_b128 v229, v[5:8]
.LBB124_299:
	s_or_b32 exec_lo, exec_lo, s2
	s_waitcnt lgkmcnt(0)
	s_waitcnt_vscnt null, 0x0
	s_barrier
	buffer_gl0_inv
	s_clause 0x8
	scratch_load_b128 v[2:5], off, off offset:752
	scratch_load_b128 v[6:9], off, off offset:768
	scratch_load_b128 v[10:13], off, off offset:784
	scratch_load_b128 v[14:17], off, off offset:800
	scratch_load_b128 v[18:21], off, off offset:816
	scratch_load_b128 v[22:25], off, off offset:832
	scratch_load_b128 v[26:29], off, off offset:848
	scratch_load_b128 v[30:33], off, off offset:864
	scratch_load_b128 v[34:37], off, off offset:880
	ds_load_b128 v[38:41], v1 offset:1728
	ds_load_b128 v[42:45], v1 offset:1744
	s_clause 0x1
	scratch_load_b128 v[57:60], off, off offset:736
	scratch_load_b128 v[61:64], off, off offset:896
	s_mov_b32 s2, exec_lo
	s_waitcnt vmcnt(10) lgkmcnt(1)
	v_mul_f64 v[65:66], v[40:41], v[4:5]
	v_mul_f64 v[4:5], v[38:39], v[4:5]
	s_waitcnt vmcnt(9) lgkmcnt(0)
	v_mul_f64 v[69:70], v[42:43], v[8:9]
	v_mul_f64 v[8:9], v[44:45], v[8:9]
	s_delay_alu instid0(VALU_DEP_4) | instskip(NEXT) | instid1(VALU_DEP_4)
	v_fma_f64 v[91:92], v[38:39], v[2:3], -v[65:66]
	v_fma_f64 v[170:171], v[40:41], v[2:3], v[4:5]
	ds_load_b128 v[2:5], v1 offset:1760
	ds_load_b128 v[65:68], v1 offset:1776
	scratch_load_b128 v[38:41], off, off offset:912
	v_fma_f64 v[44:45], v[44:45], v[6:7], v[69:70]
	v_fma_f64 v[42:43], v[42:43], v[6:7], -v[8:9]
	scratch_load_b128 v[6:9], off, off offset:928
	s_waitcnt vmcnt(10) lgkmcnt(1)
	v_mul_f64 v[172:173], v[2:3], v[12:13]
	v_mul_f64 v[12:13], v[4:5], v[12:13]
	v_add_f64 v[69:70], v[91:92], 0
	v_add_f64 v[91:92], v[170:171], 0
	s_waitcnt vmcnt(9) lgkmcnt(0)
	v_mul_f64 v[170:171], v[65:66], v[16:17]
	v_mul_f64 v[16:17], v[67:68], v[16:17]
	v_fma_f64 v[172:173], v[4:5], v[10:11], v[172:173]
	v_fma_f64 v[174:175], v[2:3], v[10:11], -v[12:13]
	ds_load_b128 v[2:5], v1 offset:1792
	scratch_load_b128 v[10:13], off, off offset:944
	v_add_f64 v[69:70], v[69:70], v[42:43]
	v_add_f64 v[91:92], v[91:92], v[44:45]
	ds_load_b128 v[42:45], v1 offset:1808
	v_fma_f64 v[67:68], v[67:68], v[14:15], v[170:171]
	v_fma_f64 v[65:66], v[65:66], v[14:15], -v[16:17]
	scratch_load_b128 v[14:17], off, off offset:960
	s_waitcnt vmcnt(10) lgkmcnt(1)
	v_mul_f64 v[176:177], v[2:3], v[20:21]
	v_mul_f64 v[20:21], v[4:5], v[20:21]
	s_waitcnt vmcnt(9) lgkmcnt(0)
	v_mul_f64 v[170:171], v[42:43], v[24:25]
	v_mul_f64 v[24:25], v[44:45], v[24:25]
	v_add_f64 v[69:70], v[69:70], v[174:175]
	v_add_f64 v[91:92], v[91:92], v[172:173]
	v_fma_f64 v[172:173], v[4:5], v[18:19], v[176:177]
	v_fma_f64 v[174:175], v[2:3], v[18:19], -v[20:21]
	ds_load_b128 v[2:5], v1 offset:1824
	ds_load_b128 v[18:21], v1 offset:1840
	v_fma_f64 v[44:45], v[44:45], v[22:23], v[170:171]
	v_fma_f64 v[22:23], v[42:43], v[22:23], -v[24:25]
	v_add_f64 v[65:66], v[69:70], v[65:66]
	v_add_f64 v[67:68], v[91:92], v[67:68]
	s_waitcnt vmcnt(8) lgkmcnt(1)
	v_mul_f64 v[69:70], v[2:3], v[28:29]
	v_mul_f64 v[28:29], v[4:5], v[28:29]
	s_delay_alu instid0(VALU_DEP_4) | instskip(NEXT) | instid1(VALU_DEP_4)
	v_add_f64 v[24:25], v[65:66], v[174:175]
	v_add_f64 v[42:43], v[67:68], v[172:173]
	s_waitcnt vmcnt(7) lgkmcnt(0)
	v_mul_f64 v[65:66], v[18:19], v[32:33]
	v_mul_f64 v[32:33], v[20:21], v[32:33]
	v_fma_f64 v[67:68], v[4:5], v[26:27], v[69:70]
	v_fma_f64 v[26:27], v[2:3], v[26:27], -v[28:29]
	v_add_f64 v[28:29], v[24:25], v[22:23]
	v_add_f64 v[42:43], v[42:43], v[44:45]
	ds_load_b128 v[2:5], v1 offset:1856
	ds_load_b128 v[22:25], v1 offset:1872
	v_fma_f64 v[20:21], v[20:21], v[30:31], v[65:66]
	v_fma_f64 v[18:19], v[18:19], v[30:31], -v[32:33]
	s_waitcnt vmcnt(6) lgkmcnt(1)
	v_mul_f64 v[44:45], v[2:3], v[36:37]
	v_mul_f64 v[36:37], v[4:5], v[36:37]
	s_waitcnt vmcnt(4) lgkmcnt(0)
	v_mul_f64 v[30:31], v[22:23], v[63:64]
	v_mul_f64 v[32:33], v[24:25], v[63:64]
	v_add_f64 v[26:27], v[28:29], v[26:27]
	v_add_f64 v[28:29], v[42:43], v[67:68]
	v_fma_f64 v[42:43], v[4:5], v[34:35], v[44:45]
	v_fma_f64 v[34:35], v[2:3], v[34:35], -v[36:37]
	v_fma_f64 v[24:25], v[24:25], v[61:62], v[30:31]
	v_fma_f64 v[22:23], v[22:23], v[61:62], -v[32:33]
	v_add_f64 v[26:27], v[26:27], v[18:19]
	v_add_f64 v[28:29], v[28:29], v[20:21]
	ds_load_b128 v[2:5], v1 offset:1888
	ds_load_b128 v[18:21], v1 offset:1904
	s_waitcnt vmcnt(3) lgkmcnt(1)
	v_mul_f64 v[36:37], v[2:3], v[40:41]
	v_mul_f64 v[40:41], v[4:5], v[40:41]
	s_waitcnt vmcnt(2) lgkmcnt(0)
	v_mul_f64 v[30:31], v[18:19], v[8:9]
	v_mul_f64 v[8:9], v[20:21], v[8:9]
	v_add_f64 v[26:27], v[26:27], v[34:35]
	v_add_f64 v[28:29], v[28:29], v[42:43]
	v_fma_f64 v[32:33], v[4:5], v[38:39], v[36:37]
	v_fma_f64 v[34:35], v[2:3], v[38:39], -v[40:41]
	v_fma_f64 v[20:21], v[20:21], v[6:7], v[30:31]
	v_fma_f64 v[6:7], v[18:19], v[6:7], -v[8:9]
	v_add_f64 v[26:27], v[26:27], v[22:23]
	v_add_f64 v[28:29], v[28:29], v[24:25]
	ds_load_b128 v[2:5], v1 offset:1920
	ds_load_b128 v[22:25], v1 offset:1936
	s_waitcnt vmcnt(1) lgkmcnt(1)
	v_mul_f64 v[36:37], v[2:3], v[12:13]
	v_mul_f64 v[12:13], v[4:5], v[12:13]
	v_add_f64 v[8:9], v[26:27], v[34:35]
	v_add_f64 v[18:19], v[28:29], v[32:33]
	s_waitcnt vmcnt(0) lgkmcnt(0)
	v_mul_f64 v[26:27], v[22:23], v[16:17]
	v_mul_f64 v[16:17], v[24:25], v[16:17]
	v_fma_f64 v[4:5], v[4:5], v[10:11], v[36:37]
	v_fma_f64 v[1:2], v[2:3], v[10:11], -v[12:13]
	v_add_f64 v[6:7], v[8:9], v[6:7]
	v_add_f64 v[8:9], v[18:19], v[20:21]
	v_fma_f64 v[10:11], v[24:25], v[14:15], v[26:27]
	v_fma_f64 v[12:13], v[22:23], v[14:15], -v[16:17]
	s_delay_alu instid0(VALU_DEP_4) | instskip(NEXT) | instid1(VALU_DEP_4)
	v_add_f64 v[1:2], v[6:7], v[1:2]
	v_add_f64 v[3:4], v[8:9], v[4:5]
	s_delay_alu instid0(VALU_DEP_2) | instskip(NEXT) | instid1(VALU_DEP_2)
	v_add_f64 v[1:2], v[1:2], v[12:13]
	v_add_f64 v[3:4], v[3:4], v[10:11]
	s_delay_alu instid0(VALU_DEP_2) | instskip(NEXT) | instid1(VALU_DEP_2)
	v_add_f64 v[1:2], v[57:58], -v[1:2]
	v_add_f64 v[3:4], v[59:60], -v[3:4]
	scratch_store_b128 off, v[1:4], off offset:736
	v_cmpx_lt_u32_e32 45, v169
	s_cbranch_execz .LBB124_301
; %bb.300:
	scratch_load_b128 v[1:4], v187, off
	v_mov_b32_e32 v5, 0
	s_delay_alu instid0(VALU_DEP_1)
	v_mov_b32_e32 v6, v5
	v_mov_b32_e32 v7, v5
	;; [unrolled: 1-line block ×3, first 2 shown]
	scratch_store_b128 off, v[5:8], off offset:720
	s_waitcnt vmcnt(0)
	ds_store_b128 v229, v[1:4]
.LBB124_301:
	s_or_b32 exec_lo, exec_lo, s2
	s_waitcnt lgkmcnt(0)
	s_waitcnt_vscnt null, 0x0
	s_barrier
	buffer_gl0_inv
	s_clause 0x7
	scratch_load_b128 v[2:5], off, off offset:736
	scratch_load_b128 v[6:9], off, off offset:752
	;; [unrolled: 1-line block ×8, first 2 shown]
	v_mov_b32_e32 v1, 0
	s_mov_b32 s2, exec_lo
	ds_load_b128 v[34:37], v1 offset:1712
	s_clause 0x1
	scratch_load_b128 v[38:41], off, off offset:864
	scratch_load_b128 v[42:45], off, off offset:720
	ds_load_b128 v[57:60], v1 offset:1728
	scratch_load_b128 v[61:64], off, off offset:880
	s_waitcnt vmcnt(10) lgkmcnt(1)
	v_mul_f64 v[65:66], v[36:37], v[4:5]
	v_mul_f64 v[4:5], v[34:35], v[4:5]
	s_delay_alu instid0(VALU_DEP_2) | instskip(NEXT) | instid1(VALU_DEP_2)
	v_fma_f64 v[91:92], v[34:35], v[2:3], -v[65:66]
	v_fma_f64 v[170:171], v[36:37], v[2:3], v[4:5]
	scratch_load_b128 v[34:37], off, off offset:896
	ds_load_b128 v[2:5], v1 offset:1744
	s_waitcnt vmcnt(10) lgkmcnt(1)
	v_mul_f64 v[69:70], v[57:58], v[8:9]
	v_mul_f64 v[8:9], v[59:60], v[8:9]
	ds_load_b128 v[65:68], v1 offset:1760
	s_waitcnt vmcnt(9) lgkmcnt(1)
	v_mul_f64 v[172:173], v[2:3], v[12:13]
	v_mul_f64 v[12:13], v[4:5], v[12:13]
	v_fma_f64 v[59:60], v[59:60], v[6:7], v[69:70]
	v_fma_f64 v[57:58], v[57:58], v[6:7], -v[8:9]
	v_add_f64 v[69:70], v[91:92], 0
	v_add_f64 v[91:92], v[170:171], 0
	scratch_load_b128 v[6:9], off, off offset:912
	v_fma_f64 v[172:173], v[4:5], v[10:11], v[172:173]
	v_fma_f64 v[174:175], v[2:3], v[10:11], -v[12:13]
	scratch_load_b128 v[10:13], off, off offset:928
	ds_load_b128 v[2:5], v1 offset:1776
	s_waitcnt vmcnt(10) lgkmcnt(1)
	v_mul_f64 v[170:171], v[65:66], v[16:17]
	v_mul_f64 v[16:17], v[67:68], v[16:17]
	v_add_f64 v[69:70], v[69:70], v[57:58]
	v_add_f64 v[91:92], v[91:92], v[59:60]
	s_waitcnt vmcnt(9) lgkmcnt(0)
	v_mul_f64 v[176:177], v[2:3], v[20:21]
	v_mul_f64 v[20:21], v[4:5], v[20:21]
	ds_load_b128 v[57:60], v1 offset:1792
	v_fma_f64 v[67:68], v[67:68], v[14:15], v[170:171]
	v_fma_f64 v[65:66], v[65:66], v[14:15], -v[16:17]
	scratch_load_b128 v[14:17], off, off offset:944
	v_add_f64 v[69:70], v[69:70], v[174:175]
	v_add_f64 v[91:92], v[91:92], v[172:173]
	v_fma_f64 v[172:173], v[4:5], v[18:19], v[176:177]
	v_fma_f64 v[174:175], v[2:3], v[18:19], -v[20:21]
	scratch_load_b128 v[18:21], off, off offset:960
	ds_load_b128 v[2:5], v1 offset:1808
	s_waitcnt vmcnt(10) lgkmcnt(1)
	v_mul_f64 v[170:171], v[57:58], v[24:25]
	v_mul_f64 v[24:25], v[59:60], v[24:25]
	s_waitcnt vmcnt(9) lgkmcnt(0)
	v_mul_f64 v[176:177], v[2:3], v[28:29]
	v_mul_f64 v[28:29], v[4:5], v[28:29]
	v_add_f64 v[69:70], v[69:70], v[65:66]
	v_add_f64 v[91:92], v[91:92], v[67:68]
	ds_load_b128 v[65:68], v1 offset:1824
	v_fma_f64 v[59:60], v[59:60], v[22:23], v[170:171]
	v_fma_f64 v[22:23], v[57:58], v[22:23], -v[24:25]
	v_add_f64 v[24:25], v[69:70], v[174:175]
	v_add_f64 v[57:58], v[91:92], v[172:173]
	s_waitcnt vmcnt(8) lgkmcnt(0)
	v_mul_f64 v[69:70], v[65:66], v[32:33]
	v_mul_f64 v[32:33], v[67:68], v[32:33]
	v_fma_f64 v[91:92], v[4:5], v[26:27], v[176:177]
	v_fma_f64 v[26:27], v[2:3], v[26:27], -v[28:29]
	v_add_f64 v[28:29], v[24:25], v[22:23]
	v_add_f64 v[57:58], v[57:58], v[59:60]
	ds_load_b128 v[2:5], v1 offset:1840
	ds_load_b128 v[22:25], v1 offset:1856
	v_fma_f64 v[67:68], v[67:68], v[30:31], v[69:70]
	v_fma_f64 v[30:31], v[65:66], v[30:31], -v[32:33]
	s_waitcnt vmcnt(7) lgkmcnt(1)
	v_mul_f64 v[59:60], v[2:3], v[40:41]
	v_mul_f64 v[40:41], v[4:5], v[40:41]
	s_waitcnt vmcnt(5) lgkmcnt(0)
	v_mul_f64 v[32:33], v[22:23], v[63:64]
	v_add_f64 v[26:27], v[28:29], v[26:27]
	v_add_f64 v[28:29], v[57:58], v[91:92]
	v_mul_f64 v[57:58], v[24:25], v[63:64]
	v_fma_f64 v[59:60], v[4:5], v[38:39], v[59:60]
	v_fma_f64 v[38:39], v[2:3], v[38:39], -v[40:41]
	v_fma_f64 v[24:25], v[24:25], v[61:62], v[32:33]
	v_add_f64 v[30:31], v[26:27], v[30:31]
	v_add_f64 v[40:41], v[28:29], v[67:68]
	ds_load_b128 v[2:5], v1 offset:1872
	ds_load_b128 v[26:29], v1 offset:1888
	v_fma_f64 v[22:23], v[22:23], v[61:62], -v[57:58]
	s_waitcnt vmcnt(4) lgkmcnt(1)
	v_mul_f64 v[63:64], v[2:3], v[36:37]
	v_mul_f64 v[36:37], v[4:5], v[36:37]
	v_add_f64 v[30:31], v[30:31], v[38:39]
	v_add_f64 v[32:33], v[40:41], v[59:60]
	s_waitcnt vmcnt(3) lgkmcnt(0)
	v_mul_f64 v[38:39], v[26:27], v[8:9]
	v_mul_f64 v[8:9], v[28:29], v[8:9]
	v_fma_f64 v[40:41], v[4:5], v[34:35], v[63:64]
	v_fma_f64 v[34:35], v[2:3], v[34:35], -v[36:37]
	v_add_f64 v[30:31], v[30:31], v[22:23]
	v_add_f64 v[32:33], v[32:33], v[24:25]
	ds_load_b128 v[2:5], v1 offset:1904
	ds_load_b128 v[22:25], v1 offset:1920
	v_fma_f64 v[28:29], v[28:29], v[6:7], v[38:39]
	v_fma_f64 v[6:7], v[26:27], v[6:7], -v[8:9]
	s_waitcnt vmcnt(2) lgkmcnt(1)
	v_mul_f64 v[36:37], v[2:3], v[12:13]
	v_mul_f64 v[12:13], v[4:5], v[12:13]
	v_add_f64 v[8:9], v[30:31], v[34:35]
	v_add_f64 v[26:27], v[32:33], v[40:41]
	s_waitcnt vmcnt(1) lgkmcnt(0)
	v_mul_f64 v[30:31], v[22:23], v[16:17]
	v_mul_f64 v[16:17], v[24:25], v[16:17]
	v_fma_f64 v[32:33], v[4:5], v[10:11], v[36:37]
	v_fma_f64 v[10:11], v[2:3], v[10:11], -v[12:13]
	ds_load_b128 v[2:5], v1 offset:1936
	v_add_f64 v[6:7], v[8:9], v[6:7]
	v_add_f64 v[8:9], v[26:27], v[28:29]
	v_fma_f64 v[24:25], v[24:25], v[14:15], v[30:31]
	v_fma_f64 v[14:15], v[22:23], v[14:15], -v[16:17]
	s_waitcnt vmcnt(0) lgkmcnt(0)
	v_mul_f64 v[12:13], v[2:3], v[20:21]
	v_mul_f64 v[20:21], v[4:5], v[20:21]
	v_add_f64 v[6:7], v[6:7], v[10:11]
	v_add_f64 v[8:9], v[8:9], v[32:33]
	s_delay_alu instid0(VALU_DEP_4) | instskip(NEXT) | instid1(VALU_DEP_4)
	v_fma_f64 v[4:5], v[4:5], v[18:19], v[12:13]
	v_fma_f64 v[2:3], v[2:3], v[18:19], -v[20:21]
	s_delay_alu instid0(VALU_DEP_4) | instskip(NEXT) | instid1(VALU_DEP_4)
	v_add_f64 v[6:7], v[6:7], v[14:15]
	v_add_f64 v[8:9], v[8:9], v[24:25]
	s_delay_alu instid0(VALU_DEP_2) | instskip(NEXT) | instid1(VALU_DEP_2)
	v_add_f64 v[2:3], v[6:7], v[2:3]
	v_add_f64 v[4:5], v[8:9], v[4:5]
	s_delay_alu instid0(VALU_DEP_2) | instskip(NEXT) | instid1(VALU_DEP_2)
	v_add_f64 v[2:3], v[42:43], -v[2:3]
	v_add_f64 v[4:5], v[44:45], -v[4:5]
	scratch_store_b128 off, v[2:5], off offset:720
	v_cmpx_lt_u32_e32 44, v169
	s_cbranch_execz .LBB124_303
; %bb.302:
	scratch_load_b128 v[5:8], v204, off
	v_mov_b32_e32 v2, v1
	v_mov_b32_e32 v3, v1
	;; [unrolled: 1-line block ×3, first 2 shown]
	scratch_store_b128 off, v[1:4], off offset:704
	s_waitcnt vmcnt(0)
	ds_store_b128 v229, v[5:8]
.LBB124_303:
	s_or_b32 exec_lo, exec_lo, s2
	s_waitcnt lgkmcnt(0)
	s_waitcnt_vscnt null, 0x0
	s_barrier
	buffer_gl0_inv
	s_clause 0x8
	scratch_load_b128 v[2:5], off, off offset:720
	scratch_load_b128 v[6:9], off, off offset:736
	;; [unrolled: 1-line block ×9, first 2 shown]
	ds_load_b128 v[38:41], v1 offset:1696
	ds_load_b128 v[42:45], v1 offset:1712
	s_clause 0x1
	scratch_load_b128 v[57:60], off, off offset:704
	scratch_load_b128 v[61:64], off, off offset:864
	s_mov_b32 s2, exec_lo
	s_waitcnt vmcnt(10) lgkmcnt(1)
	v_mul_f64 v[65:66], v[40:41], v[4:5]
	v_mul_f64 v[4:5], v[38:39], v[4:5]
	s_waitcnt vmcnt(9) lgkmcnt(0)
	v_mul_f64 v[69:70], v[42:43], v[8:9]
	v_mul_f64 v[8:9], v[44:45], v[8:9]
	s_delay_alu instid0(VALU_DEP_4) | instskip(NEXT) | instid1(VALU_DEP_4)
	v_fma_f64 v[91:92], v[38:39], v[2:3], -v[65:66]
	v_fma_f64 v[170:171], v[40:41], v[2:3], v[4:5]
	ds_load_b128 v[2:5], v1 offset:1728
	ds_load_b128 v[65:68], v1 offset:1744
	scratch_load_b128 v[38:41], off, off offset:880
	v_fma_f64 v[44:45], v[44:45], v[6:7], v[69:70]
	v_fma_f64 v[42:43], v[42:43], v[6:7], -v[8:9]
	scratch_load_b128 v[6:9], off, off offset:896
	s_waitcnt vmcnt(10) lgkmcnt(1)
	v_mul_f64 v[172:173], v[2:3], v[12:13]
	v_mul_f64 v[12:13], v[4:5], v[12:13]
	v_add_f64 v[69:70], v[91:92], 0
	v_add_f64 v[91:92], v[170:171], 0
	s_waitcnt vmcnt(9) lgkmcnt(0)
	v_mul_f64 v[170:171], v[65:66], v[16:17]
	v_mul_f64 v[16:17], v[67:68], v[16:17]
	v_fma_f64 v[172:173], v[4:5], v[10:11], v[172:173]
	v_fma_f64 v[174:175], v[2:3], v[10:11], -v[12:13]
	ds_load_b128 v[2:5], v1 offset:1760
	scratch_load_b128 v[10:13], off, off offset:912
	v_add_f64 v[69:70], v[69:70], v[42:43]
	v_add_f64 v[91:92], v[91:92], v[44:45]
	ds_load_b128 v[42:45], v1 offset:1776
	v_fma_f64 v[67:68], v[67:68], v[14:15], v[170:171]
	v_fma_f64 v[65:66], v[65:66], v[14:15], -v[16:17]
	scratch_load_b128 v[14:17], off, off offset:928
	s_waitcnt vmcnt(10) lgkmcnt(1)
	v_mul_f64 v[176:177], v[2:3], v[20:21]
	v_mul_f64 v[20:21], v[4:5], v[20:21]
	s_waitcnt vmcnt(9) lgkmcnt(0)
	v_mul_f64 v[170:171], v[42:43], v[24:25]
	v_mul_f64 v[24:25], v[44:45], v[24:25]
	v_add_f64 v[69:70], v[69:70], v[174:175]
	v_add_f64 v[91:92], v[91:92], v[172:173]
	v_fma_f64 v[172:173], v[4:5], v[18:19], v[176:177]
	v_fma_f64 v[174:175], v[2:3], v[18:19], -v[20:21]
	ds_load_b128 v[2:5], v1 offset:1792
	scratch_load_b128 v[18:21], off, off offset:944
	v_fma_f64 v[44:45], v[44:45], v[22:23], v[170:171]
	v_fma_f64 v[42:43], v[42:43], v[22:23], -v[24:25]
	scratch_load_b128 v[22:25], off, off offset:960
	v_add_f64 v[69:70], v[69:70], v[65:66]
	v_add_f64 v[91:92], v[91:92], v[67:68]
	ds_load_b128 v[65:68], v1 offset:1808
	s_waitcnt vmcnt(10) lgkmcnt(1)
	v_mul_f64 v[176:177], v[2:3], v[28:29]
	v_mul_f64 v[28:29], v[4:5], v[28:29]
	s_waitcnt vmcnt(9) lgkmcnt(0)
	v_mul_f64 v[170:171], v[65:66], v[32:33]
	v_mul_f64 v[32:33], v[67:68], v[32:33]
	v_add_f64 v[69:70], v[69:70], v[174:175]
	v_add_f64 v[91:92], v[91:92], v[172:173]
	v_fma_f64 v[172:173], v[4:5], v[26:27], v[176:177]
	v_fma_f64 v[174:175], v[2:3], v[26:27], -v[28:29]
	ds_load_b128 v[2:5], v1 offset:1824
	ds_load_b128 v[26:29], v1 offset:1840
	v_fma_f64 v[67:68], v[67:68], v[30:31], v[170:171]
	v_fma_f64 v[30:31], v[65:66], v[30:31], -v[32:33]
	v_add_f64 v[42:43], v[69:70], v[42:43]
	v_add_f64 v[44:45], v[91:92], v[44:45]
	s_waitcnt vmcnt(8) lgkmcnt(1)
	v_mul_f64 v[69:70], v[2:3], v[36:37]
	v_mul_f64 v[36:37], v[4:5], v[36:37]
	s_delay_alu instid0(VALU_DEP_4) | instskip(NEXT) | instid1(VALU_DEP_4)
	v_add_f64 v[32:33], v[42:43], v[174:175]
	v_add_f64 v[42:43], v[44:45], v[172:173]
	s_waitcnt vmcnt(6) lgkmcnt(0)
	v_mul_f64 v[44:45], v[26:27], v[63:64]
	v_mul_f64 v[63:64], v[28:29], v[63:64]
	v_fma_f64 v[65:66], v[4:5], v[34:35], v[69:70]
	v_fma_f64 v[34:35], v[2:3], v[34:35], -v[36:37]
	v_add_f64 v[36:37], v[32:33], v[30:31]
	v_add_f64 v[42:43], v[42:43], v[67:68]
	ds_load_b128 v[2:5], v1 offset:1856
	ds_load_b128 v[30:33], v1 offset:1872
	v_fma_f64 v[28:29], v[28:29], v[61:62], v[44:45]
	v_fma_f64 v[26:27], v[26:27], v[61:62], -v[63:64]
	s_waitcnt vmcnt(5) lgkmcnt(1)
	v_mul_f64 v[67:68], v[2:3], v[40:41]
	v_mul_f64 v[40:41], v[4:5], v[40:41]
	v_add_f64 v[34:35], v[36:37], v[34:35]
	v_add_f64 v[36:37], v[42:43], v[65:66]
	s_waitcnt vmcnt(4) lgkmcnt(0)
	v_mul_f64 v[42:43], v[30:31], v[8:9]
	v_mul_f64 v[8:9], v[32:33], v[8:9]
	v_fma_f64 v[44:45], v[4:5], v[38:39], v[67:68]
	v_fma_f64 v[38:39], v[2:3], v[38:39], -v[40:41]
	v_add_f64 v[34:35], v[34:35], v[26:27]
	v_add_f64 v[36:37], v[36:37], v[28:29]
	ds_load_b128 v[2:5], v1 offset:1888
	ds_load_b128 v[26:29], v1 offset:1904
	v_fma_f64 v[32:33], v[32:33], v[6:7], v[42:43]
	v_fma_f64 v[6:7], v[30:31], v[6:7], -v[8:9]
	s_waitcnt vmcnt(3) lgkmcnt(1)
	v_mul_f64 v[40:41], v[2:3], v[12:13]
	v_mul_f64 v[12:13], v[4:5], v[12:13]
	;; [unrolled: 16-line block ×3, first 2 shown]
	s_waitcnt vmcnt(0) lgkmcnt(0)
	v_mul_f64 v[16:17], v[6:7], v[24:25]
	v_mul_f64 v[24:25], v[8:9], v[24:25]
	v_add_f64 v[10:11], v[12:13], v[10:11]
	v_add_f64 v[12:13], v[30:31], v[36:37]
	v_fma_f64 v[4:5], v[4:5], v[18:19], v[32:33]
	v_fma_f64 v[1:2], v[2:3], v[18:19], -v[20:21]
	v_fma_f64 v[8:9], v[8:9], v[22:23], v[16:17]
	v_fma_f64 v[6:7], v[6:7], v[22:23], -v[24:25]
	v_add_f64 v[10:11], v[10:11], v[14:15]
	v_add_f64 v[12:13], v[12:13], v[28:29]
	s_delay_alu instid0(VALU_DEP_2) | instskip(NEXT) | instid1(VALU_DEP_2)
	v_add_f64 v[1:2], v[10:11], v[1:2]
	v_add_f64 v[3:4], v[12:13], v[4:5]
	s_delay_alu instid0(VALU_DEP_2) | instskip(NEXT) | instid1(VALU_DEP_2)
	v_add_f64 v[1:2], v[1:2], v[6:7]
	v_add_f64 v[3:4], v[3:4], v[8:9]
	s_delay_alu instid0(VALU_DEP_2) | instskip(NEXT) | instid1(VALU_DEP_2)
	v_add_f64 v[1:2], v[57:58], -v[1:2]
	v_add_f64 v[3:4], v[59:60], -v[3:4]
	scratch_store_b128 off, v[1:4], off offset:704
	v_cmpx_lt_u32_e32 43, v169
	s_cbranch_execz .LBB124_305
; %bb.304:
	scratch_load_b128 v[1:4], v188, off
	v_mov_b32_e32 v5, 0
	s_delay_alu instid0(VALU_DEP_1)
	v_mov_b32_e32 v6, v5
	v_mov_b32_e32 v7, v5
	;; [unrolled: 1-line block ×3, first 2 shown]
	scratch_store_b128 off, v[5:8], off offset:688
	s_waitcnt vmcnt(0)
	ds_store_b128 v229, v[1:4]
.LBB124_305:
	s_or_b32 exec_lo, exec_lo, s2
	s_waitcnt lgkmcnt(0)
	s_waitcnt_vscnt null, 0x0
	s_barrier
	buffer_gl0_inv
	s_clause 0x7
	scratch_load_b128 v[2:5], off, off offset:704
	scratch_load_b128 v[6:9], off, off offset:720
	;; [unrolled: 1-line block ×8, first 2 shown]
	v_mov_b32_e32 v1, 0
	s_mov_b32 s2, exec_lo
	ds_load_b128 v[34:37], v1 offset:1680
	s_clause 0x1
	scratch_load_b128 v[38:41], off, off offset:832
	scratch_load_b128 v[42:45], off, off offset:688
	ds_load_b128 v[57:60], v1 offset:1696
	scratch_load_b128 v[61:64], off, off offset:848
	s_waitcnt vmcnt(10) lgkmcnt(1)
	v_mul_f64 v[65:66], v[36:37], v[4:5]
	v_mul_f64 v[4:5], v[34:35], v[4:5]
	s_delay_alu instid0(VALU_DEP_2) | instskip(NEXT) | instid1(VALU_DEP_2)
	v_fma_f64 v[91:92], v[34:35], v[2:3], -v[65:66]
	v_fma_f64 v[170:171], v[36:37], v[2:3], v[4:5]
	scratch_load_b128 v[34:37], off, off offset:864
	ds_load_b128 v[2:5], v1 offset:1712
	s_waitcnt vmcnt(10) lgkmcnt(1)
	v_mul_f64 v[69:70], v[57:58], v[8:9]
	v_mul_f64 v[8:9], v[59:60], v[8:9]
	ds_load_b128 v[65:68], v1 offset:1728
	s_waitcnt vmcnt(9) lgkmcnt(1)
	v_mul_f64 v[172:173], v[2:3], v[12:13]
	v_mul_f64 v[12:13], v[4:5], v[12:13]
	v_fma_f64 v[59:60], v[59:60], v[6:7], v[69:70]
	v_fma_f64 v[57:58], v[57:58], v[6:7], -v[8:9]
	v_add_f64 v[69:70], v[91:92], 0
	v_add_f64 v[91:92], v[170:171], 0
	scratch_load_b128 v[6:9], off, off offset:880
	v_fma_f64 v[172:173], v[4:5], v[10:11], v[172:173]
	v_fma_f64 v[174:175], v[2:3], v[10:11], -v[12:13]
	scratch_load_b128 v[10:13], off, off offset:896
	ds_load_b128 v[2:5], v1 offset:1744
	s_waitcnt vmcnt(10) lgkmcnt(1)
	v_mul_f64 v[170:171], v[65:66], v[16:17]
	v_mul_f64 v[16:17], v[67:68], v[16:17]
	v_add_f64 v[69:70], v[69:70], v[57:58]
	v_add_f64 v[91:92], v[91:92], v[59:60]
	s_waitcnt vmcnt(9) lgkmcnt(0)
	v_mul_f64 v[176:177], v[2:3], v[20:21]
	v_mul_f64 v[20:21], v[4:5], v[20:21]
	ds_load_b128 v[57:60], v1 offset:1760
	v_fma_f64 v[67:68], v[67:68], v[14:15], v[170:171]
	v_fma_f64 v[65:66], v[65:66], v[14:15], -v[16:17]
	scratch_load_b128 v[14:17], off, off offset:912
	v_add_f64 v[69:70], v[69:70], v[174:175]
	v_add_f64 v[91:92], v[91:92], v[172:173]
	v_fma_f64 v[172:173], v[4:5], v[18:19], v[176:177]
	v_fma_f64 v[174:175], v[2:3], v[18:19], -v[20:21]
	scratch_load_b128 v[18:21], off, off offset:928
	ds_load_b128 v[2:5], v1 offset:1776
	s_waitcnt vmcnt(10) lgkmcnt(1)
	v_mul_f64 v[170:171], v[57:58], v[24:25]
	v_mul_f64 v[24:25], v[59:60], v[24:25]
	s_waitcnt vmcnt(9) lgkmcnt(0)
	v_mul_f64 v[176:177], v[2:3], v[28:29]
	v_mul_f64 v[28:29], v[4:5], v[28:29]
	v_add_f64 v[69:70], v[69:70], v[65:66]
	v_add_f64 v[91:92], v[91:92], v[67:68]
	ds_load_b128 v[65:68], v1 offset:1792
	v_fma_f64 v[59:60], v[59:60], v[22:23], v[170:171]
	v_fma_f64 v[57:58], v[57:58], v[22:23], -v[24:25]
	scratch_load_b128 v[22:25], off, off offset:944
	v_add_f64 v[69:70], v[69:70], v[174:175]
	v_add_f64 v[91:92], v[91:92], v[172:173]
	v_fma_f64 v[172:173], v[4:5], v[26:27], v[176:177]
	v_fma_f64 v[174:175], v[2:3], v[26:27], -v[28:29]
	scratch_load_b128 v[26:29], off, off offset:960
	ds_load_b128 v[2:5], v1 offset:1808
	s_waitcnt vmcnt(10) lgkmcnt(1)
	v_mul_f64 v[170:171], v[65:66], v[32:33]
	v_mul_f64 v[32:33], v[67:68], v[32:33]
	s_waitcnt vmcnt(9) lgkmcnt(0)
	v_mul_f64 v[176:177], v[2:3], v[40:41]
	v_mul_f64 v[40:41], v[4:5], v[40:41]
	v_add_f64 v[69:70], v[69:70], v[57:58]
	v_add_f64 v[91:92], v[91:92], v[59:60]
	ds_load_b128 v[57:60], v1 offset:1824
	v_fma_f64 v[67:68], v[67:68], v[30:31], v[170:171]
	v_fma_f64 v[30:31], v[65:66], v[30:31], -v[32:33]
	v_add_f64 v[32:33], v[69:70], v[174:175]
	v_add_f64 v[65:66], v[91:92], v[172:173]
	s_waitcnt vmcnt(7) lgkmcnt(0)
	v_mul_f64 v[69:70], v[57:58], v[63:64]
	v_mul_f64 v[63:64], v[59:60], v[63:64]
	v_fma_f64 v[91:92], v[4:5], v[38:39], v[176:177]
	v_fma_f64 v[38:39], v[2:3], v[38:39], -v[40:41]
	v_add_f64 v[40:41], v[32:33], v[30:31]
	v_add_f64 v[65:66], v[65:66], v[67:68]
	ds_load_b128 v[2:5], v1 offset:1840
	ds_load_b128 v[30:33], v1 offset:1856
	v_fma_f64 v[59:60], v[59:60], v[61:62], v[69:70]
	v_fma_f64 v[57:58], v[57:58], v[61:62], -v[63:64]
	s_waitcnt vmcnt(6) lgkmcnt(1)
	v_mul_f64 v[67:68], v[2:3], v[36:37]
	v_mul_f64 v[36:37], v[4:5], v[36:37]
	v_add_f64 v[38:39], v[40:41], v[38:39]
	v_add_f64 v[40:41], v[65:66], v[91:92]
	s_waitcnt vmcnt(5) lgkmcnt(0)
	v_mul_f64 v[61:62], v[30:31], v[8:9]
	v_mul_f64 v[8:9], v[32:33], v[8:9]
	v_fma_f64 v[63:64], v[4:5], v[34:35], v[67:68]
	v_fma_f64 v[65:66], v[2:3], v[34:35], -v[36:37]
	ds_load_b128 v[2:5], v1 offset:1872
	ds_load_b128 v[34:37], v1 offset:1888
	v_add_f64 v[38:39], v[38:39], v[57:58]
	v_add_f64 v[40:41], v[40:41], v[59:60]
	s_waitcnt vmcnt(4) lgkmcnt(1)
	v_mul_f64 v[57:58], v[2:3], v[12:13]
	v_mul_f64 v[12:13], v[4:5], v[12:13]
	v_fma_f64 v[32:33], v[32:33], v[6:7], v[61:62]
	v_fma_f64 v[6:7], v[30:31], v[6:7], -v[8:9]
	v_add_f64 v[8:9], v[38:39], v[65:66]
	v_add_f64 v[30:31], v[40:41], v[63:64]
	s_waitcnt vmcnt(3) lgkmcnt(0)
	v_mul_f64 v[38:39], v[34:35], v[16:17]
	v_mul_f64 v[16:17], v[36:37], v[16:17]
	v_fma_f64 v[40:41], v[4:5], v[10:11], v[57:58]
	v_fma_f64 v[10:11], v[2:3], v[10:11], -v[12:13]
	v_add_f64 v[12:13], v[8:9], v[6:7]
	v_add_f64 v[30:31], v[30:31], v[32:33]
	ds_load_b128 v[2:5], v1 offset:1904
	ds_load_b128 v[6:9], v1 offset:1920
	v_fma_f64 v[36:37], v[36:37], v[14:15], v[38:39]
	v_fma_f64 v[14:15], v[34:35], v[14:15], -v[16:17]
	s_waitcnt vmcnt(2) lgkmcnt(1)
	v_mul_f64 v[32:33], v[2:3], v[20:21]
	v_mul_f64 v[20:21], v[4:5], v[20:21]
	s_waitcnt vmcnt(1) lgkmcnt(0)
	v_mul_f64 v[16:17], v[6:7], v[24:25]
	v_mul_f64 v[24:25], v[8:9], v[24:25]
	v_add_f64 v[10:11], v[12:13], v[10:11]
	v_add_f64 v[12:13], v[30:31], v[40:41]
	v_fma_f64 v[30:31], v[4:5], v[18:19], v[32:33]
	v_fma_f64 v[18:19], v[2:3], v[18:19], -v[20:21]
	ds_load_b128 v[2:5], v1 offset:1936
	v_fma_f64 v[8:9], v[8:9], v[22:23], v[16:17]
	v_fma_f64 v[6:7], v[6:7], v[22:23], -v[24:25]
	v_add_f64 v[10:11], v[10:11], v[14:15]
	v_add_f64 v[12:13], v[12:13], v[36:37]
	s_waitcnt vmcnt(0) lgkmcnt(0)
	v_mul_f64 v[14:15], v[2:3], v[28:29]
	v_mul_f64 v[20:21], v[4:5], v[28:29]
	s_delay_alu instid0(VALU_DEP_4) | instskip(NEXT) | instid1(VALU_DEP_4)
	v_add_f64 v[10:11], v[10:11], v[18:19]
	v_add_f64 v[12:13], v[12:13], v[30:31]
	s_delay_alu instid0(VALU_DEP_4) | instskip(NEXT) | instid1(VALU_DEP_4)
	v_fma_f64 v[4:5], v[4:5], v[26:27], v[14:15]
	v_fma_f64 v[2:3], v[2:3], v[26:27], -v[20:21]
	s_delay_alu instid0(VALU_DEP_4) | instskip(NEXT) | instid1(VALU_DEP_4)
	v_add_f64 v[6:7], v[10:11], v[6:7]
	v_add_f64 v[8:9], v[12:13], v[8:9]
	s_delay_alu instid0(VALU_DEP_2) | instskip(NEXT) | instid1(VALU_DEP_2)
	v_add_f64 v[2:3], v[6:7], v[2:3]
	v_add_f64 v[4:5], v[8:9], v[4:5]
	s_delay_alu instid0(VALU_DEP_2) | instskip(NEXT) | instid1(VALU_DEP_2)
	v_add_f64 v[2:3], v[42:43], -v[2:3]
	v_add_f64 v[4:5], v[44:45], -v[4:5]
	scratch_store_b128 off, v[2:5], off offset:688
	v_cmpx_lt_u32_e32 42, v169
	s_cbranch_execz .LBB124_307
; %bb.306:
	scratch_load_b128 v[5:8], v191, off
	v_mov_b32_e32 v2, v1
	v_mov_b32_e32 v3, v1
	v_mov_b32_e32 v4, v1
	scratch_store_b128 off, v[1:4], off offset:672
	s_waitcnt vmcnt(0)
	ds_store_b128 v229, v[5:8]
.LBB124_307:
	s_or_b32 exec_lo, exec_lo, s2
	s_waitcnt lgkmcnt(0)
	s_waitcnt_vscnt null, 0x0
	s_barrier
	buffer_gl0_inv
	s_clause 0x8
	scratch_load_b128 v[2:5], off, off offset:688
	scratch_load_b128 v[6:9], off, off offset:704
	;; [unrolled: 1-line block ×9, first 2 shown]
	ds_load_b128 v[38:41], v1 offset:1664
	ds_load_b128 v[42:45], v1 offset:1680
	s_clause 0x1
	scratch_load_b128 v[57:60], off, off offset:672
	scratch_load_b128 v[61:64], off, off offset:832
	s_mov_b32 s2, exec_lo
	s_waitcnt vmcnt(10) lgkmcnt(1)
	v_mul_f64 v[65:66], v[40:41], v[4:5]
	v_mul_f64 v[4:5], v[38:39], v[4:5]
	s_waitcnt vmcnt(9) lgkmcnt(0)
	v_mul_f64 v[69:70], v[42:43], v[8:9]
	v_mul_f64 v[8:9], v[44:45], v[8:9]
	s_delay_alu instid0(VALU_DEP_4) | instskip(NEXT) | instid1(VALU_DEP_4)
	v_fma_f64 v[91:92], v[38:39], v[2:3], -v[65:66]
	v_fma_f64 v[170:171], v[40:41], v[2:3], v[4:5]
	ds_load_b128 v[2:5], v1 offset:1696
	ds_load_b128 v[65:68], v1 offset:1712
	scratch_load_b128 v[38:41], off, off offset:848
	v_fma_f64 v[44:45], v[44:45], v[6:7], v[69:70]
	v_fma_f64 v[42:43], v[42:43], v[6:7], -v[8:9]
	scratch_load_b128 v[6:9], off, off offset:864
	s_waitcnt vmcnt(10) lgkmcnt(1)
	v_mul_f64 v[172:173], v[2:3], v[12:13]
	v_mul_f64 v[12:13], v[4:5], v[12:13]
	v_add_f64 v[69:70], v[91:92], 0
	v_add_f64 v[91:92], v[170:171], 0
	s_waitcnt vmcnt(9) lgkmcnt(0)
	v_mul_f64 v[170:171], v[65:66], v[16:17]
	v_mul_f64 v[16:17], v[67:68], v[16:17]
	v_fma_f64 v[172:173], v[4:5], v[10:11], v[172:173]
	v_fma_f64 v[174:175], v[2:3], v[10:11], -v[12:13]
	ds_load_b128 v[2:5], v1 offset:1728
	scratch_load_b128 v[10:13], off, off offset:880
	v_add_f64 v[69:70], v[69:70], v[42:43]
	v_add_f64 v[91:92], v[91:92], v[44:45]
	ds_load_b128 v[42:45], v1 offset:1744
	v_fma_f64 v[67:68], v[67:68], v[14:15], v[170:171]
	v_fma_f64 v[65:66], v[65:66], v[14:15], -v[16:17]
	scratch_load_b128 v[14:17], off, off offset:896
	s_waitcnt vmcnt(10) lgkmcnt(1)
	v_mul_f64 v[176:177], v[2:3], v[20:21]
	v_mul_f64 v[20:21], v[4:5], v[20:21]
	s_waitcnt vmcnt(9) lgkmcnt(0)
	v_mul_f64 v[170:171], v[42:43], v[24:25]
	v_mul_f64 v[24:25], v[44:45], v[24:25]
	v_add_f64 v[69:70], v[69:70], v[174:175]
	v_add_f64 v[91:92], v[91:92], v[172:173]
	v_fma_f64 v[172:173], v[4:5], v[18:19], v[176:177]
	v_fma_f64 v[174:175], v[2:3], v[18:19], -v[20:21]
	ds_load_b128 v[2:5], v1 offset:1760
	scratch_load_b128 v[18:21], off, off offset:912
	v_fma_f64 v[44:45], v[44:45], v[22:23], v[170:171]
	v_fma_f64 v[42:43], v[42:43], v[22:23], -v[24:25]
	scratch_load_b128 v[22:25], off, off offset:928
	v_add_f64 v[69:70], v[69:70], v[65:66]
	v_add_f64 v[91:92], v[91:92], v[67:68]
	ds_load_b128 v[65:68], v1 offset:1776
	s_waitcnt vmcnt(10) lgkmcnt(1)
	v_mul_f64 v[176:177], v[2:3], v[28:29]
	v_mul_f64 v[28:29], v[4:5], v[28:29]
	s_waitcnt vmcnt(9) lgkmcnt(0)
	v_mul_f64 v[170:171], v[65:66], v[32:33]
	v_mul_f64 v[32:33], v[67:68], v[32:33]
	v_add_f64 v[69:70], v[69:70], v[174:175]
	v_add_f64 v[91:92], v[91:92], v[172:173]
	v_fma_f64 v[172:173], v[4:5], v[26:27], v[176:177]
	v_fma_f64 v[174:175], v[2:3], v[26:27], -v[28:29]
	ds_load_b128 v[2:5], v1 offset:1792
	scratch_load_b128 v[26:29], off, off offset:944
	v_fma_f64 v[67:68], v[67:68], v[30:31], v[170:171]
	v_fma_f64 v[65:66], v[65:66], v[30:31], -v[32:33]
	scratch_load_b128 v[30:33], off, off offset:960
	v_add_f64 v[69:70], v[69:70], v[42:43]
	v_add_f64 v[91:92], v[91:92], v[44:45]
	ds_load_b128 v[42:45], v1 offset:1808
	s_waitcnt vmcnt(10) lgkmcnt(1)
	v_mul_f64 v[176:177], v[2:3], v[36:37]
	v_mul_f64 v[36:37], v[4:5], v[36:37]
	s_waitcnt vmcnt(8) lgkmcnt(0)
	v_mul_f64 v[170:171], v[42:43], v[63:64]
	v_mul_f64 v[63:64], v[44:45], v[63:64]
	v_add_f64 v[69:70], v[69:70], v[174:175]
	v_add_f64 v[91:92], v[91:92], v[172:173]
	v_fma_f64 v[172:173], v[4:5], v[34:35], v[176:177]
	v_fma_f64 v[174:175], v[2:3], v[34:35], -v[36:37]
	ds_load_b128 v[2:5], v1 offset:1824
	ds_load_b128 v[34:37], v1 offset:1840
	v_fma_f64 v[44:45], v[44:45], v[61:62], v[170:171]
	v_fma_f64 v[42:43], v[42:43], v[61:62], -v[63:64]
	v_add_f64 v[65:66], v[69:70], v[65:66]
	v_add_f64 v[67:68], v[91:92], v[67:68]
	s_waitcnt vmcnt(7) lgkmcnt(1)
	v_mul_f64 v[69:70], v[2:3], v[40:41]
	v_mul_f64 v[40:41], v[4:5], v[40:41]
	s_delay_alu instid0(VALU_DEP_4) | instskip(NEXT) | instid1(VALU_DEP_4)
	v_add_f64 v[61:62], v[65:66], v[174:175]
	v_add_f64 v[63:64], v[67:68], v[172:173]
	s_waitcnt vmcnt(6) lgkmcnt(0)
	v_mul_f64 v[65:66], v[34:35], v[8:9]
	v_mul_f64 v[8:9], v[36:37], v[8:9]
	v_fma_f64 v[67:68], v[4:5], v[38:39], v[69:70]
	v_fma_f64 v[69:70], v[2:3], v[38:39], -v[40:41]
	ds_load_b128 v[2:5], v1 offset:1856
	ds_load_b128 v[38:41], v1 offset:1872
	v_add_f64 v[42:43], v[61:62], v[42:43]
	v_add_f64 v[44:45], v[63:64], v[44:45]
	v_fma_f64 v[36:37], v[36:37], v[6:7], v[65:66]
	s_waitcnt vmcnt(5) lgkmcnt(1)
	v_mul_f64 v[61:62], v[2:3], v[12:13]
	v_mul_f64 v[12:13], v[4:5], v[12:13]
	v_fma_f64 v[6:7], v[34:35], v[6:7], -v[8:9]
	v_add_f64 v[8:9], v[42:43], v[69:70]
	v_add_f64 v[34:35], v[44:45], v[67:68]
	s_waitcnt vmcnt(4) lgkmcnt(0)
	v_mul_f64 v[42:43], v[38:39], v[16:17]
	v_mul_f64 v[16:17], v[40:41], v[16:17]
	v_fma_f64 v[44:45], v[4:5], v[10:11], v[61:62]
	v_fma_f64 v[10:11], v[2:3], v[10:11], -v[12:13]
	v_add_f64 v[12:13], v[8:9], v[6:7]
	v_add_f64 v[34:35], v[34:35], v[36:37]
	ds_load_b128 v[2:5], v1 offset:1888
	ds_load_b128 v[6:9], v1 offset:1904
	v_fma_f64 v[40:41], v[40:41], v[14:15], v[42:43]
	v_fma_f64 v[14:15], v[38:39], v[14:15], -v[16:17]
	s_waitcnt vmcnt(3) lgkmcnt(1)
	v_mul_f64 v[36:37], v[2:3], v[20:21]
	v_mul_f64 v[20:21], v[4:5], v[20:21]
	s_waitcnt vmcnt(2) lgkmcnt(0)
	v_mul_f64 v[16:17], v[6:7], v[24:25]
	v_mul_f64 v[24:25], v[8:9], v[24:25]
	v_add_f64 v[10:11], v[12:13], v[10:11]
	v_add_f64 v[12:13], v[34:35], v[44:45]
	v_fma_f64 v[34:35], v[4:5], v[18:19], v[36:37]
	v_fma_f64 v[18:19], v[2:3], v[18:19], -v[20:21]
	v_fma_f64 v[8:9], v[8:9], v[22:23], v[16:17]
	v_fma_f64 v[6:7], v[6:7], v[22:23], -v[24:25]
	v_add_f64 v[14:15], v[10:11], v[14:15]
	v_add_f64 v[20:21], v[12:13], v[40:41]
	ds_load_b128 v[2:5], v1 offset:1920
	ds_load_b128 v[10:13], v1 offset:1936
	s_waitcnt vmcnt(1) lgkmcnt(1)
	v_mul_f64 v[36:37], v[2:3], v[28:29]
	v_mul_f64 v[28:29], v[4:5], v[28:29]
	v_add_f64 v[14:15], v[14:15], v[18:19]
	v_add_f64 v[16:17], v[20:21], v[34:35]
	s_waitcnt vmcnt(0) lgkmcnt(0)
	v_mul_f64 v[18:19], v[10:11], v[32:33]
	v_mul_f64 v[20:21], v[12:13], v[32:33]
	v_fma_f64 v[4:5], v[4:5], v[26:27], v[36:37]
	v_fma_f64 v[1:2], v[2:3], v[26:27], -v[28:29]
	v_add_f64 v[6:7], v[14:15], v[6:7]
	v_add_f64 v[8:9], v[16:17], v[8:9]
	v_fma_f64 v[12:13], v[12:13], v[30:31], v[18:19]
	v_fma_f64 v[10:11], v[10:11], v[30:31], -v[20:21]
	s_delay_alu instid0(VALU_DEP_4) | instskip(NEXT) | instid1(VALU_DEP_4)
	v_add_f64 v[1:2], v[6:7], v[1:2]
	v_add_f64 v[3:4], v[8:9], v[4:5]
	s_delay_alu instid0(VALU_DEP_2) | instskip(NEXT) | instid1(VALU_DEP_2)
	v_add_f64 v[1:2], v[1:2], v[10:11]
	v_add_f64 v[3:4], v[3:4], v[12:13]
	s_delay_alu instid0(VALU_DEP_2) | instskip(NEXT) | instid1(VALU_DEP_2)
	v_add_f64 v[1:2], v[57:58], -v[1:2]
	v_add_f64 v[3:4], v[59:60], -v[3:4]
	scratch_store_b128 off, v[1:4], off offset:672
	v_cmpx_lt_u32_e32 41, v169
	s_cbranch_execz .LBB124_309
; %bb.308:
	scratch_load_b128 v[1:4], v193, off
	v_mov_b32_e32 v5, 0
	s_delay_alu instid0(VALU_DEP_1)
	v_mov_b32_e32 v6, v5
	v_mov_b32_e32 v7, v5
	;; [unrolled: 1-line block ×3, first 2 shown]
	scratch_store_b128 off, v[5:8], off offset:656
	s_waitcnt vmcnt(0)
	ds_store_b128 v229, v[1:4]
.LBB124_309:
	s_or_b32 exec_lo, exec_lo, s2
	s_waitcnt lgkmcnt(0)
	s_waitcnt_vscnt null, 0x0
	s_barrier
	buffer_gl0_inv
	s_clause 0x7
	scratch_load_b128 v[2:5], off, off offset:672
	scratch_load_b128 v[6:9], off, off offset:688
	;; [unrolled: 1-line block ×8, first 2 shown]
	v_mov_b32_e32 v1, 0
	s_mov_b32 s2, exec_lo
	ds_load_b128 v[34:37], v1 offset:1648
	s_clause 0x1
	scratch_load_b128 v[38:41], off, off offset:800
	scratch_load_b128 v[42:45], off, off offset:656
	ds_load_b128 v[57:60], v1 offset:1664
	scratch_load_b128 v[61:64], off, off offset:816
	s_waitcnt vmcnt(10) lgkmcnt(1)
	v_mul_f64 v[65:66], v[36:37], v[4:5]
	v_mul_f64 v[4:5], v[34:35], v[4:5]
	s_delay_alu instid0(VALU_DEP_2) | instskip(NEXT) | instid1(VALU_DEP_2)
	v_fma_f64 v[91:92], v[34:35], v[2:3], -v[65:66]
	v_fma_f64 v[170:171], v[36:37], v[2:3], v[4:5]
	scratch_load_b128 v[34:37], off, off offset:832
	ds_load_b128 v[2:5], v1 offset:1680
	s_waitcnt vmcnt(10) lgkmcnt(1)
	v_mul_f64 v[69:70], v[57:58], v[8:9]
	v_mul_f64 v[8:9], v[59:60], v[8:9]
	ds_load_b128 v[65:68], v1 offset:1696
	s_waitcnt vmcnt(9) lgkmcnt(1)
	v_mul_f64 v[172:173], v[2:3], v[12:13]
	v_mul_f64 v[12:13], v[4:5], v[12:13]
	v_fma_f64 v[59:60], v[59:60], v[6:7], v[69:70]
	v_fma_f64 v[57:58], v[57:58], v[6:7], -v[8:9]
	v_add_f64 v[69:70], v[91:92], 0
	v_add_f64 v[91:92], v[170:171], 0
	scratch_load_b128 v[6:9], off, off offset:848
	v_fma_f64 v[172:173], v[4:5], v[10:11], v[172:173]
	v_fma_f64 v[174:175], v[2:3], v[10:11], -v[12:13]
	scratch_load_b128 v[10:13], off, off offset:864
	ds_load_b128 v[2:5], v1 offset:1712
	s_waitcnt vmcnt(10) lgkmcnt(1)
	v_mul_f64 v[170:171], v[65:66], v[16:17]
	v_mul_f64 v[16:17], v[67:68], v[16:17]
	v_add_f64 v[69:70], v[69:70], v[57:58]
	v_add_f64 v[91:92], v[91:92], v[59:60]
	s_waitcnt vmcnt(9) lgkmcnt(0)
	v_mul_f64 v[176:177], v[2:3], v[20:21]
	v_mul_f64 v[20:21], v[4:5], v[20:21]
	ds_load_b128 v[57:60], v1 offset:1728
	v_fma_f64 v[67:68], v[67:68], v[14:15], v[170:171]
	v_fma_f64 v[65:66], v[65:66], v[14:15], -v[16:17]
	scratch_load_b128 v[14:17], off, off offset:880
	v_add_f64 v[69:70], v[69:70], v[174:175]
	v_add_f64 v[91:92], v[91:92], v[172:173]
	v_fma_f64 v[172:173], v[4:5], v[18:19], v[176:177]
	v_fma_f64 v[174:175], v[2:3], v[18:19], -v[20:21]
	scratch_load_b128 v[18:21], off, off offset:896
	ds_load_b128 v[2:5], v1 offset:1744
	s_waitcnt vmcnt(10) lgkmcnt(1)
	v_mul_f64 v[170:171], v[57:58], v[24:25]
	v_mul_f64 v[24:25], v[59:60], v[24:25]
	s_waitcnt vmcnt(9) lgkmcnt(0)
	v_mul_f64 v[176:177], v[2:3], v[28:29]
	v_mul_f64 v[28:29], v[4:5], v[28:29]
	v_add_f64 v[69:70], v[69:70], v[65:66]
	v_add_f64 v[91:92], v[91:92], v[67:68]
	ds_load_b128 v[65:68], v1 offset:1760
	v_fma_f64 v[59:60], v[59:60], v[22:23], v[170:171]
	v_fma_f64 v[57:58], v[57:58], v[22:23], -v[24:25]
	scratch_load_b128 v[22:25], off, off offset:912
	v_add_f64 v[69:70], v[69:70], v[174:175]
	v_add_f64 v[91:92], v[91:92], v[172:173]
	v_fma_f64 v[172:173], v[4:5], v[26:27], v[176:177]
	v_fma_f64 v[174:175], v[2:3], v[26:27], -v[28:29]
	scratch_load_b128 v[26:29], off, off offset:928
	ds_load_b128 v[2:5], v1 offset:1776
	s_waitcnt vmcnt(10) lgkmcnt(1)
	v_mul_f64 v[170:171], v[65:66], v[32:33]
	v_mul_f64 v[32:33], v[67:68], v[32:33]
	s_waitcnt vmcnt(9) lgkmcnt(0)
	v_mul_f64 v[176:177], v[2:3], v[40:41]
	v_mul_f64 v[40:41], v[4:5], v[40:41]
	v_add_f64 v[69:70], v[69:70], v[57:58]
	v_add_f64 v[91:92], v[91:92], v[59:60]
	ds_load_b128 v[57:60], v1 offset:1792
	v_fma_f64 v[67:68], v[67:68], v[30:31], v[170:171]
	v_fma_f64 v[65:66], v[65:66], v[30:31], -v[32:33]
	scratch_load_b128 v[30:33], off, off offset:944
	v_add_f64 v[69:70], v[69:70], v[174:175]
	v_add_f64 v[91:92], v[91:92], v[172:173]
	v_fma_f64 v[174:175], v[4:5], v[38:39], v[176:177]
	v_fma_f64 v[176:177], v[2:3], v[38:39], -v[40:41]
	scratch_load_b128 v[38:41], off, off offset:960
	ds_load_b128 v[2:5], v1 offset:1808
	s_waitcnt vmcnt(9) lgkmcnt(1)
	v_mul_f64 v[170:171], v[57:58], v[63:64]
	v_mul_f64 v[172:173], v[59:60], v[63:64]
	v_add_f64 v[69:70], v[69:70], v[65:66]
	v_add_f64 v[67:68], v[91:92], v[67:68]
	ds_load_b128 v[63:66], v1 offset:1824
	v_fma_f64 v[59:60], v[59:60], v[61:62], v[170:171]
	v_fma_f64 v[57:58], v[57:58], v[61:62], -v[172:173]
	s_waitcnt vmcnt(8) lgkmcnt(1)
	v_mul_f64 v[91:92], v[2:3], v[36:37]
	v_mul_f64 v[36:37], v[4:5], v[36:37]
	v_add_f64 v[61:62], v[69:70], v[176:177]
	v_add_f64 v[67:68], v[67:68], v[174:175]
	s_delay_alu instid0(VALU_DEP_4) | instskip(NEXT) | instid1(VALU_DEP_4)
	v_fma_f64 v[91:92], v[4:5], v[34:35], v[91:92]
	v_fma_f64 v[170:171], v[2:3], v[34:35], -v[36:37]
	ds_load_b128 v[2:5], v1 offset:1840
	ds_load_b128 v[34:37], v1 offset:1856
	s_waitcnt vmcnt(7) lgkmcnt(2)
	v_mul_f64 v[69:70], v[63:64], v[8:9]
	v_mul_f64 v[8:9], v[65:66], v[8:9]
	v_add_f64 v[57:58], v[61:62], v[57:58]
	v_add_f64 v[59:60], v[67:68], v[59:60]
	s_waitcnt vmcnt(6) lgkmcnt(1)
	v_mul_f64 v[61:62], v[2:3], v[12:13]
	v_mul_f64 v[12:13], v[4:5], v[12:13]
	v_fma_f64 v[65:66], v[65:66], v[6:7], v[69:70]
	v_fma_f64 v[6:7], v[63:64], v[6:7], -v[8:9]
	v_add_f64 v[8:9], v[57:58], v[170:171]
	v_add_f64 v[57:58], v[59:60], v[91:92]
	s_waitcnt vmcnt(5) lgkmcnt(0)
	v_mul_f64 v[59:60], v[34:35], v[16:17]
	v_mul_f64 v[16:17], v[36:37], v[16:17]
	v_fma_f64 v[61:62], v[4:5], v[10:11], v[61:62]
	v_fma_f64 v[10:11], v[2:3], v[10:11], -v[12:13]
	v_add_f64 v[12:13], v[8:9], v[6:7]
	v_add_f64 v[57:58], v[57:58], v[65:66]
	ds_load_b128 v[2:5], v1 offset:1872
	ds_load_b128 v[6:9], v1 offset:1888
	v_fma_f64 v[36:37], v[36:37], v[14:15], v[59:60]
	v_fma_f64 v[14:15], v[34:35], v[14:15], -v[16:17]
	s_waitcnt vmcnt(4) lgkmcnt(1)
	v_mul_f64 v[63:64], v[2:3], v[20:21]
	v_mul_f64 v[20:21], v[4:5], v[20:21]
	s_waitcnt vmcnt(3) lgkmcnt(0)
	v_mul_f64 v[16:17], v[6:7], v[24:25]
	v_mul_f64 v[24:25], v[8:9], v[24:25]
	v_add_f64 v[10:11], v[12:13], v[10:11]
	v_add_f64 v[12:13], v[57:58], v[61:62]
	v_fma_f64 v[34:35], v[4:5], v[18:19], v[63:64]
	v_fma_f64 v[18:19], v[2:3], v[18:19], -v[20:21]
	v_fma_f64 v[8:9], v[8:9], v[22:23], v[16:17]
	v_fma_f64 v[6:7], v[6:7], v[22:23], -v[24:25]
	v_add_f64 v[14:15], v[10:11], v[14:15]
	v_add_f64 v[20:21], v[12:13], v[36:37]
	ds_load_b128 v[2:5], v1 offset:1904
	ds_load_b128 v[10:13], v1 offset:1920
	s_waitcnt vmcnt(2) lgkmcnt(1)
	v_mul_f64 v[36:37], v[2:3], v[28:29]
	v_mul_f64 v[28:29], v[4:5], v[28:29]
	v_add_f64 v[14:15], v[14:15], v[18:19]
	v_add_f64 v[16:17], v[20:21], v[34:35]
	s_waitcnt vmcnt(1) lgkmcnt(0)
	v_mul_f64 v[18:19], v[10:11], v[32:33]
	v_mul_f64 v[20:21], v[12:13], v[32:33]
	v_fma_f64 v[22:23], v[4:5], v[26:27], v[36:37]
	v_fma_f64 v[24:25], v[2:3], v[26:27], -v[28:29]
	ds_load_b128 v[2:5], v1 offset:1936
	v_add_f64 v[6:7], v[14:15], v[6:7]
	v_add_f64 v[8:9], v[16:17], v[8:9]
	v_fma_f64 v[12:13], v[12:13], v[30:31], v[18:19]
	v_fma_f64 v[10:11], v[10:11], v[30:31], -v[20:21]
	s_waitcnt vmcnt(0) lgkmcnt(0)
	v_mul_f64 v[14:15], v[2:3], v[40:41]
	v_mul_f64 v[16:17], v[4:5], v[40:41]
	v_add_f64 v[6:7], v[6:7], v[24:25]
	v_add_f64 v[8:9], v[8:9], v[22:23]
	s_delay_alu instid0(VALU_DEP_4) | instskip(NEXT) | instid1(VALU_DEP_4)
	v_fma_f64 v[4:5], v[4:5], v[38:39], v[14:15]
	v_fma_f64 v[2:3], v[2:3], v[38:39], -v[16:17]
	s_delay_alu instid0(VALU_DEP_4) | instskip(NEXT) | instid1(VALU_DEP_4)
	v_add_f64 v[6:7], v[6:7], v[10:11]
	v_add_f64 v[8:9], v[8:9], v[12:13]
	s_delay_alu instid0(VALU_DEP_2) | instskip(NEXT) | instid1(VALU_DEP_2)
	v_add_f64 v[2:3], v[6:7], v[2:3]
	v_add_f64 v[4:5], v[8:9], v[4:5]
	s_delay_alu instid0(VALU_DEP_2) | instskip(NEXT) | instid1(VALU_DEP_2)
	v_add_f64 v[2:3], v[42:43], -v[2:3]
	v_add_f64 v[4:5], v[44:45], -v[4:5]
	scratch_store_b128 off, v[2:5], off offset:656
	v_cmpx_lt_u32_e32 40, v169
	s_cbranch_execz .LBB124_311
; %bb.310:
	scratch_load_b128 v[5:8], v195, off
	v_mov_b32_e32 v2, v1
	v_mov_b32_e32 v3, v1
	;; [unrolled: 1-line block ×3, first 2 shown]
	scratch_store_b128 off, v[1:4], off offset:640
	s_waitcnt vmcnt(0)
	ds_store_b128 v229, v[5:8]
.LBB124_311:
	s_or_b32 exec_lo, exec_lo, s2
	s_waitcnt lgkmcnt(0)
	s_waitcnt_vscnt null, 0x0
	s_barrier
	buffer_gl0_inv
	s_clause 0x8
	scratch_load_b128 v[2:5], off, off offset:656
	scratch_load_b128 v[6:9], off, off offset:672
	;; [unrolled: 1-line block ×9, first 2 shown]
	ds_load_b128 v[38:41], v1 offset:1632
	ds_load_b128 v[42:45], v1 offset:1648
	s_clause 0x1
	scratch_load_b128 v[57:60], off, off offset:640
	scratch_load_b128 v[61:64], off, off offset:800
	s_mov_b32 s2, exec_lo
	s_waitcnt vmcnt(10) lgkmcnt(1)
	v_mul_f64 v[65:66], v[40:41], v[4:5]
	v_mul_f64 v[4:5], v[38:39], v[4:5]
	s_waitcnt vmcnt(9) lgkmcnt(0)
	v_mul_f64 v[69:70], v[42:43], v[8:9]
	v_mul_f64 v[8:9], v[44:45], v[8:9]
	s_delay_alu instid0(VALU_DEP_4) | instskip(NEXT) | instid1(VALU_DEP_4)
	v_fma_f64 v[91:92], v[38:39], v[2:3], -v[65:66]
	v_fma_f64 v[170:171], v[40:41], v[2:3], v[4:5]
	ds_load_b128 v[2:5], v1 offset:1664
	ds_load_b128 v[65:68], v1 offset:1680
	scratch_load_b128 v[38:41], off, off offset:816
	v_fma_f64 v[44:45], v[44:45], v[6:7], v[69:70]
	v_fma_f64 v[42:43], v[42:43], v[6:7], -v[8:9]
	scratch_load_b128 v[6:9], off, off offset:832
	s_waitcnt vmcnt(10) lgkmcnt(1)
	v_mul_f64 v[172:173], v[2:3], v[12:13]
	v_mul_f64 v[12:13], v[4:5], v[12:13]
	v_add_f64 v[69:70], v[91:92], 0
	v_add_f64 v[91:92], v[170:171], 0
	s_waitcnt vmcnt(9) lgkmcnt(0)
	v_mul_f64 v[170:171], v[65:66], v[16:17]
	v_mul_f64 v[16:17], v[67:68], v[16:17]
	v_fma_f64 v[172:173], v[4:5], v[10:11], v[172:173]
	v_fma_f64 v[174:175], v[2:3], v[10:11], -v[12:13]
	ds_load_b128 v[2:5], v1 offset:1696
	scratch_load_b128 v[10:13], off, off offset:848
	v_add_f64 v[69:70], v[69:70], v[42:43]
	v_add_f64 v[91:92], v[91:92], v[44:45]
	ds_load_b128 v[42:45], v1 offset:1712
	v_fma_f64 v[67:68], v[67:68], v[14:15], v[170:171]
	v_fma_f64 v[65:66], v[65:66], v[14:15], -v[16:17]
	scratch_load_b128 v[14:17], off, off offset:864
	s_waitcnt vmcnt(10) lgkmcnt(1)
	v_mul_f64 v[176:177], v[2:3], v[20:21]
	v_mul_f64 v[20:21], v[4:5], v[20:21]
	s_waitcnt vmcnt(9) lgkmcnt(0)
	v_mul_f64 v[170:171], v[42:43], v[24:25]
	v_mul_f64 v[24:25], v[44:45], v[24:25]
	v_add_f64 v[69:70], v[69:70], v[174:175]
	v_add_f64 v[91:92], v[91:92], v[172:173]
	v_fma_f64 v[172:173], v[4:5], v[18:19], v[176:177]
	v_fma_f64 v[174:175], v[2:3], v[18:19], -v[20:21]
	ds_load_b128 v[2:5], v1 offset:1728
	scratch_load_b128 v[18:21], off, off offset:880
	v_fma_f64 v[44:45], v[44:45], v[22:23], v[170:171]
	v_fma_f64 v[42:43], v[42:43], v[22:23], -v[24:25]
	scratch_load_b128 v[22:25], off, off offset:896
	v_add_f64 v[69:70], v[69:70], v[65:66]
	v_add_f64 v[91:92], v[91:92], v[67:68]
	ds_load_b128 v[65:68], v1 offset:1744
	s_waitcnt vmcnt(10) lgkmcnt(1)
	v_mul_f64 v[176:177], v[2:3], v[28:29]
	v_mul_f64 v[28:29], v[4:5], v[28:29]
	s_waitcnt vmcnt(9) lgkmcnt(0)
	v_mul_f64 v[170:171], v[65:66], v[32:33]
	v_mul_f64 v[32:33], v[67:68], v[32:33]
	v_add_f64 v[69:70], v[69:70], v[174:175]
	v_add_f64 v[91:92], v[91:92], v[172:173]
	v_fma_f64 v[172:173], v[4:5], v[26:27], v[176:177]
	v_fma_f64 v[174:175], v[2:3], v[26:27], -v[28:29]
	ds_load_b128 v[2:5], v1 offset:1760
	scratch_load_b128 v[26:29], off, off offset:912
	v_fma_f64 v[67:68], v[67:68], v[30:31], v[170:171]
	v_fma_f64 v[65:66], v[65:66], v[30:31], -v[32:33]
	scratch_load_b128 v[30:33], off, off offset:928
	v_add_f64 v[69:70], v[69:70], v[42:43]
	v_add_f64 v[91:92], v[91:92], v[44:45]
	ds_load_b128 v[42:45], v1 offset:1776
	s_waitcnt vmcnt(10) lgkmcnt(1)
	v_mul_f64 v[176:177], v[2:3], v[36:37]
	v_mul_f64 v[36:37], v[4:5], v[36:37]
	s_waitcnt vmcnt(8) lgkmcnt(0)
	v_mul_f64 v[170:171], v[42:43], v[63:64]
	v_add_f64 v[69:70], v[69:70], v[174:175]
	v_add_f64 v[91:92], v[91:92], v[172:173]
	v_mul_f64 v[172:173], v[44:45], v[63:64]
	v_fma_f64 v[174:175], v[4:5], v[34:35], v[176:177]
	v_fma_f64 v[176:177], v[2:3], v[34:35], -v[36:37]
	ds_load_b128 v[2:5], v1 offset:1792
	scratch_load_b128 v[34:37], off, off offset:944
	v_fma_f64 v[44:45], v[44:45], v[61:62], v[170:171]
	v_add_f64 v[69:70], v[69:70], v[65:66]
	v_add_f64 v[67:68], v[91:92], v[67:68]
	ds_load_b128 v[63:66], v1 offset:1808
	v_fma_f64 v[61:62], v[42:43], v[61:62], -v[172:173]
	s_waitcnt vmcnt(8) lgkmcnt(1)
	v_mul_f64 v[91:92], v[2:3], v[40:41]
	v_mul_f64 v[178:179], v[4:5], v[40:41]
	scratch_load_b128 v[40:43], off, off offset:960
	s_waitcnt vmcnt(8) lgkmcnt(0)
	v_mul_f64 v[170:171], v[63:64], v[8:9]
	v_mul_f64 v[8:9], v[65:66], v[8:9]
	v_add_f64 v[69:70], v[69:70], v[176:177]
	v_add_f64 v[67:68], v[67:68], v[174:175]
	v_fma_f64 v[91:92], v[4:5], v[38:39], v[91:92]
	v_fma_f64 v[38:39], v[2:3], v[38:39], -v[178:179]
	v_fma_f64 v[65:66], v[65:66], v[6:7], v[170:171]
	v_fma_f64 v[6:7], v[63:64], v[6:7], -v[8:9]
	v_add_f64 v[61:62], v[69:70], v[61:62]
	v_add_f64 v[44:45], v[67:68], v[44:45]
	ds_load_b128 v[2:5], v1 offset:1824
	ds_load_b128 v[67:70], v1 offset:1840
	s_waitcnt vmcnt(7) lgkmcnt(1)
	v_mul_f64 v[172:173], v[2:3], v[12:13]
	v_mul_f64 v[12:13], v[4:5], v[12:13]
	v_add_f64 v[8:9], v[61:62], v[38:39]
	v_add_f64 v[38:39], v[44:45], v[91:92]
	s_waitcnt vmcnt(6) lgkmcnt(0)
	v_mul_f64 v[44:45], v[67:68], v[16:17]
	v_mul_f64 v[16:17], v[69:70], v[16:17]
	v_fma_f64 v[61:62], v[4:5], v[10:11], v[172:173]
	v_fma_f64 v[10:11], v[2:3], v[10:11], -v[12:13]
	v_add_f64 v[12:13], v[8:9], v[6:7]
	v_add_f64 v[38:39], v[38:39], v[65:66]
	ds_load_b128 v[2:5], v1 offset:1856
	ds_load_b128 v[6:9], v1 offset:1872
	v_fma_f64 v[44:45], v[69:70], v[14:15], v[44:45]
	v_fma_f64 v[14:15], v[67:68], v[14:15], -v[16:17]
	s_waitcnt vmcnt(5) lgkmcnt(1)
	v_mul_f64 v[63:64], v[2:3], v[20:21]
	v_mul_f64 v[20:21], v[4:5], v[20:21]
	s_waitcnt vmcnt(4) lgkmcnt(0)
	v_mul_f64 v[16:17], v[6:7], v[24:25]
	v_mul_f64 v[24:25], v[8:9], v[24:25]
	v_add_f64 v[10:11], v[12:13], v[10:11]
	v_add_f64 v[12:13], v[38:39], v[61:62]
	v_fma_f64 v[38:39], v[4:5], v[18:19], v[63:64]
	v_fma_f64 v[18:19], v[2:3], v[18:19], -v[20:21]
	v_fma_f64 v[8:9], v[8:9], v[22:23], v[16:17]
	v_fma_f64 v[6:7], v[6:7], v[22:23], -v[24:25]
	v_add_f64 v[14:15], v[10:11], v[14:15]
	v_add_f64 v[20:21], v[12:13], v[44:45]
	ds_load_b128 v[2:5], v1 offset:1888
	ds_load_b128 v[10:13], v1 offset:1904
	s_waitcnt vmcnt(3) lgkmcnt(1)
	v_mul_f64 v[44:45], v[2:3], v[28:29]
	v_mul_f64 v[28:29], v[4:5], v[28:29]
	v_add_f64 v[14:15], v[14:15], v[18:19]
	v_add_f64 v[16:17], v[20:21], v[38:39]
	s_waitcnt vmcnt(2) lgkmcnt(0)
	v_mul_f64 v[18:19], v[10:11], v[32:33]
	v_mul_f64 v[20:21], v[12:13], v[32:33]
	v_fma_f64 v[22:23], v[4:5], v[26:27], v[44:45]
	v_fma_f64 v[24:25], v[2:3], v[26:27], -v[28:29]
	v_add_f64 v[14:15], v[14:15], v[6:7]
	v_add_f64 v[16:17], v[16:17], v[8:9]
	ds_load_b128 v[2:5], v1 offset:1920
	ds_load_b128 v[6:9], v1 offset:1936
	v_fma_f64 v[12:13], v[12:13], v[30:31], v[18:19]
	v_fma_f64 v[10:11], v[10:11], v[30:31], -v[20:21]
	s_waitcnt vmcnt(1) lgkmcnt(1)
	v_mul_f64 v[26:27], v[2:3], v[36:37]
	v_mul_f64 v[28:29], v[4:5], v[36:37]
	s_waitcnt vmcnt(0) lgkmcnt(0)
	v_mul_f64 v[18:19], v[6:7], v[42:43]
	v_add_f64 v[14:15], v[14:15], v[24:25]
	v_add_f64 v[16:17], v[16:17], v[22:23]
	v_mul_f64 v[20:21], v[8:9], v[42:43]
	v_fma_f64 v[4:5], v[4:5], v[34:35], v[26:27]
	v_fma_f64 v[1:2], v[2:3], v[34:35], -v[28:29]
	v_fma_f64 v[8:9], v[8:9], v[40:41], v[18:19]
	v_add_f64 v[10:11], v[14:15], v[10:11]
	v_add_f64 v[12:13], v[16:17], v[12:13]
	v_fma_f64 v[6:7], v[6:7], v[40:41], -v[20:21]
	s_delay_alu instid0(VALU_DEP_3) | instskip(NEXT) | instid1(VALU_DEP_3)
	v_add_f64 v[1:2], v[10:11], v[1:2]
	v_add_f64 v[3:4], v[12:13], v[4:5]
	s_delay_alu instid0(VALU_DEP_2) | instskip(NEXT) | instid1(VALU_DEP_2)
	v_add_f64 v[1:2], v[1:2], v[6:7]
	v_add_f64 v[3:4], v[3:4], v[8:9]
	s_delay_alu instid0(VALU_DEP_2) | instskip(NEXT) | instid1(VALU_DEP_2)
	v_add_f64 v[1:2], v[57:58], -v[1:2]
	v_add_f64 v[3:4], v[59:60], -v[3:4]
	scratch_store_b128 off, v[1:4], off offset:640
	v_cmpx_lt_u32_e32 39, v169
	s_cbranch_execz .LBB124_313
; %bb.312:
	scratch_load_b128 v[1:4], v197, off
	v_mov_b32_e32 v5, 0
	s_delay_alu instid0(VALU_DEP_1)
	v_mov_b32_e32 v6, v5
	v_mov_b32_e32 v7, v5
	v_mov_b32_e32 v8, v5
	scratch_store_b128 off, v[5:8], off offset:624
	s_waitcnt vmcnt(0)
	ds_store_b128 v229, v[1:4]
.LBB124_313:
	s_or_b32 exec_lo, exec_lo, s2
	s_waitcnt lgkmcnt(0)
	s_waitcnt_vscnt null, 0x0
	s_barrier
	buffer_gl0_inv
	s_clause 0x7
	scratch_load_b128 v[2:5], off, off offset:640
	scratch_load_b128 v[6:9], off, off offset:656
	;; [unrolled: 1-line block ×8, first 2 shown]
	v_mov_b32_e32 v1, 0
	s_mov_b32 s2, exec_lo
	ds_load_b128 v[34:37], v1 offset:1616
	s_clause 0x1
	scratch_load_b128 v[38:41], off, off offset:768
	scratch_load_b128 v[42:45], off, off offset:624
	ds_load_b128 v[57:60], v1 offset:1632
	scratch_load_b128 v[61:64], off, off offset:784
	s_waitcnt vmcnt(10) lgkmcnt(1)
	v_mul_f64 v[65:66], v[36:37], v[4:5]
	v_mul_f64 v[4:5], v[34:35], v[4:5]
	s_delay_alu instid0(VALU_DEP_2) | instskip(NEXT) | instid1(VALU_DEP_2)
	v_fma_f64 v[91:92], v[34:35], v[2:3], -v[65:66]
	v_fma_f64 v[170:171], v[36:37], v[2:3], v[4:5]
	scratch_load_b128 v[34:37], off, off offset:800
	ds_load_b128 v[2:5], v1 offset:1648
	s_waitcnt vmcnt(10) lgkmcnt(1)
	v_mul_f64 v[69:70], v[57:58], v[8:9]
	v_mul_f64 v[8:9], v[59:60], v[8:9]
	ds_load_b128 v[65:68], v1 offset:1664
	s_waitcnt vmcnt(9) lgkmcnt(1)
	v_mul_f64 v[172:173], v[2:3], v[12:13]
	v_mul_f64 v[12:13], v[4:5], v[12:13]
	v_fma_f64 v[59:60], v[59:60], v[6:7], v[69:70]
	v_fma_f64 v[57:58], v[57:58], v[6:7], -v[8:9]
	v_add_f64 v[69:70], v[91:92], 0
	v_add_f64 v[91:92], v[170:171], 0
	scratch_load_b128 v[6:9], off, off offset:816
	v_fma_f64 v[172:173], v[4:5], v[10:11], v[172:173]
	v_fma_f64 v[174:175], v[2:3], v[10:11], -v[12:13]
	scratch_load_b128 v[10:13], off, off offset:832
	ds_load_b128 v[2:5], v1 offset:1680
	s_waitcnt vmcnt(10) lgkmcnt(1)
	v_mul_f64 v[170:171], v[65:66], v[16:17]
	v_mul_f64 v[16:17], v[67:68], v[16:17]
	v_add_f64 v[69:70], v[69:70], v[57:58]
	v_add_f64 v[91:92], v[91:92], v[59:60]
	s_waitcnt vmcnt(9) lgkmcnt(0)
	v_mul_f64 v[176:177], v[2:3], v[20:21]
	v_mul_f64 v[20:21], v[4:5], v[20:21]
	ds_load_b128 v[57:60], v1 offset:1696
	v_fma_f64 v[67:68], v[67:68], v[14:15], v[170:171]
	v_fma_f64 v[65:66], v[65:66], v[14:15], -v[16:17]
	scratch_load_b128 v[14:17], off, off offset:848
	v_add_f64 v[69:70], v[69:70], v[174:175]
	v_add_f64 v[91:92], v[91:92], v[172:173]
	v_fma_f64 v[172:173], v[4:5], v[18:19], v[176:177]
	v_fma_f64 v[174:175], v[2:3], v[18:19], -v[20:21]
	scratch_load_b128 v[18:21], off, off offset:864
	ds_load_b128 v[2:5], v1 offset:1712
	s_waitcnt vmcnt(10) lgkmcnt(1)
	v_mul_f64 v[170:171], v[57:58], v[24:25]
	v_mul_f64 v[24:25], v[59:60], v[24:25]
	s_waitcnt vmcnt(9) lgkmcnt(0)
	v_mul_f64 v[176:177], v[2:3], v[28:29]
	v_mul_f64 v[28:29], v[4:5], v[28:29]
	v_add_f64 v[69:70], v[69:70], v[65:66]
	v_add_f64 v[91:92], v[91:92], v[67:68]
	ds_load_b128 v[65:68], v1 offset:1728
	v_fma_f64 v[59:60], v[59:60], v[22:23], v[170:171]
	v_fma_f64 v[57:58], v[57:58], v[22:23], -v[24:25]
	scratch_load_b128 v[22:25], off, off offset:880
	v_add_f64 v[69:70], v[69:70], v[174:175]
	v_add_f64 v[91:92], v[91:92], v[172:173]
	v_fma_f64 v[172:173], v[4:5], v[26:27], v[176:177]
	v_fma_f64 v[174:175], v[2:3], v[26:27], -v[28:29]
	scratch_load_b128 v[26:29], off, off offset:896
	ds_load_b128 v[2:5], v1 offset:1744
	s_waitcnt vmcnt(10) lgkmcnt(1)
	v_mul_f64 v[170:171], v[65:66], v[32:33]
	v_mul_f64 v[32:33], v[67:68], v[32:33]
	s_waitcnt vmcnt(9) lgkmcnt(0)
	v_mul_f64 v[176:177], v[2:3], v[40:41]
	v_mul_f64 v[40:41], v[4:5], v[40:41]
	v_add_f64 v[69:70], v[69:70], v[57:58]
	v_add_f64 v[91:92], v[91:92], v[59:60]
	ds_load_b128 v[57:60], v1 offset:1760
	v_fma_f64 v[67:68], v[67:68], v[30:31], v[170:171]
	v_fma_f64 v[65:66], v[65:66], v[30:31], -v[32:33]
	scratch_load_b128 v[30:33], off, off offset:912
	v_add_f64 v[69:70], v[69:70], v[174:175]
	v_add_f64 v[91:92], v[91:92], v[172:173]
	v_fma_f64 v[174:175], v[4:5], v[38:39], v[176:177]
	v_fma_f64 v[176:177], v[2:3], v[38:39], -v[40:41]
	scratch_load_b128 v[38:41], off, off offset:928
	ds_load_b128 v[2:5], v1 offset:1776
	s_waitcnt vmcnt(9) lgkmcnt(1)
	v_mul_f64 v[170:171], v[57:58], v[63:64]
	v_mul_f64 v[172:173], v[59:60], v[63:64]
	v_add_f64 v[69:70], v[69:70], v[65:66]
	v_add_f64 v[67:68], v[91:92], v[67:68]
	ds_load_b128 v[63:66], v1 offset:1792
	v_fma_f64 v[170:171], v[59:60], v[61:62], v[170:171]
	v_fma_f64 v[61:62], v[57:58], v[61:62], -v[172:173]
	scratch_load_b128 v[57:60], off, off offset:944
	s_waitcnt vmcnt(9) lgkmcnt(1)
	v_mul_f64 v[91:92], v[2:3], v[36:37]
	v_mul_f64 v[36:37], v[4:5], v[36:37]
	v_add_f64 v[69:70], v[69:70], v[176:177]
	v_add_f64 v[67:68], v[67:68], v[174:175]
	s_delay_alu instid0(VALU_DEP_4) | instskip(NEXT) | instid1(VALU_DEP_4)
	v_fma_f64 v[91:92], v[4:5], v[34:35], v[91:92]
	v_fma_f64 v[174:175], v[2:3], v[34:35], -v[36:37]
	scratch_load_b128 v[34:37], off, off offset:960
	ds_load_b128 v[2:5], v1 offset:1808
	s_waitcnt vmcnt(9) lgkmcnt(1)
	v_mul_f64 v[172:173], v[63:64], v[8:9]
	v_mul_f64 v[8:9], v[65:66], v[8:9]
	s_waitcnt vmcnt(8) lgkmcnt(0)
	v_mul_f64 v[176:177], v[2:3], v[12:13]
	v_mul_f64 v[12:13], v[4:5], v[12:13]
	v_add_f64 v[61:62], v[69:70], v[61:62]
	v_add_f64 v[170:171], v[67:68], v[170:171]
	ds_load_b128 v[67:70], v1 offset:1824
	v_fma_f64 v[65:66], v[65:66], v[6:7], v[172:173]
	v_fma_f64 v[6:7], v[63:64], v[6:7], -v[8:9]
	v_add_f64 v[8:9], v[61:62], v[174:175]
	v_add_f64 v[61:62], v[170:171], v[91:92]
	s_waitcnt vmcnt(7) lgkmcnt(0)
	v_mul_f64 v[63:64], v[67:68], v[16:17]
	v_mul_f64 v[16:17], v[69:70], v[16:17]
	v_fma_f64 v[91:92], v[4:5], v[10:11], v[176:177]
	v_fma_f64 v[10:11], v[2:3], v[10:11], -v[12:13]
	v_add_f64 v[12:13], v[8:9], v[6:7]
	v_add_f64 v[61:62], v[61:62], v[65:66]
	ds_load_b128 v[2:5], v1 offset:1840
	ds_load_b128 v[6:9], v1 offset:1856
	v_fma_f64 v[63:64], v[69:70], v[14:15], v[63:64]
	v_fma_f64 v[14:15], v[67:68], v[14:15], -v[16:17]
	s_waitcnt vmcnt(6) lgkmcnt(1)
	v_mul_f64 v[65:66], v[2:3], v[20:21]
	v_mul_f64 v[20:21], v[4:5], v[20:21]
	s_waitcnt vmcnt(5) lgkmcnt(0)
	v_mul_f64 v[16:17], v[6:7], v[24:25]
	v_mul_f64 v[24:25], v[8:9], v[24:25]
	v_add_f64 v[10:11], v[12:13], v[10:11]
	v_add_f64 v[12:13], v[61:62], v[91:92]
	v_fma_f64 v[61:62], v[4:5], v[18:19], v[65:66]
	v_fma_f64 v[18:19], v[2:3], v[18:19], -v[20:21]
	v_fma_f64 v[8:9], v[8:9], v[22:23], v[16:17]
	v_fma_f64 v[6:7], v[6:7], v[22:23], -v[24:25]
	v_add_f64 v[14:15], v[10:11], v[14:15]
	v_add_f64 v[20:21], v[12:13], v[63:64]
	ds_load_b128 v[2:5], v1 offset:1872
	ds_load_b128 v[10:13], v1 offset:1888
	s_waitcnt vmcnt(4) lgkmcnt(1)
	v_mul_f64 v[63:64], v[2:3], v[28:29]
	v_mul_f64 v[28:29], v[4:5], v[28:29]
	v_add_f64 v[14:15], v[14:15], v[18:19]
	v_add_f64 v[16:17], v[20:21], v[61:62]
	s_waitcnt vmcnt(3) lgkmcnt(0)
	v_mul_f64 v[18:19], v[10:11], v[32:33]
	v_mul_f64 v[20:21], v[12:13], v[32:33]
	v_fma_f64 v[22:23], v[4:5], v[26:27], v[63:64]
	v_fma_f64 v[24:25], v[2:3], v[26:27], -v[28:29]
	v_add_f64 v[14:15], v[14:15], v[6:7]
	v_add_f64 v[16:17], v[16:17], v[8:9]
	ds_load_b128 v[2:5], v1 offset:1904
	ds_load_b128 v[6:9], v1 offset:1920
	v_fma_f64 v[12:13], v[12:13], v[30:31], v[18:19]
	v_fma_f64 v[10:11], v[10:11], v[30:31], -v[20:21]
	s_waitcnt vmcnt(2) lgkmcnt(1)
	v_mul_f64 v[26:27], v[2:3], v[40:41]
	v_mul_f64 v[28:29], v[4:5], v[40:41]
	s_waitcnt vmcnt(1) lgkmcnt(0)
	v_mul_f64 v[18:19], v[6:7], v[59:60]
	v_mul_f64 v[20:21], v[8:9], v[59:60]
	v_add_f64 v[14:15], v[14:15], v[24:25]
	v_add_f64 v[16:17], v[16:17], v[22:23]
	v_fma_f64 v[22:23], v[4:5], v[38:39], v[26:27]
	v_fma_f64 v[24:25], v[2:3], v[38:39], -v[28:29]
	ds_load_b128 v[2:5], v1 offset:1936
	v_fma_f64 v[8:9], v[8:9], v[57:58], v[18:19]
	v_fma_f64 v[6:7], v[6:7], v[57:58], -v[20:21]
	v_add_f64 v[10:11], v[14:15], v[10:11]
	v_add_f64 v[12:13], v[16:17], v[12:13]
	s_waitcnt vmcnt(0) lgkmcnt(0)
	v_mul_f64 v[14:15], v[2:3], v[36:37]
	v_mul_f64 v[16:17], v[4:5], v[36:37]
	s_delay_alu instid0(VALU_DEP_4) | instskip(NEXT) | instid1(VALU_DEP_4)
	v_add_f64 v[10:11], v[10:11], v[24:25]
	v_add_f64 v[12:13], v[12:13], v[22:23]
	s_delay_alu instid0(VALU_DEP_4) | instskip(NEXT) | instid1(VALU_DEP_4)
	v_fma_f64 v[4:5], v[4:5], v[34:35], v[14:15]
	v_fma_f64 v[2:3], v[2:3], v[34:35], -v[16:17]
	s_delay_alu instid0(VALU_DEP_4) | instskip(NEXT) | instid1(VALU_DEP_4)
	v_add_f64 v[6:7], v[10:11], v[6:7]
	v_add_f64 v[8:9], v[12:13], v[8:9]
	s_delay_alu instid0(VALU_DEP_2) | instskip(NEXT) | instid1(VALU_DEP_2)
	v_add_f64 v[2:3], v[6:7], v[2:3]
	v_add_f64 v[4:5], v[8:9], v[4:5]
	s_delay_alu instid0(VALU_DEP_2) | instskip(NEXT) | instid1(VALU_DEP_2)
	v_add_f64 v[2:3], v[42:43], -v[2:3]
	v_add_f64 v[4:5], v[44:45], -v[4:5]
	scratch_store_b128 off, v[2:5], off offset:624
	v_cmpx_lt_u32_e32 38, v169
	s_cbranch_execz .LBB124_315
; %bb.314:
	scratch_load_b128 v[5:8], v200, off
	v_mov_b32_e32 v2, v1
	v_mov_b32_e32 v3, v1
	;; [unrolled: 1-line block ×3, first 2 shown]
	scratch_store_b128 off, v[1:4], off offset:608
	s_waitcnt vmcnt(0)
	ds_store_b128 v229, v[5:8]
.LBB124_315:
	s_or_b32 exec_lo, exec_lo, s2
	s_waitcnt lgkmcnt(0)
	s_waitcnt_vscnt null, 0x0
	s_barrier
	buffer_gl0_inv
	s_clause 0x8
	scratch_load_b128 v[2:5], off, off offset:624
	scratch_load_b128 v[6:9], off, off offset:640
	;; [unrolled: 1-line block ×9, first 2 shown]
	ds_load_b128 v[38:41], v1 offset:1600
	ds_load_b128 v[42:45], v1 offset:1616
	s_clause 0x1
	scratch_load_b128 v[57:60], off, off offset:608
	scratch_load_b128 v[61:64], off, off offset:768
	s_mov_b32 s2, exec_lo
	ds_load_b128 v[214:217], v1 offset:1808
	s_waitcnt vmcnt(10) lgkmcnt(2)
	v_mul_f64 v[65:66], v[40:41], v[4:5]
	v_mul_f64 v[4:5], v[38:39], v[4:5]
	s_waitcnt vmcnt(9) lgkmcnt(1)
	v_mul_f64 v[69:70], v[42:43], v[8:9]
	v_mul_f64 v[8:9], v[44:45], v[8:9]
	s_delay_alu instid0(VALU_DEP_4) | instskip(NEXT) | instid1(VALU_DEP_4)
	v_fma_f64 v[91:92], v[38:39], v[2:3], -v[65:66]
	v_fma_f64 v[170:171], v[40:41], v[2:3], v[4:5]
	ds_load_b128 v[2:5], v1 offset:1632
	ds_load_b128 v[65:68], v1 offset:1648
	scratch_load_b128 v[38:41], off, off offset:784
	v_fma_f64 v[44:45], v[44:45], v[6:7], v[69:70]
	v_fma_f64 v[42:43], v[42:43], v[6:7], -v[8:9]
	scratch_load_b128 v[6:9], off, off offset:800
	s_waitcnt vmcnt(10) lgkmcnt(1)
	v_mul_f64 v[172:173], v[2:3], v[12:13]
	v_mul_f64 v[12:13], v[4:5], v[12:13]
	v_add_f64 v[69:70], v[91:92], 0
	v_add_f64 v[91:92], v[170:171], 0
	s_waitcnt vmcnt(9) lgkmcnt(0)
	v_mul_f64 v[170:171], v[65:66], v[16:17]
	v_mul_f64 v[16:17], v[67:68], v[16:17]
	v_fma_f64 v[172:173], v[4:5], v[10:11], v[172:173]
	v_fma_f64 v[174:175], v[2:3], v[10:11], -v[12:13]
	ds_load_b128 v[2:5], v1 offset:1664
	scratch_load_b128 v[10:13], off, off offset:816
	v_add_f64 v[69:70], v[69:70], v[42:43]
	v_add_f64 v[91:92], v[91:92], v[44:45]
	ds_load_b128 v[42:45], v1 offset:1680
	v_fma_f64 v[67:68], v[67:68], v[14:15], v[170:171]
	v_fma_f64 v[65:66], v[65:66], v[14:15], -v[16:17]
	scratch_load_b128 v[14:17], off, off offset:832
	s_waitcnt vmcnt(10) lgkmcnt(1)
	v_mul_f64 v[176:177], v[2:3], v[20:21]
	v_mul_f64 v[20:21], v[4:5], v[20:21]
	s_waitcnt vmcnt(9) lgkmcnt(0)
	v_mul_f64 v[170:171], v[42:43], v[24:25]
	v_mul_f64 v[24:25], v[44:45], v[24:25]
	v_add_f64 v[69:70], v[69:70], v[174:175]
	v_add_f64 v[91:92], v[91:92], v[172:173]
	v_fma_f64 v[172:173], v[4:5], v[18:19], v[176:177]
	v_fma_f64 v[174:175], v[2:3], v[18:19], -v[20:21]
	ds_load_b128 v[2:5], v1 offset:1696
	scratch_load_b128 v[18:21], off, off offset:848
	v_fma_f64 v[44:45], v[44:45], v[22:23], v[170:171]
	v_fma_f64 v[42:43], v[42:43], v[22:23], -v[24:25]
	scratch_load_b128 v[22:25], off, off offset:864
	v_add_f64 v[69:70], v[69:70], v[65:66]
	v_add_f64 v[91:92], v[91:92], v[67:68]
	ds_load_b128 v[65:68], v1 offset:1712
	s_waitcnt vmcnt(10) lgkmcnt(1)
	v_mul_f64 v[176:177], v[2:3], v[28:29]
	v_mul_f64 v[28:29], v[4:5], v[28:29]
	s_waitcnt vmcnt(9) lgkmcnt(0)
	v_mul_f64 v[170:171], v[65:66], v[32:33]
	v_mul_f64 v[32:33], v[67:68], v[32:33]
	v_add_f64 v[69:70], v[69:70], v[174:175]
	v_add_f64 v[91:92], v[91:92], v[172:173]
	v_fma_f64 v[172:173], v[4:5], v[26:27], v[176:177]
	v_fma_f64 v[174:175], v[2:3], v[26:27], -v[28:29]
	ds_load_b128 v[2:5], v1 offset:1728
	scratch_load_b128 v[26:29], off, off offset:880
	v_fma_f64 v[67:68], v[67:68], v[30:31], v[170:171]
	v_fma_f64 v[65:66], v[65:66], v[30:31], -v[32:33]
	scratch_load_b128 v[30:33], off, off offset:896
	v_add_f64 v[69:70], v[69:70], v[42:43]
	v_add_f64 v[91:92], v[91:92], v[44:45]
	ds_load_b128 v[42:45], v1 offset:1744
	s_waitcnt vmcnt(10) lgkmcnt(1)
	v_mul_f64 v[176:177], v[2:3], v[36:37]
	v_mul_f64 v[36:37], v[4:5], v[36:37]
	s_waitcnt vmcnt(8) lgkmcnt(0)
	v_mul_f64 v[170:171], v[42:43], v[63:64]
	v_add_f64 v[69:70], v[69:70], v[174:175]
	v_add_f64 v[91:92], v[91:92], v[172:173]
	v_mul_f64 v[172:173], v[44:45], v[63:64]
	v_fma_f64 v[174:175], v[4:5], v[34:35], v[176:177]
	v_fma_f64 v[176:177], v[2:3], v[34:35], -v[36:37]
	ds_load_b128 v[2:5], v1 offset:1760
	scratch_load_b128 v[34:37], off, off offset:912
	v_fma_f64 v[44:45], v[44:45], v[61:62], v[170:171]
	v_add_f64 v[69:70], v[69:70], v[65:66]
	v_add_f64 v[67:68], v[91:92], v[67:68]
	ds_load_b128 v[63:66], v1 offset:1776
	v_fma_f64 v[61:62], v[42:43], v[61:62], -v[172:173]
	s_waitcnt vmcnt(8) lgkmcnt(1)
	v_mul_f64 v[91:92], v[2:3], v[40:41]
	v_mul_f64 v[178:179], v[4:5], v[40:41]
	scratch_load_b128 v[40:43], off, off offset:928
	s_waitcnt vmcnt(8) lgkmcnt(0)
	v_mul_f64 v[170:171], v[63:64], v[8:9]
	v_mul_f64 v[8:9], v[65:66], v[8:9]
	v_add_f64 v[69:70], v[69:70], v[176:177]
	v_add_f64 v[67:68], v[67:68], v[174:175]
	v_fma_f64 v[91:92], v[4:5], v[38:39], v[91:92]
	v_fma_f64 v[38:39], v[2:3], v[38:39], -v[178:179]
	ds_load_b128 v[2:5], v1 offset:1792
	v_fma_f64 v[65:66], v[65:66], v[6:7], v[170:171]
	v_fma_f64 v[63:64], v[63:64], v[6:7], -v[8:9]
	scratch_load_b128 v[6:9], off, off offset:960
	v_add_f64 v[61:62], v[69:70], v[61:62]
	v_add_f64 v[44:45], v[67:68], v[44:45]
	scratch_load_b128 v[67:70], off, off offset:944
	s_waitcnt vmcnt(9) lgkmcnt(0)
	v_mul_f64 v[172:173], v[2:3], v[12:13]
	v_mul_f64 v[12:13], v[4:5], v[12:13]
	v_add_f64 v[38:39], v[61:62], v[38:39]
	v_add_f64 v[44:45], v[44:45], v[91:92]
	s_waitcnt vmcnt(8)
	v_mul_f64 v[61:62], v[214:215], v[16:17]
	v_mul_f64 v[16:17], v[216:217], v[16:17]
	v_fma_f64 v[91:92], v[4:5], v[10:11], v[172:173]
	v_fma_f64 v[170:171], v[2:3], v[10:11], -v[12:13]
	ds_load_b128 v[2:5], v1 offset:1824
	ds_load_b128 v[10:13], v1 offset:1840
	v_add_f64 v[38:39], v[38:39], v[63:64]
	v_add_f64 v[44:45], v[44:45], v[65:66]
	s_waitcnt vmcnt(7) lgkmcnt(1)
	v_mul_f64 v[63:64], v[2:3], v[20:21]
	v_mul_f64 v[20:21], v[4:5], v[20:21]
	v_fma_f64 v[61:62], v[216:217], v[14:15], v[61:62]
	v_fma_f64 v[14:15], v[214:215], v[14:15], -v[16:17]
	v_add_f64 v[16:17], v[38:39], v[170:171]
	v_add_f64 v[38:39], v[44:45], v[91:92]
	s_waitcnt vmcnt(6) lgkmcnt(0)
	v_mul_f64 v[44:45], v[10:11], v[24:25]
	v_mul_f64 v[24:25], v[12:13], v[24:25]
	v_fma_f64 v[63:64], v[4:5], v[18:19], v[63:64]
	v_fma_f64 v[18:19], v[2:3], v[18:19], -v[20:21]
	v_add_f64 v[20:21], v[16:17], v[14:15]
	v_add_f64 v[38:39], v[38:39], v[61:62]
	ds_load_b128 v[2:5], v1 offset:1856
	ds_load_b128 v[14:17], v1 offset:1872
	v_fma_f64 v[12:13], v[12:13], v[22:23], v[44:45]
	v_fma_f64 v[10:11], v[10:11], v[22:23], -v[24:25]
	s_waitcnt vmcnt(5) lgkmcnt(1)
	v_mul_f64 v[61:62], v[2:3], v[28:29]
	v_mul_f64 v[28:29], v[4:5], v[28:29]
	s_waitcnt vmcnt(4) lgkmcnt(0)
	v_mul_f64 v[22:23], v[14:15], v[32:33]
	v_mul_f64 v[24:25], v[16:17], v[32:33]
	v_add_f64 v[18:19], v[20:21], v[18:19]
	v_add_f64 v[20:21], v[38:39], v[63:64]
	v_fma_f64 v[32:33], v[4:5], v[26:27], v[61:62]
	v_fma_f64 v[26:27], v[2:3], v[26:27], -v[28:29]
	v_fma_f64 v[16:17], v[16:17], v[30:31], v[22:23]
	v_fma_f64 v[14:15], v[14:15], v[30:31], -v[24:25]
	v_add_f64 v[18:19], v[18:19], v[10:11]
	v_add_f64 v[20:21], v[20:21], v[12:13]
	ds_load_b128 v[2:5], v1 offset:1888
	ds_load_b128 v[10:13], v1 offset:1904
	s_waitcnt vmcnt(3) lgkmcnt(1)
	v_mul_f64 v[28:29], v[2:3], v[36:37]
	v_mul_f64 v[36:37], v[4:5], v[36:37]
	s_waitcnt vmcnt(2) lgkmcnt(0)
	v_mul_f64 v[22:23], v[10:11], v[42:43]
	v_add_f64 v[18:19], v[18:19], v[26:27]
	v_add_f64 v[20:21], v[20:21], v[32:33]
	v_mul_f64 v[24:25], v[12:13], v[42:43]
	v_fma_f64 v[26:27], v[4:5], v[34:35], v[28:29]
	v_fma_f64 v[28:29], v[2:3], v[34:35], -v[36:37]
	v_fma_f64 v[12:13], v[12:13], v[40:41], v[22:23]
	v_add_f64 v[18:19], v[18:19], v[14:15]
	v_add_f64 v[20:21], v[20:21], v[16:17]
	ds_load_b128 v[2:5], v1 offset:1920
	ds_load_b128 v[14:17], v1 offset:1936
	v_fma_f64 v[10:11], v[10:11], v[40:41], -v[24:25]
	s_waitcnt vmcnt(0) lgkmcnt(1)
	v_mul_f64 v[30:31], v[2:3], v[69:70]
	v_mul_f64 v[32:33], v[4:5], v[69:70]
	s_waitcnt lgkmcnt(0)
	v_mul_f64 v[22:23], v[14:15], v[8:9]
	v_mul_f64 v[8:9], v[16:17], v[8:9]
	v_add_f64 v[18:19], v[18:19], v[28:29]
	v_add_f64 v[20:21], v[20:21], v[26:27]
	v_fma_f64 v[4:5], v[4:5], v[67:68], v[30:31]
	v_fma_f64 v[1:2], v[2:3], v[67:68], -v[32:33]
	v_fma_f64 v[16:17], v[16:17], v[6:7], v[22:23]
	v_fma_f64 v[6:7], v[14:15], v[6:7], -v[8:9]
	v_add_f64 v[10:11], v[18:19], v[10:11]
	v_add_f64 v[12:13], v[20:21], v[12:13]
	s_delay_alu instid0(VALU_DEP_2) | instskip(NEXT) | instid1(VALU_DEP_2)
	v_add_f64 v[1:2], v[10:11], v[1:2]
	v_add_f64 v[3:4], v[12:13], v[4:5]
	s_delay_alu instid0(VALU_DEP_2) | instskip(NEXT) | instid1(VALU_DEP_2)
	;; [unrolled: 3-line block ×3, first 2 shown]
	v_add_f64 v[1:2], v[57:58], -v[1:2]
	v_add_f64 v[3:4], v[59:60], -v[3:4]
	scratch_store_b128 off, v[1:4], off offset:608
	v_cmpx_lt_u32_e32 37, v169
	s_cbranch_execz .LBB124_317
; %bb.316:
	scratch_load_b128 v[1:4], v201, off
	v_mov_b32_e32 v5, 0
	s_delay_alu instid0(VALU_DEP_1)
	v_mov_b32_e32 v6, v5
	v_mov_b32_e32 v7, v5
	;; [unrolled: 1-line block ×3, first 2 shown]
	scratch_store_b128 off, v[5:8], off offset:592
	s_waitcnt vmcnt(0)
	ds_store_b128 v229, v[1:4]
.LBB124_317:
	s_or_b32 exec_lo, exec_lo, s2
	s_waitcnt lgkmcnt(0)
	s_waitcnt_vscnt null, 0x0
	s_barrier
	buffer_gl0_inv
	s_clause 0x7
	scratch_load_b128 v[2:5], off, off offset:608
	scratch_load_b128 v[6:9], off, off offset:624
	;; [unrolled: 1-line block ×8, first 2 shown]
	v_mov_b32_e32 v1, 0
	s_mov_b32 s2, exec_lo
	ds_load_b128 v[34:37], v1 offset:1584
	s_clause 0x1
	scratch_load_b128 v[38:41], off, off offset:736
	scratch_load_b128 v[42:45], off, off offset:592
	ds_load_b128 v[57:60], v1 offset:1600
	scratch_load_b128 v[61:64], off, off offset:752
	s_waitcnt vmcnt(10) lgkmcnt(1)
	v_mul_f64 v[65:66], v[36:37], v[4:5]
	v_mul_f64 v[4:5], v[34:35], v[4:5]
	s_delay_alu instid0(VALU_DEP_2) | instskip(NEXT) | instid1(VALU_DEP_2)
	v_fma_f64 v[91:92], v[34:35], v[2:3], -v[65:66]
	v_fma_f64 v[170:171], v[36:37], v[2:3], v[4:5]
	scratch_load_b128 v[34:37], off, off offset:768
	ds_load_b128 v[2:5], v1 offset:1616
	s_waitcnt vmcnt(10) lgkmcnt(1)
	v_mul_f64 v[69:70], v[57:58], v[8:9]
	v_mul_f64 v[8:9], v[59:60], v[8:9]
	ds_load_b128 v[65:68], v1 offset:1632
	s_waitcnt vmcnt(9) lgkmcnt(1)
	v_mul_f64 v[172:173], v[2:3], v[12:13]
	v_mul_f64 v[12:13], v[4:5], v[12:13]
	v_fma_f64 v[59:60], v[59:60], v[6:7], v[69:70]
	v_fma_f64 v[57:58], v[57:58], v[6:7], -v[8:9]
	v_add_f64 v[69:70], v[91:92], 0
	v_add_f64 v[91:92], v[170:171], 0
	scratch_load_b128 v[6:9], off, off offset:784
	v_fma_f64 v[172:173], v[4:5], v[10:11], v[172:173]
	v_fma_f64 v[174:175], v[2:3], v[10:11], -v[12:13]
	scratch_load_b128 v[10:13], off, off offset:800
	ds_load_b128 v[2:5], v1 offset:1648
	s_waitcnt vmcnt(10) lgkmcnt(1)
	v_mul_f64 v[170:171], v[65:66], v[16:17]
	v_mul_f64 v[16:17], v[67:68], v[16:17]
	v_add_f64 v[69:70], v[69:70], v[57:58]
	v_add_f64 v[91:92], v[91:92], v[59:60]
	s_waitcnt vmcnt(9) lgkmcnt(0)
	v_mul_f64 v[176:177], v[2:3], v[20:21]
	v_mul_f64 v[20:21], v[4:5], v[20:21]
	ds_load_b128 v[57:60], v1 offset:1664
	v_fma_f64 v[67:68], v[67:68], v[14:15], v[170:171]
	v_fma_f64 v[65:66], v[65:66], v[14:15], -v[16:17]
	scratch_load_b128 v[14:17], off, off offset:816
	v_add_f64 v[69:70], v[69:70], v[174:175]
	v_add_f64 v[91:92], v[91:92], v[172:173]
	v_fma_f64 v[172:173], v[4:5], v[18:19], v[176:177]
	v_fma_f64 v[174:175], v[2:3], v[18:19], -v[20:21]
	scratch_load_b128 v[18:21], off, off offset:832
	ds_load_b128 v[2:5], v1 offset:1680
	s_waitcnt vmcnt(10) lgkmcnt(1)
	v_mul_f64 v[170:171], v[57:58], v[24:25]
	v_mul_f64 v[24:25], v[59:60], v[24:25]
	s_waitcnt vmcnt(9) lgkmcnt(0)
	v_mul_f64 v[176:177], v[2:3], v[28:29]
	v_mul_f64 v[28:29], v[4:5], v[28:29]
	v_add_f64 v[69:70], v[69:70], v[65:66]
	v_add_f64 v[91:92], v[91:92], v[67:68]
	ds_load_b128 v[65:68], v1 offset:1696
	v_fma_f64 v[59:60], v[59:60], v[22:23], v[170:171]
	v_fma_f64 v[57:58], v[57:58], v[22:23], -v[24:25]
	scratch_load_b128 v[22:25], off, off offset:848
	v_add_f64 v[69:70], v[69:70], v[174:175]
	v_add_f64 v[91:92], v[91:92], v[172:173]
	v_fma_f64 v[172:173], v[4:5], v[26:27], v[176:177]
	v_fma_f64 v[174:175], v[2:3], v[26:27], -v[28:29]
	scratch_load_b128 v[26:29], off, off offset:864
	ds_load_b128 v[2:5], v1 offset:1712
	s_waitcnt vmcnt(10) lgkmcnt(1)
	v_mul_f64 v[170:171], v[65:66], v[32:33]
	v_mul_f64 v[32:33], v[67:68], v[32:33]
	s_waitcnt vmcnt(9) lgkmcnt(0)
	v_mul_f64 v[176:177], v[2:3], v[40:41]
	v_mul_f64 v[40:41], v[4:5], v[40:41]
	v_add_f64 v[69:70], v[69:70], v[57:58]
	v_add_f64 v[91:92], v[91:92], v[59:60]
	ds_load_b128 v[57:60], v1 offset:1728
	v_fma_f64 v[67:68], v[67:68], v[30:31], v[170:171]
	v_fma_f64 v[65:66], v[65:66], v[30:31], -v[32:33]
	scratch_load_b128 v[30:33], off, off offset:880
	v_add_f64 v[69:70], v[69:70], v[174:175]
	v_add_f64 v[91:92], v[91:92], v[172:173]
	v_fma_f64 v[174:175], v[4:5], v[38:39], v[176:177]
	v_fma_f64 v[176:177], v[2:3], v[38:39], -v[40:41]
	scratch_load_b128 v[38:41], off, off offset:896
	ds_load_b128 v[2:5], v1 offset:1744
	s_waitcnt vmcnt(9) lgkmcnt(1)
	v_mul_f64 v[170:171], v[57:58], v[63:64]
	v_mul_f64 v[172:173], v[59:60], v[63:64]
	v_add_f64 v[69:70], v[69:70], v[65:66]
	v_add_f64 v[67:68], v[91:92], v[67:68]
	ds_load_b128 v[63:66], v1 offset:1760
	v_fma_f64 v[170:171], v[59:60], v[61:62], v[170:171]
	v_fma_f64 v[61:62], v[57:58], v[61:62], -v[172:173]
	scratch_load_b128 v[57:60], off, off offset:912
	s_waitcnt vmcnt(9) lgkmcnt(1)
	v_mul_f64 v[91:92], v[2:3], v[36:37]
	v_mul_f64 v[36:37], v[4:5], v[36:37]
	v_add_f64 v[69:70], v[69:70], v[176:177]
	v_add_f64 v[67:68], v[67:68], v[174:175]
	s_delay_alu instid0(VALU_DEP_4) | instskip(NEXT) | instid1(VALU_DEP_4)
	v_fma_f64 v[91:92], v[4:5], v[34:35], v[91:92]
	v_fma_f64 v[174:175], v[2:3], v[34:35], -v[36:37]
	scratch_load_b128 v[34:37], off, off offset:928
	ds_load_b128 v[2:5], v1 offset:1776
	s_waitcnt vmcnt(9) lgkmcnt(1)
	v_mul_f64 v[172:173], v[63:64], v[8:9]
	v_mul_f64 v[8:9], v[65:66], v[8:9]
	s_waitcnt vmcnt(8) lgkmcnt(0)
	v_mul_f64 v[176:177], v[2:3], v[12:13]
	v_mul_f64 v[12:13], v[4:5], v[12:13]
	v_add_f64 v[61:62], v[69:70], v[61:62]
	v_add_f64 v[170:171], v[67:68], v[170:171]
	ds_load_b128 v[67:70], v1 offset:1792
	v_fma_f64 v[65:66], v[65:66], v[6:7], v[172:173]
	v_fma_f64 v[63:64], v[63:64], v[6:7], -v[8:9]
	scratch_load_b128 v[6:9], off, off offset:944
	v_fma_f64 v[172:173], v[4:5], v[10:11], v[176:177]
	v_add_f64 v[61:62], v[61:62], v[174:175]
	v_add_f64 v[91:92], v[170:171], v[91:92]
	v_fma_f64 v[174:175], v[2:3], v[10:11], -v[12:13]
	scratch_load_b128 v[10:13], off, off offset:960
	ds_load_b128 v[2:5], v1 offset:1808
	s_waitcnt vmcnt(9) lgkmcnt(1)
	v_mul_f64 v[170:171], v[67:68], v[16:17]
	v_mul_f64 v[16:17], v[69:70], v[16:17]
	v_add_f64 v[176:177], v[61:62], v[63:64]
	v_add_f64 v[65:66], v[91:92], v[65:66]
	s_waitcnt vmcnt(8) lgkmcnt(0)
	v_mul_f64 v[91:92], v[2:3], v[20:21]
	v_mul_f64 v[20:21], v[4:5], v[20:21]
	ds_load_b128 v[61:64], v1 offset:1824
	v_fma_f64 v[69:70], v[69:70], v[14:15], v[170:171]
	v_fma_f64 v[14:15], v[67:68], v[14:15], -v[16:17]
	s_waitcnt vmcnt(7) lgkmcnt(0)
	v_mul_f64 v[67:68], v[61:62], v[24:25]
	v_mul_f64 v[24:25], v[63:64], v[24:25]
	v_add_f64 v[16:17], v[176:177], v[174:175]
	v_add_f64 v[65:66], v[65:66], v[172:173]
	v_fma_f64 v[91:92], v[4:5], v[18:19], v[91:92]
	v_fma_f64 v[18:19], v[2:3], v[18:19], -v[20:21]
	v_fma_f64 v[63:64], v[63:64], v[22:23], v[67:68]
	v_fma_f64 v[22:23], v[61:62], v[22:23], -v[24:25]
	v_add_f64 v[20:21], v[16:17], v[14:15]
	v_add_f64 v[65:66], v[65:66], v[69:70]
	ds_load_b128 v[2:5], v1 offset:1840
	ds_load_b128 v[14:17], v1 offset:1856
	s_waitcnt vmcnt(6) lgkmcnt(1)
	v_mul_f64 v[69:70], v[2:3], v[28:29]
	v_mul_f64 v[28:29], v[4:5], v[28:29]
	s_waitcnt vmcnt(5) lgkmcnt(0)
	v_mul_f64 v[24:25], v[14:15], v[32:33]
	v_mul_f64 v[32:33], v[16:17], v[32:33]
	v_add_f64 v[18:19], v[20:21], v[18:19]
	v_add_f64 v[20:21], v[65:66], v[91:92]
	v_fma_f64 v[61:62], v[4:5], v[26:27], v[69:70]
	v_fma_f64 v[26:27], v[2:3], v[26:27], -v[28:29]
	v_fma_f64 v[16:17], v[16:17], v[30:31], v[24:25]
	v_fma_f64 v[14:15], v[14:15], v[30:31], -v[32:33]
	v_add_f64 v[22:23], v[18:19], v[22:23]
	v_add_f64 v[28:29], v[20:21], v[63:64]
	ds_load_b128 v[2:5], v1 offset:1872
	ds_load_b128 v[18:21], v1 offset:1888
	s_waitcnt vmcnt(4) lgkmcnt(1)
	v_mul_f64 v[63:64], v[2:3], v[40:41]
	v_mul_f64 v[40:41], v[4:5], v[40:41]
	v_add_f64 v[22:23], v[22:23], v[26:27]
	v_add_f64 v[24:25], v[28:29], v[61:62]
	s_waitcnt vmcnt(3) lgkmcnt(0)
	v_mul_f64 v[26:27], v[18:19], v[59:60]
	v_mul_f64 v[28:29], v[20:21], v[59:60]
	v_fma_f64 v[30:31], v[4:5], v[38:39], v[63:64]
	v_fma_f64 v[32:33], v[2:3], v[38:39], -v[40:41]
	v_add_f64 v[22:23], v[22:23], v[14:15]
	v_add_f64 v[24:25], v[24:25], v[16:17]
	ds_load_b128 v[2:5], v1 offset:1904
	ds_load_b128 v[14:17], v1 offset:1920
	v_fma_f64 v[20:21], v[20:21], v[57:58], v[26:27]
	v_fma_f64 v[18:19], v[18:19], v[57:58], -v[28:29]
	s_waitcnt vmcnt(2) lgkmcnt(1)
	v_mul_f64 v[38:39], v[2:3], v[36:37]
	v_mul_f64 v[36:37], v[4:5], v[36:37]
	s_waitcnt vmcnt(1) lgkmcnt(0)
	v_mul_f64 v[26:27], v[14:15], v[8:9]
	v_mul_f64 v[8:9], v[16:17], v[8:9]
	v_add_f64 v[22:23], v[22:23], v[32:33]
	v_add_f64 v[24:25], v[24:25], v[30:31]
	v_fma_f64 v[28:29], v[4:5], v[34:35], v[38:39]
	v_fma_f64 v[30:31], v[2:3], v[34:35], -v[36:37]
	ds_load_b128 v[2:5], v1 offset:1936
	v_fma_f64 v[16:17], v[16:17], v[6:7], v[26:27]
	v_fma_f64 v[6:7], v[14:15], v[6:7], -v[8:9]
	v_add_f64 v[18:19], v[22:23], v[18:19]
	v_add_f64 v[20:21], v[24:25], v[20:21]
	s_waitcnt vmcnt(0) lgkmcnt(0)
	v_mul_f64 v[22:23], v[2:3], v[12:13]
	v_mul_f64 v[12:13], v[4:5], v[12:13]
	s_delay_alu instid0(VALU_DEP_4) | instskip(NEXT) | instid1(VALU_DEP_4)
	v_add_f64 v[8:9], v[18:19], v[30:31]
	v_add_f64 v[14:15], v[20:21], v[28:29]
	s_delay_alu instid0(VALU_DEP_4) | instskip(NEXT) | instid1(VALU_DEP_4)
	v_fma_f64 v[4:5], v[4:5], v[10:11], v[22:23]
	v_fma_f64 v[2:3], v[2:3], v[10:11], -v[12:13]
	s_delay_alu instid0(VALU_DEP_4) | instskip(NEXT) | instid1(VALU_DEP_4)
	v_add_f64 v[6:7], v[8:9], v[6:7]
	v_add_f64 v[8:9], v[14:15], v[16:17]
	s_delay_alu instid0(VALU_DEP_2) | instskip(NEXT) | instid1(VALU_DEP_2)
	v_add_f64 v[2:3], v[6:7], v[2:3]
	v_add_f64 v[4:5], v[8:9], v[4:5]
	s_delay_alu instid0(VALU_DEP_2) | instskip(NEXT) | instid1(VALU_DEP_2)
	v_add_f64 v[2:3], v[42:43], -v[2:3]
	v_add_f64 v[4:5], v[44:45], -v[4:5]
	scratch_store_b128 off, v[2:5], off offset:592
	v_cmpx_lt_u32_e32 36, v169
	s_cbranch_execz .LBB124_319
; %bb.318:
	scratch_load_b128 v[5:8], v205, off
	v_mov_b32_e32 v2, v1
	v_mov_b32_e32 v3, v1
	;; [unrolled: 1-line block ×3, first 2 shown]
	scratch_store_b128 off, v[1:4], off offset:576
	s_waitcnt vmcnt(0)
	ds_store_b128 v229, v[5:8]
.LBB124_319:
	s_or_b32 exec_lo, exec_lo, s2
	s_waitcnt lgkmcnt(0)
	s_waitcnt_vscnt null, 0x0
	s_barrier
	buffer_gl0_inv
	s_clause 0x8
	scratch_load_b128 v[2:5], off, off offset:592
	scratch_load_b128 v[6:9], off, off offset:608
	;; [unrolled: 1-line block ×9, first 2 shown]
	ds_load_b128 v[38:41], v1 offset:1568
	ds_load_b128 v[42:45], v1 offset:1584
	s_clause 0x1
	scratch_load_b128 v[57:60], off, off offset:576
	scratch_load_b128 v[61:64], off, off offset:736
	s_mov_b32 s2, exec_lo
	ds_load_b128 v[214:217], v1 offset:1776
	s_waitcnt vmcnt(10) lgkmcnt(2)
	v_mul_f64 v[65:66], v[40:41], v[4:5]
	v_mul_f64 v[4:5], v[38:39], v[4:5]
	s_waitcnt vmcnt(9) lgkmcnt(1)
	v_mul_f64 v[69:70], v[42:43], v[8:9]
	v_mul_f64 v[8:9], v[44:45], v[8:9]
	s_delay_alu instid0(VALU_DEP_4) | instskip(NEXT) | instid1(VALU_DEP_4)
	v_fma_f64 v[91:92], v[38:39], v[2:3], -v[65:66]
	v_fma_f64 v[170:171], v[40:41], v[2:3], v[4:5]
	ds_load_b128 v[2:5], v1 offset:1600
	ds_load_b128 v[65:68], v1 offset:1616
	scratch_load_b128 v[38:41], off, off offset:752
	v_fma_f64 v[44:45], v[44:45], v[6:7], v[69:70]
	v_fma_f64 v[42:43], v[42:43], v[6:7], -v[8:9]
	scratch_load_b128 v[6:9], off, off offset:768
	s_waitcnt vmcnt(10) lgkmcnt(1)
	v_mul_f64 v[172:173], v[2:3], v[12:13]
	v_mul_f64 v[12:13], v[4:5], v[12:13]
	v_add_f64 v[69:70], v[91:92], 0
	v_add_f64 v[91:92], v[170:171], 0
	s_waitcnt vmcnt(9) lgkmcnt(0)
	v_mul_f64 v[170:171], v[65:66], v[16:17]
	v_mul_f64 v[16:17], v[67:68], v[16:17]
	v_fma_f64 v[172:173], v[4:5], v[10:11], v[172:173]
	v_fma_f64 v[174:175], v[2:3], v[10:11], -v[12:13]
	ds_load_b128 v[2:5], v1 offset:1632
	scratch_load_b128 v[10:13], off, off offset:784
	v_add_f64 v[69:70], v[69:70], v[42:43]
	v_add_f64 v[91:92], v[91:92], v[44:45]
	ds_load_b128 v[42:45], v1 offset:1648
	v_fma_f64 v[67:68], v[67:68], v[14:15], v[170:171]
	v_fma_f64 v[65:66], v[65:66], v[14:15], -v[16:17]
	scratch_load_b128 v[14:17], off, off offset:800
	s_waitcnt vmcnt(10) lgkmcnt(1)
	v_mul_f64 v[176:177], v[2:3], v[20:21]
	v_mul_f64 v[20:21], v[4:5], v[20:21]
	s_waitcnt vmcnt(9) lgkmcnt(0)
	v_mul_f64 v[170:171], v[42:43], v[24:25]
	v_mul_f64 v[24:25], v[44:45], v[24:25]
	v_add_f64 v[69:70], v[69:70], v[174:175]
	v_add_f64 v[91:92], v[91:92], v[172:173]
	v_fma_f64 v[172:173], v[4:5], v[18:19], v[176:177]
	v_fma_f64 v[174:175], v[2:3], v[18:19], -v[20:21]
	ds_load_b128 v[2:5], v1 offset:1664
	scratch_load_b128 v[18:21], off, off offset:816
	v_fma_f64 v[44:45], v[44:45], v[22:23], v[170:171]
	v_fma_f64 v[42:43], v[42:43], v[22:23], -v[24:25]
	scratch_load_b128 v[22:25], off, off offset:832
	v_add_f64 v[69:70], v[69:70], v[65:66]
	v_add_f64 v[91:92], v[91:92], v[67:68]
	ds_load_b128 v[65:68], v1 offset:1680
	s_waitcnt vmcnt(10) lgkmcnt(1)
	v_mul_f64 v[176:177], v[2:3], v[28:29]
	v_mul_f64 v[28:29], v[4:5], v[28:29]
	s_waitcnt vmcnt(9) lgkmcnt(0)
	v_mul_f64 v[170:171], v[65:66], v[32:33]
	v_mul_f64 v[32:33], v[67:68], v[32:33]
	v_add_f64 v[69:70], v[69:70], v[174:175]
	v_add_f64 v[91:92], v[91:92], v[172:173]
	v_fma_f64 v[172:173], v[4:5], v[26:27], v[176:177]
	v_fma_f64 v[174:175], v[2:3], v[26:27], -v[28:29]
	ds_load_b128 v[2:5], v1 offset:1696
	scratch_load_b128 v[26:29], off, off offset:848
	v_fma_f64 v[67:68], v[67:68], v[30:31], v[170:171]
	v_fma_f64 v[65:66], v[65:66], v[30:31], -v[32:33]
	scratch_load_b128 v[30:33], off, off offset:864
	v_add_f64 v[69:70], v[69:70], v[42:43]
	v_add_f64 v[91:92], v[91:92], v[44:45]
	ds_load_b128 v[42:45], v1 offset:1712
	s_waitcnt vmcnt(10) lgkmcnt(1)
	v_mul_f64 v[176:177], v[2:3], v[36:37]
	v_mul_f64 v[36:37], v[4:5], v[36:37]
	s_waitcnt vmcnt(8) lgkmcnt(0)
	v_mul_f64 v[170:171], v[42:43], v[63:64]
	v_add_f64 v[69:70], v[69:70], v[174:175]
	v_add_f64 v[91:92], v[91:92], v[172:173]
	v_mul_f64 v[172:173], v[44:45], v[63:64]
	v_fma_f64 v[174:175], v[4:5], v[34:35], v[176:177]
	v_fma_f64 v[176:177], v[2:3], v[34:35], -v[36:37]
	ds_load_b128 v[2:5], v1 offset:1728
	scratch_load_b128 v[34:37], off, off offset:880
	v_fma_f64 v[44:45], v[44:45], v[61:62], v[170:171]
	v_add_f64 v[69:70], v[69:70], v[65:66]
	v_add_f64 v[67:68], v[91:92], v[67:68]
	ds_load_b128 v[63:66], v1 offset:1744
	v_fma_f64 v[61:62], v[42:43], v[61:62], -v[172:173]
	s_waitcnt vmcnt(8) lgkmcnt(1)
	v_mul_f64 v[91:92], v[2:3], v[40:41]
	v_mul_f64 v[178:179], v[4:5], v[40:41]
	scratch_load_b128 v[40:43], off, off offset:896
	s_waitcnt vmcnt(8) lgkmcnt(0)
	v_mul_f64 v[170:171], v[63:64], v[8:9]
	v_mul_f64 v[8:9], v[65:66], v[8:9]
	v_add_f64 v[69:70], v[69:70], v[176:177]
	v_add_f64 v[67:68], v[67:68], v[174:175]
	v_fma_f64 v[91:92], v[4:5], v[38:39], v[91:92]
	v_fma_f64 v[38:39], v[2:3], v[38:39], -v[178:179]
	ds_load_b128 v[2:5], v1 offset:1760
	v_fma_f64 v[65:66], v[65:66], v[6:7], v[170:171]
	v_fma_f64 v[63:64], v[63:64], v[6:7], -v[8:9]
	scratch_load_b128 v[6:9], off, off offset:928
	v_add_f64 v[61:62], v[69:70], v[61:62]
	v_add_f64 v[44:45], v[67:68], v[44:45]
	scratch_load_b128 v[67:70], off, off offset:912
	s_waitcnt vmcnt(9) lgkmcnt(0)
	v_mul_f64 v[172:173], v[2:3], v[12:13]
	v_mul_f64 v[12:13], v[4:5], v[12:13]
	v_add_f64 v[38:39], v[61:62], v[38:39]
	v_add_f64 v[44:45], v[44:45], v[91:92]
	s_waitcnt vmcnt(8)
	v_mul_f64 v[91:92], v[214:215], v[16:17]
	v_mul_f64 v[16:17], v[216:217], v[16:17]
	v_fma_f64 v[170:171], v[4:5], v[10:11], v[172:173]
	v_fma_f64 v[172:173], v[2:3], v[10:11], -v[12:13]
	ds_load_b128 v[2:5], v1 offset:1792
	scratch_load_b128 v[10:13], off, off offset:944
	v_add_f64 v[38:39], v[38:39], v[63:64]
	v_add_f64 v[44:45], v[44:45], v[65:66]
	ds_load_b128 v[61:64], v1 offset:1808
	s_waitcnt vmcnt(8) lgkmcnt(1)
	v_mul_f64 v[65:66], v[2:3], v[20:21]
	v_mul_f64 v[20:21], v[4:5], v[20:21]
	v_fma_f64 v[91:92], v[216:217], v[14:15], v[91:92]
	v_fma_f64 v[174:175], v[214:215], v[14:15], -v[16:17]
	scratch_load_b128 v[14:17], off, off offset:960
	v_add_f64 v[38:39], v[38:39], v[172:173]
	v_add_f64 v[44:45], v[44:45], v[170:171]
	s_waitcnt vmcnt(8) lgkmcnt(0)
	v_mul_f64 v[170:171], v[61:62], v[24:25]
	v_mul_f64 v[24:25], v[63:64], v[24:25]
	v_fma_f64 v[65:66], v[4:5], v[18:19], v[65:66]
	v_fma_f64 v[172:173], v[2:3], v[18:19], -v[20:21]
	ds_load_b128 v[2:5], v1 offset:1824
	ds_load_b128 v[18:21], v1 offset:1840
	v_add_f64 v[38:39], v[38:39], v[174:175]
	v_add_f64 v[44:45], v[44:45], v[91:92]
	s_waitcnt vmcnt(7) lgkmcnt(1)
	v_mul_f64 v[91:92], v[2:3], v[28:29]
	v_mul_f64 v[28:29], v[4:5], v[28:29]
	v_fma_f64 v[63:64], v[63:64], v[22:23], v[170:171]
	v_fma_f64 v[22:23], v[61:62], v[22:23], -v[24:25]
	v_add_f64 v[24:25], v[38:39], v[172:173]
	v_add_f64 v[38:39], v[44:45], v[65:66]
	s_waitcnt vmcnt(6) lgkmcnt(0)
	v_mul_f64 v[44:45], v[18:19], v[32:33]
	v_mul_f64 v[32:33], v[20:21], v[32:33]
	v_fma_f64 v[61:62], v[4:5], v[26:27], v[91:92]
	v_fma_f64 v[26:27], v[2:3], v[26:27], -v[28:29]
	v_add_f64 v[28:29], v[24:25], v[22:23]
	v_add_f64 v[38:39], v[38:39], v[63:64]
	ds_load_b128 v[2:5], v1 offset:1856
	ds_load_b128 v[22:25], v1 offset:1872
	v_fma_f64 v[20:21], v[20:21], v[30:31], v[44:45]
	v_fma_f64 v[18:19], v[18:19], v[30:31], -v[32:33]
	s_waitcnt vmcnt(5) lgkmcnt(1)
	v_mul_f64 v[63:64], v[2:3], v[36:37]
	v_mul_f64 v[36:37], v[4:5], v[36:37]
	s_waitcnt vmcnt(4) lgkmcnt(0)
	v_mul_f64 v[30:31], v[22:23], v[42:43]
	v_add_f64 v[26:27], v[28:29], v[26:27]
	v_add_f64 v[28:29], v[38:39], v[61:62]
	v_mul_f64 v[32:33], v[24:25], v[42:43]
	v_fma_f64 v[38:39], v[4:5], v[34:35], v[63:64]
	v_fma_f64 v[34:35], v[2:3], v[34:35], -v[36:37]
	v_fma_f64 v[24:25], v[24:25], v[40:41], v[30:31]
	v_add_f64 v[26:27], v[26:27], v[18:19]
	v_add_f64 v[28:29], v[28:29], v[20:21]
	ds_load_b128 v[2:5], v1 offset:1888
	ds_load_b128 v[18:21], v1 offset:1904
	v_fma_f64 v[22:23], v[22:23], v[40:41], -v[32:33]
	s_waitcnt vmcnt(2) lgkmcnt(1)
	v_mul_f64 v[36:37], v[2:3], v[69:70]
	v_mul_f64 v[42:43], v[4:5], v[69:70]
	s_waitcnt lgkmcnt(0)
	v_mul_f64 v[30:31], v[18:19], v[8:9]
	v_mul_f64 v[8:9], v[20:21], v[8:9]
	v_add_f64 v[26:27], v[26:27], v[34:35]
	v_add_f64 v[28:29], v[28:29], v[38:39]
	v_fma_f64 v[32:33], v[4:5], v[67:68], v[36:37]
	v_fma_f64 v[34:35], v[2:3], v[67:68], -v[42:43]
	v_fma_f64 v[20:21], v[20:21], v[6:7], v[30:31]
	v_fma_f64 v[6:7], v[18:19], v[6:7], -v[8:9]
	v_add_f64 v[26:27], v[26:27], v[22:23]
	v_add_f64 v[28:29], v[28:29], v[24:25]
	ds_load_b128 v[2:5], v1 offset:1920
	ds_load_b128 v[22:25], v1 offset:1936
	s_waitcnt vmcnt(1) lgkmcnt(1)
	v_mul_f64 v[36:37], v[2:3], v[12:13]
	v_mul_f64 v[12:13], v[4:5], v[12:13]
	v_add_f64 v[8:9], v[26:27], v[34:35]
	v_add_f64 v[18:19], v[28:29], v[32:33]
	s_waitcnt vmcnt(0) lgkmcnt(0)
	v_mul_f64 v[26:27], v[22:23], v[16:17]
	v_mul_f64 v[16:17], v[24:25], v[16:17]
	v_fma_f64 v[4:5], v[4:5], v[10:11], v[36:37]
	v_fma_f64 v[1:2], v[2:3], v[10:11], -v[12:13]
	v_add_f64 v[6:7], v[8:9], v[6:7]
	v_add_f64 v[8:9], v[18:19], v[20:21]
	v_fma_f64 v[10:11], v[24:25], v[14:15], v[26:27]
	v_fma_f64 v[12:13], v[22:23], v[14:15], -v[16:17]
	s_delay_alu instid0(VALU_DEP_4) | instskip(NEXT) | instid1(VALU_DEP_4)
	v_add_f64 v[1:2], v[6:7], v[1:2]
	v_add_f64 v[3:4], v[8:9], v[4:5]
	s_delay_alu instid0(VALU_DEP_2) | instskip(NEXT) | instid1(VALU_DEP_2)
	v_add_f64 v[1:2], v[1:2], v[12:13]
	v_add_f64 v[3:4], v[3:4], v[10:11]
	s_delay_alu instid0(VALU_DEP_2) | instskip(NEXT) | instid1(VALU_DEP_2)
	v_add_f64 v[1:2], v[57:58], -v[1:2]
	v_add_f64 v[3:4], v[59:60], -v[3:4]
	scratch_store_b128 off, v[1:4], off offset:576
	v_cmpx_lt_u32_e32 35, v169
	s_cbranch_execz .LBB124_321
; %bb.320:
	scratch_load_b128 v[1:4], v190, off
	v_mov_b32_e32 v5, 0
	s_delay_alu instid0(VALU_DEP_1)
	v_mov_b32_e32 v6, v5
	v_mov_b32_e32 v7, v5
	;; [unrolled: 1-line block ×3, first 2 shown]
	scratch_store_b128 off, v[5:8], off offset:560
	s_waitcnt vmcnt(0)
	ds_store_b128 v229, v[1:4]
.LBB124_321:
	s_or_b32 exec_lo, exec_lo, s2
	s_waitcnt lgkmcnt(0)
	s_waitcnt_vscnt null, 0x0
	s_barrier
	buffer_gl0_inv
	s_clause 0x7
	scratch_load_b128 v[2:5], off, off offset:576
	scratch_load_b128 v[6:9], off, off offset:592
	;; [unrolled: 1-line block ×8, first 2 shown]
	v_mov_b32_e32 v1, 0
	s_mov_b32 s2, exec_lo
	ds_load_b128 v[34:37], v1 offset:1552
	s_clause 0x1
	scratch_load_b128 v[38:41], off, off offset:704
	scratch_load_b128 v[42:45], off, off offset:560
	ds_load_b128 v[57:60], v1 offset:1568
	scratch_load_b128 v[61:64], off, off offset:720
	s_waitcnt vmcnt(10) lgkmcnt(1)
	v_mul_f64 v[65:66], v[36:37], v[4:5]
	v_mul_f64 v[4:5], v[34:35], v[4:5]
	s_delay_alu instid0(VALU_DEP_2) | instskip(NEXT) | instid1(VALU_DEP_2)
	v_fma_f64 v[91:92], v[34:35], v[2:3], -v[65:66]
	v_fma_f64 v[170:171], v[36:37], v[2:3], v[4:5]
	scratch_load_b128 v[34:37], off, off offset:736
	ds_load_b128 v[2:5], v1 offset:1584
	s_waitcnt vmcnt(10) lgkmcnt(1)
	v_mul_f64 v[69:70], v[57:58], v[8:9]
	v_mul_f64 v[8:9], v[59:60], v[8:9]
	ds_load_b128 v[65:68], v1 offset:1600
	s_waitcnt vmcnt(9) lgkmcnt(1)
	v_mul_f64 v[172:173], v[2:3], v[12:13]
	v_mul_f64 v[12:13], v[4:5], v[12:13]
	v_fma_f64 v[59:60], v[59:60], v[6:7], v[69:70]
	v_fma_f64 v[57:58], v[57:58], v[6:7], -v[8:9]
	v_add_f64 v[69:70], v[91:92], 0
	v_add_f64 v[91:92], v[170:171], 0
	scratch_load_b128 v[6:9], off, off offset:752
	v_fma_f64 v[172:173], v[4:5], v[10:11], v[172:173]
	v_fma_f64 v[174:175], v[2:3], v[10:11], -v[12:13]
	scratch_load_b128 v[10:13], off, off offset:768
	ds_load_b128 v[2:5], v1 offset:1616
	s_waitcnt vmcnt(10) lgkmcnt(1)
	v_mul_f64 v[170:171], v[65:66], v[16:17]
	v_mul_f64 v[16:17], v[67:68], v[16:17]
	v_add_f64 v[69:70], v[69:70], v[57:58]
	v_add_f64 v[91:92], v[91:92], v[59:60]
	s_waitcnt vmcnt(9) lgkmcnt(0)
	v_mul_f64 v[176:177], v[2:3], v[20:21]
	v_mul_f64 v[20:21], v[4:5], v[20:21]
	ds_load_b128 v[57:60], v1 offset:1632
	v_fma_f64 v[67:68], v[67:68], v[14:15], v[170:171]
	v_fma_f64 v[65:66], v[65:66], v[14:15], -v[16:17]
	scratch_load_b128 v[14:17], off, off offset:784
	v_add_f64 v[69:70], v[69:70], v[174:175]
	v_add_f64 v[91:92], v[91:92], v[172:173]
	v_fma_f64 v[172:173], v[4:5], v[18:19], v[176:177]
	v_fma_f64 v[174:175], v[2:3], v[18:19], -v[20:21]
	scratch_load_b128 v[18:21], off, off offset:800
	ds_load_b128 v[2:5], v1 offset:1648
	s_waitcnt vmcnt(10) lgkmcnt(1)
	v_mul_f64 v[170:171], v[57:58], v[24:25]
	v_mul_f64 v[24:25], v[59:60], v[24:25]
	s_waitcnt vmcnt(9) lgkmcnt(0)
	v_mul_f64 v[176:177], v[2:3], v[28:29]
	v_mul_f64 v[28:29], v[4:5], v[28:29]
	v_add_f64 v[69:70], v[69:70], v[65:66]
	v_add_f64 v[91:92], v[91:92], v[67:68]
	ds_load_b128 v[65:68], v1 offset:1664
	v_fma_f64 v[59:60], v[59:60], v[22:23], v[170:171]
	v_fma_f64 v[57:58], v[57:58], v[22:23], -v[24:25]
	scratch_load_b128 v[22:25], off, off offset:816
	v_add_f64 v[69:70], v[69:70], v[174:175]
	v_add_f64 v[91:92], v[91:92], v[172:173]
	v_fma_f64 v[172:173], v[4:5], v[26:27], v[176:177]
	v_fma_f64 v[174:175], v[2:3], v[26:27], -v[28:29]
	scratch_load_b128 v[26:29], off, off offset:832
	ds_load_b128 v[2:5], v1 offset:1680
	s_waitcnt vmcnt(10) lgkmcnt(1)
	v_mul_f64 v[170:171], v[65:66], v[32:33]
	v_mul_f64 v[32:33], v[67:68], v[32:33]
	s_waitcnt vmcnt(9) lgkmcnt(0)
	v_mul_f64 v[176:177], v[2:3], v[40:41]
	v_mul_f64 v[40:41], v[4:5], v[40:41]
	v_add_f64 v[69:70], v[69:70], v[57:58]
	v_add_f64 v[91:92], v[91:92], v[59:60]
	ds_load_b128 v[57:60], v1 offset:1696
	v_fma_f64 v[67:68], v[67:68], v[30:31], v[170:171]
	v_fma_f64 v[65:66], v[65:66], v[30:31], -v[32:33]
	scratch_load_b128 v[30:33], off, off offset:848
	v_add_f64 v[69:70], v[69:70], v[174:175]
	v_add_f64 v[91:92], v[91:92], v[172:173]
	v_fma_f64 v[174:175], v[4:5], v[38:39], v[176:177]
	v_fma_f64 v[176:177], v[2:3], v[38:39], -v[40:41]
	scratch_load_b128 v[38:41], off, off offset:864
	ds_load_b128 v[2:5], v1 offset:1712
	s_waitcnt vmcnt(9) lgkmcnt(1)
	v_mul_f64 v[170:171], v[57:58], v[63:64]
	v_mul_f64 v[172:173], v[59:60], v[63:64]
	v_add_f64 v[69:70], v[69:70], v[65:66]
	v_add_f64 v[67:68], v[91:92], v[67:68]
	ds_load_b128 v[63:66], v1 offset:1728
	v_fma_f64 v[170:171], v[59:60], v[61:62], v[170:171]
	v_fma_f64 v[61:62], v[57:58], v[61:62], -v[172:173]
	scratch_load_b128 v[57:60], off, off offset:880
	s_waitcnt vmcnt(9) lgkmcnt(1)
	v_mul_f64 v[91:92], v[2:3], v[36:37]
	v_mul_f64 v[36:37], v[4:5], v[36:37]
	v_add_f64 v[69:70], v[69:70], v[176:177]
	v_add_f64 v[67:68], v[67:68], v[174:175]
	s_delay_alu instid0(VALU_DEP_4) | instskip(NEXT) | instid1(VALU_DEP_4)
	v_fma_f64 v[91:92], v[4:5], v[34:35], v[91:92]
	v_fma_f64 v[174:175], v[2:3], v[34:35], -v[36:37]
	scratch_load_b128 v[34:37], off, off offset:896
	ds_load_b128 v[2:5], v1 offset:1744
	s_waitcnt vmcnt(9) lgkmcnt(1)
	v_mul_f64 v[172:173], v[63:64], v[8:9]
	v_mul_f64 v[8:9], v[65:66], v[8:9]
	s_waitcnt vmcnt(8) lgkmcnt(0)
	v_mul_f64 v[176:177], v[2:3], v[12:13]
	v_mul_f64 v[12:13], v[4:5], v[12:13]
	v_add_f64 v[61:62], v[69:70], v[61:62]
	v_add_f64 v[170:171], v[67:68], v[170:171]
	ds_load_b128 v[67:70], v1 offset:1760
	v_fma_f64 v[65:66], v[65:66], v[6:7], v[172:173]
	v_fma_f64 v[63:64], v[63:64], v[6:7], -v[8:9]
	scratch_load_b128 v[6:9], off, off offset:912
	v_fma_f64 v[172:173], v[4:5], v[10:11], v[176:177]
	v_add_f64 v[61:62], v[61:62], v[174:175]
	v_add_f64 v[91:92], v[170:171], v[91:92]
	v_fma_f64 v[174:175], v[2:3], v[10:11], -v[12:13]
	scratch_load_b128 v[10:13], off, off offset:928
	ds_load_b128 v[2:5], v1 offset:1776
	s_waitcnt vmcnt(9) lgkmcnt(1)
	v_mul_f64 v[170:171], v[67:68], v[16:17]
	v_mul_f64 v[16:17], v[69:70], v[16:17]
	v_add_f64 v[176:177], v[61:62], v[63:64]
	v_add_f64 v[65:66], v[91:92], v[65:66]
	s_waitcnt vmcnt(8) lgkmcnt(0)
	v_mul_f64 v[91:92], v[2:3], v[20:21]
	v_mul_f64 v[20:21], v[4:5], v[20:21]
	ds_load_b128 v[61:64], v1 offset:1792
	v_fma_f64 v[69:70], v[69:70], v[14:15], v[170:171]
	v_fma_f64 v[67:68], v[67:68], v[14:15], -v[16:17]
	scratch_load_b128 v[14:17], off, off offset:944
	v_add_f64 v[170:171], v[176:177], v[174:175]
	v_add_f64 v[65:66], v[65:66], v[172:173]
	v_fma_f64 v[91:92], v[4:5], v[18:19], v[91:92]
	v_fma_f64 v[174:175], v[2:3], v[18:19], -v[20:21]
	scratch_load_b128 v[18:21], off, off offset:960
	ds_load_b128 v[2:5], v1 offset:1808
	s_waitcnt vmcnt(9) lgkmcnt(1)
	v_mul_f64 v[172:173], v[61:62], v[24:25]
	v_mul_f64 v[24:25], v[63:64], v[24:25]
	s_waitcnt vmcnt(8) lgkmcnt(0)
	v_mul_f64 v[176:177], v[2:3], v[28:29]
	v_mul_f64 v[28:29], v[4:5], v[28:29]
	v_add_f64 v[170:171], v[170:171], v[67:68]
	v_add_f64 v[69:70], v[65:66], v[69:70]
	ds_load_b128 v[65:68], v1 offset:1824
	v_fma_f64 v[63:64], v[63:64], v[22:23], v[172:173]
	v_fma_f64 v[22:23], v[61:62], v[22:23], -v[24:25]
	v_add_f64 v[24:25], v[170:171], v[174:175]
	v_add_f64 v[61:62], v[69:70], v[91:92]
	s_waitcnt vmcnt(7) lgkmcnt(0)
	v_mul_f64 v[69:70], v[65:66], v[32:33]
	v_mul_f64 v[32:33], v[67:68], v[32:33]
	v_fma_f64 v[91:92], v[4:5], v[26:27], v[176:177]
	v_fma_f64 v[26:27], v[2:3], v[26:27], -v[28:29]
	v_add_f64 v[28:29], v[24:25], v[22:23]
	v_add_f64 v[61:62], v[61:62], v[63:64]
	ds_load_b128 v[2:5], v1 offset:1840
	ds_load_b128 v[22:25], v1 offset:1856
	v_fma_f64 v[67:68], v[67:68], v[30:31], v[69:70]
	v_fma_f64 v[30:31], v[65:66], v[30:31], -v[32:33]
	s_waitcnt vmcnt(6) lgkmcnt(1)
	v_mul_f64 v[63:64], v[2:3], v[40:41]
	v_mul_f64 v[40:41], v[4:5], v[40:41]
	s_waitcnt vmcnt(5) lgkmcnt(0)
	v_mul_f64 v[32:33], v[22:23], v[59:60]
	v_mul_f64 v[59:60], v[24:25], v[59:60]
	v_add_f64 v[26:27], v[28:29], v[26:27]
	v_add_f64 v[28:29], v[61:62], v[91:92]
	v_fma_f64 v[61:62], v[4:5], v[38:39], v[63:64]
	v_fma_f64 v[38:39], v[2:3], v[38:39], -v[40:41]
	v_fma_f64 v[24:25], v[24:25], v[57:58], v[32:33]
	v_fma_f64 v[22:23], v[22:23], v[57:58], -v[59:60]
	v_add_f64 v[30:31], v[26:27], v[30:31]
	v_add_f64 v[40:41], v[28:29], v[67:68]
	ds_load_b128 v[2:5], v1 offset:1872
	ds_load_b128 v[26:29], v1 offset:1888
	s_waitcnt vmcnt(4) lgkmcnt(1)
	v_mul_f64 v[63:64], v[2:3], v[36:37]
	v_mul_f64 v[36:37], v[4:5], v[36:37]
	v_add_f64 v[30:31], v[30:31], v[38:39]
	v_add_f64 v[32:33], v[40:41], v[61:62]
	s_waitcnt vmcnt(3) lgkmcnt(0)
	v_mul_f64 v[38:39], v[26:27], v[8:9]
	v_mul_f64 v[8:9], v[28:29], v[8:9]
	v_fma_f64 v[40:41], v[4:5], v[34:35], v[63:64]
	v_fma_f64 v[34:35], v[2:3], v[34:35], -v[36:37]
	v_add_f64 v[30:31], v[30:31], v[22:23]
	v_add_f64 v[32:33], v[32:33], v[24:25]
	ds_load_b128 v[2:5], v1 offset:1904
	ds_load_b128 v[22:25], v1 offset:1920
	v_fma_f64 v[28:29], v[28:29], v[6:7], v[38:39]
	v_fma_f64 v[6:7], v[26:27], v[6:7], -v[8:9]
	s_waitcnt vmcnt(2) lgkmcnt(1)
	v_mul_f64 v[36:37], v[2:3], v[12:13]
	v_mul_f64 v[12:13], v[4:5], v[12:13]
	v_add_f64 v[8:9], v[30:31], v[34:35]
	v_add_f64 v[26:27], v[32:33], v[40:41]
	s_waitcnt vmcnt(1) lgkmcnt(0)
	v_mul_f64 v[30:31], v[22:23], v[16:17]
	v_mul_f64 v[16:17], v[24:25], v[16:17]
	v_fma_f64 v[32:33], v[4:5], v[10:11], v[36:37]
	v_fma_f64 v[10:11], v[2:3], v[10:11], -v[12:13]
	ds_load_b128 v[2:5], v1 offset:1936
	v_add_f64 v[6:7], v[8:9], v[6:7]
	v_add_f64 v[8:9], v[26:27], v[28:29]
	v_fma_f64 v[24:25], v[24:25], v[14:15], v[30:31]
	v_fma_f64 v[14:15], v[22:23], v[14:15], -v[16:17]
	s_waitcnt vmcnt(0) lgkmcnt(0)
	v_mul_f64 v[12:13], v[2:3], v[20:21]
	v_mul_f64 v[20:21], v[4:5], v[20:21]
	v_add_f64 v[6:7], v[6:7], v[10:11]
	v_add_f64 v[8:9], v[8:9], v[32:33]
	s_delay_alu instid0(VALU_DEP_4) | instskip(NEXT) | instid1(VALU_DEP_4)
	v_fma_f64 v[4:5], v[4:5], v[18:19], v[12:13]
	v_fma_f64 v[2:3], v[2:3], v[18:19], -v[20:21]
	s_delay_alu instid0(VALU_DEP_4) | instskip(NEXT) | instid1(VALU_DEP_4)
	v_add_f64 v[6:7], v[6:7], v[14:15]
	v_add_f64 v[8:9], v[8:9], v[24:25]
	s_delay_alu instid0(VALU_DEP_2) | instskip(NEXT) | instid1(VALU_DEP_2)
	v_add_f64 v[2:3], v[6:7], v[2:3]
	v_add_f64 v[4:5], v[8:9], v[4:5]
	s_delay_alu instid0(VALU_DEP_2) | instskip(NEXT) | instid1(VALU_DEP_2)
	v_add_f64 v[2:3], v[42:43], -v[2:3]
	v_add_f64 v[4:5], v[44:45], -v[4:5]
	scratch_store_b128 off, v[2:5], off offset:560
	v_cmpx_lt_u32_e32 34, v169
	s_cbranch_execz .LBB124_323
; %bb.322:
	scratch_load_b128 v[5:8], v211, off
	v_mov_b32_e32 v2, v1
	v_mov_b32_e32 v3, v1
	;; [unrolled: 1-line block ×3, first 2 shown]
	scratch_store_b128 off, v[1:4], off offset:544
	s_waitcnt vmcnt(0)
	ds_store_b128 v229, v[5:8]
.LBB124_323:
	s_or_b32 exec_lo, exec_lo, s2
	s_waitcnt lgkmcnt(0)
	s_waitcnt_vscnt null, 0x0
	s_barrier
	buffer_gl0_inv
	s_clause 0x8
	scratch_load_b128 v[2:5], off, off offset:560
	scratch_load_b128 v[6:9], off, off offset:576
	;; [unrolled: 1-line block ×9, first 2 shown]
	ds_load_b128 v[38:41], v1 offset:1536
	ds_load_b128 v[42:45], v1 offset:1552
	s_clause 0x1
	scratch_load_b128 v[57:60], off, off offset:544
	scratch_load_b128 v[61:64], off, off offset:704
	s_mov_b32 s2, exec_lo
	ds_load_b128 v[214:217], v1 offset:1744
	s_waitcnt vmcnt(10) lgkmcnt(2)
	v_mul_f64 v[65:66], v[40:41], v[4:5]
	v_mul_f64 v[4:5], v[38:39], v[4:5]
	s_waitcnt vmcnt(9) lgkmcnt(1)
	v_mul_f64 v[69:70], v[42:43], v[8:9]
	v_mul_f64 v[8:9], v[44:45], v[8:9]
	s_delay_alu instid0(VALU_DEP_4) | instskip(NEXT) | instid1(VALU_DEP_4)
	v_fma_f64 v[91:92], v[38:39], v[2:3], -v[65:66]
	v_fma_f64 v[170:171], v[40:41], v[2:3], v[4:5]
	ds_load_b128 v[2:5], v1 offset:1568
	ds_load_b128 v[65:68], v1 offset:1584
	scratch_load_b128 v[38:41], off, off offset:720
	v_fma_f64 v[44:45], v[44:45], v[6:7], v[69:70]
	v_fma_f64 v[42:43], v[42:43], v[6:7], -v[8:9]
	scratch_load_b128 v[6:9], off, off offset:736
	s_waitcnt vmcnt(10) lgkmcnt(1)
	v_mul_f64 v[172:173], v[2:3], v[12:13]
	v_mul_f64 v[12:13], v[4:5], v[12:13]
	v_add_f64 v[69:70], v[91:92], 0
	v_add_f64 v[91:92], v[170:171], 0
	s_waitcnt vmcnt(9) lgkmcnt(0)
	v_mul_f64 v[170:171], v[65:66], v[16:17]
	v_mul_f64 v[16:17], v[67:68], v[16:17]
	v_fma_f64 v[172:173], v[4:5], v[10:11], v[172:173]
	v_fma_f64 v[174:175], v[2:3], v[10:11], -v[12:13]
	ds_load_b128 v[2:5], v1 offset:1600
	scratch_load_b128 v[10:13], off, off offset:752
	v_add_f64 v[69:70], v[69:70], v[42:43]
	v_add_f64 v[91:92], v[91:92], v[44:45]
	ds_load_b128 v[42:45], v1 offset:1616
	v_fma_f64 v[67:68], v[67:68], v[14:15], v[170:171]
	v_fma_f64 v[65:66], v[65:66], v[14:15], -v[16:17]
	scratch_load_b128 v[14:17], off, off offset:768
	s_waitcnt vmcnt(10) lgkmcnt(1)
	v_mul_f64 v[176:177], v[2:3], v[20:21]
	v_mul_f64 v[20:21], v[4:5], v[20:21]
	s_waitcnt vmcnt(9) lgkmcnt(0)
	v_mul_f64 v[170:171], v[42:43], v[24:25]
	v_mul_f64 v[24:25], v[44:45], v[24:25]
	v_add_f64 v[69:70], v[69:70], v[174:175]
	v_add_f64 v[91:92], v[91:92], v[172:173]
	v_fma_f64 v[172:173], v[4:5], v[18:19], v[176:177]
	v_fma_f64 v[174:175], v[2:3], v[18:19], -v[20:21]
	ds_load_b128 v[2:5], v1 offset:1632
	scratch_load_b128 v[18:21], off, off offset:784
	v_fma_f64 v[44:45], v[44:45], v[22:23], v[170:171]
	v_fma_f64 v[42:43], v[42:43], v[22:23], -v[24:25]
	scratch_load_b128 v[22:25], off, off offset:800
	v_add_f64 v[69:70], v[69:70], v[65:66]
	v_add_f64 v[91:92], v[91:92], v[67:68]
	ds_load_b128 v[65:68], v1 offset:1648
	s_waitcnt vmcnt(10) lgkmcnt(1)
	v_mul_f64 v[176:177], v[2:3], v[28:29]
	v_mul_f64 v[28:29], v[4:5], v[28:29]
	s_waitcnt vmcnt(9) lgkmcnt(0)
	v_mul_f64 v[170:171], v[65:66], v[32:33]
	v_mul_f64 v[32:33], v[67:68], v[32:33]
	v_add_f64 v[69:70], v[69:70], v[174:175]
	v_add_f64 v[91:92], v[91:92], v[172:173]
	v_fma_f64 v[172:173], v[4:5], v[26:27], v[176:177]
	v_fma_f64 v[174:175], v[2:3], v[26:27], -v[28:29]
	ds_load_b128 v[2:5], v1 offset:1664
	scratch_load_b128 v[26:29], off, off offset:816
	v_fma_f64 v[67:68], v[67:68], v[30:31], v[170:171]
	v_fma_f64 v[65:66], v[65:66], v[30:31], -v[32:33]
	scratch_load_b128 v[30:33], off, off offset:832
	v_add_f64 v[69:70], v[69:70], v[42:43]
	v_add_f64 v[91:92], v[91:92], v[44:45]
	ds_load_b128 v[42:45], v1 offset:1680
	s_waitcnt vmcnt(10) lgkmcnt(1)
	v_mul_f64 v[176:177], v[2:3], v[36:37]
	v_mul_f64 v[36:37], v[4:5], v[36:37]
	s_waitcnt vmcnt(8) lgkmcnt(0)
	v_mul_f64 v[170:171], v[42:43], v[63:64]
	v_add_f64 v[69:70], v[69:70], v[174:175]
	v_add_f64 v[91:92], v[91:92], v[172:173]
	v_mul_f64 v[172:173], v[44:45], v[63:64]
	v_fma_f64 v[174:175], v[4:5], v[34:35], v[176:177]
	v_fma_f64 v[176:177], v[2:3], v[34:35], -v[36:37]
	ds_load_b128 v[2:5], v1 offset:1696
	scratch_load_b128 v[34:37], off, off offset:848
	v_fma_f64 v[44:45], v[44:45], v[61:62], v[170:171]
	v_add_f64 v[69:70], v[69:70], v[65:66]
	v_add_f64 v[67:68], v[91:92], v[67:68]
	ds_load_b128 v[63:66], v1 offset:1712
	v_fma_f64 v[61:62], v[42:43], v[61:62], -v[172:173]
	s_waitcnt vmcnt(8) lgkmcnt(1)
	v_mul_f64 v[91:92], v[2:3], v[40:41]
	v_mul_f64 v[178:179], v[4:5], v[40:41]
	scratch_load_b128 v[40:43], off, off offset:864
	s_waitcnt vmcnt(8) lgkmcnt(0)
	v_mul_f64 v[170:171], v[63:64], v[8:9]
	v_mul_f64 v[8:9], v[65:66], v[8:9]
	v_add_f64 v[69:70], v[69:70], v[176:177]
	v_add_f64 v[67:68], v[67:68], v[174:175]
	v_fma_f64 v[91:92], v[4:5], v[38:39], v[91:92]
	v_fma_f64 v[38:39], v[2:3], v[38:39], -v[178:179]
	ds_load_b128 v[2:5], v1 offset:1728
	v_fma_f64 v[65:66], v[65:66], v[6:7], v[170:171]
	v_fma_f64 v[63:64], v[63:64], v[6:7], -v[8:9]
	scratch_load_b128 v[6:9], off, off offset:896
	v_add_f64 v[61:62], v[69:70], v[61:62]
	v_add_f64 v[44:45], v[67:68], v[44:45]
	scratch_load_b128 v[67:70], off, off offset:880
	s_waitcnt vmcnt(9) lgkmcnt(0)
	v_mul_f64 v[172:173], v[2:3], v[12:13]
	v_mul_f64 v[12:13], v[4:5], v[12:13]
	v_add_f64 v[38:39], v[61:62], v[38:39]
	v_add_f64 v[44:45], v[44:45], v[91:92]
	s_waitcnt vmcnt(8)
	v_mul_f64 v[91:92], v[214:215], v[16:17]
	v_mul_f64 v[16:17], v[216:217], v[16:17]
	v_fma_f64 v[170:171], v[4:5], v[10:11], v[172:173]
	v_fma_f64 v[172:173], v[2:3], v[10:11], -v[12:13]
	ds_load_b128 v[2:5], v1 offset:1760
	scratch_load_b128 v[10:13], off, off offset:912
	v_add_f64 v[38:39], v[38:39], v[63:64]
	v_add_f64 v[44:45], v[44:45], v[65:66]
	ds_load_b128 v[61:64], v1 offset:1776
	s_waitcnt vmcnt(8) lgkmcnt(1)
	v_mul_f64 v[65:66], v[2:3], v[20:21]
	v_mul_f64 v[20:21], v[4:5], v[20:21]
	v_fma_f64 v[91:92], v[216:217], v[14:15], v[91:92]
	v_fma_f64 v[174:175], v[214:215], v[14:15], -v[16:17]
	scratch_load_b128 v[14:17], off, off offset:928
	ds_load_b128 v[214:217], v1 offset:1808
	v_add_f64 v[38:39], v[38:39], v[172:173]
	v_add_f64 v[44:45], v[44:45], v[170:171]
	s_waitcnt vmcnt(8) lgkmcnt(1)
	v_mul_f64 v[170:171], v[61:62], v[24:25]
	v_mul_f64 v[24:25], v[63:64], v[24:25]
	v_fma_f64 v[65:66], v[4:5], v[18:19], v[65:66]
	v_fma_f64 v[172:173], v[2:3], v[18:19], -v[20:21]
	ds_load_b128 v[2:5], v1 offset:1792
	scratch_load_b128 v[18:21], off, off offset:944
	v_add_f64 v[38:39], v[38:39], v[174:175]
	v_add_f64 v[44:45], v[44:45], v[91:92]
	s_waitcnt vmcnt(8) lgkmcnt(0)
	v_mul_f64 v[91:92], v[2:3], v[28:29]
	v_mul_f64 v[28:29], v[4:5], v[28:29]
	v_fma_f64 v[63:64], v[63:64], v[22:23], v[170:171]
	v_fma_f64 v[61:62], v[61:62], v[22:23], -v[24:25]
	scratch_load_b128 v[22:25], off, off offset:960
	v_add_f64 v[38:39], v[38:39], v[172:173]
	v_add_f64 v[44:45], v[44:45], v[65:66]
	s_waitcnt vmcnt(8)
	v_mul_f64 v[65:66], v[214:215], v[32:33]
	v_mul_f64 v[32:33], v[216:217], v[32:33]
	v_fma_f64 v[91:92], v[4:5], v[26:27], v[91:92]
	v_fma_f64 v[170:171], v[2:3], v[26:27], -v[28:29]
	ds_load_b128 v[2:5], v1 offset:1824
	ds_load_b128 v[26:29], v1 offset:1840
	v_add_f64 v[38:39], v[38:39], v[61:62]
	v_add_f64 v[44:45], v[44:45], v[63:64]
	s_waitcnt vmcnt(7) lgkmcnt(1)
	v_mul_f64 v[61:62], v[2:3], v[36:37]
	v_mul_f64 v[36:37], v[4:5], v[36:37]
	v_fma_f64 v[63:64], v[216:217], v[30:31], v[65:66]
	v_fma_f64 v[30:31], v[214:215], v[30:31], -v[32:33]
	v_add_f64 v[32:33], v[38:39], v[170:171]
	v_add_f64 v[38:39], v[44:45], v[91:92]
	s_waitcnt vmcnt(6) lgkmcnt(0)
	v_mul_f64 v[44:45], v[26:27], v[42:43]
	v_mul_f64 v[42:43], v[28:29], v[42:43]
	v_fma_f64 v[61:62], v[4:5], v[34:35], v[61:62]
	v_fma_f64 v[34:35], v[2:3], v[34:35], -v[36:37]
	v_add_f64 v[36:37], v[32:33], v[30:31]
	v_add_f64 v[38:39], v[38:39], v[63:64]
	ds_load_b128 v[2:5], v1 offset:1856
	ds_load_b128 v[30:33], v1 offset:1872
	v_fma_f64 v[28:29], v[28:29], v[40:41], v[44:45]
	v_fma_f64 v[26:27], v[26:27], v[40:41], -v[42:43]
	s_waitcnt vmcnt(4) lgkmcnt(1)
	v_mul_f64 v[63:64], v[2:3], v[69:70]
	v_mul_f64 v[65:66], v[4:5], v[69:70]
	v_add_f64 v[34:35], v[36:37], v[34:35]
	v_add_f64 v[36:37], v[38:39], v[61:62]
	s_waitcnt lgkmcnt(0)
	v_mul_f64 v[38:39], v[30:31], v[8:9]
	v_mul_f64 v[8:9], v[32:33], v[8:9]
	v_fma_f64 v[40:41], v[4:5], v[67:68], v[63:64]
	v_fma_f64 v[42:43], v[2:3], v[67:68], -v[65:66]
	v_add_f64 v[34:35], v[34:35], v[26:27]
	v_add_f64 v[36:37], v[36:37], v[28:29]
	ds_load_b128 v[2:5], v1 offset:1888
	ds_load_b128 v[26:29], v1 offset:1904
	v_fma_f64 v[32:33], v[32:33], v[6:7], v[38:39]
	v_fma_f64 v[6:7], v[30:31], v[6:7], -v[8:9]
	s_waitcnt vmcnt(3) lgkmcnt(1)
	v_mul_f64 v[44:45], v[2:3], v[12:13]
	v_mul_f64 v[12:13], v[4:5], v[12:13]
	v_add_f64 v[8:9], v[34:35], v[42:43]
	v_add_f64 v[30:31], v[36:37], v[40:41]
	s_waitcnt vmcnt(2) lgkmcnt(0)
	v_mul_f64 v[34:35], v[26:27], v[16:17]
	v_mul_f64 v[16:17], v[28:29], v[16:17]
	v_fma_f64 v[36:37], v[4:5], v[10:11], v[44:45]
	v_fma_f64 v[10:11], v[2:3], v[10:11], -v[12:13]
	v_add_f64 v[12:13], v[8:9], v[6:7]
	v_add_f64 v[30:31], v[30:31], v[32:33]
	ds_load_b128 v[2:5], v1 offset:1920
	ds_load_b128 v[6:9], v1 offset:1936
	v_fma_f64 v[28:29], v[28:29], v[14:15], v[34:35]
	v_fma_f64 v[14:15], v[26:27], v[14:15], -v[16:17]
	s_waitcnt vmcnt(1) lgkmcnt(1)
	v_mul_f64 v[32:33], v[2:3], v[20:21]
	v_mul_f64 v[20:21], v[4:5], v[20:21]
	s_waitcnt vmcnt(0) lgkmcnt(0)
	v_mul_f64 v[16:17], v[6:7], v[24:25]
	v_mul_f64 v[24:25], v[8:9], v[24:25]
	v_add_f64 v[10:11], v[12:13], v[10:11]
	v_add_f64 v[12:13], v[30:31], v[36:37]
	v_fma_f64 v[4:5], v[4:5], v[18:19], v[32:33]
	v_fma_f64 v[1:2], v[2:3], v[18:19], -v[20:21]
	v_fma_f64 v[8:9], v[8:9], v[22:23], v[16:17]
	v_fma_f64 v[6:7], v[6:7], v[22:23], -v[24:25]
	v_add_f64 v[10:11], v[10:11], v[14:15]
	v_add_f64 v[12:13], v[12:13], v[28:29]
	s_delay_alu instid0(VALU_DEP_2) | instskip(NEXT) | instid1(VALU_DEP_2)
	v_add_f64 v[1:2], v[10:11], v[1:2]
	v_add_f64 v[3:4], v[12:13], v[4:5]
	s_delay_alu instid0(VALU_DEP_2) | instskip(NEXT) | instid1(VALU_DEP_2)
	;; [unrolled: 3-line block ×3, first 2 shown]
	v_add_f64 v[1:2], v[57:58], -v[1:2]
	v_add_f64 v[3:4], v[59:60], -v[3:4]
	scratch_store_b128 off, v[1:4], off offset:544
	v_cmpx_lt_u32_e32 33, v169
	s_cbranch_execz .LBB124_325
; %bb.324:
	scratch_load_b128 v[1:4], v203, off
	v_mov_b32_e32 v5, 0
	s_delay_alu instid0(VALU_DEP_1)
	v_mov_b32_e32 v6, v5
	v_mov_b32_e32 v7, v5
	;; [unrolled: 1-line block ×3, first 2 shown]
	scratch_store_b128 off, v[5:8], off offset:528
	s_waitcnt vmcnt(0)
	ds_store_b128 v229, v[1:4]
.LBB124_325:
	s_or_b32 exec_lo, exec_lo, s2
	s_waitcnt lgkmcnt(0)
	s_waitcnt_vscnt null, 0x0
	s_barrier
	buffer_gl0_inv
	s_clause 0x7
	scratch_load_b128 v[2:5], off, off offset:544
	scratch_load_b128 v[6:9], off, off offset:560
	;; [unrolled: 1-line block ×8, first 2 shown]
	v_mov_b32_e32 v1, 0
	s_mov_b32 s2, exec_lo
	ds_load_b128 v[38:41], v1 offset:1520
	s_clause 0x1
	scratch_load_b128 v[34:37], off, off offset:672
	scratch_load_b128 v[42:45], off, off offset:528
	ds_load_b128 v[57:60], v1 offset:1536
	scratch_load_b128 v[61:64], off, off offset:688
	s_waitcnt vmcnt(10) lgkmcnt(1)
	v_mul_f64 v[65:66], v[40:41], v[4:5]
	v_mul_f64 v[4:5], v[38:39], v[4:5]
	s_delay_alu instid0(VALU_DEP_2) | instskip(NEXT) | instid1(VALU_DEP_2)
	v_fma_f64 v[91:92], v[38:39], v[2:3], -v[65:66]
	v_fma_f64 v[170:171], v[40:41], v[2:3], v[4:5]
	scratch_load_b128 v[38:41], off, off offset:704
	ds_load_b128 v[2:5], v1 offset:1552
	s_waitcnt vmcnt(10) lgkmcnt(1)
	v_mul_f64 v[69:70], v[57:58], v[8:9]
	v_mul_f64 v[8:9], v[59:60], v[8:9]
	ds_load_b128 v[65:68], v1 offset:1568
	s_waitcnt vmcnt(9) lgkmcnt(1)
	v_mul_f64 v[172:173], v[2:3], v[12:13]
	v_mul_f64 v[12:13], v[4:5], v[12:13]
	v_fma_f64 v[59:60], v[59:60], v[6:7], v[69:70]
	v_fma_f64 v[57:58], v[57:58], v[6:7], -v[8:9]
	v_add_f64 v[69:70], v[91:92], 0
	v_add_f64 v[91:92], v[170:171], 0
	scratch_load_b128 v[6:9], off, off offset:720
	v_fma_f64 v[172:173], v[4:5], v[10:11], v[172:173]
	v_fma_f64 v[174:175], v[2:3], v[10:11], -v[12:13]
	scratch_load_b128 v[10:13], off, off offset:736
	ds_load_b128 v[2:5], v1 offset:1584
	s_waitcnt vmcnt(10) lgkmcnt(1)
	v_mul_f64 v[170:171], v[65:66], v[16:17]
	v_mul_f64 v[16:17], v[67:68], v[16:17]
	v_add_f64 v[69:70], v[69:70], v[57:58]
	v_add_f64 v[91:92], v[91:92], v[59:60]
	s_waitcnt vmcnt(9) lgkmcnt(0)
	v_mul_f64 v[176:177], v[2:3], v[20:21]
	v_mul_f64 v[20:21], v[4:5], v[20:21]
	ds_load_b128 v[57:60], v1 offset:1600
	v_fma_f64 v[67:68], v[67:68], v[14:15], v[170:171]
	v_fma_f64 v[65:66], v[65:66], v[14:15], -v[16:17]
	scratch_load_b128 v[14:17], off, off offset:752
	v_add_f64 v[69:70], v[69:70], v[174:175]
	v_add_f64 v[91:92], v[91:92], v[172:173]
	v_fma_f64 v[172:173], v[4:5], v[18:19], v[176:177]
	v_fma_f64 v[174:175], v[2:3], v[18:19], -v[20:21]
	scratch_load_b128 v[18:21], off, off offset:768
	ds_load_b128 v[2:5], v1 offset:1616
	s_waitcnt vmcnt(10) lgkmcnt(1)
	v_mul_f64 v[170:171], v[57:58], v[24:25]
	v_mul_f64 v[24:25], v[59:60], v[24:25]
	s_waitcnt vmcnt(9) lgkmcnt(0)
	v_mul_f64 v[176:177], v[2:3], v[28:29]
	v_mul_f64 v[28:29], v[4:5], v[28:29]
	v_add_f64 v[69:70], v[69:70], v[65:66]
	v_add_f64 v[91:92], v[91:92], v[67:68]
	ds_load_b128 v[65:68], v1 offset:1632
	v_fma_f64 v[59:60], v[59:60], v[22:23], v[170:171]
	v_fma_f64 v[57:58], v[57:58], v[22:23], -v[24:25]
	scratch_load_b128 v[22:25], off, off offset:784
	v_add_f64 v[69:70], v[69:70], v[174:175]
	v_add_f64 v[91:92], v[91:92], v[172:173]
	v_fma_f64 v[172:173], v[4:5], v[26:27], v[176:177]
	v_fma_f64 v[174:175], v[2:3], v[26:27], -v[28:29]
	scratch_load_b128 v[26:29], off, off offset:800
	ds_load_b128 v[2:5], v1 offset:1648
	s_waitcnt vmcnt(10) lgkmcnt(1)
	v_mul_f64 v[170:171], v[65:66], v[32:33]
	v_mul_f64 v[32:33], v[67:68], v[32:33]
	s_waitcnt vmcnt(9) lgkmcnt(0)
	v_mul_f64 v[176:177], v[2:3], v[36:37]
	v_mul_f64 v[36:37], v[4:5], v[36:37]
	v_add_f64 v[69:70], v[69:70], v[57:58]
	v_add_f64 v[91:92], v[91:92], v[59:60]
	ds_load_b128 v[57:60], v1 offset:1664
	v_fma_f64 v[67:68], v[67:68], v[30:31], v[170:171]
	v_fma_f64 v[65:66], v[65:66], v[30:31], -v[32:33]
	scratch_load_b128 v[30:33], off, off offset:816
	v_add_f64 v[69:70], v[69:70], v[174:175]
	v_add_f64 v[91:92], v[91:92], v[172:173]
	v_fma_f64 v[174:175], v[4:5], v[34:35], v[176:177]
	v_fma_f64 v[176:177], v[2:3], v[34:35], -v[36:37]
	scratch_load_b128 v[34:37], off, off offset:832
	ds_load_b128 v[2:5], v1 offset:1680
	s_waitcnt vmcnt(9) lgkmcnt(1)
	v_mul_f64 v[170:171], v[57:58], v[63:64]
	v_mul_f64 v[172:173], v[59:60], v[63:64]
	v_add_f64 v[69:70], v[69:70], v[65:66]
	v_add_f64 v[67:68], v[91:92], v[67:68]
	ds_load_b128 v[63:66], v1 offset:1696
	v_fma_f64 v[170:171], v[59:60], v[61:62], v[170:171]
	v_fma_f64 v[61:62], v[57:58], v[61:62], -v[172:173]
	scratch_load_b128 v[57:60], off, off offset:848
	s_waitcnt vmcnt(9) lgkmcnt(1)
	v_mul_f64 v[91:92], v[2:3], v[40:41]
	v_mul_f64 v[40:41], v[4:5], v[40:41]
	v_add_f64 v[69:70], v[69:70], v[176:177]
	v_add_f64 v[67:68], v[67:68], v[174:175]
	s_delay_alu instid0(VALU_DEP_4) | instskip(NEXT) | instid1(VALU_DEP_4)
	v_fma_f64 v[91:92], v[4:5], v[38:39], v[91:92]
	v_fma_f64 v[174:175], v[2:3], v[38:39], -v[40:41]
	scratch_load_b128 v[38:41], off, off offset:864
	ds_load_b128 v[2:5], v1 offset:1712
	s_waitcnt vmcnt(9) lgkmcnt(1)
	v_mul_f64 v[172:173], v[63:64], v[8:9]
	v_mul_f64 v[8:9], v[65:66], v[8:9]
	s_waitcnt vmcnt(8) lgkmcnt(0)
	v_mul_f64 v[176:177], v[2:3], v[12:13]
	v_mul_f64 v[12:13], v[4:5], v[12:13]
	v_add_f64 v[61:62], v[69:70], v[61:62]
	v_add_f64 v[170:171], v[67:68], v[170:171]
	ds_load_b128 v[67:70], v1 offset:1728
	v_fma_f64 v[65:66], v[65:66], v[6:7], v[172:173]
	v_fma_f64 v[63:64], v[63:64], v[6:7], -v[8:9]
	scratch_load_b128 v[6:9], off, off offset:880
	v_fma_f64 v[172:173], v[4:5], v[10:11], v[176:177]
	v_add_f64 v[61:62], v[61:62], v[174:175]
	v_add_f64 v[91:92], v[170:171], v[91:92]
	v_fma_f64 v[174:175], v[2:3], v[10:11], -v[12:13]
	scratch_load_b128 v[10:13], off, off offset:896
	ds_load_b128 v[2:5], v1 offset:1744
	s_waitcnt vmcnt(9) lgkmcnt(1)
	v_mul_f64 v[170:171], v[67:68], v[16:17]
	v_mul_f64 v[16:17], v[69:70], v[16:17]
	v_add_f64 v[176:177], v[61:62], v[63:64]
	v_add_f64 v[65:66], v[91:92], v[65:66]
	s_waitcnt vmcnt(8) lgkmcnt(0)
	v_mul_f64 v[91:92], v[2:3], v[20:21]
	v_mul_f64 v[20:21], v[4:5], v[20:21]
	ds_load_b128 v[61:64], v1 offset:1760
	v_fma_f64 v[69:70], v[69:70], v[14:15], v[170:171]
	v_fma_f64 v[67:68], v[67:68], v[14:15], -v[16:17]
	scratch_load_b128 v[14:17], off, off offset:912
	v_add_f64 v[170:171], v[176:177], v[174:175]
	v_add_f64 v[65:66], v[65:66], v[172:173]
	v_fma_f64 v[91:92], v[4:5], v[18:19], v[91:92]
	v_fma_f64 v[174:175], v[2:3], v[18:19], -v[20:21]
	scratch_load_b128 v[18:21], off, off offset:928
	ds_load_b128 v[2:5], v1 offset:1776
	s_waitcnt vmcnt(9) lgkmcnt(1)
	v_mul_f64 v[172:173], v[61:62], v[24:25]
	v_mul_f64 v[24:25], v[63:64], v[24:25]
	s_waitcnt vmcnt(8) lgkmcnt(0)
	v_mul_f64 v[176:177], v[2:3], v[28:29]
	v_mul_f64 v[28:29], v[4:5], v[28:29]
	v_add_f64 v[170:171], v[170:171], v[67:68]
	v_add_f64 v[69:70], v[65:66], v[69:70]
	ds_load_b128 v[65:68], v1 offset:1792
	v_fma_f64 v[63:64], v[63:64], v[22:23], v[172:173]
	v_fma_f64 v[61:62], v[61:62], v[22:23], -v[24:25]
	scratch_load_b128 v[22:25], off, off offset:944
	v_fma_f64 v[172:173], v[4:5], v[26:27], v[176:177]
	v_add_f64 v[170:171], v[170:171], v[174:175]
	v_add_f64 v[69:70], v[69:70], v[91:92]
	v_fma_f64 v[174:175], v[2:3], v[26:27], -v[28:29]
	scratch_load_b128 v[26:29], off, off offset:960
	ds_load_b128 v[2:5], v1 offset:1808
	s_waitcnt vmcnt(9) lgkmcnt(1)
	v_mul_f64 v[91:92], v[65:66], v[32:33]
	v_mul_f64 v[32:33], v[67:68], v[32:33]
	s_waitcnt vmcnt(8) lgkmcnt(0)
	v_mul_f64 v[176:177], v[2:3], v[36:37]
	v_mul_f64 v[36:37], v[4:5], v[36:37]
	v_add_f64 v[170:171], v[170:171], v[61:62]
	v_add_f64 v[69:70], v[69:70], v[63:64]
	ds_load_b128 v[61:64], v1 offset:1824
	v_fma_f64 v[67:68], v[67:68], v[30:31], v[91:92]
	v_fma_f64 v[30:31], v[65:66], v[30:31], -v[32:33]
	v_fma_f64 v[91:92], v[4:5], v[34:35], v[176:177]
	v_fma_f64 v[34:35], v[2:3], v[34:35], -v[36:37]
	v_add_f64 v[32:33], v[170:171], v[174:175]
	v_add_f64 v[65:66], v[69:70], v[172:173]
	s_waitcnt vmcnt(7) lgkmcnt(0)
	v_mul_f64 v[69:70], v[61:62], v[59:60]
	v_mul_f64 v[59:60], v[63:64], v[59:60]
	s_delay_alu instid0(VALU_DEP_4) | instskip(NEXT) | instid1(VALU_DEP_4)
	v_add_f64 v[36:37], v[32:33], v[30:31]
	v_add_f64 v[65:66], v[65:66], v[67:68]
	ds_load_b128 v[2:5], v1 offset:1840
	ds_load_b128 v[30:33], v1 offset:1856
	v_fma_f64 v[63:64], v[63:64], v[57:58], v[69:70]
	v_fma_f64 v[57:58], v[61:62], v[57:58], -v[59:60]
	s_waitcnt vmcnt(6) lgkmcnt(1)
	v_mul_f64 v[67:68], v[2:3], v[40:41]
	v_mul_f64 v[40:41], v[4:5], v[40:41]
	s_waitcnt vmcnt(5) lgkmcnt(0)
	v_mul_f64 v[59:60], v[30:31], v[8:9]
	v_mul_f64 v[8:9], v[32:33], v[8:9]
	v_add_f64 v[34:35], v[36:37], v[34:35]
	v_add_f64 v[36:37], v[65:66], v[91:92]
	v_fma_f64 v[61:62], v[4:5], v[38:39], v[67:68]
	v_fma_f64 v[38:39], v[2:3], v[38:39], -v[40:41]
	v_fma_f64 v[32:33], v[32:33], v[6:7], v[59:60]
	v_fma_f64 v[6:7], v[30:31], v[6:7], -v[8:9]
	v_add_f64 v[40:41], v[34:35], v[57:58]
	v_add_f64 v[57:58], v[36:37], v[63:64]
	ds_load_b128 v[2:5], v1 offset:1872
	ds_load_b128 v[34:37], v1 offset:1888
	s_waitcnt vmcnt(4) lgkmcnt(1)
	v_mul_f64 v[63:64], v[2:3], v[12:13]
	v_mul_f64 v[12:13], v[4:5], v[12:13]
	v_add_f64 v[8:9], v[40:41], v[38:39]
	v_add_f64 v[30:31], v[57:58], v[61:62]
	s_waitcnt vmcnt(3) lgkmcnt(0)
	v_mul_f64 v[38:39], v[34:35], v[16:17]
	v_mul_f64 v[16:17], v[36:37], v[16:17]
	v_fma_f64 v[40:41], v[4:5], v[10:11], v[63:64]
	v_fma_f64 v[10:11], v[2:3], v[10:11], -v[12:13]
	v_add_f64 v[12:13], v[8:9], v[6:7]
	v_add_f64 v[30:31], v[30:31], v[32:33]
	ds_load_b128 v[2:5], v1 offset:1904
	ds_load_b128 v[6:9], v1 offset:1920
	v_fma_f64 v[36:37], v[36:37], v[14:15], v[38:39]
	v_fma_f64 v[14:15], v[34:35], v[14:15], -v[16:17]
	s_waitcnt vmcnt(2) lgkmcnt(1)
	v_mul_f64 v[32:33], v[2:3], v[20:21]
	v_mul_f64 v[20:21], v[4:5], v[20:21]
	s_waitcnt vmcnt(1) lgkmcnt(0)
	v_mul_f64 v[16:17], v[6:7], v[24:25]
	v_mul_f64 v[24:25], v[8:9], v[24:25]
	v_add_f64 v[10:11], v[12:13], v[10:11]
	v_add_f64 v[12:13], v[30:31], v[40:41]
	v_fma_f64 v[30:31], v[4:5], v[18:19], v[32:33]
	v_fma_f64 v[18:19], v[2:3], v[18:19], -v[20:21]
	ds_load_b128 v[2:5], v1 offset:1936
	v_fma_f64 v[8:9], v[8:9], v[22:23], v[16:17]
	v_fma_f64 v[6:7], v[6:7], v[22:23], -v[24:25]
	v_add_f64 v[10:11], v[10:11], v[14:15]
	v_add_f64 v[12:13], v[12:13], v[36:37]
	s_waitcnt vmcnt(0) lgkmcnt(0)
	v_mul_f64 v[14:15], v[2:3], v[28:29]
	v_mul_f64 v[20:21], v[4:5], v[28:29]
	s_delay_alu instid0(VALU_DEP_4) | instskip(NEXT) | instid1(VALU_DEP_4)
	v_add_f64 v[10:11], v[10:11], v[18:19]
	v_add_f64 v[12:13], v[12:13], v[30:31]
	s_delay_alu instid0(VALU_DEP_4) | instskip(NEXT) | instid1(VALU_DEP_4)
	v_fma_f64 v[4:5], v[4:5], v[26:27], v[14:15]
	v_fma_f64 v[2:3], v[2:3], v[26:27], -v[20:21]
	s_delay_alu instid0(VALU_DEP_4) | instskip(NEXT) | instid1(VALU_DEP_4)
	v_add_f64 v[6:7], v[10:11], v[6:7]
	v_add_f64 v[8:9], v[12:13], v[8:9]
	s_delay_alu instid0(VALU_DEP_2) | instskip(NEXT) | instid1(VALU_DEP_2)
	v_add_f64 v[2:3], v[6:7], v[2:3]
	v_add_f64 v[4:5], v[8:9], v[4:5]
	s_delay_alu instid0(VALU_DEP_2) | instskip(NEXT) | instid1(VALU_DEP_2)
	v_add_f64 v[2:3], v[42:43], -v[2:3]
	v_add_f64 v[4:5], v[44:45], -v[4:5]
	scratch_store_b128 off, v[2:5], off offset:528
	v_cmpx_lt_u32_e32 32, v169
	s_cbranch_execz .LBB124_327
; %bb.326:
	scratch_load_b128 v[5:8], v56, off
	v_mov_b32_e32 v2, v1
	v_mov_b32_e32 v3, v1
	;; [unrolled: 1-line block ×3, first 2 shown]
	scratch_store_b128 off, v[1:4], off offset:512
	s_waitcnt vmcnt(0)
	ds_store_b128 v229, v[5:8]
.LBB124_327:
	s_or_b32 exec_lo, exec_lo, s2
	s_waitcnt lgkmcnt(0)
	s_waitcnt_vscnt null, 0x0
	s_barrier
	buffer_gl0_inv
	s_clause 0x8
	scratch_load_b128 v[2:5], off, off offset:528
	scratch_load_b128 v[6:9], off, off offset:544
	;; [unrolled: 1-line block ×9, first 2 shown]
	ds_load_b128 v[42:45], v1 offset:1504
	ds_load_b128 v[38:41], v1 offset:1520
	s_clause 0x1
	scratch_load_b128 v[57:60], off, off offset:512
	scratch_load_b128 v[61:64], off, off offset:672
	s_mov_b32 s2, exec_lo
	s_waitcnt vmcnt(10) lgkmcnt(1)
	v_mul_f64 v[65:66], v[44:45], v[4:5]
	v_mul_f64 v[4:5], v[42:43], v[4:5]
	s_waitcnt vmcnt(9) lgkmcnt(0)
	v_mul_f64 v[69:70], v[38:39], v[8:9]
	v_mul_f64 v[8:9], v[40:41], v[8:9]
	s_delay_alu instid0(VALU_DEP_4) | instskip(NEXT) | instid1(VALU_DEP_4)
	v_fma_f64 v[91:92], v[42:43], v[2:3], -v[65:66]
	v_fma_f64 v[170:171], v[44:45], v[2:3], v[4:5]
	ds_load_b128 v[2:5], v1 offset:1536
	ds_load_b128 v[65:68], v1 offset:1552
	scratch_load_b128 v[42:45], off, off offset:688
	v_fma_f64 v[40:41], v[40:41], v[6:7], v[69:70]
	v_fma_f64 v[38:39], v[38:39], v[6:7], -v[8:9]
	scratch_load_b128 v[6:9], off, off offset:704
	s_waitcnt vmcnt(10) lgkmcnt(1)
	v_mul_f64 v[172:173], v[2:3], v[12:13]
	v_mul_f64 v[12:13], v[4:5], v[12:13]
	v_add_f64 v[69:70], v[91:92], 0
	v_add_f64 v[91:92], v[170:171], 0
	s_waitcnt vmcnt(9) lgkmcnt(0)
	v_mul_f64 v[170:171], v[65:66], v[16:17]
	v_mul_f64 v[16:17], v[67:68], v[16:17]
	v_fma_f64 v[172:173], v[4:5], v[10:11], v[172:173]
	v_fma_f64 v[174:175], v[2:3], v[10:11], -v[12:13]
	ds_load_b128 v[2:5], v1 offset:1568
	scratch_load_b128 v[10:13], off, off offset:720
	v_add_f64 v[69:70], v[69:70], v[38:39]
	v_add_f64 v[91:92], v[91:92], v[40:41]
	ds_load_b128 v[38:41], v1 offset:1584
	v_fma_f64 v[67:68], v[67:68], v[14:15], v[170:171]
	v_fma_f64 v[65:66], v[65:66], v[14:15], -v[16:17]
	scratch_load_b128 v[14:17], off, off offset:736
	s_waitcnt vmcnt(10) lgkmcnt(1)
	v_mul_f64 v[176:177], v[2:3], v[20:21]
	v_mul_f64 v[20:21], v[4:5], v[20:21]
	s_waitcnt vmcnt(9) lgkmcnt(0)
	v_mul_f64 v[170:171], v[38:39], v[24:25]
	v_mul_f64 v[24:25], v[40:41], v[24:25]
	v_add_f64 v[69:70], v[69:70], v[174:175]
	v_add_f64 v[91:92], v[91:92], v[172:173]
	v_fma_f64 v[172:173], v[4:5], v[18:19], v[176:177]
	v_fma_f64 v[174:175], v[2:3], v[18:19], -v[20:21]
	ds_load_b128 v[2:5], v1 offset:1600
	scratch_load_b128 v[18:21], off, off offset:752
	v_fma_f64 v[40:41], v[40:41], v[22:23], v[170:171]
	v_fma_f64 v[38:39], v[38:39], v[22:23], -v[24:25]
	scratch_load_b128 v[22:25], off, off offset:768
	v_add_f64 v[69:70], v[69:70], v[65:66]
	v_add_f64 v[91:92], v[91:92], v[67:68]
	ds_load_b128 v[65:68], v1 offset:1616
	s_waitcnt vmcnt(10) lgkmcnt(1)
	v_mul_f64 v[176:177], v[2:3], v[28:29]
	v_mul_f64 v[28:29], v[4:5], v[28:29]
	s_waitcnt vmcnt(9) lgkmcnt(0)
	v_mul_f64 v[170:171], v[65:66], v[32:33]
	v_mul_f64 v[32:33], v[67:68], v[32:33]
	v_add_f64 v[69:70], v[69:70], v[174:175]
	v_add_f64 v[91:92], v[91:92], v[172:173]
	v_fma_f64 v[172:173], v[4:5], v[26:27], v[176:177]
	v_fma_f64 v[174:175], v[2:3], v[26:27], -v[28:29]
	ds_load_b128 v[2:5], v1 offset:1632
	scratch_load_b128 v[26:29], off, off offset:784
	v_fma_f64 v[67:68], v[67:68], v[30:31], v[170:171]
	v_fma_f64 v[65:66], v[65:66], v[30:31], -v[32:33]
	scratch_load_b128 v[30:33], off, off offset:800
	v_add_f64 v[69:70], v[69:70], v[38:39]
	v_add_f64 v[91:92], v[91:92], v[40:41]
	ds_load_b128 v[38:41], v1 offset:1648
	s_waitcnt vmcnt(10) lgkmcnt(1)
	v_mul_f64 v[176:177], v[2:3], v[36:37]
	v_mul_f64 v[36:37], v[4:5], v[36:37]
	s_waitcnt vmcnt(8) lgkmcnt(0)
	v_mul_f64 v[170:171], v[38:39], v[63:64]
	v_add_f64 v[69:70], v[69:70], v[174:175]
	v_add_f64 v[91:92], v[91:92], v[172:173]
	v_mul_f64 v[172:173], v[40:41], v[63:64]
	v_fma_f64 v[174:175], v[4:5], v[34:35], v[176:177]
	v_fma_f64 v[176:177], v[2:3], v[34:35], -v[36:37]
	ds_load_b128 v[2:5], v1 offset:1664
	scratch_load_b128 v[34:37], off, off offset:816
	v_fma_f64 v[170:171], v[40:41], v[61:62], v[170:171]
	v_add_f64 v[69:70], v[69:70], v[65:66]
	v_add_f64 v[67:68], v[91:92], v[67:68]
	ds_load_b128 v[63:66], v1 offset:1680
	v_fma_f64 v[61:62], v[38:39], v[61:62], -v[172:173]
	scratch_load_b128 v[38:41], off, off offset:832
	s_waitcnt vmcnt(9) lgkmcnt(1)
	v_mul_f64 v[91:92], v[2:3], v[44:45]
	v_mul_f64 v[44:45], v[4:5], v[44:45]
	s_waitcnt vmcnt(8) lgkmcnt(0)
	v_mul_f64 v[172:173], v[63:64], v[8:9]
	v_mul_f64 v[8:9], v[65:66], v[8:9]
	v_add_f64 v[69:70], v[69:70], v[176:177]
	v_add_f64 v[67:68], v[67:68], v[174:175]
	v_fma_f64 v[91:92], v[4:5], v[42:43], v[91:92]
	v_fma_f64 v[174:175], v[2:3], v[42:43], -v[44:45]
	ds_load_b128 v[2:5], v1 offset:1696
	scratch_load_b128 v[42:45], off, off offset:848
	v_fma_f64 v[65:66], v[65:66], v[6:7], v[172:173]
	v_fma_f64 v[63:64], v[63:64], v[6:7], -v[8:9]
	scratch_load_b128 v[6:9], off, off offset:864
	v_add_f64 v[61:62], v[69:70], v[61:62]
	v_add_f64 v[170:171], v[67:68], v[170:171]
	ds_load_b128 v[67:70], v1 offset:1712
	s_waitcnt vmcnt(9) lgkmcnt(1)
	v_mul_f64 v[176:177], v[2:3], v[12:13]
	v_mul_f64 v[12:13], v[4:5], v[12:13]
	v_add_f64 v[61:62], v[61:62], v[174:175]
	v_add_f64 v[91:92], v[170:171], v[91:92]
	s_waitcnt vmcnt(8) lgkmcnt(0)
	v_mul_f64 v[170:171], v[67:68], v[16:17]
	v_mul_f64 v[16:17], v[69:70], v[16:17]
	v_fma_f64 v[172:173], v[4:5], v[10:11], v[176:177]
	v_fma_f64 v[174:175], v[2:3], v[10:11], -v[12:13]
	ds_load_b128 v[2:5], v1 offset:1728
	scratch_load_b128 v[10:13], off, off offset:880
	v_add_f64 v[176:177], v[61:62], v[63:64]
	v_add_f64 v[65:66], v[91:92], v[65:66]
	ds_load_b128 v[61:64], v1 offset:1744
	s_waitcnt vmcnt(8) lgkmcnt(1)
	v_mul_f64 v[91:92], v[2:3], v[20:21]
	v_mul_f64 v[20:21], v[4:5], v[20:21]
	v_fma_f64 v[69:70], v[69:70], v[14:15], v[170:171]
	v_fma_f64 v[67:68], v[67:68], v[14:15], -v[16:17]
	scratch_load_b128 v[14:17], off, off offset:896
	v_add_f64 v[170:171], v[176:177], v[174:175]
	v_add_f64 v[65:66], v[65:66], v[172:173]
	s_waitcnt vmcnt(8) lgkmcnt(0)
	v_mul_f64 v[172:173], v[61:62], v[24:25]
	v_mul_f64 v[24:25], v[63:64], v[24:25]
	v_fma_f64 v[91:92], v[4:5], v[18:19], v[91:92]
	v_fma_f64 v[174:175], v[2:3], v[18:19], -v[20:21]
	ds_load_b128 v[2:5], v1 offset:1760
	scratch_load_b128 v[18:21], off, off offset:912
	v_add_f64 v[170:171], v[170:171], v[67:68]
	v_add_f64 v[69:70], v[65:66], v[69:70]
	ds_load_b128 v[65:68], v1 offset:1776
	s_waitcnt vmcnt(8) lgkmcnt(1)
	v_mul_f64 v[176:177], v[2:3], v[28:29]
	v_mul_f64 v[28:29], v[4:5], v[28:29]
	v_fma_f64 v[63:64], v[63:64], v[22:23], v[172:173]
	v_fma_f64 v[61:62], v[61:62], v[22:23], -v[24:25]
	scratch_load_b128 v[22:25], off, off offset:928
	;; [unrolled: 18-line block ×3, first 2 shown]
	v_add_f64 v[91:92], v[170:171], v[174:175]
	v_add_f64 v[69:70], v[69:70], v[172:173]
	s_waitcnt vmcnt(8) lgkmcnt(0)
	v_mul_f64 v[170:171], v[61:62], v[40:41]
	v_mul_f64 v[40:41], v[63:64], v[40:41]
	v_fma_f64 v[172:173], v[4:5], v[34:35], v[176:177]
	v_fma_f64 v[174:175], v[2:3], v[34:35], -v[36:37]
	ds_load_b128 v[2:5], v1 offset:1824
	ds_load_b128 v[34:37], v1 offset:1840
	v_add_f64 v[65:66], v[91:92], v[65:66]
	v_add_f64 v[67:68], v[69:70], v[67:68]
	s_waitcnt vmcnt(7) lgkmcnt(1)
	v_mul_f64 v[69:70], v[2:3], v[44:45]
	v_mul_f64 v[44:45], v[4:5], v[44:45]
	v_fma_f64 v[63:64], v[63:64], v[38:39], v[170:171]
	v_fma_f64 v[38:39], v[61:62], v[38:39], -v[40:41]
	v_add_f64 v[40:41], v[65:66], v[174:175]
	v_add_f64 v[61:62], v[67:68], v[172:173]
	s_waitcnt vmcnt(6) lgkmcnt(0)
	v_mul_f64 v[65:66], v[34:35], v[8:9]
	v_mul_f64 v[8:9], v[36:37], v[8:9]
	v_fma_f64 v[67:68], v[4:5], v[42:43], v[69:70]
	v_fma_f64 v[42:43], v[2:3], v[42:43], -v[44:45]
	v_add_f64 v[44:45], v[40:41], v[38:39]
	v_add_f64 v[61:62], v[61:62], v[63:64]
	ds_load_b128 v[2:5], v1 offset:1856
	ds_load_b128 v[38:41], v1 offset:1872
	v_fma_f64 v[36:37], v[36:37], v[6:7], v[65:66]
	v_fma_f64 v[6:7], v[34:35], v[6:7], -v[8:9]
	s_waitcnt vmcnt(5) lgkmcnt(1)
	v_mul_f64 v[63:64], v[2:3], v[12:13]
	v_mul_f64 v[12:13], v[4:5], v[12:13]
	v_add_f64 v[8:9], v[44:45], v[42:43]
	v_add_f64 v[34:35], v[61:62], v[67:68]
	s_waitcnt vmcnt(4) lgkmcnt(0)
	v_mul_f64 v[42:43], v[38:39], v[16:17]
	v_mul_f64 v[16:17], v[40:41], v[16:17]
	v_fma_f64 v[44:45], v[4:5], v[10:11], v[63:64]
	v_fma_f64 v[10:11], v[2:3], v[10:11], -v[12:13]
	v_add_f64 v[12:13], v[8:9], v[6:7]
	v_add_f64 v[34:35], v[34:35], v[36:37]
	ds_load_b128 v[2:5], v1 offset:1888
	ds_load_b128 v[6:9], v1 offset:1904
	v_fma_f64 v[40:41], v[40:41], v[14:15], v[42:43]
	v_fma_f64 v[14:15], v[38:39], v[14:15], -v[16:17]
	s_waitcnt vmcnt(3) lgkmcnt(1)
	v_mul_f64 v[36:37], v[2:3], v[20:21]
	v_mul_f64 v[20:21], v[4:5], v[20:21]
	s_waitcnt vmcnt(2) lgkmcnt(0)
	v_mul_f64 v[16:17], v[6:7], v[24:25]
	v_mul_f64 v[24:25], v[8:9], v[24:25]
	v_add_f64 v[10:11], v[12:13], v[10:11]
	v_add_f64 v[12:13], v[34:35], v[44:45]
	v_fma_f64 v[34:35], v[4:5], v[18:19], v[36:37]
	v_fma_f64 v[18:19], v[2:3], v[18:19], -v[20:21]
	v_fma_f64 v[8:9], v[8:9], v[22:23], v[16:17]
	v_fma_f64 v[6:7], v[6:7], v[22:23], -v[24:25]
	v_add_f64 v[14:15], v[10:11], v[14:15]
	v_add_f64 v[20:21], v[12:13], v[40:41]
	ds_load_b128 v[2:5], v1 offset:1920
	ds_load_b128 v[10:13], v1 offset:1936
	s_waitcnt vmcnt(1) lgkmcnt(1)
	v_mul_f64 v[36:37], v[2:3], v[28:29]
	v_mul_f64 v[28:29], v[4:5], v[28:29]
	v_add_f64 v[14:15], v[14:15], v[18:19]
	v_add_f64 v[16:17], v[20:21], v[34:35]
	s_waitcnt vmcnt(0) lgkmcnt(0)
	v_mul_f64 v[18:19], v[10:11], v[32:33]
	v_mul_f64 v[20:21], v[12:13], v[32:33]
	v_fma_f64 v[4:5], v[4:5], v[26:27], v[36:37]
	v_fma_f64 v[1:2], v[2:3], v[26:27], -v[28:29]
	v_add_f64 v[6:7], v[14:15], v[6:7]
	v_add_f64 v[8:9], v[16:17], v[8:9]
	v_fma_f64 v[12:13], v[12:13], v[30:31], v[18:19]
	v_fma_f64 v[10:11], v[10:11], v[30:31], -v[20:21]
	s_delay_alu instid0(VALU_DEP_4) | instskip(NEXT) | instid1(VALU_DEP_4)
	v_add_f64 v[1:2], v[6:7], v[1:2]
	v_add_f64 v[3:4], v[8:9], v[4:5]
	s_delay_alu instid0(VALU_DEP_2) | instskip(NEXT) | instid1(VALU_DEP_2)
	v_add_f64 v[1:2], v[1:2], v[10:11]
	v_add_f64 v[3:4], v[3:4], v[12:13]
	s_delay_alu instid0(VALU_DEP_2) | instskip(NEXT) | instid1(VALU_DEP_2)
	v_add_f64 v[1:2], v[57:58], -v[1:2]
	v_add_f64 v[3:4], v[59:60], -v[3:4]
	scratch_store_b128 off, v[1:4], off offset:512
	v_cmpx_lt_u32_e32 31, v169
	s_cbranch_execz .LBB124_329
; %bb.328:
	scratch_load_b32 v1, off, off offset:976 ; 4-byte Folded Reload
	v_mov_b32_e32 v5, 0
	s_delay_alu instid0(VALU_DEP_1)
	v_mov_b32_e32 v6, v5
	v_mov_b32_e32 v7, v5
	;; [unrolled: 1-line block ×3, first 2 shown]
	s_waitcnt vmcnt(0)
	scratch_load_b128 v[1:4], v1, off
	scratch_store_b128 off, v[5:8], off offset:496
	s_waitcnt vmcnt(0)
	ds_store_b128 v229, v[1:4]
.LBB124_329:
	s_or_b32 exec_lo, exec_lo, s2
	s_waitcnt lgkmcnt(0)
	s_waitcnt_vscnt null, 0x0
	s_barrier
	buffer_gl0_inv
	s_clause 0x7
	scratch_load_b128 v[2:5], off, off offset:512
	scratch_load_b128 v[6:9], off, off offset:528
	;; [unrolled: 1-line block ×8, first 2 shown]
	v_mov_b32_e32 v1, 0
	s_mov_b32 s2, exec_lo
	ds_load_b128 v[38:41], v1 offset:1488
	s_clause 0x1
	scratch_load_b128 v[34:37], off, off offset:640
	scratch_load_b128 v[42:45], off, off offset:496
	ds_load_b128 v[57:60], v1 offset:1504
	scratch_load_b128 v[61:64], off, off offset:656
	s_waitcnt vmcnt(10) lgkmcnt(1)
	v_mul_f64 v[65:66], v[40:41], v[4:5]
	v_mul_f64 v[4:5], v[38:39], v[4:5]
	s_delay_alu instid0(VALU_DEP_2) | instskip(NEXT) | instid1(VALU_DEP_2)
	v_fma_f64 v[91:92], v[38:39], v[2:3], -v[65:66]
	v_fma_f64 v[170:171], v[40:41], v[2:3], v[4:5]
	scratch_load_b128 v[38:41], off, off offset:672
	ds_load_b128 v[2:5], v1 offset:1520
	s_waitcnt vmcnt(10) lgkmcnt(1)
	v_mul_f64 v[69:70], v[57:58], v[8:9]
	v_mul_f64 v[8:9], v[59:60], v[8:9]
	ds_load_b128 v[65:68], v1 offset:1536
	s_waitcnt vmcnt(9) lgkmcnt(1)
	v_mul_f64 v[172:173], v[2:3], v[12:13]
	v_mul_f64 v[12:13], v[4:5], v[12:13]
	v_fma_f64 v[59:60], v[59:60], v[6:7], v[69:70]
	v_fma_f64 v[57:58], v[57:58], v[6:7], -v[8:9]
	v_add_f64 v[69:70], v[91:92], 0
	v_add_f64 v[91:92], v[170:171], 0
	scratch_load_b128 v[6:9], off, off offset:688
	v_fma_f64 v[172:173], v[4:5], v[10:11], v[172:173]
	v_fma_f64 v[174:175], v[2:3], v[10:11], -v[12:13]
	scratch_load_b128 v[10:13], off, off offset:704
	ds_load_b128 v[2:5], v1 offset:1552
	s_waitcnt vmcnt(10) lgkmcnt(1)
	v_mul_f64 v[170:171], v[65:66], v[16:17]
	v_mul_f64 v[16:17], v[67:68], v[16:17]
	v_add_f64 v[69:70], v[69:70], v[57:58]
	v_add_f64 v[91:92], v[91:92], v[59:60]
	s_waitcnt vmcnt(9) lgkmcnt(0)
	v_mul_f64 v[176:177], v[2:3], v[20:21]
	v_mul_f64 v[20:21], v[4:5], v[20:21]
	ds_load_b128 v[57:60], v1 offset:1568
	v_fma_f64 v[67:68], v[67:68], v[14:15], v[170:171]
	v_fma_f64 v[65:66], v[65:66], v[14:15], -v[16:17]
	scratch_load_b128 v[14:17], off, off offset:720
	v_add_f64 v[69:70], v[69:70], v[174:175]
	v_add_f64 v[91:92], v[91:92], v[172:173]
	v_fma_f64 v[172:173], v[4:5], v[18:19], v[176:177]
	v_fma_f64 v[174:175], v[2:3], v[18:19], -v[20:21]
	scratch_load_b128 v[18:21], off, off offset:736
	ds_load_b128 v[2:5], v1 offset:1584
	s_waitcnt vmcnt(10) lgkmcnt(1)
	v_mul_f64 v[170:171], v[57:58], v[24:25]
	v_mul_f64 v[24:25], v[59:60], v[24:25]
	s_waitcnt vmcnt(9) lgkmcnt(0)
	v_mul_f64 v[176:177], v[2:3], v[28:29]
	v_mul_f64 v[28:29], v[4:5], v[28:29]
	v_add_f64 v[69:70], v[69:70], v[65:66]
	v_add_f64 v[91:92], v[91:92], v[67:68]
	ds_load_b128 v[65:68], v1 offset:1600
	v_fma_f64 v[59:60], v[59:60], v[22:23], v[170:171]
	v_fma_f64 v[57:58], v[57:58], v[22:23], -v[24:25]
	scratch_load_b128 v[22:25], off, off offset:752
	v_add_f64 v[69:70], v[69:70], v[174:175]
	v_add_f64 v[91:92], v[91:92], v[172:173]
	v_fma_f64 v[172:173], v[4:5], v[26:27], v[176:177]
	v_fma_f64 v[174:175], v[2:3], v[26:27], -v[28:29]
	scratch_load_b128 v[26:29], off, off offset:768
	ds_load_b128 v[2:5], v1 offset:1616
	s_waitcnt vmcnt(10) lgkmcnt(1)
	v_mul_f64 v[170:171], v[65:66], v[32:33]
	v_mul_f64 v[32:33], v[67:68], v[32:33]
	s_waitcnt vmcnt(9) lgkmcnt(0)
	v_mul_f64 v[176:177], v[2:3], v[36:37]
	v_mul_f64 v[36:37], v[4:5], v[36:37]
	v_add_f64 v[69:70], v[69:70], v[57:58]
	v_add_f64 v[91:92], v[91:92], v[59:60]
	ds_load_b128 v[57:60], v1 offset:1632
	v_fma_f64 v[67:68], v[67:68], v[30:31], v[170:171]
	v_fma_f64 v[65:66], v[65:66], v[30:31], -v[32:33]
	scratch_load_b128 v[30:33], off, off offset:784
	v_add_f64 v[69:70], v[69:70], v[174:175]
	v_add_f64 v[91:92], v[91:92], v[172:173]
	v_fma_f64 v[174:175], v[4:5], v[34:35], v[176:177]
	v_fma_f64 v[176:177], v[2:3], v[34:35], -v[36:37]
	scratch_load_b128 v[34:37], off, off offset:800
	ds_load_b128 v[2:5], v1 offset:1648
	s_waitcnt vmcnt(9) lgkmcnt(1)
	v_mul_f64 v[170:171], v[57:58], v[63:64]
	v_mul_f64 v[172:173], v[59:60], v[63:64]
	v_add_f64 v[69:70], v[69:70], v[65:66]
	v_add_f64 v[67:68], v[91:92], v[67:68]
	ds_load_b128 v[63:66], v1 offset:1664
	v_fma_f64 v[170:171], v[59:60], v[61:62], v[170:171]
	v_fma_f64 v[61:62], v[57:58], v[61:62], -v[172:173]
	scratch_load_b128 v[57:60], off, off offset:816
	s_waitcnt vmcnt(9) lgkmcnt(1)
	v_mul_f64 v[91:92], v[2:3], v[40:41]
	v_mul_f64 v[40:41], v[4:5], v[40:41]
	v_add_f64 v[69:70], v[69:70], v[176:177]
	v_add_f64 v[67:68], v[67:68], v[174:175]
	s_delay_alu instid0(VALU_DEP_4) | instskip(NEXT) | instid1(VALU_DEP_4)
	v_fma_f64 v[91:92], v[4:5], v[38:39], v[91:92]
	v_fma_f64 v[174:175], v[2:3], v[38:39], -v[40:41]
	scratch_load_b128 v[38:41], off, off offset:832
	ds_load_b128 v[2:5], v1 offset:1680
	s_waitcnt vmcnt(9) lgkmcnt(1)
	v_mul_f64 v[172:173], v[63:64], v[8:9]
	v_mul_f64 v[8:9], v[65:66], v[8:9]
	s_waitcnt vmcnt(8) lgkmcnt(0)
	v_mul_f64 v[176:177], v[2:3], v[12:13]
	v_mul_f64 v[12:13], v[4:5], v[12:13]
	v_add_f64 v[61:62], v[69:70], v[61:62]
	v_add_f64 v[170:171], v[67:68], v[170:171]
	ds_load_b128 v[67:70], v1 offset:1696
	v_fma_f64 v[65:66], v[65:66], v[6:7], v[172:173]
	v_fma_f64 v[63:64], v[63:64], v[6:7], -v[8:9]
	scratch_load_b128 v[6:9], off, off offset:848
	v_fma_f64 v[172:173], v[4:5], v[10:11], v[176:177]
	v_add_f64 v[61:62], v[61:62], v[174:175]
	v_add_f64 v[91:92], v[170:171], v[91:92]
	v_fma_f64 v[174:175], v[2:3], v[10:11], -v[12:13]
	scratch_load_b128 v[10:13], off, off offset:864
	ds_load_b128 v[2:5], v1 offset:1712
	s_waitcnt vmcnt(9) lgkmcnt(1)
	v_mul_f64 v[170:171], v[67:68], v[16:17]
	v_mul_f64 v[16:17], v[69:70], v[16:17]
	v_add_f64 v[176:177], v[61:62], v[63:64]
	v_add_f64 v[65:66], v[91:92], v[65:66]
	s_waitcnt vmcnt(8) lgkmcnt(0)
	v_mul_f64 v[91:92], v[2:3], v[20:21]
	v_mul_f64 v[20:21], v[4:5], v[20:21]
	ds_load_b128 v[61:64], v1 offset:1728
	v_fma_f64 v[69:70], v[69:70], v[14:15], v[170:171]
	v_fma_f64 v[67:68], v[67:68], v[14:15], -v[16:17]
	scratch_load_b128 v[14:17], off, off offset:880
	v_add_f64 v[170:171], v[176:177], v[174:175]
	v_add_f64 v[65:66], v[65:66], v[172:173]
	v_fma_f64 v[91:92], v[4:5], v[18:19], v[91:92]
	v_fma_f64 v[174:175], v[2:3], v[18:19], -v[20:21]
	scratch_load_b128 v[18:21], off, off offset:896
	ds_load_b128 v[2:5], v1 offset:1744
	s_waitcnt vmcnt(9) lgkmcnt(1)
	v_mul_f64 v[172:173], v[61:62], v[24:25]
	v_mul_f64 v[24:25], v[63:64], v[24:25]
	s_waitcnt vmcnt(8) lgkmcnt(0)
	v_mul_f64 v[176:177], v[2:3], v[28:29]
	v_mul_f64 v[28:29], v[4:5], v[28:29]
	v_add_f64 v[170:171], v[170:171], v[67:68]
	v_add_f64 v[69:70], v[65:66], v[69:70]
	ds_load_b128 v[65:68], v1 offset:1760
	v_fma_f64 v[63:64], v[63:64], v[22:23], v[172:173]
	v_fma_f64 v[61:62], v[61:62], v[22:23], -v[24:25]
	scratch_load_b128 v[22:25], off, off offset:912
	v_fma_f64 v[172:173], v[4:5], v[26:27], v[176:177]
	v_add_f64 v[170:171], v[170:171], v[174:175]
	v_add_f64 v[69:70], v[69:70], v[91:92]
	v_fma_f64 v[174:175], v[2:3], v[26:27], -v[28:29]
	scratch_load_b128 v[26:29], off, off offset:928
	ds_load_b128 v[2:5], v1 offset:1776
	s_waitcnt vmcnt(9) lgkmcnt(1)
	v_mul_f64 v[91:92], v[65:66], v[32:33]
	v_mul_f64 v[32:33], v[67:68], v[32:33]
	s_waitcnt vmcnt(8) lgkmcnt(0)
	v_mul_f64 v[176:177], v[2:3], v[36:37]
	v_mul_f64 v[36:37], v[4:5], v[36:37]
	v_add_f64 v[170:171], v[170:171], v[61:62]
	v_add_f64 v[69:70], v[69:70], v[63:64]
	ds_load_b128 v[61:64], v1 offset:1792
	v_fma_f64 v[67:68], v[67:68], v[30:31], v[91:92]
	v_fma_f64 v[65:66], v[65:66], v[30:31], -v[32:33]
	scratch_load_b128 v[30:33], off, off offset:944
	v_add_f64 v[91:92], v[170:171], v[174:175]
	v_add_f64 v[69:70], v[69:70], v[172:173]
	v_fma_f64 v[172:173], v[4:5], v[34:35], v[176:177]
	v_fma_f64 v[174:175], v[2:3], v[34:35], -v[36:37]
	scratch_load_b128 v[34:37], off, off offset:960
	ds_load_b128 v[2:5], v1 offset:1808
	s_waitcnt vmcnt(9) lgkmcnt(1)
	v_mul_f64 v[170:171], v[61:62], v[59:60]
	v_mul_f64 v[59:60], v[63:64], v[59:60]
	s_waitcnt vmcnt(8) lgkmcnt(0)
	v_mul_f64 v[176:177], v[2:3], v[40:41]
	v_mul_f64 v[40:41], v[4:5], v[40:41]
	v_add_f64 v[91:92], v[91:92], v[65:66]
	v_add_f64 v[69:70], v[69:70], v[67:68]
	ds_load_b128 v[65:68], v1 offset:1824
	v_fma_f64 v[63:64], v[63:64], v[57:58], v[170:171]
	v_fma_f64 v[57:58], v[61:62], v[57:58], -v[59:60]
	v_fma_f64 v[170:171], v[2:3], v[38:39], -v[40:41]
	v_add_f64 v[59:60], v[91:92], v[174:175]
	v_add_f64 v[61:62], v[69:70], v[172:173]
	s_waitcnt vmcnt(7) lgkmcnt(0)
	v_mul_f64 v[69:70], v[65:66], v[8:9]
	v_mul_f64 v[8:9], v[67:68], v[8:9]
	v_fma_f64 v[91:92], v[4:5], v[38:39], v[176:177]
	ds_load_b128 v[2:5], v1 offset:1840
	ds_load_b128 v[38:41], v1 offset:1856
	v_add_f64 v[57:58], v[59:60], v[57:58]
	v_add_f64 v[59:60], v[61:62], v[63:64]
	s_waitcnt vmcnt(6) lgkmcnt(1)
	v_mul_f64 v[61:62], v[2:3], v[12:13]
	v_mul_f64 v[12:13], v[4:5], v[12:13]
	v_fma_f64 v[63:64], v[67:68], v[6:7], v[69:70]
	v_fma_f64 v[6:7], v[65:66], v[6:7], -v[8:9]
	v_add_f64 v[8:9], v[57:58], v[170:171]
	v_add_f64 v[57:58], v[59:60], v[91:92]
	s_waitcnt vmcnt(5) lgkmcnt(0)
	v_mul_f64 v[59:60], v[38:39], v[16:17]
	v_mul_f64 v[16:17], v[40:41], v[16:17]
	v_fma_f64 v[61:62], v[4:5], v[10:11], v[61:62]
	v_fma_f64 v[10:11], v[2:3], v[10:11], -v[12:13]
	v_add_f64 v[12:13], v[8:9], v[6:7]
	v_add_f64 v[57:58], v[57:58], v[63:64]
	ds_load_b128 v[2:5], v1 offset:1872
	ds_load_b128 v[6:9], v1 offset:1888
	v_fma_f64 v[40:41], v[40:41], v[14:15], v[59:60]
	v_fma_f64 v[14:15], v[38:39], v[14:15], -v[16:17]
	s_waitcnt vmcnt(4) lgkmcnt(1)
	v_mul_f64 v[63:64], v[2:3], v[20:21]
	v_mul_f64 v[20:21], v[4:5], v[20:21]
	s_waitcnt vmcnt(3) lgkmcnt(0)
	v_mul_f64 v[16:17], v[6:7], v[24:25]
	v_mul_f64 v[24:25], v[8:9], v[24:25]
	v_add_f64 v[10:11], v[12:13], v[10:11]
	v_add_f64 v[12:13], v[57:58], v[61:62]
	v_fma_f64 v[38:39], v[4:5], v[18:19], v[63:64]
	v_fma_f64 v[18:19], v[2:3], v[18:19], -v[20:21]
	v_fma_f64 v[8:9], v[8:9], v[22:23], v[16:17]
	v_fma_f64 v[6:7], v[6:7], v[22:23], -v[24:25]
	v_add_f64 v[14:15], v[10:11], v[14:15]
	v_add_f64 v[20:21], v[12:13], v[40:41]
	ds_load_b128 v[2:5], v1 offset:1904
	ds_load_b128 v[10:13], v1 offset:1920
	s_waitcnt vmcnt(2) lgkmcnt(1)
	v_mul_f64 v[40:41], v[2:3], v[28:29]
	v_mul_f64 v[28:29], v[4:5], v[28:29]
	v_add_f64 v[14:15], v[14:15], v[18:19]
	v_add_f64 v[16:17], v[20:21], v[38:39]
	s_waitcnt vmcnt(1) lgkmcnt(0)
	v_mul_f64 v[18:19], v[10:11], v[32:33]
	v_mul_f64 v[20:21], v[12:13], v[32:33]
	v_fma_f64 v[22:23], v[4:5], v[26:27], v[40:41]
	v_fma_f64 v[24:25], v[2:3], v[26:27], -v[28:29]
	ds_load_b128 v[2:5], v1 offset:1936
	v_add_f64 v[6:7], v[14:15], v[6:7]
	v_add_f64 v[8:9], v[16:17], v[8:9]
	v_fma_f64 v[12:13], v[12:13], v[30:31], v[18:19]
	v_fma_f64 v[10:11], v[10:11], v[30:31], -v[20:21]
	s_waitcnt vmcnt(0) lgkmcnt(0)
	v_mul_f64 v[14:15], v[2:3], v[36:37]
	v_mul_f64 v[16:17], v[4:5], v[36:37]
	v_add_f64 v[6:7], v[6:7], v[24:25]
	v_add_f64 v[8:9], v[8:9], v[22:23]
	s_delay_alu instid0(VALU_DEP_4) | instskip(NEXT) | instid1(VALU_DEP_4)
	v_fma_f64 v[4:5], v[4:5], v[34:35], v[14:15]
	v_fma_f64 v[2:3], v[2:3], v[34:35], -v[16:17]
	s_delay_alu instid0(VALU_DEP_4) | instskip(NEXT) | instid1(VALU_DEP_4)
	v_add_f64 v[6:7], v[6:7], v[10:11]
	v_add_f64 v[8:9], v[8:9], v[12:13]
	s_delay_alu instid0(VALU_DEP_2) | instskip(NEXT) | instid1(VALU_DEP_2)
	v_add_f64 v[2:3], v[6:7], v[2:3]
	v_add_f64 v[4:5], v[8:9], v[4:5]
	s_delay_alu instid0(VALU_DEP_2) | instskip(NEXT) | instid1(VALU_DEP_2)
	v_add_f64 v[2:3], v[42:43], -v[2:3]
	v_add_f64 v[4:5], v[44:45], -v[4:5]
	scratch_store_b128 off, v[2:5], off offset:496
	v_cmpx_lt_u32_e32 30, v169
	s_cbranch_execz .LBB124_331
; %bb.330:
	scratch_load_b32 v2, off, off offset:980 ; 4-byte Folded Reload
	v_mov_b32_e32 v3, v1
	v_mov_b32_e32 v4, v1
	s_waitcnt vmcnt(0)
	scratch_load_b128 v[5:8], v2, off
	v_mov_b32_e32 v2, v1
	scratch_store_b128 off, v[1:4], off offset:480
	s_waitcnt vmcnt(0)
	ds_store_b128 v229, v[5:8]
.LBB124_331:
	s_or_b32 exec_lo, exec_lo, s2
	s_waitcnt lgkmcnt(0)
	s_waitcnt_vscnt null, 0x0
	s_barrier
	buffer_gl0_inv
	s_clause 0x8
	scratch_load_b128 v[2:5], off, off offset:496
	scratch_load_b128 v[6:9], off, off offset:512
	;; [unrolled: 1-line block ×9, first 2 shown]
	ds_load_b128 v[42:45], v1 offset:1472
	ds_load_b128 v[38:41], v1 offset:1488
	s_clause 0x1
	scratch_load_b128 v[57:60], off, off offset:480
	scratch_load_b128 v[61:64], off, off offset:640
	s_mov_b32 s2, exec_lo
	s_waitcnt vmcnt(10) lgkmcnt(1)
	v_mul_f64 v[65:66], v[44:45], v[4:5]
	v_mul_f64 v[4:5], v[42:43], v[4:5]
	s_waitcnt vmcnt(9) lgkmcnt(0)
	v_mul_f64 v[69:70], v[38:39], v[8:9]
	v_mul_f64 v[8:9], v[40:41], v[8:9]
	s_delay_alu instid0(VALU_DEP_4) | instskip(NEXT) | instid1(VALU_DEP_4)
	v_fma_f64 v[91:92], v[42:43], v[2:3], -v[65:66]
	v_fma_f64 v[170:171], v[44:45], v[2:3], v[4:5]
	ds_load_b128 v[2:5], v1 offset:1504
	ds_load_b128 v[65:68], v1 offset:1520
	scratch_load_b128 v[42:45], off, off offset:656
	v_fma_f64 v[40:41], v[40:41], v[6:7], v[69:70]
	v_fma_f64 v[38:39], v[38:39], v[6:7], -v[8:9]
	scratch_load_b128 v[6:9], off, off offset:672
	s_waitcnt vmcnt(10) lgkmcnt(1)
	v_mul_f64 v[172:173], v[2:3], v[12:13]
	v_mul_f64 v[12:13], v[4:5], v[12:13]
	v_add_f64 v[69:70], v[91:92], 0
	v_add_f64 v[91:92], v[170:171], 0
	s_waitcnt vmcnt(9) lgkmcnt(0)
	v_mul_f64 v[170:171], v[65:66], v[16:17]
	v_mul_f64 v[16:17], v[67:68], v[16:17]
	v_fma_f64 v[172:173], v[4:5], v[10:11], v[172:173]
	v_fma_f64 v[174:175], v[2:3], v[10:11], -v[12:13]
	ds_load_b128 v[2:5], v1 offset:1536
	scratch_load_b128 v[10:13], off, off offset:688
	v_add_f64 v[69:70], v[69:70], v[38:39]
	v_add_f64 v[91:92], v[91:92], v[40:41]
	ds_load_b128 v[38:41], v1 offset:1552
	v_fma_f64 v[67:68], v[67:68], v[14:15], v[170:171]
	v_fma_f64 v[65:66], v[65:66], v[14:15], -v[16:17]
	scratch_load_b128 v[14:17], off, off offset:704
	s_waitcnt vmcnt(10) lgkmcnt(1)
	v_mul_f64 v[176:177], v[2:3], v[20:21]
	v_mul_f64 v[20:21], v[4:5], v[20:21]
	s_waitcnt vmcnt(9) lgkmcnt(0)
	v_mul_f64 v[170:171], v[38:39], v[24:25]
	v_mul_f64 v[24:25], v[40:41], v[24:25]
	v_add_f64 v[69:70], v[69:70], v[174:175]
	v_add_f64 v[91:92], v[91:92], v[172:173]
	v_fma_f64 v[172:173], v[4:5], v[18:19], v[176:177]
	v_fma_f64 v[174:175], v[2:3], v[18:19], -v[20:21]
	ds_load_b128 v[2:5], v1 offset:1568
	scratch_load_b128 v[18:21], off, off offset:720
	v_fma_f64 v[40:41], v[40:41], v[22:23], v[170:171]
	v_fma_f64 v[38:39], v[38:39], v[22:23], -v[24:25]
	scratch_load_b128 v[22:25], off, off offset:736
	v_add_f64 v[69:70], v[69:70], v[65:66]
	v_add_f64 v[91:92], v[91:92], v[67:68]
	ds_load_b128 v[65:68], v1 offset:1584
	s_waitcnt vmcnt(10) lgkmcnt(1)
	v_mul_f64 v[176:177], v[2:3], v[28:29]
	v_mul_f64 v[28:29], v[4:5], v[28:29]
	s_waitcnt vmcnt(9) lgkmcnt(0)
	v_mul_f64 v[170:171], v[65:66], v[32:33]
	v_mul_f64 v[32:33], v[67:68], v[32:33]
	v_add_f64 v[69:70], v[69:70], v[174:175]
	v_add_f64 v[91:92], v[91:92], v[172:173]
	v_fma_f64 v[172:173], v[4:5], v[26:27], v[176:177]
	v_fma_f64 v[174:175], v[2:3], v[26:27], -v[28:29]
	ds_load_b128 v[2:5], v1 offset:1600
	scratch_load_b128 v[26:29], off, off offset:752
	v_fma_f64 v[67:68], v[67:68], v[30:31], v[170:171]
	v_fma_f64 v[65:66], v[65:66], v[30:31], -v[32:33]
	scratch_load_b128 v[30:33], off, off offset:768
	v_add_f64 v[69:70], v[69:70], v[38:39]
	v_add_f64 v[91:92], v[91:92], v[40:41]
	ds_load_b128 v[38:41], v1 offset:1616
	s_waitcnt vmcnt(10) lgkmcnt(1)
	v_mul_f64 v[176:177], v[2:3], v[36:37]
	v_mul_f64 v[36:37], v[4:5], v[36:37]
	s_waitcnt vmcnt(8) lgkmcnt(0)
	v_mul_f64 v[170:171], v[38:39], v[63:64]
	v_add_f64 v[69:70], v[69:70], v[174:175]
	v_add_f64 v[91:92], v[91:92], v[172:173]
	v_mul_f64 v[172:173], v[40:41], v[63:64]
	v_fma_f64 v[174:175], v[4:5], v[34:35], v[176:177]
	v_fma_f64 v[176:177], v[2:3], v[34:35], -v[36:37]
	ds_load_b128 v[2:5], v1 offset:1632
	scratch_load_b128 v[34:37], off, off offset:784
	v_fma_f64 v[170:171], v[40:41], v[61:62], v[170:171]
	v_add_f64 v[69:70], v[69:70], v[65:66]
	v_add_f64 v[67:68], v[91:92], v[67:68]
	ds_load_b128 v[63:66], v1 offset:1648
	v_fma_f64 v[61:62], v[38:39], v[61:62], -v[172:173]
	scratch_load_b128 v[38:41], off, off offset:800
	s_waitcnt vmcnt(9) lgkmcnt(1)
	v_mul_f64 v[91:92], v[2:3], v[44:45]
	v_mul_f64 v[44:45], v[4:5], v[44:45]
	s_waitcnt vmcnt(8) lgkmcnt(0)
	v_mul_f64 v[172:173], v[63:64], v[8:9]
	v_mul_f64 v[8:9], v[65:66], v[8:9]
	v_add_f64 v[69:70], v[69:70], v[176:177]
	v_add_f64 v[67:68], v[67:68], v[174:175]
	v_fma_f64 v[91:92], v[4:5], v[42:43], v[91:92]
	v_fma_f64 v[174:175], v[2:3], v[42:43], -v[44:45]
	ds_load_b128 v[2:5], v1 offset:1664
	scratch_load_b128 v[42:45], off, off offset:816
	v_fma_f64 v[65:66], v[65:66], v[6:7], v[172:173]
	v_fma_f64 v[63:64], v[63:64], v[6:7], -v[8:9]
	scratch_load_b128 v[6:9], off, off offset:832
	v_add_f64 v[61:62], v[69:70], v[61:62]
	v_add_f64 v[170:171], v[67:68], v[170:171]
	ds_load_b128 v[67:70], v1 offset:1680
	s_waitcnt vmcnt(9) lgkmcnt(1)
	v_mul_f64 v[176:177], v[2:3], v[12:13]
	v_mul_f64 v[12:13], v[4:5], v[12:13]
	v_add_f64 v[61:62], v[61:62], v[174:175]
	v_add_f64 v[91:92], v[170:171], v[91:92]
	s_waitcnt vmcnt(8) lgkmcnt(0)
	v_mul_f64 v[170:171], v[67:68], v[16:17]
	v_mul_f64 v[16:17], v[69:70], v[16:17]
	v_fma_f64 v[172:173], v[4:5], v[10:11], v[176:177]
	v_fma_f64 v[174:175], v[2:3], v[10:11], -v[12:13]
	ds_load_b128 v[2:5], v1 offset:1696
	scratch_load_b128 v[10:13], off, off offset:848
	v_add_f64 v[176:177], v[61:62], v[63:64]
	v_add_f64 v[65:66], v[91:92], v[65:66]
	ds_load_b128 v[61:64], v1 offset:1712
	s_waitcnt vmcnt(8) lgkmcnt(1)
	v_mul_f64 v[91:92], v[2:3], v[20:21]
	v_mul_f64 v[20:21], v[4:5], v[20:21]
	v_fma_f64 v[69:70], v[69:70], v[14:15], v[170:171]
	v_fma_f64 v[67:68], v[67:68], v[14:15], -v[16:17]
	scratch_load_b128 v[14:17], off, off offset:864
	v_add_f64 v[170:171], v[176:177], v[174:175]
	v_add_f64 v[65:66], v[65:66], v[172:173]
	s_waitcnt vmcnt(8) lgkmcnt(0)
	v_mul_f64 v[172:173], v[61:62], v[24:25]
	v_mul_f64 v[24:25], v[63:64], v[24:25]
	v_fma_f64 v[91:92], v[4:5], v[18:19], v[91:92]
	v_fma_f64 v[174:175], v[2:3], v[18:19], -v[20:21]
	ds_load_b128 v[2:5], v1 offset:1728
	scratch_load_b128 v[18:21], off, off offset:880
	v_add_f64 v[170:171], v[170:171], v[67:68]
	v_add_f64 v[69:70], v[65:66], v[69:70]
	ds_load_b128 v[65:68], v1 offset:1744
	s_waitcnt vmcnt(8) lgkmcnt(1)
	v_mul_f64 v[176:177], v[2:3], v[28:29]
	v_mul_f64 v[28:29], v[4:5], v[28:29]
	v_fma_f64 v[63:64], v[63:64], v[22:23], v[172:173]
	v_fma_f64 v[61:62], v[61:62], v[22:23], -v[24:25]
	scratch_load_b128 v[22:25], off, off offset:896
	;; [unrolled: 18-line block ×4, first 2 shown]
	s_waitcnt vmcnt(8) lgkmcnt(0)
	v_mul_f64 v[170:171], v[65:66], v[8:9]
	v_mul_f64 v[8:9], v[67:68], v[8:9]
	v_add_f64 v[91:92], v[91:92], v[174:175]
	v_add_f64 v[69:70], v[69:70], v[172:173]
	v_fma_f64 v[172:173], v[4:5], v[42:43], v[176:177]
	v_fma_f64 v[174:175], v[2:3], v[42:43], -v[44:45]
	ds_load_b128 v[2:5], v1 offset:1824
	ds_load_b128 v[42:45], v1 offset:1840
	v_fma_f64 v[67:68], v[67:68], v[6:7], v[170:171]
	v_fma_f64 v[6:7], v[65:66], v[6:7], -v[8:9]
	v_add_f64 v[61:62], v[91:92], v[61:62]
	v_add_f64 v[63:64], v[69:70], v[63:64]
	s_waitcnt vmcnt(7) lgkmcnt(1)
	v_mul_f64 v[69:70], v[2:3], v[12:13]
	v_mul_f64 v[12:13], v[4:5], v[12:13]
	s_delay_alu instid0(VALU_DEP_4) | instskip(NEXT) | instid1(VALU_DEP_4)
	v_add_f64 v[8:9], v[61:62], v[174:175]
	v_add_f64 v[61:62], v[63:64], v[172:173]
	s_waitcnt vmcnt(6) lgkmcnt(0)
	v_mul_f64 v[63:64], v[42:43], v[16:17]
	v_mul_f64 v[16:17], v[44:45], v[16:17]
	v_fma_f64 v[65:66], v[4:5], v[10:11], v[69:70]
	v_fma_f64 v[10:11], v[2:3], v[10:11], -v[12:13]
	v_add_f64 v[12:13], v[8:9], v[6:7]
	v_add_f64 v[61:62], v[61:62], v[67:68]
	ds_load_b128 v[2:5], v1 offset:1856
	ds_load_b128 v[6:9], v1 offset:1872
	v_fma_f64 v[44:45], v[44:45], v[14:15], v[63:64]
	v_fma_f64 v[14:15], v[42:43], v[14:15], -v[16:17]
	s_waitcnt vmcnt(5) lgkmcnt(1)
	v_mul_f64 v[67:68], v[2:3], v[20:21]
	v_mul_f64 v[20:21], v[4:5], v[20:21]
	s_waitcnt vmcnt(4) lgkmcnt(0)
	v_mul_f64 v[16:17], v[6:7], v[24:25]
	v_mul_f64 v[24:25], v[8:9], v[24:25]
	v_add_f64 v[10:11], v[12:13], v[10:11]
	v_add_f64 v[12:13], v[61:62], v[65:66]
	v_fma_f64 v[42:43], v[4:5], v[18:19], v[67:68]
	v_fma_f64 v[18:19], v[2:3], v[18:19], -v[20:21]
	v_fma_f64 v[8:9], v[8:9], v[22:23], v[16:17]
	v_fma_f64 v[6:7], v[6:7], v[22:23], -v[24:25]
	v_add_f64 v[14:15], v[10:11], v[14:15]
	v_add_f64 v[20:21], v[12:13], v[44:45]
	ds_load_b128 v[2:5], v1 offset:1888
	ds_load_b128 v[10:13], v1 offset:1904
	s_waitcnt vmcnt(3) lgkmcnt(1)
	v_mul_f64 v[44:45], v[2:3], v[28:29]
	v_mul_f64 v[28:29], v[4:5], v[28:29]
	v_add_f64 v[14:15], v[14:15], v[18:19]
	v_add_f64 v[16:17], v[20:21], v[42:43]
	s_waitcnt vmcnt(2) lgkmcnt(0)
	v_mul_f64 v[18:19], v[10:11], v[32:33]
	v_mul_f64 v[20:21], v[12:13], v[32:33]
	v_fma_f64 v[22:23], v[4:5], v[26:27], v[44:45]
	v_fma_f64 v[24:25], v[2:3], v[26:27], -v[28:29]
	v_add_f64 v[14:15], v[14:15], v[6:7]
	v_add_f64 v[16:17], v[16:17], v[8:9]
	ds_load_b128 v[2:5], v1 offset:1920
	ds_load_b128 v[6:9], v1 offset:1936
	v_fma_f64 v[12:13], v[12:13], v[30:31], v[18:19]
	v_fma_f64 v[10:11], v[10:11], v[30:31], -v[20:21]
	s_waitcnt vmcnt(1) lgkmcnt(1)
	v_mul_f64 v[26:27], v[2:3], v[36:37]
	v_mul_f64 v[28:29], v[4:5], v[36:37]
	s_waitcnt vmcnt(0) lgkmcnt(0)
	v_mul_f64 v[18:19], v[6:7], v[40:41]
	v_mul_f64 v[20:21], v[8:9], v[40:41]
	v_add_f64 v[14:15], v[14:15], v[24:25]
	v_add_f64 v[16:17], v[16:17], v[22:23]
	v_fma_f64 v[4:5], v[4:5], v[34:35], v[26:27]
	v_fma_f64 v[1:2], v[2:3], v[34:35], -v[28:29]
	v_fma_f64 v[8:9], v[8:9], v[38:39], v[18:19]
	v_fma_f64 v[6:7], v[6:7], v[38:39], -v[20:21]
	v_add_f64 v[10:11], v[14:15], v[10:11]
	v_add_f64 v[12:13], v[16:17], v[12:13]
	s_delay_alu instid0(VALU_DEP_2) | instskip(NEXT) | instid1(VALU_DEP_2)
	v_add_f64 v[1:2], v[10:11], v[1:2]
	v_add_f64 v[3:4], v[12:13], v[4:5]
	s_delay_alu instid0(VALU_DEP_2) | instskip(NEXT) | instid1(VALU_DEP_2)
	;; [unrolled: 3-line block ×3, first 2 shown]
	v_add_f64 v[1:2], v[57:58], -v[1:2]
	v_add_f64 v[3:4], v[59:60], -v[3:4]
	scratch_store_b128 off, v[1:4], off offset:480
	v_cmpx_lt_u32_e32 29, v169
	s_cbranch_execz .LBB124_333
; %bb.332:
	scratch_load_b32 v1, off, off offset:984 ; 4-byte Folded Reload
	v_mov_b32_e32 v5, 0
	s_delay_alu instid0(VALU_DEP_1)
	v_mov_b32_e32 v6, v5
	v_mov_b32_e32 v7, v5
	;; [unrolled: 1-line block ×3, first 2 shown]
	s_waitcnt vmcnt(0)
	scratch_load_b128 v[1:4], v1, off
	scratch_store_b128 off, v[5:8], off offset:464
	s_waitcnt vmcnt(0)
	ds_store_b128 v229, v[1:4]
.LBB124_333:
	s_or_b32 exec_lo, exec_lo, s2
	s_waitcnt lgkmcnt(0)
	s_waitcnt_vscnt null, 0x0
	s_barrier
	buffer_gl0_inv
	s_clause 0x7
	scratch_load_b128 v[2:5], off, off offset:480
	scratch_load_b128 v[6:9], off, off offset:496
	;; [unrolled: 1-line block ×8, first 2 shown]
	v_mov_b32_e32 v1, 0
	s_mov_b32 s2, exec_lo
	ds_load_b128 v[38:41], v1 offset:1456
	s_clause 0x1
	scratch_load_b128 v[34:37], off, off offset:608
	scratch_load_b128 v[42:45], off, off offset:464
	ds_load_b128 v[57:60], v1 offset:1472
	scratch_load_b128 v[61:64], off, off offset:624
	s_waitcnt vmcnt(10) lgkmcnt(1)
	v_mul_f64 v[65:66], v[40:41], v[4:5]
	v_mul_f64 v[4:5], v[38:39], v[4:5]
	s_delay_alu instid0(VALU_DEP_2) | instskip(NEXT) | instid1(VALU_DEP_2)
	v_fma_f64 v[91:92], v[38:39], v[2:3], -v[65:66]
	v_fma_f64 v[170:171], v[40:41], v[2:3], v[4:5]
	scratch_load_b128 v[38:41], off, off offset:640
	ds_load_b128 v[2:5], v1 offset:1488
	s_waitcnt vmcnt(10) lgkmcnt(1)
	v_mul_f64 v[69:70], v[57:58], v[8:9]
	v_mul_f64 v[8:9], v[59:60], v[8:9]
	ds_load_b128 v[65:68], v1 offset:1504
	s_waitcnt vmcnt(9) lgkmcnt(1)
	v_mul_f64 v[172:173], v[2:3], v[12:13]
	v_mul_f64 v[12:13], v[4:5], v[12:13]
	v_fma_f64 v[59:60], v[59:60], v[6:7], v[69:70]
	v_fma_f64 v[57:58], v[57:58], v[6:7], -v[8:9]
	v_add_f64 v[69:70], v[91:92], 0
	v_add_f64 v[91:92], v[170:171], 0
	scratch_load_b128 v[6:9], off, off offset:656
	v_fma_f64 v[172:173], v[4:5], v[10:11], v[172:173]
	v_fma_f64 v[174:175], v[2:3], v[10:11], -v[12:13]
	scratch_load_b128 v[10:13], off, off offset:672
	ds_load_b128 v[2:5], v1 offset:1520
	s_waitcnt vmcnt(10) lgkmcnt(1)
	v_mul_f64 v[170:171], v[65:66], v[16:17]
	v_mul_f64 v[16:17], v[67:68], v[16:17]
	v_add_f64 v[69:70], v[69:70], v[57:58]
	v_add_f64 v[91:92], v[91:92], v[59:60]
	s_waitcnt vmcnt(9) lgkmcnt(0)
	v_mul_f64 v[176:177], v[2:3], v[20:21]
	v_mul_f64 v[20:21], v[4:5], v[20:21]
	ds_load_b128 v[57:60], v1 offset:1536
	v_fma_f64 v[67:68], v[67:68], v[14:15], v[170:171]
	v_fma_f64 v[65:66], v[65:66], v[14:15], -v[16:17]
	scratch_load_b128 v[14:17], off, off offset:688
	v_add_f64 v[69:70], v[69:70], v[174:175]
	v_add_f64 v[91:92], v[91:92], v[172:173]
	v_fma_f64 v[172:173], v[4:5], v[18:19], v[176:177]
	v_fma_f64 v[174:175], v[2:3], v[18:19], -v[20:21]
	scratch_load_b128 v[18:21], off, off offset:704
	ds_load_b128 v[2:5], v1 offset:1552
	s_waitcnt vmcnt(10) lgkmcnt(1)
	v_mul_f64 v[170:171], v[57:58], v[24:25]
	v_mul_f64 v[24:25], v[59:60], v[24:25]
	s_waitcnt vmcnt(9) lgkmcnt(0)
	v_mul_f64 v[176:177], v[2:3], v[28:29]
	v_mul_f64 v[28:29], v[4:5], v[28:29]
	v_add_f64 v[69:70], v[69:70], v[65:66]
	v_add_f64 v[91:92], v[91:92], v[67:68]
	ds_load_b128 v[65:68], v1 offset:1568
	v_fma_f64 v[59:60], v[59:60], v[22:23], v[170:171]
	v_fma_f64 v[57:58], v[57:58], v[22:23], -v[24:25]
	scratch_load_b128 v[22:25], off, off offset:720
	v_add_f64 v[69:70], v[69:70], v[174:175]
	v_add_f64 v[91:92], v[91:92], v[172:173]
	v_fma_f64 v[172:173], v[4:5], v[26:27], v[176:177]
	v_fma_f64 v[174:175], v[2:3], v[26:27], -v[28:29]
	scratch_load_b128 v[26:29], off, off offset:736
	ds_load_b128 v[2:5], v1 offset:1584
	s_waitcnt vmcnt(10) lgkmcnt(1)
	v_mul_f64 v[170:171], v[65:66], v[32:33]
	v_mul_f64 v[32:33], v[67:68], v[32:33]
	s_waitcnt vmcnt(9) lgkmcnt(0)
	v_mul_f64 v[176:177], v[2:3], v[36:37]
	v_mul_f64 v[36:37], v[4:5], v[36:37]
	v_add_f64 v[69:70], v[69:70], v[57:58]
	v_add_f64 v[91:92], v[91:92], v[59:60]
	ds_load_b128 v[57:60], v1 offset:1600
	v_fma_f64 v[67:68], v[67:68], v[30:31], v[170:171]
	v_fma_f64 v[65:66], v[65:66], v[30:31], -v[32:33]
	scratch_load_b128 v[30:33], off, off offset:752
	v_add_f64 v[69:70], v[69:70], v[174:175]
	v_add_f64 v[91:92], v[91:92], v[172:173]
	v_fma_f64 v[174:175], v[4:5], v[34:35], v[176:177]
	v_fma_f64 v[176:177], v[2:3], v[34:35], -v[36:37]
	scratch_load_b128 v[34:37], off, off offset:768
	ds_load_b128 v[2:5], v1 offset:1616
	s_waitcnt vmcnt(9) lgkmcnt(1)
	v_mul_f64 v[170:171], v[57:58], v[63:64]
	v_mul_f64 v[172:173], v[59:60], v[63:64]
	v_add_f64 v[69:70], v[69:70], v[65:66]
	v_add_f64 v[67:68], v[91:92], v[67:68]
	ds_load_b128 v[63:66], v1 offset:1632
	v_fma_f64 v[170:171], v[59:60], v[61:62], v[170:171]
	v_fma_f64 v[61:62], v[57:58], v[61:62], -v[172:173]
	scratch_load_b128 v[57:60], off, off offset:784
	s_waitcnt vmcnt(9) lgkmcnt(1)
	v_mul_f64 v[91:92], v[2:3], v[40:41]
	v_mul_f64 v[40:41], v[4:5], v[40:41]
	v_add_f64 v[69:70], v[69:70], v[176:177]
	v_add_f64 v[67:68], v[67:68], v[174:175]
	s_delay_alu instid0(VALU_DEP_4) | instskip(NEXT) | instid1(VALU_DEP_4)
	v_fma_f64 v[91:92], v[4:5], v[38:39], v[91:92]
	v_fma_f64 v[174:175], v[2:3], v[38:39], -v[40:41]
	scratch_load_b128 v[38:41], off, off offset:800
	ds_load_b128 v[2:5], v1 offset:1648
	s_waitcnt vmcnt(9) lgkmcnt(1)
	v_mul_f64 v[172:173], v[63:64], v[8:9]
	v_mul_f64 v[8:9], v[65:66], v[8:9]
	s_waitcnt vmcnt(8) lgkmcnt(0)
	v_mul_f64 v[176:177], v[2:3], v[12:13]
	v_mul_f64 v[12:13], v[4:5], v[12:13]
	v_add_f64 v[61:62], v[69:70], v[61:62]
	v_add_f64 v[170:171], v[67:68], v[170:171]
	ds_load_b128 v[67:70], v1 offset:1664
	v_fma_f64 v[65:66], v[65:66], v[6:7], v[172:173]
	v_fma_f64 v[63:64], v[63:64], v[6:7], -v[8:9]
	scratch_load_b128 v[6:9], off, off offset:816
	v_fma_f64 v[172:173], v[4:5], v[10:11], v[176:177]
	v_add_f64 v[61:62], v[61:62], v[174:175]
	v_add_f64 v[91:92], v[170:171], v[91:92]
	v_fma_f64 v[174:175], v[2:3], v[10:11], -v[12:13]
	scratch_load_b128 v[10:13], off, off offset:832
	ds_load_b128 v[2:5], v1 offset:1680
	s_waitcnt vmcnt(9) lgkmcnt(1)
	v_mul_f64 v[170:171], v[67:68], v[16:17]
	v_mul_f64 v[16:17], v[69:70], v[16:17]
	v_add_f64 v[176:177], v[61:62], v[63:64]
	v_add_f64 v[65:66], v[91:92], v[65:66]
	s_waitcnt vmcnt(8) lgkmcnt(0)
	v_mul_f64 v[91:92], v[2:3], v[20:21]
	v_mul_f64 v[20:21], v[4:5], v[20:21]
	ds_load_b128 v[61:64], v1 offset:1696
	v_fma_f64 v[69:70], v[69:70], v[14:15], v[170:171]
	v_fma_f64 v[67:68], v[67:68], v[14:15], -v[16:17]
	scratch_load_b128 v[14:17], off, off offset:848
	v_add_f64 v[170:171], v[176:177], v[174:175]
	v_add_f64 v[65:66], v[65:66], v[172:173]
	v_fma_f64 v[91:92], v[4:5], v[18:19], v[91:92]
	v_fma_f64 v[174:175], v[2:3], v[18:19], -v[20:21]
	scratch_load_b128 v[18:21], off, off offset:864
	ds_load_b128 v[2:5], v1 offset:1712
	s_waitcnt vmcnt(9) lgkmcnt(1)
	v_mul_f64 v[172:173], v[61:62], v[24:25]
	v_mul_f64 v[24:25], v[63:64], v[24:25]
	s_waitcnt vmcnt(8) lgkmcnt(0)
	v_mul_f64 v[176:177], v[2:3], v[28:29]
	v_mul_f64 v[28:29], v[4:5], v[28:29]
	v_add_f64 v[170:171], v[170:171], v[67:68]
	v_add_f64 v[69:70], v[65:66], v[69:70]
	ds_load_b128 v[65:68], v1 offset:1728
	v_fma_f64 v[63:64], v[63:64], v[22:23], v[172:173]
	v_fma_f64 v[61:62], v[61:62], v[22:23], -v[24:25]
	scratch_load_b128 v[22:25], off, off offset:880
	v_fma_f64 v[172:173], v[4:5], v[26:27], v[176:177]
	v_add_f64 v[170:171], v[170:171], v[174:175]
	v_add_f64 v[69:70], v[69:70], v[91:92]
	v_fma_f64 v[174:175], v[2:3], v[26:27], -v[28:29]
	scratch_load_b128 v[26:29], off, off offset:896
	ds_load_b128 v[2:5], v1 offset:1744
	s_waitcnt vmcnt(9) lgkmcnt(1)
	v_mul_f64 v[91:92], v[65:66], v[32:33]
	v_mul_f64 v[32:33], v[67:68], v[32:33]
	s_waitcnt vmcnt(8) lgkmcnt(0)
	v_mul_f64 v[176:177], v[2:3], v[36:37]
	v_mul_f64 v[36:37], v[4:5], v[36:37]
	v_add_f64 v[170:171], v[170:171], v[61:62]
	v_add_f64 v[69:70], v[69:70], v[63:64]
	ds_load_b128 v[61:64], v1 offset:1760
	v_fma_f64 v[67:68], v[67:68], v[30:31], v[91:92]
	v_fma_f64 v[65:66], v[65:66], v[30:31], -v[32:33]
	scratch_load_b128 v[30:33], off, off offset:912
	v_add_f64 v[91:92], v[170:171], v[174:175]
	v_add_f64 v[69:70], v[69:70], v[172:173]
	v_fma_f64 v[172:173], v[4:5], v[34:35], v[176:177]
	v_fma_f64 v[174:175], v[2:3], v[34:35], -v[36:37]
	scratch_load_b128 v[34:37], off, off offset:928
	ds_load_b128 v[2:5], v1 offset:1776
	s_waitcnt vmcnt(9) lgkmcnt(1)
	v_mul_f64 v[170:171], v[61:62], v[59:60]
	v_mul_f64 v[59:60], v[63:64], v[59:60]
	s_waitcnt vmcnt(8) lgkmcnt(0)
	v_mul_f64 v[176:177], v[2:3], v[40:41]
	v_mul_f64 v[40:41], v[4:5], v[40:41]
	v_add_f64 v[91:92], v[91:92], v[65:66]
	v_add_f64 v[69:70], v[69:70], v[67:68]
	ds_load_b128 v[65:68], v1 offset:1792
	v_fma_f64 v[63:64], v[63:64], v[57:58], v[170:171]
	v_fma_f64 v[61:62], v[61:62], v[57:58], -v[59:60]
	scratch_load_b128 v[57:60], off, off offset:944
	v_add_f64 v[91:92], v[91:92], v[174:175]
	v_add_f64 v[69:70], v[69:70], v[172:173]
	v_fma_f64 v[172:173], v[4:5], v[38:39], v[176:177]
	v_fma_f64 v[174:175], v[2:3], v[38:39], -v[40:41]
	scratch_load_b128 v[38:41], off, off offset:960
	ds_load_b128 v[2:5], v1 offset:1808
	s_waitcnt vmcnt(9) lgkmcnt(1)
	v_mul_f64 v[170:171], v[65:66], v[8:9]
	v_mul_f64 v[8:9], v[67:68], v[8:9]
	s_waitcnt vmcnt(8) lgkmcnt(0)
	v_mul_f64 v[176:177], v[2:3], v[12:13]
	v_mul_f64 v[12:13], v[4:5], v[12:13]
	v_add_f64 v[91:92], v[91:92], v[61:62]
	v_add_f64 v[69:70], v[69:70], v[63:64]
	ds_load_b128 v[61:64], v1 offset:1824
	v_fma_f64 v[67:68], v[67:68], v[6:7], v[170:171]
	v_fma_f64 v[6:7], v[65:66], v[6:7], -v[8:9]
	v_add_f64 v[8:9], v[91:92], v[174:175]
	v_add_f64 v[65:66], v[69:70], v[172:173]
	s_waitcnt vmcnt(7) lgkmcnt(0)
	v_mul_f64 v[69:70], v[61:62], v[16:17]
	v_mul_f64 v[16:17], v[63:64], v[16:17]
	v_fma_f64 v[91:92], v[4:5], v[10:11], v[176:177]
	v_fma_f64 v[10:11], v[2:3], v[10:11], -v[12:13]
	v_add_f64 v[12:13], v[8:9], v[6:7]
	v_add_f64 v[65:66], v[65:66], v[67:68]
	ds_load_b128 v[2:5], v1 offset:1840
	ds_load_b128 v[6:9], v1 offset:1856
	v_fma_f64 v[63:64], v[63:64], v[14:15], v[69:70]
	v_fma_f64 v[14:15], v[61:62], v[14:15], -v[16:17]
	s_waitcnt vmcnt(6) lgkmcnt(1)
	v_mul_f64 v[67:68], v[2:3], v[20:21]
	v_mul_f64 v[20:21], v[4:5], v[20:21]
	s_waitcnt vmcnt(5) lgkmcnt(0)
	v_mul_f64 v[16:17], v[6:7], v[24:25]
	v_mul_f64 v[24:25], v[8:9], v[24:25]
	v_add_f64 v[10:11], v[12:13], v[10:11]
	v_add_f64 v[12:13], v[65:66], v[91:92]
	v_fma_f64 v[61:62], v[4:5], v[18:19], v[67:68]
	v_fma_f64 v[18:19], v[2:3], v[18:19], -v[20:21]
	v_fma_f64 v[8:9], v[8:9], v[22:23], v[16:17]
	v_fma_f64 v[6:7], v[6:7], v[22:23], -v[24:25]
	v_add_f64 v[14:15], v[10:11], v[14:15]
	v_add_f64 v[20:21], v[12:13], v[63:64]
	ds_load_b128 v[2:5], v1 offset:1872
	ds_load_b128 v[10:13], v1 offset:1888
	s_waitcnt vmcnt(4) lgkmcnt(1)
	v_mul_f64 v[63:64], v[2:3], v[28:29]
	v_mul_f64 v[28:29], v[4:5], v[28:29]
	v_add_f64 v[14:15], v[14:15], v[18:19]
	v_add_f64 v[16:17], v[20:21], v[61:62]
	s_waitcnt vmcnt(3) lgkmcnt(0)
	v_mul_f64 v[18:19], v[10:11], v[32:33]
	v_mul_f64 v[20:21], v[12:13], v[32:33]
	v_fma_f64 v[22:23], v[4:5], v[26:27], v[63:64]
	v_fma_f64 v[24:25], v[2:3], v[26:27], -v[28:29]
	v_add_f64 v[14:15], v[14:15], v[6:7]
	v_add_f64 v[16:17], v[16:17], v[8:9]
	ds_load_b128 v[2:5], v1 offset:1904
	ds_load_b128 v[6:9], v1 offset:1920
	v_fma_f64 v[12:13], v[12:13], v[30:31], v[18:19]
	v_fma_f64 v[10:11], v[10:11], v[30:31], -v[20:21]
	s_waitcnt vmcnt(2) lgkmcnt(1)
	v_mul_f64 v[26:27], v[2:3], v[36:37]
	v_mul_f64 v[28:29], v[4:5], v[36:37]
	s_waitcnt vmcnt(1) lgkmcnt(0)
	v_mul_f64 v[18:19], v[6:7], v[59:60]
	v_mul_f64 v[20:21], v[8:9], v[59:60]
	v_add_f64 v[14:15], v[14:15], v[24:25]
	v_add_f64 v[16:17], v[16:17], v[22:23]
	v_fma_f64 v[22:23], v[4:5], v[34:35], v[26:27]
	v_fma_f64 v[24:25], v[2:3], v[34:35], -v[28:29]
	ds_load_b128 v[2:5], v1 offset:1936
	v_fma_f64 v[8:9], v[8:9], v[57:58], v[18:19]
	v_fma_f64 v[6:7], v[6:7], v[57:58], -v[20:21]
	v_add_f64 v[10:11], v[14:15], v[10:11]
	v_add_f64 v[12:13], v[16:17], v[12:13]
	s_waitcnt vmcnt(0) lgkmcnt(0)
	v_mul_f64 v[14:15], v[2:3], v[40:41]
	v_mul_f64 v[16:17], v[4:5], v[40:41]
	s_delay_alu instid0(VALU_DEP_4) | instskip(NEXT) | instid1(VALU_DEP_4)
	v_add_f64 v[10:11], v[10:11], v[24:25]
	v_add_f64 v[12:13], v[12:13], v[22:23]
	s_delay_alu instid0(VALU_DEP_4) | instskip(NEXT) | instid1(VALU_DEP_4)
	v_fma_f64 v[4:5], v[4:5], v[38:39], v[14:15]
	v_fma_f64 v[2:3], v[2:3], v[38:39], -v[16:17]
	s_delay_alu instid0(VALU_DEP_4) | instskip(NEXT) | instid1(VALU_DEP_4)
	v_add_f64 v[6:7], v[10:11], v[6:7]
	v_add_f64 v[8:9], v[12:13], v[8:9]
	s_delay_alu instid0(VALU_DEP_2) | instskip(NEXT) | instid1(VALU_DEP_2)
	v_add_f64 v[2:3], v[6:7], v[2:3]
	v_add_f64 v[4:5], v[8:9], v[4:5]
	s_delay_alu instid0(VALU_DEP_2) | instskip(NEXT) | instid1(VALU_DEP_2)
	v_add_f64 v[2:3], v[42:43], -v[2:3]
	v_add_f64 v[4:5], v[44:45], -v[4:5]
	scratch_store_b128 off, v[2:5], off offset:464
	v_cmpx_lt_u32_e32 28, v169
	s_cbranch_execz .LBB124_335
; %bb.334:
	scratch_load_b32 v2, off, off offset:988 ; 4-byte Folded Reload
	v_mov_b32_e32 v3, v1
	v_mov_b32_e32 v4, v1
	s_waitcnt vmcnt(0)
	scratch_load_b128 v[5:8], v2, off
	v_mov_b32_e32 v2, v1
	scratch_store_b128 off, v[1:4], off offset:448
	s_waitcnt vmcnt(0)
	ds_store_b128 v229, v[5:8]
.LBB124_335:
	s_or_b32 exec_lo, exec_lo, s2
	s_waitcnt lgkmcnt(0)
	s_waitcnt_vscnt null, 0x0
	s_barrier
	buffer_gl0_inv
	s_clause 0x8
	scratch_load_b128 v[2:5], off, off offset:464
	scratch_load_b128 v[6:9], off, off offset:480
	;; [unrolled: 1-line block ×9, first 2 shown]
	ds_load_b128 v[42:45], v1 offset:1440
	ds_load_b128 v[38:41], v1 offset:1456
	s_clause 0x1
	scratch_load_b128 v[57:60], off, off offset:448
	scratch_load_b128 v[61:64], off, off offset:608
	s_mov_b32 s2, exec_lo
	s_waitcnt vmcnt(10) lgkmcnt(1)
	v_mul_f64 v[65:66], v[44:45], v[4:5]
	v_mul_f64 v[4:5], v[42:43], v[4:5]
	s_waitcnt vmcnt(9) lgkmcnt(0)
	v_mul_f64 v[69:70], v[38:39], v[8:9]
	v_mul_f64 v[8:9], v[40:41], v[8:9]
	s_delay_alu instid0(VALU_DEP_4) | instskip(NEXT) | instid1(VALU_DEP_4)
	v_fma_f64 v[91:92], v[42:43], v[2:3], -v[65:66]
	v_fma_f64 v[170:171], v[44:45], v[2:3], v[4:5]
	ds_load_b128 v[2:5], v1 offset:1472
	ds_load_b128 v[65:68], v1 offset:1488
	scratch_load_b128 v[42:45], off, off offset:624
	v_fma_f64 v[40:41], v[40:41], v[6:7], v[69:70]
	v_fma_f64 v[38:39], v[38:39], v[6:7], -v[8:9]
	scratch_load_b128 v[6:9], off, off offset:640
	s_waitcnt vmcnt(10) lgkmcnt(1)
	v_mul_f64 v[172:173], v[2:3], v[12:13]
	v_mul_f64 v[12:13], v[4:5], v[12:13]
	v_add_f64 v[69:70], v[91:92], 0
	v_add_f64 v[91:92], v[170:171], 0
	s_waitcnt vmcnt(9) lgkmcnt(0)
	v_mul_f64 v[170:171], v[65:66], v[16:17]
	v_mul_f64 v[16:17], v[67:68], v[16:17]
	v_fma_f64 v[172:173], v[4:5], v[10:11], v[172:173]
	v_fma_f64 v[174:175], v[2:3], v[10:11], -v[12:13]
	ds_load_b128 v[2:5], v1 offset:1504
	scratch_load_b128 v[10:13], off, off offset:656
	v_add_f64 v[69:70], v[69:70], v[38:39]
	v_add_f64 v[91:92], v[91:92], v[40:41]
	ds_load_b128 v[38:41], v1 offset:1520
	v_fma_f64 v[67:68], v[67:68], v[14:15], v[170:171]
	v_fma_f64 v[65:66], v[65:66], v[14:15], -v[16:17]
	scratch_load_b128 v[14:17], off, off offset:672
	s_waitcnt vmcnt(10) lgkmcnt(1)
	v_mul_f64 v[176:177], v[2:3], v[20:21]
	v_mul_f64 v[20:21], v[4:5], v[20:21]
	s_waitcnt vmcnt(9) lgkmcnt(0)
	v_mul_f64 v[170:171], v[38:39], v[24:25]
	v_mul_f64 v[24:25], v[40:41], v[24:25]
	v_add_f64 v[69:70], v[69:70], v[174:175]
	v_add_f64 v[91:92], v[91:92], v[172:173]
	v_fma_f64 v[172:173], v[4:5], v[18:19], v[176:177]
	v_fma_f64 v[174:175], v[2:3], v[18:19], -v[20:21]
	ds_load_b128 v[2:5], v1 offset:1536
	scratch_load_b128 v[18:21], off, off offset:688
	v_fma_f64 v[40:41], v[40:41], v[22:23], v[170:171]
	v_fma_f64 v[38:39], v[38:39], v[22:23], -v[24:25]
	scratch_load_b128 v[22:25], off, off offset:704
	v_add_f64 v[69:70], v[69:70], v[65:66]
	v_add_f64 v[91:92], v[91:92], v[67:68]
	ds_load_b128 v[65:68], v1 offset:1552
	s_waitcnt vmcnt(10) lgkmcnt(1)
	v_mul_f64 v[176:177], v[2:3], v[28:29]
	v_mul_f64 v[28:29], v[4:5], v[28:29]
	s_waitcnt vmcnt(9) lgkmcnt(0)
	v_mul_f64 v[170:171], v[65:66], v[32:33]
	v_mul_f64 v[32:33], v[67:68], v[32:33]
	v_add_f64 v[69:70], v[69:70], v[174:175]
	v_add_f64 v[91:92], v[91:92], v[172:173]
	v_fma_f64 v[172:173], v[4:5], v[26:27], v[176:177]
	v_fma_f64 v[174:175], v[2:3], v[26:27], -v[28:29]
	ds_load_b128 v[2:5], v1 offset:1568
	scratch_load_b128 v[26:29], off, off offset:720
	v_fma_f64 v[67:68], v[67:68], v[30:31], v[170:171]
	v_fma_f64 v[65:66], v[65:66], v[30:31], -v[32:33]
	scratch_load_b128 v[30:33], off, off offset:736
	v_add_f64 v[69:70], v[69:70], v[38:39]
	v_add_f64 v[91:92], v[91:92], v[40:41]
	ds_load_b128 v[38:41], v1 offset:1584
	s_waitcnt vmcnt(10) lgkmcnt(1)
	v_mul_f64 v[176:177], v[2:3], v[36:37]
	v_mul_f64 v[36:37], v[4:5], v[36:37]
	s_waitcnt vmcnt(8) lgkmcnt(0)
	v_mul_f64 v[170:171], v[38:39], v[63:64]
	v_add_f64 v[69:70], v[69:70], v[174:175]
	v_add_f64 v[91:92], v[91:92], v[172:173]
	v_mul_f64 v[172:173], v[40:41], v[63:64]
	v_fma_f64 v[174:175], v[4:5], v[34:35], v[176:177]
	v_fma_f64 v[176:177], v[2:3], v[34:35], -v[36:37]
	ds_load_b128 v[2:5], v1 offset:1600
	scratch_load_b128 v[34:37], off, off offset:752
	v_fma_f64 v[170:171], v[40:41], v[61:62], v[170:171]
	v_add_f64 v[69:70], v[69:70], v[65:66]
	v_add_f64 v[67:68], v[91:92], v[67:68]
	ds_load_b128 v[63:66], v1 offset:1616
	v_fma_f64 v[61:62], v[38:39], v[61:62], -v[172:173]
	scratch_load_b128 v[38:41], off, off offset:768
	s_waitcnt vmcnt(9) lgkmcnt(1)
	v_mul_f64 v[91:92], v[2:3], v[44:45]
	v_mul_f64 v[44:45], v[4:5], v[44:45]
	s_waitcnt vmcnt(8) lgkmcnt(0)
	v_mul_f64 v[172:173], v[63:64], v[8:9]
	v_mul_f64 v[8:9], v[65:66], v[8:9]
	v_add_f64 v[69:70], v[69:70], v[176:177]
	v_add_f64 v[67:68], v[67:68], v[174:175]
	v_fma_f64 v[91:92], v[4:5], v[42:43], v[91:92]
	v_fma_f64 v[174:175], v[2:3], v[42:43], -v[44:45]
	ds_load_b128 v[2:5], v1 offset:1632
	scratch_load_b128 v[42:45], off, off offset:784
	v_fma_f64 v[65:66], v[65:66], v[6:7], v[172:173]
	v_fma_f64 v[63:64], v[63:64], v[6:7], -v[8:9]
	scratch_load_b128 v[6:9], off, off offset:800
	v_add_f64 v[61:62], v[69:70], v[61:62]
	v_add_f64 v[170:171], v[67:68], v[170:171]
	ds_load_b128 v[67:70], v1 offset:1648
	s_waitcnt vmcnt(9) lgkmcnt(1)
	v_mul_f64 v[176:177], v[2:3], v[12:13]
	v_mul_f64 v[12:13], v[4:5], v[12:13]
	v_add_f64 v[61:62], v[61:62], v[174:175]
	v_add_f64 v[91:92], v[170:171], v[91:92]
	s_waitcnt vmcnt(8) lgkmcnt(0)
	v_mul_f64 v[170:171], v[67:68], v[16:17]
	v_mul_f64 v[16:17], v[69:70], v[16:17]
	v_fma_f64 v[172:173], v[4:5], v[10:11], v[176:177]
	v_fma_f64 v[174:175], v[2:3], v[10:11], -v[12:13]
	ds_load_b128 v[2:5], v1 offset:1664
	scratch_load_b128 v[10:13], off, off offset:816
	v_add_f64 v[176:177], v[61:62], v[63:64]
	v_add_f64 v[65:66], v[91:92], v[65:66]
	ds_load_b128 v[61:64], v1 offset:1680
	s_waitcnt vmcnt(8) lgkmcnt(1)
	v_mul_f64 v[91:92], v[2:3], v[20:21]
	v_mul_f64 v[20:21], v[4:5], v[20:21]
	v_fma_f64 v[69:70], v[69:70], v[14:15], v[170:171]
	v_fma_f64 v[67:68], v[67:68], v[14:15], -v[16:17]
	scratch_load_b128 v[14:17], off, off offset:832
	v_add_f64 v[170:171], v[176:177], v[174:175]
	v_add_f64 v[65:66], v[65:66], v[172:173]
	s_waitcnt vmcnt(8) lgkmcnt(0)
	v_mul_f64 v[172:173], v[61:62], v[24:25]
	v_mul_f64 v[24:25], v[63:64], v[24:25]
	v_fma_f64 v[91:92], v[4:5], v[18:19], v[91:92]
	v_fma_f64 v[174:175], v[2:3], v[18:19], -v[20:21]
	ds_load_b128 v[2:5], v1 offset:1696
	scratch_load_b128 v[18:21], off, off offset:848
	v_add_f64 v[170:171], v[170:171], v[67:68]
	v_add_f64 v[69:70], v[65:66], v[69:70]
	ds_load_b128 v[65:68], v1 offset:1712
	s_waitcnt vmcnt(8) lgkmcnt(1)
	v_mul_f64 v[176:177], v[2:3], v[28:29]
	v_mul_f64 v[28:29], v[4:5], v[28:29]
	v_fma_f64 v[63:64], v[63:64], v[22:23], v[172:173]
	v_fma_f64 v[61:62], v[61:62], v[22:23], -v[24:25]
	scratch_load_b128 v[22:25], off, off offset:864
	;; [unrolled: 18-line block ×4, first 2 shown]
	s_waitcnt vmcnt(8) lgkmcnt(0)
	v_mul_f64 v[170:171], v[65:66], v[8:9]
	v_mul_f64 v[8:9], v[67:68], v[8:9]
	v_add_f64 v[91:92], v[91:92], v[174:175]
	v_add_f64 v[69:70], v[69:70], v[172:173]
	v_fma_f64 v[172:173], v[4:5], v[42:43], v[176:177]
	v_fma_f64 v[174:175], v[2:3], v[42:43], -v[44:45]
	ds_load_b128 v[2:5], v1 offset:1792
	scratch_load_b128 v[42:45], off, off offset:944
	v_fma_f64 v[67:68], v[67:68], v[6:7], v[170:171]
	v_fma_f64 v[65:66], v[65:66], v[6:7], -v[8:9]
	scratch_load_b128 v[6:9], off, off offset:960
	v_add_f64 v[91:92], v[91:92], v[61:62]
	v_add_f64 v[69:70], v[69:70], v[63:64]
	ds_load_b128 v[61:64], v1 offset:1808
	s_waitcnt vmcnt(9) lgkmcnt(1)
	v_mul_f64 v[176:177], v[2:3], v[12:13]
	v_mul_f64 v[12:13], v[4:5], v[12:13]
	s_waitcnt vmcnt(8) lgkmcnt(0)
	v_mul_f64 v[170:171], v[61:62], v[16:17]
	v_mul_f64 v[16:17], v[63:64], v[16:17]
	v_add_f64 v[91:92], v[91:92], v[174:175]
	v_add_f64 v[69:70], v[69:70], v[172:173]
	v_fma_f64 v[172:173], v[4:5], v[10:11], v[176:177]
	v_fma_f64 v[174:175], v[2:3], v[10:11], -v[12:13]
	ds_load_b128 v[2:5], v1 offset:1824
	ds_load_b128 v[10:13], v1 offset:1840
	v_fma_f64 v[63:64], v[63:64], v[14:15], v[170:171]
	v_fma_f64 v[14:15], v[61:62], v[14:15], -v[16:17]
	v_add_f64 v[65:66], v[91:92], v[65:66]
	v_add_f64 v[67:68], v[69:70], v[67:68]
	s_waitcnt vmcnt(7) lgkmcnt(1)
	v_mul_f64 v[69:70], v[2:3], v[20:21]
	v_mul_f64 v[20:21], v[4:5], v[20:21]
	s_delay_alu instid0(VALU_DEP_4) | instskip(NEXT) | instid1(VALU_DEP_4)
	v_add_f64 v[16:17], v[65:66], v[174:175]
	v_add_f64 v[61:62], v[67:68], v[172:173]
	s_waitcnt vmcnt(6) lgkmcnt(0)
	v_mul_f64 v[65:66], v[10:11], v[24:25]
	v_mul_f64 v[24:25], v[12:13], v[24:25]
	v_fma_f64 v[67:68], v[4:5], v[18:19], v[69:70]
	v_fma_f64 v[18:19], v[2:3], v[18:19], -v[20:21]
	v_add_f64 v[20:21], v[16:17], v[14:15]
	v_add_f64 v[61:62], v[61:62], v[63:64]
	ds_load_b128 v[2:5], v1 offset:1856
	ds_load_b128 v[14:17], v1 offset:1872
	v_fma_f64 v[12:13], v[12:13], v[22:23], v[65:66]
	v_fma_f64 v[10:11], v[10:11], v[22:23], -v[24:25]
	s_waitcnt vmcnt(5) lgkmcnt(1)
	v_mul_f64 v[63:64], v[2:3], v[28:29]
	v_mul_f64 v[28:29], v[4:5], v[28:29]
	s_waitcnt vmcnt(4) lgkmcnt(0)
	v_mul_f64 v[22:23], v[14:15], v[32:33]
	v_mul_f64 v[24:25], v[16:17], v[32:33]
	v_add_f64 v[18:19], v[20:21], v[18:19]
	v_add_f64 v[20:21], v[61:62], v[67:68]
	v_fma_f64 v[32:33], v[4:5], v[26:27], v[63:64]
	v_fma_f64 v[26:27], v[2:3], v[26:27], -v[28:29]
	v_fma_f64 v[16:17], v[16:17], v[30:31], v[22:23]
	v_fma_f64 v[14:15], v[14:15], v[30:31], -v[24:25]
	v_add_f64 v[18:19], v[18:19], v[10:11]
	v_add_f64 v[20:21], v[20:21], v[12:13]
	ds_load_b128 v[2:5], v1 offset:1888
	ds_load_b128 v[10:13], v1 offset:1904
	s_waitcnt vmcnt(3) lgkmcnt(1)
	v_mul_f64 v[28:29], v[2:3], v[36:37]
	v_mul_f64 v[36:37], v[4:5], v[36:37]
	s_waitcnt vmcnt(2) lgkmcnt(0)
	v_mul_f64 v[22:23], v[10:11], v[40:41]
	v_mul_f64 v[24:25], v[12:13], v[40:41]
	v_add_f64 v[18:19], v[18:19], v[26:27]
	v_add_f64 v[20:21], v[20:21], v[32:33]
	v_fma_f64 v[26:27], v[4:5], v[34:35], v[28:29]
	v_fma_f64 v[28:29], v[2:3], v[34:35], -v[36:37]
	v_fma_f64 v[12:13], v[12:13], v[38:39], v[22:23]
	v_fma_f64 v[10:11], v[10:11], v[38:39], -v[24:25]
	v_add_f64 v[18:19], v[18:19], v[14:15]
	v_add_f64 v[20:21], v[20:21], v[16:17]
	ds_load_b128 v[2:5], v1 offset:1920
	ds_load_b128 v[14:17], v1 offset:1936
	s_waitcnt vmcnt(1) lgkmcnt(1)
	v_mul_f64 v[30:31], v[2:3], v[44:45]
	v_mul_f64 v[32:33], v[4:5], v[44:45]
	s_waitcnt vmcnt(0) lgkmcnt(0)
	v_mul_f64 v[22:23], v[14:15], v[8:9]
	v_mul_f64 v[8:9], v[16:17], v[8:9]
	v_add_f64 v[18:19], v[18:19], v[28:29]
	v_add_f64 v[20:21], v[20:21], v[26:27]
	v_fma_f64 v[4:5], v[4:5], v[42:43], v[30:31]
	v_fma_f64 v[1:2], v[2:3], v[42:43], -v[32:33]
	v_fma_f64 v[16:17], v[16:17], v[6:7], v[22:23]
	v_fma_f64 v[6:7], v[14:15], v[6:7], -v[8:9]
	v_add_f64 v[10:11], v[18:19], v[10:11]
	v_add_f64 v[12:13], v[20:21], v[12:13]
	s_delay_alu instid0(VALU_DEP_2) | instskip(NEXT) | instid1(VALU_DEP_2)
	v_add_f64 v[1:2], v[10:11], v[1:2]
	v_add_f64 v[3:4], v[12:13], v[4:5]
	s_delay_alu instid0(VALU_DEP_2) | instskip(NEXT) | instid1(VALU_DEP_2)
	;; [unrolled: 3-line block ×3, first 2 shown]
	v_add_f64 v[1:2], v[57:58], -v[1:2]
	v_add_f64 v[3:4], v[59:60], -v[3:4]
	scratch_store_b128 off, v[1:4], off offset:448
	v_cmpx_lt_u32_e32 27, v169
	s_cbranch_execz .LBB124_337
; %bb.336:
	scratch_load_b32 v1, off, off offset:992 ; 4-byte Folded Reload
	v_mov_b32_e32 v5, 0
	s_delay_alu instid0(VALU_DEP_1)
	v_mov_b32_e32 v6, v5
	v_mov_b32_e32 v7, v5
	;; [unrolled: 1-line block ×3, first 2 shown]
	s_waitcnt vmcnt(0)
	scratch_load_b128 v[1:4], v1, off
	scratch_store_b128 off, v[5:8], off offset:432
	s_waitcnt vmcnt(0)
	ds_store_b128 v229, v[1:4]
.LBB124_337:
	s_or_b32 exec_lo, exec_lo, s2
	s_waitcnt lgkmcnt(0)
	s_waitcnt_vscnt null, 0x0
	s_barrier
	buffer_gl0_inv
	s_clause 0x7
	scratch_load_b128 v[2:5], off, off offset:448
	scratch_load_b128 v[6:9], off, off offset:464
	;; [unrolled: 1-line block ×8, first 2 shown]
	v_mov_b32_e32 v1, 0
	s_mov_b32 s2, exec_lo
	ds_load_b128 v[38:41], v1 offset:1424
	s_clause 0x1
	scratch_load_b128 v[34:37], off, off offset:576
	scratch_load_b128 v[42:45], off, off offset:432
	ds_load_b128 v[57:60], v1 offset:1440
	scratch_load_b128 v[61:64], off, off offset:592
	s_waitcnt vmcnt(10) lgkmcnt(1)
	v_mul_f64 v[65:66], v[40:41], v[4:5]
	v_mul_f64 v[4:5], v[38:39], v[4:5]
	s_delay_alu instid0(VALU_DEP_2) | instskip(NEXT) | instid1(VALU_DEP_2)
	v_fma_f64 v[91:92], v[38:39], v[2:3], -v[65:66]
	v_fma_f64 v[170:171], v[40:41], v[2:3], v[4:5]
	scratch_load_b128 v[38:41], off, off offset:608
	ds_load_b128 v[2:5], v1 offset:1456
	s_waitcnt vmcnt(10) lgkmcnt(1)
	v_mul_f64 v[69:70], v[57:58], v[8:9]
	v_mul_f64 v[8:9], v[59:60], v[8:9]
	ds_load_b128 v[65:68], v1 offset:1472
	s_waitcnt vmcnt(9) lgkmcnt(1)
	v_mul_f64 v[172:173], v[2:3], v[12:13]
	v_mul_f64 v[12:13], v[4:5], v[12:13]
	v_fma_f64 v[59:60], v[59:60], v[6:7], v[69:70]
	v_fma_f64 v[57:58], v[57:58], v[6:7], -v[8:9]
	v_add_f64 v[69:70], v[91:92], 0
	v_add_f64 v[91:92], v[170:171], 0
	scratch_load_b128 v[6:9], off, off offset:624
	v_fma_f64 v[172:173], v[4:5], v[10:11], v[172:173]
	v_fma_f64 v[174:175], v[2:3], v[10:11], -v[12:13]
	scratch_load_b128 v[10:13], off, off offset:640
	ds_load_b128 v[2:5], v1 offset:1488
	s_waitcnt vmcnt(10) lgkmcnt(1)
	v_mul_f64 v[170:171], v[65:66], v[16:17]
	v_mul_f64 v[16:17], v[67:68], v[16:17]
	v_add_f64 v[69:70], v[69:70], v[57:58]
	v_add_f64 v[91:92], v[91:92], v[59:60]
	s_waitcnt vmcnt(9) lgkmcnt(0)
	v_mul_f64 v[176:177], v[2:3], v[20:21]
	v_mul_f64 v[20:21], v[4:5], v[20:21]
	ds_load_b128 v[57:60], v1 offset:1504
	v_fma_f64 v[67:68], v[67:68], v[14:15], v[170:171]
	v_fma_f64 v[65:66], v[65:66], v[14:15], -v[16:17]
	scratch_load_b128 v[14:17], off, off offset:656
	v_add_f64 v[69:70], v[69:70], v[174:175]
	v_add_f64 v[91:92], v[91:92], v[172:173]
	v_fma_f64 v[172:173], v[4:5], v[18:19], v[176:177]
	v_fma_f64 v[174:175], v[2:3], v[18:19], -v[20:21]
	scratch_load_b128 v[18:21], off, off offset:672
	ds_load_b128 v[2:5], v1 offset:1520
	s_waitcnt vmcnt(10) lgkmcnt(1)
	v_mul_f64 v[170:171], v[57:58], v[24:25]
	v_mul_f64 v[24:25], v[59:60], v[24:25]
	s_waitcnt vmcnt(9) lgkmcnt(0)
	v_mul_f64 v[176:177], v[2:3], v[28:29]
	v_mul_f64 v[28:29], v[4:5], v[28:29]
	v_add_f64 v[69:70], v[69:70], v[65:66]
	v_add_f64 v[91:92], v[91:92], v[67:68]
	ds_load_b128 v[65:68], v1 offset:1536
	v_fma_f64 v[59:60], v[59:60], v[22:23], v[170:171]
	v_fma_f64 v[57:58], v[57:58], v[22:23], -v[24:25]
	scratch_load_b128 v[22:25], off, off offset:688
	v_add_f64 v[69:70], v[69:70], v[174:175]
	v_add_f64 v[91:92], v[91:92], v[172:173]
	v_fma_f64 v[172:173], v[4:5], v[26:27], v[176:177]
	v_fma_f64 v[174:175], v[2:3], v[26:27], -v[28:29]
	scratch_load_b128 v[26:29], off, off offset:704
	ds_load_b128 v[2:5], v1 offset:1552
	s_waitcnt vmcnt(10) lgkmcnt(1)
	v_mul_f64 v[170:171], v[65:66], v[32:33]
	v_mul_f64 v[32:33], v[67:68], v[32:33]
	s_waitcnt vmcnt(9) lgkmcnt(0)
	v_mul_f64 v[176:177], v[2:3], v[36:37]
	v_mul_f64 v[36:37], v[4:5], v[36:37]
	v_add_f64 v[69:70], v[69:70], v[57:58]
	v_add_f64 v[91:92], v[91:92], v[59:60]
	ds_load_b128 v[57:60], v1 offset:1568
	v_fma_f64 v[67:68], v[67:68], v[30:31], v[170:171]
	v_fma_f64 v[65:66], v[65:66], v[30:31], -v[32:33]
	scratch_load_b128 v[30:33], off, off offset:720
	v_add_f64 v[69:70], v[69:70], v[174:175]
	v_add_f64 v[91:92], v[91:92], v[172:173]
	v_fma_f64 v[174:175], v[4:5], v[34:35], v[176:177]
	v_fma_f64 v[176:177], v[2:3], v[34:35], -v[36:37]
	scratch_load_b128 v[34:37], off, off offset:736
	ds_load_b128 v[2:5], v1 offset:1584
	s_waitcnt vmcnt(9) lgkmcnt(1)
	v_mul_f64 v[170:171], v[57:58], v[63:64]
	v_mul_f64 v[172:173], v[59:60], v[63:64]
	v_add_f64 v[69:70], v[69:70], v[65:66]
	v_add_f64 v[67:68], v[91:92], v[67:68]
	ds_load_b128 v[63:66], v1 offset:1600
	v_fma_f64 v[170:171], v[59:60], v[61:62], v[170:171]
	v_fma_f64 v[61:62], v[57:58], v[61:62], -v[172:173]
	scratch_load_b128 v[57:60], off, off offset:752
	s_waitcnt vmcnt(9) lgkmcnt(1)
	v_mul_f64 v[91:92], v[2:3], v[40:41]
	v_mul_f64 v[40:41], v[4:5], v[40:41]
	v_add_f64 v[69:70], v[69:70], v[176:177]
	v_add_f64 v[67:68], v[67:68], v[174:175]
	s_delay_alu instid0(VALU_DEP_4) | instskip(NEXT) | instid1(VALU_DEP_4)
	v_fma_f64 v[91:92], v[4:5], v[38:39], v[91:92]
	v_fma_f64 v[174:175], v[2:3], v[38:39], -v[40:41]
	scratch_load_b128 v[38:41], off, off offset:768
	ds_load_b128 v[2:5], v1 offset:1616
	s_waitcnt vmcnt(9) lgkmcnt(1)
	v_mul_f64 v[172:173], v[63:64], v[8:9]
	v_mul_f64 v[8:9], v[65:66], v[8:9]
	s_waitcnt vmcnt(8) lgkmcnt(0)
	v_mul_f64 v[176:177], v[2:3], v[12:13]
	v_mul_f64 v[12:13], v[4:5], v[12:13]
	v_add_f64 v[61:62], v[69:70], v[61:62]
	v_add_f64 v[170:171], v[67:68], v[170:171]
	ds_load_b128 v[67:70], v1 offset:1632
	v_fma_f64 v[65:66], v[65:66], v[6:7], v[172:173]
	v_fma_f64 v[63:64], v[63:64], v[6:7], -v[8:9]
	scratch_load_b128 v[6:9], off, off offset:784
	v_fma_f64 v[172:173], v[4:5], v[10:11], v[176:177]
	v_add_f64 v[61:62], v[61:62], v[174:175]
	v_add_f64 v[91:92], v[170:171], v[91:92]
	v_fma_f64 v[174:175], v[2:3], v[10:11], -v[12:13]
	scratch_load_b128 v[10:13], off, off offset:800
	ds_load_b128 v[2:5], v1 offset:1648
	s_waitcnt vmcnt(9) lgkmcnt(1)
	v_mul_f64 v[170:171], v[67:68], v[16:17]
	v_mul_f64 v[16:17], v[69:70], v[16:17]
	v_add_f64 v[176:177], v[61:62], v[63:64]
	v_add_f64 v[65:66], v[91:92], v[65:66]
	s_waitcnt vmcnt(8) lgkmcnt(0)
	v_mul_f64 v[91:92], v[2:3], v[20:21]
	v_mul_f64 v[20:21], v[4:5], v[20:21]
	ds_load_b128 v[61:64], v1 offset:1664
	v_fma_f64 v[69:70], v[69:70], v[14:15], v[170:171]
	v_fma_f64 v[67:68], v[67:68], v[14:15], -v[16:17]
	scratch_load_b128 v[14:17], off, off offset:816
	v_add_f64 v[170:171], v[176:177], v[174:175]
	v_add_f64 v[65:66], v[65:66], v[172:173]
	v_fma_f64 v[91:92], v[4:5], v[18:19], v[91:92]
	v_fma_f64 v[174:175], v[2:3], v[18:19], -v[20:21]
	scratch_load_b128 v[18:21], off, off offset:832
	ds_load_b128 v[2:5], v1 offset:1680
	s_waitcnt vmcnt(9) lgkmcnt(1)
	v_mul_f64 v[172:173], v[61:62], v[24:25]
	v_mul_f64 v[24:25], v[63:64], v[24:25]
	s_waitcnt vmcnt(8) lgkmcnt(0)
	v_mul_f64 v[176:177], v[2:3], v[28:29]
	v_mul_f64 v[28:29], v[4:5], v[28:29]
	v_add_f64 v[170:171], v[170:171], v[67:68]
	v_add_f64 v[69:70], v[65:66], v[69:70]
	ds_load_b128 v[65:68], v1 offset:1696
	v_fma_f64 v[63:64], v[63:64], v[22:23], v[172:173]
	v_fma_f64 v[61:62], v[61:62], v[22:23], -v[24:25]
	scratch_load_b128 v[22:25], off, off offset:848
	v_fma_f64 v[172:173], v[4:5], v[26:27], v[176:177]
	v_add_f64 v[170:171], v[170:171], v[174:175]
	v_add_f64 v[69:70], v[69:70], v[91:92]
	v_fma_f64 v[174:175], v[2:3], v[26:27], -v[28:29]
	scratch_load_b128 v[26:29], off, off offset:864
	ds_load_b128 v[2:5], v1 offset:1712
	s_waitcnt vmcnt(9) lgkmcnt(1)
	v_mul_f64 v[91:92], v[65:66], v[32:33]
	v_mul_f64 v[32:33], v[67:68], v[32:33]
	s_waitcnt vmcnt(8) lgkmcnt(0)
	v_mul_f64 v[176:177], v[2:3], v[36:37]
	v_mul_f64 v[36:37], v[4:5], v[36:37]
	v_add_f64 v[170:171], v[170:171], v[61:62]
	v_add_f64 v[69:70], v[69:70], v[63:64]
	ds_load_b128 v[61:64], v1 offset:1728
	v_fma_f64 v[67:68], v[67:68], v[30:31], v[91:92]
	v_fma_f64 v[65:66], v[65:66], v[30:31], -v[32:33]
	scratch_load_b128 v[30:33], off, off offset:880
	v_add_f64 v[91:92], v[170:171], v[174:175]
	v_add_f64 v[69:70], v[69:70], v[172:173]
	v_fma_f64 v[172:173], v[4:5], v[34:35], v[176:177]
	v_fma_f64 v[174:175], v[2:3], v[34:35], -v[36:37]
	scratch_load_b128 v[34:37], off, off offset:896
	ds_load_b128 v[2:5], v1 offset:1744
	s_waitcnt vmcnt(9) lgkmcnt(1)
	v_mul_f64 v[170:171], v[61:62], v[59:60]
	v_mul_f64 v[59:60], v[63:64], v[59:60]
	s_waitcnt vmcnt(8) lgkmcnt(0)
	v_mul_f64 v[176:177], v[2:3], v[40:41]
	v_mul_f64 v[40:41], v[4:5], v[40:41]
	v_add_f64 v[91:92], v[91:92], v[65:66]
	v_add_f64 v[69:70], v[69:70], v[67:68]
	ds_load_b128 v[65:68], v1 offset:1760
	v_fma_f64 v[63:64], v[63:64], v[57:58], v[170:171]
	v_fma_f64 v[61:62], v[61:62], v[57:58], -v[59:60]
	scratch_load_b128 v[57:60], off, off offset:912
	v_add_f64 v[91:92], v[91:92], v[174:175]
	v_add_f64 v[69:70], v[69:70], v[172:173]
	v_fma_f64 v[172:173], v[4:5], v[38:39], v[176:177]
	;; [unrolled: 18-line block ×3, first 2 shown]
	v_fma_f64 v[174:175], v[2:3], v[10:11], -v[12:13]
	scratch_load_b128 v[10:13], off, off offset:960
	ds_load_b128 v[2:5], v1 offset:1808
	s_waitcnt vmcnt(9) lgkmcnt(1)
	v_mul_f64 v[170:171], v[61:62], v[16:17]
	v_mul_f64 v[16:17], v[63:64], v[16:17]
	s_waitcnt vmcnt(8) lgkmcnt(0)
	v_mul_f64 v[176:177], v[2:3], v[20:21]
	v_mul_f64 v[20:21], v[4:5], v[20:21]
	v_add_f64 v[91:92], v[91:92], v[65:66]
	v_add_f64 v[69:70], v[69:70], v[67:68]
	ds_load_b128 v[65:68], v1 offset:1824
	v_fma_f64 v[63:64], v[63:64], v[14:15], v[170:171]
	v_fma_f64 v[14:15], v[61:62], v[14:15], -v[16:17]
	v_add_f64 v[16:17], v[91:92], v[174:175]
	v_add_f64 v[61:62], v[69:70], v[172:173]
	s_waitcnt vmcnt(7) lgkmcnt(0)
	v_mul_f64 v[69:70], v[65:66], v[24:25]
	v_mul_f64 v[24:25], v[67:68], v[24:25]
	v_fma_f64 v[91:92], v[4:5], v[18:19], v[176:177]
	v_fma_f64 v[18:19], v[2:3], v[18:19], -v[20:21]
	v_add_f64 v[20:21], v[16:17], v[14:15]
	v_add_f64 v[61:62], v[61:62], v[63:64]
	ds_load_b128 v[2:5], v1 offset:1840
	ds_load_b128 v[14:17], v1 offset:1856
	v_fma_f64 v[67:68], v[67:68], v[22:23], v[69:70]
	v_fma_f64 v[22:23], v[65:66], v[22:23], -v[24:25]
	s_waitcnt vmcnt(6) lgkmcnt(1)
	v_mul_f64 v[63:64], v[2:3], v[28:29]
	v_mul_f64 v[28:29], v[4:5], v[28:29]
	s_waitcnt vmcnt(5) lgkmcnt(0)
	v_mul_f64 v[24:25], v[14:15], v[32:33]
	v_mul_f64 v[32:33], v[16:17], v[32:33]
	v_add_f64 v[18:19], v[20:21], v[18:19]
	v_add_f64 v[20:21], v[61:62], v[91:92]
	v_fma_f64 v[61:62], v[4:5], v[26:27], v[63:64]
	v_fma_f64 v[26:27], v[2:3], v[26:27], -v[28:29]
	v_fma_f64 v[16:17], v[16:17], v[30:31], v[24:25]
	v_fma_f64 v[14:15], v[14:15], v[30:31], -v[32:33]
	v_add_f64 v[22:23], v[18:19], v[22:23]
	v_add_f64 v[28:29], v[20:21], v[67:68]
	ds_load_b128 v[2:5], v1 offset:1872
	ds_load_b128 v[18:21], v1 offset:1888
	s_waitcnt vmcnt(4) lgkmcnt(1)
	v_mul_f64 v[63:64], v[2:3], v[36:37]
	v_mul_f64 v[36:37], v[4:5], v[36:37]
	v_add_f64 v[22:23], v[22:23], v[26:27]
	v_add_f64 v[24:25], v[28:29], v[61:62]
	s_waitcnt vmcnt(3) lgkmcnt(0)
	v_mul_f64 v[26:27], v[18:19], v[59:60]
	v_mul_f64 v[28:29], v[20:21], v[59:60]
	v_fma_f64 v[30:31], v[4:5], v[34:35], v[63:64]
	v_fma_f64 v[32:33], v[2:3], v[34:35], -v[36:37]
	v_add_f64 v[22:23], v[22:23], v[14:15]
	v_add_f64 v[24:25], v[24:25], v[16:17]
	ds_load_b128 v[2:5], v1 offset:1904
	ds_load_b128 v[14:17], v1 offset:1920
	v_fma_f64 v[20:21], v[20:21], v[57:58], v[26:27]
	v_fma_f64 v[18:19], v[18:19], v[57:58], -v[28:29]
	s_waitcnt vmcnt(2) lgkmcnt(1)
	v_mul_f64 v[34:35], v[2:3], v[40:41]
	v_mul_f64 v[36:37], v[4:5], v[40:41]
	s_waitcnt vmcnt(1) lgkmcnt(0)
	v_mul_f64 v[26:27], v[14:15], v[8:9]
	v_mul_f64 v[8:9], v[16:17], v[8:9]
	v_add_f64 v[22:23], v[22:23], v[32:33]
	v_add_f64 v[24:25], v[24:25], v[30:31]
	v_fma_f64 v[28:29], v[4:5], v[38:39], v[34:35]
	v_fma_f64 v[30:31], v[2:3], v[38:39], -v[36:37]
	ds_load_b128 v[2:5], v1 offset:1936
	v_fma_f64 v[16:17], v[16:17], v[6:7], v[26:27]
	v_fma_f64 v[6:7], v[14:15], v[6:7], -v[8:9]
	v_add_f64 v[18:19], v[22:23], v[18:19]
	v_add_f64 v[20:21], v[24:25], v[20:21]
	s_waitcnt vmcnt(0) lgkmcnt(0)
	v_mul_f64 v[22:23], v[2:3], v[12:13]
	v_mul_f64 v[12:13], v[4:5], v[12:13]
	s_delay_alu instid0(VALU_DEP_4) | instskip(NEXT) | instid1(VALU_DEP_4)
	v_add_f64 v[8:9], v[18:19], v[30:31]
	v_add_f64 v[14:15], v[20:21], v[28:29]
	s_delay_alu instid0(VALU_DEP_4) | instskip(NEXT) | instid1(VALU_DEP_4)
	v_fma_f64 v[4:5], v[4:5], v[10:11], v[22:23]
	v_fma_f64 v[2:3], v[2:3], v[10:11], -v[12:13]
	s_delay_alu instid0(VALU_DEP_4) | instskip(NEXT) | instid1(VALU_DEP_4)
	v_add_f64 v[6:7], v[8:9], v[6:7]
	v_add_f64 v[8:9], v[14:15], v[16:17]
	s_delay_alu instid0(VALU_DEP_2) | instskip(NEXT) | instid1(VALU_DEP_2)
	v_add_f64 v[2:3], v[6:7], v[2:3]
	v_add_f64 v[4:5], v[8:9], v[4:5]
	s_delay_alu instid0(VALU_DEP_2) | instskip(NEXT) | instid1(VALU_DEP_2)
	v_add_f64 v[2:3], v[42:43], -v[2:3]
	v_add_f64 v[4:5], v[44:45], -v[4:5]
	scratch_store_b128 off, v[2:5], off offset:432
	v_cmpx_lt_u32_e32 26, v169
	s_cbranch_execz .LBB124_339
; %bb.338:
	scratch_load_b32 v2, off, off offset:996 ; 4-byte Folded Reload
	v_mov_b32_e32 v3, v1
	v_mov_b32_e32 v4, v1
	s_waitcnt vmcnt(0)
	scratch_load_b128 v[5:8], v2, off
	v_mov_b32_e32 v2, v1
	scratch_store_b128 off, v[1:4], off offset:416
	s_waitcnt vmcnt(0)
	ds_store_b128 v229, v[5:8]
.LBB124_339:
	s_or_b32 exec_lo, exec_lo, s2
	s_waitcnt lgkmcnt(0)
	s_waitcnt_vscnt null, 0x0
	s_barrier
	buffer_gl0_inv
	s_clause 0x8
	scratch_load_b128 v[2:5], off, off offset:432
	scratch_load_b128 v[6:9], off, off offset:448
	;; [unrolled: 1-line block ×9, first 2 shown]
	ds_load_b128 v[42:45], v1 offset:1408
	ds_load_b128 v[38:41], v1 offset:1424
	s_clause 0x1
	scratch_load_b128 v[57:60], off, off offset:416
	scratch_load_b128 v[61:64], off, off offset:576
	s_mov_b32 s2, exec_lo
	s_waitcnt vmcnt(10) lgkmcnt(1)
	v_mul_f64 v[65:66], v[44:45], v[4:5]
	v_mul_f64 v[4:5], v[42:43], v[4:5]
	s_waitcnt vmcnt(9) lgkmcnt(0)
	v_mul_f64 v[69:70], v[38:39], v[8:9]
	v_mul_f64 v[8:9], v[40:41], v[8:9]
	s_delay_alu instid0(VALU_DEP_4) | instskip(NEXT) | instid1(VALU_DEP_4)
	v_fma_f64 v[91:92], v[42:43], v[2:3], -v[65:66]
	v_fma_f64 v[170:171], v[44:45], v[2:3], v[4:5]
	ds_load_b128 v[2:5], v1 offset:1440
	ds_load_b128 v[65:68], v1 offset:1456
	scratch_load_b128 v[42:45], off, off offset:592
	v_fma_f64 v[40:41], v[40:41], v[6:7], v[69:70]
	v_fma_f64 v[38:39], v[38:39], v[6:7], -v[8:9]
	scratch_load_b128 v[6:9], off, off offset:608
	s_waitcnt vmcnt(10) lgkmcnt(1)
	v_mul_f64 v[172:173], v[2:3], v[12:13]
	v_mul_f64 v[12:13], v[4:5], v[12:13]
	v_add_f64 v[69:70], v[91:92], 0
	v_add_f64 v[91:92], v[170:171], 0
	s_waitcnt vmcnt(9) lgkmcnt(0)
	v_mul_f64 v[170:171], v[65:66], v[16:17]
	v_mul_f64 v[16:17], v[67:68], v[16:17]
	v_fma_f64 v[172:173], v[4:5], v[10:11], v[172:173]
	v_fma_f64 v[174:175], v[2:3], v[10:11], -v[12:13]
	ds_load_b128 v[2:5], v1 offset:1472
	scratch_load_b128 v[10:13], off, off offset:624
	v_add_f64 v[69:70], v[69:70], v[38:39]
	v_add_f64 v[91:92], v[91:92], v[40:41]
	ds_load_b128 v[38:41], v1 offset:1488
	v_fma_f64 v[67:68], v[67:68], v[14:15], v[170:171]
	v_fma_f64 v[65:66], v[65:66], v[14:15], -v[16:17]
	scratch_load_b128 v[14:17], off, off offset:640
	s_waitcnt vmcnt(10) lgkmcnt(1)
	v_mul_f64 v[176:177], v[2:3], v[20:21]
	v_mul_f64 v[20:21], v[4:5], v[20:21]
	s_waitcnt vmcnt(9) lgkmcnt(0)
	v_mul_f64 v[170:171], v[38:39], v[24:25]
	v_mul_f64 v[24:25], v[40:41], v[24:25]
	v_add_f64 v[69:70], v[69:70], v[174:175]
	v_add_f64 v[91:92], v[91:92], v[172:173]
	v_fma_f64 v[172:173], v[4:5], v[18:19], v[176:177]
	v_fma_f64 v[174:175], v[2:3], v[18:19], -v[20:21]
	ds_load_b128 v[2:5], v1 offset:1504
	scratch_load_b128 v[18:21], off, off offset:656
	v_fma_f64 v[40:41], v[40:41], v[22:23], v[170:171]
	v_fma_f64 v[38:39], v[38:39], v[22:23], -v[24:25]
	scratch_load_b128 v[22:25], off, off offset:672
	v_add_f64 v[69:70], v[69:70], v[65:66]
	v_add_f64 v[91:92], v[91:92], v[67:68]
	ds_load_b128 v[65:68], v1 offset:1520
	s_waitcnt vmcnt(10) lgkmcnt(1)
	v_mul_f64 v[176:177], v[2:3], v[28:29]
	v_mul_f64 v[28:29], v[4:5], v[28:29]
	s_waitcnt vmcnt(9) lgkmcnt(0)
	v_mul_f64 v[170:171], v[65:66], v[32:33]
	v_mul_f64 v[32:33], v[67:68], v[32:33]
	v_add_f64 v[69:70], v[69:70], v[174:175]
	v_add_f64 v[91:92], v[91:92], v[172:173]
	v_fma_f64 v[172:173], v[4:5], v[26:27], v[176:177]
	v_fma_f64 v[174:175], v[2:3], v[26:27], -v[28:29]
	ds_load_b128 v[2:5], v1 offset:1536
	scratch_load_b128 v[26:29], off, off offset:688
	v_fma_f64 v[67:68], v[67:68], v[30:31], v[170:171]
	v_fma_f64 v[65:66], v[65:66], v[30:31], -v[32:33]
	scratch_load_b128 v[30:33], off, off offset:704
	v_add_f64 v[69:70], v[69:70], v[38:39]
	v_add_f64 v[91:92], v[91:92], v[40:41]
	ds_load_b128 v[38:41], v1 offset:1552
	s_waitcnt vmcnt(10) lgkmcnt(1)
	v_mul_f64 v[176:177], v[2:3], v[36:37]
	v_mul_f64 v[36:37], v[4:5], v[36:37]
	s_waitcnt vmcnt(8) lgkmcnt(0)
	v_mul_f64 v[170:171], v[38:39], v[63:64]
	v_add_f64 v[69:70], v[69:70], v[174:175]
	v_add_f64 v[91:92], v[91:92], v[172:173]
	v_mul_f64 v[172:173], v[40:41], v[63:64]
	v_fma_f64 v[174:175], v[4:5], v[34:35], v[176:177]
	v_fma_f64 v[176:177], v[2:3], v[34:35], -v[36:37]
	ds_load_b128 v[2:5], v1 offset:1568
	scratch_load_b128 v[34:37], off, off offset:720
	v_fma_f64 v[170:171], v[40:41], v[61:62], v[170:171]
	v_add_f64 v[69:70], v[69:70], v[65:66]
	v_add_f64 v[67:68], v[91:92], v[67:68]
	ds_load_b128 v[63:66], v1 offset:1584
	v_fma_f64 v[61:62], v[38:39], v[61:62], -v[172:173]
	scratch_load_b128 v[38:41], off, off offset:736
	s_waitcnt vmcnt(9) lgkmcnt(1)
	v_mul_f64 v[91:92], v[2:3], v[44:45]
	v_mul_f64 v[44:45], v[4:5], v[44:45]
	s_waitcnt vmcnt(8) lgkmcnt(0)
	v_mul_f64 v[172:173], v[63:64], v[8:9]
	v_mul_f64 v[8:9], v[65:66], v[8:9]
	v_add_f64 v[69:70], v[69:70], v[176:177]
	v_add_f64 v[67:68], v[67:68], v[174:175]
	v_fma_f64 v[91:92], v[4:5], v[42:43], v[91:92]
	v_fma_f64 v[174:175], v[2:3], v[42:43], -v[44:45]
	ds_load_b128 v[2:5], v1 offset:1600
	scratch_load_b128 v[42:45], off, off offset:752
	v_fma_f64 v[65:66], v[65:66], v[6:7], v[172:173]
	v_fma_f64 v[63:64], v[63:64], v[6:7], -v[8:9]
	scratch_load_b128 v[6:9], off, off offset:768
	v_add_f64 v[61:62], v[69:70], v[61:62]
	v_add_f64 v[170:171], v[67:68], v[170:171]
	ds_load_b128 v[67:70], v1 offset:1616
	s_waitcnt vmcnt(9) lgkmcnt(1)
	v_mul_f64 v[176:177], v[2:3], v[12:13]
	v_mul_f64 v[12:13], v[4:5], v[12:13]
	v_add_f64 v[61:62], v[61:62], v[174:175]
	v_add_f64 v[91:92], v[170:171], v[91:92]
	s_waitcnt vmcnt(8) lgkmcnt(0)
	v_mul_f64 v[170:171], v[67:68], v[16:17]
	v_mul_f64 v[16:17], v[69:70], v[16:17]
	v_fma_f64 v[172:173], v[4:5], v[10:11], v[176:177]
	v_fma_f64 v[174:175], v[2:3], v[10:11], -v[12:13]
	ds_load_b128 v[2:5], v1 offset:1632
	scratch_load_b128 v[10:13], off, off offset:784
	v_add_f64 v[176:177], v[61:62], v[63:64]
	v_add_f64 v[65:66], v[91:92], v[65:66]
	ds_load_b128 v[61:64], v1 offset:1648
	s_waitcnt vmcnt(8) lgkmcnt(1)
	v_mul_f64 v[91:92], v[2:3], v[20:21]
	v_mul_f64 v[20:21], v[4:5], v[20:21]
	v_fma_f64 v[69:70], v[69:70], v[14:15], v[170:171]
	v_fma_f64 v[67:68], v[67:68], v[14:15], -v[16:17]
	scratch_load_b128 v[14:17], off, off offset:800
	v_add_f64 v[170:171], v[176:177], v[174:175]
	v_add_f64 v[65:66], v[65:66], v[172:173]
	s_waitcnt vmcnt(8) lgkmcnt(0)
	v_mul_f64 v[172:173], v[61:62], v[24:25]
	v_mul_f64 v[24:25], v[63:64], v[24:25]
	v_fma_f64 v[91:92], v[4:5], v[18:19], v[91:92]
	v_fma_f64 v[174:175], v[2:3], v[18:19], -v[20:21]
	ds_load_b128 v[2:5], v1 offset:1664
	scratch_load_b128 v[18:21], off, off offset:816
	v_add_f64 v[170:171], v[170:171], v[67:68]
	v_add_f64 v[69:70], v[65:66], v[69:70]
	ds_load_b128 v[65:68], v1 offset:1680
	s_waitcnt vmcnt(8) lgkmcnt(1)
	v_mul_f64 v[176:177], v[2:3], v[28:29]
	v_mul_f64 v[28:29], v[4:5], v[28:29]
	v_fma_f64 v[63:64], v[63:64], v[22:23], v[172:173]
	v_fma_f64 v[61:62], v[61:62], v[22:23], -v[24:25]
	scratch_load_b128 v[22:25], off, off offset:832
	;; [unrolled: 18-line block ×4, first 2 shown]
	s_waitcnt vmcnt(8) lgkmcnt(0)
	v_mul_f64 v[170:171], v[65:66], v[8:9]
	v_mul_f64 v[8:9], v[67:68], v[8:9]
	v_add_f64 v[91:92], v[91:92], v[174:175]
	v_add_f64 v[69:70], v[69:70], v[172:173]
	v_fma_f64 v[172:173], v[4:5], v[42:43], v[176:177]
	v_fma_f64 v[174:175], v[2:3], v[42:43], -v[44:45]
	ds_load_b128 v[2:5], v1 offset:1760
	scratch_load_b128 v[42:45], off, off offset:912
	v_fma_f64 v[67:68], v[67:68], v[6:7], v[170:171]
	v_fma_f64 v[65:66], v[65:66], v[6:7], -v[8:9]
	scratch_load_b128 v[6:9], off, off offset:928
	v_add_f64 v[91:92], v[91:92], v[61:62]
	v_add_f64 v[69:70], v[69:70], v[63:64]
	ds_load_b128 v[61:64], v1 offset:1776
	s_waitcnt vmcnt(9) lgkmcnt(1)
	v_mul_f64 v[176:177], v[2:3], v[12:13]
	v_mul_f64 v[12:13], v[4:5], v[12:13]
	s_waitcnt vmcnt(8) lgkmcnt(0)
	v_mul_f64 v[170:171], v[61:62], v[16:17]
	v_mul_f64 v[16:17], v[63:64], v[16:17]
	v_add_f64 v[91:92], v[91:92], v[174:175]
	v_add_f64 v[69:70], v[69:70], v[172:173]
	v_fma_f64 v[172:173], v[4:5], v[10:11], v[176:177]
	v_fma_f64 v[174:175], v[2:3], v[10:11], -v[12:13]
	ds_load_b128 v[2:5], v1 offset:1792
	scratch_load_b128 v[10:13], off, off offset:944
	v_fma_f64 v[63:64], v[63:64], v[14:15], v[170:171]
	v_fma_f64 v[61:62], v[61:62], v[14:15], -v[16:17]
	scratch_load_b128 v[14:17], off, off offset:960
	v_add_f64 v[91:92], v[91:92], v[65:66]
	v_add_f64 v[69:70], v[69:70], v[67:68]
	ds_load_b128 v[65:68], v1 offset:1808
	s_waitcnt vmcnt(9) lgkmcnt(1)
	v_mul_f64 v[176:177], v[2:3], v[20:21]
	v_mul_f64 v[20:21], v[4:5], v[20:21]
	s_waitcnt vmcnt(8) lgkmcnt(0)
	v_mul_f64 v[170:171], v[65:66], v[24:25]
	v_mul_f64 v[24:25], v[67:68], v[24:25]
	v_add_f64 v[91:92], v[91:92], v[174:175]
	v_add_f64 v[69:70], v[69:70], v[172:173]
	v_fma_f64 v[172:173], v[4:5], v[18:19], v[176:177]
	v_fma_f64 v[174:175], v[2:3], v[18:19], -v[20:21]
	ds_load_b128 v[2:5], v1 offset:1824
	ds_load_b128 v[18:21], v1 offset:1840
	v_fma_f64 v[67:68], v[67:68], v[22:23], v[170:171]
	v_fma_f64 v[22:23], v[65:66], v[22:23], -v[24:25]
	v_add_f64 v[61:62], v[91:92], v[61:62]
	v_add_f64 v[63:64], v[69:70], v[63:64]
	s_waitcnt vmcnt(7) lgkmcnt(1)
	v_mul_f64 v[69:70], v[2:3], v[28:29]
	v_mul_f64 v[28:29], v[4:5], v[28:29]
	s_delay_alu instid0(VALU_DEP_4) | instskip(NEXT) | instid1(VALU_DEP_4)
	v_add_f64 v[24:25], v[61:62], v[174:175]
	v_add_f64 v[61:62], v[63:64], v[172:173]
	s_waitcnt vmcnt(6) lgkmcnt(0)
	v_mul_f64 v[63:64], v[18:19], v[32:33]
	v_mul_f64 v[32:33], v[20:21], v[32:33]
	v_fma_f64 v[65:66], v[4:5], v[26:27], v[69:70]
	v_fma_f64 v[26:27], v[2:3], v[26:27], -v[28:29]
	v_add_f64 v[28:29], v[24:25], v[22:23]
	v_add_f64 v[61:62], v[61:62], v[67:68]
	ds_load_b128 v[2:5], v1 offset:1856
	ds_load_b128 v[22:25], v1 offset:1872
	v_fma_f64 v[20:21], v[20:21], v[30:31], v[63:64]
	v_fma_f64 v[18:19], v[18:19], v[30:31], -v[32:33]
	s_waitcnt vmcnt(5) lgkmcnt(1)
	v_mul_f64 v[67:68], v[2:3], v[36:37]
	v_mul_f64 v[36:37], v[4:5], v[36:37]
	s_waitcnt vmcnt(4) lgkmcnt(0)
	v_mul_f64 v[30:31], v[22:23], v[40:41]
	v_mul_f64 v[32:33], v[24:25], v[40:41]
	v_add_f64 v[26:27], v[28:29], v[26:27]
	v_add_f64 v[28:29], v[61:62], v[65:66]
	v_fma_f64 v[40:41], v[4:5], v[34:35], v[67:68]
	v_fma_f64 v[34:35], v[2:3], v[34:35], -v[36:37]
	v_fma_f64 v[24:25], v[24:25], v[38:39], v[30:31]
	v_fma_f64 v[22:23], v[22:23], v[38:39], -v[32:33]
	v_add_f64 v[26:27], v[26:27], v[18:19]
	v_add_f64 v[28:29], v[28:29], v[20:21]
	ds_load_b128 v[2:5], v1 offset:1888
	ds_load_b128 v[18:21], v1 offset:1904
	s_waitcnt vmcnt(3) lgkmcnt(1)
	v_mul_f64 v[36:37], v[2:3], v[44:45]
	v_mul_f64 v[44:45], v[4:5], v[44:45]
	s_waitcnt vmcnt(2) lgkmcnt(0)
	v_mul_f64 v[30:31], v[18:19], v[8:9]
	v_mul_f64 v[8:9], v[20:21], v[8:9]
	v_add_f64 v[26:27], v[26:27], v[34:35]
	v_add_f64 v[28:29], v[28:29], v[40:41]
	v_fma_f64 v[32:33], v[4:5], v[42:43], v[36:37]
	v_fma_f64 v[34:35], v[2:3], v[42:43], -v[44:45]
	v_fma_f64 v[20:21], v[20:21], v[6:7], v[30:31]
	v_fma_f64 v[6:7], v[18:19], v[6:7], -v[8:9]
	v_add_f64 v[26:27], v[26:27], v[22:23]
	v_add_f64 v[28:29], v[28:29], v[24:25]
	ds_load_b128 v[2:5], v1 offset:1920
	ds_load_b128 v[22:25], v1 offset:1936
	s_waitcnt vmcnt(1) lgkmcnt(1)
	v_mul_f64 v[36:37], v[2:3], v[12:13]
	v_mul_f64 v[12:13], v[4:5], v[12:13]
	v_add_f64 v[8:9], v[26:27], v[34:35]
	v_add_f64 v[18:19], v[28:29], v[32:33]
	s_waitcnt vmcnt(0) lgkmcnt(0)
	v_mul_f64 v[26:27], v[22:23], v[16:17]
	v_mul_f64 v[16:17], v[24:25], v[16:17]
	v_fma_f64 v[4:5], v[4:5], v[10:11], v[36:37]
	v_fma_f64 v[1:2], v[2:3], v[10:11], -v[12:13]
	v_add_f64 v[6:7], v[8:9], v[6:7]
	v_add_f64 v[8:9], v[18:19], v[20:21]
	v_fma_f64 v[10:11], v[24:25], v[14:15], v[26:27]
	v_fma_f64 v[12:13], v[22:23], v[14:15], -v[16:17]
	s_delay_alu instid0(VALU_DEP_4) | instskip(NEXT) | instid1(VALU_DEP_4)
	v_add_f64 v[1:2], v[6:7], v[1:2]
	v_add_f64 v[3:4], v[8:9], v[4:5]
	s_delay_alu instid0(VALU_DEP_2) | instskip(NEXT) | instid1(VALU_DEP_2)
	v_add_f64 v[1:2], v[1:2], v[12:13]
	v_add_f64 v[3:4], v[3:4], v[10:11]
	s_delay_alu instid0(VALU_DEP_2) | instskip(NEXT) | instid1(VALU_DEP_2)
	v_add_f64 v[1:2], v[57:58], -v[1:2]
	v_add_f64 v[3:4], v[59:60], -v[3:4]
	scratch_store_b128 off, v[1:4], off offset:416
	v_cmpx_lt_u32_e32 25, v169
	s_cbranch_execz .LBB124_341
; %bb.340:
	scratch_load_b32 v1, off, off offset:1000 ; 4-byte Folded Reload
	v_mov_b32_e32 v5, 0
	s_delay_alu instid0(VALU_DEP_1)
	v_mov_b32_e32 v6, v5
	v_mov_b32_e32 v7, v5
	;; [unrolled: 1-line block ×3, first 2 shown]
	s_waitcnt vmcnt(0)
	scratch_load_b128 v[1:4], v1, off
	scratch_store_b128 off, v[5:8], off offset:400
	s_waitcnt vmcnt(0)
	ds_store_b128 v229, v[1:4]
.LBB124_341:
	s_or_b32 exec_lo, exec_lo, s2
	s_waitcnt lgkmcnt(0)
	s_waitcnt_vscnt null, 0x0
	s_barrier
	buffer_gl0_inv
	s_clause 0x7
	scratch_load_b128 v[2:5], off, off offset:416
	scratch_load_b128 v[6:9], off, off offset:432
	;; [unrolled: 1-line block ×8, first 2 shown]
	v_mov_b32_e32 v1, 0
	s_mov_b32 s2, exec_lo
	ds_load_b128 v[38:41], v1 offset:1392
	s_clause 0x1
	scratch_load_b128 v[34:37], off, off offset:544
	scratch_load_b128 v[42:45], off, off offset:400
	ds_load_b128 v[57:60], v1 offset:1408
	scratch_load_b128 v[61:64], off, off offset:560
	s_waitcnt vmcnt(10) lgkmcnt(1)
	v_mul_f64 v[65:66], v[40:41], v[4:5]
	v_mul_f64 v[4:5], v[38:39], v[4:5]
	s_delay_alu instid0(VALU_DEP_2) | instskip(NEXT) | instid1(VALU_DEP_2)
	v_fma_f64 v[91:92], v[38:39], v[2:3], -v[65:66]
	v_fma_f64 v[170:171], v[40:41], v[2:3], v[4:5]
	scratch_load_b128 v[38:41], off, off offset:576
	ds_load_b128 v[2:5], v1 offset:1424
	s_waitcnt vmcnt(10) lgkmcnt(1)
	v_mul_f64 v[69:70], v[57:58], v[8:9]
	v_mul_f64 v[8:9], v[59:60], v[8:9]
	ds_load_b128 v[65:68], v1 offset:1440
	s_waitcnt vmcnt(9) lgkmcnt(1)
	v_mul_f64 v[172:173], v[2:3], v[12:13]
	v_mul_f64 v[12:13], v[4:5], v[12:13]
	v_fma_f64 v[59:60], v[59:60], v[6:7], v[69:70]
	v_fma_f64 v[57:58], v[57:58], v[6:7], -v[8:9]
	v_add_f64 v[69:70], v[91:92], 0
	v_add_f64 v[91:92], v[170:171], 0
	scratch_load_b128 v[6:9], off, off offset:592
	v_fma_f64 v[172:173], v[4:5], v[10:11], v[172:173]
	v_fma_f64 v[174:175], v[2:3], v[10:11], -v[12:13]
	scratch_load_b128 v[10:13], off, off offset:608
	ds_load_b128 v[2:5], v1 offset:1456
	s_waitcnt vmcnt(10) lgkmcnt(1)
	v_mul_f64 v[170:171], v[65:66], v[16:17]
	v_mul_f64 v[16:17], v[67:68], v[16:17]
	v_add_f64 v[69:70], v[69:70], v[57:58]
	v_add_f64 v[91:92], v[91:92], v[59:60]
	s_waitcnt vmcnt(9) lgkmcnt(0)
	v_mul_f64 v[176:177], v[2:3], v[20:21]
	v_mul_f64 v[20:21], v[4:5], v[20:21]
	ds_load_b128 v[57:60], v1 offset:1472
	v_fma_f64 v[67:68], v[67:68], v[14:15], v[170:171]
	v_fma_f64 v[65:66], v[65:66], v[14:15], -v[16:17]
	scratch_load_b128 v[14:17], off, off offset:624
	v_add_f64 v[69:70], v[69:70], v[174:175]
	v_add_f64 v[91:92], v[91:92], v[172:173]
	v_fma_f64 v[172:173], v[4:5], v[18:19], v[176:177]
	v_fma_f64 v[174:175], v[2:3], v[18:19], -v[20:21]
	scratch_load_b128 v[18:21], off, off offset:640
	ds_load_b128 v[2:5], v1 offset:1488
	s_waitcnt vmcnt(10) lgkmcnt(1)
	v_mul_f64 v[170:171], v[57:58], v[24:25]
	v_mul_f64 v[24:25], v[59:60], v[24:25]
	s_waitcnt vmcnt(9) lgkmcnt(0)
	v_mul_f64 v[176:177], v[2:3], v[28:29]
	v_mul_f64 v[28:29], v[4:5], v[28:29]
	v_add_f64 v[69:70], v[69:70], v[65:66]
	v_add_f64 v[91:92], v[91:92], v[67:68]
	ds_load_b128 v[65:68], v1 offset:1504
	v_fma_f64 v[59:60], v[59:60], v[22:23], v[170:171]
	v_fma_f64 v[57:58], v[57:58], v[22:23], -v[24:25]
	scratch_load_b128 v[22:25], off, off offset:656
	v_add_f64 v[69:70], v[69:70], v[174:175]
	v_add_f64 v[91:92], v[91:92], v[172:173]
	v_fma_f64 v[172:173], v[4:5], v[26:27], v[176:177]
	v_fma_f64 v[174:175], v[2:3], v[26:27], -v[28:29]
	scratch_load_b128 v[26:29], off, off offset:672
	ds_load_b128 v[2:5], v1 offset:1520
	s_waitcnt vmcnt(10) lgkmcnt(1)
	v_mul_f64 v[170:171], v[65:66], v[32:33]
	v_mul_f64 v[32:33], v[67:68], v[32:33]
	s_waitcnt vmcnt(9) lgkmcnt(0)
	v_mul_f64 v[176:177], v[2:3], v[36:37]
	v_mul_f64 v[36:37], v[4:5], v[36:37]
	v_add_f64 v[69:70], v[69:70], v[57:58]
	v_add_f64 v[91:92], v[91:92], v[59:60]
	ds_load_b128 v[57:60], v1 offset:1536
	v_fma_f64 v[67:68], v[67:68], v[30:31], v[170:171]
	v_fma_f64 v[65:66], v[65:66], v[30:31], -v[32:33]
	scratch_load_b128 v[30:33], off, off offset:688
	v_add_f64 v[69:70], v[69:70], v[174:175]
	v_add_f64 v[91:92], v[91:92], v[172:173]
	v_fma_f64 v[174:175], v[4:5], v[34:35], v[176:177]
	v_fma_f64 v[176:177], v[2:3], v[34:35], -v[36:37]
	scratch_load_b128 v[34:37], off, off offset:704
	ds_load_b128 v[2:5], v1 offset:1552
	s_waitcnt vmcnt(9) lgkmcnt(1)
	v_mul_f64 v[170:171], v[57:58], v[63:64]
	v_mul_f64 v[172:173], v[59:60], v[63:64]
	v_add_f64 v[69:70], v[69:70], v[65:66]
	v_add_f64 v[67:68], v[91:92], v[67:68]
	ds_load_b128 v[63:66], v1 offset:1568
	v_fma_f64 v[170:171], v[59:60], v[61:62], v[170:171]
	v_fma_f64 v[61:62], v[57:58], v[61:62], -v[172:173]
	scratch_load_b128 v[57:60], off, off offset:720
	s_waitcnt vmcnt(9) lgkmcnt(1)
	v_mul_f64 v[91:92], v[2:3], v[40:41]
	v_mul_f64 v[40:41], v[4:5], v[40:41]
	v_add_f64 v[69:70], v[69:70], v[176:177]
	v_add_f64 v[67:68], v[67:68], v[174:175]
	s_delay_alu instid0(VALU_DEP_4) | instskip(NEXT) | instid1(VALU_DEP_4)
	v_fma_f64 v[91:92], v[4:5], v[38:39], v[91:92]
	v_fma_f64 v[174:175], v[2:3], v[38:39], -v[40:41]
	scratch_load_b128 v[38:41], off, off offset:736
	ds_load_b128 v[2:5], v1 offset:1584
	s_waitcnt vmcnt(9) lgkmcnt(1)
	v_mul_f64 v[172:173], v[63:64], v[8:9]
	v_mul_f64 v[8:9], v[65:66], v[8:9]
	s_waitcnt vmcnt(8) lgkmcnt(0)
	v_mul_f64 v[176:177], v[2:3], v[12:13]
	v_mul_f64 v[12:13], v[4:5], v[12:13]
	v_add_f64 v[61:62], v[69:70], v[61:62]
	v_add_f64 v[170:171], v[67:68], v[170:171]
	ds_load_b128 v[67:70], v1 offset:1600
	v_fma_f64 v[65:66], v[65:66], v[6:7], v[172:173]
	v_fma_f64 v[63:64], v[63:64], v[6:7], -v[8:9]
	scratch_load_b128 v[6:9], off, off offset:752
	v_fma_f64 v[172:173], v[4:5], v[10:11], v[176:177]
	v_add_f64 v[61:62], v[61:62], v[174:175]
	v_add_f64 v[91:92], v[170:171], v[91:92]
	v_fma_f64 v[174:175], v[2:3], v[10:11], -v[12:13]
	scratch_load_b128 v[10:13], off, off offset:768
	ds_load_b128 v[2:5], v1 offset:1616
	s_waitcnt vmcnt(9) lgkmcnt(1)
	v_mul_f64 v[170:171], v[67:68], v[16:17]
	v_mul_f64 v[16:17], v[69:70], v[16:17]
	v_add_f64 v[176:177], v[61:62], v[63:64]
	v_add_f64 v[65:66], v[91:92], v[65:66]
	s_waitcnt vmcnt(8) lgkmcnt(0)
	v_mul_f64 v[91:92], v[2:3], v[20:21]
	v_mul_f64 v[20:21], v[4:5], v[20:21]
	ds_load_b128 v[61:64], v1 offset:1632
	v_fma_f64 v[69:70], v[69:70], v[14:15], v[170:171]
	v_fma_f64 v[67:68], v[67:68], v[14:15], -v[16:17]
	scratch_load_b128 v[14:17], off, off offset:784
	v_add_f64 v[170:171], v[176:177], v[174:175]
	v_add_f64 v[65:66], v[65:66], v[172:173]
	v_fma_f64 v[91:92], v[4:5], v[18:19], v[91:92]
	v_fma_f64 v[174:175], v[2:3], v[18:19], -v[20:21]
	scratch_load_b128 v[18:21], off, off offset:800
	ds_load_b128 v[2:5], v1 offset:1648
	s_waitcnt vmcnt(9) lgkmcnt(1)
	v_mul_f64 v[172:173], v[61:62], v[24:25]
	v_mul_f64 v[24:25], v[63:64], v[24:25]
	s_waitcnt vmcnt(8) lgkmcnt(0)
	v_mul_f64 v[176:177], v[2:3], v[28:29]
	v_mul_f64 v[28:29], v[4:5], v[28:29]
	v_add_f64 v[170:171], v[170:171], v[67:68]
	v_add_f64 v[69:70], v[65:66], v[69:70]
	ds_load_b128 v[65:68], v1 offset:1664
	v_fma_f64 v[63:64], v[63:64], v[22:23], v[172:173]
	v_fma_f64 v[61:62], v[61:62], v[22:23], -v[24:25]
	scratch_load_b128 v[22:25], off, off offset:816
	v_fma_f64 v[172:173], v[4:5], v[26:27], v[176:177]
	v_add_f64 v[170:171], v[170:171], v[174:175]
	v_add_f64 v[69:70], v[69:70], v[91:92]
	v_fma_f64 v[174:175], v[2:3], v[26:27], -v[28:29]
	scratch_load_b128 v[26:29], off, off offset:832
	ds_load_b128 v[2:5], v1 offset:1680
	s_waitcnt vmcnt(9) lgkmcnt(1)
	v_mul_f64 v[91:92], v[65:66], v[32:33]
	v_mul_f64 v[32:33], v[67:68], v[32:33]
	s_waitcnt vmcnt(8) lgkmcnt(0)
	v_mul_f64 v[176:177], v[2:3], v[36:37]
	v_mul_f64 v[36:37], v[4:5], v[36:37]
	v_add_f64 v[170:171], v[170:171], v[61:62]
	v_add_f64 v[69:70], v[69:70], v[63:64]
	ds_load_b128 v[61:64], v1 offset:1696
	v_fma_f64 v[67:68], v[67:68], v[30:31], v[91:92]
	v_fma_f64 v[65:66], v[65:66], v[30:31], -v[32:33]
	scratch_load_b128 v[30:33], off, off offset:848
	v_add_f64 v[91:92], v[170:171], v[174:175]
	v_add_f64 v[69:70], v[69:70], v[172:173]
	v_fma_f64 v[172:173], v[4:5], v[34:35], v[176:177]
	v_fma_f64 v[174:175], v[2:3], v[34:35], -v[36:37]
	scratch_load_b128 v[34:37], off, off offset:864
	ds_load_b128 v[2:5], v1 offset:1712
	s_waitcnt vmcnt(9) lgkmcnt(1)
	v_mul_f64 v[170:171], v[61:62], v[59:60]
	v_mul_f64 v[59:60], v[63:64], v[59:60]
	s_waitcnt vmcnt(8) lgkmcnt(0)
	v_mul_f64 v[176:177], v[2:3], v[40:41]
	v_mul_f64 v[40:41], v[4:5], v[40:41]
	v_add_f64 v[91:92], v[91:92], v[65:66]
	v_add_f64 v[69:70], v[69:70], v[67:68]
	ds_load_b128 v[65:68], v1 offset:1728
	v_fma_f64 v[63:64], v[63:64], v[57:58], v[170:171]
	v_fma_f64 v[61:62], v[61:62], v[57:58], -v[59:60]
	scratch_load_b128 v[57:60], off, off offset:880
	v_add_f64 v[91:92], v[91:92], v[174:175]
	v_add_f64 v[69:70], v[69:70], v[172:173]
	v_fma_f64 v[172:173], v[4:5], v[38:39], v[176:177]
	;; [unrolled: 18-line block ×4, first 2 shown]
	v_fma_f64 v[174:175], v[2:3], v[18:19], -v[20:21]
	scratch_load_b128 v[18:21], off, off offset:960
	ds_load_b128 v[2:5], v1 offset:1808
	s_waitcnt vmcnt(9) lgkmcnt(1)
	v_mul_f64 v[170:171], v[65:66], v[24:25]
	v_mul_f64 v[24:25], v[67:68], v[24:25]
	s_waitcnt vmcnt(8) lgkmcnt(0)
	v_mul_f64 v[176:177], v[2:3], v[28:29]
	v_mul_f64 v[28:29], v[4:5], v[28:29]
	v_add_f64 v[91:92], v[91:92], v[61:62]
	v_add_f64 v[69:70], v[69:70], v[63:64]
	ds_load_b128 v[61:64], v1 offset:1824
	v_fma_f64 v[67:68], v[67:68], v[22:23], v[170:171]
	v_fma_f64 v[22:23], v[65:66], v[22:23], -v[24:25]
	v_add_f64 v[24:25], v[91:92], v[174:175]
	v_add_f64 v[65:66], v[69:70], v[172:173]
	s_waitcnt vmcnt(7) lgkmcnt(0)
	v_mul_f64 v[69:70], v[61:62], v[32:33]
	v_mul_f64 v[32:33], v[63:64], v[32:33]
	v_fma_f64 v[91:92], v[4:5], v[26:27], v[176:177]
	v_fma_f64 v[26:27], v[2:3], v[26:27], -v[28:29]
	v_add_f64 v[28:29], v[24:25], v[22:23]
	v_add_f64 v[65:66], v[65:66], v[67:68]
	ds_load_b128 v[2:5], v1 offset:1840
	ds_load_b128 v[22:25], v1 offset:1856
	v_fma_f64 v[63:64], v[63:64], v[30:31], v[69:70]
	v_fma_f64 v[30:31], v[61:62], v[30:31], -v[32:33]
	s_waitcnt vmcnt(6) lgkmcnt(1)
	v_mul_f64 v[67:68], v[2:3], v[36:37]
	v_mul_f64 v[36:37], v[4:5], v[36:37]
	s_waitcnt vmcnt(5) lgkmcnt(0)
	v_mul_f64 v[32:33], v[22:23], v[59:60]
	v_mul_f64 v[59:60], v[24:25], v[59:60]
	v_add_f64 v[26:27], v[28:29], v[26:27]
	v_add_f64 v[28:29], v[65:66], v[91:92]
	v_fma_f64 v[61:62], v[4:5], v[34:35], v[67:68]
	v_fma_f64 v[34:35], v[2:3], v[34:35], -v[36:37]
	v_fma_f64 v[24:25], v[24:25], v[57:58], v[32:33]
	v_fma_f64 v[22:23], v[22:23], v[57:58], -v[59:60]
	v_add_f64 v[30:31], v[26:27], v[30:31]
	v_add_f64 v[36:37], v[28:29], v[63:64]
	ds_load_b128 v[2:5], v1 offset:1872
	ds_load_b128 v[26:29], v1 offset:1888
	s_waitcnt vmcnt(4) lgkmcnt(1)
	v_mul_f64 v[63:64], v[2:3], v[40:41]
	v_mul_f64 v[40:41], v[4:5], v[40:41]
	v_add_f64 v[30:31], v[30:31], v[34:35]
	v_add_f64 v[32:33], v[36:37], v[61:62]
	s_waitcnt vmcnt(3) lgkmcnt(0)
	v_mul_f64 v[34:35], v[26:27], v[8:9]
	v_mul_f64 v[8:9], v[28:29], v[8:9]
	v_fma_f64 v[36:37], v[4:5], v[38:39], v[63:64]
	v_fma_f64 v[38:39], v[2:3], v[38:39], -v[40:41]
	v_add_f64 v[30:31], v[30:31], v[22:23]
	v_add_f64 v[32:33], v[32:33], v[24:25]
	ds_load_b128 v[2:5], v1 offset:1904
	ds_load_b128 v[22:25], v1 offset:1920
	v_fma_f64 v[28:29], v[28:29], v[6:7], v[34:35]
	v_fma_f64 v[6:7], v[26:27], v[6:7], -v[8:9]
	s_waitcnt vmcnt(2) lgkmcnt(1)
	v_mul_f64 v[40:41], v[2:3], v[12:13]
	v_mul_f64 v[12:13], v[4:5], v[12:13]
	v_add_f64 v[8:9], v[30:31], v[38:39]
	v_add_f64 v[26:27], v[32:33], v[36:37]
	s_waitcnt vmcnt(1) lgkmcnt(0)
	v_mul_f64 v[30:31], v[22:23], v[16:17]
	v_mul_f64 v[16:17], v[24:25], v[16:17]
	v_fma_f64 v[32:33], v[4:5], v[10:11], v[40:41]
	v_fma_f64 v[10:11], v[2:3], v[10:11], -v[12:13]
	ds_load_b128 v[2:5], v1 offset:1936
	v_add_f64 v[6:7], v[8:9], v[6:7]
	v_add_f64 v[8:9], v[26:27], v[28:29]
	v_fma_f64 v[24:25], v[24:25], v[14:15], v[30:31]
	v_fma_f64 v[14:15], v[22:23], v[14:15], -v[16:17]
	s_waitcnt vmcnt(0) lgkmcnt(0)
	v_mul_f64 v[12:13], v[2:3], v[20:21]
	v_mul_f64 v[20:21], v[4:5], v[20:21]
	v_add_f64 v[6:7], v[6:7], v[10:11]
	v_add_f64 v[8:9], v[8:9], v[32:33]
	s_delay_alu instid0(VALU_DEP_4) | instskip(NEXT) | instid1(VALU_DEP_4)
	v_fma_f64 v[4:5], v[4:5], v[18:19], v[12:13]
	v_fma_f64 v[2:3], v[2:3], v[18:19], -v[20:21]
	s_delay_alu instid0(VALU_DEP_4) | instskip(NEXT) | instid1(VALU_DEP_4)
	v_add_f64 v[6:7], v[6:7], v[14:15]
	v_add_f64 v[8:9], v[8:9], v[24:25]
	s_delay_alu instid0(VALU_DEP_2) | instskip(NEXT) | instid1(VALU_DEP_2)
	v_add_f64 v[2:3], v[6:7], v[2:3]
	v_add_f64 v[4:5], v[8:9], v[4:5]
	s_delay_alu instid0(VALU_DEP_2) | instskip(NEXT) | instid1(VALU_DEP_2)
	v_add_f64 v[2:3], v[42:43], -v[2:3]
	v_add_f64 v[4:5], v[44:45], -v[4:5]
	scratch_store_b128 off, v[2:5], off offset:400
	v_cmpx_lt_u32_e32 24, v169
	s_cbranch_execz .LBB124_343
; %bb.342:
	scratch_load_b32 v2, off, off offset:1004 ; 4-byte Folded Reload
	v_mov_b32_e32 v3, v1
	v_mov_b32_e32 v4, v1
	s_waitcnt vmcnt(0)
	scratch_load_b128 v[5:8], v2, off
	v_mov_b32_e32 v2, v1
	scratch_store_b128 off, v[1:4], off offset:384
	s_waitcnt vmcnt(0)
	ds_store_b128 v229, v[5:8]
.LBB124_343:
	s_or_b32 exec_lo, exec_lo, s2
	s_waitcnt lgkmcnt(0)
	s_waitcnt_vscnt null, 0x0
	s_barrier
	buffer_gl0_inv
	s_clause 0x8
	scratch_load_b128 v[2:5], off, off offset:400
	scratch_load_b128 v[6:9], off, off offset:416
	;; [unrolled: 1-line block ×9, first 2 shown]
	ds_load_b128 v[42:45], v1 offset:1376
	ds_load_b128 v[38:41], v1 offset:1392
	s_clause 0x1
	scratch_load_b128 v[57:60], off, off offset:384
	scratch_load_b128 v[61:64], off, off offset:544
	s_mov_b32 s2, exec_lo
	s_waitcnt vmcnt(10) lgkmcnt(1)
	v_mul_f64 v[65:66], v[44:45], v[4:5]
	v_mul_f64 v[4:5], v[42:43], v[4:5]
	s_waitcnt vmcnt(9) lgkmcnt(0)
	v_mul_f64 v[69:70], v[38:39], v[8:9]
	v_mul_f64 v[8:9], v[40:41], v[8:9]
	s_delay_alu instid0(VALU_DEP_4) | instskip(NEXT) | instid1(VALU_DEP_4)
	v_fma_f64 v[91:92], v[42:43], v[2:3], -v[65:66]
	v_fma_f64 v[170:171], v[44:45], v[2:3], v[4:5]
	ds_load_b128 v[2:5], v1 offset:1408
	ds_load_b128 v[65:68], v1 offset:1424
	scratch_load_b128 v[42:45], off, off offset:560
	v_fma_f64 v[40:41], v[40:41], v[6:7], v[69:70]
	v_fma_f64 v[38:39], v[38:39], v[6:7], -v[8:9]
	scratch_load_b128 v[6:9], off, off offset:576
	s_waitcnt vmcnt(10) lgkmcnt(1)
	v_mul_f64 v[172:173], v[2:3], v[12:13]
	v_mul_f64 v[12:13], v[4:5], v[12:13]
	v_add_f64 v[69:70], v[91:92], 0
	v_add_f64 v[91:92], v[170:171], 0
	s_waitcnt vmcnt(9) lgkmcnt(0)
	v_mul_f64 v[170:171], v[65:66], v[16:17]
	v_mul_f64 v[16:17], v[67:68], v[16:17]
	v_fma_f64 v[172:173], v[4:5], v[10:11], v[172:173]
	v_fma_f64 v[174:175], v[2:3], v[10:11], -v[12:13]
	ds_load_b128 v[2:5], v1 offset:1440
	scratch_load_b128 v[10:13], off, off offset:592
	v_add_f64 v[69:70], v[69:70], v[38:39]
	v_add_f64 v[91:92], v[91:92], v[40:41]
	ds_load_b128 v[38:41], v1 offset:1456
	v_fma_f64 v[67:68], v[67:68], v[14:15], v[170:171]
	v_fma_f64 v[65:66], v[65:66], v[14:15], -v[16:17]
	scratch_load_b128 v[14:17], off, off offset:608
	s_waitcnt vmcnt(10) lgkmcnt(1)
	v_mul_f64 v[176:177], v[2:3], v[20:21]
	v_mul_f64 v[20:21], v[4:5], v[20:21]
	s_waitcnt vmcnt(9) lgkmcnt(0)
	v_mul_f64 v[170:171], v[38:39], v[24:25]
	v_mul_f64 v[24:25], v[40:41], v[24:25]
	v_add_f64 v[69:70], v[69:70], v[174:175]
	v_add_f64 v[91:92], v[91:92], v[172:173]
	v_fma_f64 v[172:173], v[4:5], v[18:19], v[176:177]
	v_fma_f64 v[174:175], v[2:3], v[18:19], -v[20:21]
	ds_load_b128 v[2:5], v1 offset:1472
	scratch_load_b128 v[18:21], off, off offset:624
	v_fma_f64 v[40:41], v[40:41], v[22:23], v[170:171]
	v_fma_f64 v[38:39], v[38:39], v[22:23], -v[24:25]
	scratch_load_b128 v[22:25], off, off offset:640
	v_add_f64 v[69:70], v[69:70], v[65:66]
	v_add_f64 v[91:92], v[91:92], v[67:68]
	ds_load_b128 v[65:68], v1 offset:1488
	s_waitcnt vmcnt(10) lgkmcnt(1)
	v_mul_f64 v[176:177], v[2:3], v[28:29]
	v_mul_f64 v[28:29], v[4:5], v[28:29]
	s_waitcnt vmcnt(9) lgkmcnt(0)
	v_mul_f64 v[170:171], v[65:66], v[32:33]
	v_mul_f64 v[32:33], v[67:68], v[32:33]
	v_add_f64 v[69:70], v[69:70], v[174:175]
	v_add_f64 v[91:92], v[91:92], v[172:173]
	v_fma_f64 v[172:173], v[4:5], v[26:27], v[176:177]
	v_fma_f64 v[174:175], v[2:3], v[26:27], -v[28:29]
	ds_load_b128 v[2:5], v1 offset:1504
	scratch_load_b128 v[26:29], off, off offset:656
	v_fma_f64 v[67:68], v[67:68], v[30:31], v[170:171]
	v_fma_f64 v[65:66], v[65:66], v[30:31], -v[32:33]
	scratch_load_b128 v[30:33], off, off offset:672
	v_add_f64 v[69:70], v[69:70], v[38:39]
	v_add_f64 v[91:92], v[91:92], v[40:41]
	ds_load_b128 v[38:41], v1 offset:1520
	s_waitcnt vmcnt(10) lgkmcnt(1)
	v_mul_f64 v[176:177], v[2:3], v[36:37]
	v_mul_f64 v[36:37], v[4:5], v[36:37]
	s_waitcnt vmcnt(8) lgkmcnt(0)
	v_mul_f64 v[170:171], v[38:39], v[63:64]
	v_add_f64 v[69:70], v[69:70], v[174:175]
	v_add_f64 v[91:92], v[91:92], v[172:173]
	v_mul_f64 v[172:173], v[40:41], v[63:64]
	v_fma_f64 v[174:175], v[4:5], v[34:35], v[176:177]
	v_fma_f64 v[176:177], v[2:3], v[34:35], -v[36:37]
	ds_load_b128 v[2:5], v1 offset:1536
	scratch_load_b128 v[34:37], off, off offset:688
	v_fma_f64 v[170:171], v[40:41], v[61:62], v[170:171]
	v_add_f64 v[69:70], v[69:70], v[65:66]
	v_add_f64 v[67:68], v[91:92], v[67:68]
	ds_load_b128 v[63:66], v1 offset:1552
	v_fma_f64 v[61:62], v[38:39], v[61:62], -v[172:173]
	scratch_load_b128 v[38:41], off, off offset:704
	s_waitcnt vmcnt(9) lgkmcnt(1)
	v_mul_f64 v[91:92], v[2:3], v[44:45]
	v_mul_f64 v[44:45], v[4:5], v[44:45]
	s_waitcnt vmcnt(8) lgkmcnt(0)
	v_mul_f64 v[172:173], v[63:64], v[8:9]
	v_mul_f64 v[8:9], v[65:66], v[8:9]
	v_add_f64 v[69:70], v[69:70], v[176:177]
	v_add_f64 v[67:68], v[67:68], v[174:175]
	v_fma_f64 v[91:92], v[4:5], v[42:43], v[91:92]
	v_fma_f64 v[174:175], v[2:3], v[42:43], -v[44:45]
	ds_load_b128 v[2:5], v1 offset:1568
	scratch_load_b128 v[42:45], off, off offset:720
	v_fma_f64 v[65:66], v[65:66], v[6:7], v[172:173]
	v_fma_f64 v[63:64], v[63:64], v[6:7], -v[8:9]
	scratch_load_b128 v[6:9], off, off offset:736
	v_add_f64 v[61:62], v[69:70], v[61:62]
	v_add_f64 v[170:171], v[67:68], v[170:171]
	ds_load_b128 v[67:70], v1 offset:1584
	s_waitcnt vmcnt(9) lgkmcnt(1)
	v_mul_f64 v[176:177], v[2:3], v[12:13]
	v_mul_f64 v[12:13], v[4:5], v[12:13]
	v_add_f64 v[61:62], v[61:62], v[174:175]
	v_add_f64 v[91:92], v[170:171], v[91:92]
	s_waitcnt vmcnt(8) lgkmcnt(0)
	v_mul_f64 v[170:171], v[67:68], v[16:17]
	v_mul_f64 v[16:17], v[69:70], v[16:17]
	v_fma_f64 v[172:173], v[4:5], v[10:11], v[176:177]
	v_fma_f64 v[174:175], v[2:3], v[10:11], -v[12:13]
	ds_load_b128 v[2:5], v1 offset:1600
	scratch_load_b128 v[10:13], off, off offset:752
	v_add_f64 v[176:177], v[61:62], v[63:64]
	v_add_f64 v[65:66], v[91:92], v[65:66]
	ds_load_b128 v[61:64], v1 offset:1616
	s_waitcnt vmcnt(8) lgkmcnt(1)
	v_mul_f64 v[91:92], v[2:3], v[20:21]
	v_mul_f64 v[20:21], v[4:5], v[20:21]
	v_fma_f64 v[69:70], v[69:70], v[14:15], v[170:171]
	v_fma_f64 v[67:68], v[67:68], v[14:15], -v[16:17]
	scratch_load_b128 v[14:17], off, off offset:768
	v_add_f64 v[170:171], v[176:177], v[174:175]
	v_add_f64 v[65:66], v[65:66], v[172:173]
	s_waitcnt vmcnt(8) lgkmcnt(0)
	v_mul_f64 v[172:173], v[61:62], v[24:25]
	v_mul_f64 v[24:25], v[63:64], v[24:25]
	v_fma_f64 v[91:92], v[4:5], v[18:19], v[91:92]
	v_fma_f64 v[174:175], v[2:3], v[18:19], -v[20:21]
	ds_load_b128 v[2:5], v1 offset:1632
	scratch_load_b128 v[18:21], off, off offset:784
	v_add_f64 v[170:171], v[170:171], v[67:68]
	v_add_f64 v[69:70], v[65:66], v[69:70]
	ds_load_b128 v[65:68], v1 offset:1648
	s_waitcnt vmcnt(8) lgkmcnt(1)
	v_mul_f64 v[176:177], v[2:3], v[28:29]
	v_mul_f64 v[28:29], v[4:5], v[28:29]
	v_fma_f64 v[63:64], v[63:64], v[22:23], v[172:173]
	v_fma_f64 v[61:62], v[61:62], v[22:23], -v[24:25]
	scratch_load_b128 v[22:25], off, off offset:800
	v_add_f64 v[170:171], v[170:171], v[174:175]
	v_add_f64 v[69:70], v[69:70], v[91:92]
	s_waitcnt vmcnt(8) lgkmcnt(0)
	v_mul_f64 v[91:92], v[65:66], v[32:33]
	v_mul_f64 v[32:33], v[67:68], v[32:33]
	v_fma_f64 v[172:173], v[4:5], v[26:27], v[176:177]
	v_fma_f64 v[174:175], v[2:3], v[26:27], -v[28:29]
	ds_load_b128 v[2:5], v1 offset:1664
	scratch_load_b128 v[26:29], off, off offset:816
	v_add_f64 v[170:171], v[170:171], v[61:62]
	v_add_f64 v[69:70], v[69:70], v[63:64]
	ds_load_b128 v[61:64], v1 offset:1680
	s_waitcnt vmcnt(8) lgkmcnt(1)
	v_mul_f64 v[176:177], v[2:3], v[36:37]
	v_mul_f64 v[36:37], v[4:5], v[36:37]
	v_fma_f64 v[67:68], v[67:68], v[30:31], v[91:92]
	v_fma_f64 v[65:66], v[65:66], v[30:31], -v[32:33]
	scratch_load_b128 v[30:33], off, off offset:832
	v_add_f64 v[91:92], v[170:171], v[174:175]
	v_add_f64 v[69:70], v[69:70], v[172:173]
	s_waitcnt vmcnt(8) lgkmcnt(0)
	v_mul_f64 v[170:171], v[61:62], v[40:41]
	v_mul_f64 v[40:41], v[63:64], v[40:41]
	v_fma_f64 v[172:173], v[4:5], v[34:35], v[176:177]
	v_fma_f64 v[174:175], v[2:3], v[34:35], -v[36:37]
	ds_load_b128 v[2:5], v1 offset:1696
	scratch_load_b128 v[34:37], off, off offset:848
	v_add_f64 v[91:92], v[91:92], v[65:66]
	v_add_f64 v[69:70], v[69:70], v[67:68]
	ds_load_b128 v[65:68], v1 offset:1712
	s_waitcnt vmcnt(8) lgkmcnt(1)
	v_mul_f64 v[176:177], v[2:3], v[44:45]
	v_mul_f64 v[44:45], v[4:5], v[44:45]
	v_fma_f64 v[63:64], v[63:64], v[38:39], v[170:171]
	v_fma_f64 v[61:62], v[61:62], v[38:39], -v[40:41]
	scratch_load_b128 v[38:41], off, off offset:864
	s_waitcnt vmcnt(8) lgkmcnt(0)
	v_mul_f64 v[170:171], v[65:66], v[8:9]
	v_mul_f64 v[8:9], v[67:68], v[8:9]
	v_add_f64 v[91:92], v[91:92], v[174:175]
	v_add_f64 v[69:70], v[69:70], v[172:173]
	v_fma_f64 v[172:173], v[4:5], v[42:43], v[176:177]
	v_fma_f64 v[174:175], v[2:3], v[42:43], -v[44:45]
	ds_load_b128 v[2:5], v1 offset:1728
	scratch_load_b128 v[42:45], off, off offset:880
	v_fma_f64 v[67:68], v[67:68], v[6:7], v[170:171]
	v_fma_f64 v[65:66], v[65:66], v[6:7], -v[8:9]
	scratch_load_b128 v[6:9], off, off offset:896
	v_add_f64 v[91:92], v[91:92], v[61:62]
	v_add_f64 v[69:70], v[69:70], v[63:64]
	ds_load_b128 v[61:64], v1 offset:1744
	s_waitcnt vmcnt(9) lgkmcnt(1)
	v_mul_f64 v[176:177], v[2:3], v[12:13]
	v_mul_f64 v[12:13], v[4:5], v[12:13]
	s_waitcnt vmcnt(8) lgkmcnt(0)
	v_mul_f64 v[170:171], v[61:62], v[16:17]
	v_mul_f64 v[16:17], v[63:64], v[16:17]
	v_add_f64 v[91:92], v[91:92], v[174:175]
	v_add_f64 v[69:70], v[69:70], v[172:173]
	v_fma_f64 v[172:173], v[4:5], v[10:11], v[176:177]
	v_fma_f64 v[174:175], v[2:3], v[10:11], -v[12:13]
	ds_load_b128 v[2:5], v1 offset:1760
	scratch_load_b128 v[10:13], off, off offset:912
	v_fma_f64 v[63:64], v[63:64], v[14:15], v[170:171]
	v_fma_f64 v[61:62], v[61:62], v[14:15], -v[16:17]
	scratch_load_b128 v[14:17], off, off offset:928
	v_add_f64 v[91:92], v[91:92], v[65:66]
	v_add_f64 v[69:70], v[69:70], v[67:68]
	ds_load_b128 v[65:68], v1 offset:1776
	s_waitcnt vmcnt(9) lgkmcnt(1)
	v_mul_f64 v[176:177], v[2:3], v[20:21]
	v_mul_f64 v[20:21], v[4:5], v[20:21]
	;; [unrolled: 18-line block ×3, first 2 shown]
	s_waitcnt vmcnt(8) lgkmcnt(0)
	v_mul_f64 v[170:171], v[61:62], v[32:33]
	v_mul_f64 v[32:33], v[63:64], v[32:33]
	v_add_f64 v[91:92], v[91:92], v[174:175]
	v_add_f64 v[69:70], v[69:70], v[172:173]
	v_fma_f64 v[172:173], v[4:5], v[26:27], v[176:177]
	v_fma_f64 v[174:175], v[2:3], v[26:27], -v[28:29]
	ds_load_b128 v[2:5], v1 offset:1824
	ds_load_b128 v[26:29], v1 offset:1840
	v_fma_f64 v[63:64], v[63:64], v[30:31], v[170:171]
	v_fma_f64 v[30:31], v[61:62], v[30:31], -v[32:33]
	v_add_f64 v[65:66], v[91:92], v[65:66]
	v_add_f64 v[67:68], v[69:70], v[67:68]
	s_waitcnt vmcnt(7) lgkmcnt(1)
	v_mul_f64 v[69:70], v[2:3], v[36:37]
	v_mul_f64 v[36:37], v[4:5], v[36:37]
	s_delay_alu instid0(VALU_DEP_4) | instskip(NEXT) | instid1(VALU_DEP_4)
	v_add_f64 v[32:33], v[65:66], v[174:175]
	v_add_f64 v[61:62], v[67:68], v[172:173]
	s_waitcnt vmcnt(6) lgkmcnt(0)
	v_mul_f64 v[65:66], v[26:27], v[40:41]
	v_mul_f64 v[40:41], v[28:29], v[40:41]
	v_fma_f64 v[67:68], v[4:5], v[34:35], v[69:70]
	v_fma_f64 v[34:35], v[2:3], v[34:35], -v[36:37]
	v_add_f64 v[36:37], v[32:33], v[30:31]
	v_add_f64 v[61:62], v[61:62], v[63:64]
	ds_load_b128 v[2:5], v1 offset:1856
	ds_load_b128 v[30:33], v1 offset:1872
	v_fma_f64 v[28:29], v[28:29], v[38:39], v[65:66]
	v_fma_f64 v[26:27], v[26:27], v[38:39], -v[40:41]
	s_waitcnt vmcnt(5) lgkmcnt(1)
	v_mul_f64 v[63:64], v[2:3], v[44:45]
	v_mul_f64 v[44:45], v[4:5], v[44:45]
	s_waitcnt vmcnt(4) lgkmcnt(0)
	v_mul_f64 v[38:39], v[30:31], v[8:9]
	v_mul_f64 v[8:9], v[32:33], v[8:9]
	v_add_f64 v[34:35], v[36:37], v[34:35]
	v_add_f64 v[36:37], v[61:62], v[67:68]
	v_fma_f64 v[40:41], v[4:5], v[42:43], v[63:64]
	v_fma_f64 v[42:43], v[2:3], v[42:43], -v[44:45]
	v_fma_f64 v[32:33], v[32:33], v[6:7], v[38:39]
	v_fma_f64 v[6:7], v[30:31], v[6:7], -v[8:9]
	v_add_f64 v[34:35], v[34:35], v[26:27]
	v_add_f64 v[36:37], v[36:37], v[28:29]
	ds_load_b128 v[2:5], v1 offset:1888
	ds_load_b128 v[26:29], v1 offset:1904
	s_waitcnt vmcnt(3) lgkmcnt(1)
	v_mul_f64 v[44:45], v[2:3], v[12:13]
	v_mul_f64 v[12:13], v[4:5], v[12:13]
	v_add_f64 v[8:9], v[34:35], v[42:43]
	v_add_f64 v[30:31], v[36:37], v[40:41]
	s_waitcnt vmcnt(2) lgkmcnt(0)
	v_mul_f64 v[34:35], v[26:27], v[16:17]
	v_mul_f64 v[16:17], v[28:29], v[16:17]
	v_fma_f64 v[36:37], v[4:5], v[10:11], v[44:45]
	v_fma_f64 v[10:11], v[2:3], v[10:11], -v[12:13]
	v_add_f64 v[12:13], v[8:9], v[6:7]
	v_add_f64 v[30:31], v[30:31], v[32:33]
	ds_load_b128 v[2:5], v1 offset:1920
	ds_load_b128 v[6:9], v1 offset:1936
	v_fma_f64 v[28:29], v[28:29], v[14:15], v[34:35]
	v_fma_f64 v[14:15], v[26:27], v[14:15], -v[16:17]
	s_waitcnt vmcnt(1) lgkmcnt(1)
	v_mul_f64 v[32:33], v[2:3], v[20:21]
	v_mul_f64 v[20:21], v[4:5], v[20:21]
	s_waitcnt vmcnt(0) lgkmcnt(0)
	v_mul_f64 v[16:17], v[6:7], v[24:25]
	v_mul_f64 v[24:25], v[8:9], v[24:25]
	v_add_f64 v[10:11], v[12:13], v[10:11]
	v_add_f64 v[12:13], v[30:31], v[36:37]
	v_fma_f64 v[4:5], v[4:5], v[18:19], v[32:33]
	v_fma_f64 v[1:2], v[2:3], v[18:19], -v[20:21]
	v_fma_f64 v[8:9], v[8:9], v[22:23], v[16:17]
	v_fma_f64 v[6:7], v[6:7], v[22:23], -v[24:25]
	v_add_f64 v[10:11], v[10:11], v[14:15]
	v_add_f64 v[12:13], v[12:13], v[28:29]
	s_delay_alu instid0(VALU_DEP_2) | instskip(NEXT) | instid1(VALU_DEP_2)
	v_add_f64 v[1:2], v[10:11], v[1:2]
	v_add_f64 v[3:4], v[12:13], v[4:5]
	s_delay_alu instid0(VALU_DEP_2) | instskip(NEXT) | instid1(VALU_DEP_2)
	;; [unrolled: 3-line block ×3, first 2 shown]
	v_add_f64 v[1:2], v[57:58], -v[1:2]
	v_add_f64 v[3:4], v[59:60], -v[3:4]
	scratch_store_b128 off, v[1:4], off offset:384
	v_cmpx_lt_u32_e32 23, v169
	s_cbranch_execz .LBB124_345
; %bb.344:
	scratch_load_b32 v1, off, off offset:1008 ; 4-byte Folded Reload
	v_mov_b32_e32 v5, 0
	s_delay_alu instid0(VALU_DEP_1)
	v_mov_b32_e32 v6, v5
	v_mov_b32_e32 v7, v5
	;; [unrolled: 1-line block ×3, first 2 shown]
	s_waitcnt vmcnt(0)
	scratch_load_b128 v[1:4], v1, off
	scratch_store_b128 off, v[5:8], off offset:368
	s_waitcnt vmcnt(0)
	ds_store_b128 v229, v[1:4]
.LBB124_345:
	s_or_b32 exec_lo, exec_lo, s2
	s_waitcnt lgkmcnt(0)
	s_waitcnt_vscnt null, 0x0
	s_barrier
	buffer_gl0_inv
	s_clause 0x7
	scratch_load_b128 v[2:5], off, off offset:384
	scratch_load_b128 v[6:9], off, off offset:400
	;; [unrolled: 1-line block ×8, first 2 shown]
	v_mov_b32_e32 v1, 0
	s_mov_b32 s2, exec_lo
	ds_load_b128 v[38:41], v1 offset:1360
	s_clause 0x1
	scratch_load_b128 v[34:37], off, off offset:512
	scratch_load_b128 v[42:45], off, off offset:368
	ds_load_b128 v[57:60], v1 offset:1376
	scratch_load_b128 v[61:64], off, off offset:528
	s_waitcnt vmcnt(10) lgkmcnt(1)
	v_mul_f64 v[65:66], v[40:41], v[4:5]
	v_mul_f64 v[4:5], v[38:39], v[4:5]
	s_delay_alu instid0(VALU_DEP_2) | instskip(NEXT) | instid1(VALU_DEP_2)
	v_fma_f64 v[91:92], v[38:39], v[2:3], -v[65:66]
	v_fma_f64 v[170:171], v[40:41], v[2:3], v[4:5]
	scratch_load_b128 v[38:41], off, off offset:544
	ds_load_b128 v[2:5], v1 offset:1392
	s_waitcnt vmcnt(10) lgkmcnt(1)
	v_mul_f64 v[69:70], v[57:58], v[8:9]
	v_mul_f64 v[8:9], v[59:60], v[8:9]
	ds_load_b128 v[65:68], v1 offset:1408
	s_waitcnt vmcnt(9) lgkmcnt(1)
	v_mul_f64 v[172:173], v[2:3], v[12:13]
	v_mul_f64 v[12:13], v[4:5], v[12:13]
	v_fma_f64 v[59:60], v[59:60], v[6:7], v[69:70]
	v_fma_f64 v[57:58], v[57:58], v[6:7], -v[8:9]
	v_add_f64 v[69:70], v[91:92], 0
	v_add_f64 v[91:92], v[170:171], 0
	scratch_load_b128 v[6:9], off, off offset:560
	v_fma_f64 v[172:173], v[4:5], v[10:11], v[172:173]
	v_fma_f64 v[174:175], v[2:3], v[10:11], -v[12:13]
	scratch_load_b128 v[10:13], off, off offset:576
	ds_load_b128 v[2:5], v1 offset:1424
	s_waitcnt vmcnt(10) lgkmcnt(1)
	v_mul_f64 v[170:171], v[65:66], v[16:17]
	v_mul_f64 v[16:17], v[67:68], v[16:17]
	v_add_f64 v[69:70], v[69:70], v[57:58]
	v_add_f64 v[91:92], v[91:92], v[59:60]
	s_waitcnt vmcnt(9) lgkmcnt(0)
	v_mul_f64 v[176:177], v[2:3], v[20:21]
	v_mul_f64 v[20:21], v[4:5], v[20:21]
	ds_load_b128 v[57:60], v1 offset:1440
	v_fma_f64 v[67:68], v[67:68], v[14:15], v[170:171]
	v_fma_f64 v[65:66], v[65:66], v[14:15], -v[16:17]
	scratch_load_b128 v[14:17], off, off offset:592
	v_add_f64 v[69:70], v[69:70], v[174:175]
	v_add_f64 v[91:92], v[91:92], v[172:173]
	v_fma_f64 v[172:173], v[4:5], v[18:19], v[176:177]
	v_fma_f64 v[174:175], v[2:3], v[18:19], -v[20:21]
	scratch_load_b128 v[18:21], off, off offset:608
	ds_load_b128 v[2:5], v1 offset:1456
	s_waitcnt vmcnt(10) lgkmcnt(1)
	v_mul_f64 v[170:171], v[57:58], v[24:25]
	v_mul_f64 v[24:25], v[59:60], v[24:25]
	s_waitcnt vmcnt(9) lgkmcnt(0)
	v_mul_f64 v[176:177], v[2:3], v[28:29]
	v_mul_f64 v[28:29], v[4:5], v[28:29]
	v_add_f64 v[69:70], v[69:70], v[65:66]
	v_add_f64 v[91:92], v[91:92], v[67:68]
	ds_load_b128 v[65:68], v1 offset:1472
	v_fma_f64 v[59:60], v[59:60], v[22:23], v[170:171]
	v_fma_f64 v[57:58], v[57:58], v[22:23], -v[24:25]
	scratch_load_b128 v[22:25], off, off offset:624
	v_add_f64 v[69:70], v[69:70], v[174:175]
	v_add_f64 v[91:92], v[91:92], v[172:173]
	v_fma_f64 v[172:173], v[4:5], v[26:27], v[176:177]
	v_fma_f64 v[174:175], v[2:3], v[26:27], -v[28:29]
	scratch_load_b128 v[26:29], off, off offset:640
	ds_load_b128 v[2:5], v1 offset:1488
	s_waitcnt vmcnt(10) lgkmcnt(1)
	v_mul_f64 v[170:171], v[65:66], v[32:33]
	v_mul_f64 v[32:33], v[67:68], v[32:33]
	s_waitcnt vmcnt(9) lgkmcnt(0)
	v_mul_f64 v[176:177], v[2:3], v[36:37]
	v_mul_f64 v[36:37], v[4:5], v[36:37]
	v_add_f64 v[69:70], v[69:70], v[57:58]
	v_add_f64 v[91:92], v[91:92], v[59:60]
	ds_load_b128 v[57:60], v1 offset:1504
	v_fma_f64 v[67:68], v[67:68], v[30:31], v[170:171]
	v_fma_f64 v[65:66], v[65:66], v[30:31], -v[32:33]
	scratch_load_b128 v[30:33], off, off offset:656
	v_add_f64 v[69:70], v[69:70], v[174:175]
	v_add_f64 v[91:92], v[91:92], v[172:173]
	v_fma_f64 v[174:175], v[4:5], v[34:35], v[176:177]
	v_fma_f64 v[176:177], v[2:3], v[34:35], -v[36:37]
	scratch_load_b128 v[34:37], off, off offset:672
	ds_load_b128 v[2:5], v1 offset:1520
	s_waitcnt vmcnt(9) lgkmcnt(1)
	v_mul_f64 v[170:171], v[57:58], v[63:64]
	v_mul_f64 v[172:173], v[59:60], v[63:64]
	v_add_f64 v[69:70], v[69:70], v[65:66]
	v_add_f64 v[67:68], v[91:92], v[67:68]
	ds_load_b128 v[63:66], v1 offset:1536
	v_fma_f64 v[170:171], v[59:60], v[61:62], v[170:171]
	v_fma_f64 v[61:62], v[57:58], v[61:62], -v[172:173]
	scratch_load_b128 v[57:60], off, off offset:688
	s_waitcnt vmcnt(9) lgkmcnt(1)
	v_mul_f64 v[91:92], v[2:3], v[40:41]
	v_mul_f64 v[40:41], v[4:5], v[40:41]
	v_add_f64 v[69:70], v[69:70], v[176:177]
	v_add_f64 v[67:68], v[67:68], v[174:175]
	s_delay_alu instid0(VALU_DEP_4) | instskip(NEXT) | instid1(VALU_DEP_4)
	v_fma_f64 v[91:92], v[4:5], v[38:39], v[91:92]
	v_fma_f64 v[174:175], v[2:3], v[38:39], -v[40:41]
	scratch_load_b128 v[38:41], off, off offset:704
	ds_load_b128 v[2:5], v1 offset:1552
	s_waitcnt vmcnt(9) lgkmcnt(1)
	v_mul_f64 v[172:173], v[63:64], v[8:9]
	v_mul_f64 v[8:9], v[65:66], v[8:9]
	s_waitcnt vmcnt(8) lgkmcnt(0)
	v_mul_f64 v[176:177], v[2:3], v[12:13]
	v_mul_f64 v[12:13], v[4:5], v[12:13]
	v_add_f64 v[61:62], v[69:70], v[61:62]
	v_add_f64 v[170:171], v[67:68], v[170:171]
	ds_load_b128 v[67:70], v1 offset:1568
	v_fma_f64 v[65:66], v[65:66], v[6:7], v[172:173]
	v_fma_f64 v[63:64], v[63:64], v[6:7], -v[8:9]
	scratch_load_b128 v[6:9], off, off offset:720
	v_fma_f64 v[172:173], v[4:5], v[10:11], v[176:177]
	v_add_f64 v[61:62], v[61:62], v[174:175]
	v_add_f64 v[91:92], v[170:171], v[91:92]
	v_fma_f64 v[174:175], v[2:3], v[10:11], -v[12:13]
	scratch_load_b128 v[10:13], off, off offset:736
	ds_load_b128 v[2:5], v1 offset:1584
	s_waitcnt vmcnt(9) lgkmcnt(1)
	v_mul_f64 v[170:171], v[67:68], v[16:17]
	v_mul_f64 v[16:17], v[69:70], v[16:17]
	v_add_f64 v[176:177], v[61:62], v[63:64]
	v_add_f64 v[65:66], v[91:92], v[65:66]
	s_waitcnt vmcnt(8) lgkmcnt(0)
	v_mul_f64 v[91:92], v[2:3], v[20:21]
	v_mul_f64 v[20:21], v[4:5], v[20:21]
	ds_load_b128 v[61:64], v1 offset:1600
	v_fma_f64 v[69:70], v[69:70], v[14:15], v[170:171]
	v_fma_f64 v[67:68], v[67:68], v[14:15], -v[16:17]
	scratch_load_b128 v[14:17], off, off offset:752
	v_add_f64 v[170:171], v[176:177], v[174:175]
	v_add_f64 v[65:66], v[65:66], v[172:173]
	v_fma_f64 v[91:92], v[4:5], v[18:19], v[91:92]
	v_fma_f64 v[174:175], v[2:3], v[18:19], -v[20:21]
	scratch_load_b128 v[18:21], off, off offset:768
	ds_load_b128 v[2:5], v1 offset:1616
	s_waitcnt vmcnt(9) lgkmcnt(1)
	v_mul_f64 v[172:173], v[61:62], v[24:25]
	v_mul_f64 v[24:25], v[63:64], v[24:25]
	s_waitcnt vmcnt(8) lgkmcnt(0)
	v_mul_f64 v[176:177], v[2:3], v[28:29]
	v_mul_f64 v[28:29], v[4:5], v[28:29]
	v_add_f64 v[170:171], v[170:171], v[67:68]
	v_add_f64 v[69:70], v[65:66], v[69:70]
	ds_load_b128 v[65:68], v1 offset:1632
	v_fma_f64 v[63:64], v[63:64], v[22:23], v[172:173]
	v_fma_f64 v[61:62], v[61:62], v[22:23], -v[24:25]
	scratch_load_b128 v[22:25], off, off offset:784
	v_fma_f64 v[172:173], v[4:5], v[26:27], v[176:177]
	v_add_f64 v[170:171], v[170:171], v[174:175]
	v_add_f64 v[69:70], v[69:70], v[91:92]
	v_fma_f64 v[174:175], v[2:3], v[26:27], -v[28:29]
	scratch_load_b128 v[26:29], off, off offset:800
	ds_load_b128 v[2:5], v1 offset:1648
	s_waitcnt vmcnt(9) lgkmcnt(1)
	v_mul_f64 v[91:92], v[65:66], v[32:33]
	v_mul_f64 v[32:33], v[67:68], v[32:33]
	s_waitcnt vmcnt(8) lgkmcnt(0)
	v_mul_f64 v[176:177], v[2:3], v[36:37]
	v_mul_f64 v[36:37], v[4:5], v[36:37]
	v_add_f64 v[170:171], v[170:171], v[61:62]
	v_add_f64 v[69:70], v[69:70], v[63:64]
	ds_load_b128 v[61:64], v1 offset:1664
	v_fma_f64 v[67:68], v[67:68], v[30:31], v[91:92]
	v_fma_f64 v[65:66], v[65:66], v[30:31], -v[32:33]
	scratch_load_b128 v[30:33], off, off offset:816
	v_add_f64 v[91:92], v[170:171], v[174:175]
	v_add_f64 v[69:70], v[69:70], v[172:173]
	v_fma_f64 v[172:173], v[4:5], v[34:35], v[176:177]
	v_fma_f64 v[174:175], v[2:3], v[34:35], -v[36:37]
	scratch_load_b128 v[34:37], off, off offset:832
	ds_load_b128 v[2:5], v1 offset:1680
	s_waitcnt vmcnt(9) lgkmcnt(1)
	v_mul_f64 v[170:171], v[61:62], v[59:60]
	v_mul_f64 v[59:60], v[63:64], v[59:60]
	s_waitcnt vmcnt(8) lgkmcnt(0)
	v_mul_f64 v[176:177], v[2:3], v[40:41]
	v_mul_f64 v[40:41], v[4:5], v[40:41]
	v_add_f64 v[91:92], v[91:92], v[65:66]
	v_add_f64 v[69:70], v[69:70], v[67:68]
	ds_load_b128 v[65:68], v1 offset:1696
	v_fma_f64 v[63:64], v[63:64], v[57:58], v[170:171]
	v_fma_f64 v[61:62], v[61:62], v[57:58], -v[59:60]
	scratch_load_b128 v[57:60], off, off offset:848
	v_add_f64 v[91:92], v[91:92], v[174:175]
	v_add_f64 v[69:70], v[69:70], v[172:173]
	v_fma_f64 v[172:173], v[4:5], v[38:39], v[176:177]
	;; [unrolled: 18-line block ×5, first 2 shown]
	v_fma_f64 v[174:175], v[2:3], v[26:27], -v[28:29]
	scratch_load_b128 v[26:29], off, off offset:960
	ds_load_b128 v[2:5], v1 offset:1808
	s_waitcnt vmcnt(9) lgkmcnt(1)
	v_mul_f64 v[170:171], v[61:62], v[32:33]
	v_mul_f64 v[32:33], v[63:64], v[32:33]
	s_waitcnt vmcnt(8) lgkmcnt(0)
	v_mul_f64 v[176:177], v[2:3], v[36:37]
	v_mul_f64 v[36:37], v[4:5], v[36:37]
	v_add_f64 v[91:92], v[91:92], v[65:66]
	v_add_f64 v[69:70], v[69:70], v[67:68]
	ds_load_b128 v[65:68], v1 offset:1824
	v_fma_f64 v[63:64], v[63:64], v[30:31], v[170:171]
	v_fma_f64 v[30:31], v[61:62], v[30:31], -v[32:33]
	v_add_f64 v[32:33], v[91:92], v[174:175]
	v_add_f64 v[61:62], v[69:70], v[172:173]
	s_waitcnt vmcnt(7) lgkmcnt(0)
	v_mul_f64 v[69:70], v[65:66], v[59:60]
	v_mul_f64 v[59:60], v[67:68], v[59:60]
	v_fma_f64 v[91:92], v[4:5], v[34:35], v[176:177]
	v_fma_f64 v[34:35], v[2:3], v[34:35], -v[36:37]
	v_add_f64 v[36:37], v[32:33], v[30:31]
	v_add_f64 v[61:62], v[61:62], v[63:64]
	ds_load_b128 v[2:5], v1 offset:1840
	ds_load_b128 v[30:33], v1 offset:1856
	v_fma_f64 v[67:68], v[67:68], v[57:58], v[69:70]
	v_fma_f64 v[57:58], v[65:66], v[57:58], -v[59:60]
	s_waitcnt vmcnt(6) lgkmcnt(1)
	v_mul_f64 v[63:64], v[2:3], v[40:41]
	v_mul_f64 v[40:41], v[4:5], v[40:41]
	s_waitcnt vmcnt(5) lgkmcnt(0)
	v_mul_f64 v[59:60], v[30:31], v[8:9]
	v_mul_f64 v[8:9], v[32:33], v[8:9]
	v_add_f64 v[34:35], v[36:37], v[34:35]
	v_add_f64 v[36:37], v[61:62], v[91:92]
	v_fma_f64 v[61:62], v[4:5], v[38:39], v[63:64]
	v_fma_f64 v[38:39], v[2:3], v[38:39], -v[40:41]
	v_fma_f64 v[32:33], v[32:33], v[6:7], v[59:60]
	v_fma_f64 v[6:7], v[30:31], v[6:7], -v[8:9]
	v_add_f64 v[40:41], v[34:35], v[57:58]
	v_add_f64 v[57:58], v[36:37], v[67:68]
	ds_load_b128 v[2:5], v1 offset:1872
	ds_load_b128 v[34:37], v1 offset:1888
	s_waitcnt vmcnt(4) lgkmcnt(1)
	v_mul_f64 v[63:64], v[2:3], v[12:13]
	v_mul_f64 v[12:13], v[4:5], v[12:13]
	v_add_f64 v[8:9], v[40:41], v[38:39]
	v_add_f64 v[30:31], v[57:58], v[61:62]
	s_waitcnt vmcnt(3) lgkmcnt(0)
	v_mul_f64 v[38:39], v[34:35], v[16:17]
	v_mul_f64 v[16:17], v[36:37], v[16:17]
	v_fma_f64 v[40:41], v[4:5], v[10:11], v[63:64]
	v_fma_f64 v[10:11], v[2:3], v[10:11], -v[12:13]
	v_add_f64 v[12:13], v[8:9], v[6:7]
	v_add_f64 v[30:31], v[30:31], v[32:33]
	ds_load_b128 v[2:5], v1 offset:1904
	ds_load_b128 v[6:9], v1 offset:1920
	v_fma_f64 v[36:37], v[36:37], v[14:15], v[38:39]
	v_fma_f64 v[14:15], v[34:35], v[14:15], -v[16:17]
	s_waitcnt vmcnt(2) lgkmcnt(1)
	v_mul_f64 v[32:33], v[2:3], v[20:21]
	v_mul_f64 v[20:21], v[4:5], v[20:21]
	s_waitcnt vmcnt(1) lgkmcnt(0)
	v_mul_f64 v[16:17], v[6:7], v[24:25]
	v_mul_f64 v[24:25], v[8:9], v[24:25]
	v_add_f64 v[10:11], v[12:13], v[10:11]
	v_add_f64 v[12:13], v[30:31], v[40:41]
	v_fma_f64 v[30:31], v[4:5], v[18:19], v[32:33]
	v_fma_f64 v[18:19], v[2:3], v[18:19], -v[20:21]
	ds_load_b128 v[2:5], v1 offset:1936
	v_fma_f64 v[8:9], v[8:9], v[22:23], v[16:17]
	v_fma_f64 v[6:7], v[6:7], v[22:23], -v[24:25]
	v_add_f64 v[10:11], v[10:11], v[14:15]
	v_add_f64 v[12:13], v[12:13], v[36:37]
	s_waitcnt vmcnt(0) lgkmcnt(0)
	v_mul_f64 v[14:15], v[2:3], v[28:29]
	v_mul_f64 v[20:21], v[4:5], v[28:29]
	s_delay_alu instid0(VALU_DEP_4) | instskip(NEXT) | instid1(VALU_DEP_4)
	v_add_f64 v[10:11], v[10:11], v[18:19]
	v_add_f64 v[12:13], v[12:13], v[30:31]
	s_delay_alu instid0(VALU_DEP_4) | instskip(NEXT) | instid1(VALU_DEP_4)
	v_fma_f64 v[4:5], v[4:5], v[26:27], v[14:15]
	v_fma_f64 v[2:3], v[2:3], v[26:27], -v[20:21]
	s_delay_alu instid0(VALU_DEP_4) | instskip(NEXT) | instid1(VALU_DEP_4)
	v_add_f64 v[6:7], v[10:11], v[6:7]
	v_add_f64 v[8:9], v[12:13], v[8:9]
	s_delay_alu instid0(VALU_DEP_2) | instskip(NEXT) | instid1(VALU_DEP_2)
	v_add_f64 v[2:3], v[6:7], v[2:3]
	v_add_f64 v[4:5], v[8:9], v[4:5]
	s_delay_alu instid0(VALU_DEP_2) | instskip(NEXT) | instid1(VALU_DEP_2)
	v_add_f64 v[2:3], v[42:43], -v[2:3]
	v_add_f64 v[4:5], v[44:45], -v[4:5]
	scratch_store_b128 off, v[2:5], off offset:368
	v_cmpx_lt_u32_e32 22, v169
	s_cbranch_execz .LBB124_347
; %bb.346:
	scratch_load_b32 v2, off, off offset:1012 ; 4-byte Folded Reload
	v_mov_b32_e32 v3, v1
	v_mov_b32_e32 v4, v1
	s_waitcnt vmcnt(0)
	scratch_load_b128 v[5:8], v2, off
	v_mov_b32_e32 v2, v1
	scratch_store_b128 off, v[1:4], off offset:352
	s_waitcnt vmcnt(0)
	ds_store_b128 v229, v[5:8]
.LBB124_347:
	s_or_b32 exec_lo, exec_lo, s2
	s_waitcnt lgkmcnt(0)
	s_waitcnt_vscnt null, 0x0
	s_barrier
	buffer_gl0_inv
	s_clause 0x8
	scratch_load_b128 v[2:5], off, off offset:368
	scratch_load_b128 v[6:9], off, off offset:384
	;; [unrolled: 1-line block ×9, first 2 shown]
	ds_load_b128 v[42:45], v1 offset:1344
	ds_load_b128 v[38:41], v1 offset:1360
	s_clause 0x1
	scratch_load_b128 v[57:60], off, off offset:352
	scratch_load_b128 v[61:64], off, off offset:512
	s_mov_b32 s2, exec_lo
	s_waitcnt vmcnt(10) lgkmcnt(1)
	v_mul_f64 v[65:66], v[44:45], v[4:5]
	v_mul_f64 v[4:5], v[42:43], v[4:5]
	s_waitcnt vmcnt(9) lgkmcnt(0)
	v_mul_f64 v[69:70], v[38:39], v[8:9]
	v_mul_f64 v[8:9], v[40:41], v[8:9]
	s_delay_alu instid0(VALU_DEP_4) | instskip(NEXT) | instid1(VALU_DEP_4)
	v_fma_f64 v[91:92], v[42:43], v[2:3], -v[65:66]
	v_fma_f64 v[170:171], v[44:45], v[2:3], v[4:5]
	ds_load_b128 v[2:5], v1 offset:1376
	ds_load_b128 v[65:68], v1 offset:1392
	scratch_load_b128 v[42:45], off, off offset:528
	v_fma_f64 v[40:41], v[40:41], v[6:7], v[69:70]
	v_fma_f64 v[38:39], v[38:39], v[6:7], -v[8:9]
	scratch_load_b128 v[6:9], off, off offset:544
	s_waitcnt vmcnt(10) lgkmcnt(1)
	v_mul_f64 v[172:173], v[2:3], v[12:13]
	v_mul_f64 v[12:13], v[4:5], v[12:13]
	v_add_f64 v[69:70], v[91:92], 0
	v_add_f64 v[91:92], v[170:171], 0
	s_waitcnt vmcnt(9) lgkmcnt(0)
	v_mul_f64 v[170:171], v[65:66], v[16:17]
	v_mul_f64 v[16:17], v[67:68], v[16:17]
	v_fma_f64 v[172:173], v[4:5], v[10:11], v[172:173]
	v_fma_f64 v[174:175], v[2:3], v[10:11], -v[12:13]
	ds_load_b128 v[2:5], v1 offset:1408
	scratch_load_b128 v[10:13], off, off offset:560
	v_add_f64 v[69:70], v[69:70], v[38:39]
	v_add_f64 v[91:92], v[91:92], v[40:41]
	ds_load_b128 v[38:41], v1 offset:1424
	v_fma_f64 v[67:68], v[67:68], v[14:15], v[170:171]
	v_fma_f64 v[65:66], v[65:66], v[14:15], -v[16:17]
	scratch_load_b128 v[14:17], off, off offset:576
	s_waitcnt vmcnt(10) lgkmcnt(1)
	v_mul_f64 v[176:177], v[2:3], v[20:21]
	v_mul_f64 v[20:21], v[4:5], v[20:21]
	s_waitcnt vmcnt(9) lgkmcnt(0)
	v_mul_f64 v[170:171], v[38:39], v[24:25]
	v_mul_f64 v[24:25], v[40:41], v[24:25]
	v_add_f64 v[69:70], v[69:70], v[174:175]
	v_add_f64 v[91:92], v[91:92], v[172:173]
	v_fma_f64 v[172:173], v[4:5], v[18:19], v[176:177]
	v_fma_f64 v[174:175], v[2:3], v[18:19], -v[20:21]
	ds_load_b128 v[2:5], v1 offset:1440
	scratch_load_b128 v[18:21], off, off offset:592
	v_fma_f64 v[40:41], v[40:41], v[22:23], v[170:171]
	v_fma_f64 v[38:39], v[38:39], v[22:23], -v[24:25]
	scratch_load_b128 v[22:25], off, off offset:608
	v_add_f64 v[69:70], v[69:70], v[65:66]
	v_add_f64 v[91:92], v[91:92], v[67:68]
	ds_load_b128 v[65:68], v1 offset:1456
	s_waitcnt vmcnt(10) lgkmcnt(1)
	v_mul_f64 v[176:177], v[2:3], v[28:29]
	v_mul_f64 v[28:29], v[4:5], v[28:29]
	s_waitcnt vmcnt(9) lgkmcnt(0)
	v_mul_f64 v[170:171], v[65:66], v[32:33]
	v_mul_f64 v[32:33], v[67:68], v[32:33]
	v_add_f64 v[69:70], v[69:70], v[174:175]
	v_add_f64 v[91:92], v[91:92], v[172:173]
	v_fma_f64 v[172:173], v[4:5], v[26:27], v[176:177]
	v_fma_f64 v[174:175], v[2:3], v[26:27], -v[28:29]
	ds_load_b128 v[2:5], v1 offset:1472
	scratch_load_b128 v[26:29], off, off offset:624
	v_fma_f64 v[67:68], v[67:68], v[30:31], v[170:171]
	v_fma_f64 v[65:66], v[65:66], v[30:31], -v[32:33]
	scratch_load_b128 v[30:33], off, off offset:640
	v_add_f64 v[69:70], v[69:70], v[38:39]
	v_add_f64 v[91:92], v[91:92], v[40:41]
	ds_load_b128 v[38:41], v1 offset:1488
	s_waitcnt vmcnt(10) lgkmcnt(1)
	v_mul_f64 v[176:177], v[2:3], v[36:37]
	v_mul_f64 v[36:37], v[4:5], v[36:37]
	s_waitcnt vmcnt(8) lgkmcnt(0)
	v_mul_f64 v[170:171], v[38:39], v[63:64]
	v_add_f64 v[69:70], v[69:70], v[174:175]
	v_add_f64 v[91:92], v[91:92], v[172:173]
	v_mul_f64 v[172:173], v[40:41], v[63:64]
	v_fma_f64 v[174:175], v[4:5], v[34:35], v[176:177]
	v_fma_f64 v[176:177], v[2:3], v[34:35], -v[36:37]
	ds_load_b128 v[2:5], v1 offset:1504
	scratch_load_b128 v[34:37], off, off offset:656
	v_fma_f64 v[170:171], v[40:41], v[61:62], v[170:171]
	v_add_f64 v[69:70], v[69:70], v[65:66]
	v_add_f64 v[67:68], v[91:92], v[67:68]
	ds_load_b128 v[63:66], v1 offset:1520
	v_fma_f64 v[61:62], v[38:39], v[61:62], -v[172:173]
	scratch_load_b128 v[38:41], off, off offset:672
	s_waitcnt vmcnt(9) lgkmcnt(1)
	v_mul_f64 v[91:92], v[2:3], v[44:45]
	v_mul_f64 v[44:45], v[4:5], v[44:45]
	s_waitcnt vmcnt(8) lgkmcnt(0)
	v_mul_f64 v[172:173], v[63:64], v[8:9]
	v_mul_f64 v[8:9], v[65:66], v[8:9]
	v_add_f64 v[69:70], v[69:70], v[176:177]
	v_add_f64 v[67:68], v[67:68], v[174:175]
	v_fma_f64 v[91:92], v[4:5], v[42:43], v[91:92]
	v_fma_f64 v[174:175], v[2:3], v[42:43], -v[44:45]
	ds_load_b128 v[2:5], v1 offset:1536
	scratch_load_b128 v[42:45], off, off offset:688
	v_fma_f64 v[65:66], v[65:66], v[6:7], v[172:173]
	v_fma_f64 v[63:64], v[63:64], v[6:7], -v[8:9]
	scratch_load_b128 v[6:9], off, off offset:704
	v_add_f64 v[61:62], v[69:70], v[61:62]
	v_add_f64 v[170:171], v[67:68], v[170:171]
	ds_load_b128 v[67:70], v1 offset:1552
	s_waitcnt vmcnt(9) lgkmcnt(1)
	v_mul_f64 v[176:177], v[2:3], v[12:13]
	v_mul_f64 v[12:13], v[4:5], v[12:13]
	v_add_f64 v[61:62], v[61:62], v[174:175]
	v_add_f64 v[91:92], v[170:171], v[91:92]
	s_waitcnt vmcnt(8) lgkmcnt(0)
	v_mul_f64 v[170:171], v[67:68], v[16:17]
	v_mul_f64 v[16:17], v[69:70], v[16:17]
	v_fma_f64 v[172:173], v[4:5], v[10:11], v[176:177]
	v_fma_f64 v[174:175], v[2:3], v[10:11], -v[12:13]
	ds_load_b128 v[2:5], v1 offset:1568
	scratch_load_b128 v[10:13], off, off offset:720
	v_add_f64 v[176:177], v[61:62], v[63:64]
	v_add_f64 v[65:66], v[91:92], v[65:66]
	ds_load_b128 v[61:64], v1 offset:1584
	s_waitcnt vmcnt(8) lgkmcnt(1)
	v_mul_f64 v[91:92], v[2:3], v[20:21]
	v_mul_f64 v[20:21], v[4:5], v[20:21]
	v_fma_f64 v[69:70], v[69:70], v[14:15], v[170:171]
	v_fma_f64 v[67:68], v[67:68], v[14:15], -v[16:17]
	scratch_load_b128 v[14:17], off, off offset:736
	v_add_f64 v[170:171], v[176:177], v[174:175]
	v_add_f64 v[65:66], v[65:66], v[172:173]
	s_waitcnt vmcnt(8) lgkmcnt(0)
	v_mul_f64 v[172:173], v[61:62], v[24:25]
	v_mul_f64 v[24:25], v[63:64], v[24:25]
	v_fma_f64 v[91:92], v[4:5], v[18:19], v[91:92]
	v_fma_f64 v[174:175], v[2:3], v[18:19], -v[20:21]
	ds_load_b128 v[2:5], v1 offset:1600
	scratch_load_b128 v[18:21], off, off offset:752
	v_add_f64 v[170:171], v[170:171], v[67:68]
	v_add_f64 v[69:70], v[65:66], v[69:70]
	ds_load_b128 v[65:68], v1 offset:1616
	s_waitcnt vmcnt(8) lgkmcnt(1)
	v_mul_f64 v[176:177], v[2:3], v[28:29]
	v_mul_f64 v[28:29], v[4:5], v[28:29]
	v_fma_f64 v[63:64], v[63:64], v[22:23], v[172:173]
	v_fma_f64 v[61:62], v[61:62], v[22:23], -v[24:25]
	scratch_load_b128 v[22:25], off, off offset:768
	;; [unrolled: 18-line block ×4, first 2 shown]
	s_waitcnt vmcnt(8) lgkmcnt(0)
	v_mul_f64 v[170:171], v[65:66], v[8:9]
	v_mul_f64 v[8:9], v[67:68], v[8:9]
	v_add_f64 v[91:92], v[91:92], v[174:175]
	v_add_f64 v[69:70], v[69:70], v[172:173]
	v_fma_f64 v[172:173], v[4:5], v[42:43], v[176:177]
	v_fma_f64 v[174:175], v[2:3], v[42:43], -v[44:45]
	ds_load_b128 v[2:5], v1 offset:1696
	scratch_load_b128 v[42:45], off, off offset:848
	v_fma_f64 v[67:68], v[67:68], v[6:7], v[170:171]
	v_fma_f64 v[65:66], v[65:66], v[6:7], -v[8:9]
	scratch_load_b128 v[6:9], off, off offset:864
	v_add_f64 v[91:92], v[91:92], v[61:62]
	v_add_f64 v[69:70], v[69:70], v[63:64]
	ds_load_b128 v[61:64], v1 offset:1712
	s_waitcnt vmcnt(9) lgkmcnt(1)
	v_mul_f64 v[176:177], v[2:3], v[12:13]
	v_mul_f64 v[12:13], v[4:5], v[12:13]
	s_waitcnt vmcnt(8) lgkmcnt(0)
	v_mul_f64 v[170:171], v[61:62], v[16:17]
	v_mul_f64 v[16:17], v[63:64], v[16:17]
	v_add_f64 v[91:92], v[91:92], v[174:175]
	v_add_f64 v[69:70], v[69:70], v[172:173]
	v_fma_f64 v[172:173], v[4:5], v[10:11], v[176:177]
	v_fma_f64 v[174:175], v[2:3], v[10:11], -v[12:13]
	ds_load_b128 v[2:5], v1 offset:1728
	scratch_load_b128 v[10:13], off, off offset:880
	v_fma_f64 v[63:64], v[63:64], v[14:15], v[170:171]
	v_fma_f64 v[61:62], v[61:62], v[14:15], -v[16:17]
	scratch_load_b128 v[14:17], off, off offset:896
	v_add_f64 v[91:92], v[91:92], v[65:66]
	v_add_f64 v[69:70], v[69:70], v[67:68]
	ds_load_b128 v[65:68], v1 offset:1744
	s_waitcnt vmcnt(9) lgkmcnt(1)
	v_mul_f64 v[176:177], v[2:3], v[20:21]
	v_mul_f64 v[20:21], v[4:5], v[20:21]
	;; [unrolled: 18-line block ×4, first 2 shown]
	s_waitcnt vmcnt(8) lgkmcnt(0)
	v_mul_f64 v[170:171], v[65:66], v[40:41]
	v_mul_f64 v[40:41], v[67:68], v[40:41]
	v_add_f64 v[91:92], v[91:92], v[174:175]
	v_add_f64 v[69:70], v[69:70], v[172:173]
	v_fma_f64 v[172:173], v[4:5], v[34:35], v[176:177]
	v_fma_f64 v[174:175], v[2:3], v[34:35], -v[36:37]
	ds_load_b128 v[2:5], v1 offset:1824
	ds_load_b128 v[34:37], v1 offset:1840
	v_fma_f64 v[67:68], v[67:68], v[38:39], v[170:171]
	v_fma_f64 v[38:39], v[65:66], v[38:39], -v[40:41]
	v_add_f64 v[61:62], v[91:92], v[61:62]
	v_add_f64 v[63:64], v[69:70], v[63:64]
	s_waitcnt vmcnt(7) lgkmcnt(1)
	v_mul_f64 v[69:70], v[2:3], v[44:45]
	v_mul_f64 v[44:45], v[4:5], v[44:45]
	s_delay_alu instid0(VALU_DEP_4) | instskip(NEXT) | instid1(VALU_DEP_4)
	v_add_f64 v[40:41], v[61:62], v[174:175]
	v_add_f64 v[61:62], v[63:64], v[172:173]
	s_waitcnt vmcnt(6) lgkmcnt(0)
	v_mul_f64 v[63:64], v[34:35], v[8:9]
	v_mul_f64 v[8:9], v[36:37], v[8:9]
	v_fma_f64 v[65:66], v[4:5], v[42:43], v[69:70]
	v_fma_f64 v[42:43], v[2:3], v[42:43], -v[44:45]
	v_add_f64 v[44:45], v[40:41], v[38:39]
	v_add_f64 v[61:62], v[61:62], v[67:68]
	ds_load_b128 v[2:5], v1 offset:1856
	ds_load_b128 v[38:41], v1 offset:1872
	v_fma_f64 v[36:37], v[36:37], v[6:7], v[63:64]
	v_fma_f64 v[6:7], v[34:35], v[6:7], -v[8:9]
	s_waitcnt vmcnt(5) lgkmcnt(1)
	v_mul_f64 v[67:68], v[2:3], v[12:13]
	v_mul_f64 v[12:13], v[4:5], v[12:13]
	v_add_f64 v[8:9], v[44:45], v[42:43]
	v_add_f64 v[34:35], v[61:62], v[65:66]
	s_waitcnt vmcnt(4) lgkmcnt(0)
	v_mul_f64 v[42:43], v[38:39], v[16:17]
	v_mul_f64 v[16:17], v[40:41], v[16:17]
	v_fma_f64 v[44:45], v[4:5], v[10:11], v[67:68]
	v_fma_f64 v[10:11], v[2:3], v[10:11], -v[12:13]
	v_add_f64 v[12:13], v[8:9], v[6:7]
	v_add_f64 v[34:35], v[34:35], v[36:37]
	ds_load_b128 v[2:5], v1 offset:1888
	ds_load_b128 v[6:9], v1 offset:1904
	v_fma_f64 v[40:41], v[40:41], v[14:15], v[42:43]
	v_fma_f64 v[14:15], v[38:39], v[14:15], -v[16:17]
	s_waitcnt vmcnt(3) lgkmcnt(1)
	v_mul_f64 v[36:37], v[2:3], v[20:21]
	v_mul_f64 v[20:21], v[4:5], v[20:21]
	s_waitcnt vmcnt(2) lgkmcnt(0)
	v_mul_f64 v[16:17], v[6:7], v[24:25]
	v_mul_f64 v[24:25], v[8:9], v[24:25]
	v_add_f64 v[10:11], v[12:13], v[10:11]
	v_add_f64 v[12:13], v[34:35], v[44:45]
	v_fma_f64 v[34:35], v[4:5], v[18:19], v[36:37]
	v_fma_f64 v[18:19], v[2:3], v[18:19], -v[20:21]
	v_fma_f64 v[8:9], v[8:9], v[22:23], v[16:17]
	v_fma_f64 v[6:7], v[6:7], v[22:23], -v[24:25]
	v_add_f64 v[14:15], v[10:11], v[14:15]
	v_add_f64 v[20:21], v[12:13], v[40:41]
	ds_load_b128 v[2:5], v1 offset:1920
	ds_load_b128 v[10:13], v1 offset:1936
	s_waitcnt vmcnt(1) lgkmcnt(1)
	v_mul_f64 v[36:37], v[2:3], v[28:29]
	v_mul_f64 v[28:29], v[4:5], v[28:29]
	v_add_f64 v[14:15], v[14:15], v[18:19]
	v_add_f64 v[16:17], v[20:21], v[34:35]
	s_waitcnt vmcnt(0) lgkmcnt(0)
	v_mul_f64 v[18:19], v[10:11], v[32:33]
	v_mul_f64 v[20:21], v[12:13], v[32:33]
	v_fma_f64 v[4:5], v[4:5], v[26:27], v[36:37]
	v_fma_f64 v[1:2], v[2:3], v[26:27], -v[28:29]
	v_add_f64 v[6:7], v[14:15], v[6:7]
	v_add_f64 v[8:9], v[16:17], v[8:9]
	v_fma_f64 v[12:13], v[12:13], v[30:31], v[18:19]
	v_fma_f64 v[10:11], v[10:11], v[30:31], -v[20:21]
	s_delay_alu instid0(VALU_DEP_4) | instskip(NEXT) | instid1(VALU_DEP_4)
	v_add_f64 v[1:2], v[6:7], v[1:2]
	v_add_f64 v[3:4], v[8:9], v[4:5]
	s_delay_alu instid0(VALU_DEP_2) | instskip(NEXT) | instid1(VALU_DEP_2)
	v_add_f64 v[1:2], v[1:2], v[10:11]
	v_add_f64 v[3:4], v[3:4], v[12:13]
	s_delay_alu instid0(VALU_DEP_2) | instskip(NEXT) | instid1(VALU_DEP_2)
	v_add_f64 v[1:2], v[57:58], -v[1:2]
	v_add_f64 v[3:4], v[59:60], -v[3:4]
	scratch_store_b128 off, v[1:4], off offset:352
	v_cmpx_lt_u32_e32 21, v169
	s_cbranch_execz .LBB124_349
; %bb.348:
	scratch_load_b32 v1, off, off offset:1016 ; 4-byte Folded Reload
	v_mov_b32_e32 v5, 0
	s_delay_alu instid0(VALU_DEP_1)
	v_mov_b32_e32 v6, v5
	v_mov_b32_e32 v7, v5
	;; [unrolled: 1-line block ×3, first 2 shown]
	s_waitcnt vmcnt(0)
	scratch_load_b128 v[1:4], v1, off
	scratch_store_b128 off, v[5:8], off offset:336
	s_waitcnt vmcnt(0)
	ds_store_b128 v229, v[1:4]
.LBB124_349:
	s_or_b32 exec_lo, exec_lo, s2
	s_waitcnt lgkmcnt(0)
	s_waitcnt_vscnt null, 0x0
	s_barrier
	buffer_gl0_inv
	s_clause 0x7
	scratch_load_b128 v[2:5], off, off offset:352
	scratch_load_b128 v[6:9], off, off offset:368
	;; [unrolled: 1-line block ×8, first 2 shown]
	v_mov_b32_e32 v1, 0
	s_mov_b32 s2, exec_lo
	ds_load_b128 v[38:41], v1 offset:1328
	s_clause 0x1
	scratch_load_b128 v[34:37], off, off offset:480
	scratch_load_b128 v[42:45], off, off offset:336
	ds_load_b128 v[57:60], v1 offset:1344
	scratch_load_b128 v[61:64], off, off offset:496
	s_waitcnt vmcnt(10) lgkmcnt(1)
	v_mul_f64 v[65:66], v[40:41], v[4:5]
	v_mul_f64 v[4:5], v[38:39], v[4:5]
	s_delay_alu instid0(VALU_DEP_2) | instskip(NEXT) | instid1(VALU_DEP_2)
	v_fma_f64 v[91:92], v[38:39], v[2:3], -v[65:66]
	v_fma_f64 v[170:171], v[40:41], v[2:3], v[4:5]
	scratch_load_b128 v[38:41], off, off offset:512
	ds_load_b128 v[2:5], v1 offset:1360
	s_waitcnt vmcnt(10) lgkmcnt(1)
	v_mul_f64 v[69:70], v[57:58], v[8:9]
	v_mul_f64 v[8:9], v[59:60], v[8:9]
	ds_load_b128 v[65:68], v1 offset:1376
	s_waitcnt vmcnt(9) lgkmcnt(1)
	v_mul_f64 v[172:173], v[2:3], v[12:13]
	v_mul_f64 v[12:13], v[4:5], v[12:13]
	v_fma_f64 v[59:60], v[59:60], v[6:7], v[69:70]
	v_fma_f64 v[57:58], v[57:58], v[6:7], -v[8:9]
	v_add_f64 v[69:70], v[91:92], 0
	v_add_f64 v[91:92], v[170:171], 0
	scratch_load_b128 v[6:9], off, off offset:528
	v_fma_f64 v[172:173], v[4:5], v[10:11], v[172:173]
	v_fma_f64 v[174:175], v[2:3], v[10:11], -v[12:13]
	scratch_load_b128 v[10:13], off, off offset:544
	ds_load_b128 v[2:5], v1 offset:1392
	s_waitcnt vmcnt(10) lgkmcnt(1)
	v_mul_f64 v[170:171], v[65:66], v[16:17]
	v_mul_f64 v[16:17], v[67:68], v[16:17]
	v_add_f64 v[69:70], v[69:70], v[57:58]
	v_add_f64 v[91:92], v[91:92], v[59:60]
	s_waitcnt vmcnt(9) lgkmcnt(0)
	v_mul_f64 v[176:177], v[2:3], v[20:21]
	v_mul_f64 v[20:21], v[4:5], v[20:21]
	ds_load_b128 v[57:60], v1 offset:1408
	v_fma_f64 v[67:68], v[67:68], v[14:15], v[170:171]
	v_fma_f64 v[65:66], v[65:66], v[14:15], -v[16:17]
	scratch_load_b128 v[14:17], off, off offset:560
	v_add_f64 v[69:70], v[69:70], v[174:175]
	v_add_f64 v[91:92], v[91:92], v[172:173]
	v_fma_f64 v[172:173], v[4:5], v[18:19], v[176:177]
	v_fma_f64 v[174:175], v[2:3], v[18:19], -v[20:21]
	scratch_load_b128 v[18:21], off, off offset:576
	ds_load_b128 v[2:5], v1 offset:1424
	s_waitcnt vmcnt(10) lgkmcnt(1)
	v_mul_f64 v[170:171], v[57:58], v[24:25]
	v_mul_f64 v[24:25], v[59:60], v[24:25]
	s_waitcnt vmcnt(9) lgkmcnt(0)
	v_mul_f64 v[176:177], v[2:3], v[28:29]
	v_mul_f64 v[28:29], v[4:5], v[28:29]
	v_add_f64 v[69:70], v[69:70], v[65:66]
	v_add_f64 v[91:92], v[91:92], v[67:68]
	ds_load_b128 v[65:68], v1 offset:1440
	v_fma_f64 v[59:60], v[59:60], v[22:23], v[170:171]
	v_fma_f64 v[57:58], v[57:58], v[22:23], -v[24:25]
	scratch_load_b128 v[22:25], off, off offset:592
	v_add_f64 v[69:70], v[69:70], v[174:175]
	v_add_f64 v[91:92], v[91:92], v[172:173]
	v_fma_f64 v[172:173], v[4:5], v[26:27], v[176:177]
	v_fma_f64 v[174:175], v[2:3], v[26:27], -v[28:29]
	scratch_load_b128 v[26:29], off, off offset:608
	ds_load_b128 v[2:5], v1 offset:1456
	s_waitcnt vmcnt(10) lgkmcnt(1)
	v_mul_f64 v[170:171], v[65:66], v[32:33]
	v_mul_f64 v[32:33], v[67:68], v[32:33]
	s_waitcnt vmcnt(9) lgkmcnt(0)
	v_mul_f64 v[176:177], v[2:3], v[36:37]
	v_mul_f64 v[36:37], v[4:5], v[36:37]
	v_add_f64 v[69:70], v[69:70], v[57:58]
	v_add_f64 v[91:92], v[91:92], v[59:60]
	ds_load_b128 v[57:60], v1 offset:1472
	v_fma_f64 v[67:68], v[67:68], v[30:31], v[170:171]
	v_fma_f64 v[65:66], v[65:66], v[30:31], -v[32:33]
	scratch_load_b128 v[30:33], off, off offset:624
	v_add_f64 v[69:70], v[69:70], v[174:175]
	v_add_f64 v[91:92], v[91:92], v[172:173]
	v_fma_f64 v[174:175], v[4:5], v[34:35], v[176:177]
	v_fma_f64 v[176:177], v[2:3], v[34:35], -v[36:37]
	scratch_load_b128 v[34:37], off, off offset:640
	ds_load_b128 v[2:5], v1 offset:1488
	s_waitcnt vmcnt(9) lgkmcnt(1)
	v_mul_f64 v[170:171], v[57:58], v[63:64]
	v_mul_f64 v[172:173], v[59:60], v[63:64]
	v_add_f64 v[69:70], v[69:70], v[65:66]
	v_add_f64 v[67:68], v[91:92], v[67:68]
	ds_load_b128 v[63:66], v1 offset:1504
	v_fma_f64 v[170:171], v[59:60], v[61:62], v[170:171]
	v_fma_f64 v[61:62], v[57:58], v[61:62], -v[172:173]
	scratch_load_b128 v[57:60], off, off offset:656
	s_waitcnt vmcnt(9) lgkmcnt(1)
	v_mul_f64 v[91:92], v[2:3], v[40:41]
	v_mul_f64 v[40:41], v[4:5], v[40:41]
	v_add_f64 v[69:70], v[69:70], v[176:177]
	v_add_f64 v[67:68], v[67:68], v[174:175]
	s_delay_alu instid0(VALU_DEP_4) | instskip(NEXT) | instid1(VALU_DEP_4)
	v_fma_f64 v[91:92], v[4:5], v[38:39], v[91:92]
	v_fma_f64 v[174:175], v[2:3], v[38:39], -v[40:41]
	scratch_load_b128 v[38:41], off, off offset:672
	ds_load_b128 v[2:5], v1 offset:1520
	s_waitcnt vmcnt(9) lgkmcnt(1)
	v_mul_f64 v[172:173], v[63:64], v[8:9]
	v_mul_f64 v[8:9], v[65:66], v[8:9]
	s_waitcnt vmcnt(8) lgkmcnt(0)
	v_mul_f64 v[176:177], v[2:3], v[12:13]
	v_mul_f64 v[12:13], v[4:5], v[12:13]
	v_add_f64 v[61:62], v[69:70], v[61:62]
	v_add_f64 v[170:171], v[67:68], v[170:171]
	ds_load_b128 v[67:70], v1 offset:1536
	v_fma_f64 v[65:66], v[65:66], v[6:7], v[172:173]
	v_fma_f64 v[63:64], v[63:64], v[6:7], -v[8:9]
	scratch_load_b128 v[6:9], off, off offset:688
	v_fma_f64 v[172:173], v[4:5], v[10:11], v[176:177]
	v_add_f64 v[61:62], v[61:62], v[174:175]
	v_add_f64 v[91:92], v[170:171], v[91:92]
	v_fma_f64 v[174:175], v[2:3], v[10:11], -v[12:13]
	scratch_load_b128 v[10:13], off, off offset:704
	ds_load_b128 v[2:5], v1 offset:1552
	s_waitcnt vmcnt(9) lgkmcnt(1)
	v_mul_f64 v[170:171], v[67:68], v[16:17]
	v_mul_f64 v[16:17], v[69:70], v[16:17]
	v_add_f64 v[176:177], v[61:62], v[63:64]
	v_add_f64 v[65:66], v[91:92], v[65:66]
	s_waitcnt vmcnt(8) lgkmcnt(0)
	v_mul_f64 v[91:92], v[2:3], v[20:21]
	v_mul_f64 v[20:21], v[4:5], v[20:21]
	ds_load_b128 v[61:64], v1 offset:1568
	v_fma_f64 v[69:70], v[69:70], v[14:15], v[170:171]
	v_fma_f64 v[67:68], v[67:68], v[14:15], -v[16:17]
	scratch_load_b128 v[14:17], off, off offset:720
	v_add_f64 v[170:171], v[176:177], v[174:175]
	v_add_f64 v[65:66], v[65:66], v[172:173]
	v_fma_f64 v[91:92], v[4:5], v[18:19], v[91:92]
	v_fma_f64 v[174:175], v[2:3], v[18:19], -v[20:21]
	scratch_load_b128 v[18:21], off, off offset:736
	ds_load_b128 v[2:5], v1 offset:1584
	s_waitcnt vmcnt(9) lgkmcnt(1)
	v_mul_f64 v[172:173], v[61:62], v[24:25]
	v_mul_f64 v[24:25], v[63:64], v[24:25]
	s_waitcnt vmcnt(8) lgkmcnt(0)
	v_mul_f64 v[176:177], v[2:3], v[28:29]
	v_mul_f64 v[28:29], v[4:5], v[28:29]
	v_add_f64 v[170:171], v[170:171], v[67:68]
	v_add_f64 v[69:70], v[65:66], v[69:70]
	ds_load_b128 v[65:68], v1 offset:1600
	v_fma_f64 v[63:64], v[63:64], v[22:23], v[172:173]
	v_fma_f64 v[61:62], v[61:62], v[22:23], -v[24:25]
	scratch_load_b128 v[22:25], off, off offset:752
	v_fma_f64 v[172:173], v[4:5], v[26:27], v[176:177]
	v_add_f64 v[170:171], v[170:171], v[174:175]
	v_add_f64 v[69:70], v[69:70], v[91:92]
	v_fma_f64 v[174:175], v[2:3], v[26:27], -v[28:29]
	scratch_load_b128 v[26:29], off, off offset:768
	ds_load_b128 v[2:5], v1 offset:1616
	s_waitcnt vmcnt(9) lgkmcnt(1)
	v_mul_f64 v[91:92], v[65:66], v[32:33]
	v_mul_f64 v[32:33], v[67:68], v[32:33]
	s_waitcnt vmcnt(8) lgkmcnt(0)
	v_mul_f64 v[176:177], v[2:3], v[36:37]
	v_mul_f64 v[36:37], v[4:5], v[36:37]
	v_add_f64 v[170:171], v[170:171], v[61:62]
	v_add_f64 v[69:70], v[69:70], v[63:64]
	ds_load_b128 v[61:64], v1 offset:1632
	v_fma_f64 v[67:68], v[67:68], v[30:31], v[91:92]
	v_fma_f64 v[65:66], v[65:66], v[30:31], -v[32:33]
	scratch_load_b128 v[30:33], off, off offset:784
	v_add_f64 v[91:92], v[170:171], v[174:175]
	v_add_f64 v[69:70], v[69:70], v[172:173]
	v_fma_f64 v[172:173], v[4:5], v[34:35], v[176:177]
	v_fma_f64 v[174:175], v[2:3], v[34:35], -v[36:37]
	scratch_load_b128 v[34:37], off, off offset:800
	ds_load_b128 v[2:5], v1 offset:1648
	s_waitcnt vmcnt(9) lgkmcnt(1)
	v_mul_f64 v[170:171], v[61:62], v[59:60]
	v_mul_f64 v[59:60], v[63:64], v[59:60]
	s_waitcnt vmcnt(8) lgkmcnt(0)
	v_mul_f64 v[176:177], v[2:3], v[40:41]
	v_mul_f64 v[40:41], v[4:5], v[40:41]
	v_add_f64 v[91:92], v[91:92], v[65:66]
	v_add_f64 v[69:70], v[69:70], v[67:68]
	ds_load_b128 v[65:68], v1 offset:1664
	v_fma_f64 v[63:64], v[63:64], v[57:58], v[170:171]
	v_fma_f64 v[61:62], v[61:62], v[57:58], -v[59:60]
	scratch_load_b128 v[57:60], off, off offset:816
	v_add_f64 v[91:92], v[91:92], v[174:175]
	v_add_f64 v[69:70], v[69:70], v[172:173]
	v_fma_f64 v[172:173], v[4:5], v[38:39], v[176:177]
	;; [unrolled: 18-line block ×6, first 2 shown]
	v_fma_f64 v[176:177], v[2:3], v[34:35], -v[36:37]
	scratch_load_b128 v[34:37], off, off offset:960
	ds_load_b128 v[2:5], v1 offset:1808
	s_waitcnt vmcnt(9) lgkmcnt(1)
	v_mul_f64 v[170:171], v[65:66], v[59:60]
	v_mul_f64 v[172:173], v[67:68], v[59:60]
	v_add_f64 v[91:92], v[91:92], v[61:62]
	v_add_f64 v[63:64], v[69:70], v[63:64]
	s_waitcnt vmcnt(8) lgkmcnt(0)
	v_mul_f64 v[69:70], v[2:3], v[40:41]
	v_mul_f64 v[40:41], v[4:5], v[40:41]
	ds_load_b128 v[59:62], v1 offset:1824
	v_fma_f64 v[67:68], v[67:68], v[57:58], v[170:171]
	v_fma_f64 v[57:58], v[65:66], v[57:58], -v[172:173]
	v_add_f64 v[65:66], v[91:92], v[176:177]
	v_add_f64 v[63:64], v[63:64], v[174:175]
	s_waitcnt vmcnt(7) lgkmcnt(0)
	v_mul_f64 v[91:92], v[59:60], v[8:9]
	v_mul_f64 v[8:9], v[61:62], v[8:9]
	v_fma_f64 v[69:70], v[4:5], v[38:39], v[69:70]
	v_fma_f64 v[170:171], v[2:3], v[38:39], -v[40:41]
	ds_load_b128 v[2:5], v1 offset:1840
	ds_load_b128 v[38:41], v1 offset:1856
	v_add_f64 v[57:58], v[65:66], v[57:58]
	v_add_f64 v[63:64], v[63:64], v[67:68]
	s_waitcnt vmcnt(6) lgkmcnt(1)
	v_mul_f64 v[65:66], v[2:3], v[12:13]
	v_mul_f64 v[12:13], v[4:5], v[12:13]
	v_fma_f64 v[61:62], v[61:62], v[6:7], v[91:92]
	v_fma_f64 v[6:7], v[59:60], v[6:7], -v[8:9]
	s_waitcnt vmcnt(5) lgkmcnt(0)
	v_mul_f64 v[59:60], v[38:39], v[16:17]
	v_mul_f64 v[16:17], v[40:41], v[16:17]
	v_add_f64 v[8:9], v[57:58], v[170:171]
	v_add_f64 v[57:58], v[63:64], v[69:70]
	v_fma_f64 v[63:64], v[4:5], v[10:11], v[65:66]
	v_fma_f64 v[10:11], v[2:3], v[10:11], -v[12:13]
	v_fma_f64 v[40:41], v[40:41], v[14:15], v[59:60]
	v_fma_f64 v[14:15], v[38:39], v[14:15], -v[16:17]
	v_add_f64 v[12:13], v[8:9], v[6:7]
	v_add_f64 v[57:58], v[57:58], v[61:62]
	ds_load_b128 v[2:5], v1 offset:1872
	ds_load_b128 v[6:9], v1 offset:1888
	s_waitcnt vmcnt(4) lgkmcnt(1)
	v_mul_f64 v[61:62], v[2:3], v[20:21]
	v_mul_f64 v[20:21], v[4:5], v[20:21]
	s_waitcnt vmcnt(3) lgkmcnt(0)
	v_mul_f64 v[16:17], v[6:7], v[24:25]
	v_mul_f64 v[24:25], v[8:9], v[24:25]
	v_add_f64 v[10:11], v[12:13], v[10:11]
	v_add_f64 v[12:13], v[57:58], v[63:64]
	v_fma_f64 v[38:39], v[4:5], v[18:19], v[61:62]
	v_fma_f64 v[18:19], v[2:3], v[18:19], -v[20:21]
	v_fma_f64 v[8:9], v[8:9], v[22:23], v[16:17]
	v_fma_f64 v[6:7], v[6:7], v[22:23], -v[24:25]
	v_add_f64 v[14:15], v[10:11], v[14:15]
	v_add_f64 v[20:21], v[12:13], v[40:41]
	ds_load_b128 v[2:5], v1 offset:1904
	ds_load_b128 v[10:13], v1 offset:1920
	s_waitcnt vmcnt(2) lgkmcnt(1)
	v_mul_f64 v[40:41], v[2:3], v[28:29]
	v_mul_f64 v[28:29], v[4:5], v[28:29]
	v_add_f64 v[14:15], v[14:15], v[18:19]
	v_add_f64 v[16:17], v[20:21], v[38:39]
	s_waitcnt vmcnt(1) lgkmcnt(0)
	v_mul_f64 v[18:19], v[10:11], v[32:33]
	v_mul_f64 v[20:21], v[12:13], v[32:33]
	v_fma_f64 v[22:23], v[4:5], v[26:27], v[40:41]
	v_fma_f64 v[24:25], v[2:3], v[26:27], -v[28:29]
	ds_load_b128 v[2:5], v1 offset:1936
	v_add_f64 v[6:7], v[14:15], v[6:7]
	v_add_f64 v[8:9], v[16:17], v[8:9]
	v_fma_f64 v[12:13], v[12:13], v[30:31], v[18:19]
	v_fma_f64 v[10:11], v[10:11], v[30:31], -v[20:21]
	s_waitcnt vmcnt(0) lgkmcnt(0)
	v_mul_f64 v[14:15], v[2:3], v[36:37]
	v_mul_f64 v[16:17], v[4:5], v[36:37]
	v_add_f64 v[6:7], v[6:7], v[24:25]
	v_add_f64 v[8:9], v[8:9], v[22:23]
	s_delay_alu instid0(VALU_DEP_4) | instskip(NEXT) | instid1(VALU_DEP_4)
	v_fma_f64 v[4:5], v[4:5], v[34:35], v[14:15]
	v_fma_f64 v[2:3], v[2:3], v[34:35], -v[16:17]
	s_delay_alu instid0(VALU_DEP_4) | instskip(NEXT) | instid1(VALU_DEP_4)
	v_add_f64 v[6:7], v[6:7], v[10:11]
	v_add_f64 v[8:9], v[8:9], v[12:13]
	s_delay_alu instid0(VALU_DEP_2) | instskip(NEXT) | instid1(VALU_DEP_2)
	v_add_f64 v[2:3], v[6:7], v[2:3]
	v_add_f64 v[4:5], v[8:9], v[4:5]
	s_delay_alu instid0(VALU_DEP_2) | instskip(NEXT) | instid1(VALU_DEP_2)
	v_add_f64 v[2:3], v[42:43], -v[2:3]
	v_add_f64 v[4:5], v[44:45], -v[4:5]
	scratch_store_b128 off, v[2:5], off offset:336
	v_cmpx_lt_u32_e32 20, v169
	s_cbranch_execz .LBB124_351
; %bb.350:
	scratch_load_b32 v2, off, off offset:1020 ; 4-byte Folded Reload
	v_mov_b32_e32 v3, v1
	v_mov_b32_e32 v4, v1
	s_waitcnt vmcnt(0)
	scratch_load_b128 v[5:8], v2, off
	v_mov_b32_e32 v2, v1
	scratch_store_b128 off, v[1:4], off offset:320
	s_waitcnt vmcnt(0)
	ds_store_b128 v229, v[5:8]
.LBB124_351:
	s_or_b32 exec_lo, exec_lo, s2
	s_waitcnt lgkmcnt(0)
	s_waitcnt_vscnt null, 0x0
	s_barrier
	buffer_gl0_inv
	s_clause 0x8
	scratch_load_b128 v[2:5], off, off offset:336
	scratch_load_b128 v[6:9], off, off offset:352
	;; [unrolled: 1-line block ×9, first 2 shown]
	ds_load_b128 v[42:45], v1 offset:1312
	ds_load_b128 v[38:41], v1 offset:1328
	s_clause 0x1
	scratch_load_b128 v[57:60], off, off offset:320
	scratch_load_b128 v[61:64], off, off offset:480
	s_mov_b32 s2, exec_lo
	s_waitcnt vmcnt(10) lgkmcnt(1)
	v_mul_f64 v[65:66], v[44:45], v[4:5]
	v_mul_f64 v[4:5], v[42:43], v[4:5]
	s_waitcnt vmcnt(9) lgkmcnt(0)
	v_mul_f64 v[69:70], v[38:39], v[8:9]
	v_mul_f64 v[8:9], v[40:41], v[8:9]
	s_delay_alu instid0(VALU_DEP_4) | instskip(NEXT) | instid1(VALU_DEP_4)
	v_fma_f64 v[91:92], v[42:43], v[2:3], -v[65:66]
	v_fma_f64 v[170:171], v[44:45], v[2:3], v[4:5]
	ds_load_b128 v[2:5], v1 offset:1344
	ds_load_b128 v[65:68], v1 offset:1360
	scratch_load_b128 v[42:45], off, off offset:496
	v_fma_f64 v[40:41], v[40:41], v[6:7], v[69:70]
	v_fma_f64 v[38:39], v[38:39], v[6:7], -v[8:9]
	scratch_load_b128 v[6:9], off, off offset:512
	s_waitcnt vmcnt(10) lgkmcnt(1)
	v_mul_f64 v[172:173], v[2:3], v[12:13]
	v_mul_f64 v[12:13], v[4:5], v[12:13]
	v_add_f64 v[69:70], v[91:92], 0
	v_add_f64 v[91:92], v[170:171], 0
	s_waitcnt vmcnt(9) lgkmcnt(0)
	v_mul_f64 v[170:171], v[65:66], v[16:17]
	v_mul_f64 v[16:17], v[67:68], v[16:17]
	v_fma_f64 v[172:173], v[4:5], v[10:11], v[172:173]
	v_fma_f64 v[174:175], v[2:3], v[10:11], -v[12:13]
	ds_load_b128 v[2:5], v1 offset:1376
	scratch_load_b128 v[10:13], off, off offset:528
	v_add_f64 v[69:70], v[69:70], v[38:39]
	v_add_f64 v[91:92], v[91:92], v[40:41]
	ds_load_b128 v[38:41], v1 offset:1392
	v_fma_f64 v[67:68], v[67:68], v[14:15], v[170:171]
	v_fma_f64 v[65:66], v[65:66], v[14:15], -v[16:17]
	scratch_load_b128 v[14:17], off, off offset:544
	s_waitcnt vmcnt(10) lgkmcnt(1)
	v_mul_f64 v[176:177], v[2:3], v[20:21]
	v_mul_f64 v[20:21], v[4:5], v[20:21]
	s_waitcnt vmcnt(9) lgkmcnt(0)
	v_mul_f64 v[170:171], v[38:39], v[24:25]
	v_mul_f64 v[24:25], v[40:41], v[24:25]
	v_add_f64 v[69:70], v[69:70], v[174:175]
	v_add_f64 v[91:92], v[91:92], v[172:173]
	v_fma_f64 v[172:173], v[4:5], v[18:19], v[176:177]
	v_fma_f64 v[174:175], v[2:3], v[18:19], -v[20:21]
	ds_load_b128 v[2:5], v1 offset:1408
	scratch_load_b128 v[18:21], off, off offset:560
	v_fma_f64 v[40:41], v[40:41], v[22:23], v[170:171]
	v_fma_f64 v[38:39], v[38:39], v[22:23], -v[24:25]
	scratch_load_b128 v[22:25], off, off offset:576
	v_add_f64 v[69:70], v[69:70], v[65:66]
	v_add_f64 v[91:92], v[91:92], v[67:68]
	ds_load_b128 v[65:68], v1 offset:1424
	s_waitcnt vmcnt(10) lgkmcnt(1)
	v_mul_f64 v[176:177], v[2:3], v[28:29]
	v_mul_f64 v[28:29], v[4:5], v[28:29]
	s_waitcnt vmcnt(9) lgkmcnt(0)
	v_mul_f64 v[170:171], v[65:66], v[32:33]
	v_mul_f64 v[32:33], v[67:68], v[32:33]
	v_add_f64 v[69:70], v[69:70], v[174:175]
	v_add_f64 v[91:92], v[91:92], v[172:173]
	v_fma_f64 v[172:173], v[4:5], v[26:27], v[176:177]
	v_fma_f64 v[174:175], v[2:3], v[26:27], -v[28:29]
	ds_load_b128 v[2:5], v1 offset:1440
	scratch_load_b128 v[26:29], off, off offset:592
	v_fma_f64 v[67:68], v[67:68], v[30:31], v[170:171]
	v_fma_f64 v[65:66], v[65:66], v[30:31], -v[32:33]
	scratch_load_b128 v[30:33], off, off offset:608
	v_add_f64 v[69:70], v[69:70], v[38:39]
	v_add_f64 v[91:92], v[91:92], v[40:41]
	ds_load_b128 v[38:41], v1 offset:1456
	s_waitcnt vmcnt(10) lgkmcnt(1)
	v_mul_f64 v[176:177], v[2:3], v[36:37]
	v_mul_f64 v[36:37], v[4:5], v[36:37]
	s_waitcnt vmcnt(8) lgkmcnt(0)
	v_mul_f64 v[170:171], v[38:39], v[63:64]
	v_add_f64 v[69:70], v[69:70], v[174:175]
	v_add_f64 v[91:92], v[91:92], v[172:173]
	v_mul_f64 v[172:173], v[40:41], v[63:64]
	v_fma_f64 v[174:175], v[4:5], v[34:35], v[176:177]
	v_fma_f64 v[176:177], v[2:3], v[34:35], -v[36:37]
	ds_load_b128 v[2:5], v1 offset:1472
	scratch_load_b128 v[34:37], off, off offset:624
	v_fma_f64 v[170:171], v[40:41], v[61:62], v[170:171]
	v_add_f64 v[69:70], v[69:70], v[65:66]
	v_add_f64 v[67:68], v[91:92], v[67:68]
	ds_load_b128 v[63:66], v1 offset:1488
	v_fma_f64 v[61:62], v[38:39], v[61:62], -v[172:173]
	scratch_load_b128 v[38:41], off, off offset:640
	s_waitcnt vmcnt(9) lgkmcnt(1)
	v_mul_f64 v[91:92], v[2:3], v[44:45]
	v_mul_f64 v[44:45], v[4:5], v[44:45]
	s_waitcnt vmcnt(8) lgkmcnt(0)
	v_mul_f64 v[172:173], v[63:64], v[8:9]
	v_mul_f64 v[8:9], v[65:66], v[8:9]
	v_add_f64 v[69:70], v[69:70], v[176:177]
	v_add_f64 v[67:68], v[67:68], v[174:175]
	v_fma_f64 v[91:92], v[4:5], v[42:43], v[91:92]
	v_fma_f64 v[174:175], v[2:3], v[42:43], -v[44:45]
	ds_load_b128 v[2:5], v1 offset:1504
	scratch_load_b128 v[42:45], off, off offset:656
	v_fma_f64 v[65:66], v[65:66], v[6:7], v[172:173]
	v_fma_f64 v[63:64], v[63:64], v[6:7], -v[8:9]
	scratch_load_b128 v[6:9], off, off offset:672
	v_add_f64 v[61:62], v[69:70], v[61:62]
	v_add_f64 v[170:171], v[67:68], v[170:171]
	ds_load_b128 v[67:70], v1 offset:1520
	s_waitcnt vmcnt(9) lgkmcnt(1)
	v_mul_f64 v[176:177], v[2:3], v[12:13]
	v_mul_f64 v[12:13], v[4:5], v[12:13]
	v_add_f64 v[61:62], v[61:62], v[174:175]
	v_add_f64 v[91:92], v[170:171], v[91:92]
	s_waitcnt vmcnt(8) lgkmcnt(0)
	v_mul_f64 v[170:171], v[67:68], v[16:17]
	v_mul_f64 v[16:17], v[69:70], v[16:17]
	v_fma_f64 v[172:173], v[4:5], v[10:11], v[176:177]
	v_fma_f64 v[174:175], v[2:3], v[10:11], -v[12:13]
	ds_load_b128 v[2:5], v1 offset:1536
	scratch_load_b128 v[10:13], off, off offset:688
	v_add_f64 v[176:177], v[61:62], v[63:64]
	v_add_f64 v[65:66], v[91:92], v[65:66]
	ds_load_b128 v[61:64], v1 offset:1552
	s_waitcnt vmcnt(8) lgkmcnt(1)
	v_mul_f64 v[91:92], v[2:3], v[20:21]
	v_mul_f64 v[20:21], v[4:5], v[20:21]
	v_fma_f64 v[69:70], v[69:70], v[14:15], v[170:171]
	v_fma_f64 v[67:68], v[67:68], v[14:15], -v[16:17]
	scratch_load_b128 v[14:17], off, off offset:704
	v_add_f64 v[170:171], v[176:177], v[174:175]
	v_add_f64 v[65:66], v[65:66], v[172:173]
	s_waitcnt vmcnt(8) lgkmcnt(0)
	v_mul_f64 v[172:173], v[61:62], v[24:25]
	v_mul_f64 v[24:25], v[63:64], v[24:25]
	v_fma_f64 v[91:92], v[4:5], v[18:19], v[91:92]
	v_fma_f64 v[174:175], v[2:3], v[18:19], -v[20:21]
	ds_load_b128 v[2:5], v1 offset:1568
	scratch_load_b128 v[18:21], off, off offset:720
	v_add_f64 v[170:171], v[170:171], v[67:68]
	v_add_f64 v[69:70], v[65:66], v[69:70]
	ds_load_b128 v[65:68], v1 offset:1584
	s_waitcnt vmcnt(8) lgkmcnt(1)
	v_mul_f64 v[176:177], v[2:3], v[28:29]
	v_mul_f64 v[28:29], v[4:5], v[28:29]
	v_fma_f64 v[63:64], v[63:64], v[22:23], v[172:173]
	v_fma_f64 v[61:62], v[61:62], v[22:23], -v[24:25]
	scratch_load_b128 v[22:25], off, off offset:736
	;; [unrolled: 18-line block ×4, first 2 shown]
	s_waitcnt vmcnt(8) lgkmcnt(0)
	v_mul_f64 v[170:171], v[65:66], v[8:9]
	v_mul_f64 v[8:9], v[67:68], v[8:9]
	v_add_f64 v[91:92], v[91:92], v[174:175]
	v_add_f64 v[69:70], v[69:70], v[172:173]
	v_fma_f64 v[172:173], v[4:5], v[42:43], v[176:177]
	v_fma_f64 v[174:175], v[2:3], v[42:43], -v[44:45]
	ds_load_b128 v[2:5], v1 offset:1664
	scratch_load_b128 v[42:45], off, off offset:816
	v_fma_f64 v[67:68], v[67:68], v[6:7], v[170:171]
	v_fma_f64 v[65:66], v[65:66], v[6:7], -v[8:9]
	scratch_load_b128 v[6:9], off, off offset:832
	v_add_f64 v[91:92], v[91:92], v[61:62]
	v_add_f64 v[69:70], v[69:70], v[63:64]
	ds_load_b128 v[61:64], v1 offset:1680
	s_waitcnt vmcnt(9) lgkmcnt(1)
	v_mul_f64 v[176:177], v[2:3], v[12:13]
	v_mul_f64 v[12:13], v[4:5], v[12:13]
	s_waitcnt vmcnt(8) lgkmcnt(0)
	v_mul_f64 v[170:171], v[61:62], v[16:17]
	v_mul_f64 v[16:17], v[63:64], v[16:17]
	v_add_f64 v[91:92], v[91:92], v[174:175]
	v_add_f64 v[69:70], v[69:70], v[172:173]
	v_fma_f64 v[172:173], v[4:5], v[10:11], v[176:177]
	v_fma_f64 v[174:175], v[2:3], v[10:11], -v[12:13]
	ds_load_b128 v[2:5], v1 offset:1696
	scratch_load_b128 v[10:13], off, off offset:848
	v_fma_f64 v[63:64], v[63:64], v[14:15], v[170:171]
	v_fma_f64 v[61:62], v[61:62], v[14:15], -v[16:17]
	scratch_load_b128 v[14:17], off, off offset:864
	v_add_f64 v[91:92], v[91:92], v[65:66]
	v_add_f64 v[69:70], v[69:70], v[67:68]
	ds_load_b128 v[65:68], v1 offset:1712
	s_waitcnt vmcnt(9) lgkmcnt(1)
	v_mul_f64 v[176:177], v[2:3], v[20:21]
	v_mul_f64 v[20:21], v[4:5], v[20:21]
	;; [unrolled: 18-line block ×5, first 2 shown]
	s_waitcnt vmcnt(8) lgkmcnt(0)
	v_mul_f64 v[170:171], v[61:62], v[8:9]
	v_mul_f64 v[8:9], v[63:64], v[8:9]
	v_add_f64 v[91:92], v[91:92], v[174:175]
	v_add_f64 v[69:70], v[69:70], v[172:173]
	v_fma_f64 v[172:173], v[4:5], v[42:43], v[176:177]
	v_fma_f64 v[174:175], v[2:3], v[42:43], -v[44:45]
	ds_load_b128 v[2:5], v1 offset:1824
	ds_load_b128 v[42:45], v1 offset:1840
	v_fma_f64 v[63:64], v[63:64], v[6:7], v[170:171]
	v_fma_f64 v[6:7], v[61:62], v[6:7], -v[8:9]
	v_add_f64 v[65:66], v[91:92], v[65:66]
	v_add_f64 v[67:68], v[69:70], v[67:68]
	s_waitcnt vmcnt(7) lgkmcnt(1)
	v_mul_f64 v[69:70], v[2:3], v[12:13]
	v_mul_f64 v[12:13], v[4:5], v[12:13]
	s_delay_alu instid0(VALU_DEP_4) | instskip(NEXT) | instid1(VALU_DEP_4)
	v_add_f64 v[8:9], v[65:66], v[174:175]
	v_add_f64 v[61:62], v[67:68], v[172:173]
	s_waitcnt vmcnt(6) lgkmcnt(0)
	v_mul_f64 v[65:66], v[42:43], v[16:17]
	v_mul_f64 v[16:17], v[44:45], v[16:17]
	v_fma_f64 v[67:68], v[4:5], v[10:11], v[69:70]
	v_fma_f64 v[10:11], v[2:3], v[10:11], -v[12:13]
	v_add_f64 v[12:13], v[8:9], v[6:7]
	v_add_f64 v[61:62], v[61:62], v[63:64]
	ds_load_b128 v[2:5], v1 offset:1856
	ds_load_b128 v[6:9], v1 offset:1872
	v_fma_f64 v[44:45], v[44:45], v[14:15], v[65:66]
	v_fma_f64 v[14:15], v[42:43], v[14:15], -v[16:17]
	s_waitcnt vmcnt(5) lgkmcnt(1)
	v_mul_f64 v[63:64], v[2:3], v[20:21]
	v_mul_f64 v[20:21], v[4:5], v[20:21]
	s_waitcnt vmcnt(4) lgkmcnt(0)
	v_mul_f64 v[16:17], v[6:7], v[24:25]
	v_mul_f64 v[24:25], v[8:9], v[24:25]
	v_add_f64 v[10:11], v[12:13], v[10:11]
	v_add_f64 v[12:13], v[61:62], v[67:68]
	v_fma_f64 v[42:43], v[4:5], v[18:19], v[63:64]
	v_fma_f64 v[18:19], v[2:3], v[18:19], -v[20:21]
	v_fma_f64 v[8:9], v[8:9], v[22:23], v[16:17]
	v_fma_f64 v[6:7], v[6:7], v[22:23], -v[24:25]
	v_add_f64 v[14:15], v[10:11], v[14:15]
	v_add_f64 v[20:21], v[12:13], v[44:45]
	ds_load_b128 v[2:5], v1 offset:1888
	ds_load_b128 v[10:13], v1 offset:1904
	s_waitcnt vmcnt(3) lgkmcnt(1)
	v_mul_f64 v[44:45], v[2:3], v[28:29]
	v_mul_f64 v[28:29], v[4:5], v[28:29]
	v_add_f64 v[14:15], v[14:15], v[18:19]
	v_add_f64 v[16:17], v[20:21], v[42:43]
	s_waitcnt vmcnt(2) lgkmcnt(0)
	v_mul_f64 v[18:19], v[10:11], v[32:33]
	v_mul_f64 v[20:21], v[12:13], v[32:33]
	v_fma_f64 v[22:23], v[4:5], v[26:27], v[44:45]
	v_fma_f64 v[24:25], v[2:3], v[26:27], -v[28:29]
	v_add_f64 v[14:15], v[14:15], v[6:7]
	v_add_f64 v[16:17], v[16:17], v[8:9]
	ds_load_b128 v[2:5], v1 offset:1920
	ds_load_b128 v[6:9], v1 offset:1936
	v_fma_f64 v[12:13], v[12:13], v[30:31], v[18:19]
	v_fma_f64 v[10:11], v[10:11], v[30:31], -v[20:21]
	s_waitcnt vmcnt(1) lgkmcnt(1)
	v_mul_f64 v[26:27], v[2:3], v[36:37]
	v_mul_f64 v[28:29], v[4:5], v[36:37]
	s_waitcnt vmcnt(0) lgkmcnt(0)
	v_mul_f64 v[18:19], v[6:7], v[40:41]
	v_mul_f64 v[20:21], v[8:9], v[40:41]
	v_add_f64 v[14:15], v[14:15], v[24:25]
	v_add_f64 v[16:17], v[16:17], v[22:23]
	v_fma_f64 v[4:5], v[4:5], v[34:35], v[26:27]
	v_fma_f64 v[1:2], v[2:3], v[34:35], -v[28:29]
	v_fma_f64 v[8:9], v[8:9], v[38:39], v[18:19]
	v_fma_f64 v[6:7], v[6:7], v[38:39], -v[20:21]
	v_add_f64 v[10:11], v[14:15], v[10:11]
	v_add_f64 v[12:13], v[16:17], v[12:13]
	s_delay_alu instid0(VALU_DEP_2) | instskip(NEXT) | instid1(VALU_DEP_2)
	v_add_f64 v[1:2], v[10:11], v[1:2]
	v_add_f64 v[3:4], v[12:13], v[4:5]
	s_delay_alu instid0(VALU_DEP_2) | instskip(NEXT) | instid1(VALU_DEP_2)
	;; [unrolled: 3-line block ×3, first 2 shown]
	v_add_f64 v[1:2], v[57:58], -v[1:2]
	v_add_f64 v[3:4], v[59:60], -v[3:4]
	scratch_store_b128 off, v[1:4], off offset:320
	v_cmpx_lt_u32_e32 19, v169
	s_cbranch_execz .LBB124_353
; %bb.352:
	scratch_load_b32 v1, off, off offset:1024 ; 4-byte Folded Reload
	v_mov_b32_e32 v5, 0
	s_delay_alu instid0(VALU_DEP_1)
	v_mov_b32_e32 v6, v5
	v_mov_b32_e32 v7, v5
	v_mov_b32_e32 v8, v5
	s_waitcnt vmcnt(0)
	scratch_load_b128 v[1:4], v1, off
	scratch_store_b128 off, v[5:8], off offset:304
	s_waitcnt vmcnt(0)
	ds_store_b128 v229, v[1:4]
.LBB124_353:
	s_or_b32 exec_lo, exec_lo, s2
	s_waitcnt lgkmcnt(0)
	s_waitcnt_vscnt null, 0x0
	s_barrier
	buffer_gl0_inv
	s_clause 0x7
	scratch_load_b128 v[2:5], off, off offset:320
	scratch_load_b128 v[6:9], off, off offset:336
	;; [unrolled: 1-line block ×8, first 2 shown]
	v_mov_b32_e32 v1, 0
	s_mov_b32 s2, exec_lo
	ds_load_b128 v[38:41], v1 offset:1296
	s_clause 0x1
	scratch_load_b128 v[34:37], off, off offset:448
	scratch_load_b128 v[42:45], off, off offset:304
	ds_load_b128 v[57:60], v1 offset:1312
	scratch_load_b128 v[61:64], off, off offset:464
	s_waitcnt vmcnt(10) lgkmcnt(1)
	v_mul_f64 v[65:66], v[40:41], v[4:5]
	v_mul_f64 v[4:5], v[38:39], v[4:5]
	s_delay_alu instid0(VALU_DEP_2) | instskip(NEXT) | instid1(VALU_DEP_2)
	v_fma_f64 v[91:92], v[38:39], v[2:3], -v[65:66]
	v_fma_f64 v[170:171], v[40:41], v[2:3], v[4:5]
	scratch_load_b128 v[38:41], off, off offset:480
	ds_load_b128 v[2:5], v1 offset:1328
	s_waitcnt vmcnt(10) lgkmcnt(1)
	v_mul_f64 v[69:70], v[57:58], v[8:9]
	v_mul_f64 v[8:9], v[59:60], v[8:9]
	ds_load_b128 v[65:68], v1 offset:1344
	s_waitcnt vmcnt(9) lgkmcnt(1)
	v_mul_f64 v[172:173], v[2:3], v[12:13]
	v_mul_f64 v[12:13], v[4:5], v[12:13]
	v_fma_f64 v[59:60], v[59:60], v[6:7], v[69:70]
	v_fma_f64 v[57:58], v[57:58], v[6:7], -v[8:9]
	v_add_f64 v[69:70], v[91:92], 0
	v_add_f64 v[91:92], v[170:171], 0
	scratch_load_b128 v[6:9], off, off offset:496
	v_fma_f64 v[172:173], v[4:5], v[10:11], v[172:173]
	v_fma_f64 v[174:175], v[2:3], v[10:11], -v[12:13]
	scratch_load_b128 v[10:13], off, off offset:512
	ds_load_b128 v[2:5], v1 offset:1360
	s_waitcnt vmcnt(10) lgkmcnt(1)
	v_mul_f64 v[170:171], v[65:66], v[16:17]
	v_mul_f64 v[16:17], v[67:68], v[16:17]
	v_add_f64 v[69:70], v[69:70], v[57:58]
	v_add_f64 v[91:92], v[91:92], v[59:60]
	s_waitcnt vmcnt(9) lgkmcnt(0)
	v_mul_f64 v[176:177], v[2:3], v[20:21]
	v_mul_f64 v[20:21], v[4:5], v[20:21]
	ds_load_b128 v[57:60], v1 offset:1376
	v_fma_f64 v[67:68], v[67:68], v[14:15], v[170:171]
	v_fma_f64 v[65:66], v[65:66], v[14:15], -v[16:17]
	scratch_load_b128 v[14:17], off, off offset:528
	v_add_f64 v[69:70], v[69:70], v[174:175]
	v_add_f64 v[91:92], v[91:92], v[172:173]
	v_fma_f64 v[172:173], v[4:5], v[18:19], v[176:177]
	v_fma_f64 v[174:175], v[2:3], v[18:19], -v[20:21]
	scratch_load_b128 v[18:21], off, off offset:544
	ds_load_b128 v[2:5], v1 offset:1392
	s_waitcnt vmcnt(10) lgkmcnt(1)
	v_mul_f64 v[170:171], v[57:58], v[24:25]
	v_mul_f64 v[24:25], v[59:60], v[24:25]
	s_waitcnt vmcnt(9) lgkmcnt(0)
	v_mul_f64 v[176:177], v[2:3], v[28:29]
	v_mul_f64 v[28:29], v[4:5], v[28:29]
	v_add_f64 v[69:70], v[69:70], v[65:66]
	v_add_f64 v[91:92], v[91:92], v[67:68]
	ds_load_b128 v[65:68], v1 offset:1408
	v_fma_f64 v[59:60], v[59:60], v[22:23], v[170:171]
	v_fma_f64 v[57:58], v[57:58], v[22:23], -v[24:25]
	scratch_load_b128 v[22:25], off, off offset:560
	v_add_f64 v[69:70], v[69:70], v[174:175]
	v_add_f64 v[91:92], v[91:92], v[172:173]
	v_fma_f64 v[172:173], v[4:5], v[26:27], v[176:177]
	v_fma_f64 v[174:175], v[2:3], v[26:27], -v[28:29]
	scratch_load_b128 v[26:29], off, off offset:576
	ds_load_b128 v[2:5], v1 offset:1424
	s_waitcnt vmcnt(10) lgkmcnt(1)
	v_mul_f64 v[170:171], v[65:66], v[32:33]
	v_mul_f64 v[32:33], v[67:68], v[32:33]
	s_waitcnt vmcnt(9) lgkmcnt(0)
	v_mul_f64 v[176:177], v[2:3], v[36:37]
	v_mul_f64 v[36:37], v[4:5], v[36:37]
	v_add_f64 v[69:70], v[69:70], v[57:58]
	v_add_f64 v[91:92], v[91:92], v[59:60]
	ds_load_b128 v[57:60], v1 offset:1440
	v_fma_f64 v[67:68], v[67:68], v[30:31], v[170:171]
	v_fma_f64 v[65:66], v[65:66], v[30:31], -v[32:33]
	scratch_load_b128 v[30:33], off, off offset:592
	v_add_f64 v[69:70], v[69:70], v[174:175]
	v_add_f64 v[91:92], v[91:92], v[172:173]
	v_fma_f64 v[174:175], v[4:5], v[34:35], v[176:177]
	v_fma_f64 v[176:177], v[2:3], v[34:35], -v[36:37]
	scratch_load_b128 v[34:37], off, off offset:608
	ds_load_b128 v[2:5], v1 offset:1456
	s_waitcnt vmcnt(9) lgkmcnt(1)
	v_mul_f64 v[170:171], v[57:58], v[63:64]
	v_mul_f64 v[172:173], v[59:60], v[63:64]
	v_add_f64 v[69:70], v[69:70], v[65:66]
	v_add_f64 v[67:68], v[91:92], v[67:68]
	ds_load_b128 v[63:66], v1 offset:1472
	v_fma_f64 v[170:171], v[59:60], v[61:62], v[170:171]
	v_fma_f64 v[61:62], v[57:58], v[61:62], -v[172:173]
	scratch_load_b128 v[57:60], off, off offset:624
	s_waitcnt vmcnt(9) lgkmcnt(1)
	v_mul_f64 v[91:92], v[2:3], v[40:41]
	v_mul_f64 v[40:41], v[4:5], v[40:41]
	v_add_f64 v[69:70], v[69:70], v[176:177]
	v_add_f64 v[67:68], v[67:68], v[174:175]
	s_delay_alu instid0(VALU_DEP_4) | instskip(NEXT) | instid1(VALU_DEP_4)
	v_fma_f64 v[91:92], v[4:5], v[38:39], v[91:92]
	v_fma_f64 v[174:175], v[2:3], v[38:39], -v[40:41]
	scratch_load_b128 v[38:41], off, off offset:640
	ds_load_b128 v[2:5], v1 offset:1488
	s_waitcnt vmcnt(9) lgkmcnt(1)
	v_mul_f64 v[172:173], v[63:64], v[8:9]
	v_mul_f64 v[8:9], v[65:66], v[8:9]
	s_waitcnt vmcnt(8) lgkmcnt(0)
	v_mul_f64 v[176:177], v[2:3], v[12:13]
	v_mul_f64 v[12:13], v[4:5], v[12:13]
	v_add_f64 v[61:62], v[69:70], v[61:62]
	v_add_f64 v[170:171], v[67:68], v[170:171]
	ds_load_b128 v[67:70], v1 offset:1504
	v_fma_f64 v[65:66], v[65:66], v[6:7], v[172:173]
	v_fma_f64 v[63:64], v[63:64], v[6:7], -v[8:9]
	scratch_load_b128 v[6:9], off, off offset:656
	v_fma_f64 v[172:173], v[4:5], v[10:11], v[176:177]
	v_add_f64 v[61:62], v[61:62], v[174:175]
	v_add_f64 v[91:92], v[170:171], v[91:92]
	v_fma_f64 v[174:175], v[2:3], v[10:11], -v[12:13]
	scratch_load_b128 v[10:13], off, off offset:672
	ds_load_b128 v[2:5], v1 offset:1520
	s_waitcnt vmcnt(9) lgkmcnt(1)
	v_mul_f64 v[170:171], v[67:68], v[16:17]
	v_mul_f64 v[16:17], v[69:70], v[16:17]
	v_add_f64 v[176:177], v[61:62], v[63:64]
	v_add_f64 v[65:66], v[91:92], v[65:66]
	s_waitcnt vmcnt(8) lgkmcnt(0)
	v_mul_f64 v[91:92], v[2:3], v[20:21]
	v_mul_f64 v[20:21], v[4:5], v[20:21]
	ds_load_b128 v[61:64], v1 offset:1536
	v_fma_f64 v[69:70], v[69:70], v[14:15], v[170:171]
	v_fma_f64 v[67:68], v[67:68], v[14:15], -v[16:17]
	scratch_load_b128 v[14:17], off, off offset:688
	v_add_f64 v[170:171], v[176:177], v[174:175]
	v_add_f64 v[65:66], v[65:66], v[172:173]
	v_fma_f64 v[91:92], v[4:5], v[18:19], v[91:92]
	v_fma_f64 v[174:175], v[2:3], v[18:19], -v[20:21]
	scratch_load_b128 v[18:21], off, off offset:704
	ds_load_b128 v[2:5], v1 offset:1552
	s_waitcnt vmcnt(9) lgkmcnt(1)
	v_mul_f64 v[172:173], v[61:62], v[24:25]
	v_mul_f64 v[24:25], v[63:64], v[24:25]
	s_waitcnt vmcnt(8) lgkmcnt(0)
	v_mul_f64 v[176:177], v[2:3], v[28:29]
	v_mul_f64 v[28:29], v[4:5], v[28:29]
	v_add_f64 v[170:171], v[170:171], v[67:68]
	v_add_f64 v[69:70], v[65:66], v[69:70]
	ds_load_b128 v[65:68], v1 offset:1568
	v_fma_f64 v[63:64], v[63:64], v[22:23], v[172:173]
	v_fma_f64 v[61:62], v[61:62], v[22:23], -v[24:25]
	scratch_load_b128 v[22:25], off, off offset:720
	v_fma_f64 v[172:173], v[4:5], v[26:27], v[176:177]
	v_add_f64 v[170:171], v[170:171], v[174:175]
	v_add_f64 v[69:70], v[69:70], v[91:92]
	v_fma_f64 v[174:175], v[2:3], v[26:27], -v[28:29]
	scratch_load_b128 v[26:29], off, off offset:736
	ds_load_b128 v[2:5], v1 offset:1584
	s_waitcnt vmcnt(9) lgkmcnt(1)
	v_mul_f64 v[91:92], v[65:66], v[32:33]
	v_mul_f64 v[32:33], v[67:68], v[32:33]
	s_waitcnt vmcnt(8) lgkmcnt(0)
	v_mul_f64 v[176:177], v[2:3], v[36:37]
	v_mul_f64 v[36:37], v[4:5], v[36:37]
	v_add_f64 v[170:171], v[170:171], v[61:62]
	v_add_f64 v[69:70], v[69:70], v[63:64]
	ds_load_b128 v[61:64], v1 offset:1600
	v_fma_f64 v[67:68], v[67:68], v[30:31], v[91:92]
	v_fma_f64 v[65:66], v[65:66], v[30:31], -v[32:33]
	scratch_load_b128 v[30:33], off, off offset:752
	v_add_f64 v[91:92], v[170:171], v[174:175]
	v_add_f64 v[69:70], v[69:70], v[172:173]
	v_fma_f64 v[172:173], v[4:5], v[34:35], v[176:177]
	v_fma_f64 v[174:175], v[2:3], v[34:35], -v[36:37]
	scratch_load_b128 v[34:37], off, off offset:768
	ds_load_b128 v[2:5], v1 offset:1616
	s_waitcnt vmcnt(9) lgkmcnt(1)
	v_mul_f64 v[170:171], v[61:62], v[59:60]
	v_mul_f64 v[59:60], v[63:64], v[59:60]
	s_waitcnt vmcnt(8) lgkmcnt(0)
	v_mul_f64 v[176:177], v[2:3], v[40:41]
	v_mul_f64 v[40:41], v[4:5], v[40:41]
	v_add_f64 v[91:92], v[91:92], v[65:66]
	v_add_f64 v[69:70], v[69:70], v[67:68]
	ds_load_b128 v[65:68], v1 offset:1632
	v_fma_f64 v[63:64], v[63:64], v[57:58], v[170:171]
	v_fma_f64 v[61:62], v[61:62], v[57:58], -v[59:60]
	scratch_load_b128 v[57:60], off, off offset:784
	v_add_f64 v[91:92], v[91:92], v[174:175]
	v_add_f64 v[69:70], v[69:70], v[172:173]
	v_fma_f64 v[172:173], v[4:5], v[38:39], v[176:177]
	;; [unrolled: 18-line block ×6, first 2 shown]
	v_fma_f64 v[176:177], v[2:3], v[34:35], -v[36:37]
	scratch_load_b128 v[34:37], off, off offset:928
	ds_load_b128 v[2:5], v1 offset:1776
	s_waitcnt vmcnt(9) lgkmcnt(1)
	v_mul_f64 v[170:171], v[65:66], v[59:60]
	v_mul_f64 v[172:173], v[67:68], v[59:60]
	v_add_f64 v[91:92], v[91:92], v[61:62]
	v_add_f64 v[63:64], v[69:70], v[63:64]
	s_waitcnt vmcnt(8) lgkmcnt(0)
	v_mul_f64 v[69:70], v[2:3], v[40:41]
	v_mul_f64 v[40:41], v[4:5], v[40:41]
	ds_load_b128 v[59:62], v1 offset:1792
	v_fma_f64 v[67:68], v[67:68], v[57:58], v[170:171]
	v_fma_f64 v[57:58], v[65:66], v[57:58], -v[172:173]
	v_add_f64 v[91:92], v[91:92], v[176:177]
	v_add_f64 v[170:171], v[63:64], v[174:175]
	scratch_load_b128 v[63:66], off, off offset:944
	v_fma_f64 v[174:175], v[4:5], v[38:39], v[69:70]
	v_fma_f64 v[176:177], v[2:3], v[38:39], -v[40:41]
	scratch_load_b128 v[38:41], off, off offset:960
	ds_load_b128 v[2:5], v1 offset:1808
	s_waitcnt vmcnt(9) lgkmcnt(1)
	v_mul_f64 v[172:173], v[59:60], v[8:9]
	v_mul_f64 v[8:9], v[61:62], v[8:9]
	v_add_f64 v[57:58], v[91:92], v[57:58]
	v_add_f64 v[91:92], v[170:171], v[67:68]
	s_waitcnt vmcnt(8) lgkmcnt(0)
	v_mul_f64 v[170:171], v[2:3], v[12:13]
	v_mul_f64 v[12:13], v[4:5], v[12:13]
	ds_load_b128 v[67:70], v1 offset:1824
	v_fma_f64 v[61:62], v[61:62], v[6:7], v[172:173]
	v_fma_f64 v[6:7], v[59:60], v[6:7], -v[8:9]
	s_waitcnt vmcnt(7) lgkmcnt(0)
	v_mul_f64 v[59:60], v[67:68], v[16:17]
	v_mul_f64 v[16:17], v[69:70], v[16:17]
	v_add_f64 v[8:9], v[57:58], v[176:177]
	v_add_f64 v[57:58], v[91:92], v[174:175]
	v_fma_f64 v[91:92], v[4:5], v[10:11], v[170:171]
	v_fma_f64 v[10:11], v[2:3], v[10:11], -v[12:13]
	v_fma_f64 v[59:60], v[69:70], v[14:15], v[59:60]
	v_fma_f64 v[14:15], v[67:68], v[14:15], -v[16:17]
	v_add_f64 v[12:13], v[8:9], v[6:7]
	v_add_f64 v[57:58], v[57:58], v[61:62]
	ds_load_b128 v[2:5], v1 offset:1840
	ds_load_b128 v[6:9], v1 offset:1856
	s_waitcnt vmcnt(6) lgkmcnt(1)
	v_mul_f64 v[61:62], v[2:3], v[20:21]
	v_mul_f64 v[20:21], v[4:5], v[20:21]
	s_waitcnt vmcnt(5) lgkmcnt(0)
	v_mul_f64 v[16:17], v[6:7], v[24:25]
	v_mul_f64 v[24:25], v[8:9], v[24:25]
	v_add_f64 v[10:11], v[12:13], v[10:11]
	v_add_f64 v[12:13], v[57:58], v[91:92]
	v_fma_f64 v[57:58], v[4:5], v[18:19], v[61:62]
	v_fma_f64 v[18:19], v[2:3], v[18:19], -v[20:21]
	v_fma_f64 v[8:9], v[8:9], v[22:23], v[16:17]
	v_fma_f64 v[6:7], v[6:7], v[22:23], -v[24:25]
	v_add_f64 v[14:15], v[10:11], v[14:15]
	v_add_f64 v[20:21], v[12:13], v[59:60]
	ds_load_b128 v[2:5], v1 offset:1872
	ds_load_b128 v[10:13], v1 offset:1888
	s_waitcnt vmcnt(4) lgkmcnt(1)
	v_mul_f64 v[59:60], v[2:3], v[28:29]
	v_mul_f64 v[28:29], v[4:5], v[28:29]
	v_add_f64 v[14:15], v[14:15], v[18:19]
	v_add_f64 v[16:17], v[20:21], v[57:58]
	s_waitcnt vmcnt(3) lgkmcnt(0)
	v_mul_f64 v[18:19], v[10:11], v[32:33]
	v_mul_f64 v[20:21], v[12:13], v[32:33]
	v_fma_f64 v[22:23], v[4:5], v[26:27], v[59:60]
	v_fma_f64 v[24:25], v[2:3], v[26:27], -v[28:29]
	v_add_f64 v[14:15], v[14:15], v[6:7]
	v_add_f64 v[16:17], v[16:17], v[8:9]
	ds_load_b128 v[2:5], v1 offset:1904
	ds_load_b128 v[6:9], v1 offset:1920
	v_fma_f64 v[12:13], v[12:13], v[30:31], v[18:19]
	v_fma_f64 v[10:11], v[10:11], v[30:31], -v[20:21]
	s_waitcnt vmcnt(2) lgkmcnt(1)
	v_mul_f64 v[26:27], v[2:3], v[36:37]
	v_mul_f64 v[28:29], v[4:5], v[36:37]
	v_add_f64 v[14:15], v[14:15], v[24:25]
	v_add_f64 v[16:17], v[16:17], v[22:23]
	s_waitcnt vmcnt(1) lgkmcnt(0)
	v_mul_f64 v[18:19], v[6:7], v[65:66]
	v_mul_f64 v[20:21], v[8:9], v[65:66]
	v_fma_f64 v[22:23], v[4:5], v[34:35], v[26:27]
	v_fma_f64 v[24:25], v[2:3], v[34:35], -v[28:29]
	ds_load_b128 v[2:5], v1 offset:1936
	v_add_f64 v[10:11], v[14:15], v[10:11]
	v_add_f64 v[12:13], v[16:17], v[12:13]
	s_waitcnt vmcnt(0) lgkmcnt(0)
	v_mul_f64 v[14:15], v[2:3], v[40:41]
	v_mul_f64 v[16:17], v[4:5], v[40:41]
	v_fma_f64 v[8:9], v[8:9], v[63:64], v[18:19]
	v_fma_f64 v[6:7], v[6:7], v[63:64], -v[20:21]
	v_add_f64 v[10:11], v[10:11], v[24:25]
	v_add_f64 v[12:13], v[12:13], v[22:23]
	v_fma_f64 v[4:5], v[4:5], v[38:39], v[14:15]
	v_fma_f64 v[2:3], v[2:3], v[38:39], -v[16:17]
	s_delay_alu instid0(VALU_DEP_4) | instskip(NEXT) | instid1(VALU_DEP_4)
	v_add_f64 v[6:7], v[10:11], v[6:7]
	v_add_f64 v[8:9], v[12:13], v[8:9]
	s_delay_alu instid0(VALU_DEP_2) | instskip(NEXT) | instid1(VALU_DEP_2)
	v_add_f64 v[2:3], v[6:7], v[2:3]
	v_add_f64 v[4:5], v[8:9], v[4:5]
	s_delay_alu instid0(VALU_DEP_2) | instskip(NEXT) | instid1(VALU_DEP_2)
	v_add_f64 v[2:3], v[42:43], -v[2:3]
	v_add_f64 v[4:5], v[44:45], -v[4:5]
	scratch_store_b128 off, v[2:5], off offset:304
	v_cmpx_lt_u32_e32 18, v169
	s_cbranch_execz .LBB124_355
; %bb.354:
	scratch_load_b32 v2, off, off offset:1028 ; 4-byte Folded Reload
	v_mov_b32_e32 v3, v1
	v_mov_b32_e32 v4, v1
	s_waitcnt vmcnt(0)
	scratch_load_b128 v[5:8], v2, off
	v_mov_b32_e32 v2, v1
	scratch_store_b128 off, v[1:4], off offset:288
	s_waitcnt vmcnt(0)
	ds_store_b128 v229, v[5:8]
.LBB124_355:
	s_or_b32 exec_lo, exec_lo, s2
	s_waitcnt lgkmcnt(0)
	s_waitcnt_vscnt null, 0x0
	s_barrier
	buffer_gl0_inv
	s_clause 0x8
	scratch_load_b128 v[2:5], off, off offset:304
	scratch_load_b128 v[6:9], off, off offset:320
	;; [unrolled: 1-line block ×9, first 2 shown]
	ds_load_b128 v[42:45], v1 offset:1280
	ds_load_b128 v[38:41], v1 offset:1296
	s_clause 0x1
	scratch_load_b128 v[57:60], off, off offset:288
	scratch_load_b128 v[61:64], off, off offset:448
	s_mov_b32 s2, exec_lo
	s_waitcnt vmcnt(10) lgkmcnt(1)
	v_mul_f64 v[65:66], v[44:45], v[4:5]
	v_mul_f64 v[4:5], v[42:43], v[4:5]
	s_waitcnt vmcnt(9) lgkmcnt(0)
	v_mul_f64 v[69:70], v[38:39], v[8:9]
	v_mul_f64 v[8:9], v[40:41], v[8:9]
	s_delay_alu instid0(VALU_DEP_4) | instskip(NEXT) | instid1(VALU_DEP_4)
	v_fma_f64 v[91:92], v[42:43], v[2:3], -v[65:66]
	v_fma_f64 v[170:171], v[44:45], v[2:3], v[4:5]
	ds_load_b128 v[2:5], v1 offset:1312
	ds_load_b128 v[65:68], v1 offset:1328
	scratch_load_b128 v[42:45], off, off offset:464
	v_fma_f64 v[40:41], v[40:41], v[6:7], v[69:70]
	v_fma_f64 v[38:39], v[38:39], v[6:7], -v[8:9]
	scratch_load_b128 v[6:9], off, off offset:480
	s_waitcnt vmcnt(10) lgkmcnt(1)
	v_mul_f64 v[172:173], v[2:3], v[12:13]
	v_mul_f64 v[12:13], v[4:5], v[12:13]
	v_add_f64 v[69:70], v[91:92], 0
	v_add_f64 v[91:92], v[170:171], 0
	s_waitcnt vmcnt(9) lgkmcnt(0)
	v_mul_f64 v[170:171], v[65:66], v[16:17]
	v_mul_f64 v[16:17], v[67:68], v[16:17]
	v_fma_f64 v[172:173], v[4:5], v[10:11], v[172:173]
	v_fma_f64 v[174:175], v[2:3], v[10:11], -v[12:13]
	ds_load_b128 v[2:5], v1 offset:1344
	scratch_load_b128 v[10:13], off, off offset:496
	v_add_f64 v[69:70], v[69:70], v[38:39]
	v_add_f64 v[91:92], v[91:92], v[40:41]
	ds_load_b128 v[38:41], v1 offset:1360
	v_fma_f64 v[67:68], v[67:68], v[14:15], v[170:171]
	v_fma_f64 v[65:66], v[65:66], v[14:15], -v[16:17]
	scratch_load_b128 v[14:17], off, off offset:512
	s_waitcnt vmcnt(10) lgkmcnt(1)
	v_mul_f64 v[176:177], v[2:3], v[20:21]
	v_mul_f64 v[20:21], v[4:5], v[20:21]
	s_waitcnt vmcnt(9) lgkmcnt(0)
	v_mul_f64 v[170:171], v[38:39], v[24:25]
	v_mul_f64 v[24:25], v[40:41], v[24:25]
	v_add_f64 v[69:70], v[69:70], v[174:175]
	v_add_f64 v[91:92], v[91:92], v[172:173]
	v_fma_f64 v[172:173], v[4:5], v[18:19], v[176:177]
	v_fma_f64 v[174:175], v[2:3], v[18:19], -v[20:21]
	ds_load_b128 v[2:5], v1 offset:1376
	scratch_load_b128 v[18:21], off, off offset:528
	v_fma_f64 v[40:41], v[40:41], v[22:23], v[170:171]
	v_fma_f64 v[38:39], v[38:39], v[22:23], -v[24:25]
	scratch_load_b128 v[22:25], off, off offset:544
	v_add_f64 v[69:70], v[69:70], v[65:66]
	v_add_f64 v[91:92], v[91:92], v[67:68]
	ds_load_b128 v[65:68], v1 offset:1392
	s_waitcnt vmcnt(10) lgkmcnt(1)
	v_mul_f64 v[176:177], v[2:3], v[28:29]
	v_mul_f64 v[28:29], v[4:5], v[28:29]
	s_waitcnt vmcnt(9) lgkmcnt(0)
	v_mul_f64 v[170:171], v[65:66], v[32:33]
	v_mul_f64 v[32:33], v[67:68], v[32:33]
	v_add_f64 v[69:70], v[69:70], v[174:175]
	v_add_f64 v[91:92], v[91:92], v[172:173]
	v_fma_f64 v[172:173], v[4:5], v[26:27], v[176:177]
	v_fma_f64 v[174:175], v[2:3], v[26:27], -v[28:29]
	ds_load_b128 v[2:5], v1 offset:1408
	scratch_load_b128 v[26:29], off, off offset:560
	v_fma_f64 v[67:68], v[67:68], v[30:31], v[170:171]
	v_fma_f64 v[65:66], v[65:66], v[30:31], -v[32:33]
	scratch_load_b128 v[30:33], off, off offset:576
	v_add_f64 v[69:70], v[69:70], v[38:39]
	v_add_f64 v[91:92], v[91:92], v[40:41]
	ds_load_b128 v[38:41], v1 offset:1424
	s_waitcnt vmcnt(10) lgkmcnt(1)
	v_mul_f64 v[176:177], v[2:3], v[36:37]
	v_mul_f64 v[36:37], v[4:5], v[36:37]
	s_waitcnt vmcnt(8) lgkmcnt(0)
	v_mul_f64 v[170:171], v[38:39], v[63:64]
	v_add_f64 v[69:70], v[69:70], v[174:175]
	v_add_f64 v[91:92], v[91:92], v[172:173]
	v_mul_f64 v[172:173], v[40:41], v[63:64]
	v_fma_f64 v[174:175], v[4:5], v[34:35], v[176:177]
	v_fma_f64 v[176:177], v[2:3], v[34:35], -v[36:37]
	ds_load_b128 v[2:5], v1 offset:1440
	scratch_load_b128 v[34:37], off, off offset:592
	v_fma_f64 v[170:171], v[40:41], v[61:62], v[170:171]
	v_add_f64 v[69:70], v[69:70], v[65:66]
	v_add_f64 v[67:68], v[91:92], v[67:68]
	ds_load_b128 v[63:66], v1 offset:1456
	v_fma_f64 v[61:62], v[38:39], v[61:62], -v[172:173]
	scratch_load_b128 v[38:41], off, off offset:608
	s_waitcnt vmcnt(9) lgkmcnt(1)
	v_mul_f64 v[91:92], v[2:3], v[44:45]
	v_mul_f64 v[44:45], v[4:5], v[44:45]
	s_waitcnt vmcnt(8) lgkmcnt(0)
	v_mul_f64 v[172:173], v[63:64], v[8:9]
	v_mul_f64 v[8:9], v[65:66], v[8:9]
	v_add_f64 v[69:70], v[69:70], v[176:177]
	v_add_f64 v[67:68], v[67:68], v[174:175]
	v_fma_f64 v[91:92], v[4:5], v[42:43], v[91:92]
	v_fma_f64 v[174:175], v[2:3], v[42:43], -v[44:45]
	ds_load_b128 v[2:5], v1 offset:1472
	scratch_load_b128 v[42:45], off, off offset:624
	v_fma_f64 v[65:66], v[65:66], v[6:7], v[172:173]
	v_fma_f64 v[63:64], v[63:64], v[6:7], -v[8:9]
	scratch_load_b128 v[6:9], off, off offset:640
	v_add_f64 v[61:62], v[69:70], v[61:62]
	v_add_f64 v[170:171], v[67:68], v[170:171]
	ds_load_b128 v[67:70], v1 offset:1488
	s_waitcnt vmcnt(9) lgkmcnt(1)
	v_mul_f64 v[176:177], v[2:3], v[12:13]
	v_mul_f64 v[12:13], v[4:5], v[12:13]
	v_add_f64 v[61:62], v[61:62], v[174:175]
	v_add_f64 v[91:92], v[170:171], v[91:92]
	s_waitcnt vmcnt(8) lgkmcnt(0)
	v_mul_f64 v[170:171], v[67:68], v[16:17]
	v_mul_f64 v[16:17], v[69:70], v[16:17]
	v_fma_f64 v[172:173], v[4:5], v[10:11], v[176:177]
	v_fma_f64 v[174:175], v[2:3], v[10:11], -v[12:13]
	ds_load_b128 v[2:5], v1 offset:1504
	scratch_load_b128 v[10:13], off, off offset:656
	v_add_f64 v[176:177], v[61:62], v[63:64]
	v_add_f64 v[65:66], v[91:92], v[65:66]
	ds_load_b128 v[61:64], v1 offset:1520
	s_waitcnt vmcnt(8) lgkmcnt(1)
	v_mul_f64 v[91:92], v[2:3], v[20:21]
	v_mul_f64 v[20:21], v[4:5], v[20:21]
	v_fma_f64 v[69:70], v[69:70], v[14:15], v[170:171]
	v_fma_f64 v[67:68], v[67:68], v[14:15], -v[16:17]
	scratch_load_b128 v[14:17], off, off offset:672
	v_add_f64 v[170:171], v[176:177], v[174:175]
	v_add_f64 v[65:66], v[65:66], v[172:173]
	s_waitcnt vmcnt(8) lgkmcnt(0)
	v_mul_f64 v[172:173], v[61:62], v[24:25]
	v_mul_f64 v[24:25], v[63:64], v[24:25]
	v_fma_f64 v[91:92], v[4:5], v[18:19], v[91:92]
	v_fma_f64 v[174:175], v[2:3], v[18:19], -v[20:21]
	ds_load_b128 v[2:5], v1 offset:1536
	scratch_load_b128 v[18:21], off, off offset:688
	v_add_f64 v[170:171], v[170:171], v[67:68]
	v_add_f64 v[69:70], v[65:66], v[69:70]
	ds_load_b128 v[65:68], v1 offset:1552
	s_waitcnt vmcnt(8) lgkmcnt(1)
	v_mul_f64 v[176:177], v[2:3], v[28:29]
	v_mul_f64 v[28:29], v[4:5], v[28:29]
	v_fma_f64 v[63:64], v[63:64], v[22:23], v[172:173]
	v_fma_f64 v[61:62], v[61:62], v[22:23], -v[24:25]
	scratch_load_b128 v[22:25], off, off offset:704
	;; [unrolled: 18-line block ×4, first 2 shown]
	s_waitcnt vmcnt(8) lgkmcnt(0)
	v_mul_f64 v[170:171], v[65:66], v[8:9]
	v_mul_f64 v[8:9], v[67:68], v[8:9]
	v_add_f64 v[91:92], v[91:92], v[174:175]
	v_add_f64 v[69:70], v[69:70], v[172:173]
	v_fma_f64 v[172:173], v[4:5], v[42:43], v[176:177]
	v_fma_f64 v[174:175], v[2:3], v[42:43], -v[44:45]
	ds_load_b128 v[2:5], v1 offset:1632
	scratch_load_b128 v[42:45], off, off offset:784
	v_fma_f64 v[67:68], v[67:68], v[6:7], v[170:171]
	v_fma_f64 v[65:66], v[65:66], v[6:7], -v[8:9]
	scratch_load_b128 v[6:9], off, off offset:800
	v_add_f64 v[91:92], v[91:92], v[61:62]
	v_add_f64 v[69:70], v[69:70], v[63:64]
	ds_load_b128 v[61:64], v1 offset:1648
	s_waitcnt vmcnt(9) lgkmcnt(1)
	v_mul_f64 v[176:177], v[2:3], v[12:13]
	v_mul_f64 v[12:13], v[4:5], v[12:13]
	s_waitcnt vmcnt(8) lgkmcnt(0)
	v_mul_f64 v[170:171], v[61:62], v[16:17]
	v_mul_f64 v[16:17], v[63:64], v[16:17]
	v_add_f64 v[91:92], v[91:92], v[174:175]
	v_add_f64 v[69:70], v[69:70], v[172:173]
	v_fma_f64 v[172:173], v[4:5], v[10:11], v[176:177]
	v_fma_f64 v[174:175], v[2:3], v[10:11], -v[12:13]
	ds_load_b128 v[2:5], v1 offset:1664
	scratch_load_b128 v[10:13], off, off offset:816
	v_fma_f64 v[63:64], v[63:64], v[14:15], v[170:171]
	v_fma_f64 v[61:62], v[61:62], v[14:15], -v[16:17]
	scratch_load_b128 v[14:17], off, off offset:832
	v_add_f64 v[91:92], v[91:92], v[65:66]
	v_add_f64 v[69:70], v[69:70], v[67:68]
	ds_load_b128 v[65:68], v1 offset:1680
	s_waitcnt vmcnt(9) lgkmcnt(1)
	v_mul_f64 v[176:177], v[2:3], v[20:21]
	v_mul_f64 v[20:21], v[4:5], v[20:21]
	;; [unrolled: 18-line block ×6, first 2 shown]
	s_waitcnt vmcnt(8) lgkmcnt(0)
	v_mul_f64 v[170:171], v[65:66], v[16:17]
	v_mul_f64 v[16:17], v[67:68], v[16:17]
	v_add_f64 v[91:92], v[91:92], v[174:175]
	v_add_f64 v[69:70], v[69:70], v[172:173]
	v_fma_f64 v[172:173], v[4:5], v[10:11], v[176:177]
	v_fma_f64 v[174:175], v[2:3], v[10:11], -v[12:13]
	ds_load_b128 v[2:5], v1 offset:1824
	ds_load_b128 v[10:13], v1 offset:1840
	v_fma_f64 v[67:68], v[67:68], v[14:15], v[170:171]
	v_fma_f64 v[14:15], v[65:66], v[14:15], -v[16:17]
	v_add_f64 v[61:62], v[91:92], v[61:62]
	v_add_f64 v[63:64], v[69:70], v[63:64]
	s_waitcnt vmcnt(7) lgkmcnt(1)
	v_mul_f64 v[69:70], v[2:3], v[20:21]
	v_mul_f64 v[20:21], v[4:5], v[20:21]
	s_delay_alu instid0(VALU_DEP_4) | instskip(NEXT) | instid1(VALU_DEP_4)
	v_add_f64 v[16:17], v[61:62], v[174:175]
	v_add_f64 v[61:62], v[63:64], v[172:173]
	s_waitcnt vmcnt(6) lgkmcnt(0)
	v_mul_f64 v[63:64], v[10:11], v[24:25]
	v_mul_f64 v[24:25], v[12:13], v[24:25]
	v_fma_f64 v[65:66], v[4:5], v[18:19], v[69:70]
	v_fma_f64 v[18:19], v[2:3], v[18:19], -v[20:21]
	v_add_f64 v[20:21], v[16:17], v[14:15]
	v_add_f64 v[61:62], v[61:62], v[67:68]
	ds_load_b128 v[2:5], v1 offset:1856
	ds_load_b128 v[14:17], v1 offset:1872
	v_fma_f64 v[12:13], v[12:13], v[22:23], v[63:64]
	v_fma_f64 v[10:11], v[10:11], v[22:23], -v[24:25]
	s_waitcnt vmcnt(5) lgkmcnt(1)
	v_mul_f64 v[67:68], v[2:3], v[28:29]
	v_mul_f64 v[28:29], v[4:5], v[28:29]
	s_waitcnt vmcnt(4) lgkmcnt(0)
	v_mul_f64 v[22:23], v[14:15], v[32:33]
	v_mul_f64 v[24:25], v[16:17], v[32:33]
	v_add_f64 v[18:19], v[20:21], v[18:19]
	v_add_f64 v[20:21], v[61:62], v[65:66]
	v_fma_f64 v[32:33], v[4:5], v[26:27], v[67:68]
	v_fma_f64 v[26:27], v[2:3], v[26:27], -v[28:29]
	v_fma_f64 v[16:17], v[16:17], v[30:31], v[22:23]
	v_fma_f64 v[14:15], v[14:15], v[30:31], -v[24:25]
	v_add_f64 v[18:19], v[18:19], v[10:11]
	v_add_f64 v[20:21], v[20:21], v[12:13]
	ds_load_b128 v[2:5], v1 offset:1888
	ds_load_b128 v[10:13], v1 offset:1904
	s_waitcnt vmcnt(3) lgkmcnt(1)
	v_mul_f64 v[28:29], v[2:3], v[36:37]
	v_mul_f64 v[36:37], v[4:5], v[36:37]
	s_waitcnt vmcnt(2) lgkmcnt(0)
	v_mul_f64 v[22:23], v[10:11], v[40:41]
	v_mul_f64 v[24:25], v[12:13], v[40:41]
	v_add_f64 v[18:19], v[18:19], v[26:27]
	v_add_f64 v[20:21], v[20:21], v[32:33]
	v_fma_f64 v[26:27], v[4:5], v[34:35], v[28:29]
	v_fma_f64 v[28:29], v[2:3], v[34:35], -v[36:37]
	v_fma_f64 v[12:13], v[12:13], v[38:39], v[22:23]
	v_fma_f64 v[10:11], v[10:11], v[38:39], -v[24:25]
	v_add_f64 v[18:19], v[18:19], v[14:15]
	v_add_f64 v[20:21], v[20:21], v[16:17]
	ds_load_b128 v[2:5], v1 offset:1920
	ds_load_b128 v[14:17], v1 offset:1936
	s_waitcnt vmcnt(1) lgkmcnt(1)
	v_mul_f64 v[30:31], v[2:3], v[44:45]
	v_mul_f64 v[32:33], v[4:5], v[44:45]
	s_waitcnt vmcnt(0) lgkmcnt(0)
	v_mul_f64 v[22:23], v[14:15], v[8:9]
	v_mul_f64 v[8:9], v[16:17], v[8:9]
	v_add_f64 v[18:19], v[18:19], v[28:29]
	v_add_f64 v[20:21], v[20:21], v[26:27]
	v_fma_f64 v[4:5], v[4:5], v[42:43], v[30:31]
	v_fma_f64 v[1:2], v[2:3], v[42:43], -v[32:33]
	v_fma_f64 v[16:17], v[16:17], v[6:7], v[22:23]
	v_fma_f64 v[6:7], v[14:15], v[6:7], -v[8:9]
	v_add_f64 v[10:11], v[18:19], v[10:11]
	v_add_f64 v[12:13], v[20:21], v[12:13]
	s_delay_alu instid0(VALU_DEP_2) | instskip(NEXT) | instid1(VALU_DEP_2)
	v_add_f64 v[1:2], v[10:11], v[1:2]
	v_add_f64 v[3:4], v[12:13], v[4:5]
	s_delay_alu instid0(VALU_DEP_2) | instskip(NEXT) | instid1(VALU_DEP_2)
	;; [unrolled: 3-line block ×3, first 2 shown]
	v_add_f64 v[1:2], v[57:58], -v[1:2]
	v_add_f64 v[3:4], v[59:60], -v[3:4]
	scratch_store_b128 off, v[1:4], off offset:288
	v_cmpx_lt_u32_e32 17, v169
	s_cbranch_execz .LBB124_357
; %bb.356:
	scratch_load_b32 v1, off, off offset:1032 ; 4-byte Folded Reload
	v_mov_b32_e32 v5, 0
	s_delay_alu instid0(VALU_DEP_1)
	v_mov_b32_e32 v6, v5
	v_mov_b32_e32 v7, v5
	v_mov_b32_e32 v8, v5
	s_waitcnt vmcnt(0)
	scratch_load_b128 v[1:4], v1, off
	scratch_store_b128 off, v[5:8], off offset:272
	s_waitcnt vmcnt(0)
	ds_store_b128 v229, v[1:4]
.LBB124_357:
	s_or_b32 exec_lo, exec_lo, s2
	s_waitcnt lgkmcnt(0)
	s_waitcnt_vscnt null, 0x0
	s_barrier
	buffer_gl0_inv
	s_clause 0x7
	scratch_load_b128 v[2:5], off, off offset:288
	scratch_load_b128 v[6:9], off, off offset:304
	;; [unrolled: 1-line block ×8, first 2 shown]
	v_mov_b32_e32 v1, 0
	s_mov_b32 s2, exec_lo
	ds_load_b128 v[38:41], v1 offset:1264
	s_clause 0x1
	scratch_load_b128 v[34:37], off, off offset:416
	scratch_load_b128 v[42:45], off, off offset:272
	ds_load_b128 v[57:60], v1 offset:1280
	scratch_load_b128 v[61:64], off, off offset:432
	s_waitcnt vmcnt(10) lgkmcnt(1)
	v_mul_f64 v[65:66], v[40:41], v[4:5]
	v_mul_f64 v[4:5], v[38:39], v[4:5]
	s_delay_alu instid0(VALU_DEP_2) | instskip(NEXT) | instid1(VALU_DEP_2)
	v_fma_f64 v[91:92], v[38:39], v[2:3], -v[65:66]
	v_fma_f64 v[170:171], v[40:41], v[2:3], v[4:5]
	scratch_load_b128 v[38:41], off, off offset:448
	ds_load_b128 v[2:5], v1 offset:1296
	s_waitcnt vmcnt(10) lgkmcnt(1)
	v_mul_f64 v[69:70], v[57:58], v[8:9]
	v_mul_f64 v[8:9], v[59:60], v[8:9]
	ds_load_b128 v[65:68], v1 offset:1312
	s_waitcnt vmcnt(9) lgkmcnt(1)
	v_mul_f64 v[172:173], v[2:3], v[12:13]
	v_mul_f64 v[12:13], v[4:5], v[12:13]
	v_fma_f64 v[59:60], v[59:60], v[6:7], v[69:70]
	v_fma_f64 v[57:58], v[57:58], v[6:7], -v[8:9]
	v_add_f64 v[69:70], v[91:92], 0
	v_add_f64 v[91:92], v[170:171], 0
	scratch_load_b128 v[6:9], off, off offset:464
	v_fma_f64 v[172:173], v[4:5], v[10:11], v[172:173]
	v_fma_f64 v[174:175], v[2:3], v[10:11], -v[12:13]
	scratch_load_b128 v[10:13], off, off offset:480
	ds_load_b128 v[2:5], v1 offset:1328
	s_waitcnt vmcnt(10) lgkmcnt(1)
	v_mul_f64 v[170:171], v[65:66], v[16:17]
	v_mul_f64 v[16:17], v[67:68], v[16:17]
	v_add_f64 v[69:70], v[69:70], v[57:58]
	v_add_f64 v[91:92], v[91:92], v[59:60]
	s_waitcnt vmcnt(9) lgkmcnt(0)
	v_mul_f64 v[176:177], v[2:3], v[20:21]
	v_mul_f64 v[20:21], v[4:5], v[20:21]
	ds_load_b128 v[57:60], v1 offset:1344
	v_fma_f64 v[67:68], v[67:68], v[14:15], v[170:171]
	v_fma_f64 v[65:66], v[65:66], v[14:15], -v[16:17]
	scratch_load_b128 v[14:17], off, off offset:496
	v_add_f64 v[69:70], v[69:70], v[174:175]
	v_add_f64 v[91:92], v[91:92], v[172:173]
	v_fma_f64 v[172:173], v[4:5], v[18:19], v[176:177]
	v_fma_f64 v[174:175], v[2:3], v[18:19], -v[20:21]
	scratch_load_b128 v[18:21], off, off offset:512
	ds_load_b128 v[2:5], v1 offset:1360
	s_waitcnt vmcnt(10) lgkmcnt(1)
	v_mul_f64 v[170:171], v[57:58], v[24:25]
	v_mul_f64 v[24:25], v[59:60], v[24:25]
	s_waitcnt vmcnt(9) lgkmcnt(0)
	v_mul_f64 v[176:177], v[2:3], v[28:29]
	v_mul_f64 v[28:29], v[4:5], v[28:29]
	v_add_f64 v[69:70], v[69:70], v[65:66]
	v_add_f64 v[91:92], v[91:92], v[67:68]
	ds_load_b128 v[65:68], v1 offset:1376
	v_fma_f64 v[59:60], v[59:60], v[22:23], v[170:171]
	v_fma_f64 v[57:58], v[57:58], v[22:23], -v[24:25]
	scratch_load_b128 v[22:25], off, off offset:528
	v_add_f64 v[69:70], v[69:70], v[174:175]
	v_add_f64 v[91:92], v[91:92], v[172:173]
	v_fma_f64 v[172:173], v[4:5], v[26:27], v[176:177]
	v_fma_f64 v[174:175], v[2:3], v[26:27], -v[28:29]
	scratch_load_b128 v[26:29], off, off offset:544
	ds_load_b128 v[2:5], v1 offset:1392
	s_waitcnt vmcnt(10) lgkmcnt(1)
	v_mul_f64 v[170:171], v[65:66], v[32:33]
	v_mul_f64 v[32:33], v[67:68], v[32:33]
	s_waitcnt vmcnt(9) lgkmcnt(0)
	v_mul_f64 v[176:177], v[2:3], v[36:37]
	v_mul_f64 v[36:37], v[4:5], v[36:37]
	v_add_f64 v[69:70], v[69:70], v[57:58]
	v_add_f64 v[91:92], v[91:92], v[59:60]
	ds_load_b128 v[57:60], v1 offset:1408
	v_fma_f64 v[67:68], v[67:68], v[30:31], v[170:171]
	v_fma_f64 v[65:66], v[65:66], v[30:31], -v[32:33]
	scratch_load_b128 v[30:33], off, off offset:560
	v_add_f64 v[69:70], v[69:70], v[174:175]
	v_add_f64 v[91:92], v[91:92], v[172:173]
	v_fma_f64 v[174:175], v[4:5], v[34:35], v[176:177]
	v_fma_f64 v[176:177], v[2:3], v[34:35], -v[36:37]
	scratch_load_b128 v[34:37], off, off offset:576
	ds_load_b128 v[2:5], v1 offset:1424
	s_waitcnt vmcnt(9) lgkmcnt(1)
	v_mul_f64 v[170:171], v[57:58], v[63:64]
	v_mul_f64 v[172:173], v[59:60], v[63:64]
	v_add_f64 v[69:70], v[69:70], v[65:66]
	v_add_f64 v[67:68], v[91:92], v[67:68]
	ds_load_b128 v[63:66], v1 offset:1440
	v_fma_f64 v[170:171], v[59:60], v[61:62], v[170:171]
	v_fma_f64 v[61:62], v[57:58], v[61:62], -v[172:173]
	scratch_load_b128 v[57:60], off, off offset:592
	s_waitcnt vmcnt(9) lgkmcnt(1)
	v_mul_f64 v[91:92], v[2:3], v[40:41]
	v_mul_f64 v[40:41], v[4:5], v[40:41]
	v_add_f64 v[69:70], v[69:70], v[176:177]
	v_add_f64 v[67:68], v[67:68], v[174:175]
	s_delay_alu instid0(VALU_DEP_4) | instskip(NEXT) | instid1(VALU_DEP_4)
	v_fma_f64 v[91:92], v[4:5], v[38:39], v[91:92]
	v_fma_f64 v[174:175], v[2:3], v[38:39], -v[40:41]
	scratch_load_b128 v[38:41], off, off offset:608
	ds_load_b128 v[2:5], v1 offset:1456
	s_waitcnt vmcnt(9) lgkmcnt(1)
	v_mul_f64 v[172:173], v[63:64], v[8:9]
	v_mul_f64 v[8:9], v[65:66], v[8:9]
	s_waitcnt vmcnt(8) lgkmcnt(0)
	v_mul_f64 v[176:177], v[2:3], v[12:13]
	v_mul_f64 v[12:13], v[4:5], v[12:13]
	v_add_f64 v[61:62], v[69:70], v[61:62]
	v_add_f64 v[170:171], v[67:68], v[170:171]
	ds_load_b128 v[67:70], v1 offset:1472
	v_fma_f64 v[65:66], v[65:66], v[6:7], v[172:173]
	v_fma_f64 v[63:64], v[63:64], v[6:7], -v[8:9]
	scratch_load_b128 v[6:9], off, off offset:624
	v_fma_f64 v[172:173], v[4:5], v[10:11], v[176:177]
	v_add_f64 v[61:62], v[61:62], v[174:175]
	v_add_f64 v[91:92], v[170:171], v[91:92]
	v_fma_f64 v[174:175], v[2:3], v[10:11], -v[12:13]
	scratch_load_b128 v[10:13], off, off offset:640
	ds_load_b128 v[2:5], v1 offset:1488
	s_waitcnt vmcnt(9) lgkmcnt(1)
	v_mul_f64 v[170:171], v[67:68], v[16:17]
	v_mul_f64 v[16:17], v[69:70], v[16:17]
	v_add_f64 v[176:177], v[61:62], v[63:64]
	v_add_f64 v[65:66], v[91:92], v[65:66]
	s_waitcnt vmcnt(8) lgkmcnt(0)
	v_mul_f64 v[91:92], v[2:3], v[20:21]
	v_mul_f64 v[20:21], v[4:5], v[20:21]
	ds_load_b128 v[61:64], v1 offset:1504
	v_fma_f64 v[69:70], v[69:70], v[14:15], v[170:171]
	v_fma_f64 v[67:68], v[67:68], v[14:15], -v[16:17]
	scratch_load_b128 v[14:17], off, off offset:656
	v_add_f64 v[170:171], v[176:177], v[174:175]
	v_add_f64 v[65:66], v[65:66], v[172:173]
	v_fma_f64 v[91:92], v[4:5], v[18:19], v[91:92]
	v_fma_f64 v[174:175], v[2:3], v[18:19], -v[20:21]
	scratch_load_b128 v[18:21], off, off offset:672
	ds_load_b128 v[2:5], v1 offset:1520
	s_waitcnt vmcnt(9) lgkmcnt(1)
	v_mul_f64 v[172:173], v[61:62], v[24:25]
	v_mul_f64 v[24:25], v[63:64], v[24:25]
	s_waitcnt vmcnt(8) lgkmcnt(0)
	v_mul_f64 v[176:177], v[2:3], v[28:29]
	v_mul_f64 v[28:29], v[4:5], v[28:29]
	v_add_f64 v[170:171], v[170:171], v[67:68]
	v_add_f64 v[69:70], v[65:66], v[69:70]
	ds_load_b128 v[65:68], v1 offset:1536
	v_fma_f64 v[63:64], v[63:64], v[22:23], v[172:173]
	v_fma_f64 v[61:62], v[61:62], v[22:23], -v[24:25]
	scratch_load_b128 v[22:25], off, off offset:688
	v_fma_f64 v[172:173], v[4:5], v[26:27], v[176:177]
	v_add_f64 v[170:171], v[170:171], v[174:175]
	v_add_f64 v[69:70], v[69:70], v[91:92]
	v_fma_f64 v[174:175], v[2:3], v[26:27], -v[28:29]
	scratch_load_b128 v[26:29], off, off offset:704
	ds_load_b128 v[2:5], v1 offset:1552
	s_waitcnt vmcnt(9) lgkmcnt(1)
	v_mul_f64 v[91:92], v[65:66], v[32:33]
	v_mul_f64 v[32:33], v[67:68], v[32:33]
	s_waitcnt vmcnt(8) lgkmcnt(0)
	v_mul_f64 v[176:177], v[2:3], v[36:37]
	v_mul_f64 v[36:37], v[4:5], v[36:37]
	v_add_f64 v[170:171], v[170:171], v[61:62]
	v_add_f64 v[69:70], v[69:70], v[63:64]
	ds_load_b128 v[61:64], v1 offset:1568
	v_fma_f64 v[67:68], v[67:68], v[30:31], v[91:92]
	v_fma_f64 v[65:66], v[65:66], v[30:31], -v[32:33]
	scratch_load_b128 v[30:33], off, off offset:720
	v_add_f64 v[91:92], v[170:171], v[174:175]
	v_add_f64 v[69:70], v[69:70], v[172:173]
	v_fma_f64 v[172:173], v[4:5], v[34:35], v[176:177]
	v_fma_f64 v[174:175], v[2:3], v[34:35], -v[36:37]
	scratch_load_b128 v[34:37], off, off offset:736
	ds_load_b128 v[2:5], v1 offset:1584
	s_waitcnt vmcnt(9) lgkmcnt(1)
	v_mul_f64 v[170:171], v[61:62], v[59:60]
	v_mul_f64 v[59:60], v[63:64], v[59:60]
	s_waitcnt vmcnt(8) lgkmcnt(0)
	v_mul_f64 v[176:177], v[2:3], v[40:41]
	v_mul_f64 v[40:41], v[4:5], v[40:41]
	v_add_f64 v[91:92], v[91:92], v[65:66]
	v_add_f64 v[69:70], v[69:70], v[67:68]
	ds_load_b128 v[65:68], v1 offset:1600
	v_fma_f64 v[63:64], v[63:64], v[57:58], v[170:171]
	v_fma_f64 v[61:62], v[61:62], v[57:58], -v[59:60]
	scratch_load_b128 v[57:60], off, off offset:752
	v_add_f64 v[91:92], v[91:92], v[174:175]
	v_add_f64 v[69:70], v[69:70], v[172:173]
	v_fma_f64 v[172:173], v[4:5], v[38:39], v[176:177]
	;; [unrolled: 18-line block ×6, first 2 shown]
	v_fma_f64 v[176:177], v[2:3], v[34:35], -v[36:37]
	scratch_load_b128 v[34:37], off, off offset:896
	ds_load_b128 v[2:5], v1 offset:1744
	s_waitcnt vmcnt(9) lgkmcnt(1)
	v_mul_f64 v[170:171], v[65:66], v[59:60]
	v_mul_f64 v[172:173], v[67:68], v[59:60]
	v_add_f64 v[91:92], v[91:92], v[61:62]
	v_add_f64 v[63:64], v[69:70], v[63:64]
	s_waitcnt vmcnt(8) lgkmcnt(0)
	v_mul_f64 v[69:70], v[2:3], v[40:41]
	v_mul_f64 v[40:41], v[4:5], v[40:41]
	ds_load_b128 v[59:62], v1 offset:1760
	v_fma_f64 v[67:68], v[67:68], v[57:58], v[170:171]
	v_fma_f64 v[57:58], v[65:66], v[57:58], -v[172:173]
	v_add_f64 v[91:92], v[91:92], v[176:177]
	v_add_f64 v[170:171], v[63:64], v[174:175]
	scratch_load_b128 v[63:66], off, off offset:912
	v_fma_f64 v[174:175], v[4:5], v[38:39], v[69:70]
	v_fma_f64 v[176:177], v[2:3], v[38:39], -v[40:41]
	scratch_load_b128 v[38:41], off, off offset:928
	ds_load_b128 v[2:5], v1 offset:1776
	s_waitcnt vmcnt(9) lgkmcnt(1)
	v_mul_f64 v[172:173], v[59:60], v[8:9]
	v_mul_f64 v[8:9], v[61:62], v[8:9]
	v_add_f64 v[57:58], v[91:92], v[57:58]
	v_add_f64 v[91:92], v[170:171], v[67:68]
	s_waitcnt vmcnt(8) lgkmcnt(0)
	v_mul_f64 v[170:171], v[2:3], v[12:13]
	v_mul_f64 v[12:13], v[4:5], v[12:13]
	ds_load_b128 v[67:70], v1 offset:1792
	v_fma_f64 v[61:62], v[61:62], v[6:7], v[172:173]
	v_fma_f64 v[59:60], v[59:60], v[6:7], -v[8:9]
	scratch_load_b128 v[6:9], off, off offset:944
	v_add_f64 v[57:58], v[57:58], v[176:177]
	v_add_f64 v[91:92], v[91:92], v[174:175]
	v_fma_f64 v[170:171], v[4:5], v[10:11], v[170:171]
	v_fma_f64 v[174:175], v[2:3], v[10:11], -v[12:13]
	scratch_load_b128 v[10:13], off, off offset:960
	ds_load_b128 v[2:5], v1 offset:1808
	s_waitcnt vmcnt(9) lgkmcnt(1)
	v_mul_f64 v[172:173], v[67:68], v[16:17]
	v_mul_f64 v[16:17], v[69:70], v[16:17]
	v_add_f64 v[176:177], v[57:58], v[59:60]
	v_add_f64 v[61:62], v[91:92], v[61:62]
	s_waitcnt vmcnt(8) lgkmcnt(0)
	v_mul_f64 v[91:92], v[2:3], v[20:21]
	v_mul_f64 v[20:21], v[4:5], v[20:21]
	ds_load_b128 v[57:60], v1 offset:1824
	v_fma_f64 v[69:70], v[69:70], v[14:15], v[172:173]
	v_fma_f64 v[14:15], v[67:68], v[14:15], -v[16:17]
	s_waitcnt vmcnt(7) lgkmcnt(0)
	v_mul_f64 v[67:68], v[57:58], v[24:25]
	v_mul_f64 v[24:25], v[59:60], v[24:25]
	v_add_f64 v[16:17], v[176:177], v[174:175]
	v_add_f64 v[61:62], v[61:62], v[170:171]
	v_fma_f64 v[91:92], v[4:5], v[18:19], v[91:92]
	v_fma_f64 v[18:19], v[2:3], v[18:19], -v[20:21]
	v_fma_f64 v[59:60], v[59:60], v[22:23], v[67:68]
	v_fma_f64 v[22:23], v[57:58], v[22:23], -v[24:25]
	v_add_f64 v[20:21], v[16:17], v[14:15]
	v_add_f64 v[61:62], v[61:62], v[69:70]
	ds_load_b128 v[2:5], v1 offset:1840
	ds_load_b128 v[14:17], v1 offset:1856
	s_waitcnt vmcnt(6) lgkmcnt(1)
	v_mul_f64 v[69:70], v[2:3], v[28:29]
	v_mul_f64 v[28:29], v[4:5], v[28:29]
	s_waitcnt vmcnt(5) lgkmcnt(0)
	v_mul_f64 v[24:25], v[14:15], v[32:33]
	v_mul_f64 v[32:33], v[16:17], v[32:33]
	v_add_f64 v[18:19], v[20:21], v[18:19]
	v_add_f64 v[20:21], v[61:62], v[91:92]
	v_fma_f64 v[57:58], v[4:5], v[26:27], v[69:70]
	v_fma_f64 v[26:27], v[2:3], v[26:27], -v[28:29]
	v_fma_f64 v[16:17], v[16:17], v[30:31], v[24:25]
	v_fma_f64 v[14:15], v[14:15], v[30:31], -v[32:33]
	v_add_f64 v[22:23], v[18:19], v[22:23]
	v_add_f64 v[28:29], v[20:21], v[59:60]
	ds_load_b128 v[2:5], v1 offset:1872
	ds_load_b128 v[18:21], v1 offset:1888
	s_waitcnt vmcnt(4) lgkmcnt(1)
	v_mul_f64 v[59:60], v[2:3], v[36:37]
	v_mul_f64 v[36:37], v[4:5], v[36:37]
	v_add_f64 v[22:23], v[22:23], v[26:27]
	v_add_f64 v[24:25], v[28:29], v[57:58]
	s_waitcnt vmcnt(3) lgkmcnt(0)
	v_mul_f64 v[26:27], v[18:19], v[65:66]
	v_mul_f64 v[28:29], v[20:21], v[65:66]
	v_fma_f64 v[30:31], v[4:5], v[34:35], v[59:60]
	v_fma_f64 v[32:33], v[2:3], v[34:35], -v[36:37]
	v_add_f64 v[22:23], v[22:23], v[14:15]
	v_add_f64 v[24:25], v[24:25], v[16:17]
	ds_load_b128 v[2:5], v1 offset:1904
	ds_load_b128 v[14:17], v1 offset:1920
	v_fma_f64 v[20:21], v[20:21], v[63:64], v[26:27]
	v_fma_f64 v[18:19], v[18:19], v[63:64], -v[28:29]
	s_waitcnt vmcnt(2) lgkmcnt(1)
	v_mul_f64 v[34:35], v[2:3], v[40:41]
	v_mul_f64 v[36:37], v[4:5], v[40:41]
	s_waitcnt vmcnt(1) lgkmcnt(0)
	v_mul_f64 v[26:27], v[14:15], v[8:9]
	v_mul_f64 v[8:9], v[16:17], v[8:9]
	v_add_f64 v[22:23], v[22:23], v[32:33]
	v_add_f64 v[24:25], v[24:25], v[30:31]
	v_fma_f64 v[28:29], v[4:5], v[38:39], v[34:35]
	v_fma_f64 v[30:31], v[2:3], v[38:39], -v[36:37]
	ds_load_b128 v[2:5], v1 offset:1936
	v_fma_f64 v[16:17], v[16:17], v[6:7], v[26:27]
	v_fma_f64 v[6:7], v[14:15], v[6:7], -v[8:9]
	v_add_f64 v[18:19], v[22:23], v[18:19]
	v_add_f64 v[20:21], v[24:25], v[20:21]
	s_waitcnt vmcnt(0) lgkmcnt(0)
	v_mul_f64 v[22:23], v[2:3], v[12:13]
	v_mul_f64 v[12:13], v[4:5], v[12:13]
	s_delay_alu instid0(VALU_DEP_4) | instskip(NEXT) | instid1(VALU_DEP_4)
	v_add_f64 v[8:9], v[18:19], v[30:31]
	v_add_f64 v[14:15], v[20:21], v[28:29]
	s_delay_alu instid0(VALU_DEP_4) | instskip(NEXT) | instid1(VALU_DEP_4)
	v_fma_f64 v[4:5], v[4:5], v[10:11], v[22:23]
	v_fma_f64 v[2:3], v[2:3], v[10:11], -v[12:13]
	s_delay_alu instid0(VALU_DEP_4) | instskip(NEXT) | instid1(VALU_DEP_4)
	v_add_f64 v[6:7], v[8:9], v[6:7]
	v_add_f64 v[8:9], v[14:15], v[16:17]
	s_delay_alu instid0(VALU_DEP_2) | instskip(NEXT) | instid1(VALU_DEP_2)
	v_add_f64 v[2:3], v[6:7], v[2:3]
	v_add_f64 v[4:5], v[8:9], v[4:5]
	s_delay_alu instid0(VALU_DEP_2) | instskip(NEXT) | instid1(VALU_DEP_2)
	v_add_f64 v[2:3], v[42:43], -v[2:3]
	v_add_f64 v[4:5], v[44:45], -v[4:5]
	scratch_store_b128 off, v[2:5], off offset:272
	v_cmpx_lt_u32_e32 16, v169
	s_cbranch_execz .LBB124_359
; %bb.358:
	scratch_load_b32 v2, off, off offset:1036 ; 4-byte Folded Reload
	v_mov_b32_e32 v3, v1
	v_mov_b32_e32 v4, v1
	s_waitcnt vmcnt(0)
	scratch_load_b128 v[5:8], v2, off
	v_mov_b32_e32 v2, v1
	scratch_store_b128 off, v[1:4], off offset:256
	s_waitcnt vmcnt(0)
	ds_store_b128 v229, v[5:8]
.LBB124_359:
	s_or_b32 exec_lo, exec_lo, s2
	s_waitcnt lgkmcnt(0)
	s_waitcnt_vscnt null, 0x0
	s_barrier
	buffer_gl0_inv
	s_clause 0x8
	scratch_load_b128 v[2:5], off, off offset:272
	scratch_load_b128 v[6:9], off, off offset:288
	;; [unrolled: 1-line block ×9, first 2 shown]
	ds_load_b128 v[42:45], v1 offset:1248
	ds_load_b128 v[38:41], v1 offset:1264
	s_clause 0x1
	scratch_load_b128 v[57:60], off, off offset:256
	scratch_load_b128 v[61:64], off, off offset:416
	s_mov_b32 s2, exec_lo
	s_waitcnt vmcnt(10) lgkmcnt(1)
	v_mul_f64 v[65:66], v[44:45], v[4:5]
	v_mul_f64 v[4:5], v[42:43], v[4:5]
	s_waitcnt vmcnt(9) lgkmcnt(0)
	v_mul_f64 v[69:70], v[38:39], v[8:9]
	v_mul_f64 v[8:9], v[40:41], v[8:9]
	s_delay_alu instid0(VALU_DEP_4) | instskip(NEXT) | instid1(VALU_DEP_4)
	v_fma_f64 v[91:92], v[42:43], v[2:3], -v[65:66]
	v_fma_f64 v[170:171], v[44:45], v[2:3], v[4:5]
	ds_load_b128 v[2:5], v1 offset:1280
	ds_load_b128 v[65:68], v1 offset:1296
	scratch_load_b128 v[42:45], off, off offset:432
	v_fma_f64 v[40:41], v[40:41], v[6:7], v[69:70]
	v_fma_f64 v[38:39], v[38:39], v[6:7], -v[8:9]
	scratch_load_b128 v[6:9], off, off offset:448
	s_waitcnt vmcnt(10) lgkmcnt(1)
	v_mul_f64 v[172:173], v[2:3], v[12:13]
	v_mul_f64 v[12:13], v[4:5], v[12:13]
	v_add_f64 v[69:70], v[91:92], 0
	v_add_f64 v[91:92], v[170:171], 0
	s_waitcnt vmcnt(9) lgkmcnt(0)
	v_mul_f64 v[170:171], v[65:66], v[16:17]
	v_mul_f64 v[16:17], v[67:68], v[16:17]
	v_fma_f64 v[172:173], v[4:5], v[10:11], v[172:173]
	v_fma_f64 v[174:175], v[2:3], v[10:11], -v[12:13]
	ds_load_b128 v[2:5], v1 offset:1312
	scratch_load_b128 v[10:13], off, off offset:464
	v_add_f64 v[69:70], v[69:70], v[38:39]
	v_add_f64 v[91:92], v[91:92], v[40:41]
	ds_load_b128 v[38:41], v1 offset:1328
	v_fma_f64 v[67:68], v[67:68], v[14:15], v[170:171]
	v_fma_f64 v[65:66], v[65:66], v[14:15], -v[16:17]
	scratch_load_b128 v[14:17], off, off offset:480
	s_waitcnt vmcnt(10) lgkmcnt(1)
	v_mul_f64 v[176:177], v[2:3], v[20:21]
	v_mul_f64 v[20:21], v[4:5], v[20:21]
	s_waitcnt vmcnt(9) lgkmcnt(0)
	v_mul_f64 v[170:171], v[38:39], v[24:25]
	v_mul_f64 v[24:25], v[40:41], v[24:25]
	v_add_f64 v[69:70], v[69:70], v[174:175]
	v_add_f64 v[91:92], v[91:92], v[172:173]
	v_fma_f64 v[172:173], v[4:5], v[18:19], v[176:177]
	v_fma_f64 v[174:175], v[2:3], v[18:19], -v[20:21]
	ds_load_b128 v[2:5], v1 offset:1344
	scratch_load_b128 v[18:21], off, off offset:496
	v_fma_f64 v[40:41], v[40:41], v[22:23], v[170:171]
	v_fma_f64 v[38:39], v[38:39], v[22:23], -v[24:25]
	scratch_load_b128 v[22:25], off, off offset:512
	v_add_f64 v[69:70], v[69:70], v[65:66]
	v_add_f64 v[91:92], v[91:92], v[67:68]
	ds_load_b128 v[65:68], v1 offset:1360
	s_waitcnt vmcnt(10) lgkmcnt(1)
	v_mul_f64 v[176:177], v[2:3], v[28:29]
	v_mul_f64 v[28:29], v[4:5], v[28:29]
	s_waitcnt vmcnt(9) lgkmcnt(0)
	v_mul_f64 v[170:171], v[65:66], v[32:33]
	v_mul_f64 v[32:33], v[67:68], v[32:33]
	v_add_f64 v[69:70], v[69:70], v[174:175]
	v_add_f64 v[91:92], v[91:92], v[172:173]
	v_fma_f64 v[172:173], v[4:5], v[26:27], v[176:177]
	v_fma_f64 v[174:175], v[2:3], v[26:27], -v[28:29]
	ds_load_b128 v[2:5], v1 offset:1376
	scratch_load_b128 v[26:29], off, off offset:528
	v_fma_f64 v[67:68], v[67:68], v[30:31], v[170:171]
	v_fma_f64 v[65:66], v[65:66], v[30:31], -v[32:33]
	scratch_load_b128 v[30:33], off, off offset:544
	v_add_f64 v[69:70], v[69:70], v[38:39]
	v_add_f64 v[91:92], v[91:92], v[40:41]
	ds_load_b128 v[38:41], v1 offset:1392
	s_waitcnt vmcnt(10) lgkmcnt(1)
	v_mul_f64 v[176:177], v[2:3], v[36:37]
	v_mul_f64 v[36:37], v[4:5], v[36:37]
	s_waitcnt vmcnt(8) lgkmcnt(0)
	v_mul_f64 v[170:171], v[38:39], v[63:64]
	v_add_f64 v[69:70], v[69:70], v[174:175]
	v_add_f64 v[91:92], v[91:92], v[172:173]
	v_mul_f64 v[172:173], v[40:41], v[63:64]
	v_fma_f64 v[174:175], v[4:5], v[34:35], v[176:177]
	v_fma_f64 v[176:177], v[2:3], v[34:35], -v[36:37]
	ds_load_b128 v[2:5], v1 offset:1408
	scratch_load_b128 v[34:37], off, off offset:560
	v_fma_f64 v[170:171], v[40:41], v[61:62], v[170:171]
	v_add_f64 v[69:70], v[69:70], v[65:66]
	v_add_f64 v[67:68], v[91:92], v[67:68]
	ds_load_b128 v[63:66], v1 offset:1424
	v_fma_f64 v[61:62], v[38:39], v[61:62], -v[172:173]
	scratch_load_b128 v[38:41], off, off offset:576
	s_waitcnt vmcnt(9) lgkmcnt(1)
	v_mul_f64 v[91:92], v[2:3], v[44:45]
	v_mul_f64 v[44:45], v[4:5], v[44:45]
	s_waitcnt vmcnt(8) lgkmcnt(0)
	v_mul_f64 v[172:173], v[63:64], v[8:9]
	v_mul_f64 v[8:9], v[65:66], v[8:9]
	v_add_f64 v[69:70], v[69:70], v[176:177]
	v_add_f64 v[67:68], v[67:68], v[174:175]
	v_fma_f64 v[91:92], v[4:5], v[42:43], v[91:92]
	v_fma_f64 v[174:175], v[2:3], v[42:43], -v[44:45]
	ds_load_b128 v[2:5], v1 offset:1440
	scratch_load_b128 v[42:45], off, off offset:592
	v_fma_f64 v[65:66], v[65:66], v[6:7], v[172:173]
	v_fma_f64 v[63:64], v[63:64], v[6:7], -v[8:9]
	scratch_load_b128 v[6:9], off, off offset:608
	v_add_f64 v[61:62], v[69:70], v[61:62]
	v_add_f64 v[170:171], v[67:68], v[170:171]
	ds_load_b128 v[67:70], v1 offset:1456
	s_waitcnt vmcnt(9) lgkmcnt(1)
	v_mul_f64 v[176:177], v[2:3], v[12:13]
	v_mul_f64 v[12:13], v[4:5], v[12:13]
	v_add_f64 v[61:62], v[61:62], v[174:175]
	v_add_f64 v[91:92], v[170:171], v[91:92]
	s_waitcnt vmcnt(8) lgkmcnt(0)
	v_mul_f64 v[170:171], v[67:68], v[16:17]
	v_mul_f64 v[16:17], v[69:70], v[16:17]
	v_fma_f64 v[172:173], v[4:5], v[10:11], v[176:177]
	v_fma_f64 v[174:175], v[2:3], v[10:11], -v[12:13]
	ds_load_b128 v[2:5], v1 offset:1472
	scratch_load_b128 v[10:13], off, off offset:624
	v_add_f64 v[176:177], v[61:62], v[63:64]
	v_add_f64 v[65:66], v[91:92], v[65:66]
	ds_load_b128 v[61:64], v1 offset:1488
	s_waitcnt vmcnt(8) lgkmcnt(1)
	v_mul_f64 v[91:92], v[2:3], v[20:21]
	v_mul_f64 v[20:21], v[4:5], v[20:21]
	v_fma_f64 v[69:70], v[69:70], v[14:15], v[170:171]
	v_fma_f64 v[67:68], v[67:68], v[14:15], -v[16:17]
	scratch_load_b128 v[14:17], off, off offset:640
	v_add_f64 v[170:171], v[176:177], v[174:175]
	v_add_f64 v[65:66], v[65:66], v[172:173]
	s_waitcnt vmcnt(8) lgkmcnt(0)
	v_mul_f64 v[172:173], v[61:62], v[24:25]
	v_mul_f64 v[24:25], v[63:64], v[24:25]
	v_fma_f64 v[91:92], v[4:5], v[18:19], v[91:92]
	v_fma_f64 v[174:175], v[2:3], v[18:19], -v[20:21]
	ds_load_b128 v[2:5], v1 offset:1504
	scratch_load_b128 v[18:21], off, off offset:656
	v_add_f64 v[170:171], v[170:171], v[67:68]
	v_add_f64 v[69:70], v[65:66], v[69:70]
	ds_load_b128 v[65:68], v1 offset:1520
	s_waitcnt vmcnt(8) lgkmcnt(1)
	v_mul_f64 v[176:177], v[2:3], v[28:29]
	v_mul_f64 v[28:29], v[4:5], v[28:29]
	v_fma_f64 v[63:64], v[63:64], v[22:23], v[172:173]
	v_fma_f64 v[61:62], v[61:62], v[22:23], -v[24:25]
	scratch_load_b128 v[22:25], off, off offset:672
	;; [unrolled: 18-line block ×4, first 2 shown]
	s_waitcnt vmcnt(8) lgkmcnt(0)
	v_mul_f64 v[170:171], v[65:66], v[8:9]
	v_mul_f64 v[8:9], v[67:68], v[8:9]
	v_add_f64 v[91:92], v[91:92], v[174:175]
	v_add_f64 v[69:70], v[69:70], v[172:173]
	v_fma_f64 v[172:173], v[4:5], v[42:43], v[176:177]
	v_fma_f64 v[174:175], v[2:3], v[42:43], -v[44:45]
	ds_load_b128 v[2:5], v1 offset:1600
	scratch_load_b128 v[42:45], off, off offset:752
	v_fma_f64 v[67:68], v[67:68], v[6:7], v[170:171]
	v_fma_f64 v[65:66], v[65:66], v[6:7], -v[8:9]
	scratch_load_b128 v[6:9], off, off offset:768
	v_add_f64 v[91:92], v[91:92], v[61:62]
	v_add_f64 v[69:70], v[69:70], v[63:64]
	ds_load_b128 v[61:64], v1 offset:1616
	s_waitcnt vmcnt(9) lgkmcnt(1)
	v_mul_f64 v[176:177], v[2:3], v[12:13]
	v_mul_f64 v[12:13], v[4:5], v[12:13]
	s_waitcnt vmcnt(8) lgkmcnt(0)
	v_mul_f64 v[170:171], v[61:62], v[16:17]
	v_mul_f64 v[16:17], v[63:64], v[16:17]
	v_add_f64 v[91:92], v[91:92], v[174:175]
	v_add_f64 v[69:70], v[69:70], v[172:173]
	v_fma_f64 v[172:173], v[4:5], v[10:11], v[176:177]
	v_fma_f64 v[174:175], v[2:3], v[10:11], -v[12:13]
	ds_load_b128 v[2:5], v1 offset:1632
	scratch_load_b128 v[10:13], off, off offset:784
	v_fma_f64 v[63:64], v[63:64], v[14:15], v[170:171]
	v_fma_f64 v[61:62], v[61:62], v[14:15], -v[16:17]
	scratch_load_b128 v[14:17], off, off offset:800
	v_add_f64 v[91:92], v[91:92], v[65:66]
	v_add_f64 v[69:70], v[69:70], v[67:68]
	ds_load_b128 v[65:68], v1 offset:1648
	s_waitcnt vmcnt(9) lgkmcnt(1)
	v_mul_f64 v[176:177], v[2:3], v[20:21]
	v_mul_f64 v[20:21], v[4:5], v[20:21]
	;; [unrolled: 18-line block ×7, first 2 shown]
	s_waitcnt vmcnt(8) lgkmcnt(0)
	v_mul_f64 v[170:171], v[61:62], v[24:25]
	v_mul_f64 v[24:25], v[63:64], v[24:25]
	v_add_f64 v[91:92], v[91:92], v[174:175]
	v_add_f64 v[69:70], v[69:70], v[172:173]
	v_fma_f64 v[172:173], v[4:5], v[18:19], v[176:177]
	v_fma_f64 v[174:175], v[2:3], v[18:19], -v[20:21]
	ds_load_b128 v[2:5], v1 offset:1824
	ds_load_b128 v[18:21], v1 offset:1840
	v_fma_f64 v[63:64], v[63:64], v[22:23], v[170:171]
	v_fma_f64 v[22:23], v[61:62], v[22:23], -v[24:25]
	v_add_f64 v[65:66], v[91:92], v[65:66]
	v_add_f64 v[67:68], v[69:70], v[67:68]
	s_waitcnt vmcnt(7) lgkmcnt(1)
	v_mul_f64 v[69:70], v[2:3], v[28:29]
	v_mul_f64 v[28:29], v[4:5], v[28:29]
	s_delay_alu instid0(VALU_DEP_4) | instskip(NEXT) | instid1(VALU_DEP_4)
	v_add_f64 v[24:25], v[65:66], v[174:175]
	v_add_f64 v[61:62], v[67:68], v[172:173]
	s_waitcnt vmcnt(6) lgkmcnt(0)
	v_mul_f64 v[65:66], v[18:19], v[32:33]
	v_mul_f64 v[32:33], v[20:21], v[32:33]
	v_fma_f64 v[67:68], v[4:5], v[26:27], v[69:70]
	v_fma_f64 v[26:27], v[2:3], v[26:27], -v[28:29]
	v_add_f64 v[28:29], v[24:25], v[22:23]
	v_add_f64 v[61:62], v[61:62], v[63:64]
	ds_load_b128 v[2:5], v1 offset:1856
	ds_load_b128 v[22:25], v1 offset:1872
	v_fma_f64 v[20:21], v[20:21], v[30:31], v[65:66]
	v_fma_f64 v[18:19], v[18:19], v[30:31], -v[32:33]
	s_waitcnt vmcnt(5) lgkmcnt(1)
	v_mul_f64 v[63:64], v[2:3], v[36:37]
	v_mul_f64 v[36:37], v[4:5], v[36:37]
	s_waitcnt vmcnt(4) lgkmcnt(0)
	v_mul_f64 v[30:31], v[22:23], v[40:41]
	v_mul_f64 v[32:33], v[24:25], v[40:41]
	v_add_f64 v[26:27], v[28:29], v[26:27]
	v_add_f64 v[28:29], v[61:62], v[67:68]
	v_fma_f64 v[40:41], v[4:5], v[34:35], v[63:64]
	v_fma_f64 v[34:35], v[2:3], v[34:35], -v[36:37]
	v_fma_f64 v[24:25], v[24:25], v[38:39], v[30:31]
	v_fma_f64 v[22:23], v[22:23], v[38:39], -v[32:33]
	v_add_f64 v[26:27], v[26:27], v[18:19]
	v_add_f64 v[28:29], v[28:29], v[20:21]
	ds_load_b128 v[2:5], v1 offset:1888
	ds_load_b128 v[18:21], v1 offset:1904
	s_waitcnt vmcnt(3) lgkmcnt(1)
	v_mul_f64 v[36:37], v[2:3], v[44:45]
	v_mul_f64 v[44:45], v[4:5], v[44:45]
	s_waitcnt vmcnt(2) lgkmcnt(0)
	v_mul_f64 v[30:31], v[18:19], v[8:9]
	v_mul_f64 v[8:9], v[20:21], v[8:9]
	v_add_f64 v[26:27], v[26:27], v[34:35]
	v_add_f64 v[28:29], v[28:29], v[40:41]
	v_fma_f64 v[32:33], v[4:5], v[42:43], v[36:37]
	v_fma_f64 v[34:35], v[2:3], v[42:43], -v[44:45]
	v_fma_f64 v[20:21], v[20:21], v[6:7], v[30:31]
	v_fma_f64 v[6:7], v[18:19], v[6:7], -v[8:9]
	v_add_f64 v[26:27], v[26:27], v[22:23]
	v_add_f64 v[28:29], v[28:29], v[24:25]
	ds_load_b128 v[2:5], v1 offset:1920
	ds_load_b128 v[22:25], v1 offset:1936
	s_waitcnt vmcnt(1) lgkmcnt(1)
	v_mul_f64 v[36:37], v[2:3], v[12:13]
	v_mul_f64 v[12:13], v[4:5], v[12:13]
	v_add_f64 v[8:9], v[26:27], v[34:35]
	v_add_f64 v[18:19], v[28:29], v[32:33]
	s_waitcnt vmcnt(0) lgkmcnt(0)
	v_mul_f64 v[26:27], v[22:23], v[16:17]
	v_mul_f64 v[16:17], v[24:25], v[16:17]
	v_fma_f64 v[4:5], v[4:5], v[10:11], v[36:37]
	v_fma_f64 v[1:2], v[2:3], v[10:11], -v[12:13]
	v_add_f64 v[6:7], v[8:9], v[6:7]
	v_add_f64 v[8:9], v[18:19], v[20:21]
	v_fma_f64 v[10:11], v[24:25], v[14:15], v[26:27]
	v_fma_f64 v[12:13], v[22:23], v[14:15], -v[16:17]
	s_delay_alu instid0(VALU_DEP_4) | instskip(NEXT) | instid1(VALU_DEP_4)
	v_add_f64 v[1:2], v[6:7], v[1:2]
	v_add_f64 v[3:4], v[8:9], v[4:5]
	s_delay_alu instid0(VALU_DEP_2) | instskip(NEXT) | instid1(VALU_DEP_2)
	v_add_f64 v[1:2], v[1:2], v[12:13]
	v_add_f64 v[3:4], v[3:4], v[10:11]
	s_delay_alu instid0(VALU_DEP_2) | instskip(NEXT) | instid1(VALU_DEP_2)
	v_add_f64 v[1:2], v[57:58], -v[1:2]
	v_add_f64 v[3:4], v[59:60], -v[3:4]
	scratch_store_b128 off, v[1:4], off offset:256
	v_cmpx_lt_u32_e32 15, v169
	s_cbranch_execz .LBB124_361
; %bb.360:
	scratch_load_b32 v1, off, off offset:1040 ; 4-byte Folded Reload
	v_mov_b32_e32 v5, 0
	s_delay_alu instid0(VALU_DEP_1)
	v_mov_b32_e32 v6, v5
	v_mov_b32_e32 v7, v5
	v_mov_b32_e32 v8, v5
	s_waitcnt vmcnt(0)
	scratch_load_b128 v[1:4], v1, off
	scratch_store_b128 off, v[5:8], off offset:240
	s_waitcnt vmcnt(0)
	ds_store_b128 v229, v[1:4]
.LBB124_361:
	s_or_b32 exec_lo, exec_lo, s2
	s_waitcnt lgkmcnt(0)
	s_waitcnt_vscnt null, 0x0
	s_barrier
	buffer_gl0_inv
	s_clause 0x7
	scratch_load_b128 v[2:5], off, off offset:256
	scratch_load_b128 v[6:9], off, off offset:272
	;; [unrolled: 1-line block ×8, first 2 shown]
	v_mov_b32_e32 v1, 0
	s_mov_b32 s2, exec_lo
	ds_load_b128 v[38:41], v1 offset:1232
	s_clause 0x1
	scratch_load_b128 v[34:37], off, off offset:384
	scratch_load_b128 v[42:45], off, off offset:240
	ds_load_b128 v[57:60], v1 offset:1248
	scratch_load_b128 v[61:64], off, off offset:400
	s_waitcnt vmcnt(10) lgkmcnt(1)
	v_mul_f64 v[65:66], v[40:41], v[4:5]
	v_mul_f64 v[4:5], v[38:39], v[4:5]
	s_delay_alu instid0(VALU_DEP_2) | instskip(NEXT) | instid1(VALU_DEP_2)
	v_fma_f64 v[91:92], v[38:39], v[2:3], -v[65:66]
	v_fma_f64 v[170:171], v[40:41], v[2:3], v[4:5]
	scratch_load_b128 v[38:41], off, off offset:416
	ds_load_b128 v[2:5], v1 offset:1264
	s_waitcnt vmcnt(10) lgkmcnt(1)
	v_mul_f64 v[69:70], v[57:58], v[8:9]
	v_mul_f64 v[8:9], v[59:60], v[8:9]
	ds_load_b128 v[65:68], v1 offset:1280
	s_waitcnt vmcnt(9) lgkmcnt(1)
	v_mul_f64 v[172:173], v[2:3], v[12:13]
	v_mul_f64 v[12:13], v[4:5], v[12:13]
	v_fma_f64 v[59:60], v[59:60], v[6:7], v[69:70]
	v_fma_f64 v[57:58], v[57:58], v[6:7], -v[8:9]
	v_add_f64 v[69:70], v[91:92], 0
	v_add_f64 v[91:92], v[170:171], 0
	scratch_load_b128 v[6:9], off, off offset:432
	v_fma_f64 v[172:173], v[4:5], v[10:11], v[172:173]
	v_fma_f64 v[174:175], v[2:3], v[10:11], -v[12:13]
	scratch_load_b128 v[10:13], off, off offset:448
	ds_load_b128 v[2:5], v1 offset:1296
	s_waitcnt vmcnt(10) lgkmcnt(1)
	v_mul_f64 v[170:171], v[65:66], v[16:17]
	v_mul_f64 v[16:17], v[67:68], v[16:17]
	v_add_f64 v[69:70], v[69:70], v[57:58]
	v_add_f64 v[91:92], v[91:92], v[59:60]
	s_waitcnt vmcnt(9) lgkmcnt(0)
	v_mul_f64 v[176:177], v[2:3], v[20:21]
	v_mul_f64 v[20:21], v[4:5], v[20:21]
	ds_load_b128 v[57:60], v1 offset:1312
	v_fma_f64 v[67:68], v[67:68], v[14:15], v[170:171]
	v_fma_f64 v[65:66], v[65:66], v[14:15], -v[16:17]
	scratch_load_b128 v[14:17], off, off offset:464
	v_add_f64 v[69:70], v[69:70], v[174:175]
	v_add_f64 v[91:92], v[91:92], v[172:173]
	v_fma_f64 v[172:173], v[4:5], v[18:19], v[176:177]
	v_fma_f64 v[174:175], v[2:3], v[18:19], -v[20:21]
	scratch_load_b128 v[18:21], off, off offset:480
	ds_load_b128 v[2:5], v1 offset:1328
	s_waitcnt vmcnt(10) lgkmcnt(1)
	v_mul_f64 v[170:171], v[57:58], v[24:25]
	v_mul_f64 v[24:25], v[59:60], v[24:25]
	s_waitcnt vmcnt(9) lgkmcnt(0)
	v_mul_f64 v[176:177], v[2:3], v[28:29]
	v_mul_f64 v[28:29], v[4:5], v[28:29]
	v_add_f64 v[69:70], v[69:70], v[65:66]
	v_add_f64 v[91:92], v[91:92], v[67:68]
	ds_load_b128 v[65:68], v1 offset:1344
	v_fma_f64 v[59:60], v[59:60], v[22:23], v[170:171]
	v_fma_f64 v[57:58], v[57:58], v[22:23], -v[24:25]
	scratch_load_b128 v[22:25], off, off offset:496
	v_add_f64 v[69:70], v[69:70], v[174:175]
	v_add_f64 v[91:92], v[91:92], v[172:173]
	v_fma_f64 v[172:173], v[4:5], v[26:27], v[176:177]
	v_fma_f64 v[174:175], v[2:3], v[26:27], -v[28:29]
	scratch_load_b128 v[26:29], off, off offset:512
	ds_load_b128 v[2:5], v1 offset:1360
	s_waitcnt vmcnt(10) lgkmcnt(1)
	v_mul_f64 v[170:171], v[65:66], v[32:33]
	v_mul_f64 v[32:33], v[67:68], v[32:33]
	s_waitcnt vmcnt(9) lgkmcnt(0)
	v_mul_f64 v[176:177], v[2:3], v[36:37]
	v_mul_f64 v[36:37], v[4:5], v[36:37]
	v_add_f64 v[69:70], v[69:70], v[57:58]
	v_add_f64 v[91:92], v[91:92], v[59:60]
	ds_load_b128 v[57:60], v1 offset:1376
	v_fma_f64 v[67:68], v[67:68], v[30:31], v[170:171]
	v_fma_f64 v[65:66], v[65:66], v[30:31], -v[32:33]
	scratch_load_b128 v[30:33], off, off offset:528
	v_add_f64 v[69:70], v[69:70], v[174:175]
	v_add_f64 v[91:92], v[91:92], v[172:173]
	v_fma_f64 v[174:175], v[4:5], v[34:35], v[176:177]
	v_fma_f64 v[176:177], v[2:3], v[34:35], -v[36:37]
	scratch_load_b128 v[34:37], off, off offset:544
	ds_load_b128 v[2:5], v1 offset:1392
	s_waitcnt vmcnt(9) lgkmcnt(1)
	v_mul_f64 v[170:171], v[57:58], v[63:64]
	v_mul_f64 v[172:173], v[59:60], v[63:64]
	v_add_f64 v[69:70], v[69:70], v[65:66]
	v_add_f64 v[67:68], v[91:92], v[67:68]
	ds_load_b128 v[63:66], v1 offset:1408
	v_fma_f64 v[170:171], v[59:60], v[61:62], v[170:171]
	v_fma_f64 v[61:62], v[57:58], v[61:62], -v[172:173]
	scratch_load_b128 v[57:60], off, off offset:560
	s_waitcnt vmcnt(9) lgkmcnt(1)
	v_mul_f64 v[91:92], v[2:3], v[40:41]
	v_mul_f64 v[40:41], v[4:5], v[40:41]
	v_add_f64 v[69:70], v[69:70], v[176:177]
	v_add_f64 v[67:68], v[67:68], v[174:175]
	s_delay_alu instid0(VALU_DEP_4) | instskip(NEXT) | instid1(VALU_DEP_4)
	v_fma_f64 v[91:92], v[4:5], v[38:39], v[91:92]
	v_fma_f64 v[174:175], v[2:3], v[38:39], -v[40:41]
	scratch_load_b128 v[38:41], off, off offset:576
	ds_load_b128 v[2:5], v1 offset:1424
	s_waitcnt vmcnt(9) lgkmcnt(1)
	v_mul_f64 v[172:173], v[63:64], v[8:9]
	v_mul_f64 v[8:9], v[65:66], v[8:9]
	s_waitcnt vmcnt(8) lgkmcnt(0)
	v_mul_f64 v[176:177], v[2:3], v[12:13]
	v_mul_f64 v[12:13], v[4:5], v[12:13]
	v_add_f64 v[61:62], v[69:70], v[61:62]
	v_add_f64 v[170:171], v[67:68], v[170:171]
	ds_load_b128 v[67:70], v1 offset:1440
	v_fma_f64 v[65:66], v[65:66], v[6:7], v[172:173]
	v_fma_f64 v[63:64], v[63:64], v[6:7], -v[8:9]
	scratch_load_b128 v[6:9], off, off offset:592
	v_fma_f64 v[172:173], v[4:5], v[10:11], v[176:177]
	v_add_f64 v[61:62], v[61:62], v[174:175]
	v_add_f64 v[91:92], v[170:171], v[91:92]
	v_fma_f64 v[174:175], v[2:3], v[10:11], -v[12:13]
	scratch_load_b128 v[10:13], off, off offset:608
	ds_load_b128 v[2:5], v1 offset:1456
	s_waitcnt vmcnt(9) lgkmcnt(1)
	v_mul_f64 v[170:171], v[67:68], v[16:17]
	v_mul_f64 v[16:17], v[69:70], v[16:17]
	v_add_f64 v[176:177], v[61:62], v[63:64]
	v_add_f64 v[65:66], v[91:92], v[65:66]
	s_waitcnt vmcnt(8) lgkmcnt(0)
	v_mul_f64 v[91:92], v[2:3], v[20:21]
	v_mul_f64 v[20:21], v[4:5], v[20:21]
	ds_load_b128 v[61:64], v1 offset:1472
	v_fma_f64 v[69:70], v[69:70], v[14:15], v[170:171]
	v_fma_f64 v[67:68], v[67:68], v[14:15], -v[16:17]
	scratch_load_b128 v[14:17], off, off offset:624
	v_add_f64 v[170:171], v[176:177], v[174:175]
	v_add_f64 v[65:66], v[65:66], v[172:173]
	v_fma_f64 v[91:92], v[4:5], v[18:19], v[91:92]
	v_fma_f64 v[174:175], v[2:3], v[18:19], -v[20:21]
	scratch_load_b128 v[18:21], off, off offset:640
	ds_load_b128 v[2:5], v1 offset:1488
	s_waitcnt vmcnt(9) lgkmcnt(1)
	v_mul_f64 v[172:173], v[61:62], v[24:25]
	v_mul_f64 v[24:25], v[63:64], v[24:25]
	s_waitcnt vmcnt(8) lgkmcnt(0)
	v_mul_f64 v[176:177], v[2:3], v[28:29]
	v_mul_f64 v[28:29], v[4:5], v[28:29]
	v_add_f64 v[170:171], v[170:171], v[67:68]
	v_add_f64 v[69:70], v[65:66], v[69:70]
	ds_load_b128 v[65:68], v1 offset:1504
	v_fma_f64 v[63:64], v[63:64], v[22:23], v[172:173]
	v_fma_f64 v[61:62], v[61:62], v[22:23], -v[24:25]
	scratch_load_b128 v[22:25], off, off offset:656
	v_fma_f64 v[172:173], v[4:5], v[26:27], v[176:177]
	v_add_f64 v[170:171], v[170:171], v[174:175]
	v_add_f64 v[69:70], v[69:70], v[91:92]
	v_fma_f64 v[174:175], v[2:3], v[26:27], -v[28:29]
	scratch_load_b128 v[26:29], off, off offset:672
	ds_load_b128 v[2:5], v1 offset:1520
	s_waitcnt vmcnt(9) lgkmcnt(1)
	v_mul_f64 v[91:92], v[65:66], v[32:33]
	v_mul_f64 v[32:33], v[67:68], v[32:33]
	s_waitcnt vmcnt(8) lgkmcnt(0)
	v_mul_f64 v[176:177], v[2:3], v[36:37]
	v_mul_f64 v[36:37], v[4:5], v[36:37]
	v_add_f64 v[170:171], v[170:171], v[61:62]
	v_add_f64 v[69:70], v[69:70], v[63:64]
	ds_load_b128 v[61:64], v1 offset:1536
	v_fma_f64 v[67:68], v[67:68], v[30:31], v[91:92]
	v_fma_f64 v[65:66], v[65:66], v[30:31], -v[32:33]
	scratch_load_b128 v[30:33], off, off offset:688
	v_add_f64 v[91:92], v[170:171], v[174:175]
	v_add_f64 v[69:70], v[69:70], v[172:173]
	v_fma_f64 v[172:173], v[4:5], v[34:35], v[176:177]
	v_fma_f64 v[174:175], v[2:3], v[34:35], -v[36:37]
	scratch_load_b128 v[34:37], off, off offset:704
	ds_load_b128 v[2:5], v1 offset:1552
	s_waitcnt vmcnt(9) lgkmcnt(1)
	v_mul_f64 v[170:171], v[61:62], v[59:60]
	v_mul_f64 v[59:60], v[63:64], v[59:60]
	s_waitcnt vmcnt(8) lgkmcnt(0)
	v_mul_f64 v[176:177], v[2:3], v[40:41]
	v_mul_f64 v[40:41], v[4:5], v[40:41]
	v_add_f64 v[91:92], v[91:92], v[65:66]
	v_add_f64 v[69:70], v[69:70], v[67:68]
	ds_load_b128 v[65:68], v1 offset:1568
	v_fma_f64 v[63:64], v[63:64], v[57:58], v[170:171]
	v_fma_f64 v[61:62], v[61:62], v[57:58], -v[59:60]
	scratch_load_b128 v[57:60], off, off offset:720
	v_add_f64 v[91:92], v[91:92], v[174:175]
	v_add_f64 v[69:70], v[69:70], v[172:173]
	v_fma_f64 v[172:173], v[4:5], v[38:39], v[176:177]
	;; [unrolled: 18-line block ×6, first 2 shown]
	v_fma_f64 v[176:177], v[2:3], v[34:35], -v[36:37]
	scratch_load_b128 v[34:37], off, off offset:864
	ds_load_b128 v[2:5], v1 offset:1712
	s_waitcnt vmcnt(9) lgkmcnt(1)
	v_mul_f64 v[170:171], v[65:66], v[59:60]
	v_mul_f64 v[172:173], v[67:68], v[59:60]
	v_add_f64 v[91:92], v[91:92], v[61:62]
	v_add_f64 v[63:64], v[69:70], v[63:64]
	s_waitcnt vmcnt(8) lgkmcnt(0)
	v_mul_f64 v[69:70], v[2:3], v[40:41]
	v_mul_f64 v[40:41], v[4:5], v[40:41]
	ds_load_b128 v[59:62], v1 offset:1728
	v_fma_f64 v[67:68], v[67:68], v[57:58], v[170:171]
	v_fma_f64 v[57:58], v[65:66], v[57:58], -v[172:173]
	v_add_f64 v[91:92], v[91:92], v[176:177]
	v_add_f64 v[170:171], v[63:64], v[174:175]
	scratch_load_b128 v[63:66], off, off offset:880
	v_fma_f64 v[174:175], v[4:5], v[38:39], v[69:70]
	v_fma_f64 v[176:177], v[2:3], v[38:39], -v[40:41]
	scratch_load_b128 v[38:41], off, off offset:896
	ds_load_b128 v[2:5], v1 offset:1744
	s_waitcnt vmcnt(9) lgkmcnt(1)
	v_mul_f64 v[172:173], v[59:60], v[8:9]
	v_mul_f64 v[8:9], v[61:62], v[8:9]
	v_add_f64 v[57:58], v[91:92], v[57:58]
	v_add_f64 v[91:92], v[170:171], v[67:68]
	s_waitcnt vmcnt(8) lgkmcnt(0)
	v_mul_f64 v[170:171], v[2:3], v[12:13]
	v_mul_f64 v[12:13], v[4:5], v[12:13]
	ds_load_b128 v[67:70], v1 offset:1760
	v_fma_f64 v[61:62], v[61:62], v[6:7], v[172:173]
	v_fma_f64 v[59:60], v[59:60], v[6:7], -v[8:9]
	scratch_load_b128 v[6:9], off, off offset:912
	v_add_f64 v[57:58], v[57:58], v[176:177]
	v_add_f64 v[91:92], v[91:92], v[174:175]
	v_fma_f64 v[170:171], v[4:5], v[10:11], v[170:171]
	v_fma_f64 v[174:175], v[2:3], v[10:11], -v[12:13]
	scratch_load_b128 v[10:13], off, off offset:928
	ds_load_b128 v[2:5], v1 offset:1776
	s_waitcnt vmcnt(9) lgkmcnt(1)
	v_mul_f64 v[172:173], v[67:68], v[16:17]
	v_mul_f64 v[16:17], v[69:70], v[16:17]
	v_add_f64 v[176:177], v[57:58], v[59:60]
	v_add_f64 v[61:62], v[91:92], v[61:62]
	s_waitcnt vmcnt(8) lgkmcnt(0)
	v_mul_f64 v[91:92], v[2:3], v[20:21]
	v_mul_f64 v[20:21], v[4:5], v[20:21]
	ds_load_b128 v[57:60], v1 offset:1792
	v_fma_f64 v[69:70], v[69:70], v[14:15], v[172:173]
	v_fma_f64 v[67:68], v[67:68], v[14:15], -v[16:17]
	scratch_load_b128 v[14:17], off, off offset:944
	v_add_f64 v[172:173], v[176:177], v[174:175]
	v_add_f64 v[61:62], v[61:62], v[170:171]
	v_fma_f64 v[91:92], v[4:5], v[18:19], v[91:92]
	v_fma_f64 v[174:175], v[2:3], v[18:19], -v[20:21]
	scratch_load_b128 v[18:21], off, off offset:960
	ds_load_b128 v[2:5], v1 offset:1808
	s_waitcnt vmcnt(9) lgkmcnt(1)
	v_mul_f64 v[170:171], v[57:58], v[24:25]
	v_mul_f64 v[24:25], v[59:60], v[24:25]
	s_waitcnt vmcnt(8) lgkmcnt(0)
	v_mul_f64 v[176:177], v[2:3], v[28:29]
	v_mul_f64 v[28:29], v[4:5], v[28:29]
	v_add_f64 v[172:173], v[172:173], v[67:68]
	v_add_f64 v[61:62], v[61:62], v[69:70]
	ds_load_b128 v[67:70], v1 offset:1824
	v_fma_f64 v[59:60], v[59:60], v[22:23], v[170:171]
	v_fma_f64 v[22:23], v[57:58], v[22:23], -v[24:25]
	v_add_f64 v[24:25], v[172:173], v[174:175]
	v_add_f64 v[57:58], v[61:62], v[91:92]
	s_waitcnt vmcnt(7) lgkmcnt(0)
	v_mul_f64 v[61:62], v[67:68], v[32:33]
	v_mul_f64 v[32:33], v[69:70], v[32:33]
	v_fma_f64 v[91:92], v[4:5], v[26:27], v[176:177]
	v_fma_f64 v[26:27], v[2:3], v[26:27], -v[28:29]
	v_add_f64 v[28:29], v[24:25], v[22:23]
	v_add_f64 v[57:58], v[57:58], v[59:60]
	ds_load_b128 v[2:5], v1 offset:1840
	ds_load_b128 v[22:25], v1 offset:1856
	v_fma_f64 v[61:62], v[69:70], v[30:31], v[61:62]
	v_fma_f64 v[30:31], v[67:68], v[30:31], -v[32:33]
	s_waitcnt vmcnt(6) lgkmcnt(1)
	v_mul_f64 v[59:60], v[2:3], v[36:37]
	v_mul_f64 v[36:37], v[4:5], v[36:37]
	v_add_f64 v[26:27], v[28:29], v[26:27]
	v_add_f64 v[28:29], v[57:58], v[91:92]
	s_waitcnt vmcnt(5) lgkmcnt(0)
	v_mul_f64 v[32:33], v[22:23], v[65:66]
	v_mul_f64 v[57:58], v[24:25], v[65:66]
	v_fma_f64 v[59:60], v[4:5], v[34:35], v[59:60]
	v_fma_f64 v[34:35], v[2:3], v[34:35], -v[36:37]
	v_add_f64 v[30:31], v[26:27], v[30:31]
	v_add_f64 v[36:37], v[28:29], v[61:62]
	ds_load_b128 v[2:5], v1 offset:1872
	ds_load_b128 v[26:29], v1 offset:1888
	v_fma_f64 v[24:25], v[24:25], v[63:64], v[32:33]
	v_fma_f64 v[22:23], v[22:23], v[63:64], -v[57:58]
	s_waitcnt vmcnt(4) lgkmcnt(1)
	v_mul_f64 v[61:62], v[2:3], v[40:41]
	v_mul_f64 v[40:41], v[4:5], v[40:41]
	;; [unrolled: 16-line block ×3, first 2 shown]
	v_add_f64 v[8:9], v[30:31], v[38:39]
	v_add_f64 v[26:27], v[32:33], v[36:37]
	s_waitcnt vmcnt(1) lgkmcnt(0)
	v_mul_f64 v[30:31], v[22:23], v[16:17]
	v_mul_f64 v[16:17], v[24:25], v[16:17]
	v_fma_f64 v[32:33], v[4:5], v[10:11], v[40:41]
	v_fma_f64 v[10:11], v[2:3], v[10:11], -v[12:13]
	ds_load_b128 v[2:5], v1 offset:1936
	v_add_f64 v[6:7], v[8:9], v[6:7]
	v_add_f64 v[8:9], v[26:27], v[28:29]
	v_fma_f64 v[24:25], v[24:25], v[14:15], v[30:31]
	v_fma_f64 v[14:15], v[22:23], v[14:15], -v[16:17]
	s_waitcnt vmcnt(0) lgkmcnt(0)
	v_mul_f64 v[12:13], v[2:3], v[20:21]
	v_mul_f64 v[20:21], v[4:5], v[20:21]
	v_add_f64 v[6:7], v[6:7], v[10:11]
	v_add_f64 v[8:9], v[8:9], v[32:33]
	s_delay_alu instid0(VALU_DEP_4) | instskip(NEXT) | instid1(VALU_DEP_4)
	v_fma_f64 v[4:5], v[4:5], v[18:19], v[12:13]
	v_fma_f64 v[2:3], v[2:3], v[18:19], -v[20:21]
	s_delay_alu instid0(VALU_DEP_4) | instskip(NEXT) | instid1(VALU_DEP_4)
	v_add_f64 v[6:7], v[6:7], v[14:15]
	v_add_f64 v[8:9], v[8:9], v[24:25]
	s_delay_alu instid0(VALU_DEP_2) | instskip(NEXT) | instid1(VALU_DEP_2)
	v_add_f64 v[2:3], v[6:7], v[2:3]
	v_add_f64 v[4:5], v[8:9], v[4:5]
	s_delay_alu instid0(VALU_DEP_2) | instskip(NEXT) | instid1(VALU_DEP_2)
	v_add_f64 v[2:3], v[42:43], -v[2:3]
	v_add_f64 v[4:5], v[44:45], -v[4:5]
	scratch_store_b128 off, v[2:5], off offset:240
	v_cmpx_lt_u32_e32 14, v169
	s_cbranch_execz .LBB124_363
; %bb.362:
	scratch_load_b128 v[5:8], v52, off
	v_mov_b32_e32 v2, v1
	v_mov_b32_e32 v3, v1
	;; [unrolled: 1-line block ×3, first 2 shown]
	scratch_store_b128 off, v[1:4], off offset:224
	s_waitcnt vmcnt(0)
	ds_store_b128 v229, v[5:8]
.LBB124_363:
	s_or_b32 exec_lo, exec_lo, s2
	s_waitcnt lgkmcnt(0)
	s_waitcnt_vscnt null, 0x0
	s_barrier
	buffer_gl0_inv
	s_clause 0x8
	scratch_load_b128 v[2:5], off, off offset:240
	scratch_load_b128 v[6:9], off, off offset:256
	;; [unrolled: 1-line block ×9, first 2 shown]
	ds_load_b128 v[42:45], v1 offset:1216
	ds_load_b128 v[38:41], v1 offset:1232
	s_clause 0x1
	scratch_load_b128 v[57:60], off, off offset:224
	scratch_load_b128 v[61:64], off, off offset:384
	s_mov_b32 s2, exec_lo
	s_waitcnt vmcnt(10) lgkmcnt(1)
	v_mul_f64 v[65:66], v[44:45], v[4:5]
	v_mul_f64 v[4:5], v[42:43], v[4:5]
	s_waitcnt vmcnt(9) lgkmcnt(0)
	v_mul_f64 v[69:70], v[38:39], v[8:9]
	v_mul_f64 v[8:9], v[40:41], v[8:9]
	s_delay_alu instid0(VALU_DEP_4) | instskip(NEXT) | instid1(VALU_DEP_4)
	v_fma_f64 v[91:92], v[42:43], v[2:3], -v[65:66]
	v_fma_f64 v[170:171], v[44:45], v[2:3], v[4:5]
	ds_load_b128 v[2:5], v1 offset:1248
	ds_load_b128 v[65:68], v1 offset:1264
	scratch_load_b128 v[42:45], off, off offset:400
	v_fma_f64 v[40:41], v[40:41], v[6:7], v[69:70]
	v_fma_f64 v[38:39], v[38:39], v[6:7], -v[8:9]
	scratch_load_b128 v[6:9], off, off offset:416
	s_waitcnt vmcnt(10) lgkmcnt(1)
	v_mul_f64 v[172:173], v[2:3], v[12:13]
	v_mul_f64 v[12:13], v[4:5], v[12:13]
	v_add_f64 v[69:70], v[91:92], 0
	v_add_f64 v[91:92], v[170:171], 0
	s_waitcnt vmcnt(9) lgkmcnt(0)
	v_mul_f64 v[170:171], v[65:66], v[16:17]
	v_mul_f64 v[16:17], v[67:68], v[16:17]
	v_fma_f64 v[172:173], v[4:5], v[10:11], v[172:173]
	v_fma_f64 v[174:175], v[2:3], v[10:11], -v[12:13]
	ds_load_b128 v[2:5], v1 offset:1280
	scratch_load_b128 v[10:13], off, off offset:432
	v_add_f64 v[69:70], v[69:70], v[38:39]
	v_add_f64 v[91:92], v[91:92], v[40:41]
	ds_load_b128 v[38:41], v1 offset:1296
	v_fma_f64 v[67:68], v[67:68], v[14:15], v[170:171]
	v_fma_f64 v[65:66], v[65:66], v[14:15], -v[16:17]
	scratch_load_b128 v[14:17], off, off offset:448
	s_waitcnt vmcnt(10) lgkmcnt(1)
	v_mul_f64 v[176:177], v[2:3], v[20:21]
	v_mul_f64 v[20:21], v[4:5], v[20:21]
	s_waitcnt vmcnt(9) lgkmcnt(0)
	v_mul_f64 v[170:171], v[38:39], v[24:25]
	v_mul_f64 v[24:25], v[40:41], v[24:25]
	v_add_f64 v[69:70], v[69:70], v[174:175]
	v_add_f64 v[91:92], v[91:92], v[172:173]
	v_fma_f64 v[172:173], v[4:5], v[18:19], v[176:177]
	v_fma_f64 v[174:175], v[2:3], v[18:19], -v[20:21]
	ds_load_b128 v[2:5], v1 offset:1312
	scratch_load_b128 v[18:21], off, off offset:464
	v_fma_f64 v[40:41], v[40:41], v[22:23], v[170:171]
	v_fma_f64 v[38:39], v[38:39], v[22:23], -v[24:25]
	scratch_load_b128 v[22:25], off, off offset:480
	v_add_f64 v[69:70], v[69:70], v[65:66]
	v_add_f64 v[91:92], v[91:92], v[67:68]
	ds_load_b128 v[65:68], v1 offset:1328
	s_waitcnt vmcnt(10) lgkmcnt(1)
	v_mul_f64 v[176:177], v[2:3], v[28:29]
	v_mul_f64 v[28:29], v[4:5], v[28:29]
	s_waitcnt vmcnt(9) lgkmcnt(0)
	v_mul_f64 v[170:171], v[65:66], v[32:33]
	v_mul_f64 v[32:33], v[67:68], v[32:33]
	v_add_f64 v[69:70], v[69:70], v[174:175]
	v_add_f64 v[91:92], v[91:92], v[172:173]
	v_fma_f64 v[172:173], v[4:5], v[26:27], v[176:177]
	v_fma_f64 v[174:175], v[2:3], v[26:27], -v[28:29]
	ds_load_b128 v[2:5], v1 offset:1344
	scratch_load_b128 v[26:29], off, off offset:496
	v_fma_f64 v[67:68], v[67:68], v[30:31], v[170:171]
	v_fma_f64 v[65:66], v[65:66], v[30:31], -v[32:33]
	scratch_load_b128 v[30:33], off, off offset:512
	v_add_f64 v[69:70], v[69:70], v[38:39]
	v_add_f64 v[91:92], v[91:92], v[40:41]
	ds_load_b128 v[38:41], v1 offset:1360
	s_waitcnt vmcnt(10) lgkmcnt(1)
	v_mul_f64 v[176:177], v[2:3], v[36:37]
	v_mul_f64 v[36:37], v[4:5], v[36:37]
	s_waitcnt vmcnt(8) lgkmcnt(0)
	v_mul_f64 v[170:171], v[38:39], v[63:64]
	v_add_f64 v[69:70], v[69:70], v[174:175]
	v_add_f64 v[91:92], v[91:92], v[172:173]
	v_mul_f64 v[172:173], v[40:41], v[63:64]
	v_fma_f64 v[174:175], v[4:5], v[34:35], v[176:177]
	v_fma_f64 v[176:177], v[2:3], v[34:35], -v[36:37]
	ds_load_b128 v[2:5], v1 offset:1376
	scratch_load_b128 v[34:37], off, off offset:528
	v_fma_f64 v[170:171], v[40:41], v[61:62], v[170:171]
	v_add_f64 v[69:70], v[69:70], v[65:66]
	v_add_f64 v[67:68], v[91:92], v[67:68]
	ds_load_b128 v[63:66], v1 offset:1392
	v_fma_f64 v[61:62], v[38:39], v[61:62], -v[172:173]
	scratch_load_b128 v[38:41], off, off offset:544
	s_waitcnt vmcnt(9) lgkmcnt(1)
	v_mul_f64 v[91:92], v[2:3], v[44:45]
	v_mul_f64 v[44:45], v[4:5], v[44:45]
	s_waitcnt vmcnt(8) lgkmcnt(0)
	v_mul_f64 v[172:173], v[63:64], v[8:9]
	v_mul_f64 v[8:9], v[65:66], v[8:9]
	v_add_f64 v[69:70], v[69:70], v[176:177]
	v_add_f64 v[67:68], v[67:68], v[174:175]
	v_fma_f64 v[91:92], v[4:5], v[42:43], v[91:92]
	v_fma_f64 v[174:175], v[2:3], v[42:43], -v[44:45]
	ds_load_b128 v[2:5], v1 offset:1408
	scratch_load_b128 v[42:45], off, off offset:560
	v_fma_f64 v[65:66], v[65:66], v[6:7], v[172:173]
	v_fma_f64 v[63:64], v[63:64], v[6:7], -v[8:9]
	scratch_load_b128 v[6:9], off, off offset:576
	v_add_f64 v[61:62], v[69:70], v[61:62]
	v_add_f64 v[170:171], v[67:68], v[170:171]
	ds_load_b128 v[67:70], v1 offset:1424
	s_waitcnt vmcnt(9) lgkmcnt(1)
	v_mul_f64 v[176:177], v[2:3], v[12:13]
	v_mul_f64 v[12:13], v[4:5], v[12:13]
	v_add_f64 v[61:62], v[61:62], v[174:175]
	v_add_f64 v[91:92], v[170:171], v[91:92]
	s_waitcnt vmcnt(8) lgkmcnt(0)
	v_mul_f64 v[170:171], v[67:68], v[16:17]
	v_mul_f64 v[16:17], v[69:70], v[16:17]
	v_fma_f64 v[172:173], v[4:5], v[10:11], v[176:177]
	v_fma_f64 v[174:175], v[2:3], v[10:11], -v[12:13]
	ds_load_b128 v[2:5], v1 offset:1440
	scratch_load_b128 v[10:13], off, off offset:592
	v_add_f64 v[176:177], v[61:62], v[63:64]
	v_add_f64 v[65:66], v[91:92], v[65:66]
	ds_load_b128 v[61:64], v1 offset:1456
	s_waitcnt vmcnt(8) lgkmcnt(1)
	v_mul_f64 v[91:92], v[2:3], v[20:21]
	v_mul_f64 v[20:21], v[4:5], v[20:21]
	v_fma_f64 v[69:70], v[69:70], v[14:15], v[170:171]
	v_fma_f64 v[67:68], v[67:68], v[14:15], -v[16:17]
	scratch_load_b128 v[14:17], off, off offset:608
	v_add_f64 v[170:171], v[176:177], v[174:175]
	v_add_f64 v[65:66], v[65:66], v[172:173]
	s_waitcnt vmcnt(8) lgkmcnt(0)
	v_mul_f64 v[172:173], v[61:62], v[24:25]
	v_mul_f64 v[24:25], v[63:64], v[24:25]
	v_fma_f64 v[91:92], v[4:5], v[18:19], v[91:92]
	v_fma_f64 v[174:175], v[2:3], v[18:19], -v[20:21]
	ds_load_b128 v[2:5], v1 offset:1472
	scratch_load_b128 v[18:21], off, off offset:624
	v_add_f64 v[170:171], v[170:171], v[67:68]
	v_add_f64 v[69:70], v[65:66], v[69:70]
	ds_load_b128 v[65:68], v1 offset:1488
	s_waitcnt vmcnt(8) lgkmcnt(1)
	v_mul_f64 v[176:177], v[2:3], v[28:29]
	v_mul_f64 v[28:29], v[4:5], v[28:29]
	v_fma_f64 v[63:64], v[63:64], v[22:23], v[172:173]
	v_fma_f64 v[61:62], v[61:62], v[22:23], -v[24:25]
	scratch_load_b128 v[22:25], off, off offset:640
	;; [unrolled: 18-line block ×4, first 2 shown]
	s_waitcnt vmcnt(8) lgkmcnt(0)
	v_mul_f64 v[170:171], v[65:66], v[8:9]
	v_mul_f64 v[8:9], v[67:68], v[8:9]
	v_add_f64 v[91:92], v[91:92], v[174:175]
	v_add_f64 v[69:70], v[69:70], v[172:173]
	v_fma_f64 v[172:173], v[4:5], v[42:43], v[176:177]
	v_fma_f64 v[174:175], v[2:3], v[42:43], -v[44:45]
	ds_load_b128 v[2:5], v1 offset:1568
	scratch_load_b128 v[42:45], off, off offset:720
	v_fma_f64 v[67:68], v[67:68], v[6:7], v[170:171]
	v_fma_f64 v[65:66], v[65:66], v[6:7], -v[8:9]
	scratch_load_b128 v[6:9], off, off offset:736
	v_add_f64 v[91:92], v[91:92], v[61:62]
	v_add_f64 v[69:70], v[69:70], v[63:64]
	ds_load_b128 v[61:64], v1 offset:1584
	s_waitcnt vmcnt(9) lgkmcnt(1)
	v_mul_f64 v[176:177], v[2:3], v[12:13]
	v_mul_f64 v[12:13], v[4:5], v[12:13]
	s_waitcnt vmcnt(8) lgkmcnt(0)
	v_mul_f64 v[170:171], v[61:62], v[16:17]
	v_mul_f64 v[16:17], v[63:64], v[16:17]
	v_add_f64 v[91:92], v[91:92], v[174:175]
	v_add_f64 v[69:70], v[69:70], v[172:173]
	v_fma_f64 v[172:173], v[4:5], v[10:11], v[176:177]
	v_fma_f64 v[174:175], v[2:3], v[10:11], -v[12:13]
	ds_load_b128 v[2:5], v1 offset:1600
	scratch_load_b128 v[10:13], off, off offset:752
	v_fma_f64 v[63:64], v[63:64], v[14:15], v[170:171]
	v_fma_f64 v[61:62], v[61:62], v[14:15], -v[16:17]
	scratch_load_b128 v[14:17], off, off offset:768
	v_add_f64 v[91:92], v[91:92], v[65:66]
	v_add_f64 v[69:70], v[69:70], v[67:68]
	ds_load_b128 v[65:68], v1 offset:1616
	s_waitcnt vmcnt(9) lgkmcnt(1)
	v_mul_f64 v[176:177], v[2:3], v[20:21]
	v_mul_f64 v[20:21], v[4:5], v[20:21]
	;; [unrolled: 18-line block ×8, first 2 shown]
	s_waitcnt vmcnt(8) lgkmcnt(0)
	v_mul_f64 v[170:171], v[65:66], v[32:33]
	v_mul_f64 v[32:33], v[67:68], v[32:33]
	v_add_f64 v[91:92], v[91:92], v[174:175]
	v_add_f64 v[69:70], v[69:70], v[172:173]
	v_fma_f64 v[172:173], v[4:5], v[26:27], v[176:177]
	v_fma_f64 v[174:175], v[2:3], v[26:27], -v[28:29]
	ds_load_b128 v[2:5], v1 offset:1824
	ds_load_b128 v[26:29], v1 offset:1840
	v_fma_f64 v[67:68], v[67:68], v[30:31], v[170:171]
	v_fma_f64 v[30:31], v[65:66], v[30:31], -v[32:33]
	v_add_f64 v[61:62], v[91:92], v[61:62]
	v_add_f64 v[63:64], v[69:70], v[63:64]
	s_waitcnt vmcnt(7) lgkmcnt(1)
	v_mul_f64 v[69:70], v[2:3], v[36:37]
	v_mul_f64 v[36:37], v[4:5], v[36:37]
	s_delay_alu instid0(VALU_DEP_4) | instskip(NEXT) | instid1(VALU_DEP_4)
	v_add_f64 v[32:33], v[61:62], v[174:175]
	v_add_f64 v[61:62], v[63:64], v[172:173]
	s_waitcnt vmcnt(6) lgkmcnt(0)
	v_mul_f64 v[63:64], v[26:27], v[40:41]
	v_mul_f64 v[40:41], v[28:29], v[40:41]
	v_fma_f64 v[65:66], v[4:5], v[34:35], v[69:70]
	v_fma_f64 v[34:35], v[2:3], v[34:35], -v[36:37]
	v_add_f64 v[36:37], v[32:33], v[30:31]
	v_add_f64 v[61:62], v[61:62], v[67:68]
	ds_load_b128 v[2:5], v1 offset:1856
	ds_load_b128 v[30:33], v1 offset:1872
	v_fma_f64 v[28:29], v[28:29], v[38:39], v[63:64]
	v_fma_f64 v[26:27], v[26:27], v[38:39], -v[40:41]
	s_waitcnt vmcnt(5) lgkmcnt(1)
	v_mul_f64 v[67:68], v[2:3], v[44:45]
	v_mul_f64 v[44:45], v[4:5], v[44:45]
	s_waitcnt vmcnt(4) lgkmcnt(0)
	v_mul_f64 v[38:39], v[30:31], v[8:9]
	v_mul_f64 v[8:9], v[32:33], v[8:9]
	v_add_f64 v[34:35], v[36:37], v[34:35]
	v_add_f64 v[36:37], v[61:62], v[65:66]
	v_fma_f64 v[40:41], v[4:5], v[42:43], v[67:68]
	v_fma_f64 v[42:43], v[2:3], v[42:43], -v[44:45]
	v_fma_f64 v[32:33], v[32:33], v[6:7], v[38:39]
	v_fma_f64 v[6:7], v[30:31], v[6:7], -v[8:9]
	v_add_f64 v[34:35], v[34:35], v[26:27]
	v_add_f64 v[36:37], v[36:37], v[28:29]
	ds_load_b128 v[2:5], v1 offset:1888
	ds_load_b128 v[26:29], v1 offset:1904
	s_waitcnt vmcnt(3) lgkmcnt(1)
	v_mul_f64 v[44:45], v[2:3], v[12:13]
	v_mul_f64 v[12:13], v[4:5], v[12:13]
	v_add_f64 v[8:9], v[34:35], v[42:43]
	v_add_f64 v[30:31], v[36:37], v[40:41]
	s_waitcnt vmcnt(2) lgkmcnt(0)
	v_mul_f64 v[34:35], v[26:27], v[16:17]
	v_mul_f64 v[16:17], v[28:29], v[16:17]
	v_fma_f64 v[36:37], v[4:5], v[10:11], v[44:45]
	v_fma_f64 v[10:11], v[2:3], v[10:11], -v[12:13]
	v_add_f64 v[12:13], v[8:9], v[6:7]
	v_add_f64 v[30:31], v[30:31], v[32:33]
	ds_load_b128 v[2:5], v1 offset:1920
	ds_load_b128 v[6:9], v1 offset:1936
	v_fma_f64 v[28:29], v[28:29], v[14:15], v[34:35]
	v_fma_f64 v[14:15], v[26:27], v[14:15], -v[16:17]
	s_waitcnt vmcnt(1) lgkmcnt(1)
	v_mul_f64 v[32:33], v[2:3], v[20:21]
	v_mul_f64 v[20:21], v[4:5], v[20:21]
	s_waitcnt vmcnt(0) lgkmcnt(0)
	v_mul_f64 v[16:17], v[6:7], v[24:25]
	v_mul_f64 v[24:25], v[8:9], v[24:25]
	v_add_f64 v[10:11], v[12:13], v[10:11]
	v_add_f64 v[12:13], v[30:31], v[36:37]
	v_fma_f64 v[4:5], v[4:5], v[18:19], v[32:33]
	v_fma_f64 v[1:2], v[2:3], v[18:19], -v[20:21]
	v_fma_f64 v[8:9], v[8:9], v[22:23], v[16:17]
	v_fma_f64 v[6:7], v[6:7], v[22:23], -v[24:25]
	v_add_f64 v[10:11], v[10:11], v[14:15]
	v_add_f64 v[12:13], v[12:13], v[28:29]
	s_delay_alu instid0(VALU_DEP_2) | instskip(NEXT) | instid1(VALU_DEP_2)
	v_add_f64 v[1:2], v[10:11], v[1:2]
	v_add_f64 v[3:4], v[12:13], v[4:5]
	s_delay_alu instid0(VALU_DEP_2) | instskip(NEXT) | instid1(VALU_DEP_2)
	;; [unrolled: 3-line block ×3, first 2 shown]
	v_add_f64 v[1:2], v[57:58], -v[1:2]
	v_add_f64 v[3:4], v[59:60], -v[3:4]
	scratch_store_b128 off, v[1:4], off offset:224
	v_cmpx_lt_u32_e32 13, v169
	s_cbranch_execz .LBB124_365
; %bb.364:
	scratch_load_b128 v[1:4], v236, off
	v_mov_b32_e32 v5, 0
	s_delay_alu instid0(VALU_DEP_1)
	v_mov_b32_e32 v6, v5
	v_mov_b32_e32 v7, v5
	;; [unrolled: 1-line block ×3, first 2 shown]
	scratch_store_b128 off, v[5:8], off offset:208
	s_waitcnt vmcnt(0)
	ds_store_b128 v229, v[1:4]
.LBB124_365:
	s_or_b32 exec_lo, exec_lo, s2
	s_waitcnt lgkmcnt(0)
	s_waitcnt_vscnt null, 0x0
	s_barrier
	buffer_gl0_inv
	s_clause 0x7
	scratch_load_b128 v[2:5], off, off offset:224
	scratch_load_b128 v[6:9], off, off offset:240
	;; [unrolled: 1-line block ×8, first 2 shown]
	v_mov_b32_e32 v1, 0
	s_mov_b32 s2, exec_lo
	ds_load_b128 v[38:41], v1 offset:1200
	s_clause 0x1
	scratch_load_b128 v[34:37], off, off offset:352
	scratch_load_b128 v[42:45], off, off offset:208
	ds_load_b128 v[57:60], v1 offset:1216
	scratch_load_b128 v[61:64], off, off offset:368
	s_waitcnt vmcnt(10) lgkmcnt(1)
	v_mul_f64 v[65:66], v[40:41], v[4:5]
	v_mul_f64 v[4:5], v[38:39], v[4:5]
	s_delay_alu instid0(VALU_DEP_2) | instskip(NEXT) | instid1(VALU_DEP_2)
	v_fma_f64 v[91:92], v[38:39], v[2:3], -v[65:66]
	v_fma_f64 v[170:171], v[40:41], v[2:3], v[4:5]
	scratch_load_b128 v[38:41], off, off offset:384
	ds_load_b128 v[2:5], v1 offset:1232
	s_waitcnt vmcnt(10) lgkmcnt(1)
	v_mul_f64 v[69:70], v[57:58], v[8:9]
	v_mul_f64 v[8:9], v[59:60], v[8:9]
	ds_load_b128 v[65:68], v1 offset:1248
	s_waitcnt vmcnt(9) lgkmcnt(1)
	v_mul_f64 v[172:173], v[2:3], v[12:13]
	v_mul_f64 v[12:13], v[4:5], v[12:13]
	v_fma_f64 v[59:60], v[59:60], v[6:7], v[69:70]
	v_fma_f64 v[57:58], v[57:58], v[6:7], -v[8:9]
	v_add_f64 v[69:70], v[91:92], 0
	v_add_f64 v[91:92], v[170:171], 0
	scratch_load_b128 v[6:9], off, off offset:400
	v_fma_f64 v[172:173], v[4:5], v[10:11], v[172:173]
	v_fma_f64 v[174:175], v[2:3], v[10:11], -v[12:13]
	scratch_load_b128 v[10:13], off, off offset:416
	ds_load_b128 v[2:5], v1 offset:1264
	s_waitcnt vmcnt(10) lgkmcnt(1)
	v_mul_f64 v[170:171], v[65:66], v[16:17]
	v_mul_f64 v[16:17], v[67:68], v[16:17]
	v_add_f64 v[69:70], v[69:70], v[57:58]
	v_add_f64 v[91:92], v[91:92], v[59:60]
	s_waitcnt vmcnt(9) lgkmcnt(0)
	v_mul_f64 v[176:177], v[2:3], v[20:21]
	v_mul_f64 v[20:21], v[4:5], v[20:21]
	ds_load_b128 v[57:60], v1 offset:1280
	v_fma_f64 v[67:68], v[67:68], v[14:15], v[170:171]
	v_fma_f64 v[65:66], v[65:66], v[14:15], -v[16:17]
	scratch_load_b128 v[14:17], off, off offset:432
	v_add_f64 v[69:70], v[69:70], v[174:175]
	v_add_f64 v[91:92], v[91:92], v[172:173]
	v_fma_f64 v[172:173], v[4:5], v[18:19], v[176:177]
	v_fma_f64 v[174:175], v[2:3], v[18:19], -v[20:21]
	scratch_load_b128 v[18:21], off, off offset:448
	ds_load_b128 v[2:5], v1 offset:1296
	s_waitcnt vmcnt(10) lgkmcnt(1)
	v_mul_f64 v[170:171], v[57:58], v[24:25]
	v_mul_f64 v[24:25], v[59:60], v[24:25]
	s_waitcnt vmcnt(9) lgkmcnt(0)
	v_mul_f64 v[176:177], v[2:3], v[28:29]
	v_mul_f64 v[28:29], v[4:5], v[28:29]
	v_add_f64 v[69:70], v[69:70], v[65:66]
	v_add_f64 v[91:92], v[91:92], v[67:68]
	ds_load_b128 v[65:68], v1 offset:1312
	v_fma_f64 v[59:60], v[59:60], v[22:23], v[170:171]
	v_fma_f64 v[57:58], v[57:58], v[22:23], -v[24:25]
	scratch_load_b128 v[22:25], off, off offset:464
	v_add_f64 v[69:70], v[69:70], v[174:175]
	v_add_f64 v[91:92], v[91:92], v[172:173]
	v_fma_f64 v[172:173], v[4:5], v[26:27], v[176:177]
	v_fma_f64 v[174:175], v[2:3], v[26:27], -v[28:29]
	scratch_load_b128 v[26:29], off, off offset:480
	ds_load_b128 v[2:5], v1 offset:1328
	s_waitcnt vmcnt(10) lgkmcnt(1)
	v_mul_f64 v[170:171], v[65:66], v[32:33]
	v_mul_f64 v[32:33], v[67:68], v[32:33]
	s_waitcnt vmcnt(9) lgkmcnt(0)
	v_mul_f64 v[176:177], v[2:3], v[36:37]
	v_mul_f64 v[36:37], v[4:5], v[36:37]
	v_add_f64 v[69:70], v[69:70], v[57:58]
	v_add_f64 v[91:92], v[91:92], v[59:60]
	ds_load_b128 v[57:60], v1 offset:1344
	v_fma_f64 v[67:68], v[67:68], v[30:31], v[170:171]
	v_fma_f64 v[65:66], v[65:66], v[30:31], -v[32:33]
	scratch_load_b128 v[30:33], off, off offset:496
	v_add_f64 v[69:70], v[69:70], v[174:175]
	v_add_f64 v[91:92], v[91:92], v[172:173]
	v_fma_f64 v[174:175], v[4:5], v[34:35], v[176:177]
	v_fma_f64 v[176:177], v[2:3], v[34:35], -v[36:37]
	scratch_load_b128 v[34:37], off, off offset:512
	ds_load_b128 v[2:5], v1 offset:1360
	s_waitcnt vmcnt(9) lgkmcnt(1)
	v_mul_f64 v[170:171], v[57:58], v[63:64]
	v_mul_f64 v[172:173], v[59:60], v[63:64]
	v_add_f64 v[69:70], v[69:70], v[65:66]
	v_add_f64 v[67:68], v[91:92], v[67:68]
	ds_load_b128 v[63:66], v1 offset:1376
	v_fma_f64 v[170:171], v[59:60], v[61:62], v[170:171]
	v_fma_f64 v[61:62], v[57:58], v[61:62], -v[172:173]
	scratch_load_b128 v[57:60], off, off offset:528
	s_waitcnt vmcnt(9) lgkmcnt(1)
	v_mul_f64 v[91:92], v[2:3], v[40:41]
	v_mul_f64 v[40:41], v[4:5], v[40:41]
	v_add_f64 v[69:70], v[69:70], v[176:177]
	v_add_f64 v[67:68], v[67:68], v[174:175]
	s_delay_alu instid0(VALU_DEP_4) | instskip(NEXT) | instid1(VALU_DEP_4)
	v_fma_f64 v[91:92], v[4:5], v[38:39], v[91:92]
	v_fma_f64 v[174:175], v[2:3], v[38:39], -v[40:41]
	scratch_load_b128 v[38:41], off, off offset:544
	ds_load_b128 v[2:5], v1 offset:1392
	s_waitcnt vmcnt(9) lgkmcnt(1)
	v_mul_f64 v[172:173], v[63:64], v[8:9]
	v_mul_f64 v[8:9], v[65:66], v[8:9]
	s_waitcnt vmcnt(8) lgkmcnt(0)
	v_mul_f64 v[176:177], v[2:3], v[12:13]
	v_mul_f64 v[12:13], v[4:5], v[12:13]
	v_add_f64 v[61:62], v[69:70], v[61:62]
	v_add_f64 v[170:171], v[67:68], v[170:171]
	ds_load_b128 v[67:70], v1 offset:1408
	v_fma_f64 v[65:66], v[65:66], v[6:7], v[172:173]
	v_fma_f64 v[63:64], v[63:64], v[6:7], -v[8:9]
	scratch_load_b128 v[6:9], off, off offset:560
	v_fma_f64 v[172:173], v[4:5], v[10:11], v[176:177]
	v_add_f64 v[61:62], v[61:62], v[174:175]
	v_add_f64 v[91:92], v[170:171], v[91:92]
	v_fma_f64 v[174:175], v[2:3], v[10:11], -v[12:13]
	scratch_load_b128 v[10:13], off, off offset:576
	ds_load_b128 v[2:5], v1 offset:1424
	s_waitcnt vmcnt(9) lgkmcnt(1)
	v_mul_f64 v[170:171], v[67:68], v[16:17]
	v_mul_f64 v[16:17], v[69:70], v[16:17]
	v_add_f64 v[176:177], v[61:62], v[63:64]
	v_add_f64 v[65:66], v[91:92], v[65:66]
	s_waitcnt vmcnt(8) lgkmcnt(0)
	v_mul_f64 v[91:92], v[2:3], v[20:21]
	v_mul_f64 v[20:21], v[4:5], v[20:21]
	ds_load_b128 v[61:64], v1 offset:1440
	v_fma_f64 v[69:70], v[69:70], v[14:15], v[170:171]
	v_fma_f64 v[67:68], v[67:68], v[14:15], -v[16:17]
	scratch_load_b128 v[14:17], off, off offset:592
	v_add_f64 v[170:171], v[176:177], v[174:175]
	v_add_f64 v[65:66], v[65:66], v[172:173]
	v_fma_f64 v[91:92], v[4:5], v[18:19], v[91:92]
	v_fma_f64 v[174:175], v[2:3], v[18:19], -v[20:21]
	scratch_load_b128 v[18:21], off, off offset:608
	ds_load_b128 v[2:5], v1 offset:1456
	s_waitcnt vmcnt(9) lgkmcnt(1)
	v_mul_f64 v[172:173], v[61:62], v[24:25]
	v_mul_f64 v[24:25], v[63:64], v[24:25]
	s_waitcnt vmcnt(8) lgkmcnt(0)
	v_mul_f64 v[176:177], v[2:3], v[28:29]
	v_mul_f64 v[28:29], v[4:5], v[28:29]
	v_add_f64 v[170:171], v[170:171], v[67:68]
	v_add_f64 v[69:70], v[65:66], v[69:70]
	ds_load_b128 v[65:68], v1 offset:1472
	v_fma_f64 v[63:64], v[63:64], v[22:23], v[172:173]
	v_fma_f64 v[61:62], v[61:62], v[22:23], -v[24:25]
	scratch_load_b128 v[22:25], off, off offset:624
	v_fma_f64 v[172:173], v[4:5], v[26:27], v[176:177]
	v_add_f64 v[170:171], v[170:171], v[174:175]
	v_add_f64 v[69:70], v[69:70], v[91:92]
	v_fma_f64 v[174:175], v[2:3], v[26:27], -v[28:29]
	scratch_load_b128 v[26:29], off, off offset:640
	ds_load_b128 v[2:5], v1 offset:1488
	s_waitcnt vmcnt(9) lgkmcnt(1)
	v_mul_f64 v[91:92], v[65:66], v[32:33]
	v_mul_f64 v[32:33], v[67:68], v[32:33]
	s_waitcnt vmcnt(8) lgkmcnt(0)
	v_mul_f64 v[176:177], v[2:3], v[36:37]
	v_mul_f64 v[36:37], v[4:5], v[36:37]
	v_add_f64 v[170:171], v[170:171], v[61:62]
	v_add_f64 v[69:70], v[69:70], v[63:64]
	ds_load_b128 v[61:64], v1 offset:1504
	v_fma_f64 v[67:68], v[67:68], v[30:31], v[91:92]
	v_fma_f64 v[65:66], v[65:66], v[30:31], -v[32:33]
	scratch_load_b128 v[30:33], off, off offset:656
	v_add_f64 v[91:92], v[170:171], v[174:175]
	v_add_f64 v[69:70], v[69:70], v[172:173]
	v_fma_f64 v[172:173], v[4:5], v[34:35], v[176:177]
	v_fma_f64 v[174:175], v[2:3], v[34:35], -v[36:37]
	scratch_load_b128 v[34:37], off, off offset:672
	ds_load_b128 v[2:5], v1 offset:1520
	s_waitcnt vmcnt(9) lgkmcnt(1)
	v_mul_f64 v[170:171], v[61:62], v[59:60]
	v_mul_f64 v[59:60], v[63:64], v[59:60]
	s_waitcnt vmcnt(8) lgkmcnt(0)
	v_mul_f64 v[176:177], v[2:3], v[40:41]
	v_mul_f64 v[40:41], v[4:5], v[40:41]
	v_add_f64 v[91:92], v[91:92], v[65:66]
	v_add_f64 v[69:70], v[69:70], v[67:68]
	ds_load_b128 v[65:68], v1 offset:1536
	v_fma_f64 v[63:64], v[63:64], v[57:58], v[170:171]
	v_fma_f64 v[61:62], v[61:62], v[57:58], -v[59:60]
	scratch_load_b128 v[57:60], off, off offset:688
	v_add_f64 v[91:92], v[91:92], v[174:175]
	v_add_f64 v[69:70], v[69:70], v[172:173]
	v_fma_f64 v[172:173], v[4:5], v[38:39], v[176:177]
	;; [unrolled: 18-line block ×6, first 2 shown]
	v_fma_f64 v[176:177], v[2:3], v[34:35], -v[36:37]
	scratch_load_b128 v[34:37], off, off offset:832
	ds_load_b128 v[2:5], v1 offset:1680
	s_waitcnt vmcnt(9) lgkmcnt(1)
	v_mul_f64 v[170:171], v[65:66], v[59:60]
	v_mul_f64 v[172:173], v[67:68], v[59:60]
	v_add_f64 v[91:92], v[91:92], v[61:62]
	v_add_f64 v[63:64], v[69:70], v[63:64]
	s_waitcnt vmcnt(8) lgkmcnt(0)
	v_mul_f64 v[69:70], v[2:3], v[40:41]
	v_mul_f64 v[40:41], v[4:5], v[40:41]
	ds_load_b128 v[59:62], v1 offset:1696
	v_fma_f64 v[67:68], v[67:68], v[57:58], v[170:171]
	v_fma_f64 v[57:58], v[65:66], v[57:58], -v[172:173]
	v_add_f64 v[91:92], v[91:92], v[176:177]
	v_add_f64 v[170:171], v[63:64], v[174:175]
	scratch_load_b128 v[63:66], off, off offset:848
	v_fma_f64 v[174:175], v[4:5], v[38:39], v[69:70]
	v_fma_f64 v[176:177], v[2:3], v[38:39], -v[40:41]
	scratch_load_b128 v[38:41], off, off offset:864
	ds_load_b128 v[2:5], v1 offset:1712
	s_waitcnt vmcnt(9) lgkmcnt(1)
	v_mul_f64 v[172:173], v[59:60], v[8:9]
	v_mul_f64 v[8:9], v[61:62], v[8:9]
	v_add_f64 v[57:58], v[91:92], v[57:58]
	v_add_f64 v[91:92], v[170:171], v[67:68]
	s_waitcnt vmcnt(8) lgkmcnt(0)
	v_mul_f64 v[170:171], v[2:3], v[12:13]
	v_mul_f64 v[12:13], v[4:5], v[12:13]
	ds_load_b128 v[67:70], v1 offset:1728
	v_fma_f64 v[61:62], v[61:62], v[6:7], v[172:173]
	v_fma_f64 v[59:60], v[59:60], v[6:7], -v[8:9]
	scratch_load_b128 v[6:9], off, off offset:880
	v_add_f64 v[57:58], v[57:58], v[176:177]
	v_add_f64 v[91:92], v[91:92], v[174:175]
	v_fma_f64 v[170:171], v[4:5], v[10:11], v[170:171]
	v_fma_f64 v[174:175], v[2:3], v[10:11], -v[12:13]
	scratch_load_b128 v[10:13], off, off offset:896
	ds_load_b128 v[2:5], v1 offset:1744
	s_waitcnt vmcnt(9) lgkmcnt(1)
	v_mul_f64 v[172:173], v[67:68], v[16:17]
	v_mul_f64 v[16:17], v[69:70], v[16:17]
	v_add_f64 v[176:177], v[57:58], v[59:60]
	v_add_f64 v[61:62], v[91:92], v[61:62]
	s_waitcnt vmcnt(8) lgkmcnt(0)
	v_mul_f64 v[91:92], v[2:3], v[20:21]
	v_mul_f64 v[20:21], v[4:5], v[20:21]
	ds_load_b128 v[57:60], v1 offset:1760
	v_fma_f64 v[69:70], v[69:70], v[14:15], v[172:173]
	v_fma_f64 v[67:68], v[67:68], v[14:15], -v[16:17]
	scratch_load_b128 v[14:17], off, off offset:912
	v_add_f64 v[172:173], v[176:177], v[174:175]
	v_add_f64 v[61:62], v[61:62], v[170:171]
	v_fma_f64 v[91:92], v[4:5], v[18:19], v[91:92]
	v_fma_f64 v[174:175], v[2:3], v[18:19], -v[20:21]
	scratch_load_b128 v[18:21], off, off offset:928
	ds_load_b128 v[2:5], v1 offset:1776
	s_waitcnt vmcnt(9) lgkmcnt(1)
	v_mul_f64 v[170:171], v[57:58], v[24:25]
	v_mul_f64 v[24:25], v[59:60], v[24:25]
	s_waitcnt vmcnt(8) lgkmcnt(0)
	v_mul_f64 v[176:177], v[2:3], v[28:29]
	v_mul_f64 v[28:29], v[4:5], v[28:29]
	v_add_f64 v[172:173], v[172:173], v[67:68]
	v_add_f64 v[61:62], v[61:62], v[69:70]
	ds_load_b128 v[67:70], v1 offset:1792
	v_fma_f64 v[59:60], v[59:60], v[22:23], v[170:171]
	v_fma_f64 v[57:58], v[57:58], v[22:23], -v[24:25]
	scratch_load_b128 v[22:25], off, off offset:944
	v_add_f64 v[170:171], v[172:173], v[174:175]
	v_add_f64 v[61:62], v[61:62], v[91:92]
	v_fma_f64 v[172:173], v[4:5], v[26:27], v[176:177]
	v_fma_f64 v[174:175], v[2:3], v[26:27], -v[28:29]
	scratch_load_b128 v[26:29], off, off offset:960
	ds_load_b128 v[2:5], v1 offset:1808
	s_waitcnt vmcnt(9) lgkmcnt(1)
	v_mul_f64 v[91:92], v[67:68], v[32:33]
	v_mul_f64 v[32:33], v[69:70], v[32:33]
	s_waitcnt vmcnt(8) lgkmcnt(0)
	v_mul_f64 v[176:177], v[2:3], v[36:37]
	v_mul_f64 v[36:37], v[4:5], v[36:37]
	v_add_f64 v[170:171], v[170:171], v[57:58]
	v_add_f64 v[61:62], v[61:62], v[59:60]
	ds_load_b128 v[57:60], v1 offset:1824
	v_fma_f64 v[69:70], v[69:70], v[30:31], v[91:92]
	v_fma_f64 v[30:31], v[67:68], v[30:31], -v[32:33]
	v_fma_f64 v[91:92], v[4:5], v[34:35], v[176:177]
	v_fma_f64 v[34:35], v[2:3], v[34:35], -v[36:37]
	v_add_f64 v[32:33], v[170:171], v[174:175]
	v_add_f64 v[61:62], v[61:62], v[172:173]
	s_waitcnt vmcnt(7) lgkmcnt(0)
	v_mul_f64 v[67:68], v[57:58], v[65:66]
	v_mul_f64 v[65:66], v[59:60], v[65:66]
	s_delay_alu instid0(VALU_DEP_4) | instskip(NEXT) | instid1(VALU_DEP_4)
	v_add_f64 v[36:37], v[32:33], v[30:31]
	v_add_f64 v[61:62], v[61:62], v[69:70]
	ds_load_b128 v[2:5], v1 offset:1840
	ds_load_b128 v[30:33], v1 offset:1856
	v_fma_f64 v[59:60], v[59:60], v[63:64], v[67:68]
	v_fma_f64 v[57:58], v[57:58], v[63:64], -v[65:66]
	s_waitcnt vmcnt(6) lgkmcnt(1)
	v_mul_f64 v[69:70], v[2:3], v[40:41]
	v_mul_f64 v[40:41], v[4:5], v[40:41]
	v_add_f64 v[34:35], v[36:37], v[34:35]
	v_add_f64 v[36:37], v[61:62], v[91:92]
	s_waitcnt vmcnt(5) lgkmcnt(0)
	v_mul_f64 v[61:62], v[30:31], v[8:9]
	v_mul_f64 v[8:9], v[32:33], v[8:9]
	v_fma_f64 v[63:64], v[4:5], v[38:39], v[69:70]
	v_fma_f64 v[38:39], v[2:3], v[38:39], -v[40:41]
	v_add_f64 v[40:41], v[34:35], v[57:58]
	v_add_f64 v[57:58], v[36:37], v[59:60]
	ds_load_b128 v[2:5], v1 offset:1872
	ds_load_b128 v[34:37], v1 offset:1888
	v_fma_f64 v[32:33], v[32:33], v[6:7], v[61:62]
	v_fma_f64 v[6:7], v[30:31], v[6:7], -v[8:9]
	s_waitcnt vmcnt(4) lgkmcnt(1)
	v_mul_f64 v[59:60], v[2:3], v[12:13]
	v_mul_f64 v[12:13], v[4:5], v[12:13]
	v_add_f64 v[8:9], v[40:41], v[38:39]
	v_add_f64 v[30:31], v[57:58], v[63:64]
	s_waitcnt vmcnt(3) lgkmcnt(0)
	v_mul_f64 v[38:39], v[34:35], v[16:17]
	v_mul_f64 v[16:17], v[36:37], v[16:17]
	v_fma_f64 v[40:41], v[4:5], v[10:11], v[59:60]
	v_fma_f64 v[10:11], v[2:3], v[10:11], -v[12:13]
	v_add_f64 v[12:13], v[8:9], v[6:7]
	v_add_f64 v[30:31], v[30:31], v[32:33]
	ds_load_b128 v[2:5], v1 offset:1904
	ds_load_b128 v[6:9], v1 offset:1920
	v_fma_f64 v[36:37], v[36:37], v[14:15], v[38:39]
	v_fma_f64 v[14:15], v[34:35], v[14:15], -v[16:17]
	s_waitcnt vmcnt(2) lgkmcnt(1)
	v_mul_f64 v[32:33], v[2:3], v[20:21]
	v_mul_f64 v[20:21], v[4:5], v[20:21]
	s_waitcnt vmcnt(1) lgkmcnt(0)
	v_mul_f64 v[16:17], v[6:7], v[24:25]
	v_mul_f64 v[24:25], v[8:9], v[24:25]
	v_add_f64 v[10:11], v[12:13], v[10:11]
	v_add_f64 v[12:13], v[30:31], v[40:41]
	v_fma_f64 v[30:31], v[4:5], v[18:19], v[32:33]
	v_fma_f64 v[18:19], v[2:3], v[18:19], -v[20:21]
	ds_load_b128 v[2:5], v1 offset:1936
	v_fma_f64 v[8:9], v[8:9], v[22:23], v[16:17]
	v_fma_f64 v[6:7], v[6:7], v[22:23], -v[24:25]
	v_add_f64 v[10:11], v[10:11], v[14:15]
	v_add_f64 v[12:13], v[12:13], v[36:37]
	s_waitcnt vmcnt(0) lgkmcnt(0)
	v_mul_f64 v[14:15], v[2:3], v[28:29]
	v_mul_f64 v[20:21], v[4:5], v[28:29]
	s_delay_alu instid0(VALU_DEP_4) | instskip(NEXT) | instid1(VALU_DEP_4)
	v_add_f64 v[10:11], v[10:11], v[18:19]
	v_add_f64 v[12:13], v[12:13], v[30:31]
	s_delay_alu instid0(VALU_DEP_4) | instskip(NEXT) | instid1(VALU_DEP_4)
	v_fma_f64 v[4:5], v[4:5], v[26:27], v[14:15]
	v_fma_f64 v[2:3], v[2:3], v[26:27], -v[20:21]
	s_delay_alu instid0(VALU_DEP_4) | instskip(NEXT) | instid1(VALU_DEP_4)
	v_add_f64 v[6:7], v[10:11], v[6:7]
	v_add_f64 v[8:9], v[12:13], v[8:9]
	s_delay_alu instid0(VALU_DEP_2) | instskip(NEXT) | instid1(VALU_DEP_2)
	v_add_f64 v[2:3], v[6:7], v[2:3]
	v_add_f64 v[4:5], v[8:9], v[4:5]
	s_delay_alu instid0(VALU_DEP_2) | instskip(NEXT) | instid1(VALU_DEP_2)
	v_add_f64 v[2:3], v[42:43], -v[2:3]
	v_add_f64 v[4:5], v[44:45], -v[4:5]
	scratch_store_b128 off, v[2:5], off offset:208
	v_cmpx_lt_u32_e32 12, v169
	s_cbranch_execz .LBB124_367
; %bb.366:
	scratch_load_b128 v[5:8], v237, off
	v_mov_b32_e32 v2, v1
	v_mov_b32_e32 v3, v1
	;; [unrolled: 1-line block ×3, first 2 shown]
	scratch_store_b128 off, v[1:4], off offset:192
	s_waitcnt vmcnt(0)
	ds_store_b128 v229, v[5:8]
.LBB124_367:
	s_or_b32 exec_lo, exec_lo, s2
	s_waitcnt lgkmcnt(0)
	s_waitcnt_vscnt null, 0x0
	s_barrier
	buffer_gl0_inv
	s_clause 0x8
	scratch_load_b128 v[2:5], off, off offset:208
	scratch_load_b128 v[6:9], off, off offset:224
	;; [unrolled: 1-line block ×9, first 2 shown]
	ds_load_b128 v[42:45], v1 offset:1184
	ds_load_b128 v[38:41], v1 offset:1200
	s_clause 0x1
	scratch_load_b128 v[57:60], off, off offset:192
	scratch_load_b128 v[61:64], off, off offset:352
	s_mov_b32 s2, exec_lo
	s_waitcnt vmcnt(10) lgkmcnt(1)
	v_mul_f64 v[65:66], v[44:45], v[4:5]
	v_mul_f64 v[4:5], v[42:43], v[4:5]
	s_waitcnt vmcnt(9) lgkmcnt(0)
	v_mul_f64 v[69:70], v[38:39], v[8:9]
	v_mul_f64 v[8:9], v[40:41], v[8:9]
	s_delay_alu instid0(VALU_DEP_4) | instskip(NEXT) | instid1(VALU_DEP_4)
	v_fma_f64 v[91:92], v[42:43], v[2:3], -v[65:66]
	v_fma_f64 v[170:171], v[44:45], v[2:3], v[4:5]
	ds_load_b128 v[2:5], v1 offset:1216
	ds_load_b128 v[65:68], v1 offset:1232
	scratch_load_b128 v[42:45], off, off offset:368
	v_fma_f64 v[40:41], v[40:41], v[6:7], v[69:70]
	v_fma_f64 v[38:39], v[38:39], v[6:7], -v[8:9]
	scratch_load_b128 v[6:9], off, off offset:384
	s_waitcnt vmcnt(10) lgkmcnt(1)
	v_mul_f64 v[172:173], v[2:3], v[12:13]
	v_mul_f64 v[12:13], v[4:5], v[12:13]
	v_add_f64 v[69:70], v[91:92], 0
	v_add_f64 v[91:92], v[170:171], 0
	s_waitcnt vmcnt(9) lgkmcnt(0)
	v_mul_f64 v[170:171], v[65:66], v[16:17]
	v_mul_f64 v[16:17], v[67:68], v[16:17]
	v_fma_f64 v[172:173], v[4:5], v[10:11], v[172:173]
	v_fma_f64 v[174:175], v[2:3], v[10:11], -v[12:13]
	ds_load_b128 v[2:5], v1 offset:1248
	scratch_load_b128 v[10:13], off, off offset:400
	v_add_f64 v[69:70], v[69:70], v[38:39]
	v_add_f64 v[91:92], v[91:92], v[40:41]
	ds_load_b128 v[38:41], v1 offset:1264
	v_fma_f64 v[67:68], v[67:68], v[14:15], v[170:171]
	v_fma_f64 v[65:66], v[65:66], v[14:15], -v[16:17]
	scratch_load_b128 v[14:17], off, off offset:416
	s_waitcnt vmcnt(10) lgkmcnt(1)
	v_mul_f64 v[176:177], v[2:3], v[20:21]
	v_mul_f64 v[20:21], v[4:5], v[20:21]
	s_waitcnt vmcnt(9) lgkmcnt(0)
	v_mul_f64 v[170:171], v[38:39], v[24:25]
	v_mul_f64 v[24:25], v[40:41], v[24:25]
	v_add_f64 v[69:70], v[69:70], v[174:175]
	v_add_f64 v[91:92], v[91:92], v[172:173]
	v_fma_f64 v[172:173], v[4:5], v[18:19], v[176:177]
	v_fma_f64 v[174:175], v[2:3], v[18:19], -v[20:21]
	ds_load_b128 v[2:5], v1 offset:1280
	scratch_load_b128 v[18:21], off, off offset:432
	v_fma_f64 v[40:41], v[40:41], v[22:23], v[170:171]
	v_fma_f64 v[38:39], v[38:39], v[22:23], -v[24:25]
	scratch_load_b128 v[22:25], off, off offset:448
	v_add_f64 v[69:70], v[69:70], v[65:66]
	v_add_f64 v[91:92], v[91:92], v[67:68]
	ds_load_b128 v[65:68], v1 offset:1296
	s_waitcnt vmcnt(10) lgkmcnt(1)
	v_mul_f64 v[176:177], v[2:3], v[28:29]
	v_mul_f64 v[28:29], v[4:5], v[28:29]
	s_waitcnt vmcnt(9) lgkmcnt(0)
	v_mul_f64 v[170:171], v[65:66], v[32:33]
	v_mul_f64 v[32:33], v[67:68], v[32:33]
	v_add_f64 v[69:70], v[69:70], v[174:175]
	v_add_f64 v[91:92], v[91:92], v[172:173]
	v_fma_f64 v[172:173], v[4:5], v[26:27], v[176:177]
	v_fma_f64 v[174:175], v[2:3], v[26:27], -v[28:29]
	ds_load_b128 v[2:5], v1 offset:1312
	scratch_load_b128 v[26:29], off, off offset:464
	v_fma_f64 v[67:68], v[67:68], v[30:31], v[170:171]
	v_fma_f64 v[65:66], v[65:66], v[30:31], -v[32:33]
	scratch_load_b128 v[30:33], off, off offset:480
	v_add_f64 v[69:70], v[69:70], v[38:39]
	v_add_f64 v[91:92], v[91:92], v[40:41]
	ds_load_b128 v[38:41], v1 offset:1328
	s_waitcnt vmcnt(10) lgkmcnt(1)
	v_mul_f64 v[176:177], v[2:3], v[36:37]
	v_mul_f64 v[36:37], v[4:5], v[36:37]
	s_waitcnt vmcnt(8) lgkmcnt(0)
	v_mul_f64 v[170:171], v[38:39], v[63:64]
	v_add_f64 v[69:70], v[69:70], v[174:175]
	v_add_f64 v[91:92], v[91:92], v[172:173]
	v_mul_f64 v[172:173], v[40:41], v[63:64]
	v_fma_f64 v[174:175], v[4:5], v[34:35], v[176:177]
	v_fma_f64 v[176:177], v[2:3], v[34:35], -v[36:37]
	ds_load_b128 v[2:5], v1 offset:1344
	scratch_load_b128 v[34:37], off, off offset:496
	v_fma_f64 v[170:171], v[40:41], v[61:62], v[170:171]
	v_add_f64 v[69:70], v[69:70], v[65:66]
	v_add_f64 v[67:68], v[91:92], v[67:68]
	ds_load_b128 v[63:66], v1 offset:1360
	v_fma_f64 v[61:62], v[38:39], v[61:62], -v[172:173]
	scratch_load_b128 v[38:41], off, off offset:512
	s_waitcnt vmcnt(9) lgkmcnt(1)
	v_mul_f64 v[91:92], v[2:3], v[44:45]
	v_mul_f64 v[44:45], v[4:5], v[44:45]
	s_waitcnt vmcnt(8) lgkmcnt(0)
	v_mul_f64 v[172:173], v[63:64], v[8:9]
	v_mul_f64 v[8:9], v[65:66], v[8:9]
	v_add_f64 v[69:70], v[69:70], v[176:177]
	v_add_f64 v[67:68], v[67:68], v[174:175]
	v_fma_f64 v[91:92], v[4:5], v[42:43], v[91:92]
	v_fma_f64 v[174:175], v[2:3], v[42:43], -v[44:45]
	ds_load_b128 v[2:5], v1 offset:1376
	scratch_load_b128 v[42:45], off, off offset:528
	v_fma_f64 v[65:66], v[65:66], v[6:7], v[172:173]
	v_fma_f64 v[63:64], v[63:64], v[6:7], -v[8:9]
	scratch_load_b128 v[6:9], off, off offset:544
	v_add_f64 v[61:62], v[69:70], v[61:62]
	v_add_f64 v[170:171], v[67:68], v[170:171]
	ds_load_b128 v[67:70], v1 offset:1392
	s_waitcnt vmcnt(9) lgkmcnt(1)
	v_mul_f64 v[176:177], v[2:3], v[12:13]
	v_mul_f64 v[12:13], v[4:5], v[12:13]
	v_add_f64 v[61:62], v[61:62], v[174:175]
	v_add_f64 v[91:92], v[170:171], v[91:92]
	s_waitcnt vmcnt(8) lgkmcnt(0)
	v_mul_f64 v[170:171], v[67:68], v[16:17]
	v_mul_f64 v[16:17], v[69:70], v[16:17]
	v_fma_f64 v[172:173], v[4:5], v[10:11], v[176:177]
	v_fma_f64 v[174:175], v[2:3], v[10:11], -v[12:13]
	ds_load_b128 v[2:5], v1 offset:1408
	scratch_load_b128 v[10:13], off, off offset:560
	v_add_f64 v[176:177], v[61:62], v[63:64]
	v_add_f64 v[65:66], v[91:92], v[65:66]
	ds_load_b128 v[61:64], v1 offset:1424
	s_waitcnt vmcnt(8) lgkmcnt(1)
	v_mul_f64 v[91:92], v[2:3], v[20:21]
	v_mul_f64 v[20:21], v[4:5], v[20:21]
	v_fma_f64 v[69:70], v[69:70], v[14:15], v[170:171]
	v_fma_f64 v[67:68], v[67:68], v[14:15], -v[16:17]
	scratch_load_b128 v[14:17], off, off offset:576
	v_add_f64 v[170:171], v[176:177], v[174:175]
	v_add_f64 v[65:66], v[65:66], v[172:173]
	s_waitcnt vmcnt(8) lgkmcnt(0)
	v_mul_f64 v[172:173], v[61:62], v[24:25]
	v_mul_f64 v[24:25], v[63:64], v[24:25]
	v_fma_f64 v[91:92], v[4:5], v[18:19], v[91:92]
	v_fma_f64 v[174:175], v[2:3], v[18:19], -v[20:21]
	ds_load_b128 v[2:5], v1 offset:1440
	scratch_load_b128 v[18:21], off, off offset:592
	v_add_f64 v[170:171], v[170:171], v[67:68]
	v_add_f64 v[69:70], v[65:66], v[69:70]
	ds_load_b128 v[65:68], v1 offset:1456
	s_waitcnt vmcnt(8) lgkmcnt(1)
	v_mul_f64 v[176:177], v[2:3], v[28:29]
	v_mul_f64 v[28:29], v[4:5], v[28:29]
	v_fma_f64 v[63:64], v[63:64], v[22:23], v[172:173]
	v_fma_f64 v[61:62], v[61:62], v[22:23], -v[24:25]
	scratch_load_b128 v[22:25], off, off offset:608
	;; [unrolled: 18-line block ×4, first 2 shown]
	s_waitcnt vmcnt(8) lgkmcnt(0)
	v_mul_f64 v[170:171], v[65:66], v[8:9]
	v_mul_f64 v[8:9], v[67:68], v[8:9]
	v_add_f64 v[91:92], v[91:92], v[174:175]
	v_add_f64 v[69:70], v[69:70], v[172:173]
	v_fma_f64 v[172:173], v[4:5], v[42:43], v[176:177]
	v_fma_f64 v[174:175], v[2:3], v[42:43], -v[44:45]
	ds_load_b128 v[2:5], v1 offset:1536
	scratch_load_b128 v[42:45], off, off offset:688
	v_fma_f64 v[67:68], v[67:68], v[6:7], v[170:171]
	v_fma_f64 v[65:66], v[65:66], v[6:7], -v[8:9]
	scratch_load_b128 v[6:9], off, off offset:704
	v_add_f64 v[91:92], v[91:92], v[61:62]
	v_add_f64 v[69:70], v[69:70], v[63:64]
	ds_load_b128 v[61:64], v1 offset:1552
	s_waitcnt vmcnt(9) lgkmcnt(1)
	v_mul_f64 v[176:177], v[2:3], v[12:13]
	v_mul_f64 v[12:13], v[4:5], v[12:13]
	s_waitcnt vmcnt(8) lgkmcnt(0)
	v_mul_f64 v[170:171], v[61:62], v[16:17]
	v_mul_f64 v[16:17], v[63:64], v[16:17]
	v_add_f64 v[91:92], v[91:92], v[174:175]
	v_add_f64 v[69:70], v[69:70], v[172:173]
	v_fma_f64 v[172:173], v[4:5], v[10:11], v[176:177]
	v_fma_f64 v[174:175], v[2:3], v[10:11], -v[12:13]
	ds_load_b128 v[2:5], v1 offset:1568
	scratch_load_b128 v[10:13], off, off offset:720
	v_fma_f64 v[63:64], v[63:64], v[14:15], v[170:171]
	v_fma_f64 v[61:62], v[61:62], v[14:15], -v[16:17]
	scratch_load_b128 v[14:17], off, off offset:736
	v_add_f64 v[91:92], v[91:92], v[65:66]
	v_add_f64 v[69:70], v[69:70], v[67:68]
	ds_load_b128 v[65:68], v1 offset:1584
	s_waitcnt vmcnt(9) lgkmcnt(1)
	v_mul_f64 v[176:177], v[2:3], v[20:21]
	v_mul_f64 v[20:21], v[4:5], v[20:21]
	;; [unrolled: 18-line block ×9, first 2 shown]
	s_waitcnt vmcnt(8) lgkmcnt(0)
	v_mul_f64 v[170:171], v[61:62], v[40:41]
	v_mul_f64 v[40:41], v[63:64], v[40:41]
	v_add_f64 v[91:92], v[91:92], v[174:175]
	v_add_f64 v[69:70], v[69:70], v[172:173]
	v_fma_f64 v[172:173], v[4:5], v[34:35], v[176:177]
	v_fma_f64 v[174:175], v[2:3], v[34:35], -v[36:37]
	ds_load_b128 v[2:5], v1 offset:1824
	ds_load_b128 v[34:37], v1 offset:1840
	v_fma_f64 v[63:64], v[63:64], v[38:39], v[170:171]
	v_fma_f64 v[38:39], v[61:62], v[38:39], -v[40:41]
	v_add_f64 v[65:66], v[91:92], v[65:66]
	v_add_f64 v[67:68], v[69:70], v[67:68]
	s_waitcnt vmcnt(7) lgkmcnt(1)
	v_mul_f64 v[69:70], v[2:3], v[44:45]
	v_mul_f64 v[44:45], v[4:5], v[44:45]
	s_delay_alu instid0(VALU_DEP_4) | instskip(NEXT) | instid1(VALU_DEP_4)
	v_add_f64 v[40:41], v[65:66], v[174:175]
	v_add_f64 v[61:62], v[67:68], v[172:173]
	s_waitcnt vmcnt(6) lgkmcnt(0)
	v_mul_f64 v[65:66], v[34:35], v[8:9]
	v_mul_f64 v[8:9], v[36:37], v[8:9]
	v_fma_f64 v[67:68], v[4:5], v[42:43], v[69:70]
	v_fma_f64 v[42:43], v[2:3], v[42:43], -v[44:45]
	v_add_f64 v[44:45], v[40:41], v[38:39]
	v_add_f64 v[61:62], v[61:62], v[63:64]
	ds_load_b128 v[2:5], v1 offset:1856
	ds_load_b128 v[38:41], v1 offset:1872
	v_fma_f64 v[36:37], v[36:37], v[6:7], v[65:66]
	v_fma_f64 v[6:7], v[34:35], v[6:7], -v[8:9]
	s_waitcnt vmcnt(5) lgkmcnt(1)
	v_mul_f64 v[63:64], v[2:3], v[12:13]
	v_mul_f64 v[12:13], v[4:5], v[12:13]
	v_add_f64 v[8:9], v[44:45], v[42:43]
	v_add_f64 v[34:35], v[61:62], v[67:68]
	s_waitcnt vmcnt(4) lgkmcnt(0)
	v_mul_f64 v[42:43], v[38:39], v[16:17]
	v_mul_f64 v[16:17], v[40:41], v[16:17]
	v_fma_f64 v[44:45], v[4:5], v[10:11], v[63:64]
	v_fma_f64 v[10:11], v[2:3], v[10:11], -v[12:13]
	v_add_f64 v[12:13], v[8:9], v[6:7]
	v_add_f64 v[34:35], v[34:35], v[36:37]
	ds_load_b128 v[2:5], v1 offset:1888
	ds_load_b128 v[6:9], v1 offset:1904
	v_fma_f64 v[40:41], v[40:41], v[14:15], v[42:43]
	v_fma_f64 v[14:15], v[38:39], v[14:15], -v[16:17]
	s_waitcnt vmcnt(3) lgkmcnt(1)
	v_mul_f64 v[36:37], v[2:3], v[20:21]
	v_mul_f64 v[20:21], v[4:5], v[20:21]
	s_waitcnt vmcnt(2) lgkmcnt(0)
	v_mul_f64 v[16:17], v[6:7], v[24:25]
	v_mul_f64 v[24:25], v[8:9], v[24:25]
	v_add_f64 v[10:11], v[12:13], v[10:11]
	v_add_f64 v[12:13], v[34:35], v[44:45]
	v_fma_f64 v[34:35], v[4:5], v[18:19], v[36:37]
	v_fma_f64 v[18:19], v[2:3], v[18:19], -v[20:21]
	v_fma_f64 v[8:9], v[8:9], v[22:23], v[16:17]
	v_fma_f64 v[6:7], v[6:7], v[22:23], -v[24:25]
	v_add_f64 v[14:15], v[10:11], v[14:15]
	v_add_f64 v[20:21], v[12:13], v[40:41]
	ds_load_b128 v[2:5], v1 offset:1920
	ds_load_b128 v[10:13], v1 offset:1936
	s_waitcnt vmcnt(1) lgkmcnt(1)
	v_mul_f64 v[36:37], v[2:3], v[28:29]
	v_mul_f64 v[28:29], v[4:5], v[28:29]
	v_add_f64 v[14:15], v[14:15], v[18:19]
	v_add_f64 v[16:17], v[20:21], v[34:35]
	s_waitcnt vmcnt(0) lgkmcnt(0)
	v_mul_f64 v[18:19], v[10:11], v[32:33]
	v_mul_f64 v[20:21], v[12:13], v[32:33]
	v_fma_f64 v[4:5], v[4:5], v[26:27], v[36:37]
	v_fma_f64 v[1:2], v[2:3], v[26:27], -v[28:29]
	v_add_f64 v[6:7], v[14:15], v[6:7]
	v_add_f64 v[8:9], v[16:17], v[8:9]
	v_fma_f64 v[12:13], v[12:13], v[30:31], v[18:19]
	v_fma_f64 v[10:11], v[10:11], v[30:31], -v[20:21]
	s_delay_alu instid0(VALU_DEP_4) | instskip(NEXT) | instid1(VALU_DEP_4)
	v_add_f64 v[1:2], v[6:7], v[1:2]
	v_add_f64 v[3:4], v[8:9], v[4:5]
	s_delay_alu instid0(VALU_DEP_2) | instskip(NEXT) | instid1(VALU_DEP_2)
	v_add_f64 v[1:2], v[1:2], v[10:11]
	v_add_f64 v[3:4], v[3:4], v[12:13]
	s_delay_alu instid0(VALU_DEP_2) | instskip(NEXT) | instid1(VALU_DEP_2)
	v_add_f64 v[1:2], v[57:58], -v[1:2]
	v_add_f64 v[3:4], v[59:60], -v[3:4]
	scratch_store_b128 off, v[1:4], off offset:192
	v_cmpx_lt_u32_e32 11, v169
	s_cbranch_execz .LBB124_369
; %bb.368:
	scratch_load_b128 v[1:4], v218, off
	v_mov_b32_e32 v5, 0
	s_delay_alu instid0(VALU_DEP_1)
	v_mov_b32_e32 v6, v5
	v_mov_b32_e32 v7, v5
	;; [unrolled: 1-line block ×3, first 2 shown]
	scratch_store_b128 off, v[5:8], off offset:176
	s_waitcnt vmcnt(0)
	ds_store_b128 v229, v[1:4]
.LBB124_369:
	s_or_b32 exec_lo, exec_lo, s2
	s_waitcnt lgkmcnt(0)
	s_waitcnt_vscnt null, 0x0
	s_barrier
	buffer_gl0_inv
	s_clause 0x7
	scratch_load_b128 v[2:5], off, off offset:192
	scratch_load_b128 v[6:9], off, off offset:208
	scratch_load_b128 v[10:13], off, off offset:224
	scratch_load_b128 v[14:17], off, off offset:240
	scratch_load_b128 v[18:21], off, off offset:256
	scratch_load_b128 v[22:25], off, off offset:272
	scratch_load_b128 v[26:29], off, off offset:288
	scratch_load_b128 v[30:33], off, off offset:304
	v_mov_b32_e32 v1, 0
	s_mov_b32 s2, exec_lo
	ds_load_b128 v[38:41], v1 offset:1168
	s_clause 0x1
	scratch_load_b128 v[34:37], off, off offset:320
	scratch_load_b128 v[42:45], off, off offset:176
	ds_load_b128 v[57:60], v1 offset:1184
	scratch_load_b128 v[61:64], off, off offset:336
	s_waitcnt vmcnt(10) lgkmcnt(1)
	v_mul_f64 v[65:66], v[40:41], v[4:5]
	v_mul_f64 v[4:5], v[38:39], v[4:5]
	s_delay_alu instid0(VALU_DEP_2) | instskip(NEXT) | instid1(VALU_DEP_2)
	v_fma_f64 v[91:92], v[38:39], v[2:3], -v[65:66]
	v_fma_f64 v[170:171], v[40:41], v[2:3], v[4:5]
	scratch_load_b128 v[38:41], off, off offset:352
	ds_load_b128 v[2:5], v1 offset:1200
	s_waitcnt vmcnt(10) lgkmcnt(1)
	v_mul_f64 v[69:70], v[57:58], v[8:9]
	v_mul_f64 v[8:9], v[59:60], v[8:9]
	ds_load_b128 v[65:68], v1 offset:1216
	s_waitcnt vmcnt(9) lgkmcnt(1)
	v_mul_f64 v[172:173], v[2:3], v[12:13]
	v_mul_f64 v[12:13], v[4:5], v[12:13]
	v_fma_f64 v[59:60], v[59:60], v[6:7], v[69:70]
	v_fma_f64 v[57:58], v[57:58], v[6:7], -v[8:9]
	v_add_f64 v[69:70], v[91:92], 0
	v_add_f64 v[91:92], v[170:171], 0
	scratch_load_b128 v[6:9], off, off offset:368
	v_fma_f64 v[172:173], v[4:5], v[10:11], v[172:173]
	v_fma_f64 v[174:175], v[2:3], v[10:11], -v[12:13]
	scratch_load_b128 v[10:13], off, off offset:384
	ds_load_b128 v[2:5], v1 offset:1232
	s_waitcnt vmcnt(10) lgkmcnt(1)
	v_mul_f64 v[170:171], v[65:66], v[16:17]
	v_mul_f64 v[16:17], v[67:68], v[16:17]
	v_add_f64 v[69:70], v[69:70], v[57:58]
	v_add_f64 v[91:92], v[91:92], v[59:60]
	s_waitcnt vmcnt(9) lgkmcnt(0)
	v_mul_f64 v[176:177], v[2:3], v[20:21]
	v_mul_f64 v[20:21], v[4:5], v[20:21]
	ds_load_b128 v[57:60], v1 offset:1248
	v_fma_f64 v[67:68], v[67:68], v[14:15], v[170:171]
	v_fma_f64 v[65:66], v[65:66], v[14:15], -v[16:17]
	scratch_load_b128 v[14:17], off, off offset:400
	v_add_f64 v[69:70], v[69:70], v[174:175]
	v_add_f64 v[91:92], v[91:92], v[172:173]
	v_fma_f64 v[172:173], v[4:5], v[18:19], v[176:177]
	v_fma_f64 v[174:175], v[2:3], v[18:19], -v[20:21]
	scratch_load_b128 v[18:21], off, off offset:416
	ds_load_b128 v[2:5], v1 offset:1264
	s_waitcnt vmcnt(10) lgkmcnt(1)
	v_mul_f64 v[170:171], v[57:58], v[24:25]
	v_mul_f64 v[24:25], v[59:60], v[24:25]
	s_waitcnt vmcnt(9) lgkmcnt(0)
	v_mul_f64 v[176:177], v[2:3], v[28:29]
	v_mul_f64 v[28:29], v[4:5], v[28:29]
	v_add_f64 v[69:70], v[69:70], v[65:66]
	v_add_f64 v[91:92], v[91:92], v[67:68]
	ds_load_b128 v[65:68], v1 offset:1280
	v_fma_f64 v[59:60], v[59:60], v[22:23], v[170:171]
	v_fma_f64 v[57:58], v[57:58], v[22:23], -v[24:25]
	scratch_load_b128 v[22:25], off, off offset:432
	v_add_f64 v[69:70], v[69:70], v[174:175]
	v_add_f64 v[91:92], v[91:92], v[172:173]
	v_fma_f64 v[172:173], v[4:5], v[26:27], v[176:177]
	v_fma_f64 v[174:175], v[2:3], v[26:27], -v[28:29]
	scratch_load_b128 v[26:29], off, off offset:448
	ds_load_b128 v[2:5], v1 offset:1296
	s_waitcnt vmcnt(10) lgkmcnt(1)
	v_mul_f64 v[170:171], v[65:66], v[32:33]
	v_mul_f64 v[32:33], v[67:68], v[32:33]
	s_waitcnt vmcnt(9) lgkmcnt(0)
	v_mul_f64 v[176:177], v[2:3], v[36:37]
	v_mul_f64 v[36:37], v[4:5], v[36:37]
	v_add_f64 v[69:70], v[69:70], v[57:58]
	v_add_f64 v[91:92], v[91:92], v[59:60]
	ds_load_b128 v[57:60], v1 offset:1312
	v_fma_f64 v[67:68], v[67:68], v[30:31], v[170:171]
	v_fma_f64 v[65:66], v[65:66], v[30:31], -v[32:33]
	scratch_load_b128 v[30:33], off, off offset:464
	v_add_f64 v[69:70], v[69:70], v[174:175]
	v_add_f64 v[91:92], v[91:92], v[172:173]
	v_fma_f64 v[174:175], v[4:5], v[34:35], v[176:177]
	v_fma_f64 v[176:177], v[2:3], v[34:35], -v[36:37]
	scratch_load_b128 v[34:37], off, off offset:480
	ds_load_b128 v[2:5], v1 offset:1328
	s_waitcnt vmcnt(9) lgkmcnt(1)
	v_mul_f64 v[170:171], v[57:58], v[63:64]
	v_mul_f64 v[172:173], v[59:60], v[63:64]
	v_add_f64 v[69:70], v[69:70], v[65:66]
	v_add_f64 v[67:68], v[91:92], v[67:68]
	ds_load_b128 v[63:66], v1 offset:1344
	v_fma_f64 v[170:171], v[59:60], v[61:62], v[170:171]
	v_fma_f64 v[61:62], v[57:58], v[61:62], -v[172:173]
	scratch_load_b128 v[57:60], off, off offset:496
	s_waitcnt vmcnt(9) lgkmcnt(1)
	v_mul_f64 v[91:92], v[2:3], v[40:41]
	v_mul_f64 v[40:41], v[4:5], v[40:41]
	v_add_f64 v[69:70], v[69:70], v[176:177]
	v_add_f64 v[67:68], v[67:68], v[174:175]
	s_delay_alu instid0(VALU_DEP_4) | instskip(NEXT) | instid1(VALU_DEP_4)
	v_fma_f64 v[91:92], v[4:5], v[38:39], v[91:92]
	v_fma_f64 v[174:175], v[2:3], v[38:39], -v[40:41]
	scratch_load_b128 v[38:41], off, off offset:512
	ds_load_b128 v[2:5], v1 offset:1360
	s_waitcnt vmcnt(9) lgkmcnt(1)
	v_mul_f64 v[172:173], v[63:64], v[8:9]
	v_mul_f64 v[8:9], v[65:66], v[8:9]
	s_waitcnt vmcnt(8) lgkmcnt(0)
	v_mul_f64 v[176:177], v[2:3], v[12:13]
	v_mul_f64 v[12:13], v[4:5], v[12:13]
	v_add_f64 v[61:62], v[69:70], v[61:62]
	v_add_f64 v[170:171], v[67:68], v[170:171]
	ds_load_b128 v[67:70], v1 offset:1376
	v_fma_f64 v[65:66], v[65:66], v[6:7], v[172:173]
	v_fma_f64 v[63:64], v[63:64], v[6:7], -v[8:9]
	scratch_load_b128 v[6:9], off, off offset:528
	v_fma_f64 v[172:173], v[4:5], v[10:11], v[176:177]
	v_add_f64 v[61:62], v[61:62], v[174:175]
	v_add_f64 v[91:92], v[170:171], v[91:92]
	v_fma_f64 v[174:175], v[2:3], v[10:11], -v[12:13]
	scratch_load_b128 v[10:13], off, off offset:544
	ds_load_b128 v[2:5], v1 offset:1392
	s_waitcnt vmcnt(9) lgkmcnt(1)
	v_mul_f64 v[170:171], v[67:68], v[16:17]
	v_mul_f64 v[16:17], v[69:70], v[16:17]
	v_add_f64 v[176:177], v[61:62], v[63:64]
	v_add_f64 v[65:66], v[91:92], v[65:66]
	s_waitcnt vmcnt(8) lgkmcnt(0)
	v_mul_f64 v[91:92], v[2:3], v[20:21]
	v_mul_f64 v[20:21], v[4:5], v[20:21]
	ds_load_b128 v[61:64], v1 offset:1408
	v_fma_f64 v[69:70], v[69:70], v[14:15], v[170:171]
	v_fma_f64 v[67:68], v[67:68], v[14:15], -v[16:17]
	scratch_load_b128 v[14:17], off, off offset:560
	v_add_f64 v[170:171], v[176:177], v[174:175]
	v_add_f64 v[65:66], v[65:66], v[172:173]
	v_fma_f64 v[91:92], v[4:5], v[18:19], v[91:92]
	v_fma_f64 v[174:175], v[2:3], v[18:19], -v[20:21]
	scratch_load_b128 v[18:21], off, off offset:576
	ds_load_b128 v[2:5], v1 offset:1424
	s_waitcnt vmcnt(9) lgkmcnt(1)
	v_mul_f64 v[172:173], v[61:62], v[24:25]
	v_mul_f64 v[24:25], v[63:64], v[24:25]
	s_waitcnt vmcnt(8) lgkmcnt(0)
	v_mul_f64 v[176:177], v[2:3], v[28:29]
	v_mul_f64 v[28:29], v[4:5], v[28:29]
	v_add_f64 v[170:171], v[170:171], v[67:68]
	v_add_f64 v[69:70], v[65:66], v[69:70]
	ds_load_b128 v[65:68], v1 offset:1440
	v_fma_f64 v[63:64], v[63:64], v[22:23], v[172:173]
	v_fma_f64 v[61:62], v[61:62], v[22:23], -v[24:25]
	scratch_load_b128 v[22:25], off, off offset:592
	v_fma_f64 v[172:173], v[4:5], v[26:27], v[176:177]
	v_add_f64 v[170:171], v[170:171], v[174:175]
	v_add_f64 v[69:70], v[69:70], v[91:92]
	v_fma_f64 v[174:175], v[2:3], v[26:27], -v[28:29]
	scratch_load_b128 v[26:29], off, off offset:608
	ds_load_b128 v[2:5], v1 offset:1456
	s_waitcnt vmcnt(9) lgkmcnt(1)
	v_mul_f64 v[91:92], v[65:66], v[32:33]
	v_mul_f64 v[32:33], v[67:68], v[32:33]
	s_waitcnt vmcnt(8) lgkmcnt(0)
	v_mul_f64 v[176:177], v[2:3], v[36:37]
	v_mul_f64 v[36:37], v[4:5], v[36:37]
	v_add_f64 v[170:171], v[170:171], v[61:62]
	v_add_f64 v[69:70], v[69:70], v[63:64]
	ds_load_b128 v[61:64], v1 offset:1472
	v_fma_f64 v[67:68], v[67:68], v[30:31], v[91:92]
	v_fma_f64 v[65:66], v[65:66], v[30:31], -v[32:33]
	scratch_load_b128 v[30:33], off, off offset:624
	v_add_f64 v[91:92], v[170:171], v[174:175]
	v_add_f64 v[69:70], v[69:70], v[172:173]
	v_fma_f64 v[172:173], v[4:5], v[34:35], v[176:177]
	v_fma_f64 v[174:175], v[2:3], v[34:35], -v[36:37]
	scratch_load_b128 v[34:37], off, off offset:640
	ds_load_b128 v[2:5], v1 offset:1488
	s_waitcnt vmcnt(9) lgkmcnt(1)
	v_mul_f64 v[170:171], v[61:62], v[59:60]
	v_mul_f64 v[59:60], v[63:64], v[59:60]
	s_waitcnt vmcnt(8) lgkmcnt(0)
	v_mul_f64 v[176:177], v[2:3], v[40:41]
	v_mul_f64 v[40:41], v[4:5], v[40:41]
	v_add_f64 v[91:92], v[91:92], v[65:66]
	v_add_f64 v[69:70], v[69:70], v[67:68]
	ds_load_b128 v[65:68], v1 offset:1504
	v_fma_f64 v[63:64], v[63:64], v[57:58], v[170:171]
	v_fma_f64 v[61:62], v[61:62], v[57:58], -v[59:60]
	scratch_load_b128 v[57:60], off, off offset:656
	v_add_f64 v[91:92], v[91:92], v[174:175]
	v_add_f64 v[69:70], v[69:70], v[172:173]
	v_fma_f64 v[172:173], v[4:5], v[38:39], v[176:177]
	v_fma_f64 v[174:175], v[2:3], v[38:39], -v[40:41]
	scratch_load_b128 v[38:41], off, off offset:672
	ds_load_b128 v[2:5], v1 offset:1520
	s_waitcnt vmcnt(9) lgkmcnt(1)
	v_mul_f64 v[170:171], v[65:66], v[8:9]
	v_mul_f64 v[8:9], v[67:68], v[8:9]
	s_waitcnt vmcnt(8) lgkmcnt(0)
	v_mul_f64 v[176:177], v[2:3], v[12:13]
	v_mul_f64 v[12:13], v[4:5], v[12:13]
	v_add_f64 v[91:92], v[91:92], v[61:62]
	v_add_f64 v[69:70], v[69:70], v[63:64]
	ds_load_b128 v[61:64], v1 offset:1536
	v_fma_f64 v[67:68], v[67:68], v[6:7], v[170:171]
	v_fma_f64 v[65:66], v[65:66], v[6:7], -v[8:9]
	scratch_load_b128 v[6:9], off, off offset:688
	v_add_f64 v[91:92], v[91:92], v[174:175]
	v_add_f64 v[69:70], v[69:70], v[172:173]
	v_fma_f64 v[172:173], v[4:5], v[10:11], v[176:177]
	v_fma_f64 v[174:175], v[2:3], v[10:11], -v[12:13]
	scratch_load_b128 v[10:13], off, off offset:704
	ds_load_b128 v[2:5], v1 offset:1552
	s_waitcnt vmcnt(9) lgkmcnt(1)
	v_mul_f64 v[170:171], v[61:62], v[16:17]
	v_mul_f64 v[16:17], v[63:64], v[16:17]
	s_waitcnt vmcnt(8) lgkmcnt(0)
	v_mul_f64 v[176:177], v[2:3], v[20:21]
	v_mul_f64 v[20:21], v[4:5], v[20:21]
	v_add_f64 v[91:92], v[91:92], v[65:66]
	v_add_f64 v[69:70], v[69:70], v[67:68]
	ds_load_b128 v[65:68], v1 offset:1568
	v_fma_f64 v[63:64], v[63:64], v[14:15], v[170:171]
	v_fma_f64 v[61:62], v[61:62], v[14:15], -v[16:17]
	scratch_load_b128 v[14:17], off, off offset:720
	v_add_f64 v[91:92], v[91:92], v[174:175]
	v_add_f64 v[69:70], v[69:70], v[172:173]
	v_fma_f64 v[172:173], v[4:5], v[18:19], v[176:177]
	v_fma_f64 v[174:175], v[2:3], v[18:19], -v[20:21]
	scratch_load_b128 v[18:21], off, off offset:736
	ds_load_b128 v[2:5], v1 offset:1584
	s_waitcnt vmcnt(9) lgkmcnt(1)
	v_mul_f64 v[170:171], v[65:66], v[24:25]
	v_mul_f64 v[24:25], v[67:68], v[24:25]
	s_waitcnt vmcnt(8) lgkmcnt(0)
	v_mul_f64 v[176:177], v[2:3], v[28:29]
	v_mul_f64 v[28:29], v[4:5], v[28:29]
	v_add_f64 v[91:92], v[91:92], v[61:62]
	v_add_f64 v[69:70], v[69:70], v[63:64]
	ds_load_b128 v[61:64], v1 offset:1600
	v_fma_f64 v[67:68], v[67:68], v[22:23], v[170:171]
	v_fma_f64 v[65:66], v[65:66], v[22:23], -v[24:25]
	scratch_load_b128 v[22:25], off, off offset:752
	v_add_f64 v[91:92], v[91:92], v[174:175]
	v_add_f64 v[69:70], v[69:70], v[172:173]
	v_fma_f64 v[172:173], v[4:5], v[26:27], v[176:177]
	v_fma_f64 v[174:175], v[2:3], v[26:27], -v[28:29]
	scratch_load_b128 v[26:29], off, off offset:768
	ds_load_b128 v[2:5], v1 offset:1616
	s_waitcnt vmcnt(9) lgkmcnt(1)
	v_mul_f64 v[170:171], v[61:62], v[32:33]
	v_mul_f64 v[32:33], v[63:64], v[32:33]
	s_waitcnt vmcnt(8) lgkmcnt(0)
	v_mul_f64 v[176:177], v[2:3], v[36:37]
	v_mul_f64 v[36:37], v[4:5], v[36:37]
	v_add_f64 v[91:92], v[91:92], v[65:66]
	v_add_f64 v[69:70], v[69:70], v[67:68]
	ds_load_b128 v[65:68], v1 offset:1632
	v_fma_f64 v[63:64], v[63:64], v[30:31], v[170:171]
	v_fma_f64 v[61:62], v[61:62], v[30:31], -v[32:33]
	scratch_load_b128 v[30:33], off, off offset:784
	v_add_f64 v[91:92], v[91:92], v[174:175]
	v_add_f64 v[69:70], v[69:70], v[172:173]
	v_fma_f64 v[174:175], v[4:5], v[34:35], v[176:177]
	v_fma_f64 v[176:177], v[2:3], v[34:35], -v[36:37]
	scratch_load_b128 v[34:37], off, off offset:800
	ds_load_b128 v[2:5], v1 offset:1648
	s_waitcnt vmcnt(9) lgkmcnt(1)
	v_mul_f64 v[170:171], v[65:66], v[59:60]
	v_mul_f64 v[172:173], v[67:68], v[59:60]
	v_add_f64 v[91:92], v[91:92], v[61:62]
	v_add_f64 v[63:64], v[69:70], v[63:64]
	s_waitcnt vmcnt(8) lgkmcnt(0)
	v_mul_f64 v[69:70], v[2:3], v[40:41]
	v_mul_f64 v[40:41], v[4:5], v[40:41]
	ds_load_b128 v[59:62], v1 offset:1664
	v_fma_f64 v[67:68], v[67:68], v[57:58], v[170:171]
	v_fma_f64 v[57:58], v[65:66], v[57:58], -v[172:173]
	v_add_f64 v[91:92], v[91:92], v[176:177]
	v_add_f64 v[170:171], v[63:64], v[174:175]
	scratch_load_b128 v[63:66], off, off offset:816
	v_fma_f64 v[174:175], v[4:5], v[38:39], v[69:70]
	v_fma_f64 v[176:177], v[2:3], v[38:39], -v[40:41]
	scratch_load_b128 v[38:41], off, off offset:832
	ds_load_b128 v[2:5], v1 offset:1680
	s_waitcnt vmcnt(9) lgkmcnt(1)
	v_mul_f64 v[172:173], v[59:60], v[8:9]
	v_mul_f64 v[8:9], v[61:62], v[8:9]
	v_add_f64 v[57:58], v[91:92], v[57:58]
	v_add_f64 v[91:92], v[170:171], v[67:68]
	s_waitcnt vmcnt(8) lgkmcnt(0)
	v_mul_f64 v[170:171], v[2:3], v[12:13]
	v_mul_f64 v[12:13], v[4:5], v[12:13]
	ds_load_b128 v[67:70], v1 offset:1696
	v_fma_f64 v[61:62], v[61:62], v[6:7], v[172:173]
	v_fma_f64 v[59:60], v[59:60], v[6:7], -v[8:9]
	scratch_load_b128 v[6:9], off, off offset:848
	v_add_f64 v[57:58], v[57:58], v[176:177]
	v_add_f64 v[91:92], v[91:92], v[174:175]
	v_fma_f64 v[170:171], v[4:5], v[10:11], v[170:171]
	v_fma_f64 v[174:175], v[2:3], v[10:11], -v[12:13]
	scratch_load_b128 v[10:13], off, off offset:864
	ds_load_b128 v[2:5], v1 offset:1712
	s_waitcnt vmcnt(9) lgkmcnt(1)
	v_mul_f64 v[172:173], v[67:68], v[16:17]
	v_mul_f64 v[16:17], v[69:70], v[16:17]
	v_add_f64 v[176:177], v[57:58], v[59:60]
	v_add_f64 v[61:62], v[91:92], v[61:62]
	s_waitcnt vmcnt(8) lgkmcnt(0)
	v_mul_f64 v[91:92], v[2:3], v[20:21]
	v_mul_f64 v[20:21], v[4:5], v[20:21]
	ds_load_b128 v[57:60], v1 offset:1728
	v_fma_f64 v[69:70], v[69:70], v[14:15], v[172:173]
	v_fma_f64 v[67:68], v[67:68], v[14:15], -v[16:17]
	scratch_load_b128 v[14:17], off, off offset:880
	v_add_f64 v[172:173], v[176:177], v[174:175]
	v_add_f64 v[61:62], v[61:62], v[170:171]
	v_fma_f64 v[91:92], v[4:5], v[18:19], v[91:92]
	v_fma_f64 v[174:175], v[2:3], v[18:19], -v[20:21]
	scratch_load_b128 v[18:21], off, off offset:896
	ds_load_b128 v[2:5], v1 offset:1744
	s_waitcnt vmcnt(9) lgkmcnt(1)
	v_mul_f64 v[170:171], v[57:58], v[24:25]
	v_mul_f64 v[24:25], v[59:60], v[24:25]
	s_waitcnt vmcnt(8) lgkmcnt(0)
	v_mul_f64 v[176:177], v[2:3], v[28:29]
	v_mul_f64 v[28:29], v[4:5], v[28:29]
	v_add_f64 v[172:173], v[172:173], v[67:68]
	v_add_f64 v[61:62], v[61:62], v[69:70]
	ds_load_b128 v[67:70], v1 offset:1760
	v_fma_f64 v[59:60], v[59:60], v[22:23], v[170:171]
	v_fma_f64 v[57:58], v[57:58], v[22:23], -v[24:25]
	scratch_load_b128 v[22:25], off, off offset:912
	v_add_f64 v[170:171], v[172:173], v[174:175]
	v_add_f64 v[61:62], v[61:62], v[91:92]
	v_fma_f64 v[172:173], v[4:5], v[26:27], v[176:177]
	v_fma_f64 v[174:175], v[2:3], v[26:27], -v[28:29]
	scratch_load_b128 v[26:29], off, off offset:928
	ds_load_b128 v[2:5], v1 offset:1776
	s_waitcnt vmcnt(9) lgkmcnt(1)
	v_mul_f64 v[91:92], v[67:68], v[32:33]
	v_mul_f64 v[32:33], v[69:70], v[32:33]
	s_waitcnt vmcnt(8) lgkmcnt(0)
	v_mul_f64 v[176:177], v[2:3], v[36:37]
	v_mul_f64 v[36:37], v[4:5], v[36:37]
	v_add_f64 v[170:171], v[170:171], v[57:58]
	v_add_f64 v[61:62], v[61:62], v[59:60]
	ds_load_b128 v[57:60], v1 offset:1792
	v_fma_f64 v[69:70], v[69:70], v[30:31], v[91:92]
	v_fma_f64 v[67:68], v[67:68], v[30:31], -v[32:33]
	scratch_load_b128 v[30:33], off, off offset:944
	v_add_f64 v[91:92], v[170:171], v[174:175]
	v_add_f64 v[61:62], v[61:62], v[172:173]
	v_fma_f64 v[174:175], v[4:5], v[34:35], v[176:177]
	v_fma_f64 v[176:177], v[2:3], v[34:35], -v[36:37]
	scratch_load_b128 v[34:37], off, off offset:960
	ds_load_b128 v[2:5], v1 offset:1808
	s_waitcnt vmcnt(9) lgkmcnt(1)
	v_mul_f64 v[170:171], v[57:58], v[65:66]
	v_mul_f64 v[172:173], v[59:60], v[65:66]
	v_add_f64 v[91:92], v[91:92], v[67:68]
	v_add_f64 v[61:62], v[61:62], v[69:70]
	s_waitcnt vmcnt(8) lgkmcnt(0)
	v_mul_f64 v[69:70], v[2:3], v[40:41]
	v_mul_f64 v[40:41], v[4:5], v[40:41]
	ds_load_b128 v[65:68], v1 offset:1824
	v_fma_f64 v[59:60], v[59:60], v[63:64], v[170:171]
	v_fma_f64 v[57:58], v[57:58], v[63:64], -v[172:173]
	v_add_f64 v[63:64], v[91:92], v[176:177]
	v_add_f64 v[61:62], v[61:62], v[174:175]
	s_waitcnt vmcnt(7) lgkmcnt(0)
	v_mul_f64 v[91:92], v[65:66], v[8:9]
	v_mul_f64 v[8:9], v[67:68], v[8:9]
	v_fma_f64 v[69:70], v[4:5], v[38:39], v[69:70]
	v_fma_f64 v[170:171], v[2:3], v[38:39], -v[40:41]
	ds_load_b128 v[2:5], v1 offset:1840
	ds_load_b128 v[38:41], v1 offset:1856
	v_add_f64 v[57:58], v[63:64], v[57:58]
	v_add_f64 v[59:60], v[61:62], v[59:60]
	s_waitcnt vmcnt(6) lgkmcnt(1)
	v_mul_f64 v[61:62], v[2:3], v[12:13]
	v_mul_f64 v[12:13], v[4:5], v[12:13]
	v_fma_f64 v[63:64], v[67:68], v[6:7], v[91:92]
	v_fma_f64 v[6:7], v[65:66], v[6:7], -v[8:9]
	v_add_f64 v[8:9], v[57:58], v[170:171]
	v_add_f64 v[57:58], v[59:60], v[69:70]
	s_waitcnt vmcnt(5) lgkmcnt(0)
	v_mul_f64 v[59:60], v[38:39], v[16:17]
	v_mul_f64 v[16:17], v[40:41], v[16:17]
	v_fma_f64 v[61:62], v[4:5], v[10:11], v[61:62]
	v_fma_f64 v[10:11], v[2:3], v[10:11], -v[12:13]
	v_add_f64 v[12:13], v[8:9], v[6:7]
	v_add_f64 v[57:58], v[57:58], v[63:64]
	ds_load_b128 v[2:5], v1 offset:1872
	ds_load_b128 v[6:9], v1 offset:1888
	v_fma_f64 v[40:41], v[40:41], v[14:15], v[59:60]
	v_fma_f64 v[14:15], v[38:39], v[14:15], -v[16:17]
	s_waitcnt vmcnt(4) lgkmcnt(1)
	v_mul_f64 v[63:64], v[2:3], v[20:21]
	v_mul_f64 v[20:21], v[4:5], v[20:21]
	s_waitcnt vmcnt(3) lgkmcnt(0)
	v_mul_f64 v[16:17], v[6:7], v[24:25]
	v_mul_f64 v[24:25], v[8:9], v[24:25]
	v_add_f64 v[10:11], v[12:13], v[10:11]
	v_add_f64 v[12:13], v[57:58], v[61:62]
	v_fma_f64 v[38:39], v[4:5], v[18:19], v[63:64]
	v_fma_f64 v[18:19], v[2:3], v[18:19], -v[20:21]
	v_fma_f64 v[8:9], v[8:9], v[22:23], v[16:17]
	v_fma_f64 v[6:7], v[6:7], v[22:23], -v[24:25]
	v_add_f64 v[14:15], v[10:11], v[14:15]
	v_add_f64 v[20:21], v[12:13], v[40:41]
	ds_load_b128 v[2:5], v1 offset:1904
	ds_load_b128 v[10:13], v1 offset:1920
	s_waitcnt vmcnt(2) lgkmcnt(1)
	v_mul_f64 v[40:41], v[2:3], v[28:29]
	v_mul_f64 v[28:29], v[4:5], v[28:29]
	v_add_f64 v[14:15], v[14:15], v[18:19]
	v_add_f64 v[16:17], v[20:21], v[38:39]
	s_waitcnt vmcnt(1) lgkmcnt(0)
	v_mul_f64 v[18:19], v[10:11], v[32:33]
	v_mul_f64 v[20:21], v[12:13], v[32:33]
	v_fma_f64 v[22:23], v[4:5], v[26:27], v[40:41]
	v_fma_f64 v[24:25], v[2:3], v[26:27], -v[28:29]
	ds_load_b128 v[2:5], v1 offset:1936
	v_add_f64 v[6:7], v[14:15], v[6:7]
	v_add_f64 v[8:9], v[16:17], v[8:9]
	v_fma_f64 v[12:13], v[12:13], v[30:31], v[18:19]
	v_fma_f64 v[10:11], v[10:11], v[30:31], -v[20:21]
	s_waitcnt vmcnt(0) lgkmcnt(0)
	v_mul_f64 v[14:15], v[2:3], v[36:37]
	v_mul_f64 v[16:17], v[4:5], v[36:37]
	v_add_f64 v[6:7], v[6:7], v[24:25]
	v_add_f64 v[8:9], v[8:9], v[22:23]
	s_delay_alu instid0(VALU_DEP_4) | instskip(NEXT) | instid1(VALU_DEP_4)
	v_fma_f64 v[4:5], v[4:5], v[34:35], v[14:15]
	v_fma_f64 v[2:3], v[2:3], v[34:35], -v[16:17]
	s_delay_alu instid0(VALU_DEP_4) | instskip(NEXT) | instid1(VALU_DEP_4)
	v_add_f64 v[6:7], v[6:7], v[10:11]
	v_add_f64 v[8:9], v[8:9], v[12:13]
	s_delay_alu instid0(VALU_DEP_2) | instskip(NEXT) | instid1(VALU_DEP_2)
	v_add_f64 v[2:3], v[6:7], v[2:3]
	v_add_f64 v[4:5], v[8:9], v[4:5]
	s_delay_alu instid0(VALU_DEP_2) | instskip(NEXT) | instid1(VALU_DEP_2)
	v_add_f64 v[2:3], v[42:43], -v[2:3]
	v_add_f64 v[4:5], v[44:45], -v[4:5]
	scratch_store_b128 off, v[2:5], off offset:176
	v_cmpx_lt_u32_e32 10, v169
	s_cbranch_execz .LBB124_371
; %bb.370:
	scratch_load_b128 v[5:8], v219, off
	v_mov_b32_e32 v2, v1
	v_mov_b32_e32 v3, v1
	;; [unrolled: 1-line block ×3, first 2 shown]
	scratch_store_b128 off, v[1:4], off offset:160
	s_waitcnt vmcnt(0)
	ds_store_b128 v229, v[5:8]
.LBB124_371:
	s_or_b32 exec_lo, exec_lo, s2
	s_waitcnt lgkmcnt(0)
	s_waitcnt_vscnt null, 0x0
	s_barrier
	buffer_gl0_inv
	s_clause 0x8
	scratch_load_b128 v[2:5], off, off offset:176
	scratch_load_b128 v[6:9], off, off offset:192
	;; [unrolled: 1-line block ×9, first 2 shown]
	ds_load_b128 v[42:45], v1 offset:1152
	ds_load_b128 v[38:41], v1 offset:1168
	s_clause 0x1
	scratch_load_b128 v[57:60], off, off offset:160
	scratch_load_b128 v[61:64], off, off offset:320
	s_mov_b32 s2, exec_lo
	s_waitcnt vmcnt(10) lgkmcnt(1)
	v_mul_f64 v[65:66], v[44:45], v[4:5]
	v_mul_f64 v[4:5], v[42:43], v[4:5]
	s_waitcnt vmcnt(9) lgkmcnt(0)
	v_mul_f64 v[69:70], v[38:39], v[8:9]
	v_mul_f64 v[8:9], v[40:41], v[8:9]
	s_delay_alu instid0(VALU_DEP_4) | instskip(NEXT) | instid1(VALU_DEP_4)
	v_fma_f64 v[91:92], v[42:43], v[2:3], -v[65:66]
	v_fma_f64 v[170:171], v[44:45], v[2:3], v[4:5]
	ds_load_b128 v[2:5], v1 offset:1184
	ds_load_b128 v[65:68], v1 offset:1200
	scratch_load_b128 v[42:45], off, off offset:336
	v_fma_f64 v[40:41], v[40:41], v[6:7], v[69:70]
	v_fma_f64 v[38:39], v[38:39], v[6:7], -v[8:9]
	scratch_load_b128 v[6:9], off, off offset:352
	s_waitcnt vmcnt(10) lgkmcnt(1)
	v_mul_f64 v[172:173], v[2:3], v[12:13]
	v_mul_f64 v[12:13], v[4:5], v[12:13]
	v_add_f64 v[69:70], v[91:92], 0
	v_add_f64 v[91:92], v[170:171], 0
	s_waitcnt vmcnt(9) lgkmcnt(0)
	v_mul_f64 v[170:171], v[65:66], v[16:17]
	v_mul_f64 v[16:17], v[67:68], v[16:17]
	v_fma_f64 v[172:173], v[4:5], v[10:11], v[172:173]
	v_fma_f64 v[174:175], v[2:3], v[10:11], -v[12:13]
	ds_load_b128 v[2:5], v1 offset:1216
	scratch_load_b128 v[10:13], off, off offset:368
	v_add_f64 v[69:70], v[69:70], v[38:39]
	v_add_f64 v[91:92], v[91:92], v[40:41]
	ds_load_b128 v[38:41], v1 offset:1232
	v_fma_f64 v[67:68], v[67:68], v[14:15], v[170:171]
	v_fma_f64 v[65:66], v[65:66], v[14:15], -v[16:17]
	scratch_load_b128 v[14:17], off, off offset:384
	s_waitcnt vmcnt(10) lgkmcnt(1)
	v_mul_f64 v[176:177], v[2:3], v[20:21]
	v_mul_f64 v[20:21], v[4:5], v[20:21]
	s_waitcnt vmcnt(9) lgkmcnt(0)
	v_mul_f64 v[170:171], v[38:39], v[24:25]
	v_mul_f64 v[24:25], v[40:41], v[24:25]
	v_add_f64 v[69:70], v[69:70], v[174:175]
	v_add_f64 v[91:92], v[91:92], v[172:173]
	v_fma_f64 v[172:173], v[4:5], v[18:19], v[176:177]
	v_fma_f64 v[174:175], v[2:3], v[18:19], -v[20:21]
	ds_load_b128 v[2:5], v1 offset:1248
	scratch_load_b128 v[18:21], off, off offset:400
	v_fma_f64 v[40:41], v[40:41], v[22:23], v[170:171]
	v_fma_f64 v[38:39], v[38:39], v[22:23], -v[24:25]
	scratch_load_b128 v[22:25], off, off offset:416
	v_add_f64 v[69:70], v[69:70], v[65:66]
	v_add_f64 v[91:92], v[91:92], v[67:68]
	ds_load_b128 v[65:68], v1 offset:1264
	s_waitcnt vmcnt(10) lgkmcnt(1)
	v_mul_f64 v[176:177], v[2:3], v[28:29]
	v_mul_f64 v[28:29], v[4:5], v[28:29]
	s_waitcnt vmcnt(9) lgkmcnt(0)
	v_mul_f64 v[170:171], v[65:66], v[32:33]
	v_mul_f64 v[32:33], v[67:68], v[32:33]
	v_add_f64 v[69:70], v[69:70], v[174:175]
	v_add_f64 v[91:92], v[91:92], v[172:173]
	v_fma_f64 v[172:173], v[4:5], v[26:27], v[176:177]
	v_fma_f64 v[174:175], v[2:3], v[26:27], -v[28:29]
	ds_load_b128 v[2:5], v1 offset:1280
	scratch_load_b128 v[26:29], off, off offset:432
	v_fma_f64 v[67:68], v[67:68], v[30:31], v[170:171]
	v_fma_f64 v[65:66], v[65:66], v[30:31], -v[32:33]
	scratch_load_b128 v[30:33], off, off offset:448
	v_add_f64 v[69:70], v[69:70], v[38:39]
	v_add_f64 v[91:92], v[91:92], v[40:41]
	ds_load_b128 v[38:41], v1 offset:1296
	s_waitcnt vmcnt(10) lgkmcnt(1)
	v_mul_f64 v[176:177], v[2:3], v[36:37]
	v_mul_f64 v[36:37], v[4:5], v[36:37]
	s_waitcnt vmcnt(8) lgkmcnt(0)
	v_mul_f64 v[170:171], v[38:39], v[63:64]
	v_add_f64 v[69:70], v[69:70], v[174:175]
	v_add_f64 v[91:92], v[91:92], v[172:173]
	v_mul_f64 v[172:173], v[40:41], v[63:64]
	v_fma_f64 v[174:175], v[4:5], v[34:35], v[176:177]
	v_fma_f64 v[176:177], v[2:3], v[34:35], -v[36:37]
	ds_load_b128 v[2:5], v1 offset:1312
	scratch_load_b128 v[34:37], off, off offset:464
	v_fma_f64 v[170:171], v[40:41], v[61:62], v[170:171]
	v_add_f64 v[69:70], v[69:70], v[65:66]
	v_add_f64 v[67:68], v[91:92], v[67:68]
	ds_load_b128 v[63:66], v1 offset:1328
	v_fma_f64 v[61:62], v[38:39], v[61:62], -v[172:173]
	scratch_load_b128 v[38:41], off, off offset:480
	s_waitcnt vmcnt(9) lgkmcnt(1)
	v_mul_f64 v[91:92], v[2:3], v[44:45]
	v_mul_f64 v[44:45], v[4:5], v[44:45]
	s_waitcnt vmcnt(8) lgkmcnt(0)
	v_mul_f64 v[172:173], v[63:64], v[8:9]
	v_mul_f64 v[8:9], v[65:66], v[8:9]
	v_add_f64 v[69:70], v[69:70], v[176:177]
	v_add_f64 v[67:68], v[67:68], v[174:175]
	v_fma_f64 v[91:92], v[4:5], v[42:43], v[91:92]
	v_fma_f64 v[174:175], v[2:3], v[42:43], -v[44:45]
	ds_load_b128 v[2:5], v1 offset:1344
	scratch_load_b128 v[42:45], off, off offset:496
	v_fma_f64 v[65:66], v[65:66], v[6:7], v[172:173]
	v_fma_f64 v[63:64], v[63:64], v[6:7], -v[8:9]
	scratch_load_b128 v[6:9], off, off offset:512
	v_add_f64 v[61:62], v[69:70], v[61:62]
	v_add_f64 v[170:171], v[67:68], v[170:171]
	ds_load_b128 v[67:70], v1 offset:1360
	s_waitcnt vmcnt(9) lgkmcnt(1)
	v_mul_f64 v[176:177], v[2:3], v[12:13]
	v_mul_f64 v[12:13], v[4:5], v[12:13]
	v_add_f64 v[61:62], v[61:62], v[174:175]
	v_add_f64 v[91:92], v[170:171], v[91:92]
	s_waitcnt vmcnt(8) lgkmcnt(0)
	v_mul_f64 v[170:171], v[67:68], v[16:17]
	v_mul_f64 v[16:17], v[69:70], v[16:17]
	v_fma_f64 v[172:173], v[4:5], v[10:11], v[176:177]
	v_fma_f64 v[174:175], v[2:3], v[10:11], -v[12:13]
	ds_load_b128 v[2:5], v1 offset:1376
	scratch_load_b128 v[10:13], off, off offset:528
	v_add_f64 v[176:177], v[61:62], v[63:64]
	v_add_f64 v[65:66], v[91:92], v[65:66]
	ds_load_b128 v[61:64], v1 offset:1392
	s_waitcnt vmcnt(8) lgkmcnt(1)
	v_mul_f64 v[91:92], v[2:3], v[20:21]
	v_mul_f64 v[20:21], v[4:5], v[20:21]
	v_fma_f64 v[69:70], v[69:70], v[14:15], v[170:171]
	v_fma_f64 v[67:68], v[67:68], v[14:15], -v[16:17]
	scratch_load_b128 v[14:17], off, off offset:544
	v_add_f64 v[170:171], v[176:177], v[174:175]
	v_add_f64 v[65:66], v[65:66], v[172:173]
	s_waitcnt vmcnt(8) lgkmcnt(0)
	v_mul_f64 v[172:173], v[61:62], v[24:25]
	v_mul_f64 v[24:25], v[63:64], v[24:25]
	v_fma_f64 v[91:92], v[4:5], v[18:19], v[91:92]
	v_fma_f64 v[174:175], v[2:3], v[18:19], -v[20:21]
	ds_load_b128 v[2:5], v1 offset:1408
	scratch_load_b128 v[18:21], off, off offset:560
	v_add_f64 v[170:171], v[170:171], v[67:68]
	v_add_f64 v[69:70], v[65:66], v[69:70]
	ds_load_b128 v[65:68], v1 offset:1424
	s_waitcnt vmcnt(8) lgkmcnt(1)
	v_mul_f64 v[176:177], v[2:3], v[28:29]
	v_mul_f64 v[28:29], v[4:5], v[28:29]
	v_fma_f64 v[63:64], v[63:64], v[22:23], v[172:173]
	v_fma_f64 v[61:62], v[61:62], v[22:23], -v[24:25]
	scratch_load_b128 v[22:25], off, off offset:576
	;; [unrolled: 18-line block ×4, first 2 shown]
	s_waitcnt vmcnt(8) lgkmcnt(0)
	v_mul_f64 v[170:171], v[65:66], v[8:9]
	v_mul_f64 v[8:9], v[67:68], v[8:9]
	v_add_f64 v[91:92], v[91:92], v[174:175]
	v_add_f64 v[69:70], v[69:70], v[172:173]
	v_fma_f64 v[172:173], v[4:5], v[42:43], v[176:177]
	v_fma_f64 v[174:175], v[2:3], v[42:43], -v[44:45]
	ds_load_b128 v[2:5], v1 offset:1504
	scratch_load_b128 v[42:45], off, off offset:656
	v_fma_f64 v[67:68], v[67:68], v[6:7], v[170:171]
	v_fma_f64 v[65:66], v[65:66], v[6:7], -v[8:9]
	scratch_load_b128 v[6:9], off, off offset:672
	v_add_f64 v[91:92], v[91:92], v[61:62]
	v_add_f64 v[69:70], v[69:70], v[63:64]
	ds_load_b128 v[61:64], v1 offset:1520
	s_waitcnt vmcnt(9) lgkmcnt(1)
	v_mul_f64 v[176:177], v[2:3], v[12:13]
	v_mul_f64 v[12:13], v[4:5], v[12:13]
	s_waitcnt vmcnt(8) lgkmcnt(0)
	v_mul_f64 v[170:171], v[61:62], v[16:17]
	v_mul_f64 v[16:17], v[63:64], v[16:17]
	v_add_f64 v[91:92], v[91:92], v[174:175]
	v_add_f64 v[69:70], v[69:70], v[172:173]
	v_fma_f64 v[172:173], v[4:5], v[10:11], v[176:177]
	v_fma_f64 v[174:175], v[2:3], v[10:11], -v[12:13]
	ds_load_b128 v[2:5], v1 offset:1536
	scratch_load_b128 v[10:13], off, off offset:688
	v_fma_f64 v[63:64], v[63:64], v[14:15], v[170:171]
	v_fma_f64 v[61:62], v[61:62], v[14:15], -v[16:17]
	scratch_load_b128 v[14:17], off, off offset:704
	v_add_f64 v[91:92], v[91:92], v[65:66]
	v_add_f64 v[69:70], v[69:70], v[67:68]
	ds_load_b128 v[65:68], v1 offset:1552
	s_waitcnt vmcnt(9) lgkmcnt(1)
	v_mul_f64 v[176:177], v[2:3], v[20:21]
	v_mul_f64 v[20:21], v[4:5], v[20:21]
	;; [unrolled: 18-line block ×10, first 2 shown]
	s_waitcnt vmcnt(8) lgkmcnt(0)
	v_mul_f64 v[170:171], v[65:66], v[8:9]
	v_mul_f64 v[8:9], v[67:68], v[8:9]
	v_add_f64 v[91:92], v[91:92], v[174:175]
	v_add_f64 v[69:70], v[69:70], v[172:173]
	v_fma_f64 v[172:173], v[4:5], v[42:43], v[176:177]
	v_fma_f64 v[174:175], v[2:3], v[42:43], -v[44:45]
	ds_load_b128 v[2:5], v1 offset:1824
	ds_load_b128 v[42:45], v1 offset:1840
	v_fma_f64 v[67:68], v[67:68], v[6:7], v[170:171]
	v_fma_f64 v[6:7], v[65:66], v[6:7], -v[8:9]
	v_add_f64 v[61:62], v[91:92], v[61:62]
	v_add_f64 v[63:64], v[69:70], v[63:64]
	s_waitcnt vmcnt(7) lgkmcnt(1)
	v_mul_f64 v[69:70], v[2:3], v[12:13]
	v_mul_f64 v[12:13], v[4:5], v[12:13]
	s_delay_alu instid0(VALU_DEP_4) | instskip(NEXT) | instid1(VALU_DEP_4)
	v_add_f64 v[8:9], v[61:62], v[174:175]
	v_add_f64 v[61:62], v[63:64], v[172:173]
	s_waitcnt vmcnt(6) lgkmcnt(0)
	v_mul_f64 v[63:64], v[42:43], v[16:17]
	v_mul_f64 v[16:17], v[44:45], v[16:17]
	v_fma_f64 v[65:66], v[4:5], v[10:11], v[69:70]
	v_fma_f64 v[10:11], v[2:3], v[10:11], -v[12:13]
	v_add_f64 v[12:13], v[8:9], v[6:7]
	v_add_f64 v[61:62], v[61:62], v[67:68]
	ds_load_b128 v[2:5], v1 offset:1856
	ds_load_b128 v[6:9], v1 offset:1872
	v_fma_f64 v[44:45], v[44:45], v[14:15], v[63:64]
	v_fma_f64 v[14:15], v[42:43], v[14:15], -v[16:17]
	s_waitcnt vmcnt(5) lgkmcnt(1)
	v_mul_f64 v[67:68], v[2:3], v[20:21]
	v_mul_f64 v[20:21], v[4:5], v[20:21]
	s_waitcnt vmcnt(4) lgkmcnt(0)
	v_mul_f64 v[16:17], v[6:7], v[24:25]
	v_mul_f64 v[24:25], v[8:9], v[24:25]
	v_add_f64 v[10:11], v[12:13], v[10:11]
	v_add_f64 v[12:13], v[61:62], v[65:66]
	v_fma_f64 v[42:43], v[4:5], v[18:19], v[67:68]
	v_fma_f64 v[18:19], v[2:3], v[18:19], -v[20:21]
	v_fma_f64 v[8:9], v[8:9], v[22:23], v[16:17]
	v_fma_f64 v[6:7], v[6:7], v[22:23], -v[24:25]
	v_add_f64 v[14:15], v[10:11], v[14:15]
	v_add_f64 v[20:21], v[12:13], v[44:45]
	ds_load_b128 v[2:5], v1 offset:1888
	ds_load_b128 v[10:13], v1 offset:1904
	s_waitcnt vmcnt(3) lgkmcnt(1)
	v_mul_f64 v[44:45], v[2:3], v[28:29]
	v_mul_f64 v[28:29], v[4:5], v[28:29]
	v_add_f64 v[14:15], v[14:15], v[18:19]
	v_add_f64 v[16:17], v[20:21], v[42:43]
	s_waitcnt vmcnt(2) lgkmcnt(0)
	v_mul_f64 v[18:19], v[10:11], v[32:33]
	v_mul_f64 v[20:21], v[12:13], v[32:33]
	v_fma_f64 v[22:23], v[4:5], v[26:27], v[44:45]
	v_fma_f64 v[24:25], v[2:3], v[26:27], -v[28:29]
	v_add_f64 v[14:15], v[14:15], v[6:7]
	v_add_f64 v[16:17], v[16:17], v[8:9]
	ds_load_b128 v[2:5], v1 offset:1920
	ds_load_b128 v[6:9], v1 offset:1936
	v_fma_f64 v[12:13], v[12:13], v[30:31], v[18:19]
	v_fma_f64 v[10:11], v[10:11], v[30:31], -v[20:21]
	s_waitcnt vmcnt(1) lgkmcnt(1)
	v_mul_f64 v[26:27], v[2:3], v[36:37]
	v_mul_f64 v[28:29], v[4:5], v[36:37]
	s_waitcnt vmcnt(0) lgkmcnt(0)
	v_mul_f64 v[18:19], v[6:7], v[40:41]
	v_mul_f64 v[20:21], v[8:9], v[40:41]
	v_add_f64 v[14:15], v[14:15], v[24:25]
	v_add_f64 v[16:17], v[16:17], v[22:23]
	v_fma_f64 v[4:5], v[4:5], v[34:35], v[26:27]
	v_fma_f64 v[1:2], v[2:3], v[34:35], -v[28:29]
	v_fma_f64 v[8:9], v[8:9], v[38:39], v[18:19]
	v_fma_f64 v[6:7], v[6:7], v[38:39], -v[20:21]
	v_add_f64 v[10:11], v[14:15], v[10:11]
	v_add_f64 v[12:13], v[16:17], v[12:13]
	s_delay_alu instid0(VALU_DEP_2) | instskip(NEXT) | instid1(VALU_DEP_2)
	v_add_f64 v[1:2], v[10:11], v[1:2]
	v_add_f64 v[3:4], v[12:13], v[4:5]
	s_delay_alu instid0(VALU_DEP_2) | instskip(NEXT) | instid1(VALU_DEP_2)
	;; [unrolled: 3-line block ×3, first 2 shown]
	v_add_f64 v[1:2], v[57:58], -v[1:2]
	v_add_f64 v[3:4], v[59:60], -v[3:4]
	scratch_store_b128 off, v[1:4], off offset:160
	v_cmpx_lt_u32_e32 9, v169
	s_cbranch_execz .LBB124_373
; %bb.372:
	scratch_load_b128 v[1:4], v220, off
	v_mov_b32_e32 v5, 0
	s_delay_alu instid0(VALU_DEP_1)
	v_mov_b32_e32 v6, v5
	v_mov_b32_e32 v7, v5
	v_mov_b32_e32 v8, v5
	scratch_store_b128 off, v[5:8], off offset:144
	s_waitcnt vmcnt(0)
	ds_store_b128 v229, v[1:4]
.LBB124_373:
	s_or_b32 exec_lo, exec_lo, s2
	s_waitcnt lgkmcnt(0)
	s_waitcnt_vscnt null, 0x0
	s_barrier
	buffer_gl0_inv
	s_clause 0x7
	scratch_load_b128 v[2:5], off, off offset:160
	scratch_load_b128 v[6:9], off, off offset:176
	;; [unrolled: 1-line block ×8, first 2 shown]
	v_mov_b32_e32 v1, 0
	s_mov_b32 s2, exec_lo
	ds_load_b128 v[38:41], v1 offset:1136
	s_clause 0x1
	scratch_load_b128 v[34:37], off, off offset:288
	scratch_load_b128 v[42:45], off, off offset:144
	ds_load_b128 v[57:60], v1 offset:1152
	scratch_load_b128 v[61:64], off, off offset:304
	s_waitcnt vmcnt(10) lgkmcnt(1)
	v_mul_f64 v[65:66], v[40:41], v[4:5]
	v_mul_f64 v[4:5], v[38:39], v[4:5]
	s_delay_alu instid0(VALU_DEP_2) | instskip(NEXT) | instid1(VALU_DEP_2)
	v_fma_f64 v[91:92], v[38:39], v[2:3], -v[65:66]
	v_fma_f64 v[170:171], v[40:41], v[2:3], v[4:5]
	scratch_load_b128 v[38:41], off, off offset:320
	ds_load_b128 v[2:5], v1 offset:1168
	s_waitcnt vmcnt(10) lgkmcnt(1)
	v_mul_f64 v[69:70], v[57:58], v[8:9]
	v_mul_f64 v[8:9], v[59:60], v[8:9]
	ds_load_b128 v[65:68], v1 offset:1184
	s_waitcnt vmcnt(9) lgkmcnt(1)
	v_mul_f64 v[172:173], v[2:3], v[12:13]
	v_mul_f64 v[12:13], v[4:5], v[12:13]
	v_fma_f64 v[59:60], v[59:60], v[6:7], v[69:70]
	v_fma_f64 v[57:58], v[57:58], v[6:7], -v[8:9]
	v_add_f64 v[69:70], v[91:92], 0
	v_add_f64 v[91:92], v[170:171], 0
	scratch_load_b128 v[6:9], off, off offset:336
	v_fma_f64 v[172:173], v[4:5], v[10:11], v[172:173]
	v_fma_f64 v[174:175], v[2:3], v[10:11], -v[12:13]
	scratch_load_b128 v[10:13], off, off offset:352
	ds_load_b128 v[2:5], v1 offset:1200
	s_waitcnt vmcnt(10) lgkmcnt(1)
	v_mul_f64 v[170:171], v[65:66], v[16:17]
	v_mul_f64 v[16:17], v[67:68], v[16:17]
	v_add_f64 v[69:70], v[69:70], v[57:58]
	v_add_f64 v[91:92], v[91:92], v[59:60]
	s_waitcnt vmcnt(9) lgkmcnt(0)
	v_mul_f64 v[176:177], v[2:3], v[20:21]
	v_mul_f64 v[20:21], v[4:5], v[20:21]
	ds_load_b128 v[57:60], v1 offset:1216
	v_fma_f64 v[67:68], v[67:68], v[14:15], v[170:171]
	v_fma_f64 v[65:66], v[65:66], v[14:15], -v[16:17]
	scratch_load_b128 v[14:17], off, off offset:368
	v_add_f64 v[69:70], v[69:70], v[174:175]
	v_add_f64 v[91:92], v[91:92], v[172:173]
	v_fma_f64 v[172:173], v[4:5], v[18:19], v[176:177]
	v_fma_f64 v[174:175], v[2:3], v[18:19], -v[20:21]
	scratch_load_b128 v[18:21], off, off offset:384
	ds_load_b128 v[2:5], v1 offset:1232
	s_waitcnt vmcnt(10) lgkmcnt(1)
	v_mul_f64 v[170:171], v[57:58], v[24:25]
	v_mul_f64 v[24:25], v[59:60], v[24:25]
	s_waitcnt vmcnt(9) lgkmcnt(0)
	v_mul_f64 v[176:177], v[2:3], v[28:29]
	v_mul_f64 v[28:29], v[4:5], v[28:29]
	v_add_f64 v[69:70], v[69:70], v[65:66]
	v_add_f64 v[91:92], v[91:92], v[67:68]
	ds_load_b128 v[65:68], v1 offset:1248
	v_fma_f64 v[59:60], v[59:60], v[22:23], v[170:171]
	v_fma_f64 v[57:58], v[57:58], v[22:23], -v[24:25]
	scratch_load_b128 v[22:25], off, off offset:400
	v_add_f64 v[69:70], v[69:70], v[174:175]
	v_add_f64 v[91:92], v[91:92], v[172:173]
	v_fma_f64 v[172:173], v[4:5], v[26:27], v[176:177]
	v_fma_f64 v[174:175], v[2:3], v[26:27], -v[28:29]
	scratch_load_b128 v[26:29], off, off offset:416
	ds_load_b128 v[2:5], v1 offset:1264
	s_waitcnt vmcnt(10) lgkmcnt(1)
	v_mul_f64 v[170:171], v[65:66], v[32:33]
	v_mul_f64 v[32:33], v[67:68], v[32:33]
	s_waitcnt vmcnt(9) lgkmcnt(0)
	v_mul_f64 v[176:177], v[2:3], v[36:37]
	v_mul_f64 v[36:37], v[4:5], v[36:37]
	v_add_f64 v[69:70], v[69:70], v[57:58]
	v_add_f64 v[91:92], v[91:92], v[59:60]
	ds_load_b128 v[57:60], v1 offset:1280
	v_fma_f64 v[67:68], v[67:68], v[30:31], v[170:171]
	v_fma_f64 v[65:66], v[65:66], v[30:31], -v[32:33]
	scratch_load_b128 v[30:33], off, off offset:432
	v_add_f64 v[69:70], v[69:70], v[174:175]
	v_add_f64 v[91:92], v[91:92], v[172:173]
	v_fma_f64 v[174:175], v[4:5], v[34:35], v[176:177]
	v_fma_f64 v[176:177], v[2:3], v[34:35], -v[36:37]
	scratch_load_b128 v[34:37], off, off offset:448
	ds_load_b128 v[2:5], v1 offset:1296
	s_waitcnt vmcnt(9) lgkmcnt(1)
	v_mul_f64 v[170:171], v[57:58], v[63:64]
	v_mul_f64 v[172:173], v[59:60], v[63:64]
	v_add_f64 v[69:70], v[69:70], v[65:66]
	v_add_f64 v[67:68], v[91:92], v[67:68]
	ds_load_b128 v[63:66], v1 offset:1312
	v_fma_f64 v[170:171], v[59:60], v[61:62], v[170:171]
	v_fma_f64 v[61:62], v[57:58], v[61:62], -v[172:173]
	scratch_load_b128 v[57:60], off, off offset:464
	s_waitcnt vmcnt(9) lgkmcnt(1)
	v_mul_f64 v[91:92], v[2:3], v[40:41]
	v_mul_f64 v[40:41], v[4:5], v[40:41]
	v_add_f64 v[69:70], v[69:70], v[176:177]
	v_add_f64 v[67:68], v[67:68], v[174:175]
	s_delay_alu instid0(VALU_DEP_4) | instskip(NEXT) | instid1(VALU_DEP_4)
	v_fma_f64 v[91:92], v[4:5], v[38:39], v[91:92]
	v_fma_f64 v[174:175], v[2:3], v[38:39], -v[40:41]
	scratch_load_b128 v[38:41], off, off offset:480
	ds_load_b128 v[2:5], v1 offset:1328
	s_waitcnt vmcnt(9) lgkmcnt(1)
	v_mul_f64 v[172:173], v[63:64], v[8:9]
	v_mul_f64 v[8:9], v[65:66], v[8:9]
	s_waitcnt vmcnt(8) lgkmcnt(0)
	v_mul_f64 v[176:177], v[2:3], v[12:13]
	v_mul_f64 v[12:13], v[4:5], v[12:13]
	v_add_f64 v[61:62], v[69:70], v[61:62]
	v_add_f64 v[170:171], v[67:68], v[170:171]
	ds_load_b128 v[67:70], v1 offset:1344
	v_fma_f64 v[65:66], v[65:66], v[6:7], v[172:173]
	v_fma_f64 v[63:64], v[63:64], v[6:7], -v[8:9]
	scratch_load_b128 v[6:9], off, off offset:496
	v_fma_f64 v[172:173], v[4:5], v[10:11], v[176:177]
	v_add_f64 v[61:62], v[61:62], v[174:175]
	v_add_f64 v[91:92], v[170:171], v[91:92]
	v_fma_f64 v[174:175], v[2:3], v[10:11], -v[12:13]
	scratch_load_b128 v[10:13], off, off offset:512
	ds_load_b128 v[2:5], v1 offset:1360
	s_waitcnt vmcnt(9) lgkmcnt(1)
	v_mul_f64 v[170:171], v[67:68], v[16:17]
	v_mul_f64 v[16:17], v[69:70], v[16:17]
	v_add_f64 v[176:177], v[61:62], v[63:64]
	v_add_f64 v[65:66], v[91:92], v[65:66]
	s_waitcnt vmcnt(8) lgkmcnt(0)
	v_mul_f64 v[91:92], v[2:3], v[20:21]
	v_mul_f64 v[20:21], v[4:5], v[20:21]
	ds_load_b128 v[61:64], v1 offset:1376
	v_fma_f64 v[69:70], v[69:70], v[14:15], v[170:171]
	v_fma_f64 v[67:68], v[67:68], v[14:15], -v[16:17]
	scratch_load_b128 v[14:17], off, off offset:528
	v_add_f64 v[170:171], v[176:177], v[174:175]
	v_add_f64 v[65:66], v[65:66], v[172:173]
	v_fma_f64 v[91:92], v[4:5], v[18:19], v[91:92]
	v_fma_f64 v[174:175], v[2:3], v[18:19], -v[20:21]
	scratch_load_b128 v[18:21], off, off offset:544
	ds_load_b128 v[2:5], v1 offset:1392
	s_waitcnt vmcnt(9) lgkmcnt(1)
	v_mul_f64 v[172:173], v[61:62], v[24:25]
	v_mul_f64 v[24:25], v[63:64], v[24:25]
	s_waitcnt vmcnt(8) lgkmcnt(0)
	v_mul_f64 v[176:177], v[2:3], v[28:29]
	v_mul_f64 v[28:29], v[4:5], v[28:29]
	v_add_f64 v[170:171], v[170:171], v[67:68]
	v_add_f64 v[69:70], v[65:66], v[69:70]
	ds_load_b128 v[65:68], v1 offset:1408
	v_fma_f64 v[63:64], v[63:64], v[22:23], v[172:173]
	v_fma_f64 v[61:62], v[61:62], v[22:23], -v[24:25]
	scratch_load_b128 v[22:25], off, off offset:560
	v_fma_f64 v[172:173], v[4:5], v[26:27], v[176:177]
	v_add_f64 v[170:171], v[170:171], v[174:175]
	v_add_f64 v[69:70], v[69:70], v[91:92]
	v_fma_f64 v[174:175], v[2:3], v[26:27], -v[28:29]
	scratch_load_b128 v[26:29], off, off offset:576
	ds_load_b128 v[2:5], v1 offset:1424
	s_waitcnt vmcnt(9) lgkmcnt(1)
	v_mul_f64 v[91:92], v[65:66], v[32:33]
	v_mul_f64 v[32:33], v[67:68], v[32:33]
	s_waitcnt vmcnt(8) lgkmcnt(0)
	v_mul_f64 v[176:177], v[2:3], v[36:37]
	v_mul_f64 v[36:37], v[4:5], v[36:37]
	v_add_f64 v[170:171], v[170:171], v[61:62]
	v_add_f64 v[69:70], v[69:70], v[63:64]
	ds_load_b128 v[61:64], v1 offset:1440
	v_fma_f64 v[67:68], v[67:68], v[30:31], v[91:92]
	v_fma_f64 v[65:66], v[65:66], v[30:31], -v[32:33]
	scratch_load_b128 v[30:33], off, off offset:592
	v_add_f64 v[91:92], v[170:171], v[174:175]
	v_add_f64 v[69:70], v[69:70], v[172:173]
	v_fma_f64 v[172:173], v[4:5], v[34:35], v[176:177]
	v_fma_f64 v[174:175], v[2:3], v[34:35], -v[36:37]
	scratch_load_b128 v[34:37], off, off offset:608
	ds_load_b128 v[2:5], v1 offset:1456
	s_waitcnt vmcnt(9) lgkmcnt(1)
	v_mul_f64 v[170:171], v[61:62], v[59:60]
	v_mul_f64 v[59:60], v[63:64], v[59:60]
	s_waitcnt vmcnt(8) lgkmcnt(0)
	v_mul_f64 v[176:177], v[2:3], v[40:41]
	v_mul_f64 v[40:41], v[4:5], v[40:41]
	v_add_f64 v[91:92], v[91:92], v[65:66]
	v_add_f64 v[69:70], v[69:70], v[67:68]
	ds_load_b128 v[65:68], v1 offset:1472
	v_fma_f64 v[63:64], v[63:64], v[57:58], v[170:171]
	v_fma_f64 v[61:62], v[61:62], v[57:58], -v[59:60]
	scratch_load_b128 v[57:60], off, off offset:624
	v_add_f64 v[91:92], v[91:92], v[174:175]
	v_add_f64 v[69:70], v[69:70], v[172:173]
	v_fma_f64 v[172:173], v[4:5], v[38:39], v[176:177]
	;; [unrolled: 18-line block ×6, first 2 shown]
	v_fma_f64 v[176:177], v[2:3], v[34:35], -v[36:37]
	scratch_load_b128 v[34:37], off, off offset:768
	ds_load_b128 v[2:5], v1 offset:1616
	s_waitcnt vmcnt(9) lgkmcnt(1)
	v_mul_f64 v[170:171], v[65:66], v[59:60]
	v_mul_f64 v[172:173], v[67:68], v[59:60]
	v_add_f64 v[91:92], v[91:92], v[61:62]
	v_add_f64 v[63:64], v[69:70], v[63:64]
	s_waitcnt vmcnt(8) lgkmcnt(0)
	v_mul_f64 v[69:70], v[2:3], v[40:41]
	v_mul_f64 v[40:41], v[4:5], v[40:41]
	ds_load_b128 v[59:62], v1 offset:1632
	v_fma_f64 v[67:68], v[67:68], v[57:58], v[170:171]
	v_fma_f64 v[57:58], v[65:66], v[57:58], -v[172:173]
	v_add_f64 v[91:92], v[91:92], v[176:177]
	v_add_f64 v[170:171], v[63:64], v[174:175]
	scratch_load_b128 v[63:66], off, off offset:784
	v_fma_f64 v[174:175], v[4:5], v[38:39], v[69:70]
	v_fma_f64 v[176:177], v[2:3], v[38:39], -v[40:41]
	scratch_load_b128 v[38:41], off, off offset:800
	ds_load_b128 v[2:5], v1 offset:1648
	s_waitcnt vmcnt(9) lgkmcnt(1)
	v_mul_f64 v[172:173], v[59:60], v[8:9]
	v_mul_f64 v[8:9], v[61:62], v[8:9]
	v_add_f64 v[57:58], v[91:92], v[57:58]
	v_add_f64 v[91:92], v[170:171], v[67:68]
	s_waitcnt vmcnt(8) lgkmcnt(0)
	v_mul_f64 v[170:171], v[2:3], v[12:13]
	v_mul_f64 v[12:13], v[4:5], v[12:13]
	ds_load_b128 v[67:70], v1 offset:1664
	v_fma_f64 v[61:62], v[61:62], v[6:7], v[172:173]
	v_fma_f64 v[59:60], v[59:60], v[6:7], -v[8:9]
	scratch_load_b128 v[6:9], off, off offset:816
	v_add_f64 v[57:58], v[57:58], v[176:177]
	v_add_f64 v[91:92], v[91:92], v[174:175]
	v_fma_f64 v[170:171], v[4:5], v[10:11], v[170:171]
	v_fma_f64 v[174:175], v[2:3], v[10:11], -v[12:13]
	scratch_load_b128 v[10:13], off, off offset:832
	ds_load_b128 v[2:5], v1 offset:1680
	s_waitcnt vmcnt(9) lgkmcnt(1)
	v_mul_f64 v[172:173], v[67:68], v[16:17]
	v_mul_f64 v[16:17], v[69:70], v[16:17]
	v_add_f64 v[176:177], v[57:58], v[59:60]
	v_add_f64 v[61:62], v[91:92], v[61:62]
	s_waitcnt vmcnt(8) lgkmcnt(0)
	v_mul_f64 v[91:92], v[2:3], v[20:21]
	v_mul_f64 v[20:21], v[4:5], v[20:21]
	ds_load_b128 v[57:60], v1 offset:1696
	v_fma_f64 v[69:70], v[69:70], v[14:15], v[172:173]
	v_fma_f64 v[67:68], v[67:68], v[14:15], -v[16:17]
	scratch_load_b128 v[14:17], off, off offset:848
	v_add_f64 v[172:173], v[176:177], v[174:175]
	v_add_f64 v[61:62], v[61:62], v[170:171]
	v_fma_f64 v[91:92], v[4:5], v[18:19], v[91:92]
	v_fma_f64 v[174:175], v[2:3], v[18:19], -v[20:21]
	scratch_load_b128 v[18:21], off, off offset:864
	ds_load_b128 v[2:5], v1 offset:1712
	s_waitcnt vmcnt(9) lgkmcnt(1)
	v_mul_f64 v[170:171], v[57:58], v[24:25]
	v_mul_f64 v[24:25], v[59:60], v[24:25]
	s_waitcnt vmcnt(8) lgkmcnt(0)
	v_mul_f64 v[176:177], v[2:3], v[28:29]
	v_mul_f64 v[28:29], v[4:5], v[28:29]
	v_add_f64 v[172:173], v[172:173], v[67:68]
	v_add_f64 v[61:62], v[61:62], v[69:70]
	ds_load_b128 v[67:70], v1 offset:1728
	v_fma_f64 v[59:60], v[59:60], v[22:23], v[170:171]
	v_fma_f64 v[57:58], v[57:58], v[22:23], -v[24:25]
	scratch_load_b128 v[22:25], off, off offset:880
	v_add_f64 v[170:171], v[172:173], v[174:175]
	v_add_f64 v[61:62], v[61:62], v[91:92]
	v_fma_f64 v[172:173], v[4:5], v[26:27], v[176:177]
	v_fma_f64 v[174:175], v[2:3], v[26:27], -v[28:29]
	scratch_load_b128 v[26:29], off, off offset:896
	ds_load_b128 v[2:5], v1 offset:1744
	s_waitcnt vmcnt(9) lgkmcnt(1)
	v_mul_f64 v[91:92], v[67:68], v[32:33]
	v_mul_f64 v[32:33], v[69:70], v[32:33]
	s_waitcnt vmcnt(8) lgkmcnt(0)
	v_mul_f64 v[176:177], v[2:3], v[36:37]
	v_mul_f64 v[36:37], v[4:5], v[36:37]
	v_add_f64 v[170:171], v[170:171], v[57:58]
	v_add_f64 v[61:62], v[61:62], v[59:60]
	ds_load_b128 v[57:60], v1 offset:1760
	v_fma_f64 v[69:70], v[69:70], v[30:31], v[91:92]
	v_fma_f64 v[67:68], v[67:68], v[30:31], -v[32:33]
	scratch_load_b128 v[30:33], off, off offset:912
	v_add_f64 v[91:92], v[170:171], v[174:175]
	v_add_f64 v[61:62], v[61:62], v[172:173]
	v_fma_f64 v[174:175], v[4:5], v[34:35], v[176:177]
	v_fma_f64 v[176:177], v[2:3], v[34:35], -v[36:37]
	scratch_load_b128 v[34:37], off, off offset:928
	ds_load_b128 v[2:5], v1 offset:1776
	s_waitcnt vmcnt(9) lgkmcnt(1)
	v_mul_f64 v[170:171], v[57:58], v[65:66]
	v_mul_f64 v[172:173], v[59:60], v[65:66]
	v_add_f64 v[91:92], v[91:92], v[67:68]
	v_add_f64 v[61:62], v[61:62], v[69:70]
	s_waitcnt vmcnt(8) lgkmcnt(0)
	v_mul_f64 v[69:70], v[2:3], v[40:41]
	v_mul_f64 v[40:41], v[4:5], v[40:41]
	ds_load_b128 v[65:68], v1 offset:1792
	v_fma_f64 v[170:171], v[59:60], v[63:64], v[170:171]
	v_fma_f64 v[63:64], v[57:58], v[63:64], -v[172:173]
	scratch_load_b128 v[57:60], off, off offset:944
	v_add_f64 v[91:92], v[91:92], v[176:177]
	v_add_f64 v[61:62], v[61:62], v[174:175]
	v_fma_f64 v[69:70], v[4:5], v[38:39], v[69:70]
	v_fma_f64 v[174:175], v[2:3], v[38:39], -v[40:41]
	scratch_load_b128 v[38:41], off, off offset:960
	ds_load_b128 v[2:5], v1 offset:1808
	s_waitcnt vmcnt(9) lgkmcnt(1)
	v_mul_f64 v[172:173], v[65:66], v[8:9]
	v_mul_f64 v[8:9], v[67:68], v[8:9]
	s_waitcnt vmcnt(8) lgkmcnt(0)
	v_mul_f64 v[176:177], v[2:3], v[12:13]
	v_mul_f64 v[12:13], v[4:5], v[12:13]
	v_add_f64 v[91:92], v[91:92], v[63:64]
	v_add_f64 v[170:171], v[61:62], v[170:171]
	ds_load_b128 v[61:64], v1 offset:1824
	v_fma_f64 v[67:68], v[67:68], v[6:7], v[172:173]
	v_fma_f64 v[6:7], v[65:66], v[6:7], -v[8:9]
	v_add_f64 v[8:9], v[91:92], v[174:175]
	v_add_f64 v[65:66], v[170:171], v[69:70]
	s_waitcnt vmcnt(7) lgkmcnt(0)
	v_mul_f64 v[69:70], v[61:62], v[16:17]
	v_mul_f64 v[16:17], v[63:64], v[16:17]
	v_fma_f64 v[91:92], v[4:5], v[10:11], v[176:177]
	v_fma_f64 v[10:11], v[2:3], v[10:11], -v[12:13]
	v_add_f64 v[12:13], v[8:9], v[6:7]
	v_add_f64 v[65:66], v[65:66], v[67:68]
	ds_load_b128 v[2:5], v1 offset:1840
	ds_load_b128 v[6:9], v1 offset:1856
	v_fma_f64 v[63:64], v[63:64], v[14:15], v[69:70]
	v_fma_f64 v[14:15], v[61:62], v[14:15], -v[16:17]
	s_waitcnt vmcnt(6) lgkmcnt(1)
	v_mul_f64 v[67:68], v[2:3], v[20:21]
	v_mul_f64 v[20:21], v[4:5], v[20:21]
	s_waitcnt vmcnt(5) lgkmcnt(0)
	v_mul_f64 v[16:17], v[6:7], v[24:25]
	v_mul_f64 v[24:25], v[8:9], v[24:25]
	v_add_f64 v[10:11], v[12:13], v[10:11]
	v_add_f64 v[12:13], v[65:66], v[91:92]
	v_fma_f64 v[61:62], v[4:5], v[18:19], v[67:68]
	v_fma_f64 v[18:19], v[2:3], v[18:19], -v[20:21]
	v_fma_f64 v[8:9], v[8:9], v[22:23], v[16:17]
	v_fma_f64 v[6:7], v[6:7], v[22:23], -v[24:25]
	v_add_f64 v[14:15], v[10:11], v[14:15]
	v_add_f64 v[20:21], v[12:13], v[63:64]
	ds_load_b128 v[2:5], v1 offset:1872
	ds_load_b128 v[10:13], v1 offset:1888
	s_waitcnt vmcnt(4) lgkmcnt(1)
	v_mul_f64 v[63:64], v[2:3], v[28:29]
	v_mul_f64 v[28:29], v[4:5], v[28:29]
	v_add_f64 v[14:15], v[14:15], v[18:19]
	v_add_f64 v[16:17], v[20:21], v[61:62]
	s_waitcnt vmcnt(3) lgkmcnt(0)
	v_mul_f64 v[18:19], v[10:11], v[32:33]
	v_mul_f64 v[20:21], v[12:13], v[32:33]
	v_fma_f64 v[22:23], v[4:5], v[26:27], v[63:64]
	v_fma_f64 v[24:25], v[2:3], v[26:27], -v[28:29]
	v_add_f64 v[14:15], v[14:15], v[6:7]
	v_add_f64 v[16:17], v[16:17], v[8:9]
	ds_load_b128 v[2:5], v1 offset:1904
	ds_load_b128 v[6:9], v1 offset:1920
	v_fma_f64 v[12:13], v[12:13], v[30:31], v[18:19]
	v_fma_f64 v[10:11], v[10:11], v[30:31], -v[20:21]
	s_waitcnt vmcnt(2) lgkmcnt(1)
	v_mul_f64 v[26:27], v[2:3], v[36:37]
	v_mul_f64 v[28:29], v[4:5], v[36:37]
	s_waitcnt vmcnt(1) lgkmcnt(0)
	v_mul_f64 v[18:19], v[6:7], v[59:60]
	v_mul_f64 v[20:21], v[8:9], v[59:60]
	v_add_f64 v[14:15], v[14:15], v[24:25]
	v_add_f64 v[16:17], v[16:17], v[22:23]
	v_fma_f64 v[22:23], v[4:5], v[34:35], v[26:27]
	v_fma_f64 v[24:25], v[2:3], v[34:35], -v[28:29]
	ds_load_b128 v[2:5], v1 offset:1936
	v_fma_f64 v[8:9], v[8:9], v[57:58], v[18:19]
	v_fma_f64 v[6:7], v[6:7], v[57:58], -v[20:21]
	v_add_f64 v[10:11], v[14:15], v[10:11]
	v_add_f64 v[12:13], v[16:17], v[12:13]
	s_waitcnt vmcnt(0) lgkmcnt(0)
	v_mul_f64 v[14:15], v[2:3], v[40:41]
	v_mul_f64 v[16:17], v[4:5], v[40:41]
	s_delay_alu instid0(VALU_DEP_4) | instskip(NEXT) | instid1(VALU_DEP_4)
	v_add_f64 v[10:11], v[10:11], v[24:25]
	v_add_f64 v[12:13], v[12:13], v[22:23]
	s_delay_alu instid0(VALU_DEP_4) | instskip(NEXT) | instid1(VALU_DEP_4)
	v_fma_f64 v[4:5], v[4:5], v[38:39], v[14:15]
	v_fma_f64 v[2:3], v[2:3], v[38:39], -v[16:17]
	s_delay_alu instid0(VALU_DEP_4) | instskip(NEXT) | instid1(VALU_DEP_4)
	v_add_f64 v[6:7], v[10:11], v[6:7]
	v_add_f64 v[8:9], v[12:13], v[8:9]
	s_delay_alu instid0(VALU_DEP_2) | instskip(NEXT) | instid1(VALU_DEP_2)
	v_add_f64 v[2:3], v[6:7], v[2:3]
	v_add_f64 v[4:5], v[8:9], v[4:5]
	s_delay_alu instid0(VALU_DEP_2) | instskip(NEXT) | instid1(VALU_DEP_2)
	v_add_f64 v[2:3], v[42:43], -v[2:3]
	v_add_f64 v[4:5], v[44:45], -v[4:5]
	scratch_store_b128 off, v[2:5], off offset:144
	v_cmpx_lt_u32_e32 8, v169
	s_cbranch_execz .LBB124_375
; %bb.374:
	scratch_load_b128 v[5:8], v221, off
	v_mov_b32_e32 v2, v1
	v_mov_b32_e32 v3, v1
	;; [unrolled: 1-line block ×3, first 2 shown]
	scratch_store_b128 off, v[1:4], off offset:128
	s_waitcnt vmcnt(0)
	ds_store_b128 v229, v[5:8]
.LBB124_375:
	s_or_b32 exec_lo, exec_lo, s2
	s_waitcnt lgkmcnt(0)
	s_waitcnt_vscnt null, 0x0
	s_barrier
	buffer_gl0_inv
	s_clause 0x8
	scratch_load_b128 v[2:5], off, off offset:144
	scratch_load_b128 v[6:9], off, off offset:160
	;; [unrolled: 1-line block ×9, first 2 shown]
	ds_load_b128 v[42:45], v1 offset:1120
	ds_load_b128 v[38:41], v1 offset:1136
	s_clause 0x1
	scratch_load_b128 v[57:60], off, off offset:128
	scratch_load_b128 v[61:64], off, off offset:288
	s_mov_b32 s2, exec_lo
	s_waitcnt vmcnt(10) lgkmcnt(1)
	v_mul_f64 v[65:66], v[44:45], v[4:5]
	v_mul_f64 v[4:5], v[42:43], v[4:5]
	s_waitcnt vmcnt(9) lgkmcnt(0)
	v_mul_f64 v[69:70], v[38:39], v[8:9]
	v_mul_f64 v[8:9], v[40:41], v[8:9]
	s_delay_alu instid0(VALU_DEP_4) | instskip(NEXT) | instid1(VALU_DEP_4)
	v_fma_f64 v[91:92], v[42:43], v[2:3], -v[65:66]
	v_fma_f64 v[170:171], v[44:45], v[2:3], v[4:5]
	ds_load_b128 v[2:5], v1 offset:1152
	ds_load_b128 v[65:68], v1 offset:1168
	scratch_load_b128 v[42:45], off, off offset:304
	v_fma_f64 v[40:41], v[40:41], v[6:7], v[69:70]
	v_fma_f64 v[38:39], v[38:39], v[6:7], -v[8:9]
	scratch_load_b128 v[6:9], off, off offset:320
	s_waitcnt vmcnt(10) lgkmcnt(1)
	v_mul_f64 v[172:173], v[2:3], v[12:13]
	v_mul_f64 v[12:13], v[4:5], v[12:13]
	v_add_f64 v[69:70], v[91:92], 0
	v_add_f64 v[91:92], v[170:171], 0
	s_waitcnt vmcnt(9) lgkmcnt(0)
	v_mul_f64 v[170:171], v[65:66], v[16:17]
	v_mul_f64 v[16:17], v[67:68], v[16:17]
	v_fma_f64 v[172:173], v[4:5], v[10:11], v[172:173]
	v_fma_f64 v[174:175], v[2:3], v[10:11], -v[12:13]
	ds_load_b128 v[2:5], v1 offset:1184
	scratch_load_b128 v[10:13], off, off offset:336
	v_add_f64 v[69:70], v[69:70], v[38:39]
	v_add_f64 v[91:92], v[91:92], v[40:41]
	ds_load_b128 v[38:41], v1 offset:1200
	v_fma_f64 v[67:68], v[67:68], v[14:15], v[170:171]
	v_fma_f64 v[65:66], v[65:66], v[14:15], -v[16:17]
	scratch_load_b128 v[14:17], off, off offset:352
	s_waitcnt vmcnt(10) lgkmcnt(1)
	v_mul_f64 v[176:177], v[2:3], v[20:21]
	v_mul_f64 v[20:21], v[4:5], v[20:21]
	s_waitcnt vmcnt(9) lgkmcnt(0)
	v_mul_f64 v[170:171], v[38:39], v[24:25]
	v_mul_f64 v[24:25], v[40:41], v[24:25]
	v_add_f64 v[69:70], v[69:70], v[174:175]
	v_add_f64 v[91:92], v[91:92], v[172:173]
	v_fma_f64 v[172:173], v[4:5], v[18:19], v[176:177]
	v_fma_f64 v[174:175], v[2:3], v[18:19], -v[20:21]
	ds_load_b128 v[2:5], v1 offset:1216
	scratch_load_b128 v[18:21], off, off offset:368
	v_fma_f64 v[40:41], v[40:41], v[22:23], v[170:171]
	v_fma_f64 v[38:39], v[38:39], v[22:23], -v[24:25]
	scratch_load_b128 v[22:25], off, off offset:384
	v_add_f64 v[69:70], v[69:70], v[65:66]
	v_add_f64 v[91:92], v[91:92], v[67:68]
	ds_load_b128 v[65:68], v1 offset:1232
	s_waitcnt vmcnt(10) lgkmcnt(1)
	v_mul_f64 v[176:177], v[2:3], v[28:29]
	v_mul_f64 v[28:29], v[4:5], v[28:29]
	s_waitcnt vmcnt(9) lgkmcnt(0)
	v_mul_f64 v[170:171], v[65:66], v[32:33]
	v_mul_f64 v[32:33], v[67:68], v[32:33]
	v_add_f64 v[69:70], v[69:70], v[174:175]
	v_add_f64 v[91:92], v[91:92], v[172:173]
	v_fma_f64 v[172:173], v[4:5], v[26:27], v[176:177]
	v_fma_f64 v[174:175], v[2:3], v[26:27], -v[28:29]
	ds_load_b128 v[2:5], v1 offset:1248
	scratch_load_b128 v[26:29], off, off offset:400
	v_fma_f64 v[67:68], v[67:68], v[30:31], v[170:171]
	v_fma_f64 v[65:66], v[65:66], v[30:31], -v[32:33]
	scratch_load_b128 v[30:33], off, off offset:416
	v_add_f64 v[69:70], v[69:70], v[38:39]
	v_add_f64 v[91:92], v[91:92], v[40:41]
	ds_load_b128 v[38:41], v1 offset:1264
	s_waitcnt vmcnt(10) lgkmcnt(1)
	v_mul_f64 v[176:177], v[2:3], v[36:37]
	v_mul_f64 v[36:37], v[4:5], v[36:37]
	s_waitcnt vmcnt(8) lgkmcnt(0)
	v_mul_f64 v[170:171], v[38:39], v[63:64]
	v_add_f64 v[69:70], v[69:70], v[174:175]
	v_add_f64 v[91:92], v[91:92], v[172:173]
	v_mul_f64 v[172:173], v[40:41], v[63:64]
	v_fma_f64 v[174:175], v[4:5], v[34:35], v[176:177]
	v_fma_f64 v[176:177], v[2:3], v[34:35], -v[36:37]
	ds_load_b128 v[2:5], v1 offset:1280
	scratch_load_b128 v[34:37], off, off offset:432
	v_fma_f64 v[170:171], v[40:41], v[61:62], v[170:171]
	v_add_f64 v[69:70], v[69:70], v[65:66]
	v_add_f64 v[67:68], v[91:92], v[67:68]
	ds_load_b128 v[63:66], v1 offset:1296
	v_fma_f64 v[61:62], v[38:39], v[61:62], -v[172:173]
	scratch_load_b128 v[38:41], off, off offset:448
	s_waitcnt vmcnt(9) lgkmcnt(1)
	v_mul_f64 v[91:92], v[2:3], v[44:45]
	v_mul_f64 v[44:45], v[4:5], v[44:45]
	s_waitcnt vmcnt(8) lgkmcnt(0)
	v_mul_f64 v[172:173], v[63:64], v[8:9]
	v_mul_f64 v[8:9], v[65:66], v[8:9]
	v_add_f64 v[69:70], v[69:70], v[176:177]
	v_add_f64 v[67:68], v[67:68], v[174:175]
	v_fma_f64 v[91:92], v[4:5], v[42:43], v[91:92]
	v_fma_f64 v[174:175], v[2:3], v[42:43], -v[44:45]
	ds_load_b128 v[2:5], v1 offset:1312
	scratch_load_b128 v[42:45], off, off offset:464
	v_fma_f64 v[65:66], v[65:66], v[6:7], v[172:173]
	v_fma_f64 v[63:64], v[63:64], v[6:7], -v[8:9]
	scratch_load_b128 v[6:9], off, off offset:480
	v_add_f64 v[61:62], v[69:70], v[61:62]
	v_add_f64 v[170:171], v[67:68], v[170:171]
	ds_load_b128 v[67:70], v1 offset:1328
	s_waitcnt vmcnt(9) lgkmcnt(1)
	v_mul_f64 v[176:177], v[2:3], v[12:13]
	v_mul_f64 v[12:13], v[4:5], v[12:13]
	v_add_f64 v[61:62], v[61:62], v[174:175]
	v_add_f64 v[91:92], v[170:171], v[91:92]
	s_waitcnt vmcnt(8) lgkmcnt(0)
	v_mul_f64 v[170:171], v[67:68], v[16:17]
	v_mul_f64 v[16:17], v[69:70], v[16:17]
	v_fma_f64 v[172:173], v[4:5], v[10:11], v[176:177]
	v_fma_f64 v[174:175], v[2:3], v[10:11], -v[12:13]
	ds_load_b128 v[2:5], v1 offset:1344
	scratch_load_b128 v[10:13], off, off offset:496
	v_add_f64 v[176:177], v[61:62], v[63:64]
	v_add_f64 v[65:66], v[91:92], v[65:66]
	ds_load_b128 v[61:64], v1 offset:1360
	s_waitcnt vmcnt(8) lgkmcnt(1)
	v_mul_f64 v[91:92], v[2:3], v[20:21]
	v_mul_f64 v[20:21], v[4:5], v[20:21]
	v_fma_f64 v[69:70], v[69:70], v[14:15], v[170:171]
	v_fma_f64 v[67:68], v[67:68], v[14:15], -v[16:17]
	scratch_load_b128 v[14:17], off, off offset:512
	v_add_f64 v[170:171], v[176:177], v[174:175]
	v_add_f64 v[65:66], v[65:66], v[172:173]
	s_waitcnt vmcnt(8) lgkmcnt(0)
	v_mul_f64 v[172:173], v[61:62], v[24:25]
	v_mul_f64 v[24:25], v[63:64], v[24:25]
	v_fma_f64 v[91:92], v[4:5], v[18:19], v[91:92]
	v_fma_f64 v[174:175], v[2:3], v[18:19], -v[20:21]
	ds_load_b128 v[2:5], v1 offset:1376
	scratch_load_b128 v[18:21], off, off offset:528
	v_add_f64 v[170:171], v[170:171], v[67:68]
	v_add_f64 v[69:70], v[65:66], v[69:70]
	ds_load_b128 v[65:68], v1 offset:1392
	s_waitcnt vmcnt(8) lgkmcnt(1)
	v_mul_f64 v[176:177], v[2:3], v[28:29]
	v_mul_f64 v[28:29], v[4:5], v[28:29]
	v_fma_f64 v[63:64], v[63:64], v[22:23], v[172:173]
	v_fma_f64 v[61:62], v[61:62], v[22:23], -v[24:25]
	scratch_load_b128 v[22:25], off, off offset:544
	;; [unrolled: 18-line block ×4, first 2 shown]
	s_waitcnt vmcnt(8) lgkmcnt(0)
	v_mul_f64 v[170:171], v[65:66], v[8:9]
	v_mul_f64 v[8:9], v[67:68], v[8:9]
	v_add_f64 v[91:92], v[91:92], v[174:175]
	v_add_f64 v[69:70], v[69:70], v[172:173]
	v_fma_f64 v[172:173], v[4:5], v[42:43], v[176:177]
	v_fma_f64 v[174:175], v[2:3], v[42:43], -v[44:45]
	ds_load_b128 v[2:5], v1 offset:1472
	scratch_load_b128 v[42:45], off, off offset:624
	v_fma_f64 v[67:68], v[67:68], v[6:7], v[170:171]
	v_fma_f64 v[65:66], v[65:66], v[6:7], -v[8:9]
	scratch_load_b128 v[6:9], off, off offset:640
	v_add_f64 v[91:92], v[91:92], v[61:62]
	v_add_f64 v[69:70], v[69:70], v[63:64]
	ds_load_b128 v[61:64], v1 offset:1488
	s_waitcnt vmcnt(9) lgkmcnt(1)
	v_mul_f64 v[176:177], v[2:3], v[12:13]
	v_mul_f64 v[12:13], v[4:5], v[12:13]
	s_waitcnt vmcnt(8) lgkmcnt(0)
	v_mul_f64 v[170:171], v[61:62], v[16:17]
	v_mul_f64 v[16:17], v[63:64], v[16:17]
	v_add_f64 v[91:92], v[91:92], v[174:175]
	v_add_f64 v[69:70], v[69:70], v[172:173]
	v_fma_f64 v[172:173], v[4:5], v[10:11], v[176:177]
	v_fma_f64 v[174:175], v[2:3], v[10:11], -v[12:13]
	ds_load_b128 v[2:5], v1 offset:1504
	scratch_load_b128 v[10:13], off, off offset:656
	v_fma_f64 v[63:64], v[63:64], v[14:15], v[170:171]
	v_fma_f64 v[61:62], v[61:62], v[14:15], -v[16:17]
	scratch_load_b128 v[14:17], off, off offset:672
	v_add_f64 v[91:92], v[91:92], v[65:66]
	v_add_f64 v[69:70], v[69:70], v[67:68]
	ds_load_b128 v[65:68], v1 offset:1520
	s_waitcnt vmcnt(9) lgkmcnt(1)
	v_mul_f64 v[176:177], v[2:3], v[20:21]
	v_mul_f64 v[20:21], v[4:5], v[20:21]
	;; [unrolled: 18-line block ×11, first 2 shown]
	s_waitcnt vmcnt(8) lgkmcnt(0)
	v_mul_f64 v[170:171], v[61:62], v[16:17]
	v_mul_f64 v[16:17], v[63:64], v[16:17]
	v_add_f64 v[91:92], v[91:92], v[174:175]
	v_add_f64 v[69:70], v[69:70], v[172:173]
	v_fma_f64 v[172:173], v[4:5], v[10:11], v[176:177]
	v_fma_f64 v[174:175], v[2:3], v[10:11], -v[12:13]
	ds_load_b128 v[2:5], v1 offset:1824
	ds_load_b128 v[10:13], v1 offset:1840
	v_fma_f64 v[63:64], v[63:64], v[14:15], v[170:171]
	v_fma_f64 v[14:15], v[61:62], v[14:15], -v[16:17]
	v_add_f64 v[65:66], v[91:92], v[65:66]
	v_add_f64 v[67:68], v[69:70], v[67:68]
	s_waitcnt vmcnt(7) lgkmcnt(1)
	v_mul_f64 v[69:70], v[2:3], v[20:21]
	v_mul_f64 v[20:21], v[4:5], v[20:21]
	s_delay_alu instid0(VALU_DEP_4) | instskip(NEXT) | instid1(VALU_DEP_4)
	v_add_f64 v[16:17], v[65:66], v[174:175]
	v_add_f64 v[61:62], v[67:68], v[172:173]
	s_waitcnt vmcnt(6) lgkmcnt(0)
	v_mul_f64 v[65:66], v[10:11], v[24:25]
	v_mul_f64 v[24:25], v[12:13], v[24:25]
	v_fma_f64 v[67:68], v[4:5], v[18:19], v[69:70]
	v_fma_f64 v[18:19], v[2:3], v[18:19], -v[20:21]
	v_add_f64 v[20:21], v[16:17], v[14:15]
	v_add_f64 v[61:62], v[61:62], v[63:64]
	ds_load_b128 v[2:5], v1 offset:1856
	ds_load_b128 v[14:17], v1 offset:1872
	v_fma_f64 v[12:13], v[12:13], v[22:23], v[65:66]
	v_fma_f64 v[10:11], v[10:11], v[22:23], -v[24:25]
	s_waitcnt vmcnt(5) lgkmcnt(1)
	v_mul_f64 v[63:64], v[2:3], v[28:29]
	v_mul_f64 v[28:29], v[4:5], v[28:29]
	s_waitcnt vmcnt(4) lgkmcnt(0)
	v_mul_f64 v[22:23], v[14:15], v[32:33]
	v_mul_f64 v[24:25], v[16:17], v[32:33]
	v_add_f64 v[18:19], v[20:21], v[18:19]
	v_add_f64 v[20:21], v[61:62], v[67:68]
	v_fma_f64 v[32:33], v[4:5], v[26:27], v[63:64]
	v_fma_f64 v[26:27], v[2:3], v[26:27], -v[28:29]
	v_fma_f64 v[16:17], v[16:17], v[30:31], v[22:23]
	v_fma_f64 v[14:15], v[14:15], v[30:31], -v[24:25]
	v_add_f64 v[18:19], v[18:19], v[10:11]
	v_add_f64 v[20:21], v[20:21], v[12:13]
	ds_load_b128 v[2:5], v1 offset:1888
	ds_load_b128 v[10:13], v1 offset:1904
	s_waitcnt vmcnt(3) lgkmcnt(1)
	v_mul_f64 v[28:29], v[2:3], v[36:37]
	v_mul_f64 v[36:37], v[4:5], v[36:37]
	s_waitcnt vmcnt(2) lgkmcnt(0)
	v_mul_f64 v[22:23], v[10:11], v[40:41]
	v_mul_f64 v[24:25], v[12:13], v[40:41]
	v_add_f64 v[18:19], v[18:19], v[26:27]
	v_add_f64 v[20:21], v[20:21], v[32:33]
	v_fma_f64 v[26:27], v[4:5], v[34:35], v[28:29]
	v_fma_f64 v[28:29], v[2:3], v[34:35], -v[36:37]
	v_fma_f64 v[12:13], v[12:13], v[38:39], v[22:23]
	v_fma_f64 v[10:11], v[10:11], v[38:39], -v[24:25]
	v_add_f64 v[18:19], v[18:19], v[14:15]
	v_add_f64 v[20:21], v[20:21], v[16:17]
	ds_load_b128 v[2:5], v1 offset:1920
	ds_load_b128 v[14:17], v1 offset:1936
	s_waitcnt vmcnt(1) lgkmcnt(1)
	v_mul_f64 v[30:31], v[2:3], v[44:45]
	v_mul_f64 v[32:33], v[4:5], v[44:45]
	s_waitcnt vmcnt(0) lgkmcnt(0)
	v_mul_f64 v[22:23], v[14:15], v[8:9]
	v_mul_f64 v[8:9], v[16:17], v[8:9]
	v_add_f64 v[18:19], v[18:19], v[28:29]
	v_add_f64 v[20:21], v[20:21], v[26:27]
	v_fma_f64 v[4:5], v[4:5], v[42:43], v[30:31]
	v_fma_f64 v[1:2], v[2:3], v[42:43], -v[32:33]
	v_fma_f64 v[16:17], v[16:17], v[6:7], v[22:23]
	v_fma_f64 v[6:7], v[14:15], v[6:7], -v[8:9]
	v_add_f64 v[10:11], v[18:19], v[10:11]
	v_add_f64 v[12:13], v[20:21], v[12:13]
	s_delay_alu instid0(VALU_DEP_2) | instskip(NEXT) | instid1(VALU_DEP_2)
	v_add_f64 v[1:2], v[10:11], v[1:2]
	v_add_f64 v[3:4], v[12:13], v[4:5]
	s_delay_alu instid0(VALU_DEP_2) | instskip(NEXT) | instid1(VALU_DEP_2)
	;; [unrolled: 3-line block ×3, first 2 shown]
	v_add_f64 v[1:2], v[57:58], -v[1:2]
	v_add_f64 v[3:4], v[59:60], -v[3:4]
	scratch_store_b128 off, v[1:4], off offset:128
	v_cmpx_lt_u32_e32 7, v169
	s_cbranch_execz .LBB124_377
; %bb.376:
	scratch_load_b128 v[1:4], v222, off
	v_mov_b32_e32 v5, 0
	s_delay_alu instid0(VALU_DEP_1)
	v_mov_b32_e32 v6, v5
	v_mov_b32_e32 v7, v5
	;; [unrolled: 1-line block ×3, first 2 shown]
	scratch_store_b128 off, v[5:8], off offset:112
	s_waitcnt vmcnt(0)
	ds_store_b128 v229, v[1:4]
.LBB124_377:
	s_or_b32 exec_lo, exec_lo, s2
	s_waitcnt lgkmcnt(0)
	s_waitcnt_vscnt null, 0x0
	s_barrier
	buffer_gl0_inv
	s_clause 0x7
	scratch_load_b128 v[2:5], off, off offset:128
	scratch_load_b128 v[6:9], off, off offset:144
	;; [unrolled: 1-line block ×8, first 2 shown]
	v_mov_b32_e32 v1, 0
	s_mov_b32 s2, exec_lo
	ds_load_b128 v[38:41], v1 offset:1104
	s_clause 0x1
	scratch_load_b128 v[34:37], off, off offset:256
	scratch_load_b128 v[42:45], off, off offset:112
	ds_load_b128 v[57:60], v1 offset:1120
	scratch_load_b128 v[61:64], off, off offset:272
	s_waitcnt vmcnt(10) lgkmcnt(1)
	v_mul_f64 v[65:66], v[40:41], v[4:5]
	v_mul_f64 v[4:5], v[38:39], v[4:5]
	s_delay_alu instid0(VALU_DEP_2) | instskip(NEXT) | instid1(VALU_DEP_2)
	v_fma_f64 v[91:92], v[38:39], v[2:3], -v[65:66]
	v_fma_f64 v[170:171], v[40:41], v[2:3], v[4:5]
	scratch_load_b128 v[38:41], off, off offset:288
	ds_load_b128 v[2:5], v1 offset:1136
	s_waitcnt vmcnt(10) lgkmcnt(1)
	v_mul_f64 v[69:70], v[57:58], v[8:9]
	v_mul_f64 v[8:9], v[59:60], v[8:9]
	ds_load_b128 v[65:68], v1 offset:1152
	s_waitcnt vmcnt(9) lgkmcnt(1)
	v_mul_f64 v[172:173], v[2:3], v[12:13]
	v_mul_f64 v[12:13], v[4:5], v[12:13]
	v_fma_f64 v[59:60], v[59:60], v[6:7], v[69:70]
	v_fma_f64 v[57:58], v[57:58], v[6:7], -v[8:9]
	v_add_f64 v[69:70], v[91:92], 0
	v_add_f64 v[91:92], v[170:171], 0
	scratch_load_b128 v[6:9], off, off offset:304
	v_fma_f64 v[172:173], v[4:5], v[10:11], v[172:173]
	v_fma_f64 v[174:175], v[2:3], v[10:11], -v[12:13]
	scratch_load_b128 v[10:13], off, off offset:320
	ds_load_b128 v[2:5], v1 offset:1168
	s_waitcnt vmcnt(10) lgkmcnt(1)
	v_mul_f64 v[170:171], v[65:66], v[16:17]
	v_mul_f64 v[16:17], v[67:68], v[16:17]
	v_add_f64 v[69:70], v[69:70], v[57:58]
	v_add_f64 v[91:92], v[91:92], v[59:60]
	s_waitcnt vmcnt(9) lgkmcnt(0)
	v_mul_f64 v[176:177], v[2:3], v[20:21]
	v_mul_f64 v[20:21], v[4:5], v[20:21]
	ds_load_b128 v[57:60], v1 offset:1184
	v_fma_f64 v[67:68], v[67:68], v[14:15], v[170:171]
	v_fma_f64 v[65:66], v[65:66], v[14:15], -v[16:17]
	scratch_load_b128 v[14:17], off, off offset:336
	v_add_f64 v[69:70], v[69:70], v[174:175]
	v_add_f64 v[91:92], v[91:92], v[172:173]
	v_fma_f64 v[172:173], v[4:5], v[18:19], v[176:177]
	v_fma_f64 v[174:175], v[2:3], v[18:19], -v[20:21]
	scratch_load_b128 v[18:21], off, off offset:352
	ds_load_b128 v[2:5], v1 offset:1200
	s_waitcnt vmcnt(10) lgkmcnt(1)
	v_mul_f64 v[170:171], v[57:58], v[24:25]
	v_mul_f64 v[24:25], v[59:60], v[24:25]
	s_waitcnt vmcnt(9) lgkmcnt(0)
	v_mul_f64 v[176:177], v[2:3], v[28:29]
	v_mul_f64 v[28:29], v[4:5], v[28:29]
	v_add_f64 v[69:70], v[69:70], v[65:66]
	v_add_f64 v[91:92], v[91:92], v[67:68]
	ds_load_b128 v[65:68], v1 offset:1216
	v_fma_f64 v[59:60], v[59:60], v[22:23], v[170:171]
	v_fma_f64 v[57:58], v[57:58], v[22:23], -v[24:25]
	scratch_load_b128 v[22:25], off, off offset:368
	v_add_f64 v[69:70], v[69:70], v[174:175]
	v_add_f64 v[91:92], v[91:92], v[172:173]
	v_fma_f64 v[172:173], v[4:5], v[26:27], v[176:177]
	v_fma_f64 v[174:175], v[2:3], v[26:27], -v[28:29]
	scratch_load_b128 v[26:29], off, off offset:384
	ds_load_b128 v[2:5], v1 offset:1232
	s_waitcnt vmcnt(10) lgkmcnt(1)
	v_mul_f64 v[170:171], v[65:66], v[32:33]
	v_mul_f64 v[32:33], v[67:68], v[32:33]
	s_waitcnt vmcnt(9) lgkmcnt(0)
	v_mul_f64 v[176:177], v[2:3], v[36:37]
	v_mul_f64 v[36:37], v[4:5], v[36:37]
	v_add_f64 v[69:70], v[69:70], v[57:58]
	v_add_f64 v[91:92], v[91:92], v[59:60]
	ds_load_b128 v[57:60], v1 offset:1248
	v_fma_f64 v[67:68], v[67:68], v[30:31], v[170:171]
	v_fma_f64 v[65:66], v[65:66], v[30:31], -v[32:33]
	scratch_load_b128 v[30:33], off, off offset:400
	v_add_f64 v[69:70], v[69:70], v[174:175]
	v_add_f64 v[91:92], v[91:92], v[172:173]
	v_fma_f64 v[174:175], v[4:5], v[34:35], v[176:177]
	v_fma_f64 v[176:177], v[2:3], v[34:35], -v[36:37]
	scratch_load_b128 v[34:37], off, off offset:416
	ds_load_b128 v[2:5], v1 offset:1264
	s_waitcnt vmcnt(9) lgkmcnt(1)
	v_mul_f64 v[170:171], v[57:58], v[63:64]
	v_mul_f64 v[172:173], v[59:60], v[63:64]
	v_add_f64 v[69:70], v[69:70], v[65:66]
	v_add_f64 v[67:68], v[91:92], v[67:68]
	ds_load_b128 v[63:66], v1 offset:1280
	v_fma_f64 v[170:171], v[59:60], v[61:62], v[170:171]
	v_fma_f64 v[61:62], v[57:58], v[61:62], -v[172:173]
	scratch_load_b128 v[57:60], off, off offset:432
	s_waitcnt vmcnt(9) lgkmcnt(1)
	v_mul_f64 v[91:92], v[2:3], v[40:41]
	v_mul_f64 v[40:41], v[4:5], v[40:41]
	v_add_f64 v[69:70], v[69:70], v[176:177]
	v_add_f64 v[67:68], v[67:68], v[174:175]
	s_delay_alu instid0(VALU_DEP_4) | instskip(NEXT) | instid1(VALU_DEP_4)
	v_fma_f64 v[91:92], v[4:5], v[38:39], v[91:92]
	v_fma_f64 v[174:175], v[2:3], v[38:39], -v[40:41]
	scratch_load_b128 v[38:41], off, off offset:448
	ds_load_b128 v[2:5], v1 offset:1296
	s_waitcnt vmcnt(9) lgkmcnt(1)
	v_mul_f64 v[172:173], v[63:64], v[8:9]
	v_mul_f64 v[8:9], v[65:66], v[8:9]
	s_waitcnt vmcnt(8) lgkmcnt(0)
	v_mul_f64 v[176:177], v[2:3], v[12:13]
	v_mul_f64 v[12:13], v[4:5], v[12:13]
	v_add_f64 v[61:62], v[69:70], v[61:62]
	v_add_f64 v[170:171], v[67:68], v[170:171]
	ds_load_b128 v[67:70], v1 offset:1312
	v_fma_f64 v[65:66], v[65:66], v[6:7], v[172:173]
	v_fma_f64 v[63:64], v[63:64], v[6:7], -v[8:9]
	scratch_load_b128 v[6:9], off, off offset:464
	v_fma_f64 v[172:173], v[4:5], v[10:11], v[176:177]
	v_add_f64 v[61:62], v[61:62], v[174:175]
	v_add_f64 v[91:92], v[170:171], v[91:92]
	v_fma_f64 v[174:175], v[2:3], v[10:11], -v[12:13]
	scratch_load_b128 v[10:13], off, off offset:480
	ds_load_b128 v[2:5], v1 offset:1328
	s_waitcnt vmcnt(9) lgkmcnt(1)
	v_mul_f64 v[170:171], v[67:68], v[16:17]
	v_mul_f64 v[16:17], v[69:70], v[16:17]
	v_add_f64 v[176:177], v[61:62], v[63:64]
	v_add_f64 v[65:66], v[91:92], v[65:66]
	s_waitcnt vmcnt(8) lgkmcnt(0)
	v_mul_f64 v[91:92], v[2:3], v[20:21]
	v_mul_f64 v[20:21], v[4:5], v[20:21]
	ds_load_b128 v[61:64], v1 offset:1344
	v_fma_f64 v[69:70], v[69:70], v[14:15], v[170:171]
	v_fma_f64 v[67:68], v[67:68], v[14:15], -v[16:17]
	scratch_load_b128 v[14:17], off, off offset:496
	v_add_f64 v[170:171], v[176:177], v[174:175]
	v_add_f64 v[65:66], v[65:66], v[172:173]
	v_fma_f64 v[91:92], v[4:5], v[18:19], v[91:92]
	v_fma_f64 v[174:175], v[2:3], v[18:19], -v[20:21]
	scratch_load_b128 v[18:21], off, off offset:512
	ds_load_b128 v[2:5], v1 offset:1360
	s_waitcnt vmcnt(9) lgkmcnt(1)
	v_mul_f64 v[172:173], v[61:62], v[24:25]
	v_mul_f64 v[24:25], v[63:64], v[24:25]
	s_waitcnt vmcnt(8) lgkmcnt(0)
	v_mul_f64 v[176:177], v[2:3], v[28:29]
	v_mul_f64 v[28:29], v[4:5], v[28:29]
	v_add_f64 v[170:171], v[170:171], v[67:68]
	v_add_f64 v[69:70], v[65:66], v[69:70]
	ds_load_b128 v[65:68], v1 offset:1376
	v_fma_f64 v[63:64], v[63:64], v[22:23], v[172:173]
	v_fma_f64 v[61:62], v[61:62], v[22:23], -v[24:25]
	scratch_load_b128 v[22:25], off, off offset:528
	v_fma_f64 v[172:173], v[4:5], v[26:27], v[176:177]
	v_add_f64 v[170:171], v[170:171], v[174:175]
	v_add_f64 v[69:70], v[69:70], v[91:92]
	v_fma_f64 v[174:175], v[2:3], v[26:27], -v[28:29]
	scratch_load_b128 v[26:29], off, off offset:544
	ds_load_b128 v[2:5], v1 offset:1392
	s_waitcnt vmcnt(9) lgkmcnt(1)
	v_mul_f64 v[91:92], v[65:66], v[32:33]
	v_mul_f64 v[32:33], v[67:68], v[32:33]
	s_waitcnt vmcnt(8) lgkmcnt(0)
	v_mul_f64 v[176:177], v[2:3], v[36:37]
	v_mul_f64 v[36:37], v[4:5], v[36:37]
	v_add_f64 v[170:171], v[170:171], v[61:62]
	v_add_f64 v[69:70], v[69:70], v[63:64]
	ds_load_b128 v[61:64], v1 offset:1408
	v_fma_f64 v[67:68], v[67:68], v[30:31], v[91:92]
	v_fma_f64 v[65:66], v[65:66], v[30:31], -v[32:33]
	scratch_load_b128 v[30:33], off, off offset:560
	v_add_f64 v[91:92], v[170:171], v[174:175]
	v_add_f64 v[69:70], v[69:70], v[172:173]
	v_fma_f64 v[172:173], v[4:5], v[34:35], v[176:177]
	v_fma_f64 v[174:175], v[2:3], v[34:35], -v[36:37]
	scratch_load_b128 v[34:37], off, off offset:576
	ds_load_b128 v[2:5], v1 offset:1424
	s_waitcnt vmcnt(9) lgkmcnt(1)
	v_mul_f64 v[170:171], v[61:62], v[59:60]
	v_mul_f64 v[59:60], v[63:64], v[59:60]
	s_waitcnt vmcnt(8) lgkmcnt(0)
	v_mul_f64 v[176:177], v[2:3], v[40:41]
	v_mul_f64 v[40:41], v[4:5], v[40:41]
	v_add_f64 v[91:92], v[91:92], v[65:66]
	v_add_f64 v[69:70], v[69:70], v[67:68]
	ds_load_b128 v[65:68], v1 offset:1440
	v_fma_f64 v[63:64], v[63:64], v[57:58], v[170:171]
	v_fma_f64 v[61:62], v[61:62], v[57:58], -v[59:60]
	scratch_load_b128 v[57:60], off, off offset:592
	v_add_f64 v[91:92], v[91:92], v[174:175]
	v_add_f64 v[69:70], v[69:70], v[172:173]
	v_fma_f64 v[172:173], v[4:5], v[38:39], v[176:177]
	;; [unrolled: 18-line block ×6, first 2 shown]
	v_fma_f64 v[176:177], v[2:3], v[34:35], -v[36:37]
	scratch_load_b128 v[34:37], off, off offset:736
	ds_load_b128 v[2:5], v1 offset:1584
	s_waitcnt vmcnt(9) lgkmcnt(1)
	v_mul_f64 v[170:171], v[65:66], v[59:60]
	v_mul_f64 v[172:173], v[67:68], v[59:60]
	v_add_f64 v[91:92], v[91:92], v[61:62]
	v_add_f64 v[63:64], v[69:70], v[63:64]
	s_waitcnt vmcnt(8) lgkmcnt(0)
	v_mul_f64 v[69:70], v[2:3], v[40:41]
	v_mul_f64 v[40:41], v[4:5], v[40:41]
	ds_load_b128 v[59:62], v1 offset:1600
	v_fma_f64 v[67:68], v[67:68], v[57:58], v[170:171]
	v_fma_f64 v[57:58], v[65:66], v[57:58], -v[172:173]
	v_add_f64 v[91:92], v[91:92], v[176:177]
	v_add_f64 v[170:171], v[63:64], v[174:175]
	scratch_load_b128 v[63:66], off, off offset:752
	v_fma_f64 v[174:175], v[4:5], v[38:39], v[69:70]
	v_fma_f64 v[176:177], v[2:3], v[38:39], -v[40:41]
	scratch_load_b128 v[38:41], off, off offset:768
	ds_load_b128 v[2:5], v1 offset:1616
	s_waitcnt vmcnt(9) lgkmcnt(1)
	v_mul_f64 v[172:173], v[59:60], v[8:9]
	v_mul_f64 v[8:9], v[61:62], v[8:9]
	v_add_f64 v[57:58], v[91:92], v[57:58]
	v_add_f64 v[91:92], v[170:171], v[67:68]
	s_waitcnt vmcnt(8) lgkmcnt(0)
	v_mul_f64 v[170:171], v[2:3], v[12:13]
	v_mul_f64 v[12:13], v[4:5], v[12:13]
	ds_load_b128 v[67:70], v1 offset:1632
	v_fma_f64 v[61:62], v[61:62], v[6:7], v[172:173]
	v_fma_f64 v[59:60], v[59:60], v[6:7], -v[8:9]
	scratch_load_b128 v[6:9], off, off offset:784
	v_add_f64 v[57:58], v[57:58], v[176:177]
	v_add_f64 v[91:92], v[91:92], v[174:175]
	v_fma_f64 v[170:171], v[4:5], v[10:11], v[170:171]
	v_fma_f64 v[174:175], v[2:3], v[10:11], -v[12:13]
	scratch_load_b128 v[10:13], off, off offset:800
	ds_load_b128 v[2:5], v1 offset:1648
	s_waitcnt vmcnt(9) lgkmcnt(1)
	v_mul_f64 v[172:173], v[67:68], v[16:17]
	v_mul_f64 v[16:17], v[69:70], v[16:17]
	v_add_f64 v[176:177], v[57:58], v[59:60]
	v_add_f64 v[61:62], v[91:92], v[61:62]
	s_waitcnt vmcnt(8) lgkmcnt(0)
	v_mul_f64 v[91:92], v[2:3], v[20:21]
	v_mul_f64 v[20:21], v[4:5], v[20:21]
	ds_load_b128 v[57:60], v1 offset:1664
	v_fma_f64 v[69:70], v[69:70], v[14:15], v[172:173]
	v_fma_f64 v[67:68], v[67:68], v[14:15], -v[16:17]
	scratch_load_b128 v[14:17], off, off offset:816
	v_add_f64 v[172:173], v[176:177], v[174:175]
	v_add_f64 v[61:62], v[61:62], v[170:171]
	v_fma_f64 v[91:92], v[4:5], v[18:19], v[91:92]
	v_fma_f64 v[174:175], v[2:3], v[18:19], -v[20:21]
	scratch_load_b128 v[18:21], off, off offset:832
	ds_load_b128 v[2:5], v1 offset:1680
	s_waitcnt vmcnt(9) lgkmcnt(1)
	v_mul_f64 v[170:171], v[57:58], v[24:25]
	v_mul_f64 v[24:25], v[59:60], v[24:25]
	s_waitcnt vmcnt(8) lgkmcnt(0)
	v_mul_f64 v[176:177], v[2:3], v[28:29]
	v_mul_f64 v[28:29], v[4:5], v[28:29]
	v_add_f64 v[172:173], v[172:173], v[67:68]
	v_add_f64 v[61:62], v[61:62], v[69:70]
	ds_load_b128 v[67:70], v1 offset:1696
	v_fma_f64 v[59:60], v[59:60], v[22:23], v[170:171]
	v_fma_f64 v[57:58], v[57:58], v[22:23], -v[24:25]
	scratch_load_b128 v[22:25], off, off offset:848
	v_add_f64 v[170:171], v[172:173], v[174:175]
	v_add_f64 v[61:62], v[61:62], v[91:92]
	v_fma_f64 v[172:173], v[4:5], v[26:27], v[176:177]
	v_fma_f64 v[174:175], v[2:3], v[26:27], -v[28:29]
	scratch_load_b128 v[26:29], off, off offset:864
	ds_load_b128 v[2:5], v1 offset:1712
	s_waitcnt vmcnt(9) lgkmcnt(1)
	v_mul_f64 v[91:92], v[67:68], v[32:33]
	v_mul_f64 v[32:33], v[69:70], v[32:33]
	s_waitcnt vmcnt(8) lgkmcnt(0)
	v_mul_f64 v[176:177], v[2:3], v[36:37]
	v_mul_f64 v[36:37], v[4:5], v[36:37]
	v_add_f64 v[170:171], v[170:171], v[57:58]
	v_add_f64 v[61:62], v[61:62], v[59:60]
	ds_load_b128 v[57:60], v1 offset:1728
	v_fma_f64 v[69:70], v[69:70], v[30:31], v[91:92]
	v_fma_f64 v[67:68], v[67:68], v[30:31], -v[32:33]
	scratch_load_b128 v[30:33], off, off offset:880
	v_add_f64 v[91:92], v[170:171], v[174:175]
	v_add_f64 v[61:62], v[61:62], v[172:173]
	v_fma_f64 v[174:175], v[4:5], v[34:35], v[176:177]
	v_fma_f64 v[176:177], v[2:3], v[34:35], -v[36:37]
	scratch_load_b128 v[34:37], off, off offset:896
	ds_load_b128 v[2:5], v1 offset:1744
	s_waitcnt vmcnt(9) lgkmcnt(1)
	v_mul_f64 v[170:171], v[57:58], v[65:66]
	v_mul_f64 v[172:173], v[59:60], v[65:66]
	v_add_f64 v[91:92], v[91:92], v[67:68]
	v_add_f64 v[61:62], v[61:62], v[69:70]
	s_waitcnt vmcnt(8) lgkmcnt(0)
	v_mul_f64 v[69:70], v[2:3], v[40:41]
	v_mul_f64 v[40:41], v[4:5], v[40:41]
	ds_load_b128 v[65:68], v1 offset:1760
	v_fma_f64 v[170:171], v[59:60], v[63:64], v[170:171]
	v_fma_f64 v[63:64], v[57:58], v[63:64], -v[172:173]
	scratch_load_b128 v[57:60], off, off offset:912
	v_add_f64 v[91:92], v[91:92], v[176:177]
	v_add_f64 v[61:62], v[61:62], v[174:175]
	v_fma_f64 v[69:70], v[4:5], v[38:39], v[69:70]
	v_fma_f64 v[174:175], v[2:3], v[38:39], -v[40:41]
	scratch_load_b128 v[38:41], off, off offset:928
	ds_load_b128 v[2:5], v1 offset:1776
	s_waitcnt vmcnt(9) lgkmcnt(1)
	v_mul_f64 v[172:173], v[65:66], v[8:9]
	v_mul_f64 v[8:9], v[67:68], v[8:9]
	s_waitcnt vmcnt(8) lgkmcnt(0)
	v_mul_f64 v[176:177], v[2:3], v[12:13]
	v_mul_f64 v[12:13], v[4:5], v[12:13]
	v_add_f64 v[91:92], v[91:92], v[63:64]
	v_add_f64 v[170:171], v[61:62], v[170:171]
	ds_load_b128 v[61:64], v1 offset:1792
	v_fma_f64 v[67:68], v[67:68], v[6:7], v[172:173]
	v_fma_f64 v[65:66], v[65:66], v[6:7], -v[8:9]
	scratch_load_b128 v[6:9], off, off offset:944
	v_fma_f64 v[172:173], v[4:5], v[10:11], v[176:177]
	v_add_f64 v[91:92], v[91:92], v[174:175]
	v_add_f64 v[69:70], v[170:171], v[69:70]
	v_fma_f64 v[174:175], v[2:3], v[10:11], -v[12:13]
	scratch_load_b128 v[10:13], off, off offset:960
	ds_load_b128 v[2:5], v1 offset:1808
	s_waitcnt vmcnt(9) lgkmcnt(1)
	v_mul_f64 v[170:171], v[61:62], v[16:17]
	v_mul_f64 v[16:17], v[63:64], v[16:17]
	s_waitcnt vmcnt(8) lgkmcnt(0)
	v_mul_f64 v[176:177], v[2:3], v[20:21]
	v_mul_f64 v[20:21], v[4:5], v[20:21]
	v_add_f64 v[91:92], v[91:92], v[65:66]
	v_add_f64 v[69:70], v[69:70], v[67:68]
	ds_load_b128 v[65:68], v1 offset:1824
	v_fma_f64 v[63:64], v[63:64], v[14:15], v[170:171]
	v_fma_f64 v[14:15], v[61:62], v[14:15], -v[16:17]
	v_add_f64 v[16:17], v[91:92], v[174:175]
	v_add_f64 v[61:62], v[69:70], v[172:173]
	s_waitcnt vmcnt(7) lgkmcnt(0)
	v_mul_f64 v[69:70], v[65:66], v[24:25]
	v_mul_f64 v[24:25], v[67:68], v[24:25]
	v_fma_f64 v[91:92], v[4:5], v[18:19], v[176:177]
	v_fma_f64 v[18:19], v[2:3], v[18:19], -v[20:21]
	v_add_f64 v[20:21], v[16:17], v[14:15]
	v_add_f64 v[61:62], v[61:62], v[63:64]
	ds_load_b128 v[2:5], v1 offset:1840
	ds_load_b128 v[14:17], v1 offset:1856
	v_fma_f64 v[67:68], v[67:68], v[22:23], v[69:70]
	v_fma_f64 v[22:23], v[65:66], v[22:23], -v[24:25]
	s_waitcnt vmcnt(6) lgkmcnt(1)
	v_mul_f64 v[63:64], v[2:3], v[28:29]
	v_mul_f64 v[28:29], v[4:5], v[28:29]
	s_waitcnt vmcnt(5) lgkmcnt(0)
	v_mul_f64 v[24:25], v[14:15], v[32:33]
	v_mul_f64 v[32:33], v[16:17], v[32:33]
	v_add_f64 v[18:19], v[20:21], v[18:19]
	v_add_f64 v[20:21], v[61:62], v[91:92]
	v_fma_f64 v[61:62], v[4:5], v[26:27], v[63:64]
	v_fma_f64 v[26:27], v[2:3], v[26:27], -v[28:29]
	v_fma_f64 v[16:17], v[16:17], v[30:31], v[24:25]
	v_fma_f64 v[14:15], v[14:15], v[30:31], -v[32:33]
	v_add_f64 v[22:23], v[18:19], v[22:23]
	v_add_f64 v[28:29], v[20:21], v[67:68]
	ds_load_b128 v[2:5], v1 offset:1872
	ds_load_b128 v[18:21], v1 offset:1888
	s_waitcnt vmcnt(4) lgkmcnt(1)
	v_mul_f64 v[63:64], v[2:3], v[36:37]
	v_mul_f64 v[36:37], v[4:5], v[36:37]
	v_add_f64 v[22:23], v[22:23], v[26:27]
	v_add_f64 v[24:25], v[28:29], v[61:62]
	s_waitcnt vmcnt(3) lgkmcnt(0)
	v_mul_f64 v[26:27], v[18:19], v[59:60]
	v_mul_f64 v[28:29], v[20:21], v[59:60]
	v_fma_f64 v[30:31], v[4:5], v[34:35], v[63:64]
	v_fma_f64 v[32:33], v[2:3], v[34:35], -v[36:37]
	v_add_f64 v[22:23], v[22:23], v[14:15]
	v_add_f64 v[24:25], v[24:25], v[16:17]
	ds_load_b128 v[2:5], v1 offset:1904
	ds_load_b128 v[14:17], v1 offset:1920
	v_fma_f64 v[20:21], v[20:21], v[57:58], v[26:27]
	v_fma_f64 v[18:19], v[18:19], v[57:58], -v[28:29]
	s_waitcnt vmcnt(2) lgkmcnt(1)
	v_mul_f64 v[34:35], v[2:3], v[40:41]
	v_mul_f64 v[36:37], v[4:5], v[40:41]
	s_waitcnt vmcnt(1) lgkmcnt(0)
	v_mul_f64 v[26:27], v[14:15], v[8:9]
	v_mul_f64 v[8:9], v[16:17], v[8:9]
	v_add_f64 v[22:23], v[22:23], v[32:33]
	v_add_f64 v[24:25], v[24:25], v[30:31]
	v_fma_f64 v[28:29], v[4:5], v[38:39], v[34:35]
	v_fma_f64 v[30:31], v[2:3], v[38:39], -v[36:37]
	ds_load_b128 v[2:5], v1 offset:1936
	v_fma_f64 v[16:17], v[16:17], v[6:7], v[26:27]
	v_fma_f64 v[6:7], v[14:15], v[6:7], -v[8:9]
	v_add_f64 v[18:19], v[22:23], v[18:19]
	v_add_f64 v[20:21], v[24:25], v[20:21]
	s_waitcnt vmcnt(0) lgkmcnt(0)
	v_mul_f64 v[22:23], v[2:3], v[12:13]
	v_mul_f64 v[12:13], v[4:5], v[12:13]
	s_delay_alu instid0(VALU_DEP_4) | instskip(NEXT) | instid1(VALU_DEP_4)
	v_add_f64 v[8:9], v[18:19], v[30:31]
	v_add_f64 v[14:15], v[20:21], v[28:29]
	s_delay_alu instid0(VALU_DEP_4) | instskip(NEXT) | instid1(VALU_DEP_4)
	v_fma_f64 v[4:5], v[4:5], v[10:11], v[22:23]
	v_fma_f64 v[2:3], v[2:3], v[10:11], -v[12:13]
	s_delay_alu instid0(VALU_DEP_4) | instskip(NEXT) | instid1(VALU_DEP_4)
	v_add_f64 v[6:7], v[8:9], v[6:7]
	v_add_f64 v[8:9], v[14:15], v[16:17]
	s_delay_alu instid0(VALU_DEP_2) | instskip(NEXT) | instid1(VALU_DEP_2)
	v_add_f64 v[2:3], v[6:7], v[2:3]
	v_add_f64 v[4:5], v[8:9], v[4:5]
	s_delay_alu instid0(VALU_DEP_2) | instskip(NEXT) | instid1(VALU_DEP_2)
	v_add_f64 v[2:3], v[42:43], -v[2:3]
	v_add_f64 v[4:5], v[44:45], -v[4:5]
	scratch_store_b128 off, v[2:5], off offset:112
	v_cmpx_lt_u32_e32 6, v169
	s_cbranch_execz .LBB124_379
; %bb.378:
	scratch_load_b128 v[5:8], v223, off
	v_mov_b32_e32 v2, v1
	v_mov_b32_e32 v3, v1
	;; [unrolled: 1-line block ×3, first 2 shown]
	scratch_store_b128 off, v[1:4], off offset:96
	s_waitcnt vmcnt(0)
	ds_store_b128 v229, v[5:8]
.LBB124_379:
	s_or_b32 exec_lo, exec_lo, s2
	s_waitcnt lgkmcnt(0)
	s_waitcnt_vscnt null, 0x0
	s_barrier
	buffer_gl0_inv
	s_clause 0x8
	scratch_load_b128 v[2:5], off, off offset:112
	scratch_load_b128 v[6:9], off, off offset:128
	scratch_load_b128 v[10:13], off, off offset:144
	scratch_load_b128 v[14:17], off, off offset:160
	scratch_load_b128 v[18:21], off, off offset:176
	scratch_load_b128 v[22:25], off, off offset:192
	scratch_load_b128 v[26:29], off, off offset:208
	scratch_load_b128 v[30:33], off, off offset:224
	scratch_load_b128 v[34:37], off, off offset:240
	ds_load_b128 v[42:45], v1 offset:1088
	ds_load_b128 v[38:41], v1 offset:1104
	s_clause 0x1
	scratch_load_b128 v[57:60], off, off offset:96
	scratch_load_b128 v[61:64], off, off offset:256
	s_mov_b32 s2, exec_lo
	s_waitcnt vmcnt(10) lgkmcnt(1)
	v_mul_f64 v[65:66], v[44:45], v[4:5]
	v_mul_f64 v[4:5], v[42:43], v[4:5]
	s_waitcnt vmcnt(9) lgkmcnt(0)
	v_mul_f64 v[69:70], v[38:39], v[8:9]
	v_mul_f64 v[8:9], v[40:41], v[8:9]
	s_delay_alu instid0(VALU_DEP_4) | instskip(NEXT) | instid1(VALU_DEP_4)
	v_fma_f64 v[91:92], v[42:43], v[2:3], -v[65:66]
	v_fma_f64 v[170:171], v[44:45], v[2:3], v[4:5]
	ds_load_b128 v[2:5], v1 offset:1120
	ds_load_b128 v[65:68], v1 offset:1136
	scratch_load_b128 v[42:45], off, off offset:272
	v_fma_f64 v[40:41], v[40:41], v[6:7], v[69:70]
	v_fma_f64 v[38:39], v[38:39], v[6:7], -v[8:9]
	scratch_load_b128 v[6:9], off, off offset:288
	s_waitcnt vmcnt(10) lgkmcnt(1)
	v_mul_f64 v[172:173], v[2:3], v[12:13]
	v_mul_f64 v[12:13], v[4:5], v[12:13]
	v_add_f64 v[69:70], v[91:92], 0
	v_add_f64 v[91:92], v[170:171], 0
	s_waitcnt vmcnt(9) lgkmcnt(0)
	v_mul_f64 v[170:171], v[65:66], v[16:17]
	v_mul_f64 v[16:17], v[67:68], v[16:17]
	v_fma_f64 v[172:173], v[4:5], v[10:11], v[172:173]
	v_fma_f64 v[174:175], v[2:3], v[10:11], -v[12:13]
	ds_load_b128 v[2:5], v1 offset:1152
	scratch_load_b128 v[10:13], off, off offset:304
	v_add_f64 v[69:70], v[69:70], v[38:39]
	v_add_f64 v[91:92], v[91:92], v[40:41]
	ds_load_b128 v[38:41], v1 offset:1168
	v_fma_f64 v[67:68], v[67:68], v[14:15], v[170:171]
	v_fma_f64 v[65:66], v[65:66], v[14:15], -v[16:17]
	scratch_load_b128 v[14:17], off, off offset:320
	s_waitcnt vmcnt(10) lgkmcnt(1)
	v_mul_f64 v[176:177], v[2:3], v[20:21]
	v_mul_f64 v[20:21], v[4:5], v[20:21]
	s_waitcnt vmcnt(9) lgkmcnt(0)
	v_mul_f64 v[170:171], v[38:39], v[24:25]
	v_mul_f64 v[24:25], v[40:41], v[24:25]
	v_add_f64 v[69:70], v[69:70], v[174:175]
	v_add_f64 v[91:92], v[91:92], v[172:173]
	v_fma_f64 v[172:173], v[4:5], v[18:19], v[176:177]
	v_fma_f64 v[174:175], v[2:3], v[18:19], -v[20:21]
	ds_load_b128 v[2:5], v1 offset:1184
	scratch_load_b128 v[18:21], off, off offset:336
	v_fma_f64 v[40:41], v[40:41], v[22:23], v[170:171]
	v_fma_f64 v[38:39], v[38:39], v[22:23], -v[24:25]
	scratch_load_b128 v[22:25], off, off offset:352
	v_add_f64 v[69:70], v[69:70], v[65:66]
	v_add_f64 v[91:92], v[91:92], v[67:68]
	ds_load_b128 v[65:68], v1 offset:1200
	s_waitcnt vmcnt(10) lgkmcnt(1)
	v_mul_f64 v[176:177], v[2:3], v[28:29]
	v_mul_f64 v[28:29], v[4:5], v[28:29]
	s_waitcnt vmcnt(9) lgkmcnt(0)
	v_mul_f64 v[170:171], v[65:66], v[32:33]
	v_mul_f64 v[32:33], v[67:68], v[32:33]
	v_add_f64 v[69:70], v[69:70], v[174:175]
	v_add_f64 v[91:92], v[91:92], v[172:173]
	v_fma_f64 v[172:173], v[4:5], v[26:27], v[176:177]
	v_fma_f64 v[174:175], v[2:3], v[26:27], -v[28:29]
	ds_load_b128 v[2:5], v1 offset:1216
	scratch_load_b128 v[26:29], off, off offset:368
	v_fma_f64 v[67:68], v[67:68], v[30:31], v[170:171]
	v_fma_f64 v[65:66], v[65:66], v[30:31], -v[32:33]
	scratch_load_b128 v[30:33], off, off offset:384
	v_add_f64 v[69:70], v[69:70], v[38:39]
	v_add_f64 v[91:92], v[91:92], v[40:41]
	ds_load_b128 v[38:41], v1 offset:1232
	s_waitcnt vmcnt(10) lgkmcnt(1)
	v_mul_f64 v[176:177], v[2:3], v[36:37]
	v_mul_f64 v[36:37], v[4:5], v[36:37]
	s_waitcnt vmcnt(8) lgkmcnt(0)
	v_mul_f64 v[170:171], v[38:39], v[63:64]
	v_add_f64 v[69:70], v[69:70], v[174:175]
	v_add_f64 v[91:92], v[91:92], v[172:173]
	v_mul_f64 v[172:173], v[40:41], v[63:64]
	v_fma_f64 v[174:175], v[4:5], v[34:35], v[176:177]
	v_fma_f64 v[176:177], v[2:3], v[34:35], -v[36:37]
	ds_load_b128 v[2:5], v1 offset:1248
	scratch_load_b128 v[34:37], off, off offset:400
	v_fma_f64 v[170:171], v[40:41], v[61:62], v[170:171]
	v_add_f64 v[69:70], v[69:70], v[65:66]
	v_add_f64 v[67:68], v[91:92], v[67:68]
	ds_load_b128 v[63:66], v1 offset:1264
	v_fma_f64 v[61:62], v[38:39], v[61:62], -v[172:173]
	scratch_load_b128 v[38:41], off, off offset:416
	s_waitcnt vmcnt(9) lgkmcnt(1)
	v_mul_f64 v[91:92], v[2:3], v[44:45]
	v_mul_f64 v[44:45], v[4:5], v[44:45]
	s_waitcnt vmcnt(8) lgkmcnt(0)
	v_mul_f64 v[172:173], v[63:64], v[8:9]
	v_mul_f64 v[8:9], v[65:66], v[8:9]
	v_add_f64 v[69:70], v[69:70], v[176:177]
	v_add_f64 v[67:68], v[67:68], v[174:175]
	v_fma_f64 v[91:92], v[4:5], v[42:43], v[91:92]
	v_fma_f64 v[174:175], v[2:3], v[42:43], -v[44:45]
	ds_load_b128 v[2:5], v1 offset:1280
	scratch_load_b128 v[42:45], off, off offset:432
	v_fma_f64 v[65:66], v[65:66], v[6:7], v[172:173]
	v_fma_f64 v[63:64], v[63:64], v[6:7], -v[8:9]
	scratch_load_b128 v[6:9], off, off offset:448
	v_add_f64 v[61:62], v[69:70], v[61:62]
	v_add_f64 v[170:171], v[67:68], v[170:171]
	ds_load_b128 v[67:70], v1 offset:1296
	s_waitcnt vmcnt(9) lgkmcnt(1)
	v_mul_f64 v[176:177], v[2:3], v[12:13]
	v_mul_f64 v[12:13], v[4:5], v[12:13]
	v_add_f64 v[61:62], v[61:62], v[174:175]
	v_add_f64 v[91:92], v[170:171], v[91:92]
	s_waitcnt vmcnt(8) lgkmcnt(0)
	v_mul_f64 v[170:171], v[67:68], v[16:17]
	v_mul_f64 v[16:17], v[69:70], v[16:17]
	v_fma_f64 v[172:173], v[4:5], v[10:11], v[176:177]
	v_fma_f64 v[174:175], v[2:3], v[10:11], -v[12:13]
	ds_load_b128 v[2:5], v1 offset:1312
	scratch_load_b128 v[10:13], off, off offset:464
	v_add_f64 v[176:177], v[61:62], v[63:64]
	v_add_f64 v[65:66], v[91:92], v[65:66]
	ds_load_b128 v[61:64], v1 offset:1328
	s_waitcnt vmcnt(8) lgkmcnt(1)
	v_mul_f64 v[91:92], v[2:3], v[20:21]
	v_mul_f64 v[20:21], v[4:5], v[20:21]
	v_fma_f64 v[69:70], v[69:70], v[14:15], v[170:171]
	v_fma_f64 v[67:68], v[67:68], v[14:15], -v[16:17]
	scratch_load_b128 v[14:17], off, off offset:480
	v_add_f64 v[170:171], v[176:177], v[174:175]
	v_add_f64 v[65:66], v[65:66], v[172:173]
	s_waitcnt vmcnt(8) lgkmcnt(0)
	v_mul_f64 v[172:173], v[61:62], v[24:25]
	v_mul_f64 v[24:25], v[63:64], v[24:25]
	v_fma_f64 v[91:92], v[4:5], v[18:19], v[91:92]
	v_fma_f64 v[174:175], v[2:3], v[18:19], -v[20:21]
	ds_load_b128 v[2:5], v1 offset:1344
	scratch_load_b128 v[18:21], off, off offset:496
	v_add_f64 v[170:171], v[170:171], v[67:68]
	v_add_f64 v[69:70], v[65:66], v[69:70]
	ds_load_b128 v[65:68], v1 offset:1360
	s_waitcnt vmcnt(8) lgkmcnt(1)
	v_mul_f64 v[176:177], v[2:3], v[28:29]
	v_mul_f64 v[28:29], v[4:5], v[28:29]
	v_fma_f64 v[63:64], v[63:64], v[22:23], v[172:173]
	v_fma_f64 v[61:62], v[61:62], v[22:23], -v[24:25]
	scratch_load_b128 v[22:25], off, off offset:512
	v_add_f64 v[170:171], v[170:171], v[174:175]
	v_add_f64 v[69:70], v[69:70], v[91:92]
	s_waitcnt vmcnt(8) lgkmcnt(0)
	v_mul_f64 v[91:92], v[65:66], v[32:33]
	v_mul_f64 v[32:33], v[67:68], v[32:33]
	v_fma_f64 v[172:173], v[4:5], v[26:27], v[176:177]
	v_fma_f64 v[174:175], v[2:3], v[26:27], -v[28:29]
	ds_load_b128 v[2:5], v1 offset:1376
	scratch_load_b128 v[26:29], off, off offset:528
	v_add_f64 v[170:171], v[170:171], v[61:62]
	v_add_f64 v[69:70], v[69:70], v[63:64]
	ds_load_b128 v[61:64], v1 offset:1392
	s_waitcnt vmcnt(8) lgkmcnt(1)
	v_mul_f64 v[176:177], v[2:3], v[36:37]
	v_mul_f64 v[36:37], v[4:5], v[36:37]
	v_fma_f64 v[67:68], v[67:68], v[30:31], v[91:92]
	v_fma_f64 v[65:66], v[65:66], v[30:31], -v[32:33]
	scratch_load_b128 v[30:33], off, off offset:544
	v_add_f64 v[91:92], v[170:171], v[174:175]
	v_add_f64 v[69:70], v[69:70], v[172:173]
	s_waitcnt vmcnt(8) lgkmcnt(0)
	v_mul_f64 v[170:171], v[61:62], v[40:41]
	v_mul_f64 v[40:41], v[63:64], v[40:41]
	v_fma_f64 v[172:173], v[4:5], v[34:35], v[176:177]
	v_fma_f64 v[174:175], v[2:3], v[34:35], -v[36:37]
	ds_load_b128 v[2:5], v1 offset:1408
	scratch_load_b128 v[34:37], off, off offset:560
	v_add_f64 v[91:92], v[91:92], v[65:66]
	v_add_f64 v[69:70], v[69:70], v[67:68]
	ds_load_b128 v[65:68], v1 offset:1424
	s_waitcnt vmcnt(8) lgkmcnt(1)
	v_mul_f64 v[176:177], v[2:3], v[44:45]
	v_mul_f64 v[44:45], v[4:5], v[44:45]
	v_fma_f64 v[63:64], v[63:64], v[38:39], v[170:171]
	v_fma_f64 v[61:62], v[61:62], v[38:39], -v[40:41]
	scratch_load_b128 v[38:41], off, off offset:576
	s_waitcnt vmcnt(8) lgkmcnt(0)
	v_mul_f64 v[170:171], v[65:66], v[8:9]
	v_mul_f64 v[8:9], v[67:68], v[8:9]
	v_add_f64 v[91:92], v[91:92], v[174:175]
	v_add_f64 v[69:70], v[69:70], v[172:173]
	v_fma_f64 v[172:173], v[4:5], v[42:43], v[176:177]
	v_fma_f64 v[174:175], v[2:3], v[42:43], -v[44:45]
	ds_load_b128 v[2:5], v1 offset:1440
	scratch_load_b128 v[42:45], off, off offset:592
	v_fma_f64 v[67:68], v[67:68], v[6:7], v[170:171]
	v_fma_f64 v[65:66], v[65:66], v[6:7], -v[8:9]
	scratch_load_b128 v[6:9], off, off offset:608
	v_add_f64 v[91:92], v[91:92], v[61:62]
	v_add_f64 v[69:70], v[69:70], v[63:64]
	ds_load_b128 v[61:64], v1 offset:1456
	s_waitcnt vmcnt(9) lgkmcnt(1)
	v_mul_f64 v[176:177], v[2:3], v[12:13]
	v_mul_f64 v[12:13], v[4:5], v[12:13]
	s_waitcnt vmcnt(8) lgkmcnt(0)
	v_mul_f64 v[170:171], v[61:62], v[16:17]
	v_mul_f64 v[16:17], v[63:64], v[16:17]
	v_add_f64 v[91:92], v[91:92], v[174:175]
	v_add_f64 v[69:70], v[69:70], v[172:173]
	v_fma_f64 v[172:173], v[4:5], v[10:11], v[176:177]
	v_fma_f64 v[174:175], v[2:3], v[10:11], -v[12:13]
	ds_load_b128 v[2:5], v1 offset:1472
	scratch_load_b128 v[10:13], off, off offset:624
	v_fma_f64 v[63:64], v[63:64], v[14:15], v[170:171]
	v_fma_f64 v[61:62], v[61:62], v[14:15], -v[16:17]
	scratch_load_b128 v[14:17], off, off offset:640
	v_add_f64 v[91:92], v[91:92], v[65:66]
	v_add_f64 v[69:70], v[69:70], v[67:68]
	ds_load_b128 v[65:68], v1 offset:1488
	s_waitcnt vmcnt(9) lgkmcnt(1)
	v_mul_f64 v[176:177], v[2:3], v[20:21]
	v_mul_f64 v[20:21], v[4:5], v[20:21]
	;; [unrolled: 18-line block ×12, first 2 shown]
	s_waitcnt vmcnt(8) lgkmcnt(0)
	v_mul_f64 v[170:171], v[65:66], v[24:25]
	v_mul_f64 v[24:25], v[67:68], v[24:25]
	v_add_f64 v[91:92], v[91:92], v[174:175]
	v_add_f64 v[69:70], v[69:70], v[172:173]
	v_fma_f64 v[172:173], v[4:5], v[18:19], v[176:177]
	v_fma_f64 v[174:175], v[2:3], v[18:19], -v[20:21]
	ds_load_b128 v[2:5], v1 offset:1824
	ds_load_b128 v[18:21], v1 offset:1840
	v_fma_f64 v[67:68], v[67:68], v[22:23], v[170:171]
	v_fma_f64 v[22:23], v[65:66], v[22:23], -v[24:25]
	v_add_f64 v[61:62], v[91:92], v[61:62]
	v_add_f64 v[63:64], v[69:70], v[63:64]
	s_waitcnt vmcnt(7) lgkmcnt(1)
	v_mul_f64 v[69:70], v[2:3], v[28:29]
	v_mul_f64 v[28:29], v[4:5], v[28:29]
	s_delay_alu instid0(VALU_DEP_4) | instskip(NEXT) | instid1(VALU_DEP_4)
	v_add_f64 v[24:25], v[61:62], v[174:175]
	v_add_f64 v[61:62], v[63:64], v[172:173]
	s_waitcnt vmcnt(6) lgkmcnt(0)
	v_mul_f64 v[63:64], v[18:19], v[32:33]
	v_mul_f64 v[32:33], v[20:21], v[32:33]
	v_fma_f64 v[65:66], v[4:5], v[26:27], v[69:70]
	v_fma_f64 v[26:27], v[2:3], v[26:27], -v[28:29]
	v_add_f64 v[28:29], v[24:25], v[22:23]
	v_add_f64 v[61:62], v[61:62], v[67:68]
	ds_load_b128 v[2:5], v1 offset:1856
	ds_load_b128 v[22:25], v1 offset:1872
	v_fma_f64 v[20:21], v[20:21], v[30:31], v[63:64]
	v_fma_f64 v[18:19], v[18:19], v[30:31], -v[32:33]
	s_waitcnt vmcnt(5) lgkmcnt(1)
	v_mul_f64 v[67:68], v[2:3], v[36:37]
	v_mul_f64 v[36:37], v[4:5], v[36:37]
	s_waitcnt vmcnt(4) lgkmcnt(0)
	v_mul_f64 v[30:31], v[22:23], v[40:41]
	v_mul_f64 v[32:33], v[24:25], v[40:41]
	v_add_f64 v[26:27], v[28:29], v[26:27]
	v_add_f64 v[28:29], v[61:62], v[65:66]
	v_fma_f64 v[40:41], v[4:5], v[34:35], v[67:68]
	v_fma_f64 v[34:35], v[2:3], v[34:35], -v[36:37]
	v_fma_f64 v[24:25], v[24:25], v[38:39], v[30:31]
	v_fma_f64 v[22:23], v[22:23], v[38:39], -v[32:33]
	v_add_f64 v[26:27], v[26:27], v[18:19]
	v_add_f64 v[28:29], v[28:29], v[20:21]
	ds_load_b128 v[2:5], v1 offset:1888
	ds_load_b128 v[18:21], v1 offset:1904
	s_waitcnt vmcnt(3) lgkmcnt(1)
	v_mul_f64 v[36:37], v[2:3], v[44:45]
	v_mul_f64 v[44:45], v[4:5], v[44:45]
	s_waitcnt vmcnt(2) lgkmcnt(0)
	v_mul_f64 v[30:31], v[18:19], v[8:9]
	v_mul_f64 v[8:9], v[20:21], v[8:9]
	v_add_f64 v[26:27], v[26:27], v[34:35]
	v_add_f64 v[28:29], v[28:29], v[40:41]
	v_fma_f64 v[32:33], v[4:5], v[42:43], v[36:37]
	v_fma_f64 v[34:35], v[2:3], v[42:43], -v[44:45]
	v_fma_f64 v[20:21], v[20:21], v[6:7], v[30:31]
	v_fma_f64 v[6:7], v[18:19], v[6:7], -v[8:9]
	v_add_f64 v[26:27], v[26:27], v[22:23]
	v_add_f64 v[28:29], v[28:29], v[24:25]
	ds_load_b128 v[2:5], v1 offset:1920
	ds_load_b128 v[22:25], v1 offset:1936
	s_waitcnt vmcnt(1) lgkmcnt(1)
	v_mul_f64 v[36:37], v[2:3], v[12:13]
	v_mul_f64 v[12:13], v[4:5], v[12:13]
	v_add_f64 v[8:9], v[26:27], v[34:35]
	v_add_f64 v[18:19], v[28:29], v[32:33]
	s_waitcnt vmcnt(0) lgkmcnt(0)
	v_mul_f64 v[26:27], v[22:23], v[16:17]
	v_mul_f64 v[16:17], v[24:25], v[16:17]
	v_fma_f64 v[4:5], v[4:5], v[10:11], v[36:37]
	v_fma_f64 v[1:2], v[2:3], v[10:11], -v[12:13]
	v_add_f64 v[6:7], v[8:9], v[6:7]
	v_add_f64 v[8:9], v[18:19], v[20:21]
	v_fma_f64 v[10:11], v[24:25], v[14:15], v[26:27]
	v_fma_f64 v[12:13], v[22:23], v[14:15], -v[16:17]
	s_delay_alu instid0(VALU_DEP_4) | instskip(NEXT) | instid1(VALU_DEP_4)
	v_add_f64 v[1:2], v[6:7], v[1:2]
	v_add_f64 v[3:4], v[8:9], v[4:5]
	s_delay_alu instid0(VALU_DEP_2) | instskip(NEXT) | instid1(VALU_DEP_2)
	v_add_f64 v[1:2], v[1:2], v[12:13]
	v_add_f64 v[3:4], v[3:4], v[10:11]
	s_delay_alu instid0(VALU_DEP_2) | instskip(NEXT) | instid1(VALU_DEP_2)
	v_add_f64 v[1:2], v[57:58], -v[1:2]
	v_add_f64 v[3:4], v[59:60], -v[3:4]
	scratch_store_b128 off, v[1:4], off offset:96
	v_cmpx_lt_u32_e32 5, v169
	s_cbranch_execz .LBB124_381
; %bb.380:
	scratch_load_b128 v[1:4], v224, off
	v_mov_b32_e32 v5, 0
	s_delay_alu instid0(VALU_DEP_1)
	v_mov_b32_e32 v6, v5
	v_mov_b32_e32 v7, v5
	;; [unrolled: 1-line block ×3, first 2 shown]
	scratch_store_b128 off, v[5:8], off offset:80
	s_waitcnt vmcnt(0)
	ds_store_b128 v229, v[1:4]
.LBB124_381:
	s_or_b32 exec_lo, exec_lo, s2
	s_waitcnt lgkmcnt(0)
	s_waitcnt_vscnt null, 0x0
	s_barrier
	buffer_gl0_inv
	s_clause 0x7
	scratch_load_b128 v[2:5], off, off offset:96
	scratch_load_b128 v[6:9], off, off offset:112
	;; [unrolled: 1-line block ×8, first 2 shown]
	v_mov_b32_e32 v1, 0
	s_mov_b32 s2, exec_lo
	ds_load_b128 v[38:41], v1 offset:1072
	s_clause 0x1
	scratch_load_b128 v[34:37], off, off offset:224
	scratch_load_b128 v[42:45], off, off offset:80
	ds_load_b128 v[57:60], v1 offset:1088
	scratch_load_b128 v[61:64], off, off offset:240
	s_waitcnt vmcnt(10) lgkmcnt(1)
	v_mul_f64 v[65:66], v[40:41], v[4:5]
	v_mul_f64 v[4:5], v[38:39], v[4:5]
	s_delay_alu instid0(VALU_DEP_2) | instskip(NEXT) | instid1(VALU_DEP_2)
	v_fma_f64 v[91:92], v[38:39], v[2:3], -v[65:66]
	v_fma_f64 v[170:171], v[40:41], v[2:3], v[4:5]
	scratch_load_b128 v[38:41], off, off offset:256
	ds_load_b128 v[2:5], v1 offset:1104
	s_waitcnt vmcnt(10) lgkmcnt(1)
	v_mul_f64 v[69:70], v[57:58], v[8:9]
	v_mul_f64 v[8:9], v[59:60], v[8:9]
	ds_load_b128 v[65:68], v1 offset:1120
	s_waitcnt vmcnt(9) lgkmcnt(1)
	v_mul_f64 v[172:173], v[2:3], v[12:13]
	v_mul_f64 v[12:13], v[4:5], v[12:13]
	v_fma_f64 v[59:60], v[59:60], v[6:7], v[69:70]
	v_fma_f64 v[57:58], v[57:58], v[6:7], -v[8:9]
	v_add_f64 v[69:70], v[91:92], 0
	v_add_f64 v[91:92], v[170:171], 0
	scratch_load_b128 v[6:9], off, off offset:272
	v_fma_f64 v[172:173], v[4:5], v[10:11], v[172:173]
	v_fma_f64 v[174:175], v[2:3], v[10:11], -v[12:13]
	scratch_load_b128 v[10:13], off, off offset:288
	ds_load_b128 v[2:5], v1 offset:1136
	s_waitcnt vmcnt(10) lgkmcnt(1)
	v_mul_f64 v[170:171], v[65:66], v[16:17]
	v_mul_f64 v[16:17], v[67:68], v[16:17]
	v_add_f64 v[69:70], v[69:70], v[57:58]
	v_add_f64 v[91:92], v[91:92], v[59:60]
	s_waitcnt vmcnt(9) lgkmcnt(0)
	v_mul_f64 v[176:177], v[2:3], v[20:21]
	v_mul_f64 v[20:21], v[4:5], v[20:21]
	ds_load_b128 v[57:60], v1 offset:1152
	v_fma_f64 v[67:68], v[67:68], v[14:15], v[170:171]
	v_fma_f64 v[65:66], v[65:66], v[14:15], -v[16:17]
	scratch_load_b128 v[14:17], off, off offset:304
	v_add_f64 v[69:70], v[69:70], v[174:175]
	v_add_f64 v[91:92], v[91:92], v[172:173]
	v_fma_f64 v[172:173], v[4:5], v[18:19], v[176:177]
	v_fma_f64 v[174:175], v[2:3], v[18:19], -v[20:21]
	scratch_load_b128 v[18:21], off, off offset:320
	ds_load_b128 v[2:5], v1 offset:1168
	s_waitcnt vmcnt(10) lgkmcnt(1)
	v_mul_f64 v[170:171], v[57:58], v[24:25]
	v_mul_f64 v[24:25], v[59:60], v[24:25]
	s_waitcnt vmcnt(9) lgkmcnt(0)
	v_mul_f64 v[176:177], v[2:3], v[28:29]
	v_mul_f64 v[28:29], v[4:5], v[28:29]
	v_add_f64 v[69:70], v[69:70], v[65:66]
	v_add_f64 v[91:92], v[91:92], v[67:68]
	ds_load_b128 v[65:68], v1 offset:1184
	v_fma_f64 v[59:60], v[59:60], v[22:23], v[170:171]
	v_fma_f64 v[57:58], v[57:58], v[22:23], -v[24:25]
	scratch_load_b128 v[22:25], off, off offset:336
	v_add_f64 v[69:70], v[69:70], v[174:175]
	v_add_f64 v[91:92], v[91:92], v[172:173]
	v_fma_f64 v[172:173], v[4:5], v[26:27], v[176:177]
	v_fma_f64 v[174:175], v[2:3], v[26:27], -v[28:29]
	scratch_load_b128 v[26:29], off, off offset:352
	ds_load_b128 v[2:5], v1 offset:1200
	s_waitcnt vmcnt(10) lgkmcnt(1)
	v_mul_f64 v[170:171], v[65:66], v[32:33]
	v_mul_f64 v[32:33], v[67:68], v[32:33]
	s_waitcnt vmcnt(9) lgkmcnt(0)
	v_mul_f64 v[176:177], v[2:3], v[36:37]
	v_mul_f64 v[36:37], v[4:5], v[36:37]
	v_add_f64 v[69:70], v[69:70], v[57:58]
	v_add_f64 v[91:92], v[91:92], v[59:60]
	ds_load_b128 v[57:60], v1 offset:1216
	v_fma_f64 v[67:68], v[67:68], v[30:31], v[170:171]
	v_fma_f64 v[65:66], v[65:66], v[30:31], -v[32:33]
	scratch_load_b128 v[30:33], off, off offset:368
	v_add_f64 v[69:70], v[69:70], v[174:175]
	v_add_f64 v[91:92], v[91:92], v[172:173]
	v_fma_f64 v[174:175], v[4:5], v[34:35], v[176:177]
	v_fma_f64 v[176:177], v[2:3], v[34:35], -v[36:37]
	scratch_load_b128 v[34:37], off, off offset:384
	ds_load_b128 v[2:5], v1 offset:1232
	s_waitcnt vmcnt(9) lgkmcnt(1)
	v_mul_f64 v[170:171], v[57:58], v[63:64]
	v_mul_f64 v[172:173], v[59:60], v[63:64]
	v_add_f64 v[69:70], v[69:70], v[65:66]
	v_add_f64 v[67:68], v[91:92], v[67:68]
	ds_load_b128 v[63:66], v1 offset:1248
	v_fma_f64 v[170:171], v[59:60], v[61:62], v[170:171]
	v_fma_f64 v[61:62], v[57:58], v[61:62], -v[172:173]
	scratch_load_b128 v[57:60], off, off offset:400
	s_waitcnt vmcnt(9) lgkmcnt(1)
	v_mul_f64 v[91:92], v[2:3], v[40:41]
	v_mul_f64 v[40:41], v[4:5], v[40:41]
	v_add_f64 v[69:70], v[69:70], v[176:177]
	v_add_f64 v[67:68], v[67:68], v[174:175]
	s_delay_alu instid0(VALU_DEP_4) | instskip(NEXT) | instid1(VALU_DEP_4)
	v_fma_f64 v[91:92], v[4:5], v[38:39], v[91:92]
	v_fma_f64 v[174:175], v[2:3], v[38:39], -v[40:41]
	scratch_load_b128 v[38:41], off, off offset:416
	ds_load_b128 v[2:5], v1 offset:1264
	s_waitcnt vmcnt(9) lgkmcnt(1)
	v_mul_f64 v[172:173], v[63:64], v[8:9]
	v_mul_f64 v[8:9], v[65:66], v[8:9]
	s_waitcnt vmcnt(8) lgkmcnt(0)
	v_mul_f64 v[176:177], v[2:3], v[12:13]
	v_mul_f64 v[12:13], v[4:5], v[12:13]
	v_add_f64 v[61:62], v[69:70], v[61:62]
	v_add_f64 v[170:171], v[67:68], v[170:171]
	ds_load_b128 v[67:70], v1 offset:1280
	v_fma_f64 v[65:66], v[65:66], v[6:7], v[172:173]
	v_fma_f64 v[63:64], v[63:64], v[6:7], -v[8:9]
	scratch_load_b128 v[6:9], off, off offset:432
	v_fma_f64 v[172:173], v[4:5], v[10:11], v[176:177]
	v_add_f64 v[61:62], v[61:62], v[174:175]
	v_add_f64 v[91:92], v[170:171], v[91:92]
	v_fma_f64 v[174:175], v[2:3], v[10:11], -v[12:13]
	scratch_load_b128 v[10:13], off, off offset:448
	ds_load_b128 v[2:5], v1 offset:1296
	s_waitcnt vmcnt(9) lgkmcnt(1)
	v_mul_f64 v[170:171], v[67:68], v[16:17]
	v_mul_f64 v[16:17], v[69:70], v[16:17]
	v_add_f64 v[176:177], v[61:62], v[63:64]
	v_add_f64 v[65:66], v[91:92], v[65:66]
	s_waitcnt vmcnt(8) lgkmcnt(0)
	v_mul_f64 v[91:92], v[2:3], v[20:21]
	v_mul_f64 v[20:21], v[4:5], v[20:21]
	ds_load_b128 v[61:64], v1 offset:1312
	v_fma_f64 v[69:70], v[69:70], v[14:15], v[170:171]
	v_fma_f64 v[67:68], v[67:68], v[14:15], -v[16:17]
	scratch_load_b128 v[14:17], off, off offset:464
	v_add_f64 v[170:171], v[176:177], v[174:175]
	v_add_f64 v[65:66], v[65:66], v[172:173]
	v_fma_f64 v[91:92], v[4:5], v[18:19], v[91:92]
	v_fma_f64 v[174:175], v[2:3], v[18:19], -v[20:21]
	scratch_load_b128 v[18:21], off, off offset:480
	ds_load_b128 v[2:5], v1 offset:1328
	s_waitcnt vmcnt(9) lgkmcnt(1)
	v_mul_f64 v[172:173], v[61:62], v[24:25]
	v_mul_f64 v[24:25], v[63:64], v[24:25]
	s_waitcnt vmcnt(8) lgkmcnt(0)
	v_mul_f64 v[176:177], v[2:3], v[28:29]
	v_mul_f64 v[28:29], v[4:5], v[28:29]
	v_add_f64 v[170:171], v[170:171], v[67:68]
	v_add_f64 v[69:70], v[65:66], v[69:70]
	ds_load_b128 v[65:68], v1 offset:1344
	v_fma_f64 v[63:64], v[63:64], v[22:23], v[172:173]
	v_fma_f64 v[61:62], v[61:62], v[22:23], -v[24:25]
	scratch_load_b128 v[22:25], off, off offset:496
	v_fma_f64 v[172:173], v[4:5], v[26:27], v[176:177]
	v_add_f64 v[170:171], v[170:171], v[174:175]
	v_add_f64 v[69:70], v[69:70], v[91:92]
	v_fma_f64 v[174:175], v[2:3], v[26:27], -v[28:29]
	scratch_load_b128 v[26:29], off, off offset:512
	ds_load_b128 v[2:5], v1 offset:1360
	s_waitcnt vmcnt(9) lgkmcnt(1)
	v_mul_f64 v[91:92], v[65:66], v[32:33]
	v_mul_f64 v[32:33], v[67:68], v[32:33]
	s_waitcnt vmcnt(8) lgkmcnt(0)
	v_mul_f64 v[176:177], v[2:3], v[36:37]
	v_mul_f64 v[36:37], v[4:5], v[36:37]
	v_add_f64 v[170:171], v[170:171], v[61:62]
	v_add_f64 v[69:70], v[69:70], v[63:64]
	ds_load_b128 v[61:64], v1 offset:1376
	v_fma_f64 v[67:68], v[67:68], v[30:31], v[91:92]
	v_fma_f64 v[65:66], v[65:66], v[30:31], -v[32:33]
	scratch_load_b128 v[30:33], off, off offset:528
	v_add_f64 v[91:92], v[170:171], v[174:175]
	v_add_f64 v[69:70], v[69:70], v[172:173]
	v_fma_f64 v[172:173], v[4:5], v[34:35], v[176:177]
	v_fma_f64 v[174:175], v[2:3], v[34:35], -v[36:37]
	scratch_load_b128 v[34:37], off, off offset:544
	ds_load_b128 v[2:5], v1 offset:1392
	s_waitcnt vmcnt(9) lgkmcnt(1)
	v_mul_f64 v[170:171], v[61:62], v[59:60]
	v_mul_f64 v[59:60], v[63:64], v[59:60]
	s_waitcnt vmcnt(8) lgkmcnt(0)
	v_mul_f64 v[176:177], v[2:3], v[40:41]
	v_mul_f64 v[40:41], v[4:5], v[40:41]
	v_add_f64 v[91:92], v[91:92], v[65:66]
	v_add_f64 v[69:70], v[69:70], v[67:68]
	ds_load_b128 v[65:68], v1 offset:1408
	v_fma_f64 v[63:64], v[63:64], v[57:58], v[170:171]
	v_fma_f64 v[61:62], v[61:62], v[57:58], -v[59:60]
	scratch_load_b128 v[57:60], off, off offset:560
	v_add_f64 v[91:92], v[91:92], v[174:175]
	v_add_f64 v[69:70], v[69:70], v[172:173]
	v_fma_f64 v[172:173], v[4:5], v[38:39], v[176:177]
	;; [unrolled: 18-line block ×6, first 2 shown]
	v_fma_f64 v[176:177], v[2:3], v[34:35], -v[36:37]
	scratch_load_b128 v[34:37], off, off offset:704
	ds_load_b128 v[2:5], v1 offset:1552
	s_waitcnt vmcnt(9) lgkmcnt(1)
	v_mul_f64 v[170:171], v[65:66], v[59:60]
	v_mul_f64 v[172:173], v[67:68], v[59:60]
	v_add_f64 v[91:92], v[91:92], v[61:62]
	v_add_f64 v[63:64], v[69:70], v[63:64]
	s_waitcnt vmcnt(8) lgkmcnt(0)
	v_mul_f64 v[69:70], v[2:3], v[40:41]
	v_mul_f64 v[40:41], v[4:5], v[40:41]
	ds_load_b128 v[59:62], v1 offset:1568
	v_fma_f64 v[67:68], v[67:68], v[57:58], v[170:171]
	v_fma_f64 v[57:58], v[65:66], v[57:58], -v[172:173]
	v_add_f64 v[91:92], v[91:92], v[176:177]
	v_add_f64 v[170:171], v[63:64], v[174:175]
	scratch_load_b128 v[63:66], off, off offset:720
	v_fma_f64 v[174:175], v[4:5], v[38:39], v[69:70]
	v_fma_f64 v[176:177], v[2:3], v[38:39], -v[40:41]
	scratch_load_b128 v[38:41], off, off offset:736
	ds_load_b128 v[2:5], v1 offset:1584
	s_waitcnt vmcnt(9) lgkmcnt(1)
	v_mul_f64 v[172:173], v[59:60], v[8:9]
	v_mul_f64 v[8:9], v[61:62], v[8:9]
	v_add_f64 v[57:58], v[91:92], v[57:58]
	v_add_f64 v[91:92], v[170:171], v[67:68]
	s_waitcnt vmcnt(8) lgkmcnt(0)
	v_mul_f64 v[170:171], v[2:3], v[12:13]
	v_mul_f64 v[12:13], v[4:5], v[12:13]
	ds_load_b128 v[67:70], v1 offset:1600
	v_fma_f64 v[61:62], v[61:62], v[6:7], v[172:173]
	v_fma_f64 v[59:60], v[59:60], v[6:7], -v[8:9]
	scratch_load_b128 v[6:9], off, off offset:752
	v_add_f64 v[57:58], v[57:58], v[176:177]
	v_add_f64 v[91:92], v[91:92], v[174:175]
	v_fma_f64 v[170:171], v[4:5], v[10:11], v[170:171]
	v_fma_f64 v[174:175], v[2:3], v[10:11], -v[12:13]
	scratch_load_b128 v[10:13], off, off offset:768
	ds_load_b128 v[2:5], v1 offset:1616
	s_waitcnt vmcnt(9) lgkmcnt(1)
	v_mul_f64 v[172:173], v[67:68], v[16:17]
	v_mul_f64 v[16:17], v[69:70], v[16:17]
	v_add_f64 v[176:177], v[57:58], v[59:60]
	v_add_f64 v[61:62], v[91:92], v[61:62]
	s_waitcnt vmcnt(8) lgkmcnt(0)
	v_mul_f64 v[91:92], v[2:3], v[20:21]
	v_mul_f64 v[20:21], v[4:5], v[20:21]
	ds_load_b128 v[57:60], v1 offset:1632
	v_fma_f64 v[69:70], v[69:70], v[14:15], v[172:173]
	v_fma_f64 v[67:68], v[67:68], v[14:15], -v[16:17]
	scratch_load_b128 v[14:17], off, off offset:784
	v_add_f64 v[172:173], v[176:177], v[174:175]
	v_add_f64 v[61:62], v[61:62], v[170:171]
	v_fma_f64 v[91:92], v[4:5], v[18:19], v[91:92]
	v_fma_f64 v[174:175], v[2:3], v[18:19], -v[20:21]
	scratch_load_b128 v[18:21], off, off offset:800
	ds_load_b128 v[2:5], v1 offset:1648
	s_waitcnt vmcnt(9) lgkmcnt(1)
	v_mul_f64 v[170:171], v[57:58], v[24:25]
	v_mul_f64 v[24:25], v[59:60], v[24:25]
	s_waitcnt vmcnt(8) lgkmcnt(0)
	v_mul_f64 v[176:177], v[2:3], v[28:29]
	v_mul_f64 v[28:29], v[4:5], v[28:29]
	v_add_f64 v[172:173], v[172:173], v[67:68]
	v_add_f64 v[61:62], v[61:62], v[69:70]
	ds_load_b128 v[67:70], v1 offset:1664
	v_fma_f64 v[59:60], v[59:60], v[22:23], v[170:171]
	v_fma_f64 v[57:58], v[57:58], v[22:23], -v[24:25]
	scratch_load_b128 v[22:25], off, off offset:816
	v_add_f64 v[170:171], v[172:173], v[174:175]
	v_add_f64 v[61:62], v[61:62], v[91:92]
	v_fma_f64 v[172:173], v[4:5], v[26:27], v[176:177]
	v_fma_f64 v[174:175], v[2:3], v[26:27], -v[28:29]
	scratch_load_b128 v[26:29], off, off offset:832
	ds_load_b128 v[2:5], v1 offset:1680
	s_waitcnt vmcnt(9) lgkmcnt(1)
	v_mul_f64 v[91:92], v[67:68], v[32:33]
	v_mul_f64 v[32:33], v[69:70], v[32:33]
	s_waitcnt vmcnt(8) lgkmcnt(0)
	v_mul_f64 v[176:177], v[2:3], v[36:37]
	v_mul_f64 v[36:37], v[4:5], v[36:37]
	v_add_f64 v[170:171], v[170:171], v[57:58]
	v_add_f64 v[61:62], v[61:62], v[59:60]
	ds_load_b128 v[57:60], v1 offset:1696
	v_fma_f64 v[69:70], v[69:70], v[30:31], v[91:92]
	v_fma_f64 v[67:68], v[67:68], v[30:31], -v[32:33]
	scratch_load_b128 v[30:33], off, off offset:848
	v_add_f64 v[91:92], v[170:171], v[174:175]
	v_add_f64 v[61:62], v[61:62], v[172:173]
	v_fma_f64 v[174:175], v[4:5], v[34:35], v[176:177]
	v_fma_f64 v[176:177], v[2:3], v[34:35], -v[36:37]
	scratch_load_b128 v[34:37], off, off offset:864
	ds_load_b128 v[2:5], v1 offset:1712
	s_waitcnt vmcnt(9) lgkmcnt(1)
	v_mul_f64 v[170:171], v[57:58], v[65:66]
	v_mul_f64 v[172:173], v[59:60], v[65:66]
	v_add_f64 v[91:92], v[91:92], v[67:68]
	v_add_f64 v[61:62], v[61:62], v[69:70]
	s_waitcnt vmcnt(8) lgkmcnt(0)
	v_mul_f64 v[69:70], v[2:3], v[40:41]
	v_mul_f64 v[40:41], v[4:5], v[40:41]
	ds_load_b128 v[65:68], v1 offset:1728
	v_fma_f64 v[170:171], v[59:60], v[63:64], v[170:171]
	v_fma_f64 v[63:64], v[57:58], v[63:64], -v[172:173]
	scratch_load_b128 v[57:60], off, off offset:880
	v_add_f64 v[91:92], v[91:92], v[176:177]
	v_add_f64 v[61:62], v[61:62], v[174:175]
	v_fma_f64 v[69:70], v[4:5], v[38:39], v[69:70]
	v_fma_f64 v[174:175], v[2:3], v[38:39], -v[40:41]
	scratch_load_b128 v[38:41], off, off offset:896
	ds_load_b128 v[2:5], v1 offset:1744
	s_waitcnt vmcnt(9) lgkmcnt(1)
	v_mul_f64 v[172:173], v[65:66], v[8:9]
	v_mul_f64 v[8:9], v[67:68], v[8:9]
	s_waitcnt vmcnt(8) lgkmcnt(0)
	v_mul_f64 v[176:177], v[2:3], v[12:13]
	v_mul_f64 v[12:13], v[4:5], v[12:13]
	v_add_f64 v[91:92], v[91:92], v[63:64]
	v_add_f64 v[170:171], v[61:62], v[170:171]
	ds_load_b128 v[61:64], v1 offset:1760
	v_fma_f64 v[67:68], v[67:68], v[6:7], v[172:173]
	v_fma_f64 v[65:66], v[65:66], v[6:7], -v[8:9]
	scratch_load_b128 v[6:9], off, off offset:912
	v_fma_f64 v[172:173], v[4:5], v[10:11], v[176:177]
	v_add_f64 v[91:92], v[91:92], v[174:175]
	v_add_f64 v[69:70], v[170:171], v[69:70]
	v_fma_f64 v[174:175], v[2:3], v[10:11], -v[12:13]
	scratch_load_b128 v[10:13], off, off offset:928
	ds_load_b128 v[2:5], v1 offset:1776
	s_waitcnt vmcnt(9) lgkmcnt(1)
	v_mul_f64 v[170:171], v[61:62], v[16:17]
	v_mul_f64 v[16:17], v[63:64], v[16:17]
	s_waitcnt vmcnt(8) lgkmcnt(0)
	v_mul_f64 v[176:177], v[2:3], v[20:21]
	v_mul_f64 v[20:21], v[4:5], v[20:21]
	v_add_f64 v[91:92], v[91:92], v[65:66]
	v_add_f64 v[69:70], v[69:70], v[67:68]
	ds_load_b128 v[65:68], v1 offset:1792
	v_fma_f64 v[63:64], v[63:64], v[14:15], v[170:171]
	v_fma_f64 v[61:62], v[61:62], v[14:15], -v[16:17]
	scratch_load_b128 v[14:17], off, off offset:944
	v_add_f64 v[91:92], v[91:92], v[174:175]
	v_add_f64 v[69:70], v[69:70], v[172:173]
	v_fma_f64 v[172:173], v[4:5], v[18:19], v[176:177]
	v_fma_f64 v[174:175], v[2:3], v[18:19], -v[20:21]
	scratch_load_b128 v[18:21], off, off offset:960
	ds_load_b128 v[2:5], v1 offset:1808
	s_waitcnt vmcnt(9) lgkmcnt(1)
	v_mul_f64 v[170:171], v[65:66], v[24:25]
	v_mul_f64 v[24:25], v[67:68], v[24:25]
	s_waitcnt vmcnt(8) lgkmcnt(0)
	v_mul_f64 v[176:177], v[2:3], v[28:29]
	v_mul_f64 v[28:29], v[4:5], v[28:29]
	v_add_f64 v[91:92], v[91:92], v[61:62]
	v_add_f64 v[69:70], v[69:70], v[63:64]
	ds_load_b128 v[61:64], v1 offset:1824
	v_fma_f64 v[67:68], v[67:68], v[22:23], v[170:171]
	v_fma_f64 v[22:23], v[65:66], v[22:23], -v[24:25]
	v_add_f64 v[24:25], v[91:92], v[174:175]
	v_add_f64 v[65:66], v[69:70], v[172:173]
	s_waitcnt vmcnt(7) lgkmcnt(0)
	v_mul_f64 v[69:70], v[61:62], v[32:33]
	v_mul_f64 v[32:33], v[63:64], v[32:33]
	v_fma_f64 v[91:92], v[4:5], v[26:27], v[176:177]
	v_fma_f64 v[26:27], v[2:3], v[26:27], -v[28:29]
	v_add_f64 v[28:29], v[24:25], v[22:23]
	v_add_f64 v[65:66], v[65:66], v[67:68]
	ds_load_b128 v[2:5], v1 offset:1840
	ds_load_b128 v[22:25], v1 offset:1856
	v_fma_f64 v[63:64], v[63:64], v[30:31], v[69:70]
	v_fma_f64 v[30:31], v[61:62], v[30:31], -v[32:33]
	s_waitcnt vmcnt(6) lgkmcnt(1)
	v_mul_f64 v[67:68], v[2:3], v[36:37]
	v_mul_f64 v[36:37], v[4:5], v[36:37]
	s_waitcnt vmcnt(5) lgkmcnt(0)
	v_mul_f64 v[32:33], v[22:23], v[59:60]
	v_mul_f64 v[59:60], v[24:25], v[59:60]
	v_add_f64 v[26:27], v[28:29], v[26:27]
	v_add_f64 v[28:29], v[65:66], v[91:92]
	v_fma_f64 v[61:62], v[4:5], v[34:35], v[67:68]
	v_fma_f64 v[34:35], v[2:3], v[34:35], -v[36:37]
	v_fma_f64 v[24:25], v[24:25], v[57:58], v[32:33]
	v_fma_f64 v[22:23], v[22:23], v[57:58], -v[59:60]
	v_add_f64 v[30:31], v[26:27], v[30:31]
	v_add_f64 v[36:37], v[28:29], v[63:64]
	ds_load_b128 v[2:5], v1 offset:1872
	ds_load_b128 v[26:29], v1 offset:1888
	s_waitcnt vmcnt(4) lgkmcnt(1)
	v_mul_f64 v[63:64], v[2:3], v[40:41]
	v_mul_f64 v[40:41], v[4:5], v[40:41]
	v_add_f64 v[30:31], v[30:31], v[34:35]
	v_add_f64 v[32:33], v[36:37], v[61:62]
	s_waitcnt vmcnt(3) lgkmcnt(0)
	v_mul_f64 v[34:35], v[26:27], v[8:9]
	v_mul_f64 v[8:9], v[28:29], v[8:9]
	v_fma_f64 v[36:37], v[4:5], v[38:39], v[63:64]
	v_fma_f64 v[38:39], v[2:3], v[38:39], -v[40:41]
	v_add_f64 v[30:31], v[30:31], v[22:23]
	v_add_f64 v[32:33], v[32:33], v[24:25]
	ds_load_b128 v[2:5], v1 offset:1904
	ds_load_b128 v[22:25], v1 offset:1920
	v_fma_f64 v[28:29], v[28:29], v[6:7], v[34:35]
	v_fma_f64 v[6:7], v[26:27], v[6:7], -v[8:9]
	s_waitcnt vmcnt(2) lgkmcnt(1)
	v_mul_f64 v[40:41], v[2:3], v[12:13]
	v_mul_f64 v[12:13], v[4:5], v[12:13]
	v_add_f64 v[8:9], v[30:31], v[38:39]
	v_add_f64 v[26:27], v[32:33], v[36:37]
	s_waitcnt vmcnt(1) lgkmcnt(0)
	v_mul_f64 v[30:31], v[22:23], v[16:17]
	v_mul_f64 v[16:17], v[24:25], v[16:17]
	v_fma_f64 v[32:33], v[4:5], v[10:11], v[40:41]
	v_fma_f64 v[10:11], v[2:3], v[10:11], -v[12:13]
	ds_load_b128 v[2:5], v1 offset:1936
	v_add_f64 v[6:7], v[8:9], v[6:7]
	v_add_f64 v[8:9], v[26:27], v[28:29]
	v_fma_f64 v[24:25], v[24:25], v[14:15], v[30:31]
	v_fma_f64 v[14:15], v[22:23], v[14:15], -v[16:17]
	s_waitcnt vmcnt(0) lgkmcnt(0)
	v_mul_f64 v[12:13], v[2:3], v[20:21]
	v_mul_f64 v[20:21], v[4:5], v[20:21]
	v_add_f64 v[6:7], v[6:7], v[10:11]
	v_add_f64 v[8:9], v[8:9], v[32:33]
	s_delay_alu instid0(VALU_DEP_4) | instskip(NEXT) | instid1(VALU_DEP_4)
	v_fma_f64 v[4:5], v[4:5], v[18:19], v[12:13]
	v_fma_f64 v[2:3], v[2:3], v[18:19], -v[20:21]
	s_delay_alu instid0(VALU_DEP_4) | instskip(NEXT) | instid1(VALU_DEP_4)
	v_add_f64 v[6:7], v[6:7], v[14:15]
	v_add_f64 v[8:9], v[8:9], v[24:25]
	s_delay_alu instid0(VALU_DEP_2) | instskip(NEXT) | instid1(VALU_DEP_2)
	v_add_f64 v[2:3], v[6:7], v[2:3]
	v_add_f64 v[4:5], v[8:9], v[4:5]
	s_delay_alu instid0(VALU_DEP_2) | instskip(NEXT) | instid1(VALU_DEP_2)
	v_add_f64 v[2:3], v[42:43], -v[2:3]
	v_add_f64 v[4:5], v[44:45], -v[4:5]
	scratch_store_b128 off, v[2:5], off offset:80
	v_cmpx_lt_u32_e32 4, v169
	s_cbranch_execz .LBB124_383
; %bb.382:
	scratch_load_b128 v[5:8], v225, off
	v_mov_b32_e32 v2, v1
	v_mov_b32_e32 v3, v1
	;; [unrolled: 1-line block ×3, first 2 shown]
	scratch_store_b128 off, v[1:4], off offset:64
	s_waitcnt vmcnt(0)
	ds_store_b128 v229, v[5:8]
.LBB124_383:
	s_or_b32 exec_lo, exec_lo, s2
	s_waitcnt lgkmcnt(0)
	s_waitcnt_vscnt null, 0x0
	s_barrier
	buffer_gl0_inv
	s_clause 0x8
	scratch_load_b128 v[2:5], off, off offset:80
	scratch_load_b128 v[6:9], off, off offset:96
	;; [unrolled: 1-line block ×9, first 2 shown]
	ds_load_b128 v[42:45], v1 offset:1056
	ds_load_b128 v[38:41], v1 offset:1072
	s_clause 0x1
	scratch_load_b128 v[57:60], off, off offset:64
	scratch_load_b128 v[61:64], off, off offset:224
	s_mov_b32 s2, exec_lo
	s_waitcnt vmcnt(10) lgkmcnt(1)
	v_mul_f64 v[65:66], v[44:45], v[4:5]
	v_mul_f64 v[4:5], v[42:43], v[4:5]
	s_waitcnt vmcnt(9) lgkmcnt(0)
	v_mul_f64 v[69:70], v[38:39], v[8:9]
	v_mul_f64 v[8:9], v[40:41], v[8:9]
	s_delay_alu instid0(VALU_DEP_4) | instskip(NEXT) | instid1(VALU_DEP_4)
	v_fma_f64 v[91:92], v[42:43], v[2:3], -v[65:66]
	v_fma_f64 v[170:171], v[44:45], v[2:3], v[4:5]
	ds_load_b128 v[2:5], v1 offset:1088
	ds_load_b128 v[65:68], v1 offset:1104
	scratch_load_b128 v[42:45], off, off offset:240
	v_fma_f64 v[40:41], v[40:41], v[6:7], v[69:70]
	v_fma_f64 v[38:39], v[38:39], v[6:7], -v[8:9]
	scratch_load_b128 v[6:9], off, off offset:256
	s_waitcnt vmcnt(10) lgkmcnt(1)
	v_mul_f64 v[172:173], v[2:3], v[12:13]
	v_mul_f64 v[12:13], v[4:5], v[12:13]
	v_add_f64 v[69:70], v[91:92], 0
	v_add_f64 v[91:92], v[170:171], 0
	s_waitcnt vmcnt(9) lgkmcnt(0)
	v_mul_f64 v[170:171], v[65:66], v[16:17]
	v_mul_f64 v[16:17], v[67:68], v[16:17]
	v_fma_f64 v[172:173], v[4:5], v[10:11], v[172:173]
	v_fma_f64 v[174:175], v[2:3], v[10:11], -v[12:13]
	ds_load_b128 v[2:5], v1 offset:1120
	scratch_load_b128 v[10:13], off, off offset:272
	v_add_f64 v[69:70], v[69:70], v[38:39]
	v_add_f64 v[91:92], v[91:92], v[40:41]
	ds_load_b128 v[38:41], v1 offset:1136
	v_fma_f64 v[67:68], v[67:68], v[14:15], v[170:171]
	v_fma_f64 v[65:66], v[65:66], v[14:15], -v[16:17]
	scratch_load_b128 v[14:17], off, off offset:288
	s_waitcnt vmcnt(10) lgkmcnt(1)
	v_mul_f64 v[176:177], v[2:3], v[20:21]
	v_mul_f64 v[20:21], v[4:5], v[20:21]
	s_waitcnt vmcnt(9) lgkmcnt(0)
	v_mul_f64 v[170:171], v[38:39], v[24:25]
	v_mul_f64 v[24:25], v[40:41], v[24:25]
	v_add_f64 v[69:70], v[69:70], v[174:175]
	v_add_f64 v[91:92], v[91:92], v[172:173]
	v_fma_f64 v[172:173], v[4:5], v[18:19], v[176:177]
	v_fma_f64 v[174:175], v[2:3], v[18:19], -v[20:21]
	ds_load_b128 v[2:5], v1 offset:1152
	scratch_load_b128 v[18:21], off, off offset:304
	v_fma_f64 v[40:41], v[40:41], v[22:23], v[170:171]
	v_fma_f64 v[38:39], v[38:39], v[22:23], -v[24:25]
	scratch_load_b128 v[22:25], off, off offset:320
	v_add_f64 v[69:70], v[69:70], v[65:66]
	v_add_f64 v[91:92], v[91:92], v[67:68]
	ds_load_b128 v[65:68], v1 offset:1168
	s_waitcnt vmcnt(10) lgkmcnt(1)
	v_mul_f64 v[176:177], v[2:3], v[28:29]
	v_mul_f64 v[28:29], v[4:5], v[28:29]
	s_waitcnt vmcnt(9) lgkmcnt(0)
	v_mul_f64 v[170:171], v[65:66], v[32:33]
	v_mul_f64 v[32:33], v[67:68], v[32:33]
	v_add_f64 v[69:70], v[69:70], v[174:175]
	v_add_f64 v[91:92], v[91:92], v[172:173]
	v_fma_f64 v[172:173], v[4:5], v[26:27], v[176:177]
	v_fma_f64 v[174:175], v[2:3], v[26:27], -v[28:29]
	ds_load_b128 v[2:5], v1 offset:1184
	scratch_load_b128 v[26:29], off, off offset:336
	v_fma_f64 v[67:68], v[67:68], v[30:31], v[170:171]
	v_fma_f64 v[65:66], v[65:66], v[30:31], -v[32:33]
	scratch_load_b128 v[30:33], off, off offset:352
	v_add_f64 v[69:70], v[69:70], v[38:39]
	v_add_f64 v[91:92], v[91:92], v[40:41]
	ds_load_b128 v[38:41], v1 offset:1200
	s_waitcnt vmcnt(10) lgkmcnt(1)
	v_mul_f64 v[176:177], v[2:3], v[36:37]
	v_mul_f64 v[36:37], v[4:5], v[36:37]
	s_waitcnt vmcnt(8) lgkmcnt(0)
	v_mul_f64 v[170:171], v[38:39], v[63:64]
	v_add_f64 v[69:70], v[69:70], v[174:175]
	v_add_f64 v[91:92], v[91:92], v[172:173]
	v_mul_f64 v[172:173], v[40:41], v[63:64]
	v_fma_f64 v[174:175], v[4:5], v[34:35], v[176:177]
	v_fma_f64 v[176:177], v[2:3], v[34:35], -v[36:37]
	ds_load_b128 v[2:5], v1 offset:1216
	scratch_load_b128 v[34:37], off, off offset:368
	v_fma_f64 v[170:171], v[40:41], v[61:62], v[170:171]
	v_add_f64 v[69:70], v[69:70], v[65:66]
	v_add_f64 v[67:68], v[91:92], v[67:68]
	ds_load_b128 v[63:66], v1 offset:1232
	v_fma_f64 v[61:62], v[38:39], v[61:62], -v[172:173]
	scratch_load_b128 v[38:41], off, off offset:384
	s_waitcnt vmcnt(9) lgkmcnt(1)
	v_mul_f64 v[91:92], v[2:3], v[44:45]
	v_mul_f64 v[44:45], v[4:5], v[44:45]
	s_waitcnt vmcnt(8) lgkmcnt(0)
	v_mul_f64 v[172:173], v[63:64], v[8:9]
	v_mul_f64 v[8:9], v[65:66], v[8:9]
	v_add_f64 v[69:70], v[69:70], v[176:177]
	v_add_f64 v[67:68], v[67:68], v[174:175]
	v_fma_f64 v[91:92], v[4:5], v[42:43], v[91:92]
	v_fma_f64 v[174:175], v[2:3], v[42:43], -v[44:45]
	ds_load_b128 v[2:5], v1 offset:1248
	scratch_load_b128 v[42:45], off, off offset:400
	v_fma_f64 v[65:66], v[65:66], v[6:7], v[172:173]
	v_fma_f64 v[63:64], v[63:64], v[6:7], -v[8:9]
	scratch_load_b128 v[6:9], off, off offset:416
	v_add_f64 v[61:62], v[69:70], v[61:62]
	v_add_f64 v[170:171], v[67:68], v[170:171]
	ds_load_b128 v[67:70], v1 offset:1264
	s_waitcnt vmcnt(9) lgkmcnt(1)
	v_mul_f64 v[176:177], v[2:3], v[12:13]
	v_mul_f64 v[12:13], v[4:5], v[12:13]
	v_add_f64 v[61:62], v[61:62], v[174:175]
	v_add_f64 v[91:92], v[170:171], v[91:92]
	s_waitcnt vmcnt(8) lgkmcnt(0)
	v_mul_f64 v[170:171], v[67:68], v[16:17]
	v_mul_f64 v[16:17], v[69:70], v[16:17]
	v_fma_f64 v[172:173], v[4:5], v[10:11], v[176:177]
	v_fma_f64 v[174:175], v[2:3], v[10:11], -v[12:13]
	ds_load_b128 v[2:5], v1 offset:1280
	scratch_load_b128 v[10:13], off, off offset:432
	v_add_f64 v[176:177], v[61:62], v[63:64]
	v_add_f64 v[65:66], v[91:92], v[65:66]
	ds_load_b128 v[61:64], v1 offset:1296
	s_waitcnt vmcnt(8) lgkmcnt(1)
	v_mul_f64 v[91:92], v[2:3], v[20:21]
	v_mul_f64 v[20:21], v[4:5], v[20:21]
	v_fma_f64 v[69:70], v[69:70], v[14:15], v[170:171]
	v_fma_f64 v[67:68], v[67:68], v[14:15], -v[16:17]
	scratch_load_b128 v[14:17], off, off offset:448
	v_add_f64 v[170:171], v[176:177], v[174:175]
	v_add_f64 v[65:66], v[65:66], v[172:173]
	s_waitcnt vmcnt(8) lgkmcnt(0)
	v_mul_f64 v[172:173], v[61:62], v[24:25]
	v_mul_f64 v[24:25], v[63:64], v[24:25]
	v_fma_f64 v[91:92], v[4:5], v[18:19], v[91:92]
	v_fma_f64 v[174:175], v[2:3], v[18:19], -v[20:21]
	ds_load_b128 v[2:5], v1 offset:1312
	scratch_load_b128 v[18:21], off, off offset:464
	v_add_f64 v[170:171], v[170:171], v[67:68]
	v_add_f64 v[69:70], v[65:66], v[69:70]
	ds_load_b128 v[65:68], v1 offset:1328
	s_waitcnt vmcnt(8) lgkmcnt(1)
	v_mul_f64 v[176:177], v[2:3], v[28:29]
	v_mul_f64 v[28:29], v[4:5], v[28:29]
	v_fma_f64 v[63:64], v[63:64], v[22:23], v[172:173]
	v_fma_f64 v[61:62], v[61:62], v[22:23], -v[24:25]
	scratch_load_b128 v[22:25], off, off offset:480
	;; [unrolled: 18-line block ×4, first 2 shown]
	s_waitcnt vmcnt(8) lgkmcnt(0)
	v_mul_f64 v[170:171], v[65:66], v[8:9]
	v_mul_f64 v[8:9], v[67:68], v[8:9]
	v_add_f64 v[91:92], v[91:92], v[174:175]
	v_add_f64 v[69:70], v[69:70], v[172:173]
	v_fma_f64 v[172:173], v[4:5], v[42:43], v[176:177]
	v_fma_f64 v[174:175], v[2:3], v[42:43], -v[44:45]
	ds_load_b128 v[2:5], v1 offset:1408
	scratch_load_b128 v[42:45], off, off offset:560
	v_fma_f64 v[67:68], v[67:68], v[6:7], v[170:171]
	v_fma_f64 v[65:66], v[65:66], v[6:7], -v[8:9]
	scratch_load_b128 v[6:9], off, off offset:576
	v_add_f64 v[91:92], v[91:92], v[61:62]
	v_add_f64 v[69:70], v[69:70], v[63:64]
	ds_load_b128 v[61:64], v1 offset:1424
	s_waitcnt vmcnt(9) lgkmcnt(1)
	v_mul_f64 v[176:177], v[2:3], v[12:13]
	v_mul_f64 v[12:13], v[4:5], v[12:13]
	s_waitcnt vmcnt(8) lgkmcnt(0)
	v_mul_f64 v[170:171], v[61:62], v[16:17]
	v_mul_f64 v[16:17], v[63:64], v[16:17]
	v_add_f64 v[91:92], v[91:92], v[174:175]
	v_add_f64 v[69:70], v[69:70], v[172:173]
	v_fma_f64 v[172:173], v[4:5], v[10:11], v[176:177]
	v_fma_f64 v[174:175], v[2:3], v[10:11], -v[12:13]
	ds_load_b128 v[2:5], v1 offset:1440
	scratch_load_b128 v[10:13], off, off offset:592
	v_fma_f64 v[63:64], v[63:64], v[14:15], v[170:171]
	v_fma_f64 v[61:62], v[61:62], v[14:15], -v[16:17]
	scratch_load_b128 v[14:17], off, off offset:608
	v_add_f64 v[91:92], v[91:92], v[65:66]
	v_add_f64 v[69:70], v[69:70], v[67:68]
	ds_load_b128 v[65:68], v1 offset:1456
	s_waitcnt vmcnt(9) lgkmcnt(1)
	v_mul_f64 v[176:177], v[2:3], v[20:21]
	v_mul_f64 v[20:21], v[4:5], v[20:21]
	;; [unrolled: 18-line block ×13, first 2 shown]
	s_waitcnt vmcnt(8) lgkmcnt(0)
	v_mul_f64 v[170:171], v[61:62], v[32:33]
	v_mul_f64 v[32:33], v[63:64], v[32:33]
	v_add_f64 v[91:92], v[91:92], v[174:175]
	v_add_f64 v[69:70], v[69:70], v[172:173]
	v_fma_f64 v[172:173], v[4:5], v[26:27], v[176:177]
	v_fma_f64 v[174:175], v[2:3], v[26:27], -v[28:29]
	ds_load_b128 v[2:5], v1 offset:1824
	ds_load_b128 v[26:29], v1 offset:1840
	v_fma_f64 v[63:64], v[63:64], v[30:31], v[170:171]
	v_fma_f64 v[30:31], v[61:62], v[30:31], -v[32:33]
	v_add_f64 v[65:66], v[91:92], v[65:66]
	v_add_f64 v[67:68], v[69:70], v[67:68]
	s_waitcnt vmcnt(7) lgkmcnt(1)
	v_mul_f64 v[69:70], v[2:3], v[36:37]
	v_mul_f64 v[36:37], v[4:5], v[36:37]
	s_delay_alu instid0(VALU_DEP_4) | instskip(NEXT) | instid1(VALU_DEP_4)
	v_add_f64 v[32:33], v[65:66], v[174:175]
	v_add_f64 v[61:62], v[67:68], v[172:173]
	s_waitcnt vmcnt(6) lgkmcnt(0)
	v_mul_f64 v[65:66], v[26:27], v[40:41]
	v_mul_f64 v[40:41], v[28:29], v[40:41]
	v_fma_f64 v[67:68], v[4:5], v[34:35], v[69:70]
	v_fma_f64 v[34:35], v[2:3], v[34:35], -v[36:37]
	v_add_f64 v[36:37], v[32:33], v[30:31]
	v_add_f64 v[61:62], v[61:62], v[63:64]
	ds_load_b128 v[2:5], v1 offset:1856
	ds_load_b128 v[30:33], v1 offset:1872
	v_fma_f64 v[28:29], v[28:29], v[38:39], v[65:66]
	v_fma_f64 v[26:27], v[26:27], v[38:39], -v[40:41]
	s_waitcnt vmcnt(5) lgkmcnt(1)
	v_mul_f64 v[63:64], v[2:3], v[44:45]
	v_mul_f64 v[44:45], v[4:5], v[44:45]
	s_waitcnt vmcnt(4) lgkmcnt(0)
	v_mul_f64 v[38:39], v[30:31], v[8:9]
	v_mul_f64 v[8:9], v[32:33], v[8:9]
	v_add_f64 v[34:35], v[36:37], v[34:35]
	v_add_f64 v[36:37], v[61:62], v[67:68]
	v_fma_f64 v[40:41], v[4:5], v[42:43], v[63:64]
	v_fma_f64 v[42:43], v[2:3], v[42:43], -v[44:45]
	v_fma_f64 v[32:33], v[32:33], v[6:7], v[38:39]
	v_fma_f64 v[6:7], v[30:31], v[6:7], -v[8:9]
	v_add_f64 v[34:35], v[34:35], v[26:27]
	v_add_f64 v[36:37], v[36:37], v[28:29]
	ds_load_b128 v[2:5], v1 offset:1888
	ds_load_b128 v[26:29], v1 offset:1904
	s_waitcnt vmcnt(3) lgkmcnt(1)
	v_mul_f64 v[44:45], v[2:3], v[12:13]
	v_mul_f64 v[12:13], v[4:5], v[12:13]
	v_add_f64 v[8:9], v[34:35], v[42:43]
	v_add_f64 v[30:31], v[36:37], v[40:41]
	s_waitcnt vmcnt(2) lgkmcnt(0)
	v_mul_f64 v[34:35], v[26:27], v[16:17]
	v_mul_f64 v[16:17], v[28:29], v[16:17]
	v_fma_f64 v[36:37], v[4:5], v[10:11], v[44:45]
	v_fma_f64 v[10:11], v[2:3], v[10:11], -v[12:13]
	v_add_f64 v[12:13], v[8:9], v[6:7]
	v_add_f64 v[30:31], v[30:31], v[32:33]
	ds_load_b128 v[2:5], v1 offset:1920
	ds_load_b128 v[6:9], v1 offset:1936
	v_fma_f64 v[28:29], v[28:29], v[14:15], v[34:35]
	v_fma_f64 v[14:15], v[26:27], v[14:15], -v[16:17]
	s_waitcnt vmcnt(1) lgkmcnt(1)
	v_mul_f64 v[32:33], v[2:3], v[20:21]
	v_mul_f64 v[20:21], v[4:5], v[20:21]
	s_waitcnt vmcnt(0) lgkmcnt(0)
	v_mul_f64 v[16:17], v[6:7], v[24:25]
	v_mul_f64 v[24:25], v[8:9], v[24:25]
	v_add_f64 v[10:11], v[12:13], v[10:11]
	v_add_f64 v[12:13], v[30:31], v[36:37]
	v_fma_f64 v[4:5], v[4:5], v[18:19], v[32:33]
	v_fma_f64 v[1:2], v[2:3], v[18:19], -v[20:21]
	v_fma_f64 v[8:9], v[8:9], v[22:23], v[16:17]
	v_fma_f64 v[6:7], v[6:7], v[22:23], -v[24:25]
	v_add_f64 v[10:11], v[10:11], v[14:15]
	v_add_f64 v[12:13], v[12:13], v[28:29]
	s_delay_alu instid0(VALU_DEP_2) | instskip(NEXT) | instid1(VALU_DEP_2)
	v_add_f64 v[1:2], v[10:11], v[1:2]
	v_add_f64 v[3:4], v[12:13], v[4:5]
	s_delay_alu instid0(VALU_DEP_2) | instskip(NEXT) | instid1(VALU_DEP_2)
	;; [unrolled: 3-line block ×3, first 2 shown]
	v_add_f64 v[1:2], v[57:58], -v[1:2]
	v_add_f64 v[3:4], v[59:60], -v[3:4]
	scratch_store_b128 off, v[1:4], off offset:64
	v_cmpx_lt_u32_e32 3, v169
	s_cbranch_execz .LBB124_385
; %bb.384:
	scratch_load_b128 v[1:4], v230, off
	v_mov_b32_e32 v5, 0
	s_delay_alu instid0(VALU_DEP_1)
	v_mov_b32_e32 v6, v5
	v_mov_b32_e32 v7, v5
	;; [unrolled: 1-line block ×3, first 2 shown]
	scratch_store_b128 off, v[5:8], off offset:48
	s_waitcnt vmcnt(0)
	ds_store_b128 v229, v[1:4]
.LBB124_385:
	s_or_b32 exec_lo, exec_lo, s2
	s_waitcnt lgkmcnt(0)
	s_waitcnt_vscnt null, 0x0
	s_barrier
	buffer_gl0_inv
	s_clause 0x7
	scratch_load_b128 v[2:5], off, off offset:64
	scratch_load_b128 v[6:9], off, off offset:80
	;; [unrolled: 1-line block ×8, first 2 shown]
	v_mov_b32_e32 v1, 0
	s_mov_b32 s2, exec_lo
	ds_load_b128 v[38:41], v1 offset:1040
	s_clause 0x1
	scratch_load_b128 v[34:37], off, off offset:192
	scratch_load_b128 v[42:45], off, off offset:48
	ds_load_b128 v[57:60], v1 offset:1056
	scratch_load_b128 v[61:64], off, off offset:208
	s_waitcnt vmcnt(10) lgkmcnt(1)
	v_mul_f64 v[65:66], v[40:41], v[4:5]
	v_mul_f64 v[4:5], v[38:39], v[4:5]
	s_delay_alu instid0(VALU_DEP_2) | instskip(NEXT) | instid1(VALU_DEP_2)
	v_fma_f64 v[91:92], v[38:39], v[2:3], -v[65:66]
	v_fma_f64 v[170:171], v[40:41], v[2:3], v[4:5]
	scratch_load_b128 v[38:41], off, off offset:224
	ds_load_b128 v[2:5], v1 offset:1072
	s_waitcnt vmcnt(10) lgkmcnt(1)
	v_mul_f64 v[69:70], v[57:58], v[8:9]
	v_mul_f64 v[8:9], v[59:60], v[8:9]
	ds_load_b128 v[65:68], v1 offset:1088
	s_waitcnt vmcnt(9) lgkmcnt(1)
	v_mul_f64 v[172:173], v[2:3], v[12:13]
	v_mul_f64 v[12:13], v[4:5], v[12:13]
	v_fma_f64 v[59:60], v[59:60], v[6:7], v[69:70]
	v_fma_f64 v[57:58], v[57:58], v[6:7], -v[8:9]
	v_add_f64 v[69:70], v[91:92], 0
	v_add_f64 v[91:92], v[170:171], 0
	scratch_load_b128 v[6:9], off, off offset:240
	v_fma_f64 v[172:173], v[4:5], v[10:11], v[172:173]
	v_fma_f64 v[174:175], v[2:3], v[10:11], -v[12:13]
	scratch_load_b128 v[10:13], off, off offset:256
	ds_load_b128 v[2:5], v1 offset:1104
	s_waitcnt vmcnt(10) lgkmcnt(1)
	v_mul_f64 v[170:171], v[65:66], v[16:17]
	v_mul_f64 v[16:17], v[67:68], v[16:17]
	v_add_f64 v[69:70], v[69:70], v[57:58]
	v_add_f64 v[91:92], v[91:92], v[59:60]
	s_waitcnt vmcnt(9) lgkmcnt(0)
	v_mul_f64 v[176:177], v[2:3], v[20:21]
	v_mul_f64 v[20:21], v[4:5], v[20:21]
	ds_load_b128 v[57:60], v1 offset:1120
	v_fma_f64 v[67:68], v[67:68], v[14:15], v[170:171]
	v_fma_f64 v[65:66], v[65:66], v[14:15], -v[16:17]
	scratch_load_b128 v[14:17], off, off offset:272
	v_add_f64 v[69:70], v[69:70], v[174:175]
	v_add_f64 v[91:92], v[91:92], v[172:173]
	v_fma_f64 v[172:173], v[4:5], v[18:19], v[176:177]
	v_fma_f64 v[174:175], v[2:3], v[18:19], -v[20:21]
	scratch_load_b128 v[18:21], off, off offset:288
	ds_load_b128 v[2:5], v1 offset:1136
	s_waitcnt vmcnt(10) lgkmcnt(1)
	v_mul_f64 v[170:171], v[57:58], v[24:25]
	v_mul_f64 v[24:25], v[59:60], v[24:25]
	s_waitcnt vmcnt(9) lgkmcnt(0)
	v_mul_f64 v[176:177], v[2:3], v[28:29]
	v_mul_f64 v[28:29], v[4:5], v[28:29]
	v_add_f64 v[69:70], v[69:70], v[65:66]
	v_add_f64 v[91:92], v[91:92], v[67:68]
	ds_load_b128 v[65:68], v1 offset:1152
	v_fma_f64 v[59:60], v[59:60], v[22:23], v[170:171]
	v_fma_f64 v[57:58], v[57:58], v[22:23], -v[24:25]
	scratch_load_b128 v[22:25], off, off offset:304
	v_add_f64 v[69:70], v[69:70], v[174:175]
	v_add_f64 v[91:92], v[91:92], v[172:173]
	v_fma_f64 v[172:173], v[4:5], v[26:27], v[176:177]
	v_fma_f64 v[174:175], v[2:3], v[26:27], -v[28:29]
	scratch_load_b128 v[26:29], off, off offset:320
	ds_load_b128 v[2:5], v1 offset:1168
	s_waitcnt vmcnt(10) lgkmcnt(1)
	v_mul_f64 v[170:171], v[65:66], v[32:33]
	v_mul_f64 v[32:33], v[67:68], v[32:33]
	s_waitcnt vmcnt(9) lgkmcnt(0)
	v_mul_f64 v[176:177], v[2:3], v[36:37]
	v_mul_f64 v[36:37], v[4:5], v[36:37]
	v_add_f64 v[69:70], v[69:70], v[57:58]
	v_add_f64 v[91:92], v[91:92], v[59:60]
	ds_load_b128 v[57:60], v1 offset:1184
	v_fma_f64 v[67:68], v[67:68], v[30:31], v[170:171]
	v_fma_f64 v[65:66], v[65:66], v[30:31], -v[32:33]
	scratch_load_b128 v[30:33], off, off offset:336
	v_add_f64 v[69:70], v[69:70], v[174:175]
	v_add_f64 v[91:92], v[91:92], v[172:173]
	v_fma_f64 v[174:175], v[4:5], v[34:35], v[176:177]
	v_fma_f64 v[176:177], v[2:3], v[34:35], -v[36:37]
	scratch_load_b128 v[34:37], off, off offset:352
	ds_load_b128 v[2:5], v1 offset:1200
	s_waitcnt vmcnt(9) lgkmcnt(1)
	v_mul_f64 v[170:171], v[57:58], v[63:64]
	v_mul_f64 v[172:173], v[59:60], v[63:64]
	v_add_f64 v[69:70], v[69:70], v[65:66]
	v_add_f64 v[67:68], v[91:92], v[67:68]
	ds_load_b128 v[63:66], v1 offset:1216
	v_fma_f64 v[170:171], v[59:60], v[61:62], v[170:171]
	v_fma_f64 v[61:62], v[57:58], v[61:62], -v[172:173]
	scratch_load_b128 v[57:60], off, off offset:368
	s_waitcnt vmcnt(9) lgkmcnt(1)
	v_mul_f64 v[91:92], v[2:3], v[40:41]
	v_mul_f64 v[40:41], v[4:5], v[40:41]
	v_add_f64 v[69:70], v[69:70], v[176:177]
	v_add_f64 v[67:68], v[67:68], v[174:175]
	s_delay_alu instid0(VALU_DEP_4) | instskip(NEXT) | instid1(VALU_DEP_4)
	v_fma_f64 v[91:92], v[4:5], v[38:39], v[91:92]
	v_fma_f64 v[174:175], v[2:3], v[38:39], -v[40:41]
	scratch_load_b128 v[38:41], off, off offset:384
	ds_load_b128 v[2:5], v1 offset:1232
	s_waitcnt vmcnt(9) lgkmcnt(1)
	v_mul_f64 v[172:173], v[63:64], v[8:9]
	v_mul_f64 v[8:9], v[65:66], v[8:9]
	s_waitcnt vmcnt(8) lgkmcnt(0)
	v_mul_f64 v[176:177], v[2:3], v[12:13]
	v_mul_f64 v[12:13], v[4:5], v[12:13]
	v_add_f64 v[61:62], v[69:70], v[61:62]
	v_add_f64 v[170:171], v[67:68], v[170:171]
	ds_load_b128 v[67:70], v1 offset:1248
	v_fma_f64 v[65:66], v[65:66], v[6:7], v[172:173]
	v_fma_f64 v[63:64], v[63:64], v[6:7], -v[8:9]
	scratch_load_b128 v[6:9], off, off offset:400
	v_fma_f64 v[172:173], v[4:5], v[10:11], v[176:177]
	v_add_f64 v[61:62], v[61:62], v[174:175]
	v_add_f64 v[91:92], v[170:171], v[91:92]
	v_fma_f64 v[174:175], v[2:3], v[10:11], -v[12:13]
	scratch_load_b128 v[10:13], off, off offset:416
	ds_load_b128 v[2:5], v1 offset:1264
	s_waitcnt vmcnt(9) lgkmcnt(1)
	v_mul_f64 v[170:171], v[67:68], v[16:17]
	v_mul_f64 v[16:17], v[69:70], v[16:17]
	v_add_f64 v[176:177], v[61:62], v[63:64]
	v_add_f64 v[65:66], v[91:92], v[65:66]
	s_waitcnt vmcnt(8) lgkmcnt(0)
	v_mul_f64 v[91:92], v[2:3], v[20:21]
	v_mul_f64 v[20:21], v[4:5], v[20:21]
	ds_load_b128 v[61:64], v1 offset:1280
	v_fma_f64 v[69:70], v[69:70], v[14:15], v[170:171]
	v_fma_f64 v[67:68], v[67:68], v[14:15], -v[16:17]
	scratch_load_b128 v[14:17], off, off offset:432
	v_add_f64 v[170:171], v[176:177], v[174:175]
	v_add_f64 v[65:66], v[65:66], v[172:173]
	v_fma_f64 v[91:92], v[4:5], v[18:19], v[91:92]
	v_fma_f64 v[174:175], v[2:3], v[18:19], -v[20:21]
	scratch_load_b128 v[18:21], off, off offset:448
	ds_load_b128 v[2:5], v1 offset:1296
	s_waitcnt vmcnt(9) lgkmcnt(1)
	v_mul_f64 v[172:173], v[61:62], v[24:25]
	v_mul_f64 v[24:25], v[63:64], v[24:25]
	s_waitcnt vmcnt(8) lgkmcnt(0)
	v_mul_f64 v[176:177], v[2:3], v[28:29]
	v_mul_f64 v[28:29], v[4:5], v[28:29]
	v_add_f64 v[170:171], v[170:171], v[67:68]
	v_add_f64 v[69:70], v[65:66], v[69:70]
	ds_load_b128 v[65:68], v1 offset:1312
	v_fma_f64 v[63:64], v[63:64], v[22:23], v[172:173]
	v_fma_f64 v[61:62], v[61:62], v[22:23], -v[24:25]
	scratch_load_b128 v[22:25], off, off offset:464
	v_fma_f64 v[172:173], v[4:5], v[26:27], v[176:177]
	v_add_f64 v[170:171], v[170:171], v[174:175]
	v_add_f64 v[69:70], v[69:70], v[91:92]
	v_fma_f64 v[174:175], v[2:3], v[26:27], -v[28:29]
	scratch_load_b128 v[26:29], off, off offset:480
	ds_load_b128 v[2:5], v1 offset:1328
	s_waitcnt vmcnt(9) lgkmcnt(1)
	v_mul_f64 v[91:92], v[65:66], v[32:33]
	v_mul_f64 v[32:33], v[67:68], v[32:33]
	s_waitcnt vmcnt(8) lgkmcnt(0)
	v_mul_f64 v[176:177], v[2:3], v[36:37]
	v_mul_f64 v[36:37], v[4:5], v[36:37]
	v_add_f64 v[170:171], v[170:171], v[61:62]
	v_add_f64 v[69:70], v[69:70], v[63:64]
	ds_load_b128 v[61:64], v1 offset:1344
	v_fma_f64 v[67:68], v[67:68], v[30:31], v[91:92]
	v_fma_f64 v[65:66], v[65:66], v[30:31], -v[32:33]
	scratch_load_b128 v[30:33], off, off offset:496
	v_add_f64 v[91:92], v[170:171], v[174:175]
	v_add_f64 v[69:70], v[69:70], v[172:173]
	v_fma_f64 v[172:173], v[4:5], v[34:35], v[176:177]
	v_fma_f64 v[174:175], v[2:3], v[34:35], -v[36:37]
	scratch_load_b128 v[34:37], off, off offset:512
	ds_load_b128 v[2:5], v1 offset:1360
	s_waitcnt vmcnt(9) lgkmcnt(1)
	v_mul_f64 v[170:171], v[61:62], v[59:60]
	v_mul_f64 v[59:60], v[63:64], v[59:60]
	s_waitcnt vmcnt(8) lgkmcnt(0)
	v_mul_f64 v[176:177], v[2:3], v[40:41]
	v_mul_f64 v[40:41], v[4:5], v[40:41]
	v_add_f64 v[91:92], v[91:92], v[65:66]
	v_add_f64 v[69:70], v[69:70], v[67:68]
	ds_load_b128 v[65:68], v1 offset:1376
	v_fma_f64 v[63:64], v[63:64], v[57:58], v[170:171]
	v_fma_f64 v[61:62], v[61:62], v[57:58], -v[59:60]
	scratch_load_b128 v[57:60], off, off offset:528
	v_add_f64 v[91:92], v[91:92], v[174:175]
	v_add_f64 v[69:70], v[69:70], v[172:173]
	v_fma_f64 v[172:173], v[4:5], v[38:39], v[176:177]
	;; [unrolled: 18-line block ×6, first 2 shown]
	v_fma_f64 v[176:177], v[2:3], v[34:35], -v[36:37]
	scratch_load_b128 v[34:37], off, off offset:672
	ds_load_b128 v[2:5], v1 offset:1520
	s_waitcnt vmcnt(9) lgkmcnt(1)
	v_mul_f64 v[170:171], v[65:66], v[59:60]
	v_mul_f64 v[172:173], v[67:68], v[59:60]
	v_add_f64 v[91:92], v[91:92], v[61:62]
	v_add_f64 v[63:64], v[69:70], v[63:64]
	s_waitcnt vmcnt(8) lgkmcnt(0)
	v_mul_f64 v[69:70], v[2:3], v[40:41]
	v_mul_f64 v[40:41], v[4:5], v[40:41]
	ds_load_b128 v[59:62], v1 offset:1536
	v_fma_f64 v[67:68], v[67:68], v[57:58], v[170:171]
	v_fma_f64 v[57:58], v[65:66], v[57:58], -v[172:173]
	v_add_f64 v[91:92], v[91:92], v[176:177]
	v_add_f64 v[170:171], v[63:64], v[174:175]
	scratch_load_b128 v[63:66], off, off offset:688
	v_fma_f64 v[174:175], v[4:5], v[38:39], v[69:70]
	v_fma_f64 v[176:177], v[2:3], v[38:39], -v[40:41]
	scratch_load_b128 v[38:41], off, off offset:704
	ds_load_b128 v[2:5], v1 offset:1552
	s_waitcnt vmcnt(9) lgkmcnt(1)
	v_mul_f64 v[172:173], v[59:60], v[8:9]
	v_mul_f64 v[8:9], v[61:62], v[8:9]
	v_add_f64 v[57:58], v[91:92], v[57:58]
	v_add_f64 v[91:92], v[170:171], v[67:68]
	s_waitcnt vmcnt(8) lgkmcnt(0)
	v_mul_f64 v[170:171], v[2:3], v[12:13]
	v_mul_f64 v[12:13], v[4:5], v[12:13]
	ds_load_b128 v[67:70], v1 offset:1568
	v_fma_f64 v[61:62], v[61:62], v[6:7], v[172:173]
	v_fma_f64 v[59:60], v[59:60], v[6:7], -v[8:9]
	scratch_load_b128 v[6:9], off, off offset:720
	v_add_f64 v[57:58], v[57:58], v[176:177]
	v_add_f64 v[91:92], v[91:92], v[174:175]
	v_fma_f64 v[170:171], v[4:5], v[10:11], v[170:171]
	v_fma_f64 v[174:175], v[2:3], v[10:11], -v[12:13]
	scratch_load_b128 v[10:13], off, off offset:736
	ds_load_b128 v[2:5], v1 offset:1584
	s_waitcnt vmcnt(9) lgkmcnt(1)
	v_mul_f64 v[172:173], v[67:68], v[16:17]
	v_mul_f64 v[16:17], v[69:70], v[16:17]
	v_add_f64 v[176:177], v[57:58], v[59:60]
	v_add_f64 v[61:62], v[91:92], v[61:62]
	s_waitcnt vmcnt(8) lgkmcnt(0)
	v_mul_f64 v[91:92], v[2:3], v[20:21]
	v_mul_f64 v[20:21], v[4:5], v[20:21]
	ds_load_b128 v[57:60], v1 offset:1600
	v_fma_f64 v[69:70], v[69:70], v[14:15], v[172:173]
	v_fma_f64 v[67:68], v[67:68], v[14:15], -v[16:17]
	scratch_load_b128 v[14:17], off, off offset:752
	v_add_f64 v[172:173], v[176:177], v[174:175]
	v_add_f64 v[61:62], v[61:62], v[170:171]
	v_fma_f64 v[91:92], v[4:5], v[18:19], v[91:92]
	v_fma_f64 v[174:175], v[2:3], v[18:19], -v[20:21]
	scratch_load_b128 v[18:21], off, off offset:768
	ds_load_b128 v[2:5], v1 offset:1616
	s_waitcnt vmcnt(9) lgkmcnt(1)
	v_mul_f64 v[170:171], v[57:58], v[24:25]
	v_mul_f64 v[24:25], v[59:60], v[24:25]
	s_waitcnt vmcnt(8) lgkmcnt(0)
	v_mul_f64 v[176:177], v[2:3], v[28:29]
	v_mul_f64 v[28:29], v[4:5], v[28:29]
	v_add_f64 v[172:173], v[172:173], v[67:68]
	v_add_f64 v[61:62], v[61:62], v[69:70]
	ds_load_b128 v[67:70], v1 offset:1632
	v_fma_f64 v[59:60], v[59:60], v[22:23], v[170:171]
	v_fma_f64 v[57:58], v[57:58], v[22:23], -v[24:25]
	scratch_load_b128 v[22:25], off, off offset:784
	v_add_f64 v[170:171], v[172:173], v[174:175]
	v_add_f64 v[61:62], v[61:62], v[91:92]
	v_fma_f64 v[172:173], v[4:5], v[26:27], v[176:177]
	v_fma_f64 v[174:175], v[2:3], v[26:27], -v[28:29]
	scratch_load_b128 v[26:29], off, off offset:800
	ds_load_b128 v[2:5], v1 offset:1648
	s_waitcnt vmcnt(9) lgkmcnt(1)
	v_mul_f64 v[91:92], v[67:68], v[32:33]
	v_mul_f64 v[32:33], v[69:70], v[32:33]
	s_waitcnt vmcnt(8) lgkmcnt(0)
	v_mul_f64 v[176:177], v[2:3], v[36:37]
	v_mul_f64 v[36:37], v[4:5], v[36:37]
	v_add_f64 v[170:171], v[170:171], v[57:58]
	v_add_f64 v[61:62], v[61:62], v[59:60]
	ds_load_b128 v[57:60], v1 offset:1664
	v_fma_f64 v[69:70], v[69:70], v[30:31], v[91:92]
	v_fma_f64 v[67:68], v[67:68], v[30:31], -v[32:33]
	scratch_load_b128 v[30:33], off, off offset:816
	v_add_f64 v[91:92], v[170:171], v[174:175]
	v_add_f64 v[61:62], v[61:62], v[172:173]
	v_fma_f64 v[174:175], v[4:5], v[34:35], v[176:177]
	v_fma_f64 v[176:177], v[2:3], v[34:35], -v[36:37]
	scratch_load_b128 v[34:37], off, off offset:832
	ds_load_b128 v[2:5], v1 offset:1680
	s_waitcnt vmcnt(9) lgkmcnt(1)
	v_mul_f64 v[170:171], v[57:58], v[65:66]
	v_mul_f64 v[172:173], v[59:60], v[65:66]
	v_add_f64 v[91:92], v[91:92], v[67:68]
	v_add_f64 v[61:62], v[61:62], v[69:70]
	s_waitcnt vmcnt(8) lgkmcnt(0)
	v_mul_f64 v[69:70], v[2:3], v[40:41]
	v_mul_f64 v[40:41], v[4:5], v[40:41]
	ds_load_b128 v[65:68], v1 offset:1696
	v_fma_f64 v[170:171], v[59:60], v[63:64], v[170:171]
	v_fma_f64 v[63:64], v[57:58], v[63:64], -v[172:173]
	scratch_load_b128 v[57:60], off, off offset:848
	v_add_f64 v[91:92], v[91:92], v[176:177]
	v_add_f64 v[61:62], v[61:62], v[174:175]
	v_fma_f64 v[69:70], v[4:5], v[38:39], v[69:70]
	v_fma_f64 v[174:175], v[2:3], v[38:39], -v[40:41]
	scratch_load_b128 v[38:41], off, off offset:864
	ds_load_b128 v[2:5], v1 offset:1712
	s_waitcnt vmcnt(9) lgkmcnt(1)
	v_mul_f64 v[172:173], v[65:66], v[8:9]
	v_mul_f64 v[8:9], v[67:68], v[8:9]
	s_waitcnt vmcnt(8) lgkmcnt(0)
	v_mul_f64 v[176:177], v[2:3], v[12:13]
	v_mul_f64 v[12:13], v[4:5], v[12:13]
	v_add_f64 v[91:92], v[91:92], v[63:64]
	v_add_f64 v[170:171], v[61:62], v[170:171]
	ds_load_b128 v[61:64], v1 offset:1728
	v_fma_f64 v[67:68], v[67:68], v[6:7], v[172:173]
	v_fma_f64 v[65:66], v[65:66], v[6:7], -v[8:9]
	scratch_load_b128 v[6:9], off, off offset:880
	v_fma_f64 v[172:173], v[4:5], v[10:11], v[176:177]
	v_add_f64 v[91:92], v[91:92], v[174:175]
	v_add_f64 v[69:70], v[170:171], v[69:70]
	v_fma_f64 v[174:175], v[2:3], v[10:11], -v[12:13]
	scratch_load_b128 v[10:13], off, off offset:896
	ds_load_b128 v[2:5], v1 offset:1744
	s_waitcnt vmcnt(9) lgkmcnt(1)
	v_mul_f64 v[170:171], v[61:62], v[16:17]
	v_mul_f64 v[16:17], v[63:64], v[16:17]
	s_waitcnt vmcnt(8) lgkmcnt(0)
	v_mul_f64 v[176:177], v[2:3], v[20:21]
	v_mul_f64 v[20:21], v[4:5], v[20:21]
	v_add_f64 v[91:92], v[91:92], v[65:66]
	v_add_f64 v[69:70], v[69:70], v[67:68]
	ds_load_b128 v[65:68], v1 offset:1760
	v_fma_f64 v[63:64], v[63:64], v[14:15], v[170:171]
	v_fma_f64 v[61:62], v[61:62], v[14:15], -v[16:17]
	scratch_load_b128 v[14:17], off, off offset:912
	v_add_f64 v[91:92], v[91:92], v[174:175]
	v_add_f64 v[69:70], v[69:70], v[172:173]
	v_fma_f64 v[172:173], v[4:5], v[18:19], v[176:177]
	v_fma_f64 v[174:175], v[2:3], v[18:19], -v[20:21]
	scratch_load_b128 v[18:21], off, off offset:928
	ds_load_b128 v[2:5], v1 offset:1776
	s_waitcnt vmcnt(9) lgkmcnt(1)
	v_mul_f64 v[170:171], v[65:66], v[24:25]
	v_mul_f64 v[24:25], v[67:68], v[24:25]
	s_waitcnt vmcnt(8) lgkmcnt(0)
	v_mul_f64 v[176:177], v[2:3], v[28:29]
	v_mul_f64 v[28:29], v[4:5], v[28:29]
	v_add_f64 v[91:92], v[91:92], v[61:62]
	v_add_f64 v[69:70], v[69:70], v[63:64]
	ds_load_b128 v[61:64], v1 offset:1792
	v_fma_f64 v[67:68], v[67:68], v[22:23], v[170:171]
	v_fma_f64 v[65:66], v[65:66], v[22:23], -v[24:25]
	scratch_load_b128 v[22:25], off, off offset:944
	v_add_f64 v[91:92], v[91:92], v[174:175]
	v_add_f64 v[69:70], v[69:70], v[172:173]
	v_fma_f64 v[172:173], v[4:5], v[26:27], v[176:177]
	v_fma_f64 v[174:175], v[2:3], v[26:27], -v[28:29]
	scratch_load_b128 v[26:29], off, off offset:960
	ds_load_b128 v[2:5], v1 offset:1808
	s_waitcnt vmcnt(9) lgkmcnt(1)
	v_mul_f64 v[170:171], v[61:62], v[32:33]
	v_mul_f64 v[32:33], v[63:64], v[32:33]
	s_waitcnt vmcnt(8) lgkmcnt(0)
	v_mul_f64 v[176:177], v[2:3], v[36:37]
	v_mul_f64 v[36:37], v[4:5], v[36:37]
	v_add_f64 v[91:92], v[91:92], v[65:66]
	v_add_f64 v[69:70], v[69:70], v[67:68]
	ds_load_b128 v[65:68], v1 offset:1824
	v_fma_f64 v[63:64], v[63:64], v[30:31], v[170:171]
	v_fma_f64 v[30:31], v[61:62], v[30:31], -v[32:33]
	v_add_f64 v[32:33], v[91:92], v[174:175]
	v_add_f64 v[61:62], v[69:70], v[172:173]
	s_waitcnt vmcnt(7) lgkmcnt(0)
	v_mul_f64 v[69:70], v[65:66], v[59:60]
	v_mul_f64 v[59:60], v[67:68], v[59:60]
	v_fma_f64 v[91:92], v[4:5], v[34:35], v[176:177]
	v_fma_f64 v[34:35], v[2:3], v[34:35], -v[36:37]
	v_add_f64 v[36:37], v[32:33], v[30:31]
	v_add_f64 v[61:62], v[61:62], v[63:64]
	ds_load_b128 v[2:5], v1 offset:1840
	ds_load_b128 v[30:33], v1 offset:1856
	v_fma_f64 v[67:68], v[67:68], v[57:58], v[69:70]
	v_fma_f64 v[57:58], v[65:66], v[57:58], -v[59:60]
	s_waitcnt vmcnt(6) lgkmcnt(1)
	v_mul_f64 v[63:64], v[2:3], v[40:41]
	v_mul_f64 v[40:41], v[4:5], v[40:41]
	s_waitcnt vmcnt(5) lgkmcnt(0)
	v_mul_f64 v[59:60], v[30:31], v[8:9]
	v_mul_f64 v[8:9], v[32:33], v[8:9]
	v_add_f64 v[34:35], v[36:37], v[34:35]
	v_add_f64 v[36:37], v[61:62], v[91:92]
	v_fma_f64 v[61:62], v[4:5], v[38:39], v[63:64]
	v_fma_f64 v[38:39], v[2:3], v[38:39], -v[40:41]
	v_fma_f64 v[32:33], v[32:33], v[6:7], v[59:60]
	v_fma_f64 v[6:7], v[30:31], v[6:7], -v[8:9]
	v_add_f64 v[40:41], v[34:35], v[57:58]
	v_add_f64 v[57:58], v[36:37], v[67:68]
	ds_load_b128 v[2:5], v1 offset:1872
	ds_load_b128 v[34:37], v1 offset:1888
	s_waitcnt vmcnt(4) lgkmcnt(1)
	v_mul_f64 v[63:64], v[2:3], v[12:13]
	v_mul_f64 v[12:13], v[4:5], v[12:13]
	v_add_f64 v[8:9], v[40:41], v[38:39]
	v_add_f64 v[30:31], v[57:58], v[61:62]
	s_waitcnt vmcnt(3) lgkmcnt(0)
	v_mul_f64 v[38:39], v[34:35], v[16:17]
	v_mul_f64 v[16:17], v[36:37], v[16:17]
	v_fma_f64 v[40:41], v[4:5], v[10:11], v[63:64]
	v_fma_f64 v[10:11], v[2:3], v[10:11], -v[12:13]
	v_add_f64 v[12:13], v[8:9], v[6:7]
	v_add_f64 v[30:31], v[30:31], v[32:33]
	ds_load_b128 v[2:5], v1 offset:1904
	ds_load_b128 v[6:9], v1 offset:1920
	v_fma_f64 v[36:37], v[36:37], v[14:15], v[38:39]
	v_fma_f64 v[14:15], v[34:35], v[14:15], -v[16:17]
	s_waitcnt vmcnt(2) lgkmcnt(1)
	v_mul_f64 v[32:33], v[2:3], v[20:21]
	v_mul_f64 v[20:21], v[4:5], v[20:21]
	s_waitcnt vmcnt(1) lgkmcnt(0)
	v_mul_f64 v[16:17], v[6:7], v[24:25]
	v_mul_f64 v[24:25], v[8:9], v[24:25]
	v_add_f64 v[10:11], v[12:13], v[10:11]
	v_add_f64 v[12:13], v[30:31], v[40:41]
	v_fma_f64 v[30:31], v[4:5], v[18:19], v[32:33]
	v_fma_f64 v[18:19], v[2:3], v[18:19], -v[20:21]
	ds_load_b128 v[2:5], v1 offset:1936
	v_fma_f64 v[8:9], v[8:9], v[22:23], v[16:17]
	v_fma_f64 v[6:7], v[6:7], v[22:23], -v[24:25]
	v_add_f64 v[10:11], v[10:11], v[14:15]
	v_add_f64 v[12:13], v[12:13], v[36:37]
	s_waitcnt vmcnt(0) lgkmcnt(0)
	v_mul_f64 v[14:15], v[2:3], v[28:29]
	v_mul_f64 v[20:21], v[4:5], v[28:29]
	s_delay_alu instid0(VALU_DEP_4) | instskip(NEXT) | instid1(VALU_DEP_4)
	v_add_f64 v[10:11], v[10:11], v[18:19]
	v_add_f64 v[12:13], v[12:13], v[30:31]
	s_delay_alu instid0(VALU_DEP_4) | instskip(NEXT) | instid1(VALU_DEP_4)
	v_fma_f64 v[4:5], v[4:5], v[26:27], v[14:15]
	v_fma_f64 v[2:3], v[2:3], v[26:27], -v[20:21]
	s_delay_alu instid0(VALU_DEP_4) | instskip(NEXT) | instid1(VALU_DEP_4)
	v_add_f64 v[6:7], v[10:11], v[6:7]
	v_add_f64 v[8:9], v[12:13], v[8:9]
	s_delay_alu instid0(VALU_DEP_2) | instskip(NEXT) | instid1(VALU_DEP_2)
	v_add_f64 v[2:3], v[6:7], v[2:3]
	v_add_f64 v[4:5], v[8:9], v[4:5]
	s_delay_alu instid0(VALU_DEP_2) | instskip(NEXT) | instid1(VALU_DEP_2)
	v_add_f64 v[2:3], v[42:43], -v[2:3]
	v_add_f64 v[4:5], v[44:45], -v[4:5]
	scratch_store_b128 off, v[2:5], off offset:48
	v_cmpx_lt_u32_e32 2, v169
	s_cbranch_execz .LBB124_387
; %bb.386:
	scratch_load_b128 v[5:8], v231, off
	v_mov_b32_e32 v2, v1
	v_mov_b32_e32 v3, v1
	;; [unrolled: 1-line block ×3, first 2 shown]
	scratch_store_b128 off, v[1:4], off offset:32
	s_waitcnt vmcnt(0)
	ds_store_b128 v229, v[5:8]
.LBB124_387:
	s_or_b32 exec_lo, exec_lo, s2
	s_waitcnt lgkmcnt(0)
	s_waitcnt_vscnt null, 0x0
	s_barrier
	buffer_gl0_inv
	s_clause 0x8
	scratch_load_b128 v[2:5], off, off offset:48
	scratch_load_b128 v[6:9], off, off offset:64
	;; [unrolled: 1-line block ×9, first 2 shown]
	ds_load_b128 v[42:45], v1 offset:1024
	ds_load_b128 v[38:41], v1 offset:1040
	s_clause 0x1
	scratch_load_b128 v[57:60], off, off offset:32
	scratch_load_b128 v[61:64], off, off offset:192
	s_mov_b32 s2, exec_lo
	s_waitcnt vmcnt(10) lgkmcnt(1)
	v_mul_f64 v[65:66], v[44:45], v[4:5]
	v_mul_f64 v[4:5], v[42:43], v[4:5]
	s_waitcnt vmcnt(9) lgkmcnt(0)
	v_mul_f64 v[69:70], v[38:39], v[8:9]
	v_mul_f64 v[8:9], v[40:41], v[8:9]
	s_delay_alu instid0(VALU_DEP_4) | instskip(NEXT) | instid1(VALU_DEP_4)
	v_fma_f64 v[91:92], v[42:43], v[2:3], -v[65:66]
	v_fma_f64 v[170:171], v[44:45], v[2:3], v[4:5]
	ds_load_b128 v[2:5], v1 offset:1056
	ds_load_b128 v[65:68], v1 offset:1072
	scratch_load_b128 v[42:45], off, off offset:208
	v_fma_f64 v[40:41], v[40:41], v[6:7], v[69:70]
	v_fma_f64 v[38:39], v[38:39], v[6:7], -v[8:9]
	scratch_load_b128 v[6:9], off, off offset:224
	s_waitcnt vmcnt(10) lgkmcnt(1)
	v_mul_f64 v[172:173], v[2:3], v[12:13]
	v_mul_f64 v[12:13], v[4:5], v[12:13]
	v_add_f64 v[69:70], v[91:92], 0
	v_add_f64 v[91:92], v[170:171], 0
	s_waitcnt vmcnt(9) lgkmcnt(0)
	v_mul_f64 v[170:171], v[65:66], v[16:17]
	v_mul_f64 v[16:17], v[67:68], v[16:17]
	v_fma_f64 v[172:173], v[4:5], v[10:11], v[172:173]
	v_fma_f64 v[174:175], v[2:3], v[10:11], -v[12:13]
	ds_load_b128 v[2:5], v1 offset:1088
	scratch_load_b128 v[10:13], off, off offset:240
	v_add_f64 v[69:70], v[69:70], v[38:39]
	v_add_f64 v[91:92], v[91:92], v[40:41]
	ds_load_b128 v[38:41], v1 offset:1104
	v_fma_f64 v[67:68], v[67:68], v[14:15], v[170:171]
	v_fma_f64 v[65:66], v[65:66], v[14:15], -v[16:17]
	scratch_load_b128 v[14:17], off, off offset:256
	s_waitcnt vmcnt(10) lgkmcnt(1)
	v_mul_f64 v[176:177], v[2:3], v[20:21]
	v_mul_f64 v[20:21], v[4:5], v[20:21]
	s_waitcnt vmcnt(9) lgkmcnt(0)
	v_mul_f64 v[170:171], v[38:39], v[24:25]
	v_mul_f64 v[24:25], v[40:41], v[24:25]
	v_add_f64 v[69:70], v[69:70], v[174:175]
	v_add_f64 v[91:92], v[91:92], v[172:173]
	v_fma_f64 v[172:173], v[4:5], v[18:19], v[176:177]
	v_fma_f64 v[174:175], v[2:3], v[18:19], -v[20:21]
	ds_load_b128 v[2:5], v1 offset:1120
	scratch_load_b128 v[18:21], off, off offset:272
	v_fma_f64 v[40:41], v[40:41], v[22:23], v[170:171]
	v_fma_f64 v[38:39], v[38:39], v[22:23], -v[24:25]
	scratch_load_b128 v[22:25], off, off offset:288
	v_add_f64 v[69:70], v[69:70], v[65:66]
	v_add_f64 v[91:92], v[91:92], v[67:68]
	ds_load_b128 v[65:68], v1 offset:1136
	s_waitcnt vmcnt(10) lgkmcnt(1)
	v_mul_f64 v[176:177], v[2:3], v[28:29]
	v_mul_f64 v[28:29], v[4:5], v[28:29]
	s_waitcnt vmcnt(9) lgkmcnt(0)
	v_mul_f64 v[170:171], v[65:66], v[32:33]
	v_mul_f64 v[32:33], v[67:68], v[32:33]
	v_add_f64 v[69:70], v[69:70], v[174:175]
	v_add_f64 v[91:92], v[91:92], v[172:173]
	v_fma_f64 v[172:173], v[4:5], v[26:27], v[176:177]
	v_fma_f64 v[174:175], v[2:3], v[26:27], -v[28:29]
	ds_load_b128 v[2:5], v1 offset:1152
	scratch_load_b128 v[26:29], off, off offset:304
	v_fma_f64 v[67:68], v[67:68], v[30:31], v[170:171]
	v_fma_f64 v[65:66], v[65:66], v[30:31], -v[32:33]
	scratch_load_b128 v[30:33], off, off offset:320
	v_add_f64 v[69:70], v[69:70], v[38:39]
	v_add_f64 v[91:92], v[91:92], v[40:41]
	ds_load_b128 v[38:41], v1 offset:1168
	s_waitcnt vmcnt(10) lgkmcnt(1)
	v_mul_f64 v[176:177], v[2:3], v[36:37]
	v_mul_f64 v[36:37], v[4:5], v[36:37]
	s_waitcnt vmcnt(8) lgkmcnt(0)
	v_mul_f64 v[170:171], v[38:39], v[63:64]
	v_add_f64 v[69:70], v[69:70], v[174:175]
	v_add_f64 v[91:92], v[91:92], v[172:173]
	v_mul_f64 v[172:173], v[40:41], v[63:64]
	v_fma_f64 v[174:175], v[4:5], v[34:35], v[176:177]
	v_fma_f64 v[176:177], v[2:3], v[34:35], -v[36:37]
	ds_load_b128 v[2:5], v1 offset:1184
	scratch_load_b128 v[34:37], off, off offset:336
	v_fma_f64 v[170:171], v[40:41], v[61:62], v[170:171]
	v_add_f64 v[69:70], v[69:70], v[65:66]
	v_add_f64 v[67:68], v[91:92], v[67:68]
	ds_load_b128 v[63:66], v1 offset:1200
	v_fma_f64 v[61:62], v[38:39], v[61:62], -v[172:173]
	scratch_load_b128 v[38:41], off, off offset:352
	s_waitcnt vmcnt(9) lgkmcnt(1)
	v_mul_f64 v[91:92], v[2:3], v[44:45]
	v_mul_f64 v[44:45], v[4:5], v[44:45]
	s_waitcnt vmcnt(8) lgkmcnt(0)
	v_mul_f64 v[172:173], v[63:64], v[8:9]
	v_mul_f64 v[8:9], v[65:66], v[8:9]
	v_add_f64 v[69:70], v[69:70], v[176:177]
	v_add_f64 v[67:68], v[67:68], v[174:175]
	v_fma_f64 v[91:92], v[4:5], v[42:43], v[91:92]
	v_fma_f64 v[174:175], v[2:3], v[42:43], -v[44:45]
	ds_load_b128 v[2:5], v1 offset:1216
	scratch_load_b128 v[42:45], off, off offset:368
	v_fma_f64 v[65:66], v[65:66], v[6:7], v[172:173]
	v_fma_f64 v[63:64], v[63:64], v[6:7], -v[8:9]
	scratch_load_b128 v[6:9], off, off offset:384
	v_add_f64 v[61:62], v[69:70], v[61:62]
	v_add_f64 v[170:171], v[67:68], v[170:171]
	ds_load_b128 v[67:70], v1 offset:1232
	s_waitcnt vmcnt(9) lgkmcnt(1)
	v_mul_f64 v[176:177], v[2:3], v[12:13]
	v_mul_f64 v[12:13], v[4:5], v[12:13]
	v_add_f64 v[61:62], v[61:62], v[174:175]
	v_add_f64 v[91:92], v[170:171], v[91:92]
	s_waitcnt vmcnt(8) lgkmcnt(0)
	v_mul_f64 v[170:171], v[67:68], v[16:17]
	v_mul_f64 v[16:17], v[69:70], v[16:17]
	v_fma_f64 v[172:173], v[4:5], v[10:11], v[176:177]
	v_fma_f64 v[174:175], v[2:3], v[10:11], -v[12:13]
	ds_load_b128 v[2:5], v1 offset:1248
	scratch_load_b128 v[10:13], off, off offset:400
	v_add_f64 v[176:177], v[61:62], v[63:64]
	v_add_f64 v[65:66], v[91:92], v[65:66]
	ds_load_b128 v[61:64], v1 offset:1264
	s_waitcnt vmcnt(8) lgkmcnt(1)
	v_mul_f64 v[91:92], v[2:3], v[20:21]
	v_mul_f64 v[20:21], v[4:5], v[20:21]
	v_fma_f64 v[69:70], v[69:70], v[14:15], v[170:171]
	v_fma_f64 v[67:68], v[67:68], v[14:15], -v[16:17]
	scratch_load_b128 v[14:17], off, off offset:416
	v_add_f64 v[170:171], v[176:177], v[174:175]
	v_add_f64 v[65:66], v[65:66], v[172:173]
	s_waitcnt vmcnt(8) lgkmcnt(0)
	v_mul_f64 v[172:173], v[61:62], v[24:25]
	v_mul_f64 v[24:25], v[63:64], v[24:25]
	v_fma_f64 v[91:92], v[4:5], v[18:19], v[91:92]
	v_fma_f64 v[174:175], v[2:3], v[18:19], -v[20:21]
	ds_load_b128 v[2:5], v1 offset:1280
	scratch_load_b128 v[18:21], off, off offset:432
	v_add_f64 v[170:171], v[170:171], v[67:68]
	v_add_f64 v[69:70], v[65:66], v[69:70]
	ds_load_b128 v[65:68], v1 offset:1296
	s_waitcnt vmcnt(8) lgkmcnt(1)
	v_mul_f64 v[176:177], v[2:3], v[28:29]
	v_mul_f64 v[28:29], v[4:5], v[28:29]
	v_fma_f64 v[63:64], v[63:64], v[22:23], v[172:173]
	v_fma_f64 v[61:62], v[61:62], v[22:23], -v[24:25]
	scratch_load_b128 v[22:25], off, off offset:448
	;; [unrolled: 18-line block ×4, first 2 shown]
	s_waitcnt vmcnt(8) lgkmcnt(0)
	v_mul_f64 v[170:171], v[65:66], v[8:9]
	v_mul_f64 v[8:9], v[67:68], v[8:9]
	v_add_f64 v[91:92], v[91:92], v[174:175]
	v_add_f64 v[69:70], v[69:70], v[172:173]
	v_fma_f64 v[172:173], v[4:5], v[42:43], v[176:177]
	v_fma_f64 v[174:175], v[2:3], v[42:43], -v[44:45]
	ds_load_b128 v[2:5], v1 offset:1376
	scratch_load_b128 v[42:45], off, off offset:528
	v_fma_f64 v[67:68], v[67:68], v[6:7], v[170:171]
	v_fma_f64 v[65:66], v[65:66], v[6:7], -v[8:9]
	scratch_load_b128 v[6:9], off, off offset:544
	v_add_f64 v[91:92], v[91:92], v[61:62]
	v_add_f64 v[69:70], v[69:70], v[63:64]
	ds_load_b128 v[61:64], v1 offset:1392
	s_waitcnt vmcnt(9) lgkmcnt(1)
	v_mul_f64 v[176:177], v[2:3], v[12:13]
	v_mul_f64 v[12:13], v[4:5], v[12:13]
	s_waitcnt vmcnt(8) lgkmcnt(0)
	v_mul_f64 v[170:171], v[61:62], v[16:17]
	v_mul_f64 v[16:17], v[63:64], v[16:17]
	v_add_f64 v[91:92], v[91:92], v[174:175]
	v_add_f64 v[69:70], v[69:70], v[172:173]
	v_fma_f64 v[172:173], v[4:5], v[10:11], v[176:177]
	v_fma_f64 v[174:175], v[2:3], v[10:11], -v[12:13]
	ds_load_b128 v[2:5], v1 offset:1408
	scratch_load_b128 v[10:13], off, off offset:560
	v_fma_f64 v[63:64], v[63:64], v[14:15], v[170:171]
	v_fma_f64 v[61:62], v[61:62], v[14:15], -v[16:17]
	scratch_load_b128 v[14:17], off, off offset:576
	v_add_f64 v[91:92], v[91:92], v[65:66]
	v_add_f64 v[69:70], v[69:70], v[67:68]
	ds_load_b128 v[65:68], v1 offset:1424
	s_waitcnt vmcnt(9) lgkmcnt(1)
	v_mul_f64 v[176:177], v[2:3], v[20:21]
	v_mul_f64 v[20:21], v[4:5], v[20:21]
	;; [unrolled: 18-line block ×14, first 2 shown]
	s_waitcnt vmcnt(8) lgkmcnt(0)
	v_mul_f64 v[170:171], v[65:66], v[40:41]
	v_mul_f64 v[40:41], v[67:68], v[40:41]
	v_add_f64 v[91:92], v[91:92], v[174:175]
	v_add_f64 v[69:70], v[69:70], v[172:173]
	v_fma_f64 v[172:173], v[4:5], v[34:35], v[176:177]
	v_fma_f64 v[174:175], v[2:3], v[34:35], -v[36:37]
	ds_load_b128 v[2:5], v1 offset:1824
	ds_load_b128 v[34:37], v1 offset:1840
	v_fma_f64 v[67:68], v[67:68], v[38:39], v[170:171]
	v_fma_f64 v[38:39], v[65:66], v[38:39], -v[40:41]
	v_add_f64 v[61:62], v[91:92], v[61:62]
	v_add_f64 v[63:64], v[69:70], v[63:64]
	s_waitcnt vmcnt(7) lgkmcnt(1)
	v_mul_f64 v[69:70], v[2:3], v[44:45]
	v_mul_f64 v[44:45], v[4:5], v[44:45]
	s_delay_alu instid0(VALU_DEP_4) | instskip(NEXT) | instid1(VALU_DEP_4)
	v_add_f64 v[40:41], v[61:62], v[174:175]
	v_add_f64 v[61:62], v[63:64], v[172:173]
	s_waitcnt vmcnt(6) lgkmcnt(0)
	v_mul_f64 v[63:64], v[34:35], v[8:9]
	v_mul_f64 v[8:9], v[36:37], v[8:9]
	v_fma_f64 v[65:66], v[4:5], v[42:43], v[69:70]
	v_fma_f64 v[42:43], v[2:3], v[42:43], -v[44:45]
	v_add_f64 v[44:45], v[40:41], v[38:39]
	v_add_f64 v[61:62], v[61:62], v[67:68]
	ds_load_b128 v[2:5], v1 offset:1856
	ds_load_b128 v[38:41], v1 offset:1872
	v_fma_f64 v[36:37], v[36:37], v[6:7], v[63:64]
	v_fma_f64 v[6:7], v[34:35], v[6:7], -v[8:9]
	s_waitcnt vmcnt(5) lgkmcnt(1)
	v_mul_f64 v[67:68], v[2:3], v[12:13]
	v_mul_f64 v[12:13], v[4:5], v[12:13]
	v_add_f64 v[8:9], v[44:45], v[42:43]
	v_add_f64 v[34:35], v[61:62], v[65:66]
	s_waitcnt vmcnt(4) lgkmcnt(0)
	v_mul_f64 v[42:43], v[38:39], v[16:17]
	v_mul_f64 v[16:17], v[40:41], v[16:17]
	v_fma_f64 v[44:45], v[4:5], v[10:11], v[67:68]
	v_fma_f64 v[10:11], v[2:3], v[10:11], -v[12:13]
	v_add_f64 v[12:13], v[8:9], v[6:7]
	v_add_f64 v[34:35], v[34:35], v[36:37]
	ds_load_b128 v[2:5], v1 offset:1888
	ds_load_b128 v[6:9], v1 offset:1904
	v_fma_f64 v[40:41], v[40:41], v[14:15], v[42:43]
	v_fma_f64 v[14:15], v[38:39], v[14:15], -v[16:17]
	s_waitcnt vmcnt(3) lgkmcnt(1)
	v_mul_f64 v[36:37], v[2:3], v[20:21]
	v_mul_f64 v[20:21], v[4:5], v[20:21]
	s_waitcnt vmcnt(2) lgkmcnt(0)
	v_mul_f64 v[16:17], v[6:7], v[24:25]
	v_mul_f64 v[24:25], v[8:9], v[24:25]
	v_add_f64 v[10:11], v[12:13], v[10:11]
	v_add_f64 v[12:13], v[34:35], v[44:45]
	v_fma_f64 v[34:35], v[4:5], v[18:19], v[36:37]
	v_fma_f64 v[18:19], v[2:3], v[18:19], -v[20:21]
	v_fma_f64 v[8:9], v[8:9], v[22:23], v[16:17]
	v_fma_f64 v[6:7], v[6:7], v[22:23], -v[24:25]
	v_add_f64 v[14:15], v[10:11], v[14:15]
	v_add_f64 v[20:21], v[12:13], v[40:41]
	ds_load_b128 v[2:5], v1 offset:1920
	ds_load_b128 v[10:13], v1 offset:1936
	s_waitcnt vmcnt(1) lgkmcnt(1)
	v_mul_f64 v[36:37], v[2:3], v[28:29]
	v_mul_f64 v[28:29], v[4:5], v[28:29]
	v_add_f64 v[14:15], v[14:15], v[18:19]
	v_add_f64 v[16:17], v[20:21], v[34:35]
	s_waitcnt vmcnt(0) lgkmcnt(0)
	v_mul_f64 v[18:19], v[10:11], v[32:33]
	v_mul_f64 v[20:21], v[12:13], v[32:33]
	v_fma_f64 v[4:5], v[4:5], v[26:27], v[36:37]
	v_fma_f64 v[1:2], v[2:3], v[26:27], -v[28:29]
	v_add_f64 v[6:7], v[14:15], v[6:7]
	v_add_f64 v[8:9], v[16:17], v[8:9]
	v_fma_f64 v[12:13], v[12:13], v[30:31], v[18:19]
	v_fma_f64 v[10:11], v[10:11], v[30:31], -v[20:21]
	s_delay_alu instid0(VALU_DEP_4) | instskip(NEXT) | instid1(VALU_DEP_4)
	v_add_f64 v[1:2], v[6:7], v[1:2]
	v_add_f64 v[3:4], v[8:9], v[4:5]
	s_delay_alu instid0(VALU_DEP_2) | instskip(NEXT) | instid1(VALU_DEP_2)
	v_add_f64 v[1:2], v[1:2], v[10:11]
	v_add_f64 v[3:4], v[3:4], v[12:13]
	s_delay_alu instid0(VALU_DEP_2) | instskip(NEXT) | instid1(VALU_DEP_2)
	v_add_f64 v[1:2], v[57:58], -v[1:2]
	v_add_f64 v[3:4], v[59:60], -v[3:4]
	scratch_store_b128 off, v[1:4], off offset:32
	v_cmpx_lt_u32_e32 1, v169
	s_cbranch_execz .LBB124_389
; %bb.388:
	scratch_load_b128 v[1:4], v228, off
	v_mov_b32_e32 v5, 0
	s_delay_alu instid0(VALU_DEP_1)
	v_mov_b32_e32 v6, v5
	v_mov_b32_e32 v7, v5
	;; [unrolled: 1-line block ×3, first 2 shown]
	scratch_store_b128 off, v[5:8], off offset:16
	s_waitcnt vmcnt(0)
	ds_store_b128 v229, v[1:4]
.LBB124_389:
	s_or_b32 exec_lo, exec_lo, s2
	s_clause 0x4
	scratch_store_b32 off, v196, off offset:1116
	scratch_store_b32 off, v192, off offset:1112
	;; [unrolled: 1-line block ×5, first 2 shown]
	s_waitcnt lgkmcnt(0)
	s_waitcnt_vscnt null, 0x0
	s_barrier
	buffer_gl0_inv
	s_clause 0x7
	scratch_load_b128 v[2:5], off, off offset:32
	scratch_load_b128 v[6:9], off, off offset:48
	;; [unrolled: 1-line block ×8, first 2 shown]
	v_mov_b32_e32 v1, 0
	s_mov_b32 s2, exec_lo
	ds_load_b128 v[38:41], v1 offset:1008
	s_clause 0x1
	scratch_load_b128 v[34:37], off, off offset:160
	scratch_load_b128 v[42:45], off, off offset:16
	ds_load_b128 v[57:60], v1 offset:1024
	scratch_load_b128 v[61:64], off, off offset:176
	s_waitcnt vmcnt(10) lgkmcnt(1)
	v_mul_f64 v[65:66], v[40:41], v[4:5]
	v_mul_f64 v[4:5], v[38:39], v[4:5]
	s_delay_alu instid0(VALU_DEP_2) | instskip(NEXT) | instid1(VALU_DEP_2)
	v_fma_f64 v[91:92], v[38:39], v[2:3], -v[65:66]
	v_fma_f64 v[170:171], v[40:41], v[2:3], v[4:5]
	scratch_load_b128 v[38:41], off, off offset:192
	ds_load_b128 v[2:5], v1 offset:1040
	s_waitcnt vmcnt(10) lgkmcnt(1)
	v_mul_f64 v[69:70], v[57:58], v[8:9]
	v_mul_f64 v[8:9], v[59:60], v[8:9]
	ds_load_b128 v[65:68], v1 offset:1056
	s_waitcnt vmcnt(9) lgkmcnt(1)
	v_mul_f64 v[172:173], v[2:3], v[12:13]
	v_mul_f64 v[12:13], v[4:5], v[12:13]
	v_fma_f64 v[59:60], v[59:60], v[6:7], v[69:70]
	v_fma_f64 v[57:58], v[57:58], v[6:7], -v[8:9]
	v_add_f64 v[69:70], v[91:92], 0
	v_add_f64 v[91:92], v[170:171], 0
	scratch_load_b128 v[6:9], off, off offset:208
	v_fma_f64 v[172:173], v[4:5], v[10:11], v[172:173]
	v_fma_f64 v[174:175], v[2:3], v[10:11], -v[12:13]
	scratch_load_b128 v[10:13], off, off offset:224
	ds_load_b128 v[2:5], v1 offset:1072
	s_waitcnt vmcnt(10) lgkmcnt(1)
	v_mul_f64 v[170:171], v[65:66], v[16:17]
	v_mul_f64 v[16:17], v[67:68], v[16:17]
	v_add_f64 v[69:70], v[69:70], v[57:58]
	v_add_f64 v[91:92], v[91:92], v[59:60]
	s_waitcnt vmcnt(9) lgkmcnt(0)
	v_mul_f64 v[176:177], v[2:3], v[20:21]
	v_mul_f64 v[20:21], v[4:5], v[20:21]
	ds_load_b128 v[57:60], v1 offset:1088
	v_fma_f64 v[67:68], v[67:68], v[14:15], v[170:171]
	v_fma_f64 v[65:66], v[65:66], v[14:15], -v[16:17]
	scratch_load_b128 v[14:17], off, off offset:240
	v_add_f64 v[69:70], v[69:70], v[174:175]
	v_add_f64 v[91:92], v[91:92], v[172:173]
	v_fma_f64 v[172:173], v[4:5], v[18:19], v[176:177]
	v_fma_f64 v[174:175], v[2:3], v[18:19], -v[20:21]
	scratch_load_b128 v[18:21], off, off offset:256
	ds_load_b128 v[2:5], v1 offset:1104
	s_waitcnt vmcnt(10) lgkmcnt(1)
	v_mul_f64 v[170:171], v[57:58], v[24:25]
	v_mul_f64 v[24:25], v[59:60], v[24:25]
	s_waitcnt vmcnt(9) lgkmcnt(0)
	v_mul_f64 v[176:177], v[2:3], v[28:29]
	v_mul_f64 v[28:29], v[4:5], v[28:29]
	v_add_f64 v[69:70], v[69:70], v[65:66]
	v_add_f64 v[91:92], v[91:92], v[67:68]
	ds_load_b128 v[65:68], v1 offset:1120
	v_fma_f64 v[59:60], v[59:60], v[22:23], v[170:171]
	v_fma_f64 v[57:58], v[57:58], v[22:23], -v[24:25]
	scratch_load_b128 v[22:25], off, off offset:272
	v_add_f64 v[69:70], v[69:70], v[174:175]
	v_add_f64 v[91:92], v[91:92], v[172:173]
	v_fma_f64 v[172:173], v[4:5], v[26:27], v[176:177]
	v_fma_f64 v[174:175], v[2:3], v[26:27], -v[28:29]
	scratch_load_b128 v[26:29], off, off offset:288
	ds_load_b128 v[2:5], v1 offset:1136
	s_waitcnt vmcnt(10) lgkmcnt(1)
	v_mul_f64 v[170:171], v[65:66], v[32:33]
	v_mul_f64 v[32:33], v[67:68], v[32:33]
	s_waitcnt vmcnt(9) lgkmcnt(0)
	v_mul_f64 v[176:177], v[2:3], v[36:37]
	v_mul_f64 v[36:37], v[4:5], v[36:37]
	v_add_f64 v[69:70], v[69:70], v[57:58]
	v_add_f64 v[91:92], v[91:92], v[59:60]
	ds_load_b128 v[57:60], v1 offset:1152
	v_fma_f64 v[67:68], v[67:68], v[30:31], v[170:171]
	v_fma_f64 v[65:66], v[65:66], v[30:31], -v[32:33]
	scratch_load_b128 v[30:33], off, off offset:304
	v_add_f64 v[69:70], v[69:70], v[174:175]
	v_add_f64 v[91:92], v[91:92], v[172:173]
	v_fma_f64 v[174:175], v[4:5], v[34:35], v[176:177]
	v_fma_f64 v[176:177], v[2:3], v[34:35], -v[36:37]
	scratch_load_b128 v[34:37], off, off offset:320
	ds_load_b128 v[2:5], v1 offset:1168
	s_waitcnt vmcnt(9) lgkmcnt(1)
	v_mul_f64 v[170:171], v[57:58], v[63:64]
	v_mul_f64 v[172:173], v[59:60], v[63:64]
	v_add_f64 v[69:70], v[69:70], v[65:66]
	v_add_f64 v[67:68], v[91:92], v[67:68]
	ds_load_b128 v[63:66], v1 offset:1184
	v_fma_f64 v[170:171], v[59:60], v[61:62], v[170:171]
	v_fma_f64 v[61:62], v[57:58], v[61:62], -v[172:173]
	scratch_load_b128 v[57:60], off, off offset:336
	s_waitcnt vmcnt(9) lgkmcnt(1)
	v_mul_f64 v[91:92], v[2:3], v[40:41]
	v_mul_f64 v[40:41], v[4:5], v[40:41]
	v_add_f64 v[69:70], v[69:70], v[176:177]
	v_add_f64 v[67:68], v[67:68], v[174:175]
	s_delay_alu instid0(VALU_DEP_4) | instskip(NEXT) | instid1(VALU_DEP_4)
	v_fma_f64 v[91:92], v[4:5], v[38:39], v[91:92]
	v_fma_f64 v[174:175], v[2:3], v[38:39], -v[40:41]
	scratch_load_b128 v[38:41], off, off offset:352
	ds_load_b128 v[2:5], v1 offset:1200
	s_waitcnt vmcnt(9) lgkmcnt(1)
	v_mul_f64 v[172:173], v[63:64], v[8:9]
	v_mul_f64 v[8:9], v[65:66], v[8:9]
	s_waitcnt vmcnt(8) lgkmcnt(0)
	v_mul_f64 v[176:177], v[2:3], v[12:13]
	v_mul_f64 v[12:13], v[4:5], v[12:13]
	v_add_f64 v[61:62], v[69:70], v[61:62]
	v_add_f64 v[170:171], v[67:68], v[170:171]
	ds_load_b128 v[67:70], v1 offset:1216
	v_fma_f64 v[65:66], v[65:66], v[6:7], v[172:173]
	v_fma_f64 v[63:64], v[63:64], v[6:7], -v[8:9]
	scratch_load_b128 v[6:9], off, off offset:368
	v_fma_f64 v[172:173], v[4:5], v[10:11], v[176:177]
	v_add_f64 v[61:62], v[61:62], v[174:175]
	v_add_f64 v[91:92], v[170:171], v[91:92]
	v_fma_f64 v[174:175], v[2:3], v[10:11], -v[12:13]
	scratch_load_b128 v[10:13], off, off offset:384
	ds_load_b128 v[2:5], v1 offset:1232
	s_waitcnt vmcnt(9) lgkmcnt(1)
	v_mul_f64 v[170:171], v[67:68], v[16:17]
	v_mul_f64 v[16:17], v[69:70], v[16:17]
	v_add_f64 v[176:177], v[61:62], v[63:64]
	v_add_f64 v[65:66], v[91:92], v[65:66]
	s_waitcnt vmcnt(8) lgkmcnt(0)
	v_mul_f64 v[91:92], v[2:3], v[20:21]
	v_mul_f64 v[20:21], v[4:5], v[20:21]
	ds_load_b128 v[61:64], v1 offset:1248
	v_fma_f64 v[69:70], v[69:70], v[14:15], v[170:171]
	v_fma_f64 v[67:68], v[67:68], v[14:15], -v[16:17]
	scratch_load_b128 v[14:17], off, off offset:400
	v_add_f64 v[170:171], v[176:177], v[174:175]
	v_add_f64 v[65:66], v[65:66], v[172:173]
	v_fma_f64 v[91:92], v[4:5], v[18:19], v[91:92]
	v_fma_f64 v[174:175], v[2:3], v[18:19], -v[20:21]
	scratch_load_b128 v[18:21], off, off offset:416
	ds_load_b128 v[2:5], v1 offset:1264
	s_waitcnt vmcnt(9) lgkmcnt(1)
	v_mul_f64 v[172:173], v[61:62], v[24:25]
	v_mul_f64 v[24:25], v[63:64], v[24:25]
	s_waitcnt vmcnt(8) lgkmcnt(0)
	v_mul_f64 v[176:177], v[2:3], v[28:29]
	v_mul_f64 v[28:29], v[4:5], v[28:29]
	v_add_f64 v[170:171], v[170:171], v[67:68]
	v_add_f64 v[69:70], v[65:66], v[69:70]
	ds_load_b128 v[65:68], v1 offset:1280
	v_fma_f64 v[63:64], v[63:64], v[22:23], v[172:173]
	v_fma_f64 v[61:62], v[61:62], v[22:23], -v[24:25]
	scratch_load_b128 v[22:25], off, off offset:432
	v_fma_f64 v[172:173], v[4:5], v[26:27], v[176:177]
	v_add_f64 v[170:171], v[170:171], v[174:175]
	v_add_f64 v[69:70], v[69:70], v[91:92]
	v_fma_f64 v[174:175], v[2:3], v[26:27], -v[28:29]
	scratch_load_b128 v[26:29], off, off offset:448
	ds_load_b128 v[2:5], v1 offset:1296
	s_waitcnt vmcnt(9) lgkmcnt(1)
	v_mul_f64 v[91:92], v[65:66], v[32:33]
	v_mul_f64 v[32:33], v[67:68], v[32:33]
	s_waitcnt vmcnt(8) lgkmcnt(0)
	v_mul_f64 v[176:177], v[2:3], v[36:37]
	v_mul_f64 v[36:37], v[4:5], v[36:37]
	v_add_f64 v[170:171], v[170:171], v[61:62]
	v_add_f64 v[69:70], v[69:70], v[63:64]
	ds_load_b128 v[61:64], v1 offset:1312
	v_fma_f64 v[67:68], v[67:68], v[30:31], v[91:92]
	v_fma_f64 v[65:66], v[65:66], v[30:31], -v[32:33]
	scratch_load_b128 v[30:33], off, off offset:464
	v_add_f64 v[91:92], v[170:171], v[174:175]
	v_add_f64 v[69:70], v[69:70], v[172:173]
	v_fma_f64 v[172:173], v[4:5], v[34:35], v[176:177]
	v_fma_f64 v[174:175], v[2:3], v[34:35], -v[36:37]
	scratch_load_b128 v[34:37], off, off offset:480
	ds_load_b128 v[2:5], v1 offset:1328
	s_waitcnt vmcnt(9) lgkmcnt(1)
	v_mul_f64 v[170:171], v[61:62], v[59:60]
	v_mul_f64 v[59:60], v[63:64], v[59:60]
	s_waitcnt vmcnt(8) lgkmcnt(0)
	v_mul_f64 v[176:177], v[2:3], v[40:41]
	v_mul_f64 v[40:41], v[4:5], v[40:41]
	v_add_f64 v[91:92], v[91:92], v[65:66]
	v_add_f64 v[69:70], v[69:70], v[67:68]
	ds_load_b128 v[65:68], v1 offset:1344
	v_fma_f64 v[63:64], v[63:64], v[57:58], v[170:171]
	v_fma_f64 v[61:62], v[61:62], v[57:58], -v[59:60]
	scratch_load_b128 v[57:60], off, off offset:496
	v_add_f64 v[91:92], v[91:92], v[174:175]
	v_add_f64 v[69:70], v[69:70], v[172:173]
	v_fma_f64 v[172:173], v[4:5], v[38:39], v[176:177]
	;; [unrolled: 18-line block ×6, first 2 shown]
	v_fma_f64 v[176:177], v[2:3], v[34:35], -v[36:37]
	scratch_load_b128 v[34:37], off, off offset:640
	ds_load_b128 v[2:5], v1 offset:1488
	s_waitcnt vmcnt(9) lgkmcnt(1)
	v_mul_f64 v[170:171], v[65:66], v[59:60]
	v_mul_f64 v[172:173], v[67:68], v[59:60]
	v_add_f64 v[91:92], v[91:92], v[61:62]
	v_add_f64 v[63:64], v[69:70], v[63:64]
	s_waitcnt vmcnt(8) lgkmcnt(0)
	v_mul_f64 v[69:70], v[2:3], v[40:41]
	v_mul_f64 v[40:41], v[4:5], v[40:41]
	ds_load_b128 v[59:62], v1 offset:1504
	v_fma_f64 v[67:68], v[67:68], v[57:58], v[170:171]
	v_fma_f64 v[57:58], v[65:66], v[57:58], -v[172:173]
	v_add_f64 v[91:92], v[91:92], v[176:177]
	v_add_f64 v[170:171], v[63:64], v[174:175]
	scratch_load_b128 v[63:66], off, off offset:656
	v_fma_f64 v[174:175], v[4:5], v[38:39], v[69:70]
	v_fma_f64 v[176:177], v[2:3], v[38:39], -v[40:41]
	scratch_load_b128 v[38:41], off, off offset:672
	ds_load_b128 v[2:5], v1 offset:1520
	s_waitcnt vmcnt(9) lgkmcnt(1)
	v_mul_f64 v[172:173], v[59:60], v[8:9]
	v_mul_f64 v[8:9], v[61:62], v[8:9]
	v_add_f64 v[57:58], v[91:92], v[57:58]
	v_add_f64 v[91:92], v[170:171], v[67:68]
	s_waitcnt vmcnt(8) lgkmcnt(0)
	v_mul_f64 v[170:171], v[2:3], v[12:13]
	v_mul_f64 v[12:13], v[4:5], v[12:13]
	ds_load_b128 v[67:70], v1 offset:1536
	v_fma_f64 v[61:62], v[61:62], v[6:7], v[172:173]
	v_fma_f64 v[59:60], v[59:60], v[6:7], -v[8:9]
	scratch_load_b128 v[6:9], off, off offset:688
	v_add_f64 v[57:58], v[57:58], v[176:177]
	v_add_f64 v[91:92], v[91:92], v[174:175]
	v_fma_f64 v[170:171], v[4:5], v[10:11], v[170:171]
	v_fma_f64 v[174:175], v[2:3], v[10:11], -v[12:13]
	scratch_load_b128 v[10:13], off, off offset:704
	ds_load_b128 v[2:5], v1 offset:1552
	s_waitcnt vmcnt(9) lgkmcnt(1)
	v_mul_f64 v[172:173], v[67:68], v[16:17]
	v_mul_f64 v[16:17], v[69:70], v[16:17]
	v_add_f64 v[176:177], v[57:58], v[59:60]
	v_add_f64 v[61:62], v[91:92], v[61:62]
	s_waitcnt vmcnt(8) lgkmcnt(0)
	v_mul_f64 v[91:92], v[2:3], v[20:21]
	v_mul_f64 v[20:21], v[4:5], v[20:21]
	ds_load_b128 v[57:60], v1 offset:1568
	v_fma_f64 v[69:70], v[69:70], v[14:15], v[172:173]
	v_fma_f64 v[67:68], v[67:68], v[14:15], -v[16:17]
	scratch_load_b128 v[14:17], off, off offset:720
	v_add_f64 v[172:173], v[176:177], v[174:175]
	v_add_f64 v[61:62], v[61:62], v[170:171]
	v_fma_f64 v[91:92], v[4:5], v[18:19], v[91:92]
	v_fma_f64 v[174:175], v[2:3], v[18:19], -v[20:21]
	scratch_load_b128 v[18:21], off, off offset:736
	ds_load_b128 v[2:5], v1 offset:1584
	s_waitcnt vmcnt(9) lgkmcnt(1)
	v_mul_f64 v[170:171], v[57:58], v[24:25]
	v_mul_f64 v[24:25], v[59:60], v[24:25]
	s_waitcnt vmcnt(8) lgkmcnt(0)
	v_mul_f64 v[176:177], v[2:3], v[28:29]
	v_mul_f64 v[28:29], v[4:5], v[28:29]
	v_add_f64 v[172:173], v[172:173], v[67:68]
	v_add_f64 v[61:62], v[61:62], v[69:70]
	ds_load_b128 v[67:70], v1 offset:1600
	v_fma_f64 v[59:60], v[59:60], v[22:23], v[170:171]
	v_fma_f64 v[57:58], v[57:58], v[22:23], -v[24:25]
	scratch_load_b128 v[22:25], off, off offset:752
	v_add_f64 v[170:171], v[172:173], v[174:175]
	v_add_f64 v[61:62], v[61:62], v[91:92]
	v_fma_f64 v[172:173], v[4:5], v[26:27], v[176:177]
	v_fma_f64 v[174:175], v[2:3], v[26:27], -v[28:29]
	scratch_load_b128 v[26:29], off, off offset:768
	ds_load_b128 v[2:5], v1 offset:1616
	s_waitcnt vmcnt(9) lgkmcnt(1)
	v_mul_f64 v[91:92], v[67:68], v[32:33]
	v_mul_f64 v[32:33], v[69:70], v[32:33]
	s_waitcnt vmcnt(8) lgkmcnt(0)
	v_mul_f64 v[176:177], v[2:3], v[36:37]
	v_mul_f64 v[36:37], v[4:5], v[36:37]
	v_add_f64 v[170:171], v[170:171], v[57:58]
	v_add_f64 v[61:62], v[61:62], v[59:60]
	ds_load_b128 v[57:60], v1 offset:1632
	v_fma_f64 v[69:70], v[69:70], v[30:31], v[91:92]
	v_fma_f64 v[67:68], v[67:68], v[30:31], -v[32:33]
	scratch_load_b128 v[30:33], off, off offset:784
	v_add_f64 v[91:92], v[170:171], v[174:175]
	v_add_f64 v[61:62], v[61:62], v[172:173]
	v_fma_f64 v[174:175], v[4:5], v[34:35], v[176:177]
	v_fma_f64 v[176:177], v[2:3], v[34:35], -v[36:37]
	scratch_load_b128 v[34:37], off, off offset:800
	ds_load_b128 v[2:5], v1 offset:1648
	s_waitcnt vmcnt(9) lgkmcnt(1)
	v_mul_f64 v[170:171], v[57:58], v[65:66]
	v_mul_f64 v[172:173], v[59:60], v[65:66]
	v_add_f64 v[91:92], v[91:92], v[67:68]
	v_add_f64 v[61:62], v[61:62], v[69:70]
	s_waitcnt vmcnt(8) lgkmcnt(0)
	v_mul_f64 v[69:70], v[2:3], v[40:41]
	v_mul_f64 v[40:41], v[4:5], v[40:41]
	ds_load_b128 v[65:68], v1 offset:1664
	v_fma_f64 v[170:171], v[59:60], v[63:64], v[170:171]
	v_fma_f64 v[63:64], v[57:58], v[63:64], -v[172:173]
	scratch_load_b128 v[57:60], off, off offset:816
	v_add_f64 v[91:92], v[91:92], v[176:177]
	v_add_f64 v[61:62], v[61:62], v[174:175]
	v_fma_f64 v[69:70], v[4:5], v[38:39], v[69:70]
	v_fma_f64 v[174:175], v[2:3], v[38:39], -v[40:41]
	scratch_load_b128 v[38:41], off, off offset:832
	ds_load_b128 v[2:5], v1 offset:1680
	s_waitcnt vmcnt(9) lgkmcnt(1)
	v_mul_f64 v[172:173], v[65:66], v[8:9]
	v_mul_f64 v[8:9], v[67:68], v[8:9]
	s_waitcnt vmcnt(8) lgkmcnt(0)
	v_mul_f64 v[176:177], v[2:3], v[12:13]
	v_mul_f64 v[12:13], v[4:5], v[12:13]
	v_add_f64 v[91:92], v[91:92], v[63:64]
	v_add_f64 v[170:171], v[61:62], v[170:171]
	ds_load_b128 v[61:64], v1 offset:1696
	v_fma_f64 v[67:68], v[67:68], v[6:7], v[172:173]
	v_fma_f64 v[65:66], v[65:66], v[6:7], -v[8:9]
	scratch_load_b128 v[6:9], off, off offset:848
	v_fma_f64 v[172:173], v[4:5], v[10:11], v[176:177]
	v_add_f64 v[91:92], v[91:92], v[174:175]
	v_add_f64 v[69:70], v[170:171], v[69:70]
	v_fma_f64 v[174:175], v[2:3], v[10:11], -v[12:13]
	scratch_load_b128 v[10:13], off, off offset:864
	ds_load_b128 v[2:5], v1 offset:1712
	s_waitcnt vmcnt(9) lgkmcnt(1)
	v_mul_f64 v[170:171], v[61:62], v[16:17]
	v_mul_f64 v[16:17], v[63:64], v[16:17]
	s_waitcnt vmcnt(8) lgkmcnt(0)
	v_mul_f64 v[176:177], v[2:3], v[20:21]
	v_mul_f64 v[20:21], v[4:5], v[20:21]
	v_add_f64 v[91:92], v[91:92], v[65:66]
	v_add_f64 v[69:70], v[69:70], v[67:68]
	ds_load_b128 v[65:68], v1 offset:1728
	v_fma_f64 v[63:64], v[63:64], v[14:15], v[170:171]
	v_fma_f64 v[61:62], v[61:62], v[14:15], -v[16:17]
	scratch_load_b128 v[14:17], off, off offset:880
	v_add_f64 v[91:92], v[91:92], v[174:175]
	v_add_f64 v[69:70], v[69:70], v[172:173]
	v_fma_f64 v[172:173], v[4:5], v[18:19], v[176:177]
	v_fma_f64 v[174:175], v[2:3], v[18:19], -v[20:21]
	scratch_load_b128 v[18:21], off, off offset:896
	ds_load_b128 v[2:5], v1 offset:1744
	s_waitcnt vmcnt(9) lgkmcnt(1)
	v_mul_f64 v[170:171], v[65:66], v[24:25]
	v_mul_f64 v[24:25], v[67:68], v[24:25]
	s_waitcnt vmcnt(8) lgkmcnt(0)
	v_mul_f64 v[176:177], v[2:3], v[28:29]
	v_mul_f64 v[28:29], v[4:5], v[28:29]
	v_add_f64 v[91:92], v[91:92], v[61:62]
	v_add_f64 v[69:70], v[69:70], v[63:64]
	ds_load_b128 v[61:64], v1 offset:1760
	v_fma_f64 v[67:68], v[67:68], v[22:23], v[170:171]
	v_fma_f64 v[65:66], v[65:66], v[22:23], -v[24:25]
	scratch_load_b128 v[22:25], off, off offset:912
	v_add_f64 v[91:92], v[91:92], v[174:175]
	v_add_f64 v[69:70], v[69:70], v[172:173]
	v_fma_f64 v[172:173], v[4:5], v[26:27], v[176:177]
	;; [unrolled: 18-line block ×3, first 2 shown]
	v_fma_f64 v[176:177], v[2:3], v[34:35], -v[36:37]
	scratch_load_b128 v[34:37], off, off offset:960
	ds_load_b128 v[2:5], v1 offset:1808
	s_waitcnt vmcnt(9) lgkmcnt(1)
	v_mul_f64 v[170:171], v[65:66], v[59:60]
	v_mul_f64 v[172:173], v[67:68], v[59:60]
	v_add_f64 v[91:92], v[91:92], v[61:62]
	v_add_f64 v[63:64], v[69:70], v[63:64]
	s_waitcnt vmcnt(8) lgkmcnt(0)
	v_mul_f64 v[69:70], v[2:3], v[40:41]
	v_mul_f64 v[40:41], v[4:5], v[40:41]
	ds_load_b128 v[59:62], v1 offset:1824
	v_fma_f64 v[67:68], v[67:68], v[57:58], v[170:171]
	v_fma_f64 v[57:58], v[65:66], v[57:58], -v[172:173]
	v_add_f64 v[65:66], v[91:92], v[176:177]
	v_add_f64 v[63:64], v[63:64], v[174:175]
	s_waitcnt vmcnt(7) lgkmcnt(0)
	v_mul_f64 v[91:92], v[59:60], v[8:9]
	v_mul_f64 v[8:9], v[61:62], v[8:9]
	v_fma_f64 v[69:70], v[4:5], v[38:39], v[69:70]
	v_fma_f64 v[170:171], v[2:3], v[38:39], -v[40:41]
	ds_load_b128 v[2:5], v1 offset:1840
	ds_load_b128 v[38:41], v1 offset:1856
	v_add_f64 v[57:58], v[65:66], v[57:58]
	v_add_f64 v[63:64], v[63:64], v[67:68]
	s_waitcnt vmcnt(6) lgkmcnt(1)
	v_mul_f64 v[65:66], v[2:3], v[12:13]
	v_mul_f64 v[12:13], v[4:5], v[12:13]
	v_fma_f64 v[61:62], v[61:62], v[6:7], v[91:92]
	v_fma_f64 v[6:7], v[59:60], v[6:7], -v[8:9]
	s_waitcnt vmcnt(5) lgkmcnt(0)
	v_mul_f64 v[59:60], v[38:39], v[16:17]
	v_mul_f64 v[16:17], v[40:41], v[16:17]
	v_add_f64 v[8:9], v[57:58], v[170:171]
	v_add_f64 v[57:58], v[63:64], v[69:70]
	v_fma_f64 v[63:64], v[4:5], v[10:11], v[65:66]
	v_fma_f64 v[10:11], v[2:3], v[10:11], -v[12:13]
	v_fma_f64 v[40:41], v[40:41], v[14:15], v[59:60]
	v_fma_f64 v[14:15], v[38:39], v[14:15], -v[16:17]
	v_add_f64 v[12:13], v[8:9], v[6:7]
	v_add_f64 v[57:58], v[57:58], v[61:62]
	ds_load_b128 v[2:5], v1 offset:1872
	ds_load_b128 v[6:9], v1 offset:1888
	s_waitcnt vmcnt(4) lgkmcnt(1)
	v_mul_f64 v[61:62], v[2:3], v[20:21]
	v_mul_f64 v[20:21], v[4:5], v[20:21]
	s_waitcnt vmcnt(3) lgkmcnt(0)
	v_mul_f64 v[16:17], v[6:7], v[24:25]
	v_mul_f64 v[24:25], v[8:9], v[24:25]
	v_add_f64 v[10:11], v[12:13], v[10:11]
	v_add_f64 v[12:13], v[57:58], v[63:64]
	v_fma_f64 v[38:39], v[4:5], v[18:19], v[61:62]
	v_fma_f64 v[18:19], v[2:3], v[18:19], -v[20:21]
	v_fma_f64 v[8:9], v[8:9], v[22:23], v[16:17]
	v_fma_f64 v[6:7], v[6:7], v[22:23], -v[24:25]
	v_add_f64 v[14:15], v[10:11], v[14:15]
	v_add_f64 v[20:21], v[12:13], v[40:41]
	ds_load_b128 v[2:5], v1 offset:1904
	ds_load_b128 v[10:13], v1 offset:1920
	s_waitcnt vmcnt(2) lgkmcnt(1)
	v_mul_f64 v[40:41], v[2:3], v[28:29]
	v_mul_f64 v[28:29], v[4:5], v[28:29]
	v_add_f64 v[14:15], v[14:15], v[18:19]
	v_add_f64 v[16:17], v[20:21], v[38:39]
	s_waitcnt vmcnt(1) lgkmcnt(0)
	v_mul_f64 v[18:19], v[10:11], v[32:33]
	v_mul_f64 v[20:21], v[12:13], v[32:33]
	v_fma_f64 v[22:23], v[4:5], v[26:27], v[40:41]
	v_fma_f64 v[24:25], v[2:3], v[26:27], -v[28:29]
	ds_load_b128 v[2:5], v1 offset:1936
	v_add_f64 v[6:7], v[14:15], v[6:7]
	v_add_f64 v[8:9], v[16:17], v[8:9]
	v_fma_f64 v[12:13], v[12:13], v[30:31], v[18:19]
	v_fma_f64 v[10:11], v[10:11], v[30:31], -v[20:21]
	s_waitcnt vmcnt(0) lgkmcnt(0)
	v_mul_f64 v[14:15], v[2:3], v[36:37]
	v_mul_f64 v[16:17], v[4:5], v[36:37]
	v_add_f64 v[6:7], v[6:7], v[24:25]
	v_add_f64 v[8:9], v[8:9], v[22:23]
	s_delay_alu instid0(VALU_DEP_4) | instskip(NEXT) | instid1(VALU_DEP_4)
	v_fma_f64 v[4:5], v[4:5], v[34:35], v[14:15]
	v_fma_f64 v[2:3], v[2:3], v[34:35], -v[16:17]
	s_delay_alu instid0(VALU_DEP_4) | instskip(NEXT) | instid1(VALU_DEP_4)
	v_add_f64 v[6:7], v[6:7], v[10:11]
	v_add_f64 v[8:9], v[8:9], v[12:13]
	s_delay_alu instid0(VALU_DEP_2) | instskip(NEXT) | instid1(VALU_DEP_2)
	v_add_f64 v[2:3], v[6:7], v[2:3]
	v_add_f64 v[4:5], v[8:9], v[4:5]
	s_delay_alu instid0(VALU_DEP_2) | instskip(NEXT) | instid1(VALU_DEP_2)
	v_add_f64 v[2:3], v[42:43], -v[2:3]
	v_add_f64 v[4:5], v[44:45], -v[4:5]
	scratch_store_b128 off, v[2:5], off offset:16
	v_cmpx_ne_u32_e32 0, v169
	s_cbranch_execz .LBB124_391
; %bb.390:
	scratch_load_b128 v[5:8], off, off
	v_mov_b32_e32 v2, v1
	v_mov_b32_e32 v3, v1
	;; [unrolled: 1-line block ×3, first 2 shown]
	scratch_store_b128 off, v[1:4], off
	s_waitcnt vmcnt(0)
	ds_store_b128 v229, v[5:8]
.LBB124_391:
	s_or_b32 exec_lo, exec_lo, s2
	scratch_store_b32 off, v55, off offset:1120 ; 4-byte Folded Spill
	s_waitcnt lgkmcnt(0)
	s_waitcnt_vscnt null, 0x0
	s_barrier
	buffer_gl0_inv
	s_clause 0x8
	scratch_load_b128 v[2:5], off, off offset:16
	scratch_load_b128 v[6:9], off, off offset:32
	;; [unrolled: 1-line block ×9, first 2 shown]
	ds_load_b128 v[42:45], v1 offset:992
	ds_load_b128 v[38:41], v1 offset:1008
	s_clause 0x1
	scratch_load_b128 v[57:60], off, off
	scratch_load_b128 v[61:64], off, off offset:160
	v_dual_mov_b32 v192, v204 :: v_dual_mov_b32 v185, v198
	s_and_b32 vcc_lo, exec_lo, s14
	s_waitcnt vmcnt(10) lgkmcnt(1)
	v_mul_f64 v[65:66], v[44:45], v[4:5]
	v_mul_f64 v[4:5], v[42:43], v[4:5]
	s_waitcnt vmcnt(9) lgkmcnt(0)
	v_mul_f64 v[69:70], v[38:39], v[8:9]
	v_mul_f64 v[8:9], v[40:41], v[8:9]
	s_delay_alu instid0(VALU_DEP_4) | instskip(NEXT) | instid1(VALU_DEP_4)
	v_fma_f64 v[91:92], v[42:43], v[2:3], -v[65:66]
	v_fma_f64 v[170:171], v[44:45], v[2:3], v[4:5]
	ds_load_b128 v[2:5], v1 offset:1024
	ds_load_b128 v[65:68], v1 offset:1040
	scratch_load_b128 v[42:45], off, off offset:176
	v_fma_f64 v[40:41], v[40:41], v[6:7], v[69:70]
	v_fma_f64 v[38:39], v[38:39], v[6:7], -v[8:9]
	scratch_load_b128 v[6:9], off, off offset:192
	s_waitcnt vmcnt(10) lgkmcnt(1)
	v_mul_f64 v[172:173], v[2:3], v[12:13]
	v_mul_f64 v[12:13], v[4:5], v[12:13]
	v_add_f64 v[69:70], v[91:92], 0
	v_add_f64 v[91:92], v[170:171], 0
	s_waitcnt vmcnt(9) lgkmcnt(0)
	v_mul_f64 v[170:171], v[65:66], v[16:17]
	v_mul_f64 v[16:17], v[67:68], v[16:17]
	v_fma_f64 v[172:173], v[4:5], v[10:11], v[172:173]
	v_fma_f64 v[174:175], v[2:3], v[10:11], -v[12:13]
	ds_load_b128 v[2:5], v1 offset:1056
	scratch_load_b128 v[10:13], off, off offset:208
	v_add_f64 v[69:70], v[69:70], v[38:39]
	v_add_f64 v[91:92], v[91:92], v[40:41]
	ds_load_b128 v[38:41], v1 offset:1072
	v_fma_f64 v[67:68], v[67:68], v[14:15], v[170:171]
	v_fma_f64 v[65:66], v[65:66], v[14:15], -v[16:17]
	scratch_load_b128 v[14:17], off, off offset:224
	s_waitcnt vmcnt(10) lgkmcnt(1)
	v_mul_f64 v[176:177], v[2:3], v[20:21]
	v_mul_f64 v[20:21], v[4:5], v[20:21]
	s_waitcnt vmcnt(9) lgkmcnt(0)
	v_mul_f64 v[170:171], v[38:39], v[24:25]
	v_mul_f64 v[24:25], v[40:41], v[24:25]
	v_add_f64 v[69:70], v[69:70], v[174:175]
	v_add_f64 v[91:92], v[91:92], v[172:173]
	v_fma_f64 v[172:173], v[4:5], v[18:19], v[176:177]
	v_fma_f64 v[174:175], v[2:3], v[18:19], -v[20:21]
	ds_load_b128 v[2:5], v1 offset:1088
	scratch_load_b128 v[18:21], off, off offset:240
	v_fma_f64 v[40:41], v[40:41], v[22:23], v[170:171]
	v_fma_f64 v[38:39], v[38:39], v[22:23], -v[24:25]
	scratch_load_b128 v[22:25], off, off offset:256
	v_add_f64 v[69:70], v[69:70], v[65:66]
	v_add_f64 v[91:92], v[91:92], v[67:68]
	ds_load_b128 v[65:68], v1 offset:1104
	s_waitcnt vmcnt(10) lgkmcnt(1)
	v_mul_f64 v[176:177], v[2:3], v[28:29]
	v_mul_f64 v[28:29], v[4:5], v[28:29]
	s_waitcnt vmcnt(9) lgkmcnt(0)
	v_mul_f64 v[170:171], v[65:66], v[32:33]
	v_mul_f64 v[32:33], v[67:68], v[32:33]
	v_add_f64 v[69:70], v[69:70], v[174:175]
	v_add_f64 v[91:92], v[91:92], v[172:173]
	v_fma_f64 v[172:173], v[4:5], v[26:27], v[176:177]
	v_fma_f64 v[174:175], v[2:3], v[26:27], -v[28:29]
	ds_load_b128 v[2:5], v1 offset:1120
	scratch_load_b128 v[26:29], off, off offset:272
	v_fma_f64 v[67:68], v[67:68], v[30:31], v[170:171]
	v_fma_f64 v[65:66], v[65:66], v[30:31], -v[32:33]
	scratch_load_b128 v[30:33], off, off offset:288
	v_add_f64 v[69:70], v[69:70], v[38:39]
	v_add_f64 v[91:92], v[91:92], v[40:41]
	ds_load_b128 v[38:41], v1 offset:1136
	s_waitcnt vmcnt(10) lgkmcnt(1)
	v_mul_f64 v[176:177], v[2:3], v[36:37]
	v_mul_f64 v[36:37], v[4:5], v[36:37]
	s_waitcnt vmcnt(8) lgkmcnt(0)
	v_mul_f64 v[170:171], v[38:39], v[63:64]
	v_add_f64 v[69:70], v[69:70], v[174:175]
	v_add_f64 v[91:92], v[91:92], v[172:173]
	v_mul_f64 v[172:173], v[40:41], v[63:64]
	v_fma_f64 v[174:175], v[4:5], v[34:35], v[176:177]
	v_fma_f64 v[176:177], v[2:3], v[34:35], -v[36:37]
	ds_load_b128 v[2:5], v1 offset:1152
	scratch_load_b128 v[34:37], off, off offset:304
	v_fma_f64 v[170:171], v[40:41], v[61:62], v[170:171]
	v_add_f64 v[69:70], v[69:70], v[65:66]
	v_add_f64 v[67:68], v[91:92], v[67:68]
	ds_load_b128 v[63:66], v1 offset:1168
	v_fma_f64 v[61:62], v[38:39], v[61:62], -v[172:173]
	scratch_load_b128 v[38:41], off, off offset:320
	s_waitcnt vmcnt(9) lgkmcnt(1)
	v_mul_f64 v[91:92], v[2:3], v[44:45]
	v_mul_f64 v[44:45], v[4:5], v[44:45]
	s_waitcnt vmcnt(8) lgkmcnt(0)
	v_mul_f64 v[172:173], v[63:64], v[8:9]
	v_mul_f64 v[8:9], v[65:66], v[8:9]
	v_add_f64 v[69:70], v[69:70], v[176:177]
	v_add_f64 v[67:68], v[67:68], v[174:175]
	v_fma_f64 v[91:92], v[4:5], v[42:43], v[91:92]
	v_fma_f64 v[174:175], v[2:3], v[42:43], -v[44:45]
	ds_load_b128 v[2:5], v1 offset:1184
	scratch_load_b128 v[42:45], off, off offset:336
	v_fma_f64 v[65:66], v[65:66], v[6:7], v[172:173]
	v_fma_f64 v[63:64], v[63:64], v[6:7], -v[8:9]
	scratch_load_b128 v[6:9], off, off offset:352
	v_add_f64 v[61:62], v[69:70], v[61:62]
	v_add_f64 v[170:171], v[67:68], v[170:171]
	ds_load_b128 v[67:70], v1 offset:1200
	s_waitcnt vmcnt(9) lgkmcnt(1)
	v_mul_f64 v[176:177], v[2:3], v[12:13]
	v_mul_f64 v[12:13], v[4:5], v[12:13]
	v_add_f64 v[61:62], v[61:62], v[174:175]
	v_add_f64 v[91:92], v[170:171], v[91:92]
	s_waitcnt vmcnt(8) lgkmcnt(0)
	v_mul_f64 v[170:171], v[67:68], v[16:17]
	v_mul_f64 v[16:17], v[69:70], v[16:17]
	v_fma_f64 v[172:173], v[4:5], v[10:11], v[176:177]
	v_fma_f64 v[174:175], v[2:3], v[10:11], -v[12:13]
	ds_load_b128 v[2:5], v1 offset:1216
	scratch_load_b128 v[10:13], off, off offset:368
	v_add_f64 v[176:177], v[61:62], v[63:64]
	v_add_f64 v[65:66], v[91:92], v[65:66]
	ds_load_b128 v[61:64], v1 offset:1232
	s_waitcnt vmcnt(8) lgkmcnt(1)
	v_mul_f64 v[91:92], v[2:3], v[20:21]
	v_mul_f64 v[20:21], v[4:5], v[20:21]
	v_fma_f64 v[69:70], v[69:70], v[14:15], v[170:171]
	v_fma_f64 v[67:68], v[67:68], v[14:15], -v[16:17]
	scratch_load_b128 v[14:17], off, off offset:384
	v_add_f64 v[170:171], v[176:177], v[174:175]
	v_add_f64 v[65:66], v[65:66], v[172:173]
	s_waitcnt vmcnt(8) lgkmcnt(0)
	v_mul_f64 v[172:173], v[61:62], v[24:25]
	v_mul_f64 v[24:25], v[63:64], v[24:25]
	v_fma_f64 v[91:92], v[4:5], v[18:19], v[91:92]
	v_fma_f64 v[174:175], v[2:3], v[18:19], -v[20:21]
	ds_load_b128 v[2:5], v1 offset:1248
	scratch_load_b128 v[18:21], off, off offset:400
	v_add_f64 v[170:171], v[170:171], v[67:68]
	v_add_f64 v[69:70], v[65:66], v[69:70]
	ds_load_b128 v[65:68], v1 offset:1264
	s_waitcnt vmcnt(8) lgkmcnt(1)
	v_mul_f64 v[176:177], v[2:3], v[28:29]
	v_mul_f64 v[28:29], v[4:5], v[28:29]
	v_fma_f64 v[63:64], v[63:64], v[22:23], v[172:173]
	v_fma_f64 v[61:62], v[61:62], v[22:23], -v[24:25]
	scratch_load_b128 v[22:25], off, off offset:416
	;; [unrolled: 18-line block ×4, first 2 shown]
	s_waitcnt vmcnt(8) lgkmcnt(0)
	v_mul_f64 v[170:171], v[65:66], v[8:9]
	v_mul_f64 v[8:9], v[67:68], v[8:9]
	v_add_f64 v[91:92], v[91:92], v[174:175]
	v_add_f64 v[69:70], v[69:70], v[172:173]
	v_fma_f64 v[172:173], v[4:5], v[42:43], v[176:177]
	v_fma_f64 v[174:175], v[2:3], v[42:43], -v[44:45]
	ds_load_b128 v[2:5], v1 offset:1344
	scratch_load_b128 v[42:45], off, off offset:496
	v_fma_f64 v[67:68], v[67:68], v[6:7], v[170:171]
	v_fma_f64 v[65:66], v[65:66], v[6:7], -v[8:9]
	scratch_load_b128 v[6:9], off, off offset:512
	v_add_f64 v[91:92], v[91:92], v[61:62]
	v_add_f64 v[69:70], v[69:70], v[63:64]
	ds_load_b128 v[61:64], v1 offset:1360
	s_waitcnt vmcnt(9) lgkmcnt(1)
	v_mul_f64 v[176:177], v[2:3], v[12:13]
	v_mul_f64 v[12:13], v[4:5], v[12:13]
	s_waitcnt vmcnt(8) lgkmcnt(0)
	v_mul_f64 v[170:171], v[61:62], v[16:17]
	v_mul_f64 v[16:17], v[63:64], v[16:17]
	v_add_f64 v[91:92], v[91:92], v[174:175]
	v_add_f64 v[69:70], v[69:70], v[172:173]
	v_fma_f64 v[172:173], v[4:5], v[10:11], v[176:177]
	v_fma_f64 v[174:175], v[2:3], v[10:11], -v[12:13]
	ds_load_b128 v[2:5], v1 offset:1376
	scratch_load_b128 v[10:13], off, off offset:528
	v_fma_f64 v[63:64], v[63:64], v[14:15], v[170:171]
	v_fma_f64 v[61:62], v[61:62], v[14:15], -v[16:17]
	scratch_load_b128 v[14:17], off, off offset:544
	v_add_f64 v[91:92], v[91:92], v[65:66]
	v_add_f64 v[69:70], v[69:70], v[67:68]
	ds_load_b128 v[65:68], v1 offset:1392
	s_waitcnt vmcnt(9) lgkmcnt(1)
	v_mul_f64 v[176:177], v[2:3], v[20:21]
	v_mul_f64 v[20:21], v[4:5], v[20:21]
	;; [unrolled: 18-line block ×15, first 2 shown]
	s_waitcnt vmcnt(8) lgkmcnt(0)
	v_mul_f64 v[170:171], v[61:62], v[8:9]
	v_mul_f64 v[8:9], v[63:64], v[8:9]
	v_add_f64 v[91:92], v[91:92], v[174:175]
	v_add_f64 v[69:70], v[69:70], v[172:173]
	v_fma_f64 v[172:173], v[4:5], v[42:43], v[176:177]
	v_fma_f64 v[174:175], v[2:3], v[42:43], -v[44:45]
	ds_load_b128 v[2:5], v1 offset:1824
	ds_load_b128 v[42:45], v1 offset:1840
	v_fma_f64 v[63:64], v[63:64], v[6:7], v[170:171]
	v_fma_f64 v[6:7], v[61:62], v[6:7], -v[8:9]
	v_add_f64 v[65:66], v[91:92], v[65:66]
	v_add_f64 v[67:68], v[69:70], v[67:68]
	s_waitcnt vmcnt(7) lgkmcnt(1)
	v_mul_f64 v[69:70], v[2:3], v[12:13]
	v_mul_f64 v[12:13], v[4:5], v[12:13]
	s_delay_alu instid0(VALU_DEP_4) | instskip(NEXT) | instid1(VALU_DEP_4)
	v_add_f64 v[8:9], v[65:66], v[174:175]
	v_add_f64 v[61:62], v[67:68], v[172:173]
	s_waitcnt vmcnt(6) lgkmcnt(0)
	v_mul_f64 v[65:66], v[42:43], v[16:17]
	v_mul_f64 v[16:17], v[44:45], v[16:17]
	v_fma_f64 v[67:68], v[4:5], v[10:11], v[69:70]
	v_fma_f64 v[10:11], v[2:3], v[10:11], -v[12:13]
	v_add_f64 v[12:13], v[8:9], v[6:7]
	v_add_f64 v[61:62], v[61:62], v[63:64]
	ds_load_b128 v[2:5], v1 offset:1856
	ds_load_b128 v[6:9], v1 offset:1872
	v_fma_f64 v[44:45], v[44:45], v[14:15], v[65:66]
	v_fma_f64 v[14:15], v[42:43], v[14:15], -v[16:17]
	s_waitcnt vmcnt(5) lgkmcnt(1)
	v_mul_f64 v[63:64], v[2:3], v[20:21]
	v_mul_f64 v[20:21], v[4:5], v[20:21]
	s_waitcnt vmcnt(4) lgkmcnt(0)
	v_mul_f64 v[16:17], v[6:7], v[24:25]
	v_mul_f64 v[24:25], v[8:9], v[24:25]
	v_add_f64 v[10:11], v[12:13], v[10:11]
	v_add_f64 v[12:13], v[61:62], v[67:68]
	v_fma_f64 v[42:43], v[4:5], v[18:19], v[63:64]
	v_fma_f64 v[18:19], v[2:3], v[18:19], -v[20:21]
	v_fma_f64 v[8:9], v[8:9], v[22:23], v[16:17]
	v_fma_f64 v[6:7], v[6:7], v[22:23], -v[24:25]
	v_add_f64 v[14:15], v[10:11], v[14:15]
	v_add_f64 v[20:21], v[12:13], v[44:45]
	ds_load_b128 v[2:5], v1 offset:1888
	ds_load_b128 v[10:13], v1 offset:1904
	s_waitcnt vmcnt(3) lgkmcnt(1)
	v_mul_f64 v[44:45], v[2:3], v[28:29]
	v_mul_f64 v[28:29], v[4:5], v[28:29]
	v_add_f64 v[14:15], v[14:15], v[18:19]
	v_add_f64 v[16:17], v[20:21], v[42:43]
	s_waitcnt vmcnt(2) lgkmcnt(0)
	v_mul_f64 v[18:19], v[10:11], v[32:33]
	v_mul_f64 v[20:21], v[12:13], v[32:33]
	v_fma_f64 v[22:23], v[4:5], v[26:27], v[44:45]
	v_fma_f64 v[24:25], v[2:3], v[26:27], -v[28:29]
	v_add_f64 v[14:15], v[14:15], v[6:7]
	v_add_f64 v[16:17], v[16:17], v[8:9]
	ds_load_b128 v[2:5], v1 offset:1920
	ds_load_b128 v[6:9], v1 offset:1936
	v_fma_f64 v[12:13], v[12:13], v[30:31], v[18:19]
	v_fma_f64 v[10:11], v[10:11], v[30:31], -v[20:21]
	s_waitcnt vmcnt(1) lgkmcnt(1)
	v_mul_f64 v[26:27], v[2:3], v[36:37]
	v_mul_f64 v[28:29], v[4:5], v[36:37]
	s_waitcnt vmcnt(0) lgkmcnt(0)
	v_mul_f64 v[18:19], v[6:7], v[40:41]
	v_mul_f64 v[20:21], v[8:9], v[40:41]
	v_add_f64 v[14:15], v[14:15], v[24:25]
	v_add_f64 v[16:17], v[16:17], v[22:23]
	v_fma_f64 v[4:5], v[4:5], v[34:35], v[26:27]
	v_fma_f64 v[1:2], v[2:3], v[34:35], -v[28:29]
	v_fma_f64 v[8:9], v[8:9], v[38:39], v[18:19]
	v_fma_f64 v[6:7], v[6:7], v[38:39], -v[20:21]
	v_add_f64 v[10:11], v[14:15], v[10:11]
	v_add_f64 v[12:13], v[16:17], v[12:13]
	s_delay_alu instid0(VALU_DEP_2) | instskip(NEXT) | instid1(VALU_DEP_2)
	v_add_f64 v[1:2], v[10:11], v[1:2]
	v_add_f64 v[3:4], v[12:13], v[4:5]
	s_delay_alu instid0(VALU_DEP_2) | instskip(NEXT) | instid1(VALU_DEP_2)
	;; [unrolled: 3-line block ×3, first 2 shown]
	v_add_f64 v[1:2], v[57:58], -v[1:2]
	v_add_f64 v[3:4], v[59:60], -v[3:4]
	scratch_store_b128 off, v[1:4], off
	s_cbranch_vccz .LBB124_513
; %bb.392:
	v_dual_mov_b32 v1, s8 :: v_dual_mov_b32 v2, s9
	s_load_b64 s[0:1], s[0:1], 0x4
	flat_load_b32 v1, v[1:2] offset:236
	v_bfe_u32 v2, v0, 10, 10
	v_bfe_u32 v0, v0, 20, 10
	s_waitcnt lgkmcnt(0)
	s_lshr_b32 s0, s0, 16
	s_delay_alu instid0(VALU_DEP_2) | instskip(SKIP_1) | instid1(SALU_CYCLE_1)
	v_mul_u32_u24_e32 v2, s1, v2
	s_mul_i32 s0, s0, s1
	v_mul_u32_u24_e32 v3, s0, v169
	s_delay_alu instid0(VALU_DEP_1) | instskip(NEXT) | instid1(VALU_DEP_1)
	v_add3_u32 v0, v3, v2, v0
	v_lshl_add_u32 v0, v0, 4, 0x7a8
	s_waitcnt vmcnt(0)
	v_cmp_ne_u32_e32 vcc_lo, 60, v1
	s_mov_b32 s0, exec_lo
	scratch_load_b32 v10, off, off offset:1100 ; 4-byte Folded Reload
	s_and_b32 s1, s0, vcc_lo
	s_delay_alu instid0(SALU_CYCLE_1)
	s_mov_b32 exec_lo, s1
	s_cbranch_execz .LBB124_394
; %bb.393:
	v_lshl_add_u32 v9, v1, 4, 0
	s_waitcnt vmcnt(0)
	s_clause 0x1
	scratch_load_b128 v[1:4], v10, off
	scratch_load_b128 v[5:8], v9, off offset:-16
	s_waitcnt vmcnt(1)
	ds_store_2addr_b64 v0, v[1:2], v[3:4] offset1:1
	s_waitcnt vmcnt(0)
	s_clause 0x1
	scratch_store_b128 v10, v[5:8], off
	scratch_store_b128 v9, v[1:4], off offset:-16
.LBB124_394:
	s_or_b32 exec_lo, exec_lo, s0
	v_dual_mov_b32 v1, s8 :: v_dual_mov_b32 v2, s9
	flat_load_b32 v1, v[1:2] offset:232
	s_waitcnt vmcnt(0) lgkmcnt(0)
	v_cmp_ne_u32_e32 vcc_lo, 59, v1
	s_mov_b32 s0, exec_lo
	s_clause 0x3
	scratch_load_b32 v11, off, off offset:1104
	scratch_load_b32 v13, off, off offset:1108
	;; [unrolled: 1-line block ×4, first 2 shown]
	v_dual_mov_b32 v10, v207 :: v_dual_mov_b32 v19, v213
	v_dual_mov_b32 v12, v206 :: v_dual_mov_b32 v23, v187
	;; [unrolled: 1-line block ×3, first 2 shown]
	v_mov_b32_e32 v16, v212
	v_dual_mov_b32 v18, v185 :: v_dual_mov_b32 v25, v188
	v_mov_b32_e32 v20, v253
	v_mov_b32_e32 v22, v252
	;; [unrolled: 1-line block ×3, first 2 shown]
	s_and_b32 s1, s0, vcc_lo
	s_delay_alu instid0(SALU_CYCLE_1)
	s_mov_b32 exec_lo, s1
	s_cbranch_execz .LBB124_396
; %bb.395:
	v_lshl_add_u32 v9, v1, 4, 0
	s_clause 0x1
	scratch_load_b128 v[1:4], v10, off
	scratch_load_b128 v[5:8], v9, off offset:-16
	s_waitcnt vmcnt(1)
	ds_store_2addr_b64 v0, v[1:2], v[3:4] offset1:1
	s_waitcnt vmcnt(0)
	s_clause 0x1
	scratch_store_b128 v10, v[5:8], off
	scratch_store_b128 v9, v[1:4], off offset:-16
.LBB124_396:
	s_or_b32 exec_lo, exec_lo, s0
	v_dual_mov_b32 v1, s8 :: v_dual_mov_b32 v2, s9
	s_mov_b32 s0, exec_lo
	flat_load_b32 v1, v[1:2] offset:228
	s_waitcnt vmcnt(0) lgkmcnt(0)
	v_cmpx_ne_u32_e32 58, v1
	s_cbranch_execz .LBB124_398
; %bb.397:
	v_lshl_add_u32 v9, v1, 4, 0
	s_clause 0x1
	scratch_load_b128 v[1:4], v11, off
	scratch_load_b128 v[5:8], v9, off offset:-16
	s_waitcnt vmcnt(1)
	ds_store_2addr_b64 v0, v[1:2], v[3:4] offset1:1
	s_waitcnt vmcnt(0)
	s_clause 0x1
	scratch_store_b128 v11, v[5:8], off
	scratch_store_b128 v9, v[1:4], off offset:-16
.LBB124_398:
	s_or_b32 exec_lo, exec_lo, s0
	v_dual_mov_b32 v1, s8 :: v_dual_mov_b32 v2, s9
	s_mov_b32 s0, exec_lo
	flat_load_b32 v1, v[1:2] offset:224
	s_waitcnt vmcnt(0) lgkmcnt(0)
	v_cmpx_ne_u32_e32 57, v1
	;; [unrolled: 19-line block ×27, first 2 shown]
	s_cbranch_execz .LBB124_450
; %bb.449:
	scratch_load_b32 v10, off, off offset:976 ; 4-byte Folded Reload
	v_lshl_add_u32 v9, v1, 4, 0
	s_waitcnt vmcnt(0)
	s_clause 0x1
	scratch_load_b128 v[1:4], v10, off
	scratch_load_b128 v[5:8], v9, off offset:-16
	s_waitcnt vmcnt(1)
	ds_store_2addr_b64 v0, v[1:2], v[3:4] offset1:1
	s_waitcnt vmcnt(0)
	s_clause 0x1
	scratch_store_b128 v10, v[5:8], off
	scratch_store_b128 v9, v[1:4], off offset:-16
.LBB124_450:
	s_or_b32 exec_lo, exec_lo, s0
	v_dual_mov_b32 v1, s8 :: v_dual_mov_b32 v2, s9
	s_mov_b32 s0, exec_lo
	flat_load_b32 v1, v[1:2] offset:120
	s_waitcnt vmcnt(0) lgkmcnt(0)
	v_cmpx_ne_u32_e32 31, v1
	s_cbranch_execz .LBB124_452
; %bb.451:
	scratch_load_b32 v10, off, off offset:980 ; 4-byte Folded Reload
	v_lshl_add_u32 v9, v1, 4, 0
	s_waitcnt vmcnt(0)
	s_clause 0x1
	scratch_load_b128 v[1:4], v10, off
	scratch_load_b128 v[5:8], v9, off offset:-16
	s_waitcnt vmcnt(1)
	ds_store_2addr_b64 v0, v[1:2], v[3:4] offset1:1
	s_waitcnt vmcnt(0)
	s_clause 0x1
	scratch_store_b128 v10, v[5:8], off
	scratch_store_b128 v9, v[1:4], off offset:-16
.LBB124_452:
	s_or_b32 exec_lo, exec_lo, s0
	v_dual_mov_b32 v1, s8 :: v_dual_mov_b32 v2, s9
	s_mov_b32 s0, exec_lo
	flat_load_b32 v1, v[1:2] offset:116
	s_waitcnt vmcnt(0) lgkmcnt(0)
	v_cmpx_ne_u32_e32 30, v1
	;; [unrolled: 21-line block ×17, first 2 shown]
	s_cbranch_execz .LBB124_484
; %bb.483:
	v_lshl_add_u32 v9, v1, 4, 0
	s_clause 0x1
	scratch_load_b128 v[1:4], v52, off
	scratch_load_b128 v[5:8], v9, off offset:-16
	s_waitcnt vmcnt(1)
	ds_store_2addr_b64 v0, v[1:2], v[3:4] offset1:1
	s_waitcnt vmcnt(0)
	s_clause 0x1
	scratch_store_b128 v52, v[5:8], off
	scratch_store_b128 v9, v[1:4], off offset:-16
.LBB124_484:
	s_or_b32 exec_lo, exec_lo, s0
	v_dual_mov_b32 v1, s8 :: v_dual_mov_b32 v2, s9
	s_mov_b32 s0, exec_lo
	flat_load_b32 v1, v[1:2] offset:52
	s_waitcnt vmcnt(0) lgkmcnt(0)
	v_cmpx_ne_u32_e32 14, v1
	s_cbranch_execz .LBB124_486
; %bb.485:
	v_lshl_add_u32 v9, v1, 4, 0
	s_clause 0x1
	scratch_load_b128 v[1:4], v236, off
	scratch_load_b128 v[5:8], v9, off offset:-16
	s_waitcnt vmcnt(1)
	ds_store_2addr_b64 v0, v[1:2], v[3:4] offset1:1
	s_waitcnt vmcnt(0)
	s_clause 0x1
	scratch_store_b128 v236, v[5:8], off
	scratch_store_b128 v9, v[1:4], off offset:-16
.LBB124_486:
	s_or_b32 exec_lo, exec_lo, s0
	v_dual_mov_b32 v1, s8 :: v_dual_mov_b32 v2, s9
	s_mov_b32 s0, exec_lo
	flat_load_b32 v1, v[1:2] offset:48
	s_waitcnt vmcnt(0) lgkmcnt(0)
	v_cmpx_ne_u32_e32 13, v1
	;; [unrolled: 19-line block ×13, first 2 shown]
	s_cbranch_execz .LBB124_510
; %bb.509:
	v_lshl_add_u32 v9, v1, 4, 0
	s_clause 0x1
	scratch_load_b128 v[1:4], v228, off
	scratch_load_b128 v[5:8], v9, off offset:-16
	s_waitcnt vmcnt(1)
	ds_store_2addr_b64 v0, v[1:2], v[3:4] offset1:1
	s_waitcnt vmcnt(0)
	s_clause 0x1
	scratch_store_b128 v228, v[5:8], off
	scratch_store_b128 v9, v[1:4], off offset:-16
.LBB124_510:
	s_or_b32 exec_lo, exec_lo, s0
	v_dual_mov_b32 v1, s8 :: v_dual_mov_b32 v2, s9
	s_mov_b32 s0, exec_lo
	flat_load_b32 v1, v[1:2]
	s_waitcnt vmcnt(0) lgkmcnt(0)
	v_cmpx_ne_u32_e32 1, v1
	s_cbranch_execz .LBB124_512
; %bb.511:
	v_lshl_add_u32 v9, v1, 4, 0
	scratch_load_b128 v[1:4], off, off
	scratch_load_b128 v[5:8], v9, off offset:-16
	s_waitcnt vmcnt(1)
	ds_store_2addr_b64 v0, v[1:2], v[3:4] offset1:1
	s_waitcnt vmcnt(0)
	scratch_store_b128 off, v[5:8], off
	scratch_store_b128 v9, v[1:4], off offset:-16
.LBB124_512:
	s_or_b32 exec_lo, exec_lo, s0
.LBB124_513:
	scratch_load_b128 v[0:3], off, off
	s_clause 0xd
	scratch_load_b128 v[4:7], v228, off
	scratch_load_b128 v[8:11], v231, off
	;; [unrolled: 1-line block ×14, first 2 shown]
	scratch_load_b32 v44, off, off offset:1040 ; 4-byte Folded Reload
	s_waitcnt vmcnt(0)
	scratch_load_b128 v[218:221], v44, off
	scratch_load_b32 v44, off, off offset:1036 ; 4-byte Folded Reload
	s_waitcnt vmcnt(0)
	scratch_load_b128 v[222:225], v44, off
	;; [unrolled: 3-line block ×7, first 2 shown]
	scratch_load_b32 v44, off, off offset:1012 ; 4-byte Folded Reload
	global_store_b128 v[53:54], v[0:3], off
	scratch_load_b32 v0, off, off offset:1008 ; 4-byte Folded Reload
	s_waitcnt vmcnt(1)
	scratch_load_b128 v[248:251], v44, off
	s_waitcnt vmcnt(1)
	scratch_load_b128 v[0:3], v0, off
	scratch_load_b32 v44, off, off offset:1004 ; 4-byte Folded Reload
	s_waitcnt vmcnt(0)
	scratch_load_b128 v[52:55], v44, off
	scratch_load_b64 v[44:45], off, off offset:1044 ; 8-byte Folded Reload
	s_waitcnt vmcnt(0)
	global_store_b128 v[44:45], v[4:7], off
	scratch_load_b32 v4, off, off offset:1000 ; 4-byte Folded Reload
	s_waitcnt vmcnt(0)
	scratch_load_b128 v[4:7], v4, off
	scratch_load_b32 v44, off, off offset:996 ; 4-byte Folded Reload
	s_waitcnt vmcnt(0)
	scratch_load_b128 v[169:172], v44, off
	scratch_load_b64 v[44:45], off, off offset:1052 ; 8-byte Folded Reload
	s_waitcnt vmcnt(0)
	global_store_b128 v[44:45], v[8:11], off
	scratch_load_b32 v8, off, off offset:992 ; 4-byte Folded Reload
	;; [unrolled: 9-line block ×4, first 2 shown]
	s_waitcnt vmcnt(0)
	s_clause 0x1
	scratch_load_b128 v[16:19], v16, off
	scratch_load_b128 v[181:184], v56, off
	scratch_load_b64 v[44:45], off, off offset:1076 ; 8-byte Folded Reload
	s_waitcnt vmcnt(0)
	global_store_b128 v[44:45], v[20:23], off
	s_clause 0x1
	scratch_load_b128 v[20:23], v203, off
	scratch_load_b128 v[208:211], v211, off
	scratch_load_b64 v[44:45], off, off offset:1084 ; 8-byte Folded Reload
	s_waitcnt vmcnt(0)
	global_store_b128 v[44:45], v[24:27], off
	s_clause 0x1
	scratch_load_b128 v[24:27], v190, off
	scratch_load_b128 v[202:205], v205, off
	global_store_b128 v[254:255], v[28:31], off
	s_clause 0x1
	scratch_load_b128 v[28:31], v201, off
	scratch_load_b128 v[198:201], v200, off
	;; [unrolled: 4-line block ×8, first 2 shown]
	scratch_load_b32 v44, off, off offset:1116 ; 4-byte Folded Reload
	global_store_b128 v[81:82], v[214:217], off
	s_waitcnt vmcnt(0)
	s_clause 0x1
	scratch_load_b128 v[185:188], v44, off
	scratch_load_b128 v[212:215], v212, off
	scratch_load_b32 v44, off, off offset:1112 ; 4-byte Folded Reload
	global_store_b128 v[83:84], v[218:221], off
	s_waitcnt vmcnt(0)
	s_clause 0x1
	scratch_load_b128 v[81:84], v44, off
	scratch_load_b128 v[216:219], v189, off
	;; [unrolled: 6-line block ×4, first 2 shown]
	scratch_load_b32 v44, off, off offset:1100 ; 4-byte Folded Reload
	global_store_b128 v[89:90], v[232:235], off
	s_waitcnt vmcnt(0)
	scratch_load_b128 v[232:235], v44, off
	scratch_load_b32 v44, off, off offset:1120 ; 4-byte Folded Reload
	s_waitcnt vmcnt(0)
	scratch_load_b128 v[89:92], v44, off
	scratch_load_b64 v[44:45], off, off offset:1092 ; 8-byte Folded Reload
	s_waitcnt vmcnt(0)
	s_clause 0x1f
	global_store_b128 v[44:45], v[236:239], off
	global_store_b128 v[93:94], v[240:243], off
	;; [unrolled: 1-line block ×32, first 2 shown]
	s_clause 0x9
	global_store_b128 v[155:156], v[185:188], off
	global_store_b128 v[157:158], v[212:215], off
	;; [unrolled: 1-line block ×10, first 2 shown]
	s_endpgm
	.section	.rodata,"a",@progbits
	.p2align	6, 0x0
	.amdhsa_kernel _ZN9rocsolver6v33100L18getri_kernel_smallILi61E19rocblas_complex_numIdEPKPS3_EEvT1_iilPiilS8_bb
		.amdhsa_group_segment_fixed_size 2984
		.amdhsa_private_segment_fixed_size 1136
		.amdhsa_kernarg_size 60
		.amdhsa_user_sgpr_count 15
		.amdhsa_user_sgpr_dispatch_ptr 1
		.amdhsa_user_sgpr_queue_ptr 0
		.amdhsa_user_sgpr_kernarg_segment_ptr 1
		.amdhsa_user_sgpr_dispatch_id 0
		.amdhsa_user_sgpr_private_segment_size 0
		.amdhsa_wavefront_size32 1
		.amdhsa_uses_dynamic_stack 0
		.amdhsa_enable_private_segment 1
		.amdhsa_system_sgpr_workgroup_id_x 1
		.amdhsa_system_sgpr_workgroup_id_y 0
		.amdhsa_system_sgpr_workgroup_id_z 0
		.amdhsa_system_sgpr_workgroup_info 0
		.amdhsa_system_vgpr_workitem_id 2
		.amdhsa_next_free_vgpr 256
		.amdhsa_next_free_sgpr 67
		.amdhsa_reserve_vcc 1
		.amdhsa_float_round_mode_32 0
		.amdhsa_float_round_mode_16_64 0
		.amdhsa_float_denorm_mode_32 3
		.amdhsa_float_denorm_mode_16_64 3
		.amdhsa_dx10_clamp 1
		.amdhsa_ieee_mode 1
		.amdhsa_fp16_overflow 0
		.amdhsa_workgroup_processor_mode 1
		.amdhsa_memory_ordered 1
		.amdhsa_forward_progress 0
		.amdhsa_shared_vgpr_count 0
		.amdhsa_exception_fp_ieee_invalid_op 0
		.amdhsa_exception_fp_denorm_src 0
		.amdhsa_exception_fp_ieee_div_zero 0
		.amdhsa_exception_fp_ieee_overflow 0
		.amdhsa_exception_fp_ieee_underflow 0
		.amdhsa_exception_fp_ieee_inexact 0
		.amdhsa_exception_int_div_zero 0
	.end_amdhsa_kernel
	.section	.text._ZN9rocsolver6v33100L18getri_kernel_smallILi61E19rocblas_complex_numIdEPKPS3_EEvT1_iilPiilS8_bb,"axG",@progbits,_ZN9rocsolver6v33100L18getri_kernel_smallILi61E19rocblas_complex_numIdEPKPS3_EEvT1_iilPiilS8_bb,comdat
.Lfunc_end124:
	.size	_ZN9rocsolver6v33100L18getri_kernel_smallILi61E19rocblas_complex_numIdEPKPS3_EEvT1_iilPiilS8_bb, .Lfunc_end124-_ZN9rocsolver6v33100L18getri_kernel_smallILi61E19rocblas_complex_numIdEPKPS3_EEvT1_iilPiilS8_bb
                                        ; -- End function
	.section	.AMDGPU.csdata,"",@progbits
; Kernel info:
; codeLenInByte = 163904
; NumSgprs: 69
; NumVgprs: 256
; ScratchSize: 1136
; MemoryBound: 0
; FloatMode: 240
; IeeeMode: 1
; LDSByteSize: 2984 bytes/workgroup (compile time only)
; SGPRBlocks: 8
; VGPRBlocks: 31
; NumSGPRsForWavesPerEU: 69
; NumVGPRsForWavesPerEU: 256
; Occupancy: 5
; WaveLimiterHint : 1
; COMPUTE_PGM_RSRC2:SCRATCH_EN: 1
; COMPUTE_PGM_RSRC2:USER_SGPR: 15
; COMPUTE_PGM_RSRC2:TRAP_HANDLER: 0
; COMPUTE_PGM_RSRC2:TGID_X_EN: 1
; COMPUTE_PGM_RSRC2:TGID_Y_EN: 0
; COMPUTE_PGM_RSRC2:TGID_Z_EN: 0
; COMPUTE_PGM_RSRC2:TIDIG_COMP_CNT: 2
	.section	.text._ZN9rocsolver6v33100L18getri_kernel_smallILi62E19rocblas_complex_numIdEPKPS3_EEvT1_iilPiilS8_bb,"axG",@progbits,_ZN9rocsolver6v33100L18getri_kernel_smallILi62E19rocblas_complex_numIdEPKPS3_EEvT1_iilPiilS8_bb,comdat
	.globl	_ZN9rocsolver6v33100L18getri_kernel_smallILi62E19rocblas_complex_numIdEPKPS3_EEvT1_iilPiilS8_bb ; -- Begin function _ZN9rocsolver6v33100L18getri_kernel_smallILi62E19rocblas_complex_numIdEPKPS3_EEvT1_iilPiilS8_bb
	.p2align	8
	.type	_ZN9rocsolver6v33100L18getri_kernel_smallILi62E19rocblas_complex_numIdEPKPS3_EEvT1_iilPiilS8_bb,@function
_ZN9rocsolver6v33100L18getri_kernel_smallILi62E19rocblas_complex_numIdEPKPS3_EEvT1_iilPiilS8_bb: ; @_ZN9rocsolver6v33100L18getri_kernel_smallILi62E19rocblas_complex_numIdEPKPS3_EEvT1_iilPiilS8_bb
; %bb.0:
	v_and_b32_e32 v174, 0x3ff, v0
	s_mov_b32 s4, exec_lo
	s_delay_alu instid0(VALU_DEP_1)
	v_cmpx_gt_u32_e32 62, v174
	s_cbranch_execz .LBB125_274
; %bb.1:
	s_mov_b32 s10, s15
	s_clause 0x2
	s_load_b32 s15, s[2:3], 0x38
	s_load_b64 s[8:9], s[2:3], 0x0
	s_load_b128 s[4:7], s[2:3], 0x28
	s_waitcnt lgkmcnt(0)
	s_bitcmp1_b32 s15, 8
	s_cselect_b32 s14, -1, 0
	s_ashr_i32 s11, s10, 31
	s_delay_alu instid0(SALU_CYCLE_1) | instskip(NEXT) | instid1(SALU_CYCLE_1)
	s_lshl_b64 s[12:13], s[10:11], 3
	s_add_u32 s8, s8, s12
	s_addc_u32 s9, s9, s13
	s_load_b64 s[12:13], s[8:9], 0x0
	s_bfe_u32 s8, s15, 0x10008
	s_delay_alu instid0(SALU_CYCLE_1)
	s_cmp_eq_u32 s8, 0
                                        ; implicit-def: $sgpr8_sgpr9
	s_cbranch_scc1 .LBB125_3
; %bb.2:
	s_clause 0x1
	s_load_b32 s8, s[2:3], 0x20
	s_load_b64 s[16:17], s[2:3], 0x18
	s_mul_i32 s5, s10, s5
	s_mul_hi_u32 s9, s10, s4
	s_mul_i32 s18, s11, s4
	s_add_i32 s5, s9, s5
	s_mul_i32 s4, s10, s4
	s_add_i32 s5, s5, s18
	s_delay_alu instid0(SALU_CYCLE_1)
	s_lshl_b64 s[4:5], s[4:5], 2
	s_waitcnt lgkmcnt(0)
	s_ashr_i32 s9, s8, 31
	s_add_u32 s16, s16, s4
	s_addc_u32 s17, s17, s5
	s_lshl_b64 s[4:5], s[8:9], 2
	s_delay_alu instid0(SALU_CYCLE_1)
	s_add_u32 s8, s16, s4
	s_addc_u32 s9, s17, s5
.LBB125_3:
	s_load_b64 s[2:3], s[2:3], 0x8
	v_lshlrev_b32_e32 v13, 4, v174
	s_movk_i32 s16, 0xb0
	s_movk_i32 s17, 0xc0
	;; [unrolled: 1-line block ×18, first 2 shown]
	s_waitcnt lgkmcnt(0)
	s_ashr_i32 s5, s2, 31
	s_mov_b32 s4, s2
	v_add3_u32 v2, s3, s3, v174
	s_lshl_b64 s[4:5], s[4:5], 4
	s_movk_i32 s35, 0x1d0
	s_add_u32 s4, s12, s4
	s_addc_u32 s5, s13, s5
	v_add_nc_u32_e32 v1, s3, v2
	global_load_b128 v[14:17], v13, s[4:5]
	v_ashrrev_i32_e32 v3, 31, v2
	v_add_co_u32 v50, s2, s4, v13
	v_add_nc_u32_e32 v5, s3, v1
	s_mov_b32 s12, s3
	s_ashr_i32 s13, s3, 31
	v_add_co_ci_u32_e64 v51, null, s5, 0, s2
	s_delay_alu instid0(VALU_DEP_2)
	v_add_nc_u32_e32 v4, s3, v5
	v_lshlrev_b64 v[18:19], 4, v[2:3]
	v_ashrrev_i32_e32 v2, 31, v1
	s_lshl_b64 s[12:13], s[12:13], 4
	v_ashrrev_i32_e32 v6, 31, v5
	v_add_nc_u32_e32 v7, s3, v4
	v_add_co_u32 v20, vcc_lo, v50, s12
	v_add_co_ci_u32_e32 v21, vcc_lo, s13, v51, vcc_lo
	s_delay_alu instid0(VALU_DEP_3) | instskip(SKIP_3) | instid1(VALU_DEP_4)
	v_add_nc_u32_e32 v9, s3, v7
	v_lshlrev_b64 v[1:2], 4, v[1:2]
	v_add_co_u32 v22, vcc_lo, s4, v18
	v_add_co_ci_u32_e32 v23, vcc_lo, s5, v19, vcc_lo
	v_add_nc_u32_e32 v11, s3, v9
	s_delay_alu instid0(VALU_DEP_4)
	v_add_co_u32 v1, vcc_lo, s4, v1
	scratch_store_b64 off, v[20:21], off offset:1220 ; 8-byte Folded Spill
	global_load_b128 v[18:21], v[20:21], off
	v_add_nc_u32_e32 v30, s3, v11
	v_add_co_ci_u32_e32 v2, vcc_lo, s5, v2, vcc_lo
	scratch_store_b64 off, v[22:23], off offset:1228 ; 8-byte Folded Spill
	global_load_b128 v[22:25], v[22:23], off
	v_add_nc_u32_e32 v32, s3, v30
	v_lshlrev_b64 v[26:27], 4, v[5:6]
	v_ashrrev_i32_e32 v5, 31, v4
	v_ashrrev_i32_e32 v8, 31, v7
	;; [unrolled: 1-line block ×3, first 2 shown]
	v_add_nc_u32_e32 v38, s3, v32
	v_ashrrev_i32_e32 v12, 31, v11
	v_lshlrev_b64 v[28:29], 4, v[4:5]
	v_add_co_u32 v5, vcc_lo, s4, v26
	v_add_co_ci_u32_e32 v6, vcc_lo, s5, v27, vcc_lo
	v_lshlrev_b64 v[26:27], 4, v[7:8]
	v_add_nc_u32_e32 v40, s3, v38
	v_add_co_u32 v28, vcc_lo, s4, v28
	v_lshlrev_b64 v[33:34], 4, v[9:10]
	v_add_co_ci_u32_e32 v29, vcc_lo, s5, v29, vcc_lo
	s_delay_alu instid0(VALU_DEP_4)
	v_add_nc_u32_e32 v46, s3, v40
	v_add_co_u32 v26, vcc_lo, s4, v26
	v_ashrrev_i32_e32 v31, 31, v30
	v_add_co_ci_u32_e32 v27, vcc_lo, s5, v27, vcc_lo
	v_lshlrev_b64 v[35:36], 4, v[11:12]
	v_add_co_u32 v52, vcc_lo, s4, v33
	v_ashrrev_i32_e32 v33, 31, v32
	v_add_nc_u32_e32 v48, s3, v46
	v_lshlrev_b64 v[41:42], 4, v[30:31]
	v_add_co_ci_u32_e32 v53, vcc_lo, s5, v34, vcc_lo
	v_add_co_u32 v34, vcc_lo, s4, v35
	v_lshlrev_b64 v[43:44], 4, v[32:33]
	v_add_nc_u32_e32 v78, s3, v48
	v_add_co_ci_u32_e32 v35, vcc_lo, s5, v36, vcc_lo
	v_ashrrev_i32_e32 v39, 31, v38
	s_clause 0x1
	scratch_store_b64 off, v[1:2], off offset:1236
	scratch_store_b64 off, v[5:6], off offset:1244
	global_load_b128 v[1:4], v[1:2], off
	s_clause 0x3
	scratch_store_b64 off, v[28:29], off offset:1252
	scratch_store_b64 off, v[26:27], off offset:1260
	;; [unrolled: 1-line block ×4, first 2 shown]
	global_load_b128 v[30:33], v[52:53], off
	v_add_co_u32 v52, vcc_lo, s4, v41
	global_load_b128 v[5:8], v[5:6], off
	v_add_co_ci_u32_e32 v53, vcc_lo, s5, v42, vcc_lo
	v_ashrrev_i32_e32 v41, 31, v40
	v_add_co_u32 v42, vcc_lo, s4, v43
	v_add_nc_u32_e32 v80, s3, v78
	v_lshlrev_b64 v[72:73], 4, v[38:39]
	v_add_co_ci_u32_e32 v43, vcc_lo, s5, v44, vcc_lo
	v_lshlrev_b64 v[74:75], 4, v[40:41]
	s_delay_alu instid0(VALU_DEP_4)
	v_add_nc_u32_e32 v82, s3, v80
	v_ashrrev_i32_e32 v47, 31, v46
	s_clause 0x1
	scratch_store_b64 off, v[52:53], off offset:1284
	scratch_store_b64 off, v[42:43], off offset:1292
	s_clause 0x1
	global_load_b128 v[38:41], v[52:53], off
	global_load_b128 v[42:45], v[42:43], off
	v_add_co_u32 v52, vcc_lo, s4, v72
	v_add_co_ci_u32_e32 v53, vcc_lo, s5, v73, vcc_lo
	v_ashrrev_i32_e32 v49, 31, v48
	v_add_co_u32 v54, vcc_lo, s4, v74
	v_add_nc_u32_e32 v84, s3, v82
	v_lshlrev_b64 v[76:77], 4, v[46:47]
	v_add_co_ci_u32_e32 v55, vcc_lo, s5, v75, vcc_lo
	v_lshlrev_b64 v[105:106], 4, v[48:49]
	s_delay_alu instid0(VALU_DEP_4)
	v_add_nc_u32_e32 v86, s3, v84
	v_ashrrev_i32_e32 v79, 31, v78
	scratch_store_b64 off, v[52:53], off offset:1300 ; 8-byte Folded Spill
	s_clause 0x1
	global_load_b128 v[46:49], v[52:53], off
	global_load_b128 v[138:141], v[54:55], off
	v_add_co_u32 v52, vcc_lo, s4, v76
	v_add_co_ci_u32_e32 v53, vcc_lo, s5, v77, vcc_lo
	v_ashrrev_i32_e32 v81, 31, v80
	scratch_store_b64 off, v[54:55], off offset:1308 ; 8-byte Folded Spill
	v_add_co_u32 v54, vcc_lo, s4, v105
	v_add_nc_u32_e32 v88, s3, v86
	v_lshlrev_b64 v[109:110], 4, v[78:79]
	v_add_co_ci_u32_e32 v55, vcc_lo, s5, v106, vcc_lo
	scratch_store_b64 off, v[52:53], off offset:1316 ; 8-byte Folded Spill
	v_lshlrev_b64 v[105:106], 4, v[80:81]
	v_add_nc_u32_e32 v90, s3, v88
	scratch_store_b64 off, v[54:55], off offset:1324 ; 8-byte Folded Spill
	v_ashrrev_i32_e32 v83, 31, v82
	s_clause 0x1
	global_load_b128 v[142:145], v[52:53], off
	global_load_b128 v[146:149], v[54:55], off
	v_add_co_u32 v52, vcc_lo, s4, v109
	v_add_co_ci_u32_e32 v53, vcc_lo, s5, v110, vcc_lo
	v_ashrrev_i32_e32 v85, 31, v84
	v_add_co_u32 v54, vcc_lo, s4, v105
	v_add_nc_u32_e32 v92, s3, v90
	v_lshlrev_b64 v[109:110], 4, v[82:83]
	v_add_co_ci_u32_e32 v55, vcc_lo, s5, v106, vcc_lo
	v_lshlrev_b64 v[105:106], 4, v[84:85]
	s_delay_alu instid0(VALU_DEP_4)
	v_add_nc_u32_e32 v94, s3, v92
	v_ashrrev_i32_e32 v87, 31, v86
	s_clause 0x1
	global_load_b128 v[9:12], v[28:29], off
	global_load_b128 v[34:37], v[34:35], off
	scratch_store_b64 off, v[52:53], off offset:1332 ; 8-byte Folded Spill
	s_clause 0x1
	global_load_b128 v[150:153], v[52:53], off
	global_load_b128 v[154:157], v[54:55], off
	v_add_co_u32 v52, vcc_lo, s4, v109
	global_load_b128 v[26:29], v[26:27], off
	v_add_co_ci_u32_e32 v53, vcc_lo, s5, v110, vcc_lo
	v_ashrrev_i32_e32 v89, 31, v88
	scratch_store_b64 off, v[54:55], off offset:1340 ; 8-byte Folded Spill
	v_add_co_u32 v54, vcc_lo, s4, v105
	v_add_nc_u32_e32 v96, s3, v94
	v_lshlrev_b64 v[109:110], 4, v[86:87]
	v_add_co_ci_u32_e32 v55, vcc_lo, s5, v106, vcc_lo
	scratch_store_b64 off, v[52:53], off offset:1348 ; 8-byte Folded Spill
	v_lshlrev_b64 v[105:106], 4, v[88:89]
	v_add_nc_u32_e32 v98, s3, v96
	scratch_store_b64 off, v[54:55], off offset:1356 ; 8-byte Folded Spill
	v_ashrrev_i32_e32 v91, 31, v90
	s_clause 0x1
	global_load_b128 v[158:161], v[52:53], off
	global_load_b128 v[162:165], v[54:55], off
	v_add_co_u32 v52, vcc_lo, s4, v109
	v_add_co_ci_u32_e32 v53, vcc_lo, s5, v110, vcc_lo
	v_ashrrev_i32_e32 v93, 31, v92
	v_add_co_u32 v54, vcc_lo, s4, v105
	v_add_nc_u32_e32 v100, s3, v98
	v_lshlrev_b64 v[90:91], 4, v[90:91]
	v_add_co_ci_u32_e32 v55, vcc_lo, s5, v106, vcc_lo
	v_lshlrev_b64 v[105:106], 4, v[92:93]
	s_delay_alu instid0(VALU_DEP_4)
	v_add_nc_u32_e32 v102, s3, v100
	v_ashrrev_i32_e32 v95, 31, v94
	scratch_store_b64 off, v[52:53], off offset:1364 ; 8-byte Folded Spill
	s_clause 0x1
	global_load_b128 v[166:169], v[52:53], off
	global_load_b128 v[170:173], v[54:55], off
	v_add_co_u32 v52, vcc_lo, s4, v90
	v_add_co_ci_u32_e32 v53, vcc_lo, s5, v91, vcc_lo
	v_ashrrev_i32_e32 v97, 31, v96
	scratch_store_b64 off, v[54:55], off offset:1372 ; 8-byte Folded Spill
	v_add_co_u32 v54, vcc_lo, s4, v105
	v_add_nc_u32_e32 v104, s3, v102
	v_lshlrev_b64 v[90:91], 4, v[94:95]
	v_add_co_ci_u32_e32 v55, vcc_lo, s5, v106, vcc_lo
	scratch_store_b64 off, v[52:53], off offset:1380 ; 8-byte Folded Spill
	v_lshlrev_b64 v[105:106], 4, v[96:97]
	v_add_nc_u32_e32 v108, s3, v104
	scratch_store_b64 off, v[54:55], off offset:1388 ; 8-byte Folded Spill
	v_ashrrev_i32_e32 v99, 31, v98
	s_clause 0x1
	global_load_b128 v[175:178], v[52:53], off
	global_load_b128 v[179:182], v[54:55], off
	v_add_co_u32 v52, vcc_lo, s4, v90
	v_add_co_ci_u32_e32 v53, vcc_lo, s5, v91, vcc_lo
	v_add_co_u32 v54, vcc_lo, s4, v105
	v_add_nc_u32_e32 v112, s3, v108
	v_lshlrev_b64 v[90:91], 4, v[98:99]
	v_ashrrev_i32_e32 v101, 31, v100
	v_add_co_ci_u32_e32 v55, vcc_lo, s5, v106, vcc_lo
	v_ashrrev_i32_e32 v103, 31, v102
	v_add_nc_u32_e32 v114, s3, v112
	s_delay_alu instid0(VALU_DEP_4)
	v_lshlrev_b64 v[106:107], 4, v[100:101]
	scratch_store_b64 off, v[52:53], off offset:1396 ; 8-byte Folded Spill
	s_clause 0x1
	global_load_b128 v[183:186], v[52:53], off
	global_load_b128 v[187:190], v[54:55], off
	v_add_co_u32 v52, vcc_lo, s4, v90
	v_add_co_ci_u32_e32 v53, vcc_lo, s5, v91, vcc_lo
	v_lshlrev_b64 v[90:91], 4, v[102:103]
	v_ashrrev_i32_e32 v105, 31, v104
	v_add_nc_u32_e32 v116, s3, v114
	scratch_store_b64 off, v[54:55], off offset:1404 ; 8-byte Folded Spill
	v_add_co_u32 v54, vcc_lo, s4, v106
	v_ashrrev_i32_e32 v109, 31, v108
	v_add_co_ci_u32_e32 v55, vcc_lo, s5, v107, vcc_lo
	scratch_store_b64 off, v[52:53], off offset:1412 ; 8-byte Folded Spill
	v_lshlrev_b64 v[104:105], 4, v[104:105]
	v_add_co_u32 v56, vcc_lo, s4, v90
	scratch_store_b64 off, v[54:55], off offset:1420 ; 8-byte Folded Spill
	v_add_nc_u32_e32 v118, s3, v116
	v_add_co_ci_u32_e32 v57, vcc_lo, s5, v91, vcc_lo
	v_lshlrev_b64 v[90:91], 4, v[108:109]
	v_add_co_u32 v58, vcc_lo, s4, v104
	s_delay_alu instid0(VALU_DEP_4) | instskip(SKIP_1) | instid1(VALU_DEP_4)
	v_add_nc_u32_e32 v120, s3, v118
	v_add_co_ci_u32_e32 v59, vcc_lo, s5, v105, vcc_lo
	v_add_co_u32 v60, vcc_lo, s4, v90
	v_add_co_ci_u32_e32 v61, vcc_lo, s5, v91, vcc_lo
	s_delay_alu instid0(VALU_DEP_4)
	v_add_nc_u32_e32 v122, s3, v120
	s_clause 0x4
	global_load_b128 v[191:194], v[52:53], off
	global_load_b128 v[195:198], v[54:55], off
	;; [unrolled: 1-line block ×5, first 2 shown]
	v_add_nc_u32_e32 v124, s3, v122
	s_clause 0x2
	scratch_store_b64 off, v[56:57], off offset:1436
	scratch_store_b64 off, v[58:59], off offset:1444
	;; [unrolled: 1-line block ×3, first 2 shown]
	v_ashrrev_i32_e32 v113, 31, v112
	v_add_nc_u32_e32 v126, s3, v124
	v_ashrrev_i32_e32 v115, 31, v114
	v_ashrrev_i32_e32 v117, 31, v116
	;; [unrolled: 1-line block ×3, first 2 shown]
	v_lshlrev_b64 v[112:113], 4, v[112:113]
	v_add_nc_u32_e32 v128, s3, v126
	v_lshlrev_b64 v[114:115], 4, v[114:115]
	v_lshlrev_b64 v[116:117], 4, v[116:117]
	v_ashrrev_i32_e32 v121, 31, v120
	v_lshlrev_b64 v[118:119], 4, v[118:119]
	v_add_nc_u32_e32 v130, s3, v128
	v_ashrrev_i32_e32 v123, 31, v122
	v_ashrrev_i32_e32 v125, 31, v124
	v_lshlrev_b64 v[120:121], 4, v[120:121]
	v_ashrrev_i32_e32 v127, 31, v126
	v_add_nc_u32_e32 v132, s3, v130
	v_lshlrev_b64 v[122:123], 4, v[122:123]
	v_lshlrev_b64 v[124:125], 4, v[124:125]
	v_ashrrev_i32_e32 v129, 31, v128
	v_lshlrev_b64 v[126:127], 4, v[126:127]
	v_add_nc_u32_e32 v134, s3, v132
	v_ashrrev_i32_e32 v131, 31, v130
	v_ashrrev_i32_e32 v133, 31, v132
	v_lshlrev_b64 v[128:129], 4, v[128:129]
	s_movk_i32 s2, 0x50
	v_add_nc_u32_e32 v136, s3, v134
	v_lshlrev_b64 v[130:131], 4, v[130:131]
	v_ashrrev_i32_e32 v135, 31, v134
	v_lshlrev_b64 v[132:133], 4, v[132:133]
	s_movk_i32 s12, 0x90
	v_add_nc_u32_e32 v211, s3, v136
	v_ashrrev_i32_e32 v137, 31, v136
	v_lshlrev_b64 v[134:135], 4, v[134:135]
	s_movk_i32 s13, 0xa0
	s_movk_i32 s36, 0x1e0
	v_add_nc_u32_e32 v213, s3, v211
	v_ashrrev_i32_e32 v212, 31, v211
	v_lshlrev_b64 v[136:137], 4, v[136:137]
	s_movk_i32 s37, 0x1f0
	;; [unrolled: 5-line block ×3, first 2 shown]
	s_movk_i32 s40, 0x220
	v_add_nc_u32_e32 v217, s3, v215
	v_lshlrev_b64 v[213:214], 4, v[213:214]
	v_ashrrev_i32_e32 v216, 31, v215
	s_movk_i32 s41, 0x230
	s_movk_i32 s42, 0x240
	v_add_nc_u32_e32 v219, s3, v217
	v_ashrrev_i32_e32 v218, 31, v217
	s_movk_i32 s43, 0x250
	s_movk_i32 s44, 0x260
	s_movk_i32 s45, 0x270
	v_add_nc_u32_e32 v221, s3, v219
	v_ashrrev_i32_e32 v220, 31, v219
	s_movk_i32 s46, 0x280
	;; [unrolled: 5-line block ×9, first 2 shown]
	s_bitcmp0_b32 s15, 0
	s_delay_alu instid0(VALU_DEP_2) | instskip(SKIP_2) | instid1(VALU_DEP_3)
	v_add_nc_u32_e32 v52, s3, v233
	v_ashrrev_i32_e32 v234, 31, v233
	v_lshlrev_b64 v[90:91], 4, v[90:91]
	v_add_nc_u32_e32 v54, s3, v52
	v_ashrrev_i32_e32 v53, 31, v52
	s_delay_alu instid0(VALU_DEP_2) | instskip(SKIP_1) | instid1(VALU_DEP_3)
	v_add_nc_u32_e32 v56, s3, v54
	v_ashrrev_i32_e32 v55, 31, v54
	v_lshlrev_b64 v[52:53], 4, v[52:53]
	s_delay_alu instid0(VALU_DEP_3) | instskip(NEXT) | instid1(VALU_DEP_3)
	v_add_nc_u32_e32 v58, s3, v56
	v_lshlrev_b64 v[54:55], 4, v[54:55]
	v_ashrrev_i32_e32 v57, 31, v56
	s_delay_alu instid0(VALU_DEP_3) | instskip(SKIP_1) | instid1(VALU_DEP_2)
	v_add_nc_u32_e32 v60, s3, v58
	v_ashrrev_i32_e32 v59, 31, v58
	v_add_nc_u32_e32 v104, s3, v60
	s_movk_i32 s3, 0x60
	s_delay_alu instid0(VALU_DEP_1) | instskip(NEXT) | instid1(VALU_DEP_1)
	v_ashrrev_i32_e32 v105, 31, v104
	v_lshlrev_b64 v[104:105], 4, v[104:105]
	s_delay_alu instid0(VALU_DEP_1) | instskip(NEXT) | instid1(VALU_DEP_2)
	v_add_co_u32 v61, vcc_lo, s4, v104
	v_add_co_ci_u32_e32 v62, vcc_lo, s5, v105, vcc_lo
	v_add_co_u32 v63, vcc_lo, s4, v112
	v_add_co_ci_u32_e32 v64, vcc_lo, s5, v113, vcc_lo
	scratch_store_b64 off, v[61:62], off offset:1428 ; 8-byte Folded Spill
	global_load_b128 v[236:239], v[61:62], off
	s_waitcnt vmcnt(30)
	s_clause 0x1
	scratch_store_b128 off, v[14:17], off
	scratch_store_b64 off, v[63:64], off offset:1460
	global_load_b128 v[14:17], v[63:64], off
	v_add_co_u32 v61, vcc_lo, s4, v114
	v_add_co_ci_u32_e32 v62, vcc_lo, s5, v115, vcc_lo
	s_waitcnt vmcnt(30)
	scratch_store_b128 off, v[18:21], off offset:16
	s_waitcnt vmcnt(29)
	s_clause 0x1
	scratch_store_b128 off, v[22:25], off offset:32
	scratch_store_b64 off, v[61:62], off offset:1468
	v_add_co_u32 v63, vcc_lo, s4, v116
	global_load_b128 v[18:21], v[61:62], off
	v_add_co_ci_u32_e32 v64, vcc_lo, s5, v117, vcc_lo
	v_add_co_u32 v118, vcc_lo, s4, v118
	v_add_co_ci_u32_e32 v119, vcc_lo, s5, v119, vcc_lo
	global_load_b128 v[22:25], v[63:64], off
	v_add_co_u32 v120, vcc_lo, s4, v120
	v_add_co_ci_u32_e32 v121, vcc_lo, s5, v121, vcc_lo
	scratch_store_b64 off, v[63:64], off offset:1476 ; 8-byte Folded Spill
	s_waitcnt vmcnt(30)
	scratch_store_b128 off, v[1:4], off offset:48
	s_waitcnt vmcnt(28)
	scratch_store_b128 off, v[5:8], off offset:64
	s_clause 0x1
	global_load_b128 v[1:4], v[118:119], off
	global_load_b128 v[5:8], v[120:121], off
	v_add_co_u32 v122, vcc_lo, s4, v122
	v_add_co_ci_u32_e32 v123, vcc_lo, s5, v123, vcc_lo
	v_add_co_u32 v124, vcc_lo, s4, v124
	v_add_co_ci_u32_e32 v125, vcc_lo, s5, v125, vcc_lo
	;; [unrolled: 2-line block ×6, first 2 shown]
	v_add_co_u32 v134, vcc_lo, s4, v134
	s_waitcnt vmcnt(23)
	scratch_store_b128 off, v[9:12], off offset:80
	s_waitcnt vmcnt(19)
	scratch_store_b128 off, v[26:29], off offset:96
	s_clause 0x1
	global_load_b128 v[9:12], v[122:123], off
	global_load_b128 v[26:29], v[124:125], off
	v_add_co_ci_u32_e32 v135, vcc_lo, s5, v135, vcc_lo
	v_add_co_u32 v136, vcc_lo, s4, v136
	s_clause 0x1
	scratch_store_b128 off, v[30:33], off offset:112
	scratch_store_b128 off, v[34:37], off offset:128
	s_clause 0x1
	global_load_b128 v[30:33], v[126:127], off
	global_load_b128 v[34:37], v[128:129], off
	s_clause 0x1
	scratch_store_b128 off, v[38:41], off offset:144
	scratch_store_b128 off, v[42:45], off offset:160
	v_add_co_ci_u32_e32 v137, vcc_lo, s5, v137, vcc_lo
	s_clause 0x1
	global_load_b128 v[38:41], v[130:131], off
	global_load_b128 v[42:45], v[132:133], off
	s_clause 0x1
	scratch_store_b128 off, v[46:49], off offset:176
	scratch_store_b128 off, v[138:141], off offset:192
	v_add_co_u32 v138, vcc_lo, s4, v211
	v_add_co_ci_u32_e32 v139, vcc_lo, s5, v212, vcc_lo
	v_lshlrev_b64 v[211:212], 4, v[215:216]
	v_add_co_u32 v140, vcc_lo, s4, v213
	v_add_co_ci_u32_e32 v141, vcc_lo, s5, v214, vcc_lo
	v_lshlrev_b64 v[213:214], 4, v[217:218]
	s_clause 0x1
	global_load_b128 v[46:49], v[134:135], off
	global_load_b128 v[240:243], v[136:137], off
	s_clause 0x1
	scratch_store_b128 off, v[142:145], off offset:208
	scratch_store_b128 off, v[146:149], off offset:224
	v_add_co_u32 v142, vcc_lo, s4, v211
	v_lshlrev_b64 v[146:147], 4, v[219:220]
	v_add_co_ci_u32_e32 v143, vcc_lo, s5, v212, vcc_lo
	v_add_co_u32 v144, vcc_lo, s4, v213
	v_lshlrev_b64 v[148:149], 4, v[221:222]
	v_add_co_ci_u32_e32 v145, vcc_lo, s5, v214, vcc_lo
	s_clause 0x1
	global_load_b128 v[244:247], v[138:139], off
	global_load_b128 v[248:251], v[140:141], off
	s_clause 0x1
	scratch_store_b128 off, v[150:153], off offset:240
	scratch_store_b128 off, v[154:157], off offset:256
	v_add_co_u32 v146, vcc_lo, s4, v146
	v_lshlrev_b64 v[150:151], 4, v[223:224]
	v_add_co_ci_u32_e32 v147, vcc_lo, s5, v147, vcc_lo
	v_add_co_u32 v148, vcc_lo, s4, v148
	v_lshlrev_b64 v[152:153], 4, v[225:226]
	v_add_co_ci_u32_e32 v149, vcc_lo, s5, v149, vcc_lo
	;; [unrolled: 3-line block ×4, first 2 shown]
	s_clause 0x1
	global_load_b128 v[252:255], v[142:143], off
	global_load_b128 v[211:214], v[144:145], off
	s_waitcnt vmcnt(30)
	scratch_store_b128 off, v[158:161], off offset:272
	s_waitcnt vmcnt(29)
	scratch_store_b128 off, v[162:165], off offset:288
	v_add_co_u32 v154, vcc_lo, s4, v154
	v_lshlrev_b64 v[158:159], 4, v[231:232]
	v_add_co_ci_u32_e32 v155, vcc_lo, s5, v155, vcc_lo
	v_add_co_u32 v156, vcc_lo, s4, v156
	v_add_co_ci_u32_e32 v157, vcc_lo, s5, v157, vcc_lo
	s_delay_alu instid0(VALU_DEP_4) | instskip(SKIP_4) | instid1(VALU_DEP_4)
	v_add_co_u32 v158, vcc_lo, s4, v158
	v_lshlrev_b64 v[162:163], 4, v[233:234]
	v_add_co_ci_u32_e32 v159, vcc_lo, s5, v159, vcc_lo
	v_add_co_u32 v160, vcc_lo, s4, v90
	v_add_co_ci_u32_e32 v161, vcc_lo, s5, v91, vcc_lo
	v_add_co_u32 v162, vcc_lo, s4, v162
	;; [unrolled: 2-line block ×3, first 2 shown]
	v_add_co_ci_u32_e32 v165, vcc_lo, s5, v53, vcc_lo
	v_lshlrev_b64 v[52:53], 4, v[56:57]
	s_clause 0x1
	global_load_b128 v[215:218], v[146:147], off
	global_load_b128 v[219:222], v[148:149], off
	s_waitcnt vmcnt(30)
	scratch_store_b128 off, v[166:169], off offset:304
	s_waitcnt vmcnt(29)
	scratch_store_b128 off, v[170:173], off offset:320
	v_add_co_u32 v166, vcc_lo, s4, v54
	v_add_co_ci_u32_e32 v167, vcc_lo, s5, v55, vcc_lo
	v_lshlrev_b64 v[54:55], 4, v[58:59]
	v_add_co_u32 v168, vcc_lo, s4, v52
	v_add_co_ci_u32_e32 v169, vcc_lo, s5, v53, vcc_lo
	s_clause 0x1
	global_load_b128 v[223:226], v[150:151], off
	global_load_b128 v[227:230], v[152:153], off
	s_waitcnt vmcnt(30)
	scratch_store_b128 off, v[175:178], off offset:336
	s_waitcnt vmcnt(29)
	scratch_store_b128 off, v[179:182], off offset:352
	v_add_co_u32 v170, vcc_lo, s4, v54
	s_clause 0x1
	global_load_b128 v[175:178], v[154:155], off
	global_load_b128 v[179:182], v[156:157], off
	s_waitcnt vmcnt(30)
	scratch_store_b128 off, v[183:186], off offset:368
	s_waitcnt vmcnt(29)
	scratch_store_b128 off, v[187:190], off offset:384
	s_clause 0x1
	global_load_b128 v[183:186], v[158:159], off
	global_load_b128 v[187:190], v[160:161], off
	s_waitcnt vmcnt(30)
	scratch_store_b128 off, v[191:194], off offset:400
	s_waitcnt vmcnt(29)
	scratch_store_b128 off, v[195:198], off offset:416
	;; [unrolled: 2-line block ×5, first 2 shown]
	v_add_co_ci_u32_e32 v171, vcc_lo, s5, v55, vcc_lo
	s_clause 0x4
	global_load_b128 v[206:209], v[162:163], off
	global_load_b128 v[191:194], v[164:165], off
	;; [unrolled: 1-line block ×5, first 2 shown]
	v_ashrrev_i32_e32 v61, 31, v60
	v_add_nc_u32_e64 v210, 0, 16
	v_add_nc_u32_e64 v205, 0, 32
	s_delay_alu instid0(VALU_DEP_3) | instskip(NEXT) | instid1(VALU_DEP_1)
	v_lshlrev_b64 v[52:53], 4, v[60:61]
	v_add_co_u32 v172, vcc_lo, s4, v52
	s_delay_alu instid0(VALU_DEP_2)
	v_add_co_ci_u32_e32 v173, vcc_lo, s5, v53, vcc_lo
	s_movk_i32 s4, 0x70
	s_movk_i32 s5, 0x80
	s_waitcnt vmcnt(29)
	scratch_store_b128 off, v[14:17], off offset:480
	global_load_b128 v[14:17], v[172:173], off
	s_waitcnt vmcnt(29)
	scratch_store_b128 off, v[18:21], off offset:496
	v_add_nc_u32_e64 v18, s2, 0
	scratch_store_b32 off, v18, off offset:1212 ; 4-byte Folded Spill
	v_add_nc_u32_e64 v18, s3, 0
	scratch_store_b32 off, v18, off offset:1208 ; 4-byte Folded Spill
	s_waitcnt vmcnt(28)
	scratch_store_b128 off, v[22:25], off offset:512
	v_add_nc_u32_e64 v18, s4, 0
	s_mov_b32 s3, -1
	scratch_store_b32 off, v18, off offset:1204 ; 4-byte Folded Spill
	v_add_nc_u32_e64 v18, s5, 0
	scratch_store_b32 off, v18, off offset:1200 ; 4-byte Folded Spill
	v_add_nc_u32_e64 v18, s12, 0
	scratch_store_b32 off, v18, off offset:1196 ; 4-byte Folded Spill
	v_add_nc_u32_e64 v18, s13, 0
	scratch_store_b32 off, v18, off offset:1188 ; 4-byte Folded Spill
	s_waitcnt vmcnt(27)
	scratch_store_b128 off, v[1:4], off offset:528
	v_add_nc_u32_e64 v1, s16, 0
	scratch_store_b32 off, v1, off offset:1184 ; 4-byte Folded Spill
	v_add_nc_u32_e64 v1, s17, 0
	scratch_store_b32 off, v1, off offset:1180 ; 4-byte Folded Spill
	v_add_nc_u32_e64 v1, s18, 0
	scratch_store_b32 off, v1, off offset:1172 ; 4-byte Folded Spill
	v_add_nc_u32_e64 v1, s19, 0
	scratch_store_b32 off, v1, off offset:1164 ; 4-byte Folded Spill
	s_waitcnt vmcnt(26)
	scratch_store_b128 off, v[5:8], off offset:544
	v_add_nc_u32_e64 v1, s20, 0
	;; [unrolled: 10-line block ×5, first 2 shown]
	scratch_store_b32 off, v1, off offset:1080 ; 4-byte Folded Spill
	v_add_nc_u32_e64 v1, s34, 0
	scratch_store_b32 off, v1, off offset:1072 ; 4-byte Folded Spill
	v_add_nc_u32_e64 v1, s35, 0
	;; [unrolled: 2-line block ×3, first 2 shown]
	scratch_store_b32 off, v1, off offset:1056 ; 4-byte Folded Spill
	s_waitcnt vmcnt(22)
	scratch_store_b128 off, v[34:37], off offset:608
	s_waitcnt vmcnt(21)
	scratch_store_b128 off, v[38:41], off offset:624
	;; [unrolled: 2-line block ×22, first 2 shown]
	v_add_nc_u32_e64 v1, s37, 0
	scratch_store_b32 off, v1, off offset:1192 ; 4-byte Folded Spill
	v_add_nc_u32_e64 v1, s38, 0
	scratch_store_b32 off, v1, off offset:1176 ; 4-byte Folded Spill
	;; [unrolled: 2-line block ×31, first 2 shown]
	s_waitcnt vmcnt(0)
	s_clause 0x1
	scratch_store_b128 off, v[14:17], off offset:960
	scratch_store_b128 off, v[236:239], off offset:976
	s_cbranch_scc1 .LBB125_272
; %bb.4:
	v_cmp_eq_u32_e64 s2, 0, v174
	s_delay_alu instid0(VALU_DEP_1)
	s_and_saveexec_b32 s3, s2
	s_cbranch_execz .LBB125_6
; %bb.5:
	v_mov_b32_e32 v1, 0
	ds_store_b32 v1, v1 offset:1984
.LBB125_6:
	s_or_b32 exec_lo, exec_lo, s3
	s_waitcnt lgkmcnt(0)
	s_waitcnt_vscnt null, 0x0
	s_barrier
	buffer_gl0_inv
	scratch_load_b128 v[1:4], v13, off
	s_waitcnt vmcnt(0)
	v_cmp_eq_f64_e32 vcc_lo, 0, v[1:2]
	v_cmp_eq_f64_e64 s3, 0, v[3:4]
	s_delay_alu instid0(VALU_DEP_1) | instskip(NEXT) | instid1(SALU_CYCLE_1)
	s_and_b32 s3, vcc_lo, s3
	s_and_saveexec_b32 s4, s3
	s_cbranch_execz .LBB125_10
; %bb.7:
	v_mov_b32_e32 v1, 0
	s_mov_b32 s5, 0
	ds_load_b32 v2, v1 offset:1984
	s_waitcnt lgkmcnt(0)
	v_readfirstlane_b32 s3, v2
	v_add_nc_u32_e32 v2, 1, v174
	s_delay_alu instid0(VALU_DEP_2) | instskip(NEXT) | instid1(VALU_DEP_1)
	s_cmp_eq_u32 s3, 0
	v_cmp_gt_i32_e32 vcc_lo, s3, v2
	s_cselect_b32 s12, -1, 0
	s_delay_alu instid0(SALU_CYCLE_1) | instskip(NEXT) | instid1(SALU_CYCLE_1)
	s_or_b32 s12, s12, vcc_lo
	s_and_b32 exec_lo, exec_lo, s12
	s_cbranch_execz .LBB125_10
; %bb.8:
	v_mov_b32_e32 v3, s3
.LBB125_9:                              ; =>This Inner Loop Header: Depth=1
	ds_cmpstore_rtn_b32 v3, v1, v2, v3 offset:1984
	s_waitcnt lgkmcnt(0)
	v_cmp_ne_u32_e32 vcc_lo, 0, v3
	v_cmp_le_i32_e64 s3, v3, v2
	s_delay_alu instid0(VALU_DEP_1) | instskip(NEXT) | instid1(SALU_CYCLE_1)
	s_and_b32 s3, vcc_lo, s3
	s_and_b32 s3, exec_lo, s3
	s_delay_alu instid0(SALU_CYCLE_1) | instskip(NEXT) | instid1(SALU_CYCLE_1)
	s_or_b32 s5, s3, s5
	s_and_not1_b32 exec_lo, exec_lo, s5
	s_cbranch_execnz .LBB125_9
.LBB125_10:
	s_or_b32 exec_lo, exec_lo, s4
	v_mov_b32_e32 v1, 0
	s_barrier
	buffer_gl0_inv
	ds_load_b32 v2, v1 offset:1984
	s_and_saveexec_b32 s3, s2
	s_cbranch_execz .LBB125_12
; %bb.11:
	s_lshl_b64 s[4:5], s[10:11], 2
	s_delay_alu instid0(SALU_CYCLE_1)
	s_add_u32 s4, s6, s4
	s_addc_u32 s5, s7, s5
	s_waitcnt lgkmcnt(0)
	global_store_b32 v1, v2, s[4:5]
.LBB125_12:
	s_or_b32 exec_lo, exec_lo, s3
	s_waitcnt lgkmcnt(0)
	v_cmp_ne_u32_e32 vcc_lo, 0, v2
	s_mov_b32 s3, 0
	s_cbranch_vccnz .LBB125_272
; %bb.13:
	v_add_nc_u32_e32 v14, 0, v13
                                        ; implicit-def: $vgpr9_vgpr10
	scratch_load_b128 v[1:4], v14, off
	s_waitcnt vmcnt(0)
	v_mov_b32_e32 v5, v1
	v_cmp_gt_f64_e32 vcc_lo, 0, v[1:2]
	v_xor_b32_e32 v6, 0x80000000, v2
	v_xor_b32_e32 v7, 0x80000000, v4
	s_delay_alu instid0(VALU_DEP_2) | instskip(SKIP_1) | instid1(VALU_DEP_3)
	v_cndmask_b32_e32 v6, v2, v6, vcc_lo
	v_cmp_gt_f64_e32 vcc_lo, 0, v[3:4]
	v_dual_cndmask_b32 v8, v4, v7 :: v_dual_mov_b32 v7, v3
	s_delay_alu instid0(VALU_DEP_1) | instskip(SKIP_1) | instid1(SALU_CYCLE_1)
	v_cmp_ngt_f64_e32 vcc_lo, v[5:6], v[7:8]
                                        ; implicit-def: $vgpr5_vgpr6
	s_and_saveexec_b32 s3, vcc_lo
	s_xor_b32 s3, exec_lo, s3
	s_cbranch_execz .LBB125_15
; %bb.14:
	v_div_scale_f64 v[5:6], null, v[3:4], v[3:4], v[1:2]
	v_div_scale_f64 v[11:12], vcc_lo, v[1:2], v[3:4], v[1:2]
	s_delay_alu instid0(VALU_DEP_2) | instskip(SKIP_2) | instid1(VALU_DEP_1)
	v_rcp_f64_e32 v[7:8], v[5:6]
	s_waitcnt_depctr 0xfff
	v_fma_f64 v[9:10], -v[5:6], v[7:8], 1.0
	v_fma_f64 v[7:8], v[7:8], v[9:10], v[7:8]
	s_delay_alu instid0(VALU_DEP_1) | instskip(NEXT) | instid1(VALU_DEP_1)
	v_fma_f64 v[9:10], -v[5:6], v[7:8], 1.0
	v_fma_f64 v[7:8], v[7:8], v[9:10], v[7:8]
	s_delay_alu instid0(VALU_DEP_1) | instskip(NEXT) | instid1(VALU_DEP_1)
	v_mul_f64 v[9:10], v[11:12], v[7:8]
	v_fma_f64 v[5:6], -v[5:6], v[9:10], v[11:12]
	s_delay_alu instid0(VALU_DEP_1) | instskip(NEXT) | instid1(VALU_DEP_1)
	v_div_fmas_f64 v[5:6], v[5:6], v[7:8], v[9:10]
	v_div_fixup_f64 v[5:6], v[5:6], v[3:4], v[1:2]
	s_delay_alu instid0(VALU_DEP_1) | instskip(NEXT) | instid1(VALU_DEP_1)
	v_fma_f64 v[1:2], v[1:2], v[5:6], v[3:4]
	v_div_scale_f64 v[3:4], null, v[1:2], v[1:2], 1.0
	v_div_scale_f64 v[11:12], vcc_lo, 1.0, v[1:2], 1.0
	s_delay_alu instid0(VALU_DEP_2) | instskip(SKIP_2) | instid1(VALU_DEP_1)
	v_rcp_f64_e32 v[7:8], v[3:4]
	s_waitcnt_depctr 0xfff
	v_fma_f64 v[9:10], -v[3:4], v[7:8], 1.0
	v_fma_f64 v[7:8], v[7:8], v[9:10], v[7:8]
	s_delay_alu instid0(VALU_DEP_1) | instskip(NEXT) | instid1(VALU_DEP_1)
	v_fma_f64 v[9:10], -v[3:4], v[7:8], 1.0
	v_fma_f64 v[7:8], v[7:8], v[9:10], v[7:8]
	s_delay_alu instid0(VALU_DEP_1) | instskip(NEXT) | instid1(VALU_DEP_1)
	v_mul_f64 v[9:10], v[11:12], v[7:8]
	v_fma_f64 v[3:4], -v[3:4], v[9:10], v[11:12]
	s_delay_alu instid0(VALU_DEP_1) | instskip(NEXT) | instid1(VALU_DEP_1)
	v_div_fmas_f64 v[3:4], v[3:4], v[7:8], v[9:10]
	v_div_fixup_f64 v[7:8], v[3:4], v[1:2], 1.0
                                        ; implicit-def: $vgpr1_vgpr2
	s_delay_alu instid0(VALU_DEP_1) | instskip(SKIP_1) | instid1(VALU_DEP_2)
	v_mul_f64 v[5:6], v[5:6], v[7:8]
	v_xor_b32_e32 v8, 0x80000000, v8
	v_xor_b32_e32 v10, 0x80000000, v6
	s_delay_alu instid0(VALU_DEP_3)
	v_mov_b32_e32 v9, v5
.LBB125_15:
	s_and_not1_saveexec_b32 s3, s3
	s_cbranch_execz .LBB125_17
; %bb.16:
	v_div_scale_f64 v[5:6], null, v[1:2], v[1:2], v[3:4]
	v_div_scale_f64 v[11:12], vcc_lo, v[3:4], v[1:2], v[3:4]
	s_delay_alu instid0(VALU_DEP_2) | instskip(SKIP_2) | instid1(VALU_DEP_1)
	v_rcp_f64_e32 v[7:8], v[5:6]
	s_waitcnt_depctr 0xfff
	v_fma_f64 v[9:10], -v[5:6], v[7:8], 1.0
	v_fma_f64 v[7:8], v[7:8], v[9:10], v[7:8]
	s_delay_alu instid0(VALU_DEP_1) | instskip(NEXT) | instid1(VALU_DEP_1)
	v_fma_f64 v[9:10], -v[5:6], v[7:8], 1.0
	v_fma_f64 v[7:8], v[7:8], v[9:10], v[7:8]
	s_delay_alu instid0(VALU_DEP_1) | instskip(NEXT) | instid1(VALU_DEP_1)
	v_mul_f64 v[9:10], v[11:12], v[7:8]
	v_fma_f64 v[5:6], -v[5:6], v[9:10], v[11:12]
	s_delay_alu instid0(VALU_DEP_1) | instskip(NEXT) | instid1(VALU_DEP_1)
	v_div_fmas_f64 v[5:6], v[5:6], v[7:8], v[9:10]
	v_div_fixup_f64 v[7:8], v[5:6], v[1:2], v[3:4]
	s_delay_alu instid0(VALU_DEP_1) | instskip(NEXT) | instid1(VALU_DEP_1)
	v_fma_f64 v[1:2], v[3:4], v[7:8], v[1:2]
	v_div_scale_f64 v[3:4], null, v[1:2], v[1:2], 1.0
	s_delay_alu instid0(VALU_DEP_1) | instskip(SKIP_2) | instid1(VALU_DEP_1)
	v_rcp_f64_e32 v[5:6], v[3:4]
	s_waitcnt_depctr 0xfff
	v_fma_f64 v[9:10], -v[3:4], v[5:6], 1.0
	v_fma_f64 v[5:6], v[5:6], v[9:10], v[5:6]
	s_delay_alu instid0(VALU_DEP_1) | instskip(NEXT) | instid1(VALU_DEP_1)
	v_fma_f64 v[9:10], -v[3:4], v[5:6], 1.0
	v_fma_f64 v[5:6], v[5:6], v[9:10], v[5:6]
	v_div_scale_f64 v[9:10], vcc_lo, 1.0, v[1:2], 1.0
	s_delay_alu instid0(VALU_DEP_1) | instskip(NEXT) | instid1(VALU_DEP_1)
	v_mul_f64 v[11:12], v[9:10], v[5:6]
	v_fma_f64 v[3:4], -v[3:4], v[11:12], v[9:10]
	s_delay_alu instid0(VALU_DEP_1) | instskip(NEXT) | instid1(VALU_DEP_1)
	v_div_fmas_f64 v[3:4], v[3:4], v[5:6], v[11:12]
	v_div_fixup_f64 v[5:6], v[3:4], v[1:2], 1.0
	s_delay_alu instid0(VALU_DEP_1)
	v_mul_f64 v[7:8], v[7:8], -v[5:6]
	v_xor_b32_e32 v10, 0x80000000, v6
	v_mov_b32_e32 v9, v5
.LBB125_17:
	s_or_b32 exec_lo, exec_lo, s3
	scratch_store_b128 v14, v[5:8], off
	scratch_load_b128 v[1:4], v210, off
	v_xor_b32_e32 v12, 0x80000000, v8
	v_mov_b32_e32 v11, v7
	v_add_nc_u32_e32 v5, 0x3e0, v13
	ds_store_b128 v13, v[9:12]
	s_waitcnt vmcnt(0)
	ds_store_b128 v13, v[1:4] offset:992
	s_waitcnt lgkmcnt(0)
	s_waitcnt_vscnt null, 0x0
	s_barrier
	buffer_gl0_inv
	s_and_saveexec_b32 s3, s2
	s_cbranch_execz .LBB125_19
; %bb.18:
	scratch_load_b128 v[1:4], v14, off
	ds_load_b128 v[6:9], v5
	v_mov_b32_e32 v10, 0
	ds_load_b128 v[15:18], v10 offset:16
	s_waitcnt vmcnt(0) lgkmcnt(1)
	v_mul_f64 v[10:11], v[6:7], v[3:4]
	v_mul_f64 v[3:4], v[8:9], v[3:4]
	s_delay_alu instid0(VALU_DEP_2) | instskip(NEXT) | instid1(VALU_DEP_2)
	v_fma_f64 v[8:9], v[8:9], v[1:2], v[10:11]
	v_fma_f64 v[1:2], v[6:7], v[1:2], -v[3:4]
	s_delay_alu instid0(VALU_DEP_2) | instskip(NEXT) | instid1(VALU_DEP_2)
	v_add_f64 v[3:4], v[8:9], 0
	v_add_f64 v[1:2], v[1:2], 0
	s_waitcnt lgkmcnt(0)
	s_delay_alu instid0(VALU_DEP_2) | instskip(NEXT) | instid1(VALU_DEP_2)
	v_mul_f64 v[6:7], v[3:4], v[17:18]
	v_mul_f64 v[8:9], v[1:2], v[17:18]
	s_delay_alu instid0(VALU_DEP_2) | instskip(NEXT) | instid1(VALU_DEP_2)
	v_fma_f64 v[1:2], v[1:2], v[15:16], -v[6:7]
	v_fma_f64 v[3:4], v[3:4], v[15:16], v[8:9]
	scratch_store_b128 off, v[1:4], off offset:16
.LBB125_19:
	s_or_b32 exec_lo, exec_lo, s3
	s_waitcnt_vscnt null, 0x0
	s_barrier
	buffer_gl0_inv
	scratch_load_b128 v[1:4], v205, off
	v_cmp_gt_u32_e32 vcc_lo, 2, v174
	s_waitcnt vmcnt(0)
	ds_store_b128 v5, v[1:4]
	s_waitcnt lgkmcnt(0)
	s_barrier
	buffer_gl0_inv
	s_and_saveexec_b32 s3, vcc_lo
	s_cbranch_execz .LBB125_23
; %bb.20:
	scratch_load_b128 v[1:4], v14, off
	ds_load_b128 v[6:9], v5
	s_waitcnt vmcnt(0) lgkmcnt(0)
	v_mul_f64 v[10:11], v[8:9], v[3:4]
	v_mul_f64 v[3:4], v[6:7], v[3:4]
	s_delay_alu instid0(VALU_DEP_2) | instskip(NEXT) | instid1(VALU_DEP_2)
	v_fma_f64 v[6:7], v[6:7], v[1:2], -v[10:11]
	v_fma_f64 v[3:4], v[8:9], v[1:2], v[3:4]
	s_delay_alu instid0(VALU_DEP_2) | instskip(NEXT) | instid1(VALU_DEP_2)
	v_add_f64 v[1:2], v[6:7], 0
	v_add_f64 v[3:4], v[3:4], 0
	s_and_saveexec_b32 s4, s2
	s_cbranch_execz .LBB125_22
; %bb.21:
	scratch_load_b128 v[6:9], off, off offset:16
	v_mov_b32_e32 v10, 0
	ds_load_b128 v[15:18], v10 offset:1008
	s_waitcnt vmcnt(0) lgkmcnt(0)
	v_mul_f64 v[10:11], v[15:16], v[8:9]
	v_mul_f64 v[8:9], v[17:18], v[8:9]
	s_delay_alu instid0(VALU_DEP_2) | instskip(NEXT) | instid1(VALU_DEP_2)
	v_fma_f64 v[10:11], v[17:18], v[6:7], v[10:11]
	v_fma_f64 v[6:7], v[15:16], v[6:7], -v[8:9]
	s_delay_alu instid0(VALU_DEP_2) | instskip(NEXT) | instid1(VALU_DEP_2)
	v_add_f64 v[3:4], v[3:4], v[10:11]
	v_add_f64 v[1:2], v[1:2], v[6:7]
.LBB125_22:
	s_or_b32 exec_lo, exec_lo, s4
	v_mov_b32_e32 v6, 0
	ds_load_b128 v[6:9], v6 offset:32
	s_waitcnt lgkmcnt(0)
	v_mul_f64 v[10:11], v[3:4], v[8:9]
	v_mul_f64 v[8:9], v[1:2], v[8:9]
	s_delay_alu instid0(VALU_DEP_2) | instskip(NEXT) | instid1(VALU_DEP_2)
	v_fma_f64 v[1:2], v[1:2], v[6:7], -v[10:11]
	v_fma_f64 v[3:4], v[3:4], v[6:7], v[8:9]
	scratch_store_b128 off, v[1:4], off offset:32
.LBB125_23:
	s_or_b32 exec_lo, exec_lo, s3
	v_add_nc_u32_e64 v1, 0, 48
	s_waitcnt_vscnt null, 0x0
	s_barrier
	buffer_gl0_inv
	v_add_nc_u32_e32 v6, -1, v174
	scratch_load_b128 v[1:4], v1, off
	s_mov_b32 s4, exec_lo
	s_waitcnt vmcnt(0)
	ds_store_b128 v5, v[1:4]
	s_waitcnt lgkmcnt(0)
	s_barrier
	buffer_gl0_inv
	v_cmpx_gt_u32_e32 3, v174
	s_cbranch_execz .LBB125_27
; %bb.24:
	v_dual_mov_b32 v1, 0 :: v_dual_add_nc_u32 v8, 0x3e0, v13
	v_dual_mov_b32 v2, 0 :: v_dual_add_nc_u32 v7, -1, v174
	v_or_b32_e32 v9, 8, v14
	s_mov_b32 s5, 0
	s_delay_alu instid0(VALU_DEP_2)
	v_dual_mov_b32 v4, v2 :: v_dual_mov_b32 v3, v1
	.p2align	6
.LBB125_25:                             ; =>This Inner Loop Header: Depth=1
	scratch_load_b128 v[15:18], v9, off offset:-8
	ds_load_b128 v[19:22], v8
	v_add_nc_u32_e32 v7, 1, v7
	v_add_nc_u32_e32 v8, 16, v8
	;; [unrolled: 1-line block ×3, first 2 shown]
	s_delay_alu instid0(VALU_DEP_3) | instskip(NEXT) | instid1(VALU_DEP_1)
	v_cmp_lt_u32_e64 s3, 1, v7
	s_or_b32 s5, s3, s5
	s_waitcnt vmcnt(0) lgkmcnt(0)
	v_mul_f64 v[10:11], v[21:22], v[17:18]
	v_mul_f64 v[17:18], v[19:20], v[17:18]
	s_delay_alu instid0(VALU_DEP_2) | instskip(NEXT) | instid1(VALU_DEP_2)
	v_fma_f64 v[10:11], v[19:20], v[15:16], -v[10:11]
	v_fma_f64 v[15:16], v[21:22], v[15:16], v[17:18]
	s_delay_alu instid0(VALU_DEP_2) | instskip(NEXT) | instid1(VALU_DEP_2)
	v_add_f64 v[3:4], v[3:4], v[10:11]
	v_add_f64 v[1:2], v[1:2], v[15:16]
	s_and_not1_b32 exec_lo, exec_lo, s5
	s_cbranch_execnz .LBB125_25
; %bb.26:
	s_or_b32 exec_lo, exec_lo, s5
	v_mov_b32_e32 v7, 0
	ds_load_b128 v[7:10], v7 offset:48
	s_waitcnt lgkmcnt(0)
	v_mul_f64 v[11:12], v[1:2], v[9:10]
	v_mul_f64 v[15:16], v[3:4], v[9:10]
	s_delay_alu instid0(VALU_DEP_2) | instskip(NEXT) | instid1(VALU_DEP_2)
	v_fma_f64 v[9:10], v[3:4], v[7:8], -v[11:12]
	v_fma_f64 v[11:12], v[1:2], v[7:8], v[15:16]
	scratch_store_b128 off, v[9:12], off offset:48
.LBB125_27:
	s_or_b32 exec_lo, exec_lo, s4
	v_add_nc_u32_e64 v1, 0, 64
	s_waitcnt_vscnt null, 0x0
	s_barrier
	buffer_gl0_inv
	v_cmp_gt_u32_e64 s3, 4, v174
	scratch_load_b128 v[1:4], v1, off
	s_waitcnt vmcnt(0)
	ds_store_b128 v5, v[1:4]
	s_waitcnt lgkmcnt(0)
	s_barrier
	buffer_gl0_inv
	s_and_saveexec_b32 s5, s3
	s_cbranch_execz .LBB125_31
; %bb.28:
	v_dual_mov_b32 v1, 0 :: v_dual_add_nc_u32 v8, 0x3e0, v13
	v_dual_mov_b32 v2, 0 :: v_dual_add_nc_u32 v7, -1, v174
	v_or_b32_e32 v9, 8, v14
	s_mov_b32 s12, 0
	s_delay_alu instid0(VALU_DEP_2)
	v_dual_mov_b32 v4, v2 :: v_dual_mov_b32 v3, v1
	.p2align	6
.LBB125_29:                             ; =>This Inner Loop Header: Depth=1
	scratch_load_b128 v[15:18], v9, off offset:-8
	ds_load_b128 v[19:22], v8
	v_add_nc_u32_e32 v7, 1, v7
	v_add_nc_u32_e32 v8, 16, v8
	;; [unrolled: 1-line block ×3, first 2 shown]
	s_delay_alu instid0(VALU_DEP_3) | instskip(NEXT) | instid1(VALU_DEP_1)
	v_cmp_lt_u32_e64 s4, 2, v7
	s_or_b32 s12, s4, s12
	s_waitcnt vmcnt(0) lgkmcnt(0)
	v_mul_f64 v[10:11], v[21:22], v[17:18]
	v_mul_f64 v[17:18], v[19:20], v[17:18]
	s_delay_alu instid0(VALU_DEP_2) | instskip(NEXT) | instid1(VALU_DEP_2)
	v_fma_f64 v[10:11], v[19:20], v[15:16], -v[10:11]
	v_fma_f64 v[15:16], v[21:22], v[15:16], v[17:18]
	s_delay_alu instid0(VALU_DEP_2) | instskip(NEXT) | instid1(VALU_DEP_2)
	v_add_f64 v[3:4], v[3:4], v[10:11]
	v_add_f64 v[1:2], v[1:2], v[15:16]
	s_and_not1_b32 exec_lo, exec_lo, s12
	s_cbranch_execnz .LBB125_29
; %bb.30:
	s_or_b32 exec_lo, exec_lo, s12
	v_mov_b32_e32 v7, 0
	ds_load_b128 v[7:10], v7 offset:64
	s_waitcnt lgkmcnt(0)
	v_mul_f64 v[11:12], v[1:2], v[9:10]
	v_mul_f64 v[15:16], v[3:4], v[9:10]
	s_delay_alu instid0(VALU_DEP_2) | instskip(NEXT) | instid1(VALU_DEP_2)
	v_fma_f64 v[9:10], v[3:4], v[7:8], -v[11:12]
	v_fma_f64 v[11:12], v[1:2], v[7:8], v[15:16]
	scratch_store_b128 off, v[9:12], off offset:64
.LBB125_31:
	s_or_b32 exec_lo, exec_lo, s5
	s_waitcnt_vscnt null, 0x0
	s_barrier
	buffer_gl0_inv
	scratch_load_b32 v1, off, off offset:1212 ; 4-byte Folded Reload
	s_mov_b32 s5, exec_lo
	s_waitcnt vmcnt(0)
	scratch_load_b128 v[1:4], v1, off
	s_waitcnt vmcnt(0)
	ds_store_b128 v5, v[1:4]
	s_waitcnt lgkmcnt(0)
	s_barrier
	buffer_gl0_inv
	v_cmpx_gt_u32_e32 5, v174
	s_cbranch_execz .LBB125_35
; %bb.32:
	v_dual_mov_b32 v1, 0 :: v_dual_add_nc_u32 v8, 0x3e0, v13
	v_dual_mov_b32 v2, 0 :: v_dual_add_nc_u32 v7, -1, v174
	v_or_b32_e32 v9, 8, v14
	s_mov_b32 s12, 0
	s_delay_alu instid0(VALU_DEP_2)
	v_dual_mov_b32 v4, v2 :: v_dual_mov_b32 v3, v1
	.p2align	6
.LBB125_33:                             ; =>This Inner Loop Header: Depth=1
	scratch_load_b128 v[15:18], v9, off offset:-8
	ds_load_b128 v[19:22], v8
	v_add_nc_u32_e32 v7, 1, v7
	v_add_nc_u32_e32 v8, 16, v8
	;; [unrolled: 1-line block ×3, first 2 shown]
	s_delay_alu instid0(VALU_DEP_3) | instskip(NEXT) | instid1(VALU_DEP_1)
	v_cmp_lt_u32_e64 s4, 3, v7
	s_or_b32 s12, s4, s12
	s_waitcnt vmcnt(0) lgkmcnt(0)
	v_mul_f64 v[10:11], v[21:22], v[17:18]
	v_mul_f64 v[17:18], v[19:20], v[17:18]
	s_delay_alu instid0(VALU_DEP_2) | instskip(NEXT) | instid1(VALU_DEP_2)
	v_fma_f64 v[10:11], v[19:20], v[15:16], -v[10:11]
	v_fma_f64 v[15:16], v[21:22], v[15:16], v[17:18]
	s_delay_alu instid0(VALU_DEP_2) | instskip(NEXT) | instid1(VALU_DEP_2)
	v_add_f64 v[3:4], v[3:4], v[10:11]
	v_add_f64 v[1:2], v[1:2], v[15:16]
	s_and_not1_b32 exec_lo, exec_lo, s12
	s_cbranch_execnz .LBB125_33
; %bb.34:
	s_or_b32 exec_lo, exec_lo, s12
	v_mov_b32_e32 v7, 0
	ds_load_b128 v[7:10], v7 offset:80
	s_waitcnt lgkmcnt(0)
	v_mul_f64 v[11:12], v[1:2], v[9:10]
	v_mul_f64 v[15:16], v[3:4], v[9:10]
	s_delay_alu instid0(VALU_DEP_2) | instskip(NEXT) | instid1(VALU_DEP_2)
	v_fma_f64 v[9:10], v[3:4], v[7:8], -v[11:12]
	v_fma_f64 v[11:12], v[1:2], v[7:8], v[15:16]
	scratch_store_b128 off, v[9:12], off offset:80
.LBB125_35:
	s_or_b32 exec_lo, exec_lo, s5
	s_waitcnt_vscnt null, 0x0
	s_barrier
	buffer_gl0_inv
	scratch_load_b32 v1, off, off offset:1208 ; 4-byte Folded Reload
	v_cmp_gt_u32_e64 s4, 6, v174
	s_waitcnt vmcnt(0)
	scratch_load_b128 v[1:4], v1, off
	s_waitcnt vmcnt(0)
	ds_store_b128 v5, v[1:4]
	s_waitcnt lgkmcnt(0)
	s_barrier
	buffer_gl0_inv
	s_and_saveexec_b32 s12, s4
	s_cbranch_execz .LBB125_39
; %bb.36:
	v_dual_mov_b32 v1, 0 :: v_dual_add_nc_u32 v8, 0x3e0, v13
	v_dual_mov_b32 v2, 0 :: v_dual_add_nc_u32 v7, -1, v174
	v_or_b32_e32 v9, 8, v14
	s_mov_b32 s13, 0
	s_delay_alu instid0(VALU_DEP_2)
	v_dual_mov_b32 v4, v2 :: v_dual_mov_b32 v3, v1
	.p2align	6
.LBB125_37:                             ; =>This Inner Loop Header: Depth=1
	scratch_load_b128 v[15:18], v9, off offset:-8
	ds_load_b128 v[19:22], v8
	v_add_nc_u32_e32 v7, 1, v7
	v_add_nc_u32_e32 v8, 16, v8
	v_add_nc_u32_e32 v9, 16, v9
	s_delay_alu instid0(VALU_DEP_3) | instskip(NEXT) | instid1(VALU_DEP_1)
	v_cmp_lt_u32_e64 s5, 4, v7
	s_or_b32 s13, s5, s13
	s_waitcnt vmcnt(0) lgkmcnt(0)
	v_mul_f64 v[10:11], v[21:22], v[17:18]
	v_mul_f64 v[17:18], v[19:20], v[17:18]
	s_delay_alu instid0(VALU_DEP_2) | instskip(NEXT) | instid1(VALU_DEP_2)
	v_fma_f64 v[10:11], v[19:20], v[15:16], -v[10:11]
	v_fma_f64 v[15:16], v[21:22], v[15:16], v[17:18]
	s_delay_alu instid0(VALU_DEP_2) | instskip(NEXT) | instid1(VALU_DEP_2)
	v_add_f64 v[3:4], v[3:4], v[10:11]
	v_add_f64 v[1:2], v[1:2], v[15:16]
	s_and_not1_b32 exec_lo, exec_lo, s13
	s_cbranch_execnz .LBB125_37
; %bb.38:
	s_or_b32 exec_lo, exec_lo, s13
	v_mov_b32_e32 v7, 0
	ds_load_b128 v[7:10], v7 offset:96
	s_waitcnt lgkmcnt(0)
	v_mul_f64 v[11:12], v[1:2], v[9:10]
	v_mul_f64 v[15:16], v[3:4], v[9:10]
	s_delay_alu instid0(VALU_DEP_2) | instskip(NEXT) | instid1(VALU_DEP_2)
	v_fma_f64 v[9:10], v[3:4], v[7:8], -v[11:12]
	v_fma_f64 v[11:12], v[1:2], v[7:8], v[15:16]
	scratch_store_b128 off, v[9:12], off offset:96
.LBB125_39:
	s_or_b32 exec_lo, exec_lo, s12
	s_waitcnt_vscnt null, 0x0
	s_barrier
	buffer_gl0_inv
	scratch_load_b32 v1, off, off offset:1204 ; 4-byte Folded Reload
	s_mov_b32 s12, exec_lo
	s_waitcnt vmcnt(0)
	scratch_load_b128 v[1:4], v1, off
	s_waitcnt vmcnt(0)
	ds_store_b128 v5, v[1:4]
	s_waitcnt lgkmcnt(0)
	s_barrier
	buffer_gl0_inv
	v_cmpx_gt_u32_e32 7, v174
	s_cbranch_execz .LBB125_43
; %bb.40:
	v_dual_mov_b32 v1, 0 :: v_dual_add_nc_u32 v8, 0x3e0, v13
	v_dual_mov_b32 v2, 0 :: v_dual_add_nc_u32 v7, -1, v174
	v_or_b32_e32 v9, 8, v14
	s_mov_b32 s13, 0
	s_delay_alu instid0(VALU_DEP_2)
	v_dual_mov_b32 v4, v2 :: v_dual_mov_b32 v3, v1
	.p2align	6
.LBB125_41:                             ; =>This Inner Loop Header: Depth=1
	scratch_load_b128 v[15:18], v9, off offset:-8
	ds_load_b128 v[19:22], v8
	v_add_nc_u32_e32 v7, 1, v7
	v_add_nc_u32_e32 v8, 16, v8
	;; [unrolled: 1-line block ×3, first 2 shown]
	s_delay_alu instid0(VALU_DEP_3) | instskip(NEXT) | instid1(VALU_DEP_1)
	v_cmp_lt_u32_e64 s5, 5, v7
	s_or_b32 s13, s5, s13
	s_waitcnt vmcnt(0) lgkmcnt(0)
	v_mul_f64 v[10:11], v[21:22], v[17:18]
	v_mul_f64 v[17:18], v[19:20], v[17:18]
	s_delay_alu instid0(VALU_DEP_2) | instskip(NEXT) | instid1(VALU_DEP_2)
	v_fma_f64 v[10:11], v[19:20], v[15:16], -v[10:11]
	v_fma_f64 v[15:16], v[21:22], v[15:16], v[17:18]
	s_delay_alu instid0(VALU_DEP_2) | instskip(NEXT) | instid1(VALU_DEP_2)
	v_add_f64 v[3:4], v[3:4], v[10:11]
	v_add_f64 v[1:2], v[1:2], v[15:16]
	s_and_not1_b32 exec_lo, exec_lo, s13
	s_cbranch_execnz .LBB125_41
; %bb.42:
	s_or_b32 exec_lo, exec_lo, s13
	v_mov_b32_e32 v7, 0
	ds_load_b128 v[7:10], v7 offset:112
	s_waitcnt lgkmcnt(0)
	v_mul_f64 v[11:12], v[1:2], v[9:10]
	v_mul_f64 v[15:16], v[3:4], v[9:10]
	s_delay_alu instid0(VALU_DEP_2) | instskip(NEXT) | instid1(VALU_DEP_2)
	v_fma_f64 v[9:10], v[3:4], v[7:8], -v[11:12]
	v_fma_f64 v[11:12], v[1:2], v[7:8], v[15:16]
	scratch_store_b128 off, v[9:12], off offset:112
.LBB125_43:
	s_or_b32 exec_lo, exec_lo, s12
	s_waitcnt_vscnt null, 0x0
	s_barrier
	buffer_gl0_inv
	scratch_load_b32 v1, off, off offset:1200 ; 4-byte Folded Reload
	s_mov_b32 s12, exec_lo
	s_waitcnt vmcnt(0)
	scratch_load_b128 v[1:4], v1, off
	s_waitcnt vmcnt(0)
	ds_store_b128 v5, v[1:4]
	s_waitcnt lgkmcnt(0)
	s_barrier
	buffer_gl0_inv
	v_cmpx_gt_u32_e32 8, v174
	s_cbranch_execz .LBB125_59
; %bb.44:
	scratch_load_b128 v[1:4], v14, off
	ds_load_b128 v[7:10], v5
	s_mov_b32 s13, exec_lo
	s_waitcnt vmcnt(0) lgkmcnt(0)
	v_mul_f64 v[11:12], v[9:10], v[3:4]
	v_mul_f64 v[3:4], v[7:8], v[3:4]
	s_delay_alu instid0(VALU_DEP_2) | instskip(NEXT) | instid1(VALU_DEP_2)
	v_fma_f64 v[7:8], v[7:8], v[1:2], -v[11:12]
	v_fma_f64 v[1:2], v[9:10], v[1:2], v[3:4]
	s_delay_alu instid0(VALU_DEP_2) | instskip(NEXT) | instid1(VALU_DEP_2)
	v_add_f64 v[3:4], v[7:8], 0
	v_add_f64 v[1:2], v[1:2], 0
	v_cmpx_ne_u32_e32 7, v174
	s_cbranch_execz .LBB125_58
; %bb.45:
	scratch_load_b128 v[7:10], v14, off offset:16
	ds_load_b128 v[15:18], v5 offset:16
	s_waitcnt vmcnt(0) lgkmcnt(0)
	v_mul_f64 v[11:12], v[17:18], v[9:10]
	v_mul_f64 v[9:10], v[15:16], v[9:10]
	s_delay_alu instid0(VALU_DEP_2) | instskip(NEXT) | instid1(VALU_DEP_2)
	v_fma_f64 v[11:12], v[15:16], v[7:8], -v[11:12]
	v_fma_f64 v[7:8], v[17:18], v[7:8], v[9:10]
	s_delay_alu instid0(VALU_DEP_2) | instskip(NEXT) | instid1(VALU_DEP_2)
	v_add_f64 v[3:4], v[3:4], v[11:12]
	v_add_f64 v[1:2], v[1:2], v[7:8]
	s_and_saveexec_b32 s5, s4
	s_cbranch_execz .LBB125_57
; %bb.46:
	scratch_load_b128 v[7:10], v14, off offset:32
	ds_load_b128 v[15:18], v5 offset:32
	s_mov_b32 s15, exec_lo
	s_waitcnt vmcnt(0) lgkmcnt(0)
	v_mul_f64 v[11:12], v[17:18], v[9:10]
	v_mul_f64 v[9:10], v[15:16], v[9:10]
	s_delay_alu instid0(VALU_DEP_2) | instskip(NEXT) | instid1(VALU_DEP_2)
	v_fma_f64 v[11:12], v[15:16], v[7:8], -v[11:12]
	v_fma_f64 v[7:8], v[17:18], v[7:8], v[9:10]
	s_delay_alu instid0(VALU_DEP_2) | instskip(NEXT) | instid1(VALU_DEP_2)
	v_add_f64 v[3:4], v[3:4], v[11:12]
	v_add_f64 v[1:2], v[1:2], v[7:8]
	v_cmpx_ne_u32_e32 5, v174
	s_cbranch_execz .LBB125_56
; %bb.47:
	scratch_load_b128 v[7:10], v14, off offset:48
	ds_load_b128 v[15:18], v5 offset:48
	s_waitcnt vmcnt(0) lgkmcnt(0)
	v_mul_f64 v[11:12], v[17:18], v[9:10]
	v_mul_f64 v[9:10], v[15:16], v[9:10]
	s_delay_alu instid0(VALU_DEP_2) | instskip(NEXT) | instid1(VALU_DEP_2)
	v_fma_f64 v[11:12], v[15:16], v[7:8], -v[11:12]
	v_fma_f64 v[7:8], v[17:18], v[7:8], v[9:10]
	s_delay_alu instid0(VALU_DEP_2) | instskip(NEXT) | instid1(VALU_DEP_2)
	v_add_f64 v[3:4], v[3:4], v[11:12]
	v_add_f64 v[1:2], v[1:2], v[7:8]
	s_and_saveexec_b32 s4, s3
	s_cbranch_execz .LBB125_55
; %bb.48:
	scratch_load_b128 v[7:10], v14, off offset:64
	ds_load_b128 v[15:18], v5 offset:64
	s_mov_b32 s16, exec_lo
	s_waitcnt vmcnt(0) lgkmcnt(0)
	v_mul_f64 v[11:12], v[17:18], v[9:10]
	v_mul_f64 v[9:10], v[15:16], v[9:10]
	s_delay_alu instid0(VALU_DEP_2) | instskip(NEXT) | instid1(VALU_DEP_2)
	v_fma_f64 v[11:12], v[15:16], v[7:8], -v[11:12]
	v_fma_f64 v[7:8], v[17:18], v[7:8], v[9:10]
	s_delay_alu instid0(VALU_DEP_2) | instskip(NEXT) | instid1(VALU_DEP_2)
	v_add_f64 v[3:4], v[3:4], v[11:12]
	v_add_f64 v[1:2], v[1:2], v[7:8]
	v_cmpx_ne_u32_e32 3, v174
	s_cbranch_execz .LBB125_54
; %bb.49:
	scratch_load_b128 v[7:10], v14, off offset:80
	ds_load_b128 v[15:18], v5 offset:80
	s_waitcnt vmcnt(0) lgkmcnt(0)
	v_mul_f64 v[11:12], v[17:18], v[9:10]
	v_mul_f64 v[9:10], v[15:16], v[9:10]
	s_delay_alu instid0(VALU_DEP_2) | instskip(NEXT) | instid1(VALU_DEP_2)
	v_fma_f64 v[11:12], v[15:16], v[7:8], -v[11:12]
	v_fma_f64 v[7:8], v[17:18], v[7:8], v[9:10]
	s_delay_alu instid0(VALU_DEP_2) | instskip(NEXT) | instid1(VALU_DEP_2)
	v_add_f64 v[3:4], v[3:4], v[11:12]
	v_add_f64 v[1:2], v[1:2], v[7:8]
	s_and_saveexec_b32 s3, vcc_lo
	s_cbranch_execz .LBB125_53
; %bb.50:
	scratch_load_b128 v[7:10], v14, off offset:96
	ds_load_b128 v[15:18], v5 offset:96
	s_waitcnt vmcnt(0) lgkmcnt(0)
	v_mul_f64 v[11:12], v[17:18], v[9:10]
	v_mul_f64 v[9:10], v[15:16], v[9:10]
	s_delay_alu instid0(VALU_DEP_2) | instskip(NEXT) | instid1(VALU_DEP_2)
	v_fma_f64 v[11:12], v[15:16], v[7:8], -v[11:12]
	v_fma_f64 v[7:8], v[17:18], v[7:8], v[9:10]
	s_delay_alu instid0(VALU_DEP_2) | instskip(NEXT) | instid1(VALU_DEP_2)
	v_add_f64 v[3:4], v[3:4], v[11:12]
	v_add_f64 v[1:2], v[1:2], v[7:8]
	s_and_saveexec_b32 s17, s2
	s_cbranch_execz .LBB125_52
; %bb.51:
	scratch_load_b128 v[7:10], v14, off offset:112
	ds_load_b128 v[15:18], v5 offset:112
	s_waitcnt vmcnt(0) lgkmcnt(0)
	v_mul_f64 v[11:12], v[17:18], v[9:10]
	v_mul_f64 v[9:10], v[15:16], v[9:10]
	s_delay_alu instid0(VALU_DEP_2) | instskip(NEXT) | instid1(VALU_DEP_2)
	v_fma_f64 v[11:12], v[15:16], v[7:8], -v[11:12]
	v_fma_f64 v[7:8], v[17:18], v[7:8], v[9:10]
	s_delay_alu instid0(VALU_DEP_2) | instskip(NEXT) | instid1(VALU_DEP_2)
	v_add_f64 v[3:4], v[3:4], v[11:12]
	v_add_f64 v[1:2], v[1:2], v[7:8]
.LBB125_52:
	s_or_b32 exec_lo, exec_lo, s17
.LBB125_53:
	s_delay_alu instid0(SALU_CYCLE_1)
	s_or_b32 exec_lo, exec_lo, s3
.LBB125_54:
	s_delay_alu instid0(SALU_CYCLE_1)
	s_or_b32 exec_lo, exec_lo, s16
.LBB125_55:
	s_delay_alu instid0(SALU_CYCLE_1)
	s_or_b32 exec_lo, exec_lo, s4
.LBB125_56:
	s_delay_alu instid0(SALU_CYCLE_1)
	s_or_b32 exec_lo, exec_lo, s15
.LBB125_57:
	s_delay_alu instid0(SALU_CYCLE_1)
	s_or_b32 exec_lo, exec_lo, s5
.LBB125_58:
	s_delay_alu instid0(SALU_CYCLE_1)
	s_or_b32 exec_lo, exec_lo, s13
	v_mov_b32_e32 v7, 0
	ds_load_b128 v[7:10], v7 offset:128
	s_waitcnt lgkmcnt(0)
	v_mul_f64 v[11:12], v[1:2], v[9:10]
	v_mul_f64 v[15:16], v[3:4], v[9:10]
	s_delay_alu instid0(VALU_DEP_2) | instskip(NEXT) | instid1(VALU_DEP_2)
	v_fma_f64 v[9:10], v[3:4], v[7:8], -v[11:12]
	v_fma_f64 v[11:12], v[1:2], v[7:8], v[15:16]
	scratch_store_b128 off, v[9:12], off offset:128
.LBB125_59:
	s_or_b32 exec_lo, exec_lo, s12
	s_waitcnt_vscnt null, 0x0
	s_barrier
	buffer_gl0_inv
	scratch_load_b32 v1, off, off offset:1196 ; 4-byte Folded Reload
	s_mov_b32 s2, exec_lo
	s_waitcnt vmcnt(0)
	scratch_load_b128 v[1:4], v1, off
	s_waitcnt vmcnt(0)
	ds_store_b128 v5, v[1:4]
	s_waitcnt lgkmcnt(0)
	s_barrier
	buffer_gl0_inv
	v_cmpx_gt_u32_e32 9, v174
	s_cbranch_execz .LBB125_63
; %bb.60:
	v_dual_mov_b32 v1, 0 :: v_dual_add_nc_u32 v8, 0x3e0, v13
	v_dual_mov_b32 v2, 0 :: v_dual_add_nc_u32 v7, -1, v174
	v_or_b32_e32 v9, 8, v14
	s_mov_b32 s3, 0
	s_delay_alu instid0(VALU_DEP_2)
	v_dual_mov_b32 v4, v2 :: v_dual_mov_b32 v3, v1
	.p2align	6
.LBB125_61:                             ; =>This Inner Loop Header: Depth=1
	scratch_load_b128 v[15:18], v9, off offset:-8
	ds_load_b128 v[19:22], v8
	v_add_nc_u32_e32 v7, 1, v7
	v_add_nc_u32_e32 v8, 16, v8
	v_add_nc_u32_e32 v9, 16, v9
	s_delay_alu instid0(VALU_DEP_3) | instskip(SKIP_4) | instid1(VALU_DEP_2)
	v_cmp_lt_u32_e32 vcc_lo, 7, v7
	s_or_b32 s3, vcc_lo, s3
	s_waitcnt vmcnt(0) lgkmcnt(0)
	v_mul_f64 v[10:11], v[21:22], v[17:18]
	v_mul_f64 v[17:18], v[19:20], v[17:18]
	v_fma_f64 v[10:11], v[19:20], v[15:16], -v[10:11]
	s_delay_alu instid0(VALU_DEP_2) | instskip(NEXT) | instid1(VALU_DEP_2)
	v_fma_f64 v[15:16], v[21:22], v[15:16], v[17:18]
	v_add_f64 v[3:4], v[3:4], v[10:11]
	s_delay_alu instid0(VALU_DEP_2)
	v_add_f64 v[1:2], v[1:2], v[15:16]
	s_and_not1_b32 exec_lo, exec_lo, s3
	s_cbranch_execnz .LBB125_61
; %bb.62:
	s_or_b32 exec_lo, exec_lo, s3
	v_mov_b32_e32 v7, 0
	ds_load_b128 v[7:10], v7 offset:144
	s_waitcnt lgkmcnt(0)
	v_mul_f64 v[11:12], v[1:2], v[9:10]
	v_mul_f64 v[15:16], v[3:4], v[9:10]
	s_delay_alu instid0(VALU_DEP_2) | instskip(NEXT) | instid1(VALU_DEP_2)
	v_fma_f64 v[9:10], v[3:4], v[7:8], -v[11:12]
	v_fma_f64 v[11:12], v[1:2], v[7:8], v[15:16]
	scratch_store_b128 off, v[9:12], off offset:144
.LBB125_63:
	s_or_b32 exec_lo, exec_lo, s2
	s_waitcnt_vscnt null, 0x0
	s_barrier
	buffer_gl0_inv
	scratch_load_b32 v1, off, off offset:1188 ; 4-byte Folded Reload
	s_mov_b32 s2, exec_lo
	s_waitcnt vmcnt(0)
	scratch_load_b128 v[1:4], v1, off
	s_waitcnt vmcnt(0)
	ds_store_b128 v5, v[1:4]
	s_waitcnt lgkmcnt(0)
	s_barrier
	buffer_gl0_inv
	v_cmpx_gt_u32_e32 10, v174
	s_cbranch_execz .LBB125_67
; %bb.64:
	v_dual_mov_b32 v1, 0 :: v_dual_add_nc_u32 v8, 0x3e0, v13
	v_dual_mov_b32 v2, 0 :: v_dual_add_nc_u32 v7, -1, v174
	v_or_b32_e32 v9, 8, v14
	s_mov_b32 s3, 0
	s_delay_alu instid0(VALU_DEP_2)
	v_dual_mov_b32 v4, v2 :: v_dual_mov_b32 v3, v1
	.p2align	6
.LBB125_65:                             ; =>This Inner Loop Header: Depth=1
	scratch_load_b128 v[15:18], v9, off offset:-8
	ds_load_b128 v[19:22], v8
	v_add_nc_u32_e32 v7, 1, v7
	v_add_nc_u32_e32 v8, 16, v8
	v_add_nc_u32_e32 v9, 16, v9
	s_delay_alu instid0(VALU_DEP_3) | instskip(SKIP_4) | instid1(VALU_DEP_2)
	v_cmp_lt_u32_e32 vcc_lo, 8, v7
	s_or_b32 s3, vcc_lo, s3
	s_waitcnt vmcnt(0) lgkmcnt(0)
	v_mul_f64 v[10:11], v[21:22], v[17:18]
	v_mul_f64 v[17:18], v[19:20], v[17:18]
	v_fma_f64 v[10:11], v[19:20], v[15:16], -v[10:11]
	s_delay_alu instid0(VALU_DEP_2) | instskip(NEXT) | instid1(VALU_DEP_2)
	v_fma_f64 v[15:16], v[21:22], v[15:16], v[17:18]
	v_add_f64 v[3:4], v[3:4], v[10:11]
	s_delay_alu instid0(VALU_DEP_2)
	v_add_f64 v[1:2], v[1:2], v[15:16]
	s_and_not1_b32 exec_lo, exec_lo, s3
	s_cbranch_execnz .LBB125_65
; %bb.66:
	s_or_b32 exec_lo, exec_lo, s3
	v_mov_b32_e32 v7, 0
	ds_load_b128 v[7:10], v7 offset:160
	s_waitcnt lgkmcnt(0)
	v_mul_f64 v[11:12], v[1:2], v[9:10]
	v_mul_f64 v[15:16], v[3:4], v[9:10]
	s_delay_alu instid0(VALU_DEP_2) | instskip(NEXT) | instid1(VALU_DEP_2)
	v_fma_f64 v[9:10], v[3:4], v[7:8], -v[11:12]
	v_fma_f64 v[11:12], v[1:2], v[7:8], v[15:16]
	scratch_store_b128 off, v[9:12], off offset:160
.LBB125_67:
	s_or_b32 exec_lo, exec_lo, s2
	s_waitcnt_vscnt null, 0x0
	s_barrier
	buffer_gl0_inv
	scratch_load_b32 v1, off, off offset:1184 ; 4-byte Folded Reload
	s_mov_b32 s2, exec_lo
	s_waitcnt vmcnt(0)
	scratch_load_b128 v[1:4], v1, off
	s_waitcnt vmcnt(0)
	ds_store_b128 v5, v[1:4]
	s_waitcnt lgkmcnt(0)
	s_barrier
	buffer_gl0_inv
	v_cmpx_gt_u32_e32 11, v174
	s_cbranch_execz .LBB125_71
; %bb.68:
	v_dual_mov_b32 v1, 0 :: v_dual_add_nc_u32 v8, 0x3e0, v13
	v_dual_mov_b32 v2, 0 :: v_dual_add_nc_u32 v7, -1, v174
	v_or_b32_e32 v9, 8, v14
	s_mov_b32 s3, 0
	s_delay_alu instid0(VALU_DEP_2)
	v_dual_mov_b32 v4, v2 :: v_dual_mov_b32 v3, v1
	.p2align	6
.LBB125_69:                             ; =>This Inner Loop Header: Depth=1
	scratch_load_b128 v[15:18], v9, off offset:-8
	ds_load_b128 v[19:22], v8
	v_add_nc_u32_e32 v7, 1, v7
	v_add_nc_u32_e32 v8, 16, v8
	;; [unrolled: 1-line block ×3, first 2 shown]
	s_delay_alu instid0(VALU_DEP_3) | instskip(SKIP_4) | instid1(VALU_DEP_2)
	v_cmp_lt_u32_e32 vcc_lo, 9, v7
	s_or_b32 s3, vcc_lo, s3
	s_waitcnt vmcnt(0) lgkmcnt(0)
	v_mul_f64 v[10:11], v[21:22], v[17:18]
	v_mul_f64 v[17:18], v[19:20], v[17:18]
	v_fma_f64 v[10:11], v[19:20], v[15:16], -v[10:11]
	s_delay_alu instid0(VALU_DEP_2) | instskip(NEXT) | instid1(VALU_DEP_2)
	v_fma_f64 v[15:16], v[21:22], v[15:16], v[17:18]
	v_add_f64 v[3:4], v[3:4], v[10:11]
	s_delay_alu instid0(VALU_DEP_2)
	v_add_f64 v[1:2], v[1:2], v[15:16]
	s_and_not1_b32 exec_lo, exec_lo, s3
	s_cbranch_execnz .LBB125_69
; %bb.70:
	s_or_b32 exec_lo, exec_lo, s3
	v_mov_b32_e32 v7, 0
	ds_load_b128 v[7:10], v7 offset:176
	s_waitcnt lgkmcnt(0)
	v_mul_f64 v[11:12], v[1:2], v[9:10]
	v_mul_f64 v[15:16], v[3:4], v[9:10]
	s_delay_alu instid0(VALU_DEP_2) | instskip(NEXT) | instid1(VALU_DEP_2)
	v_fma_f64 v[9:10], v[3:4], v[7:8], -v[11:12]
	v_fma_f64 v[11:12], v[1:2], v[7:8], v[15:16]
	scratch_store_b128 off, v[9:12], off offset:176
.LBB125_71:
	s_or_b32 exec_lo, exec_lo, s2
	s_waitcnt_vscnt null, 0x0
	s_barrier
	buffer_gl0_inv
	scratch_load_b32 v1, off, off offset:1180 ; 4-byte Folded Reload
	s_mov_b32 s2, exec_lo
	s_waitcnt vmcnt(0)
	scratch_load_b128 v[1:4], v1, off
	s_waitcnt vmcnt(0)
	ds_store_b128 v5, v[1:4]
	s_waitcnt lgkmcnt(0)
	s_barrier
	buffer_gl0_inv
	v_cmpx_gt_u32_e32 12, v174
	s_cbranch_execz .LBB125_75
; %bb.72:
	v_dual_mov_b32 v1, 0 :: v_dual_add_nc_u32 v8, 0x3e0, v13
	v_dual_mov_b32 v2, 0 :: v_dual_add_nc_u32 v7, -1, v174
	v_or_b32_e32 v9, 8, v14
	s_mov_b32 s3, 0
	s_delay_alu instid0(VALU_DEP_2)
	v_dual_mov_b32 v4, v2 :: v_dual_mov_b32 v3, v1
	.p2align	6
.LBB125_73:                             ; =>This Inner Loop Header: Depth=1
	scratch_load_b128 v[15:18], v9, off offset:-8
	ds_load_b128 v[19:22], v8
	v_add_nc_u32_e32 v7, 1, v7
	v_add_nc_u32_e32 v8, 16, v8
	;; [unrolled: 1-line block ×3, first 2 shown]
	s_delay_alu instid0(VALU_DEP_3) | instskip(SKIP_4) | instid1(VALU_DEP_2)
	v_cmp_lt_u32_e32 vcc_lo, 10, v7
	s_or_b32 s3, vcc_lo, s3
	s_waitcnt vmcnt(0) lgkmcnt(0)
	v_mul_f64 v[10:11], v[21:22], v[17:18]
	v_mul_f64 v[17:18], v[19:20], v[17:18]
	v_fma_f64 v[10:11], v[19:20], v[15:16], -v[10:11]
	s_delay_alu instid0(VALU_DEP_2) | instskip(NEXT) | instid1(VALU_DEP_2)
	v_fma_f64 v[15:16], v[21:22], v[15:16], v[17:18]
	v_add_f64 v[3:4], v[3:4], v[10:11]
	s_delay_alu instid0(VALU_DEP_2)
	v_add_f64 v[1:2], v[1:2], v[15:16]
	s_and_not1_b32 exec_lo, exec_lo, s3
	s_cbranch_execnz .LBB125_73
; %bb.74:
	s_or_b32 exec_lo, exec_lo, s3
	v_mov_b32_e32 v7, 0
	ds_load_b128 v[7:10], v7 offset:192
	s_waitcnt lgkmcnt(0)
	v_mul_f64 v[11:12], v[1:2], v[9:10]
	v_mul_f64 v[15:16], v[3:4], v[9:10]
	s_delay_alu instid0(VALU_DEP_2) | instskip(NEXT) | instid1(VALU_DEP_2)
	v_fma_f64 v[9:10], v[3:4], v[7:8], -v[11:12]
	v_fma_f64 v[11:12], v[1:2], v[7:8], v[15:16]
	scratch_store_b128 off, v[9:12], off offset:192
.LBB125_75:
	s_or_b32 exec_lo, exec_lo, s2
	s_waitcnt_vscnt null, 0x0
	s_barrier
	buffer_gl0_inv
	scratch_load_b32 v1, off, off offset:1172 ; 4-byte Folded Reload
	s_mov_b32 s2, exec_lo
	s_waitcnt vmcnt(0)
	scratch_load_b128 v[1:4], v1, off
	s_waitcnt vmcnt(0)
	ds_store_b128 v5, v[1:4]
	s_waitcnt lgkmcnt(0)
	s_barrier
	buffer_gl0_inv
	v_cmpx_gt_u32_e32 13, v174
	s_cbranch_execz .LBB125_79
; %bb.76:
	v_dual_mov_b32 v1, 0 :: v_dual_add_nc_u32 v8, 0x3e0, v13
	v_dual_mov_b32 v2, 0 :: v_dual_add_nc_u32 v7, -1, v174
	v_or_b32_e32 v9, 8, v14
	s_mov_b32 s3, 0
	s_delay_alu instid0(VALU_DEP_2)
	v_dual_mov_b32 v4, v2 :: v_dual_mov_b32 v3, v1
	.p2align	6
.LBB125_77:                             ; =>This Inner Loop Header: Depth=1
	scratch_load_b128 v[15:18], v9, off offset:-8
	ds_load_b128 v[19:22], v8
	v_add_nc_u32_e32 v7, 1, v7
	v_add_nc_u32_e32 v8, 16, v8
	;; [unrolled: 1-line block ×3, first 2 shown]
	s_delay_alu instid0(VALU_DEP_3) | instskip(SKIP_4) | instid1(VALU_DEP_2)
	v_cmp_lt_u32_e32 vcc_lo, 11, v7
	s_or_b32 s3, vcc_lo, s3
	s_waitcnt vmcnt(0) lgkmcnt(0)
	v_mul_f64 v[10:11], v[21:22], v[17:18]
	v_mul_f64 v[17:18], v[19:20], v[17:18]
	v_fma_f64 v[10:11], v[19:20], v[15:16], -v[10:11]
	s_delay_alu instid0(VALU_DEP_2) | instskip(NEXT) | instid1(VALU_DEP_2)
	v_fma_f64 v[15:16], v[21:22], v[15:16], v[17:18]
	v_add_f64 v[3:4], v[3:4], v[10:11]
	s_delay_alu instid0(VALU_DEP_2)
	v_add_f64 v[1:2], v[1:2], v[15:16]
	s_and_not1_b32 exec_lo, exec_lo, s3
	s_cbranch_execnz .LBB125_77
; %bb.78:
	s_or_b32 exec_lo, exec_lo, s3
	v_mov_b32_e32 v7, 0
	ds_load_b128 v[7:10], v7 offset:208
	s_waitcnt lgkmcnt(0)
	v_mul_f64 v[11:12], v[1:2], v[9:10]
	v_mul_f64 v[15:16], v[3:4], v[9:10]
	s_delay_alu instid0(VALU_DEP_2) | instskip(NEXT) | instid1(VALU_DEP_2)
	v_fma_f64 v[9:10], v[3:4], v[7:8], -v[11:12]
	v_fma_f64 v[11:12], v[1:2], v[7:8], v[15:16]
	scratch_store_b128 off, v[9:12], off offset:208
.LBB125_79:
	s_or_b32 exec_lo, exec_lo, s2
	s_waitcnt_vscnt null, 0x0
	s_barrier
	buffer_gl0_inv
	scratch_load_b32 v1, off, off offset:1164 ; 4-byte Folded Reload
	s_mov_b32 s2, exec_lo
	s_waitcnt vmcnt(0)
	scratch_load_b128 v[1:4], v1, off
	s_waitcnt vmcnt(0)
	ds_store_b128 v5, v[1:4]
	s_waitcnt lgkmcnt(0)
	s_barrier
	buffer_gl0_inv
	v_cmpx_gt_u32_e32 14, v174
	s_cbranch_execz .LBB125_83
; %bb.80:
	v_dual_mov_b32 v1, 0 :: v_dual_add_nc_u32 v8, 0x3e0, v13
	v_dual_mov_b32 v2, 0 :: v_dual_add_nc_u32 v7, -1, v174
	v_or_b32_e32 v9, 8, v14
	s_mov_b32 s3, 0
	s_delay_alu instid0(VALU_DEP_2)
	v_dual_mov_b32 v4, v2 :: v_dual_mov_b32 v3, v1
	.p2align	6
.LBB125_81:                             ; =>This Inner Loop Header: Depth=1
	scratch_load_b128 v[15:18], v9, off offset:-8
	ds_load_b128 v[19:22], v8
	v_add_nc_u32_e32 v7, 1, v7
	v_add_nc_u32_e32 v8, 16, v8
	;; [unrolled: 1-line block ×3, first 2 shown]
	s_delay_alu instid0(VALU_DEP_3) | instskip(SKIP_4) | instid1(VALU_DEP_2)
	v_cmp_lt_u32_e32 vcc_lo, 12, v7
	s_or_b32 s3, vcc_lo, s3
	s_waitcnt vmcnt(0) lgkmcnt(0)
	v_mul_f64 v[10:11], v[21:22], v[17:18]
	v_mul_f64 v[17:18], v[19:20], v[17:18]
	v_fma_f64 v[10:11], v[19:20], v[15:16], -v[10:11]
	s_delay_alu instid0(VALU_DEP_2) | instskip(NEXT) | instid1(VALU_DEP_2)
	v_fma_f64 v[15:16], v[21:22], v[15:16], v[17:18]
	v_add_f64 v[3:4], v[3:4], v[10:11]
	s_delay_alu instid0(VALU_DEP_2)
	v_add_f64 v[1:2], v[1:2], v[15:16]
	s_and_not1_b32 exec_lo, exec_lo, s3
	s_cbranch_execnz .LBB125_81
; %bb.82:
	s_or_b32 exec_lo, exec_lo, s3
	v_mov_b32_e32 v7, 0
	ds_load_b128 v[7:10], v7 offset:224
	s_waitcnt lgkmcnt(0)
	v_mul_f64 v[11:12], v[1:2], v[9:10]
	v_mul_f64 v[15:16], v[3:4], v[9:10]
	s_delay_alu instid0(VALU_DEP_2) | instskip(NEXT) | instid1(VALU_DEP_2)
	v_fma_f64 v[9:10], v[3:4], v[7:8], -v[11:12]
	v_fma_f64 v[11:12], v[1:2], v[7:8], v[15:16]
	scratch_store_b128 off, v[9:12], off offset:224
.LBB125_83:
	s_or_b32 exec_lo, exec_lo, s2
	s_waitcnt_vscnt null, 0x0
	s_barrier
	buffer_gl0_inv
	scratch_load_b32 v1, off, off offset:1160 ; 4-byte Folded Reload
	s_mov_b32 s2, exec_lo
	s_waitcnt vmcnt(0)
	scratch_load_b128 v[1:4], v1, off
	s_waitcnt vmcnt(0)
	ds_store_b128 v5, v[1:4]
	s_waitcnt lgkmcnt(0)
	s_barrier
	buffer_gl0_inv
	v_cmpx_gt_u32_e32 15, v174
	s_cbranch_execz .LBB125_87
; %bb.84:
	v_dual_mov_b32 v1, 0 :: v_dual_add_nc_u32 v8, 0x3e0, v13
	v_dual_mov_b32 v2, 0 :: v_dual_add_nc_u32 v7, -1, v174
	v_or_b32_e32 v9, 8, v14
	s_mov_b32 s3, 0
	s_delay_alu instid0(VALU_DEP_2)
	v_dual_mov_b32 v4, v2 :: v_dual_mov_b32 v3, v1
	.p2align	6
.LBB125_85:                             ; =>This Inner Loop Header: Depth=1
	scratch_load_b128 v[15:18], v9, off offset:-8
	ds_load_b128 v[19:22], v8
	v_add_nc_u32_e32 v7, 1, v7
	v_add_nc_u32_e32 v8, 16, v8
	;; [unrolled: 1-line block ×3, first 2 shown]
	s_delay_alu instid0(VALU_DEP_3) | instskip(SKIP_4) | instid1(VALU_DEP_2)
	v_cmp_lt_u32_e32 vcc_lo, 13, v7
	s_or_b32 s3, vcc_lo, s3
	s_waitcnt vmcnt(0) lgkmcnt(0)
	v_mul_f64 v[10:11], v[21:22], v[17:18]
	v_mul_f64 v[17:18], v[19:20], v[17:18]
	v_fma_f64 v[10:11], v[19:20], v[15:16], -v[10:11]
	s_delay_alu instid0(VALU_DEP_2) | instskip(NEXT) | instid1(VALU_DEP_2)
	v_fma_f64 v[15:16], v[21:22], v[15:16], v[17:18]
	v_add_f64 v[3:4], v[3:4], v[10:11]
	s_delay_alu instid0(VALU_DEP_2)
	v_add_f64 v[1:2], v[1:2], v[15:16]
	s_and_not1_b32 exec_lo, exec_lo, s3
	s_cbranch_execnz .LBB125_85
; %bb.86:
	s_or_b32 exec_lo, exec_lo, s3
	v_mov_b32_e32 v7, 0
	ds_load_b128 v[7:10], v7 offset:240
	s_waitcnt lgkmcnt(0)
	v_mul_f64 v[11:12], v[1:2], v[9:10]
	v_mul_f64 v[15:16], v[3:4], v[9:10]
	s_delay_alu instid0(VALU_DEP_2) | instskip(NEXT) | instid1(VALU_DEP_2)
	v_fma_f64 v[9:10], v[3:4], v[7:8], -v[11:12]
	v_fma_f64 v[11:12], v[1:2], v[7:8], v[15:16]
	scratch_store_b128 off, v[9:12], off offset:240
.LBB125_87:
	s_or_b32 exec_lo, exec_lo, s2
	s_waitcnt_vscnt null, 0x0
	s_barrier
	buffer_gl0_inv
	scratch_load_b32 v1, off, off offset:1156 ; 4-byte Folded Reload
	s_mov_b32 s2, exec_lo
	s_waitcnt vmcnt(0)
	scratch_load_b128 v[1:4], v1, off
	s_waitcnt vmcnt(0)
	ds_store_b128 v5, v[1:4]
	s_waitcnt lgkmcnt(0)
	s_barrier
	buffer_gl0_inv
	v_cmpx_gt_u32_e32 16, v174
	s_cbranch_execz .LBB125_91
; %bb.88:
	v_dual_mov_b32 v1, 0 :: v_dual_add_nc_u32 v8, 0x3e0, v13
	v_dual_mov_b32 v2, 0 :: v_dual_add_nc_u32 v7, -1, v174
	v_or_b32_e32 v9, 8, v14
	s_mov_b32 s3, 0
	s_delay_alu instid0(VALU_DEP_2)
	v_dual_mov_b32 v4, v2 :: v_dual_mov_b32 v3, v1
	.p2align	6
.LBB125_89:                             ; =>This Inner Loop Header: Depth=1
	scratch_load_b128 v[15:18], v9, off offset:-8
	ds_load_b128 v[19:22], v8
	v_add_nc_u32_e32 v7, 1, v7
	v_add_nc_u32_e32 v8, 16, v8
	;; [unrolled: 1-line block ×3, first 2 shown]
	s_delay_alu instid0(VALU_DEP_3) | instskip(SKIP_4) | instid1(VALU_DEP_2)
	v_cmp_lt_u32_e32 vcc_lo, 14, v7
	s_or_b32 s3, vcc_lo, s3
	s_waitcnt vmcnt(0) lgkmcnt(0)
	v_mul_f64 v[10:11], v[21:22], v[17:18]
	v_mul_f64 v[17:18], v[19:20], v[17:18]
	v_fma_f64 v[10:11], v[19:20], v[15:16], -v[10:11]
	s_delay_alu instid0(VALU_DEP_2) | instskip(NEXT) | instid1(VALU_DEP_2)
	v_fma_f64 v[15:16], v[21:22], v[15:16], v[17:18]
	v_add_f64 v[3:4], v[3:4], v[10:11]
	s_delay_alu instid0(VALU_DEP_2)
	v_add_f64 v[1:2], v[1:2], v[15:16]
	s_and_not1_b32 exec_lo, exec_lo, s3
	s_cbranch_execnz .LBB125_89
; %bb.90:
	s_or_b32 exec_lo, exec_lo, s3
	v_mov_b32_e32 v7, 0
	ds_load_b128 v[7:10], v7 offset:256
	s_waitcnt lgkmcnt(0)
	v_mul_f64 v[11:12], v[1:2], v[9:10]
	v_mul_f64 v[15:16], v[3:4], v[9:10]
	s_delay_alu instid0(VALU_DEP_2) | instskip(NEXT) | instid1(VALU_DEP_2)
	v_fma_f64 v[9:10], v[3:4], v[7:8], -v[11:12]
	v_fma_f64 v[11:12], v[1:2], v[7:8], v[15:16]
	scratch_store_b128 off, v[9:12], off offset:256
.LBB125_91:
	s_or_b32 exec_lo, exec_lo, s2
	s_waitcnt_vscnt null, 0x0
	s_barrier
	buffer_gl0_inv
	scratch_load_b32 v1, off, off offset:1148 ; 4-byte Folded Reload
	s_mov_b32 s2, exec_lo
	s_waitcnt vmcnt(0)
	scratch_load_b128 v[1:4], v1, off
	s_waitcnt vmcnt(0)
	ds_store_b128 v5, v[1:4]
	s_waitcnt lgkmcnt(0)
	s_barrier
	buffer_gl0_inv
	v_cmpx_gt_u32_e32 17, v174
	s_cbranch_execz .LBB125_95
; %bb.92:
	v_dual_mov_b32 v1, 0 :: v_dual_add_nc_u32 v8, 0x3e0, v13
	v_dual_mov_b32 v2, 0 :: v_dual_add_nc_u32 v7, -1, v174
	v_or_b32_e32 v9, 8, v14
	s_mov_b32 s3, 0
	s_delay_alu instid0(VALU_DEP_2)
	v_dual_mov_b32 v4, v2 :: v_dual_mov_b32 v3, v1
	.p2align	6
.LBB125_93:                             ; =>This Inner Loop Header: Depth=1
	scratch_load_b128 v[15:18], v9, off offset:-8
	ds_load_b128 v[19:22], v8
	v_add_nc_u32_e32 v7, 1, v7
	v_add_nc_u32_e32 v8, 16, v8
	;; [unrolled: 1-line block ×3, first 2 shown]
	s_delay_alu instid0(VALU_DEP_3) | instskip(SKIP_4) | instid1(VALU_DEP_2)
	v_cmp_lt_u32_e32 vcc_lo, 15, v7
	s_or_b32 s3, vcc_lo, s3
	s_waitcnt vmcnt(0) lgkmcnt(0)
	v_mul_f64 v[10:11], v[21:22], v[17:18]
	v_mul_f64 v[17:18], v[19:20], v[17:18]
	v_fma_f64 v[10:11], v[19:20], v[15:16], -v[10:11]
	s_delay_alu instid0(VALU_DEP_2) | instskip(NEXT) | instid1(VALU_DEP_2)
	v_fma_f64 v[15:16], v[21:22], v[15:16], v[17:18]
	v_add_f64 v[3:4], v[3:4], v[10:11]
	s_delay_alu instid0(VALU_DEP_2)
	v_add_f64 v[1:2], v[1:2], v[15:16]
	s_and_not1_b32 exec_lo, exec_lo, s3
	s_cbranch_execnz .LBB125_93
; %bb.94:
	s_or_b32 exec_lo, exec_lo, s3
	v_mov_b32_e32 v7, 0
	ds_load_b128 v[7:10], v7 offset:272
	s_waitcnt lgkmcnt(0)
	v_mul_f64 v[11:12], v[1:2], v[9:10]
	v_mul_f64 v[15:16], v[3:4], v[9:10]
	s_delay_alu instid0(VALU_DEP_2) | instskip(NEXT) | instid1(VALU_DEP_2)
	v_fma_f64 v[9:10], v[3:4], v[7:8], -v[11:12]
	v_fma_f64 v[11:12], v[1:2], v[7:8], v[15:16]
	scratch_store_b128 off, v[9:12], off offset:272
.LBB125_95:
	s_or_b32 exec_lo, exec_lo, s2
	s_waitcnt_vscnt null, 0x0
	s_barrier
	buffer_gl0_inv
	scratch_load_b32 v1, off, off offset:1140 ; 4-byte Folded Reload
	s_mov_b32 s2, exec_lo
	s_waitcnt vmcnt(0)
	scratch_load_b128 v[1:4], v1, off
	s_waitcnt vmcnt(0)
	ds_store_b128 v5, v[1:4]
	s_waitcnt lgkmcnt(0)
	s_barrier
	buffer_gl0_inv
	v_cmpx_gt_u32_e32 18, v174
	s_cbranch_execz .LBB125_99
; %bb.96:
	v_dual_mov_b32 v1, 0 :: v_dual_add_nc_u32 v8, 0x3e0, v13
	v_dual_mov_b32 v2, 0 :: v_dual_add_nc_u32 v7, -1, v174
	v_or_b32_e32 v9, 8, v14
	s_mov_b32 s3, 0
	s_delay_alu instid0(VALU_DEP_2)
	v_dual_mov_b32 v4, v2 :: v_dual_mov_b32 v3, v1
	.p2align	6
.LBB125_97:                             ; =>This Inner Loop Header: Depth=1
	scratch_load_b128 v[15:18], v9, off offset:-8
	ds_load_b128 v[19:22], v8
	v_add_nc_u32_e32 v7, 1, v7
	v_add_nc_u32_e32 v8, 16, v8
	v_add_nc_u32_e32 v9, 16, v9
	s_delay_alu instid0(VALU_DEP_3) | instskip(SKIP_4) | instid1(VALU_DEP_2)
	v_cmp_lt_u32_e32 vcc_lo, 16, v7
	s_or_b32 s3, vcc_lo, s3
	s_waitcnt vmcnt(0) lgkmcnt(0)
	v_mul_f64 v[10:11], v[21:22], v[17:18]
	v_mul_f64 v[17:18], v[19:20], v[17:18]
	v_fma_f64 v[10:11], v[19:20], v[15:16], -v[10:11]
	s_delay_alu instid0(VALU_DEP_2) | instskip(NEXT) | instid1(VALU_DEP_2)
	v_fma_f64 v[15:16], v[21:22], v[15:16], v[17:18]
	v_add_f64 v[3:4], v[3:4], v[10:11]
	s_delay_alu instid0(VALU_DEP_2)
	v_add_f64 v[1:2], v[1:2], v[15:16]
	s_and_not1_b32 exec_lo, exec_lo, s3
	s_cbranch_execnz .LBB125_97
; %bb.98:
	s_or_b32 exec_lo, exec_lo, s3
	v_mov_b32_e32 v7, 0
	ds_load_b128 v[7:10], v7 offset:288
	s_waitcnt lgkmcnt(0)
	v_mul_f64 v[11:12], v[1:2], v[9:10]
	v_mul_f64 v[15:16], v[3:4], v[9:10]
	s_delay_alu instid0(VALU_DEP_2) | instskip(NEXT) | instid1(VALU_DEP_2)
	v_fma_f64 v[9:10], v[3:4], v[7:8], -v[11:12]
	v_fma_f64 v[11:12], v[1:2], v[7:8], v[15:16]
	scratch_store_b128 off, v[9:12], off offset:288
.LBB125_99:
	s_or_b32 exec_lo, exec_lo, s2
	s_waitcnt_vscnt null, 0x0
	s_barrier
	buffer_gl0_inv
	scratch_load_b32 v1, off, off offset:1136 ; 4-byte Folded Reload
	s_mov_b32 s2, exec_lo
	s_waitcnt vmcnt(0)
	scratch_load_b128 v[1:4], v1, off
	s_waitcnt vmcnt(0)
	ds_store_b128 v5, v[1:4]
	s_waitcnt lgkmcnt(0)
	s_barrier
	buffer_gl0_inv
	v_cmpx_gt_u32_e32 19, v174
	s_cbranch_execz .LBB125_103
; %bb.100:
	v_dual_mov_b32 v1, 0 :: v_dual_add_nc_u32 v8, 0x3e0, v13
	v_dual_mov_b32 v2, 0 :: v_dual_add_nc_u32 v7, -1, v174
	v_or_b32_e32 v9, 8, v14
	s_mov_b32 s3, 0
	s_delay_alu instid0(VALU_DEP_2)
	v_dual_mov_b32 v4, v2 :: v_dual_mov_b32 v3, v1
	.p2align	6
.LBB125_101:                            ; =>This Inner Loop Header: Depth=1
	scratch_load_b128 v[15:18], v9, off offset:-8
	ds_load_b128 v[19:22], v8
	v_add_nc_u32_e32 v7, 1, v7
	v_add_nc_u32_e32 v8, 16, v8
	;; [unrolled: 1-line block ×3, first 2 shown]
	s_delay_alu instid0(VALU_DEP_3) | instskip(SKIP_4) | instid1(VALU_DEP_2)
	v_cmp_lt_u32_e32 vcc_lo, 17, v7
	s_or_b32 s3, vcc_lo, s3
	s_waitcnt vmcnt(0) lgkmcnt(0)
	v_mul_f64 v[10:11], v[21:22], v[17:18]
	v_mul_f64 v[17:18], v[19:20], v[17:18]
	v_fma_f64 v[10:11], v[19:20], v[15:16], -v[10:11]
	s_delay_alu instid0(VALU_DEP_2) | instskip(NEXT) | instid1(VALU_DEP_2)
	v_fma_f64 v[15:16], v[21:22], v[15:16], v[17:18]
	v_add_f64 v[3:4], v[3:4], v[10:11]
	s_delay_alu instid0(VALU_DEP_2)
	v_add_f64 v[1:2], v[1:2], v[15:16]
	s_and_not1_b32 exec_lo, exec_lo, s3
	s_cbranch_execnz .LBB125_101
; %bb.102:
	s_or_b32 exec_lo, exec_lo, s3
	v_mov_b32_e32 v7, 0
	ds_load_b128 v[7:10], v7 offset:304
	s_waitcnt lgkmcnt(0)
	v_mul_f64 v[11:12], v[1:2], v[9:10]
	v_mul_f64 v[15:16], v[3:4], v[9:10]
	s_delay_alu instid0(VALU_DEP_2) | instskip(NEXT) | instid1(VALU_DEP_2)
	v_fma_f64 v[9:10], v[3:4], v[7:8], -v[11:12]
	v_fma_f64 v[11:12], v[1:2], v[7:8], v[15:16]
	scratch_store_b128 off, v[9:12], off offset:304
.LBB125_103:
	s_or_b32 exec_lo, exec_lo, s2
	s_waitcnt_vscnt null, 0x0
	s_barrier
	buffer_gl0_inv
	scratch_load_b32 v1, off, off offset:1132 ; 4-byte Folded Reload
	s_mov_b32 s2, exec_lo
	s_waitcnt vmcnt(0)
	scratch_load_b128 v[1:4], v1, off
	s_waitcnt vmcnt(0)
	ds_store_b128 v5, v[1:4]
	s_waitcnt lgkmcnt(0)
	s_barrier
	buffer_gl0_inv
	v_cmpx_gt_u32_e32 20, v174
	s_cbranch_execz .LBB125_107
; %bb.104:
	v_dual_mov_b32 v1, 0 :: v_dual_add_nc_u32 v8, 0x3e0, v13
	v_dual_mov_b32 v2, 0 :: v_dual_add_nc_u32 v7, -1, v174
	v_or_b32_e32 v9, 8, v14
	s_mov_b32 s3, 0
	s_delay_alu instid0(VALU_DEP_2)
	v_dual_mov_b32 v4, v2 :: v_dual_mov_b32 v3, v1
	.p2align	6
.LBB125_105:                            ; =>This Inner Loop Header: Depth=1
	scratch_load_b128 v[15:18], v9, off offset:-8
	ds_load_b128 v[19:22], v8
	v_add_nc_u32_e32 v7, 1, v7
	v_add_nc_u32_e32 v8, 16, v8
	;; [unrolled: 1-line block ×3, first 2 shown]
	s_delay_alu instid0(VALU_DEP_3) | instskip(SKIP_4) | instid1(VALU_DEP_2)
	v_cmp_lt_u32_e32 vcc_lo, 18, v7
	s_or_b32 s3, vcc_lo, s3
	s_waitcnt vmcnt(0) lgkmcnt(0)
	v_mul_f64 v[10:11], v[21:22], v[17:18]
	v_mul_f64 v[17:18], v[19:20], v[17:18]
	v_fma_f64 v[10:11], v[19:20], v[15:16], -v[10:11]
	s_delay_alu instid0(VALU_DEP_2) | instskip(NEXT) | instid1(VALU_DEP_2)
	v_fma_f64 v[15:16], v[21:22], v[15:16], v[17:18]
	v_add_f64 v[3:4], v[3:4], v[10:11]
	s_delay_alu instid0(VALU_DEP_2)
	v_add_f64 v[1:2], v[1:2], v[15:16]
	s_and_not1_b32 exec_lo, exec_lo, s3
	s_cbranch_execnz .LBB125_105
; %bb.106:
	s_or_b32 exec_lo, exec_lo, s3
	v_mov_b32_e32 v7, 0
	ds_load_b128 v[7:10], v7 offset:320
	s_waitcnt lgkmcnt(0)
	v_mul_f64 v[11:12], v[1:2], v[9:10]
	v_mul_f64 v[15:16], v[3:4], v[9:10]
	s_delay_alu instid0(VALU_DEP_2) | instskip(NEXT) | instid1(VALU_DEP_2)
	v_fma_f64 v[9:10], v[3:4], v[7:8], -v[11:12]
	v_fma_f64 v[11:12], v[1:2], v[7:8], v[15:16]
	scratch_store_b128 off, v[9:12], off offset:320
.LBB125_107:
	s_or_b32 exec_lo, exec_lo, s2
	s_waitcnt_vscnt null, 0x0
	s_barrier
	buffer_gl0_inv
	scratch_load_b32 v1, off, off offset:1124 ; 4-byte Folded Reload
	s_mov_b32 s2, exec_lo
	s_waitcnt vmcnt(0)
	scratch_load_b128 v[1:4], v1, off
	s_waitcnt vmcnt(0)
	ds_store_b128 v5, v[1:4]
	s_waitcnt lgkmcnt(0)
	s_barrier
	buffer_gl0_inv
	v_cmpx_gt_u32_e32 21, v174
	s_cbranch_execz .LBB125_111
; %bb.108:
	v_dual_mov_b32 v1, 0 :: v_dual_add_nc_u32 v8, 0x3e0, v13
	v_dual_mov_b32 v2, 0 :: v_dual_add_nc_u32 v7, -1, v174
	v_or_b32_e32 v9, 8, v14
	s_mov_b32 s3, 0
	s_delay_alu instid0(VALU_DEP_2)
	v_dual_mov_b32 v4, v2 :: v_dual_mov_b32 v3, v1
	.p2align	6
.LBB125_109:                            ; =>This Inner Loop Header: Depth=1
	scratch_load_b128 v[15:18], v9, off offset:-8
	ds_load_b128 v[19:22], v8
	v_add_nc_u32_e32 v7, 1, v7
	v_add_nc_u32_e32 v8, 16, v8
	;; [unrolled: 1-line block ×3, first 2 shown]
	s_delay_alu instid0(VALU_DEP_3) | instskip(SKIP_4) | instid1(VALU_DEP_2)
	v_cmp_lt_u32_e32 vcc_lo, 19, v7
	s_or_b32 s3, vcc_lo, s3
	s_waitcnt vmcnt(0) lgkmcnt(0)
	v_mul_f64 v[10:11], v[21:22], v[17:18]
	v_mul_f64 v[17:18], v[19:20], v[17:18]
	v_fma_f64 v[10:11], v[19:20], v[15:16], -v[10:11]
	s_delay_alu instid0(VALU_DEP_2) | instskip(NEXT) | instid1(VALU_DEP_2)
	v_fma_f64 v[15:16], v[21:22], v[15:16], v[17:18]
	v_add_f64 v[3:4], v[3:4], v[10:11]
	s_delay_alu instid0(VALU_DEP_2)
	v_add_f64 v[1:2], v[1:2], v[15:16]
	s_and_not1_b32 exec_lo, exec_lo, s3
	s_cbranch_execnz .LBB125_109
; %bb.110:
	s_or_b32 exec_lo, exec_lo, s3
	v_mov_b32_e32 v7, 0
	ds_load_b128 v[7:10], v7 offset:336
	s_waitcnt lgkmcnt(0)
	v_mul_f64 v[11:12], v[1:2], v[9:10]
	v_mul_f64 v[15:16], v[3:4], v[9:10]
	s_delay_alu instid0(VALU_DEP_2) | instskip(NEXT) | instid1(VALU_DEP_2)
	v_fma_f64 v[9:10], v[3:4], v[7:8], -v[11:12]
	v_fma_f64 v[11:12], v[1:2], v[7:8], v[15:16]
	scratch_store_b128 off, v[9:12], off offset:336
.LBB125_111:
	s_or_b32 exec_lo, exec_lo, s2
	s_waitcnt_vscnt null, 0x0
	s_barrier
	buffer_gl0_inv
	scratch_load_b32 v1, off, off offset:1116 ; 4-byte Folded Reload
	s_mov_b32 s2, exec_lo
	s_waitcnt vmcnt(0)
	scratch_load_b128 v[1:4], v1, off
	s_waitcnt vmcnt(0)
	ds_store_b128 v5, v[1:4]
	s_waitcnt lgkmcnt(0)
	s_barrier
	buffer_gl0_inv
	v_cmpx_gt_u32_e32 22, v174
	s_cbranch_execz .LBB125_115
; %bb.112:
	v_dual_mov_b32 v1, 0 :: v_dual_add_nc_u32 v8, 0x3e0, v13
	v_dual_mov_b32 v2, 0 :: v_dual_add_nc_u32 v7, -1, v174
	v_or_b32_e32 v9, 8, v14
	s_mov_b32 s3, 0
	s_delay_alu instid0(VALU_DEP_2)
	v_dual_mov_b32 v4, v2 :: v_dual_mov_b32 v3, v1
	.p2align	6
.LBB125_113:                            ; =>This Inner Loop Header: Depth=1
	scratch_load_b128 v[15:18], v9, off offset:-8
	ds_load_b128 v[19:22], v8
	v_add_nc_u32_e32 v7, 1, v7
	v_add_nc_u32_e32 v8, 16, v8
	;; [unrolled: 1-line block ×3, first 2 shown]
	s_delay_alu instid0(VALU_DEP_3) | instskip(SKIP_4) | instid1(VALU_DEP_2)
	v_cmp_lt_u32_e32 vcc_lo, 20, v7
	s_or_b32 s3, vcc_lo, s3
	s_waitcnt vmcnt(0) lgkmcnt(0)
	v_mul_f64 v[10:11], v[21:22], v[17:18]
	v_mul_f64 v[17:18], v[19:20], v[17:18]
	v_fma_f64 v[10:11], v[19:20], v[15:16], -v[10:11]
	s_delay_alu instid0(VALU_DEP_2) | instskip(NEXT) | instid1(VALU_DEP_2)
	v_fma_f64 v[15:16], v[21:22], v[15:16], v[17:18]
	v_add_f64 v[3:4], v[3:4], v[10:11]
	s_delay_alu instid0(VALU_DEP_2)
	v_add_f64 v[1:2], v[1:2], v[15:16]
	s_and_not1_b32 exec_lo, exec_lo, s3
	s_cbranch_execnz .LBB125_113
; %bb.114:
	s_or_b32 exec_lo, exec_lo, s3
	v_mov_b32_e32 v7, 0
	ds_load_b128 v[7:10], v7 offset:352
	s_waitcnt lgkmcnt(0)
	v_mul_f64 v[11:12], v[1:2], v[9:10]
	v_mul_f64 v[15:16], v[3:4], v[9:10]
	s_delay_alu instid0(VALU_DEP_2) | instskip(NEXT) | instid1(VALU_DEP_2)
	v_fma_f64 v[9:10], v[3:4], v[7:8], -v[11:12]
	v_fma_f64 v[11:12], v[1:2], v[7:8], v[15:16]
	scratch_store_b128 off, v[9:12], off offset:352
.LBB125_115:
	s_or_b32 exec_lo, exec_lo, s2
	s_waitcnt_vscnt null, 0x0
	s_barrier
	buffer_gl0_inv
	scratch_load_b32 v1, off, off offset:1112 ; 4-byte Folded Reload
	s_mov_b32 s2, exec_lo
	s_waitcnt vmcnt(0)
	scratch_load_b128 v[1:4], v1, off
	s_waitcnt vmcnt(0)
	ds_store_b128 v5, v[1:4]
	s_waitcnt lgkmcnt(0)
	s_barrier
	buffer_gl0_inv
	v_cmpx_gt_u32_e32 23, v174
	s_cbranch_execz .LBB125_119
; %bb.116:
	v_dual_mov_b32 v1, 0 :: v_dual_add_nc_u32 v8, 0x3e0, v13
	v_dual_mov_b32 v2, 0 :: v_dual_add_nc_u32 v7, -1, v174
	v_or_b32_e32 v9, 8, v14
	s_mov_b32 s3, 0
	s_delay_alu instid0(VALU_DEP_2)
	v_dual_mov_b32 v4, v2 :: v_dual_mov_b32 v3, v1
	.p2align	6
.LBB125_117:                            ; =>This Inner Loop Header: Depth=1
	scratch_load_b128 v[15:18], v9, off offset:-8
	ds_load_b128 v[19:22], v8
	v_add_nc_u32_e32 v7, 1, v7
	v_add_nc_u32_e32 v8, 16, v8
	;; [unrolled: 1-line block ×3, first 2 shown]
	s_delay_alu instid0(VALU_DEP_3) | instskip(SKIP_4) | instid1(VALU_DEP_2)
	v_cmp_lt_u32_e32 vcc_lo, 21, v7
	s_or_b32 s3, vcc_lo, s3
	s_waitcnt vmcnt(0) lgkmcnt(0)
	v_mul_f64 v[10:11], v[21:22], v[17:18]
	v_mul_f64 v[17:18], v[19:20], v[17:18]
	v_fma_f64 v[10:11], v[19:20], v[15:16], -v[10:11]
	s_delay_alu instid0(VALU_DEP_2) | instskip(NEXT) | instid1(VALU_DEP_2)
	v_fma_f64 v[15:16], v[21:22], v[15:16], v[17:18]
	v_add_f64 v[3:4], v[3:4], v[10:11]
	s_delay_alu instid0(VALU_DEP_2)
	v_add_f64 v[1:2], v[1:2], v[15:16]
	s_and_not1_b32 exec_lo, exec_lo, s3
	s_cbranch_execnz .LBB125_117
; %bb.118:
	s_or_b32 exec_lo, exec_lo, s3
	v_mov_b32_e32 v7, 0
	ds_load_b128 v[7:10], v7 offset:368
	s_waitcnt lgkmcnt(0)
	v_mul_f64 v[11:12], v[1:2], v[9:10]
	v_mul_f64 v[15:16], v[3:4], v[9:10]
	s_delay_alu instid0(VALU_DEP_2) | instskip(NEXT) | instid1(VALU_DEP_2)
	v_fma_f64 v[9:10], v[3:4], v[7:8], -v[11:12]
	v_fma_f64 v[11:12], v[1:2], v[7:8], v[15:16]
	scratch_store_b128 off, v[9:12], off offset:368
.LBB125_119:
	s_or_b32 exec_lo, exec_lo, s2
	s_waitcnt_vscnt null, 0x0
	s_barrier
	buffer_gl0_inv
	scratch_load_b32 v1, off, off offset:1100 ; 4-byte Folded Reload
	s_mov_b32 s2, exec_lo
	s_waitcnt vmcnt(0)
	scratch_load_b128 v[1:4], v1, off
	s_waitcnt vmcnt(0)
	ds_store_b128 v5, v[1:4]
	s_waitcnt lgkmcnt(0)
	s_barrier
	buffer_gl0_inv
	v_cmpx_gt_u32_e32 24, v174
	s_cbranch_execz .LBB125_123
; %bb.120:
	v_dual_mov_b32 v1, 0 :: v_dual_add_nc_u32 v8, 0x3e0, v13
	v_dual_mov_b32 v2, 0 :: v_dual_add_nc_u32 v7, -1, v174
	v_or_b32_e32 v9, 8, v14
	s_mov_b32 s3, 0
	s_delay_alu instid0(VALU_DEP_2)
	v_dual_mov_b32 v4, v2 :: v_dual_mov_b32 v3, v1
	.p2align	6
.LBB125_121:                            ; =>This Inner Loop Header: Depth=1
	scratch_load_b128 v[15:18], v9, off offset:-8
	ds_load_b128 v[19:22], v8
	v_add_nc_u32_e32 v7, 1, v7
	v_add_nc_u32_e32 v8, 16, v8
	;; [unrolled: 1-line block ×3, first 2 shown]
	s_delay_alu instid0(VALU_DEP_3) | instskip(SKIP_4) | instid1(VALU_DEP_2)
	v_cmp_lt_u32_e32 vcc_lo, 22, v7
	s_or_b32 s3, vcc_lo, s3
	s_waitcnt vmcnt(0) lgkmcnt(0)
	v_mul_f64 v[10:11], v[21:22], v[17:18]
	v_mul_f64 v[17:18], v[19:20], v[17:18]
	v_fma_f64 v[10:11], v[19:20], v[15:16], -v[10:11]
	s_delay_alu instid0(VALU_DEP_2) | instskip(NEXT) | instid1(VALU_DEP_2)
	v_fma_f64 v[15:16], v[21:22], v[15:16], v[17:18]
	v_add_f64 v[3:4], v[3:4], v[10:11]
	s_delay_alu instid0(VALU_DEP_2)
	v_add_f64 v[1:2], v[1:2], v[15:16]
	s_and_not1_b32 exec_lo, exec_lo, s3
	s_cbranch_execnz .LBB125_121
; %bb.122:
	s_or_b32 exec_lo, exec_lo, s3
	v_mov_b32_e32 v7, 0
	ds_load_b128 v[7:10], v7 offset:384
	s_waitcnt lgkmcnt(0)
	v_mul_f64 v[11:12], v[1:2], v[9:10]
	v_mul_f64 v[15:16], v[3:4], v[9:10]
	s_delay_alu instid0(VALU_DEP_2) | instskip(NEXT) | instid1(VALU_DEP_2)
	v_fma_f64 v[9:10], v[3:4], v[7:8], -v[11:12]
	v_fma_f64 v[11:12], v[1:2], v[7:8], v[15:16]
	scratch_store_b128 off, v[9:12], off offset:384
.LBB125_123:
	s_or_b32 exec_lo, exec_lo, s2
	s_waitcnt_vscnt null, 0x0
	s_barrier
	buffer_gl0_inv
	scratch_load_b32 v1, off, off offset:1096 ; 4-byte Folded Reload
	s_mov_b32 s2, exec_lo
	s_waitcnt vmcnt(0)
	scratch_load_b128 v[1:4], v1, off
	s_waitcnt vmcnt(0)
	ds_store_b128 v5, v[1:4]
	s_waitcnt lgkmcnt(0)
	s_barrier
	buffer_gl0_inv
	v_cmpx_gt_u32_e32 25, v174
	s_cbranch_execz .LBB125_127
; %bb.124:
	v_dual_mov_b32 v1, 0 :: v_dual_add_nc_u32 v8, 0x3e0, v13
	v_dual_mov_b32 v2, 0 :: v_dual_add_nc_u32 v7, -1, v174
	v_or_b32_e32 v9, 8, v14
	s_mov_b32 s3, 0
	s_delay_alu instid0(VALU_DEP_2)
	v_dual_mov_b32 v4, v2 :: v_dual_mov_b32 v3, v1
	.p2align	6
.LBB125_125:                            ; =>This Inner Loop Header: Depth=1
	scratch_load_b128 v[15:18], v9, off offset:-8
	ds_load_b128 v[19:22], v8
	v_add_nc_u32_e32 v7, 1, v7
	v_add_nc_u32_e32 v8, 16, v8
	;; [unrolled: 1-line block ×3, first 2 shown]
	s_delay_alu instid0(VALU_DEP_3) | instskip(SKIP_4) | instid1(VALU_DEP_2)
	v_cmp_lt_u32_e32 vcc_lo, 23, v7
	s_or_b32 s3, vcc_lo, s3
	s_waitcnt vmcnt(0) lgkmcnt(0)
	v_mul_f64 v[10:11], v[21:22], v[17:18]
	v_mul_f64 v[17:18], v[19:20], v[17:18]
	v_fma_f64 v[10:11], v[19:20], v[15:16], -v[10:11]
	s_delay_alu instid0(VALU_DEP_2) | instskip(NEXT) | instid1(VALU_DEP_2)
	v_fma_f64 v[15:16], v[21:22], v[15:16], v[17:18]
	v_add_f64 v[3:4], v[3:4], v[10:11]
	s_delay_alu instid0(VALU_DEP_2)
	v_add_f64 v[1:2], v[1:2], v[15:16]
	s_and_not1_b32 exec_lo, exec_lo, s3
	s_cbranch_execnz .LBB125_125
; %bb.126:
	s_or_b32 exec_lo, exec_lo, s3
	v_mov_b32_e32 v7, 0
	ds_load_b128 v[7:10], v7 offset:400
	s_waitcnt lgkmcnt(0)
	v_mul_f64 v[11:12], v[1:2], v[9:10]
	v_mul_f64 v[15:16], v[3:4], v[9:10]
	s_delay_alu instid0(VALU_DEP_2) | instskip(NEXT) | instid1(VALU_DEP_2)
	v_fma_f64 v[9:10], v[3:4], v[7:8], -v[11:12]
	v_fma_f64 v[11:12], v[1:2], v[7:8], v[15:16]
	scratch_store_b128 off, v[9:12], off offset:400
.LBB125_127:
	s_or_b32 exec_lo, exec_lo, s2
	s_waitcnt_vscnt null, 0x0
	s_barrier
	buffer_gl0_inv
	scratch_load_b32 v1, off, off offset:1084 ; 4-byte Folded Reload
	s_mov_b32 s2, exec_lo
	s_waitcnt vmcnt(0)
	scratch_load_b128 v[1:4], v1, off
	s_waitcnt vmcnt(0)
	ds_store_b128 v5, v[1:4]
	s_waitcnt lgkmcnt(0)
	s_barrier
	buffer_gl0_inv
	v_cmpx_gt_u32_e32 26, v174
	s_cbranch_execz .LBB125_131
; %bb.128:
	v_dual_mov_b32 v1, 0 :: v_dual_add_nc_u32 v8, 0x3e0, v13
	v_dual_mov_b32 v2, 0 :: v_dual_add_nc_u32 v7, -1, v174
	v_or_b32_e32 v9, 8, v14
	s_mov_b32 s3, 0
	s_delay_alu instid0(VALU_DEP_2)
	v_dual_mov_b32 v4, v2 :: v_dual_mov_b32 v3, v1
	.p2align	6
.LBB125_129:                            ; =>This Inner Loop Header: Depth=1
	scratch_load_b128 v[15:18], v9, off offset:-8
	ds_load_b128 v[19:22], v8
	v_add_nc_u32_e32 v7, 1, v7
	v_add_nc_u32_e32 v8, 16, v8
	;; [unrolled: 1-line block ×3, first 2 shown]
	s_delay_alu instid0(VALU_DEP_3) | instskip(SKIP_4) | instid1(VALU_DEP_2)
	v_cmp_lt_u32_e32 vcc_lo, 24, v7
	s_or_b32 s3, vcc_lo, s3
	s_waitcnt vmcnt(0) lgkmcnt(0)
	v_mul_f64 v[10:11], v[21:22], v[17:18]
	v_mul_f64 v[17:18], v[19:20], v[17:18]
	v_fma_f64 v[10:11], v[19:20], v[15:16], -v[10:11]
	s_delay_alu instid0(VALU_DEP_2) | instskip(NEXT) | instid1(VALU_DEP_2)
	v_fma_f64 v[15:16], v[21:22], v[15:16], v[17:18]
	v_add_f64 v[3:4], v[3:4], v[10:11]
	s_delay_alu instid0(VALU_DEP_2)
	v_add_f64 v[1:2], v[1:2], v[15:16]
	s_and_not1_b32 exec_lo, exec_lo, s3
	s_cbranch_execnz .LBB125_129
; %bb.130:
	s_or_b32 exec_lo, exec_lo, s3
	v_mov_b32_e32 v7, 0
	ds_load_b128 v[7:10], v7 offset:416
	s_waitcnt lgkmcnt(0)
	v_mul_f64 v[11:12], v[1:2], v[9:10]
	v_mul_f64 v[15:16], v[3:4], v[9:10]
	s_delay_alu instid0(VALU_DEP_2) | instskip(NEXT) | instid1(VALU_DEP_2)
	v_fma_f64 v[9:10], v[3:4], v[7:8], -v[11:12]
	v_fma_f64 v[11:12], v[1:2], v[7:8], v[15:16]
	scratch_store_b128 off, v[9:12], off offset:416
.LBB125_131:
	s_or_b32 exec_lo, exec_lo, s2
	s_waitcnt_vscnt null, 0x0
	s_barrier
	buffer_gl0_inv
	scratch_load_b32 v1, off, off offset:1080 ; 4-byte Folded Reload
	s_mov_b32 s2, exec_lo
	s_waitcnt vmcnt(0)
	scratch_load_b128 v[1:4], v1, off
	s_waitcnt vmcnt(0)
	ds_store_b128 v5, v[1:4]
	s_waitcnt lgkmcnt(0)
	s_barrier
	buffer_gl0_inv
	v_cmpx_gt_u32_e32 27, v174
	s_cbranch_execz .LBB125_135
; %bb.132:
	v_dual_mov_b32 v1, 0 :: v_dual_add_nc_u32 v8, 0x3e0, v13
	v_dual_mov_b32 v2, 0 :: v_dual_add_nc_u32 v7, -1, v174
	v_or_b32_e32 v9, 8, v14
	s_mov_b32 s3, 0
	s_delay_alu instid0(VALU_DEP_2)
	v_dual_mov_b32 v4, v2 :: v_dual_mov_b32 v3, v1
	.p2align	6
.LBB125_133:                            ; =>This Inner Loop Header: Depth=1
	scratch_load_b128 v[15:18], v9, off offset:-8
	ds_load_b128 v[19:22], v8
	v_add_nc_u32_e32 v7, 1, v7
	v_add_nc_u32_e32 v8, 16, v8
	;; [unrolled: 1-line block ×3, first 2 shown]
	s_delay_alu instid0(VALU_DEP_3) | instskip(SKIP_4) | instid1(VALU_DEP_2)
	v_cmp_lt_u32_e32 vcc_lo, 25, v7
	s_or_b32 s3, vcc_lo, s3
	s_waitcnt vmcnt(0) lgkmcnt(0)
	v_mul_f64 v[10:11], v[21:22], v[17:18]
	v_mul_f64 v[17:18], v[19:20], v[17:18]
	v_fma_f64 v[10:11], v[19:20], v[15:16], -v[10:11]
	s_delay_alu instid0(VALU_DEP_2) | instskip(NEXT) | instid1(VALU_DEP_2)
	v_fma_f64 v[15:16], v[21:22], v[15:16], v[17:18]
	v_add_f64 v[3:4], v[3:4], v[10:11]
	s_delay_alu instid0(VALU_DEP_2)
	v_add_f64 v[1:2], v[1:2], v[15:16]
	s_and_not1_b32 exec_lo, exec_lo, s3
	s_cbranch_execnz .LBB125_133
; %bb.134:
	s_or_b32 exec_lo, exec_lo, s3
	v_mov_b32_e32 v7, 0
	ds_load_b128 v[7:10], v7 offset:432
	s_waitcnt lgkmcnt(0)
	v_mul_f64 v[11:12], v[1:2], v[9:10]
	v_mul_f64 v[15:16], v[3:4], v[9:10]
	s_delay_alu instid0(VALU_DEP_2) | instskip(NEXT) | instid1(VALU_DEP_2)
	v_fma_f64 v[9:10], v[3:4], v[7:8], -v[11:12]
	v_fma_f64 v[11:12], v[1:2], v[7:8], v[15:16]
	scratch_store_b128 off, v[9:12], off offset:432
.LBB125_135:
	s_or_b32 exec_lo, exec_lo, s2
	s_waitcnt_vscnt null, 0x0
	s_barrier
	buffer_gl0_inv
	scratch_load_b32 v1, off, off offset:1072 ; 4-byte Folded Reload
	s_mov_b32 s2, exec_lo
	s_waitcnt vmcnt(0)
	scratch_load_b128 v[1:4], v1, off
	s_waitcnt vmcnt(0)
	ds_store_b128 v5, v[1:4]
	s_waitcnt lgkmcnt(0)
	s_barrier
	buffer_gl0_inv
	v_cmpx_gt_u32_e32 28, v174
	s_cbranch_execz .LBB125_139
; %bb.136:
	v_dual_mov_b32 v1, 0 :: v_dual_add_nc_u32 v8, 0x3e0, v13
	v_dual_mov_b32 v2, 0 :: v_dual_add_nc_u32 v7, -1, v174
	v_or_b32_e32 v9, 8, v14
	s_mov_b32 s3, 0
	s_delay_alu instid0(VALU_DEP_2)
	v_dual_mov_b32 v4, v2 :: v_dual_mov_b32 v3, v1
	.p2align	6
.LBB125_137:                            ; =>This Inner Loop Header: Depth=1
	scratch_load_b128 v[15:18], v9, off offset:-8
	ds_load_b128 v[19:22], v8
	v_add_nc_u32_e32 v7, 1, v7
	v_add_nc_u32_e32 v8, 16, v8
	;; [unrolled: 1-line block ×3, first 2 shown]
	s_delay_alu instid0(VALU_DEP_3) | instskip(SKIP_4) | instid1(VALU_DEP_2)
	v_cmp_lt_u32_e32 vcc_lo, 26, v7
	s_or_b32 s3, vcc_lo, s3
	s_waitcnt vmcnt(0) lgkmcnt(0)
	v_mul_f64 v[10:11], v[21:22], v[17:18]
	v_mul_f64 v[17:18], v[19:20], v[17:18]
	v_fma_f64 v[10:11], v[19:20], v[15:16], -v[10:11]
	s_delay_alu instid0(VALU_DEP_2) | instskip(NEXT) | instid1(VALU_DEP_2)
	v_fma_f64 v[15:16], v[21:22], v[15:16], v[17:18]
	v_add_f64 v[3:4], v[3:4], v[10:11]
	s_delay_alu instid0(VALU_DEP_2)
	v_add_f64 v[1:2], v[1:2], v[15:16]
	s_and_not1_b32 exec_lo, exec_lo, s3
	s_cbranch_execnz .LBB125_137
; %bb.138:
	s_or_b32 exec_lo, exec_lo, s3
	v_mov_b32_e32 v7, 0
	ds_load_b128 v[7:10], v7 offset:448
	s_waitcnt lgkmcnt(0)
	v_mul_f64 v[11:12], v[1:2], v[9:10]
	v_mul_f64 v[15:16], v[3:4], v[9:10]
	s_delay_alu instid0(VALU_DEP_2) | instskip(NEXT) | instid1(VALU_DEP_2)
	v_fma_f64 v[9:10], v[3:4], v[7:8], -v[11:12]
	v_fma_f64 v[11:12], v[1:2], v[7:8], v[15:16]
	scratch_store_b128 off, v[9:12], off offset:448
.LBB125_139:
	s_or_b32 exec_lo, exec_lo, s2
	s_waitcnt_vscnt null, 0x0
	s_barrier
	buffer_gl0_inv
	scratch_load_b32 v1, off, off offset:1064 ; 4-byte Folded Reload
	s_mov_b32 s2, exec_lo
	s_waitcnt vmcnt(0)
	scratch_load_b128 v[1:4], v1, off
	s_waitcnt vmcnt(0)
	ds_store_b128 v5, v[1:4]
	s_waitcnt lgkmcnt(0)
	s_barrier
	buffer_gl0_inv
	v_cmpx_gt_u32_e32 29, v174
	s_cbranch_execz .LBB125_143
; %bb.140:
	v_dual_mov_b32 v1, 0 :: v_dual_add_nc_u32 v8, 0x3e0, v13
	v_dual_mov_b32 v2, 0 :: v_dual_add_nc_u32 v7, -1, v174
	v_or_b32_e32 v9, 8, v14
	s_mov_b32 s3, 0
	s_delay_alu instid0(VALU_DEP_2)
	v_dual_mov_b32 v4, v2 :: v_dual_mov_b32 v3, v1
	.p2align	6
.LBB125_141:                            ; =>This Inner Loop Header: Depth=1
	scratch_load_b128 v[15:18], v9, off offset:-8
	ds_load_b128 v[19:22], v8
	v_add_nc_u32_e32 v7, 1, v7
	v_add_nc_u32_e32 v8, 16, v8
	;; [unrolled: 1-line block ×3, first 2 shown]
	s_delay_alu instid0(VALU_DEP_3) | instskip(SKIP_4) | instid1(VALU_DEP_2)
	v_cmp_lt_u32_e32 vcc_lo, 27, v7
	s_or_b32 s3, vcc_lo, s3
	s_waitcnt vmcnt(0) lgkmcnt(0)
	v_mul_f64 v[10:11], v[21:22], v[17:18]
	v_mul_f64 v[17:18], v[19:20], v[17:18]
	v_fma_f64 v[10:11], v[19:20], v[15:16], -v[10:11]
	s_delay_alu instid0(VALU_DEP_2) | instskip(NEXT) | instid1(VALU_DEP_2)
	v_fma_f64 v[15:16], v[21:22], v[15:16], v[17:18]
	v_add_f64 v[3:4], v[3:4], v[10:11]
	s_delay_alu instid0(VALU_DEP_2)
	v_add_f64 v[1:2], v[1:2], v[15:16]
	s_and_not1_b32 exec_lo, exec_lo, s3
	s_cbranch_execnz .LBB125_141
; %bb.142:
	s_or_b32 exec_lo, exec_lo, s3
	v_mov_b32_e32 v7, 0
	ds_load_b128 v[7:10], v7 offset:464
	s_waitcnt lgkmcnt(0)
	v_mul_f64 v[11:12], v[1:2], v[9:10]
	v_mul_f64 v[15:16], v[3:4], v[9:10]
	s_delay_alu instid0(VALU_DEP_2) | instskip(NEXT) | instid1(VALU_DEP_2)
	v_fma_f64 v[9:10], v[3:4], v[7:8], -v[11:12]
	v_fma_f64 v[11:12], v[1:2], v[7:8], v[15:16]
	scratch_store_b128 off, v[9:12], off offset:464
.LBB125_143:
	s_or_b32 exec_lo, exec_lo, s2
	s_waitcnt_vscnt null, 0x0
	s_barrier
	buffer_gl0_inv
	scratch_load_b32 v1, off, off offset:1056 ; 4-byte Folded Reload
	s_mov_b32 s2, exec_lo
	s_waitcnt vmcnt(0)
	scratch_load_b128 v[1:4], v1, off
	s_waitcnt vmcnt(0)
	ds_store_b128 v5, v[1:4]
	s_waitcnt lgkmcnt(0)
	s_barrier
	buffer_gl0_inv
	v_cmpx_gt_u32_e32 30, v174
	s_cbranch_execz .LBB125_147
; %bb.144:
	v_dual_mov_b32 v1, 0 :: v_dual_add_nc_u32 v8, 0x3e0, v13
	v_dual_mov_b32 v2, 0 :: v_dual_add_nc_u32 v7, -1, v174
	v_or_b32_e32 v9, 8, v14
	s_mov_b32 s3, 0
	s_delay_alu instid0(VALU_DEP_2)
	v_dual_mov_b32 v4, v2 :: v_dual_mov_b32 v3, v1
	.p2align	6
.LBB125_145:                            ; =>This Inner Loop Header: Depth=1
	scratch_load_b128 v[15:18], v9, off offset:-8
	ds_load_b128 v[19:22], v8
	v_add_nc_u32_e32 v7, 1, v7
	v_add_nc_u32_e32 v8, 16, v8
	;; [unrolled: 1-line block ×3, first 2 shown]
	s_delay_alu instid0(VALU_DEP_3) | instskip(SKIP_4) | instid1(VALU_DEP_2)
	v_cmp_lt_u32_e32 vcc_lo, 28, v7
	s_or_b32 s3, vcc_lo, s3
	s_waitcnt vmcnt(0) lgkmcnt(0)
	v_mul_f64 v[10:11], v[21:22], v[17:18]
	v_mul_f64 v[17:18], v[19:20], v[17:18]
	v_fma_f64 v[10:11], v[19:20], v[15:16], -v[10:11]
	s_delay_alu instid0(VALU_DEP_2) | instskip(NEXT) | instid1(VALU_DEP_2)
	v_fma_f64 v[15:16], v[21:22], v[15:16], v[17:18]
	v_add_f64 v[3:4], v[3:4], v[10:11]
	s_delay_alu instid0(VALU_DEP_2)
	v_add_f64 v[1:2], v[1:2], v[15:16]
	s_and_not1_b32 exec_lo, exec_lo, s3
	s_cbranch_execnz .LBB125_145
; %bb.146:
	s_or_b32 exec_lo, exec_lo, s3
	v_mov_b32_e32 v7, 0
	ds_load_b128 v[7:10], v7 offset:480
	s_waitcnt lgkmcnt(0)
	v_mul_f64 v[11:12], v[1:2], v[9:10]
	v_mul_f64 v[15:16], v[3:4], v[9:10]
	s_delay_alu instid0(VALU_DEP_2) | instskip(NEXT) | instid1(VALU_DEP_2)
	v_fma_f64 v[9:10], v[3:4], v[7:8], -v[11:12]
	v_fma_f64 v[11:12], v[1:2], v[7:8], v[15:16]
	scratch_store_b128 off, v[9:12], off offset:480
.LBB125_147:
	s_or_b32 exec_lo, exec_lo, s2
	s_waitcnt_vscnt null, 0x0
	s_barrier
	buffer_gl0_inv
	scratch_load_b32 v1, off, off offset:1192 ; 4-byte Folded Reload
	s_mov_b32 s2, exec_lo
	s_waitcnt vmcnt(0)
	scratch_load_b128 v[1:4], v1, off
	s_waitcnt vmcnt(0)
	ds_store_b128 v5, v[1:4]
	s_waitcnt lgkmcnt(0)
	s_barrier
	buffer_gl0_inv
	v_cmpx_gt_u32_e32 31, v174
	s_cbranch_execz .LBB125_151
; %bb.148:
	v_dual_mov_b32 v1, 0 :: v_dual_add_nc_u32 v8, 0x3e0, v13
	v_dual_mov_b32 v2, 0 :: v_dual_add_nc_u32 v7, -1, v174
	v_or_b32_e32 v9, 8, v14
	s_mov_b32 s3, 0
	s_delay_alu instid0(VALU_DEP_2)
	v_dual_mov_b32 v4, v2 :: v_dual_mov_b32 v3, v1
	.p2align	6
.LBB125_149:                            ; =>This Inner Loop Header: Depth=1
	scratch_load_b128 v[15:18], v9, off offset:-8
	ds_load_b128 v[19:22], v8
	v_add_nc_u32_e32 v7, 1, v7
	v_add_nc_u32_e32 v8, 16, v8
	;; [unrolled: 1-line block ×3, first 2 shown]
	s_delay_alu instid0(VALU_DEP_3) | instskip(SKIP_4) | instid1(VALU_DEP_2)
	v_cmp_lt_u32_e32 vcc_lo, 29, v7
	s_or_b32 s3, vcc_lo, s3
	s_waitcnt vmcnt(0) lgkmcnt(0)
	v_mul_f64 v[10:11], v[21:22], v[17:18]
	v_mul_f64 v[17:18], v[19:20], v[17:18]
	v_fma_f64 v[10:11], v[19:20], v[15:16], -v[10:11]
	s_delay_alu instid0(VALU_DEP_2) | instskip(NEXT) | instid1(VALU_DEP_2)
	v_fma_f64 v[15:16], v[21:22], v[15:16], v[17:18]
	v_add_f64 v[3:4], v[3:4], v[10:11]
	s_delay_alu instid0(VALU_DEP_2)
	v_add_f64 v[1:2], v[1:2], v[15:16]
	s_and_not1_b32 exec_lo, exec_lo, s3
	s_cbranch_execnz .LBB125_149
; %bb.150:
	s_or_b32 exec_lo, exec_lo, s3
	v_mov_b32_e32 v7, 0
	ds_load_b128 v[7:10], v7 offset:496
	s_waitcnt lgkmcnt(0)
	v_mul_f64 v[11:12], v[1:2], v[9:10]
	v_mul_f64 v[15:16], v[3:4], v[9:10]
	s_delay_alu instid0(VALU_DEP_2) | instskip(NEXT) | instid1(VALU_DEP_2)
	v_fma_f64 v[9:10], v[3:4], v[7:8], -v[11:12]
	v_fma_f64 v[11:12], v[1:2], v[7:8], v[15:16]
	scratch_store_b128 off, v[9:12], off offset:496
.LBB125_151:
	s_or_b32 exec_lo, exec_lo, s2
	s_waitcnt_vscnt null, 0x0
	s_barrier
	buffer_gl0_inv
	scratch_load_b32 v1, off, off offset:1176 ; 4-byte Folded Reload
	s_mov_b32 s2, exec_lo
	s_waitcnt vmcnt(0)
	scratch_load_b128 v[1:4], v1, off
	s_waitcnt vmcnt(0)
	ds_store_b128 v5, v[1:4]
	s_waitcnt lgkmcnt(0)
	s_barrier
	buffer_gl0_inv
	v_cmpx_gt_u32_e32 32, v174
	s_cbranch_execz .LBB125_155
; %bb.152:
	v_dual_mov_b32 v1, 0 :: v_dual_add_nc_u32 v8, 0x3e0, v13
	v_dual_mov_b32 v2, 0 :: v_dual_add_nc_u32 v7, -1, v174
	v_or_b32_e32 v9, 8, v14
	s_mov_b32 s3, 0
	s_delay_alu instid0(VALU_DEP_2)
	v_dual_mov_b32 v4, v2 :: v_dual_mov_b32 v3, v1
	.p2align	6
.LBB125_153:                            ; =>This Inner Loop Header: Depth=1
	scratch_load_b128 v[15:18], v9, off offset:-8
	ds_load_b128 v[19:22], v8
	v_add_nc_u32_e32 v7, 1, v7
	v_add_nc_u32_e32 v8, 16, v8
	;; [unrolled: 1-line block ×3, first 2 shown]
	s_delay_alu instid0(VALU_DEP_3) | instskip(SKIP_4) | instid1(VALU_DEP_2)
	v_cmp_lt_u32_e32 vcc_lo, 30, v7
	s_or_b32 s3, vcc_lo, s3
	s_waitcnt vmcnt(0) lgkmcnt(0)
	v_mul_f64 v[10:11], v[21:22], v[17:18]
	v_mul_f64 v[17:18], v[19:20], v[17:18]
	v_fma_f64 v[10:11], v[19:20], v[15:16], -v[10:11]
	s_delay_alu instid0(VALU_DEP_2) | instskip(NEXT) | instid1(VALU_DEP_2)
	v_fma_f64 v[15:16], v[21:22], v[15:16], v[17:18]
	v_add_f64 v[3:4], v[3:4], v[10:11]
	s_delay_alu instid0(VALU_DEP_2)
	v_add_f64 v[1:2], v[1:2], v[15:16]
	s_and_not1_b32 exec_lo, exec_lo, s3
	s_cbranch_execnz .LBB125_153
; %bb.154:
	s_or_b32 exec_lo, exec_lo, s3
	v_mov_b32_e32 v7, 0
	ds_load_b128 v[7:10], v7 offset:512
	s_waitcnt lgkmcnt(0)
	v_mul_f64 v[11:12], v[1:2], v[9:10]
	v_mul_f64 v[15:16], v[3:4], v[9:10]
	s_delay_alu instid0(VALU_DEP_2) | instskip(NEXT) | instid1(VALU_DEP_2)
	v_fma_f64 v[9:10], v[3:4], v[7:8], -v[11:12]
	v_fma_f64 v[11:12], v[1:2], v[7:8], v[15:16]
	scratch_store_b128 off, v[9:12], off offset:512
.LBB125_155:
	s_or_b32 exec_lo, exec_lo, s2
	s_waitcnt_vscnt null, 0x0
	s_barrier
	buffer_gl0_inv
	scratch_load_b32 v1, off, off offset:1168 ; 4-byte Folded Reload
	s_mov_b32 s2, exec_lo
	s_waitcnt vmcnt(0)
	scratch_load_b128 v[1:4], v1, off
	s_waitcnt vmcnt(0)
	ds_store_b128 v5, v[1:4]
	s_waitcnt lgkmcnt(0)
	s_barrier
	buffer_gl0_inv
	v_cmpx_gt_u32_e32 33, v174
	s_cbranch_execz .LBB125_159
; %bb.156:
	v_dual_mov_b32 v1, 0 :: v_dual_add_nc_u32 v8, 0x3e0, v13
	v_dual_mov_b32 v2, 0 :: v_dual_add_nc_u32 v7, -1, v174
	v_or_b32_e32 v9, 8, v14
	s_mov_b32 s3, 0
	s_delay_alu instid0(VALU_DEP_2)
	v_dual_mov_b32 v4, v2 :: v_dual_mov_b32 v3, v1
	.p2align	6
.LBB125_157:                            ; =>This Inner Loop Header: Depth=1
	scratch_load_b128 v[15:18], v9, off offset:-8
	ds_load_b128 v[19:22], v8
	v_add_nc_u32_e32 v7, 1, v7
	v_add_nc_u32_e32 v8, 16, v8
	;; [unrolled: 1-line block ×3, first 2 shown]
	s_delay_alu instid0(VALU_DEP_3) | instskip(SKIP_4) | instid1(VALU_DEP_2)
	v_cmp_lt_u32_e32 vcc_lo, 31, v7
	s_or_b32 s3, vcc_lo, s3
	s_waitcnt vmcnt(0) lgkmcnt(0)
	v_mul_f64 v[10:11], v[21:22], v[17:18]
	v_mul_f64 v[17:18], v[19:20], v[17:18]
	v_fma_f64 v[10:11], v[19:20], v[15:16], -v[10:11]
	s_delay_alu instid0(VALU_DEP_2) | instskip(NEXT) | instid1(VALU_DEP_2)
	v_fma_f64 v[15:16], v[21:22], v[15:16], v[17:18]
	v_add_f64 v[3:4], v[3:4], v[10:11]
	s_delay_alu instid0(VALU_DEP_2)
	v_add_f64 v[1:2], v[1:2], v[15:16]
	s_and_not1_b32 exec_lo, exec_lo, s3
	s_cbranch_execnz .LBB125_157
; %bb.158:
	s_or_b32 exec_lo, exec_lo, s3
	v_mov_b32_e32 v7, 0
	ds_load_b128 v[7:10], v7 offset:528
	s_waitcnt lgkmcnt(0)
	v_mul_f64 v[11:12], v[1:2], v[9:10]
	v_mul_f64 v[15:16], v[3:4], v[9:10]
	s_delay_alu instid0(VALU_DEP_2) | instskip(NEXT) | instid1(VALU_DEP_2)
	v_fma_f64 v[9:10], v[3:4], v[7:8], -v[11:12]
	v_fma_f64 v[11:12], v[1:2], v[7:8], v[15:16]
	scratch_store_b128 off, v[9:12], off offset:528
.LBB125_159:
	s_or_b32 exec_lo, exec_lo, s2
	s_waitcnt_vscnt null, 0x0
	s_barrier
	buffer_gl0_inv
	scratch_load_b32 v1, off, off offset:1152 ; 4-byte Folded Reload
	s_mov_b32 s2, exec_lo
	s_waitcnt vmcnt(0)
	scratch_load_b128 v[1:4], v1, off
	s_waitcnt vmcnt(0)
	ds_store_b128 v5, v[1:4]
	s_waitcnt lgkmcnt(0)
	s_barrier
	buffer_gl0_inv
	v_cmpx_gt_u32_e32 34, v174
	s_cbranch_execz .LBB125_163
; %bb.160:
	v_dual_mov_b32 v1, 0 :: v_dual_add_nc_u32 v8, 0x3e0, v13
	v_dual_mov_b32 v2, 0 :: v_dual_add_nc_u32 v7, -1, v174
	v_or_b32_e32 v9, 8, v14
	s_mov_b32 s3, 0
	s_delay_alu instid0(VALU_DEP_2)
	v_dual_mov_b32 v4, v2 :: v_dual_mov_b32 v3, v1
	.p2align	6
.LBB125_161:                            ; =>This Inner Loop Header: Depth=1
	scratch_load_b128 v[15:18], v9, off offset:-8
	ds_load_b128 v[19:22], v8
	v_add_nc_u32_e32 v7, 1, v7
	v_add_nc_u32_e32 v8, 16, v8
	;; [unrolled: 1-line block ×3, first 2 shown]
	s_delay_alu instid0(VALU_DEP_3) | instskip(SKIP_4) | instid1(VALU_DEP_2)
	v_cmp_lt_u32_e32 vcc_lo, 32, v7
	s_or_b32 s3, vcc_lo, s3
	s_waitcnt vmcnt(0) lgkmcnt(0)
	v_mul_f64 v[10:11], v[21:22], v[17:18]
	v_mul_f64 v[17:18], v[19:20], v[17:18]
	v_fma_f64 v[10:11], v[19:20], v[15:16], -v[10:11]
	s_delay_alu instid0(VALU_DEP_2) | instskip(NEXT) | instid1(VALU_DEP_2)
	v_fma_f64 v[15:16], v[21:22], v[15:16], v[17:18]
	v_add_f64 v[3:4], v[3:4], v[10:11]
	s_delay_alu instid0(VALU_DEP_2)
	v_add_f64 v[1:2], v[1:2], v[15:16]
	s_and_not1_b32 exec_lo, exec_lo, s3
	s_cbranch_execnz .LBB125_161
; %bb.162:
	s_or_b32 exec_lo, exec_lo, s3
	v_mov_b32_e32 v7, 0
	ds_load_b128 v[7:10], v7 offset:544
	s_waitcnt lgkmcnt(0)
	v_mul_f64 v[11:12], v[1:2], v[9:10]
	v_mul_f64 v[15:16], v[3:4], v[9:10]
	s_delay_alu instid0(VALU_DEP_2) | instskip(NEXT) | instid1(VALU_DEP_2)
	v_fma_f64 v[9:10], v[3:4], v[7:8], -v[11:12]
	v_fma_f64 v[11:12], v[1:2], v[7:8], v[15:16]
	scratch_store_b128 off, v[9:12], off offset:544
.LBB125_163:
	s_or_b32 exec_lo, exec_lo, s2
	s_waitcnt_vscnt null, 0x0
	s_barrier
	buffer_gl0_inv
	scratch_load_b32 v1, off, off offset:1144 ; 4-byte Folded Reload
	s_mov_b32 s2, exec_lo
	s_waitcnt vmcnt(0)
	scratch_load_b128 v[1:4], v1, off
	s_waitcnt vmcnt(0)
	ds_store_b128 v5, v[1:4]
	s_waitcnt lgkmcnt(0)
	s_barrier
	buffer_gl0_inv
	v_cmpx_gt_u32_e32 35, v174
	s_cbranch_execz .LBB125_167
; %bb.164:
	v_dual_mov_b32 v1, 0 :: v_dual_add_nc_u32 v8, 0x3e0, v13
	v_dual_mov_b32 v2, 0 :: v_dual_add_nc_u32 v7, -1, v174
	v_or_b32_e32 v9, 8, v14
	s_mov_b32 s3, 0
	s_delay_alu instid0(VALU_DEP_2)
	v_dual_mov_b32 v4, v2 :: v_dual_mov_b32 v3, v1
	.p2align	6
.LBB125_165:                            ; =>This Inner Loop Header: Depth=1
	scratch_load_b128 v[15:18], v9, off offset:-8
	ds_load_b128 v[19:22], v8
	v_add_nc_u32_e32 v7, 1, v7
	v_add_nc_u32_e32 v8, 16, v8
	;; [unrolled: 1-line block ×3, first 2 shown]
	s_delay_alu instid0(VALU_DEP_3) | instskip(SKIP_4) | instid1(VALU_DEP_2)
	v_cmp_lt_u32_e32 vcc_lo, 33, v7
	s_or_b32 s3, vcc_lo, s3
	s_waitcnt vmcnt(0) lgkmcnt(0)
	v_mul_f64 v[10:11], v[21:22], v[17:18]
	v_mul_f64 v[17:18], v[19:20], v[17:18]
	v_fma_f64 v[10:11], v[19:20], v[15:16], -v[10:11]
	s_delay_alu instid0(VALU_DEP_2) | instskip(NEXT) | instid1(VALU_DEP_2)
	v_fma_f64 v[15:16], v[21:22], v[15:16], v[17:18]
	v_add_f64 v[3:4], v[3:4], v[10:11]
	s_delay_alu instid0(VALU_DEP_2)
	v_add_f64 v[1:2], v[1:2], v[15:16]
	s_and_not1_b32 exec_lo, exec_lo, s3
	s_cbranch_execnz .LBB125_165
; %bb.166:
	s_or_b32 exec_lo, exec_lo, s3
	v_mov_b32_e32 v7, 0
	ds_load_b128 v[7:10], v7 offset:560
	s_waitcnt lgkmcnt(0)
	v_mul_f64 v[11:12], v[1:2], v[9:10]
	v_mul_f64 v[15:16], v[3:4], v[9:10]
	s_delay_alu instid0(VALU_DEP_2) | instskip(NEXT) | instid1(VALU_DEP_2)
	v_fma_f64 v[9:10], v[3:4], v[7:8], -v[11:12]
	v_fma_f64 v[11:12], v[1:2], v[7:8], v[15:16]
	scratch_store_b128 off, v[9:12], off offset:560
.LBB125_167:
	s_or_b32 exec_lo, exec_lo, s2
	s_waitcnt_vscnt null, 0x0
	s_barrier
	buffer_gl0_inv
	scratch_load_b32 v1, off, off offset:1128 ; 4-byte Folded Reload
	s_mov_b32 s2, exec_lo
	s_waitcnt vmcnt(0)
	scratch_load_b128 v[1:4], v1, off
	s_waitcnt vmcnt(0)
	ds_store_b128 v5, v[1:4]
	s_waitcnt lgkmcnt(0)
	s_barrier
	buffer_gl0_inv
	v_cmpx_gt_u32_e32 36, v174
	s_cbranch_execz .LBB125_171
; %bb.168:
	v_dual_mov_b32 v1, 0 :: v_dual_add_nc_u32 v8, 0x3e0, v13
	v_dual_mov_b32 v2, 0 :: v_dual_add_nc_u32 v7, -1, v174
	v_or_b32_e32 v9, 8, v14
	s_mov_b32 s3, 0
	s_delay_alu instid0(VALU_DEP_2)
	v_dual_mov_b32 v4, v2 :: v_dual_mov_b32 v3, v1
	.p2align	6
.LBB125_169:                            ; =>This Inner Loop Header: Depth=1
	scratch_load_b128 v[15:18], v9, off offset:-8
	ds_load_b128 v[19:22], v8
	v_add_nc_u32_e32 v7, 1, v7
	v_add_nc_u32_e32 v8, 16, v8
	;; [unrolled: 1-line block ×3, first 2 shown]
	s_delay_alu instid0(VALU_DEP_3) | instskip(SKIP_4) | instid1(VALU_DEP_2)
	v_cmp_lt_u32_e32 vcc_lo, 34, v7
	s_or_b32 s3, vcc_lo, s3
	s_waitcnt vmcnt(0) lgkmcnt(0)
	v_mul_f64 v[10:11], v[21:22], v[17:18]
	v_mul_f64 v[17:18], v[19:20], v[17:18]
	v_fma_f64 v[10:11], v[19:20], v[15:16], -v[10:11]
	s_delay_alu instid0(VALU_DEP_2) | instskip(NEXT) | instid1(VALU_DEP_2)
	v_fma_f64 v[15:16], v[21:22], v[15:16], v[17:18]
	v_add_f64 v[3:4], v[3:4], v[10:11]
	s_delay_alu instid0(VALU_DEP_2)
	v_add_f64 v[1:2], v[1:2], v[15:16]
	s_and_not1_b32 exec_lo, exec_lo, s3
	s_cbranch_execnz .LBB125_169
; %bb.170:
	s_or_b32 exec_lo, exec_lo, s3
	v_mov_b32_e32 v7, 0
	ds_load_b128 v[7:10], v7 offset:576
	s_waitcnt lgkmcnt(0)
	v_mul_f64 v[11:12], v[1:2], v[9:10]
	v_mul_f64 v[15:16], v[3:4], v[9:10]
	s_delay_alu instid0(VALU_DEP_2) | instskip(NEXT) | instid1(VALU_DEP_2)
	v_fma_f64 v[9:10], v[3:4], v[7:8], -v[11:12]
	v_fma_f64 v[11:12], v[1:2], v[7:8], v[15:16]
	scratch_store_b128 off, v[9:12], off offset:576
.LBB125_171:
	s_or_b32 exec_lo, exec_lo, s2
	s_waitcnt_vscnt null, 0x0
	s_barrier
	buffer_gl0_inv
	scratch_load_b32 v1, off, off offset:1120 ; 4-byte Folded Reload
	s_mov_b32 s2, exec_lo
	s_waitcnt vmcnt(0)
	scratch_load_b128 v[1:4], v1, off
	s_waitcnt vmcnt(0)
	ds_store_b128 v5, v[1:4]
	s_waitcnt lgkmcnt(0)
	s_barrier
	buffer_gl0_inv
	v_cmpx_gt_u32_e32 37, v174
	s_cbranch_execz .LBB125_175
; %bb.172:
	v_dual_mov_b32 v1, 0 :: v_dual_add_nc_u32 v8, 0x3e0, v13
	v_dual_mov_b32 v2, 0 :: v_dual_add_nc_u32 v7, -1, v174
	v_or_b32_e32 v9, 8, v14
	s_mov_b32 s3, 0
	s_delay_alu instid0(VALU_DEP_2)
	v_dual_mov_b32 v4, v2 :: v_dual_mov_b32 v3, v1
	.p2align	6
.LBB125_173:                            ; =>This Inner Loop Header: Depth=1
	scratch_load_b128 v[15:18], v9, off offset:-8
	ds_load_b128 v[19:22], v8
	v_add_nc_u32_e32 v7, 1, v7
	v_add_nc_u32_e32 v8, 16, v8
	;; [unrolled: 1-line block ×3, first 2 shown]
	s_delay_alu instid0(VALU_DEP_3) | instskip(SKIP_4) | instid1(VALU_DEP_2)
	v_cmp_lt_u32_e32 vcc_lo, 35, v7
	s_or_b32 s3, vcc_lo, s3
	s_waitcnt vmcnt(0) lgkmcnt(0)
	v_mul_f64 v[10:11], v[21:22], v[17:18]
	v_mul_f64 v[17:18], v[19:20], v[17:18]
	v_fma_f64 v[10:11], v[19:20], v[15:16], -v[10:11]
	s_delay_alu instid0(VALU_DEP_2) | instskip(NEXT) | instid1(VALU_DEP_2)
	v_fma_f64 v[15:16], v[21:22], v[15:16], v[17:18]
	v_add_f64 v[3:4], v[3:4], v[10:11]
	s_delay_alu instid0(VALU_DEP_2)
	v_add_f64 v[1:2], v[1:2], v[15:16]
	s_and_not1_b32 exec_lo, exec_lo, s3
	s_cbranch_execnz .LBB125_173
; %bb.174:
	s_or_b32 exec_lo, exec_lo, s3
	v_mov_b32_e32 v7, 0
	ds_load_b128 v[7:10], v7 offset:592
	s_waitcnt lgkmcnt(0)
	v_mul_f64 v[11:12], v[1:2], v[9:10]
	v_mul_f64 v[15:16], v[3:4], v[9:10]
	s_delay_alu instid0(VALU_DEP_2) | instskip(NEXT) | instid1(VALU_DEP_2)
	v_fma_f64 v[9:10], v[3:4], v[7:8], -v[11:12]
	v_fma_f64 v[11:12], v[1:2], v[7:8], v[15:16]
	scratch_store_b128 off, v[9:12], off offset:592
.LBB125_175:
	s_or_b32 exec_lo, exec_lo, s2
	s_waitcnt_vscnt null, 0x0
	s_barrier
	buffer_gl0_inv
	scratch_load_b32 v1, off, off offset:1108 ; 4-byte Folded Reload
	s_mov_b32 s2, exec_lo
	s_waitcnt vmcnt(0)
	scratch_load_b128 v[1:4], v1, off
	s_waitcnt vmcnt(0)
	ds_store_b128 v5, v[1:4]
	s_waitcnt lgkmcnt(0)
	s_barrier
	buffer_gl0_inv
	v_cmpx_gt_u32_e32 38, v174
	s_cbranch_execz .LBB125_179
; %bb.176:
	v_dual_mov_b32 v1, 0 :: v_dual_add_nc_u32 v8, 0x3e0, v13
	v_dual_mov_b32 v2, 0 :: v_dual_add_nc_u32 v7, -1, v174
	v_or_b32_e32 v9, 8, v14
	s_mov_b32 s3, 0
	s_delay_alu instid0(VALU_DEP_2)
	v_dual_mov_b32 v4, v2 :: v_dual_mov_b32 v3, v1
	.p2align	6
.LBB125_177:                            ; =>This Inner Loop Header: Depth=1
	scratch_load_b128 v[15:18], v9, off offset:-8
	ds_load_b128 v[19:22], v8
	v_add_nc_u32_e32 v7, 1, v7
	v_add_nc_u32_e32 v8, 16, v8
	;; [unrolled: 1-line block ×3, first 2 shown]
	s_delay_alu instid0(VALU_DEP_3) | instskip(SKIP_4) | instid1(VALU_DEP_2)
	v_cmp_lt_u32_e32 vcc_lo, 36, v7
	s_or_b32 s3, vcc_lo, s3
	s_waitcnt vmcnt(0) lgkmcnt(0)
	v_mul_f64 v[10:11], v[21:22], v[17:18]
	v_mul_f64 v[17:18], v[19:20], v[17:18]
	v_fma_f64 v[10:11], v[19:20], v[15:16], -v[10:11]
	s_delay_alu instid0(VALU_DEP_2) | instskip(NEXT) | instid1(VALU_DEP_2)
	v_fma_f64 v[15:16], v[21:22], v[15:16], v[17:18]
	v_add_f64 v[3:4], v[3:4], v[10:11]
	s_delay_alu instid0(VALU_DEP_2)
	v_add_f64 v[1:2], v[1:2], v[15:16]
	s_and_not1_b32 exec_lo, exec_lo, s3
	s_cbranch_execnz .LBB125_177
; %bb.178:
	s_or_b32 exec_lo, exec_lo, s3
	v_mov_b32_e32 v7, 0
	ds_load_b128 v[7:10], v7 offset:608
	s_waitcnt lgkmcnt(0)
	v_mul_f64 v[11:12], v[1:2], v[9:10]
	v_mul_f64 v[15:16], v[3:4], v[9:10]
	s_delay_alu instid0(VALU_DEP_2) | instskip(NEXT) | instid1(VALU_DEP_2)
	v_fma_f64 v[9:10], v[3:4], v[7:8], -v[11:12]
	v_fma_f64 v[11:12], v[1:2], v[7:8], v[15:16]
	scratch_store_b128 off, v[9:12], off offset:608
.LBB125_179:
	s_or_b32 exec_lo, exec_lo, s2
	s_waitcnt_vscnt null, 0x0
	s_barrier
	buffer_gl0_inv
	scratch_load_b32 v1, off, off offset:1104 ; 4-byte Folded Reload
	s_mov_b32 s2, exec_lo
	s_waitcnt vmcnt(0)
	scratch_load_b128 v[1:4], v1, off
	s_waitcnt vmcnt(0)
	ds_store_b128 v5, v[1:4]
	s_waitcnt lgkmcnt(0)
	s_barrier
	buffer_gl0_inv
	v_cmpx_gt_u32_e32 39, v174
	s_cbranch_execz .LBB125_183
; %bb.180:
	v_dual_mov_b32 v1, 0 :: v_dual_add_nc_u32 v8, 0x3e0, v13
	v_dual_mov_b32 v2, 0 :: v_dual_add_nc_u32 v7, -1, v174
	v_or_b32_e32 v9, 8, v14
	s_mov_b32 s3, 0
	s_delay_alu instid0(VALU_DEP_2)
	v_dual_mov_b32 v4, v2 :: v_dual_mov_b32 v3, v1
	.p2align	6
.LBB125_181:                            ; =>This Inner Loop Header: Depth=1
	scratch_load_b128 v[15:18], v9, off offset:-8
	ds_load_b128 v[19:22], v8
	v_add_nc_u32_e32 v7, 1, v7
	v_add_nc_u32_e32 v8, 16, v8
	;; [unrolled: 1-line block ×3, first 2 shown]
	s_delay_alu instid0(VALU_DEP_3) | instskip(SKIP_4) | instid1(VALU_DEP_2)
	v_cmp_lt_u32_e32 vcc_lo, 37, v7
	s_or_b32 s3, vcc_lo, s3
	s_waitcnt vmcnt(0) lgkmcnt(0)
	v_mul_f64 v[10:11], v[21:22], v[17:18]
	v_mul_f64 v[17:18], v[19:20], v[17:18]
	v_fma_f64 v[10:11], v[19:20], v[15:16], -v[10:11]
	s_delay_alu instid0(VALU_DEP_2) | instskip(NEXT) | instid1(VALU_DEP_2)
	v_fma_f64 v[15:16], v[21:22], v[15:16], v[17:18]
	v_add_f64 v[3:4], v[3:4], v[10:11]
	s_delay_alu instid0(VALU_DEP_2)
	v_add_f64 v[1:2], v[1:2], v[15:16]
	s_and_not1_b32 exec_lo, exec_lo, s3
	s_cbranch_execnz .LBB125_181
; %bb.182:
	s_or_b32 exec_lo, exec_lo, s3
	v_mov_b32_e32 v7, 0
	ds_load_b128 v[7:10], v7 offset:624
	s_waitcnt lgkmcnt(0)
	v_mul_f64 v[11:12], v[1:2], v[9:10]
	v_mul_f64 v[15:16], v[3:4], v[9:10]
	s_delay_alu instid0(VALU_DEP_2) | instskip(NEXT) | instid1(VALU_DEP_2)
	v_fma_f64 v[9:10], v[3:4], v[7:8], -v[11:12]
	v_fma_f64 v[11:12], v[1:2], v[7:8], v[15:16]
	scratch_store_b128 off, v[9:12], off offset:624
.LBB125_183:
	s_or_b32 exec_lo, exec_lo, s2
	s_waitcnt_vscnt null, 0x0
	s_barrier
	buffer_gl0_inv
	scratch_load_b32 v1, off, off offset:1092 ; 4-byte Folded Reload
	s_mov_b32 s2, exec_lo
	s_waitcnt vmcnt(0)
	scratch_load_b128 v[1:4], v1, off
	s_waitcnt vmcnt(0)
	ds_store_b128 v5, v[1:4]
	s_waitcnt lgkmcnt(0)
	s_barrier
	buffer_gl0_inv
	v_cmpx_gt_u32_e32 40, v174
	s_cbranch_execz .LBB125_187
; %bb.184:
	v_dual_mov_b32 v1, 0 :: v_dual_add_nc_u32 v8, 0x3e0, v13
	v_dual_mov_b32 v2, 0 :: v_dual_add_nc_u32 v7, -1, v174
	v_or_b32_e32 v9, 8, v14
	s_mov_b32 s3, 0
	s_delay_alu instid0(VALU_DEP_2)
	v_dual_mov_b32 v4, v2 :: v_dual_mov_b32 v3, v1
	.p2align	6
.LBB125_185:                            ; =>This Inner Loop Header: Depth=1
	scratch_load_b128 v[15:18], v9, off offset:-8
	ds_load_b128 v[19:22], v8
	v_add_nc_u32_e32 v7, 1, v7
	v_add_nc_u32_e32 v8, 16, v8
	;; [unrolled: 1-line block ×3, first 2 shown]
	s_delay_alu instid0(VALU_DEP_3) | instskip(SKIP_4) | instid1(VALU_DEP_2)
	v_cmp_lt_u32_e32 vcc_lo, 38, v7
	s_or_b32 s3, vcc_lo, s3
	s_waitcnt vmcnt(0) lgkmcnt(0)
	v_mul_f64 v[10:11], v[21:22], v[17:18]
	v_mul_f64 v[17:18], v[19:20], v[17:18]
	v_fma_f64 v[10:11], v[19:20], v[15:16], -v[10:11]
	s_delay_alu instid0(VALU_DEP_2) | instskip(NEXT) | instid1(VALU_DEP_2)
	v_fma_f64 v[15:16], v[21:22], v[15:16], v[17:18]
	v_add_f64 v[3:4], v[3:4], v[10:11]
	s_delay_alu instid0(VALU_DEP_2)
	v_add_f64 v[1:2], v[1:2], v[15:16]
	s_and_not1_b32 exec_lo, exec_lo, s3
	s_cbranch_execnz .LBB125_185
; %bb.186:
	s_or_b32 exec_lo, exec_lo, s3
	v_mov_b32_e32 v7, 0
	ds_load_b128 v[7:10], v7 offset:640
	s_waitcnt lgkmcnt(0)
	v_mul_f64 v[11:12], v[1:2], v[9:10]
	v_mul_f64 v[15:16], v[3:4], v[9:10]
	s_delay_alu instid0(VALU_DEP_2) | instskip(NEXT) | instid1(VALU_DEP_2)
	v_fma_f64 v[9:10], v[3:4], v[7:8], -v[11:12]
	v_fma_f64 v[11:12], v[1:2], v[7:8], v[15:16]
	scratch_store_b128 off, v[9:12], off offset:640
.LBB125_187:
	s_or_b32 exec_lo, exec_lo, s2
	s_waitcnt_vscnt null, 0x0
	s_barrier
	buffer_gl0_inv
	scratch_load_b32 v1, off, off offset:1088 ; 4-byte Folded Reload
	s_mov_b32 s2, exec_lo
	s_waitcnt vmcnt(0)
	scratch_load_b128 v[1:4], v1, off
	s_waitcnt vmcnt(0)
	ds_store_b128 v5, v[1:4]
	s_waitcnt lgkmcnt(0)
	s_barrier
	buffer_gl0_inv
	v_cmpx_gt_u32_e32 41, v174
	s_cbranch_execz .LBB125_191
; %bb.188:
	v_dual_mov_b32 v1, 0 :: v_dual_add_nc_u32 v8, 0x3e0, v13
	v_dual_mov_b32 v2, 0 :: v_dual_add_nc_u32 v7, -1, v174
	v_or_b32_e32 v9, 8, v14
	s_mov_b32 s3, 0
	s_delay_alu instid0(VALU_DEP_2)
	v_dual_mov_b32 v4, v2 :: v_dual_mov_b32 v3, v1
	.p2align	6
.LBB125_189:                            ; =>This Inner Loop Header: Depth=1
	scratch_load_b128 v[15:18], v9, off offset:-8
	ds_load_b128 v[19:22], v8
	v_add_nc_u32_e32 v7, 1, v7
	v_add_nc_u32_e32 v8, 16, v8
	v_add_nc_u32_e32 v9, 16, v9
	s_delay_alu instid0(VALU_DEP_3) | instskip(SKIP_4) | instid1(VALU_DEP_2)
	v_cmp_lt_u32_e32 vcc_lo, 39, v7
	s_or_b32 s3, vcc_lo, s3
	s_waitcnt vmcnt(0) lgkmcnt(0)
	v_mul_f64 v[10:11], v[21:22], v[17:18]
	v_mul_f64 v[17:18], v[19:20], v[17:18]
	v_fma_f64 v[10:11], v[19:20], v[15:16], -v[10:11]
	s_delay_alu instid0(VALU_DEP_2) | instskip(NEXT) | instid1(VALU_DEP_2)
	v_fma_f64 v[15:16], v[21:22], v[15:16], v[17:18]
	v_add_f64 v[3:4], v[3:4], v[10:11]
	s_delay_alu instid0(VALU_DEP_2)
	v_add_f64 v[1:2], v[1:2], v[15:16]
	s_and_not1_b32 exec_lo, exec_lo, s3
	s_cbranch_execnz .LBB125_189
; %bb.190:
	s_or_b32 exec_lo, exec_lo, s3
	v_mov_b32_e32 v7, 0
	ds_load_b128 v[7:10], v7 offset:656
	s_waitcnt lgkmcnt(0)
	v_mul_f64 v[11:12], v[1:2], v[9:10]
	v_mul_f64 v[15:16], v[3:4], v[9:10]
	s_delay_alu instid0(VALU_DEP_2) | instskip(NEXT) | instid1(VALU_DEP_2)
	v_fma_f64 v[9:10], v[3:4], v[7:8], -v[11:12]
	v_fma_f64 v[11:12], v[1:2], v[7:8], v[15:16]
	scratch_store_b128 off, v[9:12], off offset:656
.LBB125_191:
	s_or_b32 exec_lo, exec_lo, s2
	s_waitcnt_vscnt null, 0x0
	s_barrier
	buffer_gl0_inv
	scratch_load_b32 v1, off, off offset:1076 ; 4-byte Folded Reload
	s_mov_b32 s2, exec_lo
	s_waitcnt vmcnt(0)
	scratch_load_b128 v[1:4], v1, off
	s_waitcnt vmcnt(0)
	ds_store_b128 v5, v[1:4]
	s_waitcnt lgkmcnt(0)
	s_barrier
	buffer_gl0_inv
	v_cmpx_gt_u32_e32 42, v174
	s_cbranch_execz .LBB125_195
; %bb.192:
	v_dual_mov_b32 v1, 0 :: v_dual_add_nc_u32 v8, 0x3e0, v13
	v_dual_mov_b32 v2, 0 :: v_dual_add_nc_u32 v7, -1, v174
	v_or_b32_e32 v9, 8, v14
	s_mov_b32 s3, 0
	s_delay_alu instid0(VALU_DEP_2)
	v_dual_mov_b32 v4, v2 :: v_dual_mov_b32 v3, v1
	.p2align	6
.LBB125_193:                            ; =>This Inner Loop Header: Depth=1
	scratch_load_b128 v[15:18], v9, off offset:-8
	ds_load_b128 v[19:22], v8
	v_add_nc_u32_e32 v7, 1, v7
	v_add_nc_u32_e32 v8, 16, v8
	;; [unrolled: 1-line block ×3, first 2 shown]
	s_delay_alu instid0(VALU_DEP_3) | instskip(SKIP_4) | instid1(VALU_DEP_2)
	v_cmp_lt_u32_e32 vcc_lo, 40, v7
	s_or_b32 s3, vcc_lo, s3
	s_waitcnt vmcnt(0) lgkmcnt(0)
	v_mul_f64 v[10:11], v[21:22], v[17:18]
	v_mul_f64 v[17:18], v[19:20], v[17:18]
	v_fma_f64 v[10:11], v[19:20], v[15:16], -v[10:11]
	s_delay_alu instid0(VALU_DEP_2) | instskip(NEXT) | instid1(VALU_DEP_2)
	v_fma_f64 v[15:16], v[21:22], v[15:16], v[17:18]
	v_add_f64 v[3:4], v[3:4], v[10:11]
	s_delay_alu instid0(VALU_DEP_2)
	v_add_f64 v[1:2], v[1:2], v[15:16]
	s_and_not1_b32 exec_lo, exec_lo, s3
	s_cbranch_execnz .LBB125_193
; %bb.194:
	s_or_b32 exec_lo, exec_lo, s3
	v_mov_b32_e32 v7, 0
	ds_load_b128 v[7:10], v7 offset:672
	s_waitcnt lgkmcnt(0)
	v_mul_f64 v[11:12], v[1:2], v[9:10]
	v_mul_f64 v[15:16], v[3:4], v[9:10]
	s_delay_alu instid0(VALU_DEP_2) | instskip(NEXT) | instid1(VALU_DEP_2)
	v_fma_f64 v[9:10], v[3:4], v[7:8], -v[11:12]
	v_fma_f64 v[11:12], v[1:2], v[7:8], v[15:16]
	scratch_store_b128 off, v[9:12], off offset:672
.LBB125_195:
	s_or_b32 exec_lo, exec_lo, s2
	s_waitcnt_vscnt null, 0x0
	s_barrier
	buffer_gl0_inv
	scratch_load_b32 v1, off, off offset:1068 ; 4-byte Folded Reload
	s_mov_b32 s2, exec_lo
	s_waitcnt vmcnt(0)
	scratch_load_b128 v[1:4], v1, off
	s_waitcnt vmcnt(0)
	ds_store_b128 v5, v[1:4]
	s_waitcnt lgkmcnt(0)
	s_barrier
	buffer_gl0_inv
	v_cmpx_gt_u32_e32 43, v174
	s_cbranch_execz .LBB125_199
; %bb.196:
	v_dual_mov_b32 v1, 0 :: v_dual_add_nc_u32 v8, 0x3e0, v13
	v_dual_mov_b32 v2, 0 :: v_dual_add_nc_u32 v7, -1, v174
	v_or_b32_e32 v9, 8, v14
	s_mov_b32 s3, 0
	s_delay_alu instid0(VALU_DEP_2)
	v_dual_mov_b32 v4, v2 :: v_dual_mov_b32 v3, v1
	.p2align	6
.LBB125_197:                            ; =>This Inner Loop Header: Depth=1
	scratch_load_b128 v[15:18], v9, off offset:-8
	ds_load_b128 v[19:22], v8
	v_add_nc_u32_e32 v7, 1, v7
	v_add_nc_u32_e32 v8, 16, v8
	;; [unrolled: 1-line block ×3, first 2 shown]
	s_delay_alu instid0(VALU_DEP_3) | instskip(SKIP_4) | instid1(VALU_DEP_2)
	v_cmp_lt_u32_e32 vcc_lo, 41, v7
	s_or_b32 s3, vcc_lo, s3
	s_waitcnt vmcnt(0) lgkmcnt(0)
	v_mul_f64 v[10:11], v[21:22], v[17:18]
	v_mul_f64 v[17:18], v[19:20], v[17:18]
	v_fma_f64 v[10:11], v[19:20], v[15:16], -v[10:11]
	s_delay_alu instid0(VALU_DEP_2) | instskip(NEXT) | instid1(VALU_DEP_2)
	v_fma_f64 v[15:16], v[21:22], v[15:16], v[17:18]
	v_add_f64 v[3:4], v[3:4], v[10:11]
	s_delay_alu instid0(VALU_DEP_2)
	v_add_f64 v[1:2], v[1:2], v[15:16]
	s_and_not1_b32 exec_lo, exec_lo, s3
	s_cbranch_execnz .LBB125_197
; %bb.198:
	s_or_b32 exec_lo, exec_lo, s3
	v_mov_b32_e32 v7, 0
	ds_load_b128 v[7:10], v7 offset:688
	s_waitcnt lgkmcnt(0)
	v_mul_f64 v[11:12], v[1:2], v[9:10]
	v_mul_f64 v[15:16], v[3:4], v[9:10]
	s_delay_alu instid0(VALU_DEP_2) | instskip(NEXT) | instid1(VALU_DEP_2)
	v_fma_f64 v[9:10], v[3:4], v[7:8], -v[11:12]
	v_fma_f64 v[11:12], v[1:2], v[7:8], v[15:16]
	scratch_store_b128 off, v[9:12], off offset:688
.LBB125_199:
	s_or_b32 exec_lo, exec_lo, s2
	s_waitcnt_vscnt null, 0x0
	s_barrier
	buffer_gl0_inv
	scratch_load_b32 v1, off, off offset:1060 ; 4-byte Folded Reload
	s_mov_b32 s2, exec_lo
	s_waitcnt vmcnt(0)
	scratch_load_b128 v[1:4], v1, off
	s_waitcnt vmcnt(0)
	ds_store_b128 v5, v[1:4]
	s_waitcnt lgkmcnt(0)
	s_barrier
	buffer_gl0_inv
	v_cmpx_gt_u32_e32 44, v174
	s_cbranch_execz .LBB125_203
; %bb.200:
	v_dual_mov_b32 v1, 0 :: v_dual_add_nc_u32 v8, 0x3e0, v13
	v_dual_mov_b32 v2, 0 :: v_dual_add_nc_u32 v7, -1, v174
	v_or_b32_e32 v9, 8, v14
	s_mov_b32 s3, 0
	s_delay_alu instid0(VALU_DEP_2)
	v_dual_mov_b32 v4, v2 :: v_dual_mov_b32 v3, v1
	.p2align	6
.LBB125_201:                            ; =>This Inner Loop Header: Depth=1
	scratch_load_b128 v[15:18], v9, off offset:-8
	ds_load_b128 v[19:22], v8
	v_add_nc_u32_e32 v7, 1, v7
	v_add_nc_u32_e32 v8, 16, v8
	;; [unrolled: 1-line block ×3, first 2 shown]
	s_delay_alu instid0(VALU_DEP_3) | instskip(SKIP_4) | instid1(VALU_DEP_2)
	v_cmp_lt_u32_e32 vcc_lo, 42, v7
	s_or_b32 s3, vcc_lo, s3
	s_waitcnt vmcnt(0) lgkmcnt(0)
	v_mul_f64 v[10:11], v[21:22], v[17:18]
	v_mul_f64 v[17:18], v[19:20], v[17:18]
	v_fma_f64 v[10:11], v[19:20], v[15:16], -v[10:11]
	s_delay_alu instid0(VALU_DEP_2) | instskip(NEXT) | instid1(VALU_DEP_2)
	v_fma_f64 v[15:16], v[21:22], v[15:16], v[17:18]
	v_add_f64 v[3:4], v[3:4], v[10:11]
	s_delay_alu instid0(VALU_DEP_2)
	v_add_f64 v[1:2], v[1:2], v[15:16]
	s_and_not1_b32 exec_lo, exec_lo, s3
	s_cbranch_execnz .LBB125_201
; %bb.202:
	s_or_b32 exec_lo, exec_lo, s3
	v_mov_b32_e32 v7, 0
	ds_load_b128 v[7:10], v7 offset:704
	s_waitcnt lgkmcnt(0)
	v_mul_f64 v[11:12], v[1:2], v[9:10]
	v_mul_f64 v[15:16], v[3:4], v[9:10]
	s_delay_alu instid0(VALU_DEP_2) | instskip(NEXT) | instid1(VALU_DEP_2)
	v_fma_f64 v[9:10], v[3:4], v[7:8], -v[11:12]
	v_fma_f64 v[11:12], v[1:2], v[7:8], v[15:16]
	scratch_store_b128 off, v[9:12], off offset:704
.LBB125_203:
	s_or_b32 exec_lo, exec_lo, s2
	s_waitcnt_vscnt null, 0x0
	s_barrier
	buffer_gl0_inv
	scratch_load_b32 v1, off, off offset:1052 ; 4-byte Folded Reload
	s_mov_b32 s2, exec_lo
	s_waitcnt vmcnt(0)
	scratch_load_b128 v[1:4], v1, off
	s_waitcnt vmcnt(0)
	ds_store_b128 v5, v[1:4]
	s_waitcnt lgkmcnt(0)
	s_barrier
	buffer_gl0_inv
	v_cmpx_gt_u32_e32 45, v174
	s_cbranch_execz .LBB125_207
; %bb.204:
	v_dual_mov_b32 v1, 0 :: v_dual_add_nc_u32 v8, 0x3e0, v13
	v_dual_mov_b32 v2, 0 :: v_dual_add_nc_u32 v7, -1, v174
	v_or_b32_e32 v9, 8, v14
	s_mov_b32 s3, 0
	s_delay_alu instid0(VALU_DEP_2)
	v_dual_mov_b32 v4, v2 :: v_dual_mov_b32 v3, v1
	.p2align	6
.LBB125_205:                            ; =>This Inner Loop Header: Depth=1
	scratch_load_b128 v[15:18], v9, off offset:-8
	ds_load_b128 v[19:22], v8
	v_add_nc_u32_e32 v7, 1, v7
	v_add_nc_u32_e32 v8, 16, v8
	;; [unrolled: 1-line block ×3, first 2 shown]
	s_delay_alu instid0(VALU_DEP_3) | instskip(SKIP_4) | instid1(VALU_DEP_2)
	v_cmp_lt_u32_e32 vcc_lo, 43, v7
	s_or_b32 s3, vcc_lo, s3
	s_waitcnt vmcnt(0) lgkmcnt(0)
	v_mul_f64 v[10:11], v[21:22], v[17:18]
	v_mul_f64 v[17:18], v[19:20], v[17:18]
	v_fma_f64 v[10:11], v[19:20], v[15:16], -v[10:11]
	s_delay_alu instid0(VALU_DEP_2) | instskip(NEXT) | instid1(VALU_DEP_2)
	v_fma_f64 v[15:16], v[21:22], v[15:16], v[17:18]
	v_add_f64 v[3:4], v[3:4], v[10:11]
	s_delay_alu instid0(VALU_DEP_2)
	v_add_f64 v[1:2], v[1:2], v[15:16]
	s_and_not1_b32 exec_lo, exec_lo, s3
	s_cbranch_execnz .LBB125_205
; %bb.206:
	s_or_b32 exec_lo, exec_lo, s3
	v_mov_b32_e32 v7, 0
	ds_load_b128 v[7:10], v7 offset:720
	s_waitcnt lgkmcnt(0)
	v_mul_f64 v[11:12], v[1:2], v[9:10]
	v_mul_f64 v[15:16], v[3:4], v[9:10]
	s_delay_alu instid0(VALU_DEP_2) | instskip(NEXT) | instid1(VALU_DEP_2)
	v_fma_f64 v[9:10], v[3:4], v[7:8], -v[11:12]
	v_fma_f64 v[11:12], v[1:2], v[7:8], v[15:16]
	scratch_store_b128 off, v[9:12], off offset:720
.LBB125_207:
	s_or_b32 exec_lo, exec_lo, s2
	s_waitcnt_vscnt null, 0x0
	s_barrier
	buffer_gl0_inv
	scratch_load_b32 v1, off, off offset:1048 ; 4-byte Folded Reload
	s_mov_b32 s2, exec_lo
	s_waitcnt vmcnt(0)
	scratch_load_b128 v[1:4], v1, off
	s_waitcnt vmcnt(0)
	ds_store_b128 v5, v[1:4]
	s_waitcnt lgkmcnt(0)
	s_barrier
	buffer_gl0_inv
	v_cmpx_gt_u32_e32 46, v174
	s_cbranch_execz .LBB125_211
; %bb.208:
	v_dual_mov_b32 v1, 0 :: v_dual_add_nc_u32 v8, 0x3e0, v13
	v_dual_mov_b32 v2, 0 :: v_dual_add_nc_u32 v7, -1, v174
	v_or_b32_e32 v9, 8, v14
	s_mov_b32 s3, 0
	s_delay_alu instid0(VALU_DEP_2)
	v_dual_mov_b32 v4, v2 :: v_dual_mov_b32 v3, v1
	.p2align	6
.LBB125_209:                            ; =>This Inner Loop Header: Depth=1
	scratch_load_b128 v[15:18], v9, off offset:-8
	ds_load_b128 v[19:22], v8
	v_add_nc_u32_e32 v7, 1, v7
	v_add_nc_u32_e32 v8, 16, v8
	;; [unrolled: 1-line block ×3, first 2 shown]
	s_delay_alu instid0(VALU_DEP_3) | instskip(SKIP_4) | instid1(VALU_DEP_2)
	v_cmp_lt_u32_e32 vcc_lo, 44, v7
	s_or_b32 s3, vcc_lo, s3
	s_waitcnt vmcnt(0) lgkmcnt(0)
	v_mul_f64 v[10:11], v[21:22], v[17:18]
	v_mul_f64 v[17:18], v[19:20], v[17:18]
	v_fma_f64 v[10:11], v[19:20], v[15:16], -v[10:11]
	s_delay_alu instid0(VALU_DEP_2) | instskip(NEXT) | instid1(VALU_DEP_2)
	v_fma_f64 v[15:16], v[21:22], v[15:16], v[17:18]
	v_add_f64 v[3:4], v[3:4], v[10:11]
	s_delay_alu instid0(VALU_DEP_2)
	v_add_f64 v[1:2], v[1:2], v[15:16]
	s_and_not1_b32 exec_lo, exec_lo, s3
	s_cbranch_execnz .LBB125_209
; %bb.210:
	s_or_b32 exec_lo, exec_lo, s3
	v_mov_b32_e32 v7, 0
	ds_load_b128 v[7:10], v7 offset:736
	s_waitcnt lgkmcnt(0)
	v_mul_f64 v[11:12], v[1:2], v[9:10]
	v_mul_f64 v[15:16], v[3:4], v[9:10]
	s_delay_alu instid0(VALU_DEP_2) | instskip(NEXT) | instid1(VALU_DEP_2)
	v_fma_f64 v[9:10], v[3:4], v[7:8], -v[11:12]
	v_fma_f64 v[11:12], v[1:2], v[7:8], v[15:16]
	scratch_store_b128 off, v[9:12], off offset:736
.LBB125_211:
	s_or_b32 exec_lo, exec_lo, s2
	s_waitcnt_vscnt null, 0x0
	s_barrier
	buffer_gl0_inv
	scratch_load_b32 v1, off, off offset:1044 ; 4-byte Folded Reload
	s_mov_b32 s2, exec_lo
	s_waitcnt vmcnt(0)
	scratch_load_b128 v[1:4], v1, off
	s_waitcnt vmcnt(0)
	ds_store_b128 v5, v[1:4]
	s_waitcnt lgkmcnt(0)
	s_barrier
	buffer_gl0_inv
	v_cmpx_gt_u32_e32 47, v174
	s_cbranch_execz .LBB125_215
; %bb.212:
	v_dual_mov_b32 v1, 0 :: v_dual_add_nc_u32 v8, 0x3e0, v13
	v_dual_mov_b32 v2, 0 :: v_dual_add_nc_u32 v7, -1, v174
	v_or_b32_e32 v9, 8, v14
	s_mov_b32 s3, 0
	s_delay_alu instid0(VALU_DEP_2)
	v_dual_mov_b32 v4, v2 :: v_dual_mov_b32 v3, v1
	.p2align	6
.LBB125_213:                            ; =>This Inner Loop Header: Depth=1
	scratch_load_b128 v[15:18], v9, off offset:-8
	ds_load_b128 v[19:22], v8
	v_add_nc_u32_e32 v7, 1, v7
	v_add_nc_u32_e32 v8, 16, v8
	;; [unrolled: 1-line block ×3, first 2 shown]
	s_delay_alu instid0(VALU_DEP_3) | instskip(SKIP_4) | instid1(VALU_DEP_2)
	v_cmp_lt_u32_e32 vcc_lo, 45, v7
	s_or_b32 s3, vcc_lo, s3
	s_waitcnt vmcnt(0) lgkmcnt(0)
	v_mul_f64 v[10:11], v[21:22], v[17:18]
	v_mul_f64 v[17:18], v[19:20], v[17:18]
	v_fma_f64 v[10:11], v[19:20], v[15:16], -v[10:11]
	s_delay_alu instid0(VALU_DEP_2) | instskip(NEXT) | instid1(VALU_DEP_2)
	v_fma_f64 v[15:16], v[21:22], v[15:16], v[17:18]
	v_add_f64 v[3:4], v[3:4], v[10:11]
	s_delay_alu instid0(VALU_DEP_2)
	v_add_f64 v[1:2], v[1:2], v[15:16]
	s_and_not1_b32 exec_lo, exec_lo, s3
	s_cbranch_execnz .LBB125_213
; %bb.214:
	s_or_b32 exec_lo, exec_lo, s3
	v_mov_b32_e32 v7, 0
	ds_load_b128 v[7:10], v7 offset:752
	s_waitcnt lgkmcnt(0)
	v_mul_f64 v[11:12], v[1:2], v[9:10]
	v_mul_f64 v[15:16], v[3:4], v[9:10]
	s_delay_alu instid0(VALU_DEP_2) | instskip(NEXT) | instid1(VALU_DEP_2)
	v_fma_f64 v[9:10], v[3:4], v[7:8], -v[11:12]
	v_fma_f64 v[11:12], v[1:2], v[7:8], v[15:16]
	scratch_store_b128 off, v[9:12], off offset:752
.LBB125_215:
	s_or_b32 exec_lo, exec_lo, s2
	s_waitcnt_vscnt null, 0x0
	s_barrier
	buffer_gl0_inv
	scratch_load_b32 v1, off, off offset:1040 ; 4-byte Folded Reload
	s_mov_b32 s2, exec_lo
	s_waitcnt vmcnt(0)
	scratch_load_b128 v[1:4], v1, off
	s_waitcnt vmcnt(0)
	ds_store_b128 v5, v[1:4]
	s_waitcnt lgkmcnt(0)
	s_barrier
	buffer_gl0_inv
	v_cmpx_gt_u32_e32 48, v174
	s_cbranch_execz .LBB125_219
; %bb.216:
	v_dual_mov_b32 v1, 0 :: v_dual_add_nc_u32 v8, 0x3e0, v13
	v_dual_mov_b32 v2, 0 :: v_dual_add_nc_u32 v7, -1, v174
	v_or_b32_e32 v9, 8, v14
	s_mov_b32 s3, 0
	s_delay_alu instid0(VALU_DEP_2)
	v_dual_mov_b32 v4, v2 :: v_dual_mov_b32 v3, v1
	.p2align	6
.LBB125_217:                            ; =>This Inner Loop Header: Depth=1
	scratch_load_b128 v[15:18], v9, off offset:-8
	ds_load_b128 v[19:22], v8
	v_add_nc_u32_e32 v7, 1, v7
	v_add_nc_u32_e32 v8, 16, v8
	v_add_nc_u32_e32 v9, 16, v9
	s_delay_alu instid0(VALU_DEP_3) | instskip(SKIP_4) | instid1(VALU_DEP_2)
	v_cmp_lt_u32_e32 vcc_lo, 46, v7
	s_or_b32 s3, vcc_lo, s3
	s_waitcnt vmcnt(0) lgkmcnt(0)
	v_mul_f64 v[10:11], v[21:22], v[17:18]
	v_mul_f64 v[17:18], v[19:20], v[17:18]
	v_fma_f64 v[10:11], v[19:20], v[15:16], -v[10:11]
	s_delay_alu instid0(VALU_DEP_2) | instskip(NEXT) | instid1(VALU_DEP_2)
	v_fma_f64 v[15:16], v[21:22], v[15:16], v[17:18]
	v_add_f64 v[3:4], v[3:4], v[10:11]
	s_delay_alu instid0(VALU_DEP_2)
	v_add_f64 v[1:2], v[1:2], v[15:16]
	s_and_not1_b32 exec_lo, exec_lo, s3
	s_cbranch_execnz .LBB125_217
; %bb.218:
	s_or_b32 exec_lo, exec_lo, s3
	v_mov_b32_e32 v7, 0
	ds_load_b128 v[7:10], v7 offset:768
	s_waitcnt lgkmcnt(0)
	v_mul_f64 v[11:12], v[1:2], v[9:10]
	v_mul_f64 v[15:16], v[3:4], v[9:10]
	s_delay_alu instid0(VALU_DEP_2) | instskip(NEXT) | instid1(VALU_DEP_2)
	v_fma_f64 v[9:10], v[3:4], v[7:8], -v[11:12]
	v_fma_f64 v[11:12], v[1:2], v[7:8], v[15:16]
	scratch_store_b128 off, v[9:12], off offset:768
.LBB125_219:
	s_or_b32 exec_lo, exec_lo, s2
	s_waitcnt_vscnt null, 0x0
	s_barrier
	buffer_gl0_inv
	scratch_load_b32 v1, off, off offset:1036 ; 4-byte Folded Reload
	s_mov_b32 s2, exec_lo
	s_waitcnt vmcnt(0)
	scratch_load_b128 v[1:4], v1, off
	s_waitcnt vmcnt(0)
	ds_store_b128 v5, v[1:4]
	s_waitcnt lgkmcnt(0)
	s_barrier
	buffer_gl0_inv
	v_cmpx_gt_u32_e32 49, v174
	s_cbranch_execz .LBB125_223
; %bb.220:
	v_dual_mov_b32 v1, 0 :: v_dual_add_nc_u32 v8, 0x3e0, v13
	v_dual_mov_b32 v2, 0 :: v_dual_add_nc_u32 v7, -1, v174
	v_or_b32_e32 v9, 8, v14
	s_mov_b32 s3, 0
	s_delay_alu instid0(VALU_DEP_2)
	v_dual_mov_b32 v4, v2 :: v_dual_mov_b32 v3, v1
	.p2align	6
.LBB125_221:                            ; =>This Inner Loop Header: Depth=1
	scratch_load_b128 v[15:18], v9, off offset:-8
	ds_load_b128 v[19:22], v8
	v_add_nc_u32_e32 v7, 1, v7
	v_add_nc_u32_e32 v8, 16, v8
	;; [unrolled: 1-line block ×3, first 2 shown]
	s_delay_alu instid0(VALU_DEP_3) | instskip(SKIP_4) | instid1(VALU_DEP_2)
	v_cmp_lt_u32_e32 vcc_lo, 47, v7
	s_or_b32 s3, vcc_lo, s3
	s_waitcnt vmcnt(0) lgkmcnt(0)
	v_mul_f64 v[10:11], v[21:22], v[17:18]
	v_mul_f64 v[17:18], v[19:20], v[17:18]
	v_fma_f64 v[10:11], v[19:20], v[15:16], -v[10:11]
	s_delay_alu instid0(VALU_DEP_2) | instskip(NEXT) | instid1(VALU_DEP_2)
	v_fma_f64 v[15:16], v[21:22], v[15:16], v[17:18]
	v_add_f64 v[3:4], v[3:4], v[10:11]
	s_delay_alu instid0(VALU_DEP_2)
	v_add_f64 v[1:2], v[1:2], v[15:16]
	s_and_not1_b32 exec_lo, exec_lo, s3
	s_cbranch_execnz .LBB125_221
; %bb.222:
	s_or_b32 exec_lo, exec_lo, s3
	v_mov_b32_e32 v7, 0
	ds_load_b128 v[7:10], v7 offset:784
	s_waitcnt lgkmcnt(0)
	v_mul_f64 v[11:12], v[1:2], v[9:10]
	v_mul_f64 v[15:16], v[3:4], v[9:10]
	s_delay_alu instid0(VALU_DEP_2) | instskip(NEXT) | instid1(VALU_DEP_2)
	v_fma_f64 v[9:10], v[3:4], v[7:8], -v[11:12]
	v_fma_f64 v[11:12], v[1:2], v[7:8], v[15:16]
	scratch_store_b128 off, v[9:12], off offset:784
.LBB125_223:
	s_or_b32 exec_lo, exec_lo, s2
	s_waitcnt_vscnt null, 0x0
	s_barrier
	buffer_gl0_inv
	scratch_load_b32 v1, off, off offset:1032 ; 4-byte Folded Reload
	s_mov_b32 s2, exec_lo
	s_waitcnt vmcnt(0)
	scratch_load_b128 v[1:4], v1, off
	s_waitcnt vmcnt(0)
	ds_store_b128 v5, v[1:4]
	s_waitcnt lgkmcnt(0)
	s_barrier
	buffer_gl0_inv
	v_cmpx_gt_u32_e32 50, v174
	s_cbranch_execz .LBB125_227
; %bb.224:
	v_dual_mov_b32 v1, 0 :: v_dual_add_nc_u32 v8, 0x3e0, v13
	v_dual_mov_b32 v2, 0 :: v_dual_add_nc_u32 v7, -1, v174
	v_or_b32_e32 v9, 8, v14
	s_mov_b32 s3, 0
	s_delay_alu instid0(VALU_DEP_2)
	v_dual_mov_b32 v4, v2 :: v_dual_mov_b32 v3, v1
	.p2align	6
.LBB125_225:                            ; =>This Inner Loop Header: Depth=1
	scratch_load_b128 v[15:18], v9, off offset:-8
	ds_load_b128 v[19:22], v8
	v_add_nc_u32_e32 v7, 1, v7
	v_add_nc_u32_e32 v8, 16, v8
	;; [unrolled: 1-line block ×3, first 2 shown]
	s_delay_alu instid0(VALU_DEP_3) | instskip(SKIP_4) | instid1(VALU_DEP_2)
	v_cmp_lt_u32_e32 vcc_lo, 48, v7
	s_or_b32 s3, vcc_lo, s3
	s_waitcnt vmcnt(0) lgkmcnt(0)
	v_mul_f64 v[10:11], v[21:22], v[17:18]
	v_mul_f64 v[17:18], v[19:20], v[17:18]
	v_fma_f64 v[10:11], v[19:20], v[15:16], -v[10:11]
	s_delay_alu instid0(VALU_DEP_2) | instskip(NEXT) | instid1(VALU_DEP_2)
	v_fma_f64 v[15:16], v[21:22], v[15:16], v[17:18]
	v_add_f64 v[3:4], v[3:4], v[10:11]
	s_delay_alu instid0(VALU_DEP_2)
	v_add_f64 v[1:2], v[1:2], v[15:16]
	s_and_not1_b32 exec_lo, exec_lo, s3
	s_cbranch_execnz .LBB125_225
; %bb.226:
	s_or_b32 exec_lo, exec_lo, s3
	v_mov_b32_e32 v7, 0
	ds_load_b128 v[7:10], v7 offset:800
	s_waitcnt lgkmcnt(0)
	v_mul_f64 v[11:12], v[1:2], v[9:10]
	v_mul_f64 v[15:16], v[3:4], v[9:10]
	s_delay_alu instid0(VALU_DEP_2) | instskip(NEXT) | instid1(VALU_DEP_2)
	v_fma_f64 v[9:10], v[3:4], v[7:8], -v[11:12]
	v_fma_f64 v[11:12], v[1:2], v[7:8], v[15:16]
	scratch_store_b128 off, v[9:12], off offset:800
.LBB125_227:
	s_or_b32 exec_lo, exec_lo, s2
	s_waitcnt_vscnt null, 0x0
	s_barrier
	buffer_gl0_inv
	scratch_load_b32 v1, off, off offset:1028 ; 4-byte Folded Reload
	s_mov_b32 s2, exec_lo
	s_waitcnt vmcnt(0)
	scratch_load_b128 v[1:4], v1, off
	s_waitcnt vmcnt(0)
	ds_store_b128 v5, v[1:4]
	s_waitcnt lgkmcnt(0)
	s_barrier
	buffer_gl0_inv
	v_cmpx_gt_u32_e32 51, v174
	s_cbranch_execz .LBB125_231
; %bb.228:
	v_dual_mov_b32 v1, 0 :: v_dual_add_nc_u32 v8, 0x3e0, v13
	v_dual_mov_b32 v2, 0 :: v_dual_add_nc_u32 v7, -1, v174
	v_or_b32_e32 v9, 8, v14
	s_mov_b32 s3, 0
	s_delay_alu instid0(VALU_DEP_2)
	v_dual_mov_b32 v4, v2 :: v_dual_mov_b32 v3, v1
	.p2align	6
.LBB125_229:                            ; =>This Inner Loop Header: Depth=1
	scratch_load_b128 v[15:18], v9, off offset:-8
	ds_load_b128 v[19:22], v8
	v_add_nc_u32_e32 v7, 1, v7
	v_add_nc_u32_e32 v8, 16, v8
	;; [unrolled: 1-line block ×3, first 2 shown]
	s_delay_alu instid0(VALU_DEP_3) | instskip(SKIP_4) | instid1(VALU_DEP_2)
	v_cmp_lt_u32_e32 vcc_lo, 49, v7
	s_or_b32 s3, vcc_lo, s3
	s_waitcnt vmcnt(0) lgkmcnt(0)
	v_mul_f64 v[10:11], v[21:22], v[17:18]
	v_mul_f64 v[17:18], v[19:20], v[17:18]
	v_fma_f64 v[10:11], v[19:20], v[15:16], -v[10:11]
	s_delay_alu instid0(VALU_DEP_2) | instskip(NEXT) | instid1(VALU_DEP_2)
	v_fma_f64 v[15:16], v[21:22], v[15:16], v[17:18]
	v_add_f64 v[3:4], v[3:4], v[10:11]
	s_delay_alu instid0(VALU_DEP_2)
	v_add_f64 v[1:2], v[1:2], v[15:16]
	s_and_not1_b32 exec_lo, exec_lo, s3
	s_cbranch_execnz .LBB125_229
; %bb.230:
	s_or_b32 exec_lo, exec_lo, s3
	v_mov_b32_e32 v7, 0
	ds_load_b128 v[7:10], v7 offset:816
	s_waitcnt lgkmcnt(0)
	v_mul_f64 v[11:12], v[1:2], v[9:10]
	v_mul_f64 v[15:16], v[3:4], v[9:10]
	s_delay_alu instid0(VALU_DEP_2) | instskip(NEXT) | instid1(VALU_DEP_2)
	v_fma_f64 v[9:10], v[3:4], v[7:8], -v[11:12]
	v_fma_f64 v[11:12], v[1:2], v[7:8], v[15:16]
	scratch_store_b128 off, v[9:12], off offset:816
.LBB125_231:
	s_or_b32 exec_lo, exec_lo, s2
	s_waitcnt_vscnt null, 0x0
	s_barrier
	buffer_gl0_inv
	scratch_load_b32 v1, off, off offset:1024 ; 4-byte Folded Reload
	s_mov_b32 s2, exec_lo
	s_waitcnt vmcnt(0)
	scratch_load_b128 v[1:4], v1, off
	s_waitcnt vmcnt(0)
	ds_store_b128 v5, v[1:4]
	s_waitcnt lgkmcnt(0)
	s_barrier
	buffer_gl0_inv
	v_cmpx_gt_u32_e32 52, v174
	s_cbranch_execz .LBB125_235
; %bb.232:
	v_dual_mov_b32 v1, 0 :: v_dual_add_nc_u32 v8, 0x3e0, v13
	v_dual_mov_b32 v2, 0 :: v_dual_add_nc_u32 v7, -1, v174
	v_or_b32_e32 v9, 8, v14
	s_mov_b32 s3, 0
	s_delay_alu instid0(VALU_DEP_2)
	v_dual_mov_b32 v4, v2 :: v_dual_mov_b32 v3, v1
	.p2align	6
.LBB125_233:                            ; =>This Inner Loop Header: Depth=1
	scratch_load_b128 v[15:18], v9, off offset:-8
	ds_load_b128 v[19:22], v8
	v_add_nc_u32_e32 v7, 1, v7
	v_add_nc_u32_e32 v8, 16, v8
	;; [unrolled: 1-line block ×3, first 2 shown]
	s_delay_alu instid0(VALU_DEP_3) | instskip(SKIP_4) | instid1(VALU_DEP_2)
	v_cmp_lt_u32_e32 vcc_lo, 50, v7
	s_or_b32 s3, vcc_lo, s3
	s_waitcnt vmcnt(0) lgkmcnt(0)
	v_mul_f64 v[10:11], v[21:22], v[17:18]
	v_mul_f64 v[17:18], v[19:20], v[17:18]
	v_fma_f64 v[10:11], v[19:20], v[15:16], -v[10:11]
	s_delay_alu instid0(VALU_DEP_2) | instskip(NEXT) | instid1(VALU_DEP_2)
	v_fma_f64 v[15:16], v[21:22], v[15:16], v[17:18]
	v_add_f64 v[3:4], v[3:4], v[10:11]
	s_delay_alu instid0(VALU_DEP_2)
	v_add_f64 v[1:2], v[1:2], v[15:16]
	s_and_not1_b32 exec_lo, exec_lo, s3
	s_cbranch_execnz .LBB125_233
; %bb.234:
	s_or_b32 exec_lo, exec_lo, s3
	v_mov_b32_e32 v7, 0
	ds_load_b128 v[7:10], v7 offset:832
	s_waitcnt lgkmcnt(0)
	v_mul_f64 v[11:12], v[1:2], v[9:10]
	v_mul_f64 v[15:16], v[3:4], v[9:10]
	s_delay_alu instid0(VALU_DEP_2) | instskip(NEXT) | instid1(VALU_DEP_2)
	v_fma_f64 v[9:10], v[3:4], v[7:8], -v[11:12]
	v_fma_f64 v[11:12], v[1:2], v[7:8], v[15:16]
	scratch_store_b128 off, v[9:12], off offset:832
.LBB125_235:
	s_or_b32 exec_lo, exec_lo, s2
	s_waitcnt_vscnt null, 0x0
	s_barrier
	buffer_gl0_inv
	scratch_load_b32 v1, off, off offset:1020 ; 4-byte Folded Reload
	s_mov_b32 s2, exec_lo
	s_waitcnt vmcnt(0)
	scratch_load_b128 v[1:4], v1, off
	s_waitcnt vmcnt(0)
	ds_store_b128 v5, v[1:4]
	s_waitcnt lgkmcnt(0)
	s_barrier
	buffer_gl0_inv
	v_cmpx_gt_u32_e32 53, v174
	s_cbranch_execz .LBB125_239
; %bb.236:
	v_dual_mov_b32 v1, 0 :: v_dual_add_nc_u32 v8, 0x3e0, v13
	v_dual_mov_b32 v2, 0 :: v_dual_add_nc_u32 v7, -1, v174
	v_or_b32_e32 v9, 8, v14
	s_mov_b32 s3, 0
	s_delay_alu instid0(VALU_DEP_2)
	v_dual_mov_b32 v4, v2 :: v_dual_mov_b32 v3, v1
	.p2align	6
.LBB125_237:                            ; =>This Inner Loop Header: Depth=1
	scratch_load_b128 v[15:18], v9, off offset:-8
	ds_load_b128 v[19:22], v8
	v_add_nc_u32_e32 v7, 1, v7
	v_add_nc_u32_e32 v8, 16, v8
	;; [unrolled: 1-line block ×3, first 2 shown]
	s_delay_alu instid0(VALU_DEP_3) | instskip(SKIP_4) | instid1(VALU_DEP_2)
	v_cmp_lt_u32_e32 vcc_lo, 51, v7
	s_or_b32 s3, vcc_lo, s3
	s_waitcnt vmcnt(0) lgkmcnt(0)
	v_mul_f64 v[10:11], v[21:22], v[17:18]
	v_mul_f64 v[17:18], v[19:20], v[17:18]
	v_fma_f64 v[10:11], v[19:20], v[15:16], -v[10:11]
	s_delay_alu instid0(VALU_DEP_2) | instskip(NEXT) | instid1(VALU_DEP_2)
	v_fma_f64 v[15:16], v[21:22], v[15:16], v[17:18]
	v_add_f64 v[3:4], v[3:4], v[10:11]
	s_delay_alu instid0(VALU_DEP_2)
	v_add_f64 v[1:2], v[1:2], v[15:16]
	s_and_not1_b32 exec_lo, exec_lo, s3
	s_cbranch_execnz .LBB125_237
; %bb.238:
	s_or_b32 exec_lo, exec_lo, s3
	v_mov_b32_e32 v7, 0
	ds_load_b128 v[7:10], v7 offset:848
	s_waitcnt lgkmcnt(0)
	v_mul_f64 v[11:12], v[1:2], v[9:10]
	v_mul_f64 v[15:16], v[3:4], v[9:10]
	s_delay_alu instid0(VALU_DEP_2) | instskip(NEXT) | instid1(VALU_DEP_2)
	v_fma_f64 v[9:10], v[3:4], v[7:8], -v[11:12]
	v_fma_f64 v[11:12], v[1:2], v[7:8], v[15:16]
	scratch_store_b128 off, v[9:12], off offset:848
.LBB125_239:
	s_or_b32 exec_lo, exec_lo, s2
	s_waitcnt_vscnt null, 0x0
	s_barrier
	buffer_gl0_inv
	scratch_load_b32 v1, off, off offset:1016 ; 4-byte Folded Reload
	s_mov_b32 s2, exec_lo
	s_waitcnt vmcnt(0)
	scratch_load_b128 v[1:4], v1, off
	s_waitcnt vmcnt(0)
	ds_store_b128 v5, v[1:4]
	s_waitcnt lgkmcnt(0)
	s_barrier
	buffer_gl0_inv
	v_cmpx_gt_u32_e32 54, v174
	s_cbranch_execz .LBB125_243
; %bb.240:
	v_dual_mov_b32 v1, 0 :: v_dual_add_nc_u32 v8, 0x3e0, v13
	v_dual_mov_b32 v2, 0 :: v_dual_add_nc_u32 v7, -1, v174
	v_or_b32_e32 v9, 8, v14
	s_mov_b32 s3, 0
	s_delay_alu instid0(VALU_DEP_2)
	v_dual_mov_b32 v4, v2 :: v_dual_mov_b32 v3, v1
	.p2align	6
.LBB125_241:                            ; =>This Inner Loop Header: Depth=1
	scratch_load_b128 v[15:18], v9, off offset:-8
	ds_load_b128 v[19:22], v8
	v_add_nc_u32_e32 v7, 1, v7
	v_add_nc_u32_e32 v8, 16, v8
	;; [unrolled: 1-line block ×3, first 2 shown]
	s_delay_alu instid0(VALU_DEP_3) | instskip(SKIP_4) | instid1(VALU_DEP_2)
	v_cmp_lt_u32_e32 vcc_lo, 52, v7
	s_or_b32 s3, vcc_lo, s3
	s_waitcnt vmcnt(0) lgkmcnt(0)
	v_mul_f64 v[10:11], v[21:22], v[17:18]
	v_mul_f64 v[17:18], v[19:20], v[17:18]
	v_fma_f64 v[10:11], v[19:20], v[15:16], -v[10:11]
	s_delay_alu instid0(VALU_DEP_2) | instskip(NEXT) | instid1(VALU_DEP_2)
	v_fma_f64 v[15:16], v[21:22], v[15:16], v[17:18]
	v_add_f64 v[3:4], v[3:4], v[10:11]
	s_delay_alu instid0(VALU_DEP_2)
	v_add_f64 v[1:2], v[1:2], v[15:16]
	s_and_not1_b32 exec_lo, exec_lo, s3
	s_cbranch_execnz .LBB125_241
; %bb.242:
	s_or_b32 exec_lo, exec_lo, s3
	v_mov_b32_e32 v7, 0
	ds_load_b128 v[7:10], v7 offset:864
	s_waitcnt lgkmcnt(0)
	v_mul_f64 v[11:12], v[1:2], v[9:10]
	v_mul_f64 v[15:16], v[3:4], v[9:10]
	s_delay_alu instid0(VALU_DEP_2) | instskip(NEXT) | instid1(VALU_DEP_2)
	v_fma_f64 v[9:10], v[3:4], v[7:8], -v[11:12]
	v_fma_f64 v[11:12], v[1:2], v[7:8], v[15:16]
	scratch_store_b128 off, v[9:12], off offset:864
.LBB125_243:
	s_or_b32 exec_lo, exec_lo, s2
	s_waitcnt_vscnt null, 0x0
	s_barrier
	buffer_gl0_inv
	scratch_load_b32 v1, off, off offset:1012 ; 4-byte Folded Reload
	s_mov_b32 s2, exec_lo
	s_waitcnt vmcnt(0)
	scratch_load_b128 v[1:4], v1, off
	s_waitcnt vmcnt(0)
	ds_store_b128 v5, v[1:4]
	s_waitcnt lgkmcnt(0)
	s_barrier
	buffer_gl0_inv
	v_cmpx_gt_u32_e32 55, v174
	s_cbranch_execz .LBB125_247
; %bb.244:
	v_dual_mov_b32 v1, 0 :: v_dual_add_nc_u32 v8, 0x3e0, v13
	v_dual_mov_b32 v2, 0 :: v_dual_add_nc_u32 v7, -1, v174
	v_or_b32_e32 v9, 8, v14
	s_mov_b32 s3, 0
	s_delay_alu instid0(VALU_DEP_2)
	v_dual_mov_b32 v4, v2 :: v_dual_mov_b32 v3, v1
	.p2align	6
.LBB125_245:                            ; =>This Inner Loop Header: Depth=1
	scratch_load_b128 v[15:18], v9, off offset:-8
	ds_load_b128 v[19:22], v8
	v_add_nc_u32_e32 v7, 1, v7
	v_add_nc_u32_e32 v8, 16, v8
	v_add_nc_u32_e32 v9, 16, v9
	s_delay_alu instid0(VALU_DEP_3) | instskip(SKIP_4) | instid1(VALU_DEP_2)
	v_cmp_lt_u32_e32 vcc_lo, 53, v7
	s_or_b32 s3, vcc_lo, s3
	s_waitcnt vmcnt(0) lgkmcnt(0)
	v_mul_f64 v[10:11], v[21:22], v[17:18]
	v_mul_f64 v[17:18], v[19:20], v[17:18]
	v_fma_f64 v[10:11], v[19:20], v[15:16], -v[10:11]
	s_delay_alu instid0(VALU_DEP_2) | instskip(NEXT) | instid1(VALU_DEP_2)
	v_fma_f64 v[15:16], v[21:22], v[15:16], v[17:18]
	v_add_f64 v[3:4], v[3:4], v[10:11]
	s_delay_alu instid0(VALU_DEP_2)
	v_add_f64 v[1:2], v[1:2], v[15:16]
	s_and_not1_b32 exec_lo, exec_lo, s3
	s_cbranch_execnz .LBB125_245
; %bb.246:
	s_or_b32 exec_lo, exec_lo, s3
	v_mov_b32_e32 v7, 0
	ds_load_b128 v[7:10], v7 offset:880
	s_waitcnt lgkmcnt(0)
	v_mul_f64 v[11:12], v[1:2], v[9:10]
	v_mul_f64 v[15:16], v[3:4], v[9:10]
	s_delay_alu instid0(VALU_DEP_2) | instskip(NEXT) | instid1(VALU_DEP_2)
	v_fma_f64 v[9:10], v[3:4], v[7:8], -v[11:12]
	v_fma_f64 v[11:12], v[1:2], v[7:8], v[15:16]
	scratch_store_b128 off, v[9:12], off offset:880
.LBB125_247:
	s_or_b32 exec_lo, exec_lo, s2
	s_waitcnt_vscnt null, 0x0
	s_barrier
	buffer_gl0_inv
	scratch_load_b32 v1, off, off offset:1008 ; 4-byte Folded Reload
	s_mov_b32 s2, exec_lo
	s_waitcnt vmcnt(0)
	scratch_load_b128 v[1:4], v1, off
	s_waitcnt vmcnt(0)
	ds_store_b128 v5, v[1:4]
	s_waitcnt lgkmcnt(0)
	s_barrier
	buffer_gl0_inv
	v_cmpx_gt_u32_e32 56, v174
	s_cbranch_execz .LBB125_251
; %bb.248:
	v_dual_mov_b32 v1, 0 :: v_dual_add_nc_u32 v8, 0x3e0, v13
	v_dual_mov_b32 v2, 0 :: v_dual_add_nc_u32 v7, -1, v174
	v_or_b32_e32 v9, 8, v14
	s_mov_b32 s3, 0
	s_delay_alu instid0(VALU_DEP_2)
	v_dual_mov_b32 v4, v2 :: v_dual_mov_b32 v3, v1
	.p2align	6
.LBB125_249:                            ; =>This Inner Loop Header: Depth=1
	scratch_load_b128 v[15:18], v9, off offset:-8
	ds_load_b128 v[19:22], v8
	v_add_nc_u32_e32 v7, 1, v7
	v_add_nc_u32_e32 v8, 16, v8
	;; [unrolled: 1-line block ×3, first 2 shown]
	s_delay_alu instid0(VALU_DEP_3) | instskip(SKIP_4) | instid1(VALU_DEP_2)
	v_cmp_lt_u32_e32 vcc_lo, 54, v7
	s_or_b32 s3, vcc_lo, s3
	s_waitcnt vmcnt(0) lgkmcnt(0)
	v_mul_f64 v[10:11], v[21:22], v[17:18]
	v_mul_f64 v[17:18], v[19:20], v[17:18]
	v_fma_f64 v[10:11], v[19:20], v[15:16], -v[10:11]
	s_delay_alu instid0(VALU_DEP_2) | instskip(NEXT) | instid1(VALU_DEP_2)
	v_fma_f64 v[15:16], v[21:22], v[15:16], v[17:18]
	v_add_f64 v[3:4], v[3:4], v[10:11]
	s_delay_alu instid0(VALU_DEP_2)
	v_add_f64 v[1:2], v[1:2], v[15:16]
	s_and_not1_b32 exec_lo, exec_lo, s3
	s_cbranch_execnz .LBB125_249
; %bb.250:
	s_or_b32 exec_lo, exec_lo, s3
	v_mov_b32_e32 v7, 0
	ds_load_b128 v[7:10], v7 offset:896
	s_waitcnt lgkmcnt(0)
	v_mul_f64 v[11:12], v[1:2], v[9:10]
	v_mul_f64 v[15:16], v[3:4], v[9:10]
	s_delay_alu instid0(VALU_DEP_2) | instskip(NEXT) | instid1(VALU_DEP_2)
	v_fma_f64 v[9:10], v[3:4], v[7:8], -v[11:12]
	v_fma_f64 v[11:12], v[1:2], v[7:8], v[15:16]
	scratch_store_b128 off, v[9:12], off offset:896
.LBB125_251:
	s_or_b32 exec_lo, exec_lo, s2
	s_waitcnt_vscnt null, 0x0
	s_barrier
	buffer_gl0_inv
	scratch_load_b32 v1, off, off offset:1004 ; 4-byte Folded Reload
	s_mov_b32 s2, exec_lo
	s_waitcnt vmcnt(0)
	scratch_load_b128 v[1:4], v1, off
	s_waitcnt vmcnt(0)
	ds_store_b128 v5, v[1:4]
	s_waitcnt lgkmcnt(0)
	s_barrier
	buffer_gl0_inv
	v_cmpx_gt_u32_e32 57, v174
	s_cbranch_execz .LBB125_255
; %bb.252:
	v_dual_mov_b32 v1, 0 :: v_dual_add_nc_u32 v8, 0x3e0, v13
	v_dual_mov_b32 v2, 0 :: v_dual_add_nc_u32 v7, -1, v174
	v_or_b32_e32 v9, 8, v14
	s_mov_b32 s3, 0
	s_delay_alu instid0(VALU_DEP_2)
	v_dual_mov_b32 v4, v2 :: v_dual_mov_b32 v3, v1
	.p2align	6
.LBB125_253:                            ; =>This Inner Loop Header: Depth=1
	scratch_load_b128 v[15:18], v9, off offset:-8
	ds_load_b128 v[19:22], v8
	v_add_nc_u32_e32 v7, 1, v7
	v_add_nc_u32_e32 v8, 16, v8
	;; [unrolled: 1-line block ×3, first 2 shown]
	s_delay_alu instid0(VALU_DEP_3) | instskip(SKIP_4) | instid1(VALU_DEP_2)
	v_cmp_lt_u32_e32 vcc_lo, 55, v7
	s_or_b32 s3, vcc_lo, s3
	s_waitcnt vmcnt(0) lgkmcnt(0)
	v_mul_f64 v[10:11], v[21:22], v[17:18]
	v_mul_f64 v[17:18], v[19:20], v[17:18]
	v_fma_f64 v[10:11], v[19:20], v[15:16], -v[10:11]
	s_delay_alu instid0(VALU_DEP_2) | instskip(NEXT) | instid1(VALU_DEP_2)
	v_fma_f64 v[15:16], v[21:22], v[15:16], v[17:18]
	v_add_f64 v[3:4], v[3:4], v[10:11]
	s_delay_alu instid0(VALU_DEP_2)
	v_add_f64 v[1:2], v[1:2], v[15:16]
	s_and_not1_b32 exec_lo, exec_lo, s3
	s_cbranch_execnz .LBB125_253
; %bb.254:
	s_or_b32 exec_lo, exec_lo, s3
	v_mov_b32_e32 v7, 0
	ds_load_b128 v[7:10], v7 offset:912
	s_waitcnt lgkmcnt(0)
	v_mul_f64 v[11:12], v[1:2], v[9:10]
	v_mul_f64 v[15:16], v[3:4], v[9:10]
	s_delay_alu instid0(VALU_DEP_2) | instskip(NEXT) | instid1(VALU_DEP_2)
	v_fma_f64 v[9:10], v[3:4], v[7:8], -v[11:12]
	v_fma_f64 v[11:12], v[1:2], v[7:8], v[15:16]
	scratch_store_b128 off, v[9:12], off offset:912
.LBB125_255:
	s_or_b32 exec_lo, exec_lo, s2
	s_waitcnt_vscnt null, 0x0
	s_barrier
	buffer_gl0_inv
	scratch_load_b32 v1, off, off offset:1000 ; 4-byte Folded Reload
	s_mov_b32 s2, exec_lo
	s_waitcnt vmcnt(0)
	scratch_load_b128 v[1:4], v1, off
	s_waitcnt vmcnt(0)
	ds_store_b128 v5, v[1:4]
	s_waitcnt lgkmcnt(0)
	s_barrier
	buffer_gl0_inv
	v_cmpx_gt_u32_e32 58, v174
	s_cbranch_execz .LBB125_259
; %bb.256:
	v_dual_mov_b32 v1, 0 :: v_dual_add_nc_u32 v8, 0x3e0, v13
	v_dual_mov_b32 v2, 0 :: v_dual_add_nc_u32 v7, -1, v174
	v_or_b32_e32 v9, 8, v14
	s_mov_b32 s3, 0
	s_delay_alu instid0(VALU_DEP_2)
	v_dual_mov_b32 v4, v2 :: v_dual_mov_b32 v3, v1
	.p2align	6
.LBB125_257:                            ; =>This Inner Loop Header: Depth=1
	scratch_load_b128 v[15:18], v9, off offset:-8
	ds_load_b128 v[19:22], v8
	v_add_nc_u32_e32 v7, 1, v7
	v_add_nc_u32_e32 v8, 16, v8
	;; [unrolled: 1-line block ×3, first 2 shown]
	s_delay_alu instid0(VALU_DEP_3) | instskip(SKIP_4) | instid1(VALU_DEP_2)
	v_cmp_lt_u32_e32 vcc_lo, 56, v7
	s_or_b32 s3, vcc_lo, s3
	s_waitcnt vmcnt(0) lgkmcnt(0)
	v_mul_f64 v[10:11], v[21:22], v[17:18]
	v_mul_f64 v[17:18], v[19:20], v[17:18]
	v_fma_f64 v[10:11], v[19:20], v[15:16], -v[10:11]
	s_delay_alu instid0(VALU_DEP_2) | instskip(NEXT) | instid1(VALU_DEP_2)
	v_fma_f64 v[15:16], v[21:22], v[15:16], v[17:18]
	v_add_f64 v[3:4], v[3:4], v[10:11]
	s_delay_alu instid0(VALU_DEP_2)
	v_add_f64 v[1:2], v[1:2], v[15:16]
	s_and_not1_b32 exec_lo, exec_lo, s3
	s_cbranch_execnz .LBB125_257
; %bb.258:
	s_or_b32 exec_lo, exec_lo, s3
	v_mov_b32_e32 v7, 0
	ds_load_b128 v[7:10], v7 offset:928
	s_waitcnt lgkmcnt(0)
	v_mul_f64 v[11:12], v[1:2], v[9:10]
	v_mul_f64 v[15:16], v[3:4], v[9:10]
	s_delay_alu instid0(VALU_DEP_2) | instskip(NEXT) | instid1(VALU_DEP_2)
	v_fma_f64 v[9:10], v[3:4], v[7:8], -v[11:12]
	v_fma_f64 v[11:12], v[1:2], v[7:8], v[15:16]
	scratch_store_b128 off, v[9:12], off offset:928
.LBB125_259:
	s_or_b32 exec_lo, exec_lo, s2
	s_waitcnt_vscnt null, 0x0
	s_barrier
	buffer_gl0_inv
	scratch_load_b32 v1, off, off offset:996 ; 4-byte Folded Reload
	s_mov_b32 s2, exec_lo
	s_waitcnt vmcnt(0)
	scratch_load_b128 v[1:4], v1, off
	s_waitcnt vmcnt(0)
	ds_store_b128 v5, v[1:4]
	s_waitcnt lgkmcnt(0)
	s_barrier
	buffer_gl0_inv
	v_cmpx_gt_u32_e32 59, v174
	s_cbranch_execz .LBB125_263
; %bb.260:
	v_dual_mov_b32 v1, 0 :: v_dual_add_nc_u32 v8, 0x3e0, v13
	v_dual_mov_b32 v2, 0 :: v_dual_add_nc_u32 v7, -1, v174
	v_or_b32_e32 v9, 8, v14
	s_mov_b32 s3, 0
	s_delay_alu instid0(VALU_DEP_2)
	v_dual_mov_b32 v4, v2 :: v_dual_mov_b32 v3, v1
	.p2align	6
.LBB125_261:                            ; =>This Inner Loop Header: Depth=1
	scratch_load_b128 v[15:18], v9, off offset:-8
	ds_load_b128 v[19:22], v8
	v_add_nc_u32_e32 v7, 1, v7
	v_add_nc_u32_e32 v8, 16, v8
	v_add_nc_u32_e32 v9, 16, v9
	s_delay_alu instid0(VALU_DEP_3) | instskip(SKIP_4) | instid1(VALU_DEP_2)
	v_cmp_lt_u32_e32 vcc_lo, 57, v7
	s_or_b32 s3, vcc_lo, s3
	s_waitcnt vmcnt(0) lgkmcnt(0)
	v_mul_f64 v[10:11], v[21:22], v[17:18]
	v_mul_f64 v[17:18], v[19:20], v[17:18]
	v_fma_f64 v[10:11], v[19:20], v[15:16], -v[10:11]
	s_delay_alu instid0(VALU_DEP_2) | instskip(NEXT) | instid1(VALU_DEP_2)
	v_fma_f64 v[15:16], v[21:22], v[15:16], v[17:18]
	v_add_f64 v[3:4], v[3:4], v[10:11]
	s_delay_alu instid0(VALU_DEP_2)
	v_add_f64 v[1:2], v[1:2], v[15:16]
	s_and_not1_b32 exec_lo, exec_lo, s3
	s_cbranch_execnz .LBB125_261
; %bb.262:
	s_or_b32 exec_lo, exec_lo, s3
	v_mov_b32_e32 v7, 0
	ds_load_b128 v[7:10], v7 offset:944
	s_waitcnt lgkmcnt(0)
	v_mul_f64 v[11:12], v[1:2], v[9:10]
	v_mul_f64 v[15:16], v[3:4], v[9:10]
	s_delay_alu instid0(VALU_DEP_2) | instskip(NEXT) | instid1(VALU_DEP_2)
	v_fma_f64 v[9:10], v[3:4], v[7:8], -v[11:12]
	v_fma_f64 v[11:12], v[1:2], v[7:8], v[15:16]
	scratch_store_b128 off, v[9:12], off offset:944
.LBB125_263:
	s_or_b32 exec_lo, exec_lo, s2
	s_waitcnt_vscnt null, 0x0
	s_barrier
	buffer_gl0_inv
	scratch_load_b32 v1, off, off offset:992 ; 4-byte Folded Reload
	s_mov_b32 s2, exec_lo
	s_waitcnt vmcnt(0)
	scratch_load_b128 v[1:4], v1, off
	s_waitcnt vmcnt(0)
	ds_store_b128 v5, v[1:4]
	s_waitcnt lgkmcnt(0)
	s_barrier
	buffer_gl0_inv
	v_cmpx_gt_u32_e32 60, v174
	s_cbranch_execz .LBB125_267
; %bb.264:
	v_dual_mov_b32 v1, 0 :: v_dual_add_nc_u32 v8, 0x3e0, v13
	v_dual_mov_b32 v2, 0 :: v_dual_add_nc_u32 v7, -1, v174
	v_or_b32_e32 v9, 8, v14
	s_mov_b32 s3, 0
	s_delay_alu instid0(VALU_DEP_2)
	v_dual_mov_b32 v4, v2 :: v_dual_mov_b32 v3, v1
	.p2align	6
.LBB125_265:                            ; =>This Inner Loop Header: Depth=1
	scratch_load_b128 v[10:13], v9, off offset:-8
	ds_load_b128 v[15:18], v8
	v_add_nc_u32_e32 v7, 1, v7
	v_add_nc_u32_e32 v8, 16, v8
	;; [unrolled: 1-line block ×3, first 2 shown]
	s_delay_alu instid0(VALU_DEP_3) | instskip(SKIP_4) | instid1(VALU_DEP_2)
	v_cmp_lt_u32_e32 vcc_lo, 58, v7
	s_or_b32 s3, vcc_lo, s3
	s_waitcnt vmcnt(0) lgkmcnt(0)
	v_mul_f64 v[19:20], v[17:18], v[12:13]
	v_mul_f64 v[12:13], v[15:16], v[12:13]
	v_fma_f64 v[15:16], v[15:16], v[10:11], -v[19:20]
	s_delay_alu instid0(VALU_DEP_2) | instskip(NEXT) | instid1(VALU_DEP_2)
	v_fma_f64 v[10:11], v[17:18], v[10:11], v[12:13]
	v_add_f64 v[3:4], v[3:4], v[15:16]
	s_delay_alu instid0(VALU_DEP_2)
	v_add_f64 v[1:2], v[1:2], v[10:11]
	s_and_not1_b32 exec_lo, exec_lo, s3
	s_cbranch_execnz .LBB125_265
; %bb.266:
	s_or_b32 exec_lo, exec_lo, s3
	v_mov_b32_e32 v7, 0
	ds_load_b128 v[7:10], v7 offset:960
	s_waitcnt lgkmcnt(0)
	v_mul_f64 v[11:12], v[1:2], v[9:10]
	v_mul_f64 v[15:16], v[3:4], v[9:10]
	s_delay_alu instid0(VALU_DEP_2) | instskip(NEXT) | instid1(VALU_DEP_2)
	v_fma_f64 v[9:10], v[3:4], v[7:8], -v[11:12]
	v_fma_f64 v[11:12], v[1:2], v[7:8], v[15:16]
	scratch_store_b128 off, v[9:12], off offset:960
.LBB125_267:
	s_or_b32 exec_lo, exec_lo, s2
	s_waitcnt_vscnt null, 0x0
	s_barrier
	buffer_gl0_inv
	scratch_load_b32 v1, off, off offset:1216 ; 4-byte Folded Reload
	s_mov_b32 s2, exec_lo
	s_waitcnt vmcnt(0)
	scratch_load_b128 v[1:4], v1, off
	s_waitcnt vmcnt(0)
	ds_store_b128 v5, v[1:4]
	s_waitcnt lgkmcnt(0)
	s_barrier
	buffer_gl0_inv
	v_cmpx_ne_u32_e32 61, v174
	s_cbranch_execz .LBB125_271
; %bb.268:
	v_mov_b32_e32 v1, 0
	v_mov_b32_e32 v2, 0
	v_or_b32_e32 v7, 8, v14
	s_mov_b32 s3, 0
	s_delay_alu instid0(VALU_DEP_2)
	v_dual_mov_b32 v4, v2 :: v_dual_mov_b32 v3, v1
	.p2align	6
.LBB125_269:                            ; =>This Inner Loop Header: Depth=1
	scratch_load_b128 v[8:11], v7, off offset:-8
	ds_load_b128 v[12:15], v5
	v_add_nc_u32_e32 v6, 1, v6
	v_add_nc_u32_e32 v5, 16, v5
	;; [unrolled: 1-line block ×3, first 2 shown]
	s_delay_alu instid0(VALU_DEP_3) | instskip(SKIP_4) | instid1(VALU_DEP_2)
	v_cmp_lt_u32_e32 vcc_lo, 59, v6
	s_or_b32 s3, vcc_lo, s3
	s_waitcnt vmcnt(0) lgkmcnt(0)
	v_mul_f64 v[16:17], v[14:15], v[10:11]
	v_mul_f64 v[10:11], v[12:13], v[10:11]
	v_fma_f64 v[12:13], v[12:13], v[8:9], -v[16:17]
	s_delay_alu instid0(VALU_DEP_2) | instskip(NEXT) | instid1(VALU_DEP_2)
	v_fma_f64 v[8:9], v[14:15], v[8:9], v[10:11]
	v_add_f64 v[3:4], v[3:4], v[12:13]
	s_delay_alu instid0(VALU_DEP_2)
	v_add_f64 v[1:2], v[1:2], v[8:9]
	s_and_not1_b32 exec_lo, exec_lo, s3
	s_cbranch_execnz .LBB125_269
; %bb.270:
	s_or_b32 exec_lo, exec_lo, s3
	v_mov_b32_e32 v5, 0
	ds_load_b128 v[5:8], v5 offset:976
	s_waitcnt lgkmcnt(0)
	v_mul_f64 v[9:10], v[1:2], v[7:8]
	v_mul_f64 v[7:8], v[3:4], v[7:8]
	s_delay_alu instid0(VALU_DEP_2) | instskip(NEXT) | instid1(VALU_DEP_2)
	v_fma_f64 v[3:4], v[3:4], v[5:6], -v[9:10]
	v_fma_f64 v[5:6], v[1:2], v[5:6], v[7:8]
	scratch_store_b128 off, v[3:6], off offset:976
.LBB125_271:
	s_or_b32 exec_lo, exec_lo, s2
	s_mov_b32 s3, -1
	s_waitcnt_vscnt null, 0x0
	s_barrier
	buffer_gl0_inv
.LBB125_272:
	s_and_b32 vcc_lo, exec_lo, s3
	s_cbranch_vccz .LBB125_274
; %bb.273:
	s_lshl_b64 s[2:3], s[10:11], 2
	v_mov_b32_e32 v1, 0
	s_add_u32 s2, s6, s2
	s_addc_u32 s3, s7, s3
	global_load_b32 v1, v1, s[2:3]
	s_waitcnt vmcnt(0)
	v_cmp_ne_u32_e32 vcc_lo, 0, v1
	s_cbranch_vccz .LBB125_275
.LBB125_274:
	s_endpgm
.LBB125_275:
	v_lshl_add_u32 v255, v174, 4, 0x3e0
	s_mov_b32 s2, exec_lo
	v_cmpx_eq_u32_e32 61, v174
	s_cbranch_execz .LBB125_277
; %bb.276:
	scratch_load_b32 v1, off, off offset:992 ; 4-byte Folded Reload
	v_mov_b32_e32 v5, 0
	s_delay_alu instid0(VALU_DEP_1)
	v_mov_b32_e32 v6, v5
	v_mov_b32_e32 v7, v5
	;; [unrolled: 1-line block ×3, first 2 shown]
	s_waitcnt vmcnt(0)
	scratch_load_b128 v[1:4], v1, off
	scratch_store_b128 off, v[5:8], off offset:960
	s_waitcnt vmcnt(0)
	ds_store_b128 v255, v[1:4]
.LBB125_277:
	s_or_b32 exec_lo, exec_lo, s2
	s_waitcnt lgkmcnt(0)
	s_waitcnt_vscnt null, 0x0
	s_barrier
	buffer_gl0_inv
	s_clause 0x1
	scratch_load_b128 v[2:5], off, off offset:976
	scratch_load_b128 v[6:9], off, off offset:960
	v_mov_b32_e32 v1, 0
	s_mov_b32 s2, exec_lo
	ds_load_b128 v[10:13], v1 offset:1968
	s_waitcnt vmcnt(1) lgkmcnt(0)
	v_mul_f64 v[14:15], v[12:13], v[4:5]
	v_mul_f64 v[4:5], v[10:11], v[4:5]
	s_delay_alu instid0(VALU_DEP_2) | instskip(NEXT) | instid1(VALU_DEP_2)
	v_fma_f64 v[10:11], v[10:11], v[2:3], -v[14:15]
	v_fma_f64 v[2:3], v[12:13], v[2:3], v[4:5]
	s_delay_alu instid0(VALU_DEP_2) | instskip(NEXT) | instid1(VALU_DEP_2)
	v_add_f64 v[4:5], v[10:11], 0
	v_add_f64 v[10:11], v[2:3], 0
	s_waitcnt vmcnt(0)
	s_delay_alu instid0(VALU_DEP_2) | instskip(NEXT) | instid1(VALU_DEP_2)
	v_add_f64 v[2:3], v[6:7], -v[4:5]
	v_add_f64 v[4:5], v[8:9], -v[10:11]
	scratch_store_b128 off, v[2:5], off offset:960
	v_cmpx_lt_u32_e32 59, v174
	s_cbranch_execz .LBB125_279
; %bb.278:
	scratch_load_b32 v2, off, off offset:996 ; 4-byte Folded Reload
	v_mov_b32_e32 v3, v1
	v_mov_b32_e32 v4, v1
	s_waitcnt vmcnt(0)
	scratch_load_b128 v[5:8], v2, off
	v_mov_b32_e32 v2, v1
	scratch_store_b128 off, v[1:4], off offset:944
	s_waitcnt vmcnt(0)
	ds_store_b128 v255, v[5:8]
.LBB125_279:
	s_or_b32 exec_lo, exec_lo, s2
	s_waitcnt lgkmcnt(0)
	s_waitcnt_vscnt null, 0x0
	s_barrier
	buffer_gl0_inv
	s_clause 0x2
	scratch_load_b128 v[2:5], off, off offset:960
	scratch_load_b128 v[6:9], off, off offset:976
	;; [unrolled: 1-line block ×3, first 2 shown]
	ds_load_b128 v[14:17], v1 offset:1952
	ds_load_b128 v[18:21], v1 offset:1968
	s_mov_b32 s2, exec_lo
	s_waitcnt vmcnt(2) lgkmcnt(1)
	v_mul_f64 v[22:23], v[16:17], v[4:5]
	v_mul_f64 v[4:5], v[14:15], v[4:5]
	s_waitcnt vmcnt(1) lgkmcnt(0)
	v_mul_f64 v[24:25], v[18:19], v[8:9]
	v_mul_f64 v[8:9], v[20:21], v[8:9]
	s_delay_alu instid0(VALU_DEP_4) | instskip(NEXT) | instid1(VALU_DEP_4)
	v_fma_f64 v[14:15], v[14:15], v[2:3], -v[22:23]
	v_fma_f64 v[1:2], v[16:17], v[2:3], v[4:5]
	s_delay_alu instid0(VALU_DEP_4) | instskip(NEXT) | instid1(VALU_DEP_4)
	v_fma_f64 v[3:4], v[20:21], v[6:7], v[24:25]
	v_fma_f64 v[5:6], v[18:19], v[6:7], -v[8:9]
	s_delay_alu instid0(VALU_DEP_4) | instskip(NEXT) | instid1(VALU_DEP_4)
	v_add_f64 v[7:8], v[14:15], 0
	v_add_f64 v[1:2], v[1:2], 0
	s_delay_alu instid0(VALU_DEP_2) | instskip(NEXT) | instid1(VALU_DEP_2)
	v_add_f64 v[5:6], v[7:8], v[5:6]
	v_add_f64 v[3:4], v[1:2], v[3:4]
	s_waitcnt vmcnt(0)
	s_delay_alu instid0(VALU_DEP_2) | instskip(NEXT) | instid1(VALU_DEP_2)
	v_add_f64 v[1:2], v[10:11], -v[5:6]
	v_add_f64 v[3:4], v[12:13], -v[3:4]
	scratch_store_b128 off, v[1:4], off offset:944
	v_cmpx_lt_u32_e32 58, v174
	s_cbranch_execz .LBB125_281
; %bb.280:
	scratch_load_b32 v1, off, off offset:1000 ; 4-byte Folded Reload
	v_mov_b32_e32 v5, 0
	s_delay_alu instid0(VALU_DEP_1)
	v_mov_b32_e32 v6, v5
	v_mov_b32_e32 v7, v5
	;; [unrolled: 1-line block ×3, first 2 shown]
	s_waitcnt vmcnt(0)
	scratch_load_b128 v[1:4], v1, off
	scratch_store_b128 off, v[5:8], off offset:928
	s_waitcnt vmcnt(0)
	ds_store_b128 v255, v[1:4]
.LBB125_281:
	s_or_b32 exec_lo, exec_lo, s2
	s_waitcnt lgkmcnt(0)
	s_waitcnt_vscnt null, 0x0
	s_barrier
	buffer_gl0_inv
	s_clause 0x3
	scratch_load_b128 v[2:5], off, off offset:944
	scratch_load_b128 v[6:9], off, off offset:960
	;; [unrolled: 1-line block ×4, first 2 shown]
	v_mov_b32_e32 v1, 0
	ds_load_b128 v[18:21], v1 offset:1936
	ds_load_b128 v[22:25], v1 offset:1952
	s_mov_b32 s2, exec_lo
	s_waitcnt vmcnt(3) lgkmcnt(1)
	v_mul_f64 v[26:27], v[20:21], v[4:5]
	v_mul_f64 v[4:5], v[18:19], v[4:5]
	s_waitcnt vmcnt(2) lgkmcnt(0)
	v_mul_f64 v[28:29], v[22:23], v[8:9]
	v_mul_f64 v[8:9], v[24:25], v[8:9]
	s_delay_alu instid0(VALU_DEP_4) | instskip(NEXT) | instid1(VALU_DEP_4)
	v_fma_f64 v[18:19], v[18:19], v[2:3], -v[26:27]
	v_fma_f64 v[20:21], v[20:21], v[2:3], v[4:5]
	ds_load_b128 v[2:5], v1 offset:1968
	v_fma_f64 v[24:25], v[24:25], v[6:7], v[28:29]
	v_fma_f64 v[6:7], v[22:23], v[6:7], -v[8:9]
	s_waitcnt vmcnt(1) lgkmcnt(0)
	v_mul_f64 v[26:27], v[2:3], v[12:13]
	v_mul_f64 v[12:13], v[4:5], v[12:13]
	v_add_f64 v[8:9], v[18:19], 0
	v_add_f64 v[18:19], v[20:21], 0
	s_delay_alu instid0(VALU_DEP_4) | instskip(NEXT) | instid1(VALU_DEP_4)
	v_fma_f64 v[4:5], v[4:5], v[10:11], v[26:27]
	v_fma_f64 v[2:3], v[2:3], v[10:11], -v[12:13]
	s_delay_alu instid0(VALU_DEP_4) | instskip(NEXT) | instid1(VALU_DEP_4)
	v_add_f64 v[6:7], v[8:9], v[6:7]
	v_add_f64 v[8:9], v[18:19], v[24:25]
	s_delay_alu instid0(VALU_DEP_2) | instskip(NEXT) | instid1(VALU_DEP_2)
	v_add_f64 v[2:3], v[6:7], v[2:3]
	v_add_f64 v[4:5], v[8:9], v[4:5]
	s_waitcnt vmcnt(0)
	s_delay_alu instid0(VALU_DEP_2) | instskip(NEXT) | instid1(VALU_DEP_2)
	v_add_f64 v[2:3], v[14:15], -v[2:3]
	v_add_f64 v[4:5], v[16:17], -v[4:5]
	scratch_store_b128 off, v[2:5], off offset:928
	v_cmpx_lt_u32_e32 57, v174
	s_cbranch_execz .LBB125_283
; %bb.282:
	scratch_load_b32 v2, off, off offset:1004 ; 4-byte Folded Reload
	v_mov_b32_e32 v3, v1
	v_mov_b32_e32 v4, v1
	s_waitcnt vmcnt(0)
	scratch_load_b128 v[5:8], v2, off
	v_mov_b32_e32 v2, v1
	scratch_store_b128 off, v[1:4], off offset:912
	s_waitcnt vmcnt(0)
	ds_store_b128 v255, v[5:8]
.LBB125_283:
	s_or_b32 exec_lo, exec_lo, s2
	s_waitcnt lgkmcnt(0)
	s_waitcnt_vscnt null, 0x0
	s_barrier
	buffer_gl0_inv
	s_clause 0x4
	scratch_load_b128 v[2:5], off, off offset:928
	scratch_load_b128 v[6:9], off, off offset:944
	;; [unrolled: 1-line block ×5, first 2 shown]
	ds_load_b128 v[22:25], v1 offset:1920
	ds_load_b128 v[26:29], v1 offset:1936
	s_mov_b32 s2, exec_lo
	s_waitcnt vmcnt(4) lgkmcnt(1)
	v_mul_f64 v[30:31], v[24:25], v[4:5]
	v_mul_f64 v[4:5], v[22:23], v[4:5]
	s_waitcnt vmcnt(3) lgkmcnt(0)
	v_mul_f64 v[32:33], v[26:27], v[8:9]
	v_mul_f64 v[8:9], v[28:29], v[8:9]
	s_delay_alu instid0(VALU_DEP_4) | instskip(NEXT) | instid1(VALU_DEP_4)
	v_fma_f64 v[30:31], v[22:23], v[2:3], -v[30:31]
	v_fma_f64 v[34:35], v[24:25], v[2:3], v[4:5]
	ds_load_b128 v[2:5], v1 offset:1952
	ds_load_b128 v[22:25], v1 offset:1968
	v_fma_f64 v[28:29], v[28:29], v[6:7], v[32:33]
	v_fma_f64 v[6:7], v[26:27], v[6:7], -v[8:9]
	s_waitcnt vmcnt(2) lgkmcnt(1)
	v_mul_f64 v[36:37], v[2:3], v[12:13]
	v_mul_f64 v[12:13], v[4:5], v[12:13]
	v_add_f64 v[8:9], v[30:31], 0
	v_add_f64 v[26:27], v[34:35], 0
	s_waitcnt vmcnt(1) lgkmcnt(0)
	v_mul_f64 v[30:31], v[22:23], v[16:17]
	v_mul_f64 v[16:17], v[24:25], v[16:17]
	v_fma_f64 v[4:5], v[4:5], v[10:11], v[36:37]
	v_fma_f64 v[1:2], v[2:3], v[10:11], -v[12:13]
	v_add_f64 v[6:7], v[8:9], v[6:7]
	v_add_f64 v[8:9], v[26:27], v[28:29]
	v_fma_f64 v[10:11], v[24:25], v[14:15], v[30:31]
	v_fma_f64 v[12:13], v[22:23], v[14:15], -v[16:17]
	s_delay_alu instid0(VALU_DEP_4) | instskip(NEXT) | instid1(VALU_DEP_4)
	v_add_f64 v[1:2], v[6:7], v[1:2]
	v_add_f64 v[3:4], v[8:9], v[4:5]
	s_delay_alu instid0(VALU_DEP_2) | instskip(NEXT) | instid1(VALU_DEP_2)
	v_add_f64 v[1:2], v[1:2], v[12:13]
	v_add_f64 v[3:4], v[3:4], v[10:11]
	s_waitcnt vmcnt(0)
	s_delay_alu instid0(VALU_DEP_2) | instskip(NEXT) | instid1(VALU_DEP_2)
	v_add_f64 v[1:2], v[18:19], -v[1:2]
	v_add_f64 v[3:4], v[20:21], -v[3:4]
	scratch_store_b128 off, v[1:4], off offset:912
	v_cmpx_lt_u32_e32 56, v174
	s_cbranch_execz .LBB125_285
; %bb.284:
	scratch_load_b32 v1, off, off offset:1008 ; 4-byte Folded Reload
	v_mov_b32_e32 v5, 0
	s_delay_alu instid0(VALU_DEP_1)
	v_mov_b32_e32 v6, v5
	v_mov_b32_e32 v7, v5
	;; [unrolled: 1-line block ×3, first 2 shown]
	s_waitcnt vmcnt(0)
	scratch_load_b128 v[1:4], v1, off
	scratch_store_b128 off, v[5:8], off offset:896
	s_waitcnt vmcnt(0)
	ds_store_b128 v255, v[1:4]
.LBB125_285:
	s_or_b32 exec_lo, exec_lo, s2
	s_waitcnt lgkmcnt(0)
	s_waitcnt_vscnt null, 0x0
	s_barrier
	buffer_gl0_inv
	s_clause 0x5
	scratch_load_b128 v[2:5], off, off offset:912
	scratch_load_b128 v[6:9], off, off offset:928
	;; [unrolled: 1-line block ×6, first 2 shown]
	v_mov_b32_e32 v1, 0
	ds_load_b128 v[26:29], v1 offset:1904
	ds_load_b128 v[30:33], v1 offset:1920
	s_mov_b32 s2, exec_lo
	s_waitcnt vmcnt(5) lgkmcnt(1)
	v_mul_f64 v[34:35], v[28:29], v[4:5]
	v_mul_f64 v[4:5], v[26:27], v[4:5]
	s_waitcnt vmcnt(4) lgkmcnt(0)
	v_mul_f64 v[36:37], v[30:31], v[8:9]
	v_mul_f64 v[8:9], v[32:33], v[8:9]
	s_delay_alu instid0(VALU_DEP_4) | instskip(NEXT) | instid1(VALU_DEP_4)
	v_fma_f64 v[34:35], v[26:27], v[2:3], -v[34:35]
	v_fma_f64 v[38:39], v[28:29], v[2:3], v[4:5]
	ds_load_b128 v[2:5], v1 offset:1936
	ds_load_b128 v[26:29], v1 offset:1952
	v_fma_f64 v[32:33], v[32:33], v[6:7], v[36:37]
	v_fma_f64 v[6:7], v[30:31], v[6:7], -v[8:9]
	s_waitcnt vmcnt(3) lgkmcnt(1)
	v_mul_f64 v[40:41], v[2:3], v[12:13]
	v_mul_f64 v[12:13], v[4:5], v[12:13]
	v_add_f64 v[8:9], v[34:35], 0
	v_add_f64 v[30:31], v[38:39], 0
	s_waitcnt vmcnt(2) lgkmcnt(0)
	v_mul_f64 v[34:35], v[26:27], v[16:17]
	v_mul_f64 v[16:17], v[28:29], v[16:17]
	v_fma_f64 v[36:37], v[4:5], v[10:11], v[40:41]
	v_fma_f64 v[10:11], v[2:3], v[10:11], -v[12:13]
	ds_load_b128 v[2:5], v1 offset:1968
	v_add_f64 v[6:7], v[8:9], v[6:7]
	v_add_f64 v[8:9], v[30:31], v[32:33]
	v_fma_f64 v[28:29], v[28:29], v[14:15], v[34:35]
	v_fma_f64 v[14:15], v[26:27], v[14:15], -v[16:17]
	s_waitcnt vmcnt(1) lgkmcnt(0)
	v_mul_f64 v[12:13], v[2:3], v[20:21]
	v_mul_f64 v[20:21], v[4:5], v[20:21]
	v_add_f64 v[6:7], v[6:7], v[10:11]
	v_add_f64 v[8:9], v[8:9], v[36:37]
	s_delay_alu instid0(VALU_DEP_4) | instskip(NEXT) | instid1(VALU_DEP_4)
	v_fma_f64 v[4:5], v[4:5], v[18:19], v[12:13]
	v_fma_f64 v[2:3], v[2:3], v[18:19], -v[20:21]
	s_delay_alu instid0(VALU_DEP_4) | instskip(NEXT) | instid1(VALU_DEP_4)
	v_add_f64 v[6:7], v[6:7], v[14:15]
	v_add_f64 v[8:9], v[8:9], v[28:29]
	s_delay_alu instid0(VALU_DEP_2) | instskip(NEXT) | instid1(VALU_DEP_2)
	v_add_f64 v[2:3], v[6:7], v[2:3]
	v_add_f64 v[4:5], v[8:9], v[4:5]
	s_waitcnt vmcnt(0)
	s_delay_alu instid0(VALU_DEP_2) | instskip(NEXT) | instid1(VALU_DEP_2)
	v_add_f64 v[2:3], v[22:23], -v[2:3]
	v_add_f64 v[4:5], v[24:25], -v[4:5]
	scratch_store_b128 off, v[2:5], off offset:896
	v_cmpx_lt_u32_e32 55, v174
	s_cbranch_execz .LBB125_287
; %bb.286:
	scratch_load_b32 v2, off, off offset:1012 ; 4-byte Folded Reload
	v_mov_b32_e32 v3, v1
	v_mov_b32_e32 v4, v1
	s_waitcnt vmcnt(0)
	scratch_load_b128 v[5:8], v2, off
	v_mov_b32_e32 v2, v1
	scratch_store_b128 off, v[1:4], off offset:880
	s_waitcnt vmcnt(0)
	ds_store_b128 v255, v[5:8]
.LBB125_287:
	s_or_b32 exec_lo, exec_lo, s2
	s_waitcnt lgkmcnt(0)
	s_waitcnt_vscnt null, 0x0
	s_barrier
	buffer_gl0_inv
	s_clause 0x5
	scratch_load_b128 v[2:5], off, off offset:896
	scratch_load_b128 v[6:9], off, off offset:912
	;; [unrolled: 1-line block ×6, first 2 shown]
	ds_load_b128 v[26:29], v1 offset:1888
	ds_load_b128 v[34:37], v1 offset:1904
	scratch_load_b128 v[30:33], off, off offset:880
	s_mov_b32 s2, exec_lo
	s_waitcnt vmcnt(6) lgkmcnt(1)
	v_mul_f64 v[38:39], v[28:29], v[4:5]
	v_mul_f64 v[4:5], v[26:27], v[4:5]
	s_waitcnt vmcnt(5) lgkmcnt(0)
	v_mul_f64 v[40:41], v[34:35], v[8:9]
	v_mul_f64 v[8:9], v[36:37], v[8:9]
	s_delay_alu instid0(VALU_DEP_4) | instskip(NEXT) | instid1(VALU_DEP_4)
	v_fma_f64 v[38:39], v[26:27], v[2:3], -v[38:39]
	v_fma_f64 v[42:43], v[28:29], v[2:3], v[4:5]
	ds_load_b128 v[2:5], v1 offset:1920
	ds_load_b128 v[26:29], v1 offset:1936
	v_fma_f64 v[36:37], v[36:37], v[6:7], v[40:41]
	v_fma_f64 v[6:7], v[34:35], v[6:7], -v[8:9]
	s_waitcnt vmcnt(4) lgkmcnt(1)
	v_mul_f64 v[44:45], v[2:3], v[12:13]
	v_mul_f64 v[12:13], v[4:5], v[12:13]
	v_add_f64 v[8:9], v[38:39], 0
	v_add_f64 v[34:35], v[42:43], 0
	s_waitcnt vmcnt(3) lgkmcnt(0)
	v_mul_f64 v[38:39], v[26:27], v[16:17]
	v_mul_f64 v[16:17], v[28:29], v[16:17]
	v_fma_f64 v[40:41], v[4:5], v[10:11], v[44:45]
	v_fma_f64 v[10:11], v[2:3], v[10:11], -v[12:13]
	v_add_f64 v[12:13], v[8:9], v[6:7]
	v_add_f64 v[34:35], v[34:35], v[36:37]
	ds_load_b128 v[2:5], v1 offset:1952
	ds_load_b128 v[6:9], v1 offset:1968
	v_fma_f64 v[28:29], v[28:29], v[14:15], v[38:39]
	v_fma_f64 v[14:15], v[26:27], v[14:15], -v[16:17]
	s_waitcnt vmcnt(2) lgkmcnt(1)
	v_mul_f64 v[36:37], v[2:3], v[20:21]
	v_mul_f64 v[20:21], v[4:5], v[20:21]
	s_waitcnt vmcnt(1) lgkmcnt(0)
	v_mul_f64 v[16:17], v[6:7], v[24:25]
	v_mul_f64 v[24:25], v[8:9], v[24:25]
	v_add_f64 v[10:11], v[12:13], v[10:11]
	v_add_f64 v[12:13], v[34:35], v[40:41]
	v_fma_f64 v[4:5], v[4:5], v[18:19], v[36:37]
	v_fma_f64 v[1:2], v[2:3], v[18:19], -v[20:21]
	v_fma_f64 v[8:9], v[8:9], v[22:23], v[16:17]
	v_fma_f64 v[6:7], v[6:7], v[22:23], -v[24:25]
	v_add_f64 v[10:11], v[10:11], v[14:15]
	v_add_f64 v[12:13], v[12:13], v[28:29]
	s_delay_alu instid0(VALU_DEP_2) | instskip(NEXT) | instid1(VALU_DEP_2)
	v_add_f64 v[1:2], v[10:11], v[1:2]
	v_add_f64 v[3:4], v[12:13], v[4:5]
	s_delay_alu instid0(VALU_DEP_2) | instskip(NEXT) | instid1(VALU_DEP_2)
	v_add_f64 v[1:2], v[1:2], v[6:7]
	v_add_f64 v[3:4], v[3:4], v[8:9]
	s_waitcnt vmcnt(0)
	s_delay_alu instid0(VALU_DEP_2) | instskip(NEXT) | instid1(VALU_DEP_2)
	v_add_f64 v[1:2], v[30:31], -v[1:2]
	v_add_f64 v[3:4], v[32:33], -v[3:4]
	scratch_store_b128 off, v[1:4], off offset:880
	v_cmpx_lt_u32_e32 54, v174
	s_cbranch_execz .LBB125_289
; %bb.288:
	scratch_load_b32 v1, off, off offset:1016 ; 4-byte Folded Reload
	v_mov_b32_e32 v5, 0
	s_delay_alu instid0(VALU_DEP_1)
	v_mov_b32_e32 v6, v5
	v_mov_b32_e32 v7, v5
	;; [unrolled: 1-line block ×3, first 2 shown]
	s_waitcnt vmcnt(0)
	scratch_load_b128 v[1:4], v1, off
	scratch_store_b128 off, v[5:8], off offset:864
	s_waitcnt vmcnt(0)
	ds_store_b128 v255, v[1:4]
.LBB125_289:
	s_or_b32 exec_lo, exec_lo, s2
	s_waitcnt lgkmcnt(0)
	s_waitcnt_vscnt null, 0x0
	s_barrier
	buffer_gl0_inv
	s_clause 0x6
	scratch_load_b128 v[2:5], off, off offset:880
	scratch_load_b128 v[6:9], off, off offset:896
	;; [unrolled: 1-line block ×7, first 2 shown]
	v_mov_b32_e32 v1, 0
	scratch_load_b128 v[34:37], off, off offset:864
	s_mov_b32 s2, exec_lo
	ds_load_b128 v[30:33], v1 offset:1872
	ds_load_b128 v[38:41], v1 offset:1888
	s_waitcnt vmcnt(7) lgkmcnt(1)
	v_mul_f64 v[42:43], v[32:33], v[4:5]
	v_mul_f64 v[4:5], v[30:31], v[4:5]
	s_waitcnt vmcnt(6) lgkmcnt(0)
	v_mul_f64 v[44:45], v[38:39], v[8:9]
	v_mul_f64 v[8:9], v[40:41], v[8:9]
	s_delay_alu instid0(VALU_DEP_4) | instskip(NEXT) | instid1(VALU_DEP_4)
	v_fma_f64 v[42:43], v[30:31], v[2:3], -v[42:43]
	v_fma_f64 v[46:47], v[32:33], v[2:3], v[4:5]
	ds_load_b128 v[2:5], v1 offset:1904
	ds_load_b128 v[30:33], v1 offset:1920
	v_fma_f64 v[40:41], v[40:41], v[6:7], v[44:45]
	v_fma_f64 v[6:7], v[38:39], v[6:7], -v[8:9]
	s_waitcnt vmcnt(5) lgkmcnt(1)
	v_mul_f64 v[48:49], v[2:3], v[12:13]
	v_mul_f64 v[12:13], v[4:5], v[12:13]
	v_add_f64 v[8:9], v[42:43], 0
	v_add_f64 v[38:39], v[46:47], 0
	s_waitcnt vmcnt(4) lgkmcnt(0)
	v_mul_f64 v[42:43], v[30:31], v[16:17]
	v_mul_f64 v[16:17], v[32:33], v[16:17]
	v_fma_f64 v[44:45], v[4:5], v[10:11], v[48:49]
	v_fma_f64 v[10:11], v[2:3], v[10:11], -v[12:13]
	v_add_f64 v[12:13], v[8:9], v[6:7]
	v_add_f64 v[38:39], v[38:39], v[40:41]
	ds_load_b128 v[2:5], v1 offset:1936
	ds_load_b128 v[6:9], v1 offset:1952
	v_fma_f64 v[32:33], v[32:33], v[14:15], v[42:43]
	v_fma_f64 v[14:15], v[30:31], v[14:15], -v[16:17]
	s_waitcnt vmcnt(3) lgkmcnt(1)
	v_mul_f64 v[40:41], v[2:3], v[20:21]
	v_mul_f64 v[20:21], v[4:5], v[20:21]
	s_waitcnt vmcnt(2) lgkmcnt(0)
	v_mul_f64 v[16:17], v[6:7], v[24:25]
	v_mul_f64 v[24:25], v[8:9], v[24:25]
	v_add_f64 v[10:11], v[12:13], v[10:11]
	v_add_f64 v[12:13], v[38:39], v[44:45]
	v_fma_f64 v[30:31], v[4:5], v[18:19], v[40:41]
	v_fma_f64 v[18:19], v[2:3], v[18:19], -v[20:21]
	ds_load_b128 v[2:5], v1 offset:1968
	v_fma_f64 v[8:9], v[8:9], v[22:23], v[16:17]
	v_fma_f64 v[6:7], v[6:7], v[22:23], -v[24:25]
	v_add_f64 v[10:11], v[10:11], v[14:15]
	v_add_f64 v[12:13], v[12:13], v[32:33]
	s_waitcnt vmcnt(1) lgkmcnt(0)
	v_mul_f64 v[14:15], v[2:3], v[28:29]
	v_mul_f64 v[20:21], v[4:5], v[28:29]
	s_delay_alu instid0(VALU_DEP_4) | instskip(NEXT) | instid1(VALU_DEP_4)
	v_add_f64 v[10:11], v[10:11], v[18:19]
	v_add_f64 v[12:13], v[12:13], v[30:31]
	s_delay_alu instid0(VALU_DEP_4) | instskip(NEXT) | instid1(VALU_DEP_4)
	v_fma_f64 v[4:5], v[4:5], v[26:27], v[14:15]
	v_fma_f64 v[2:3], v[2:3], v[26:27], -v[20:21]
	s_delay_alu instid0(VALU_DEP_4) | instskip(NEXT) | instid1(VALU_DEP_4)
	v_add_f64 v[6:7], v[10:11], v[6:7]
	v_add_f64 v[8:9], v[12:13], v[8:9]
	s_delay_alu instid0(VALU_DEP_2) | instskip(NEXT) | instid1(VALU_DEP_2)
	v_add_f64 v[2:3], v[6:7], v[2:3]
	v_add_f64 v[4:5], v[8:9], v[4:5]
	s_waitcnt vmcnt(0)
	s_delay_alu instid0(VALU_DEP_2) | instskip(NEXT) | instid1(VALU_DEP_2)
	v_add_f64 v[2:3], v[34:35], -v[2:3]
	v_add_f64 v[4:5], v[36:37], -v[4:5]
	scratch_store_b128 off, v[2:5], off offset:864
	v_cmpx_lt_u32_e32 53, v174
	s_cbranch_execz .LBB125_291
; %bb.290:
	scratch_load_b32 v2, off, off offset:1020 ; 4-byte Folded Reload
	v_mov_b32_e32 v3, v1
	v_mov_b32_e32 v4, v1
	s_waitcnt vmcnt(0)
	scratch_load_b128 v[5:8], v2, off
	v_mov_b32_e32 v2, v1
	scratch_store_b128 off, v[1:4], off offset:848
	s_waitcnt vmcnt(0)
	ds_store_b128 v255, v[5:8]
.LBB125_291:
	s_or_b32 exec_lo, exec_lo, s2
	s_waitcnt lgkmcnt(0)
	s_waitcnt_vscnt null, 0x0
	s_barrier
	buffer_gl0_inv
	s_clause 0x7
	scratch_load_b128 v[2:5], off, off offset:864
	scratch_load_b128 v[6:9], off, off offset:880
	;; [unrolled: 1-line block ×8, first 2 shown]
	ds_load_b128 v[34:37], v1 offset:1856
	ds_load_b128 v[38:41], v1 offset:1872
	s_mov_b32 s2, exec_lo
	s_waitcnt vmcnt(7) lgkmcnt(1)
	v_mul_f64 v[42:43], v[36:37], v[4:5]
	v_mul_f64 v[4:5], v[34:35], v[4:5]
	s_waitcnt vmcnt(6) lgkmcnt(0)
	v_mul_f64 v[44:45], v[38:39], v[8:9]
	v_mul_f64 v[8:9], v[40:41], v[8:9]
	s_delay_alu instid0(VALU_DEP_4) | instskip(NEXT) | instid1(VALU_DEP_4)
	v_fma_f64 v[42:43], v[34:35], v[2:3], -v[42:43]
	v_fma_f64 v[46:47], v[36:37], v[2:3], v[4:5]
	ds_load_b128 v[2:5], v1 offset:1888
	scratch_load_b128 v[34:37], off, off offset:848
	v_fma_f64 v[40:41], v[40:41], v[6:7], v[44:45]
	v_fma_f64 v[38:39], v[38:39], v[6:7], -v[8:9]
	ds_load_b128 v[6:9], v1 offset:1904
	s_waitcnt vmcnt(6) lgkmcnt(1)
	v_mul_f64 v[48:49], v[2:3], v[12:13]
	v_mul_f64 v[12:13], v[4:5], v[12:13]
	v_add_f64 v[42:43], v[42:43], 0
	v_add_f64 v[44:45], v[46:47], 0
	s_waitcnt vmcnt(5) lgkmcnt(0)
	v_mul_f64 v[46:47], v[6:7], v[16:17]
	v_mul_f64 v[16:17], v[8:9], v[16:17]
	v_fma_f64 v[48:49], v[4:5], v[10:11], v[48:49]
	v_fma_f64 v[10:11], v[2:3], v[10:11], -v[12:13]
	ds_load_b128 v[2:5], v1 offset:1920
	v_add_f64 v[12:13], v[42:43], v[38:39]
	v_add_f64 v[38:39], v[44:45], v[40:41]
	v_fma_f64 v[42:43], v[8:9], v[14:15], v[46:47]
	v_fma_f64 v[14:15], v[6:7], v[14:15], -v[16:17]
	ds_load_b128 v[6:9], v1 offset:1936
	s_waitcnt vmcnt(4) lgkmcnt(1)
	v_mul_f64 v[40:41], v[2:3], v[20:21]
	v_mul_f64 v[20:21], v[4:5], v[20:21]
	s_waitcnt vmcnt(3) lgkmcnt(0)
	v_mul_f64 v[16:17], v[6:7], v[24:25]
	v_mul_f64 v[24:25], v[8:9], v[24:25]
	v_add_f64 v[10:11], v[12:13], v[10:11]
	v_add_f64 v[12:13], v[38:39], v[48:49]
	v_fma_f64 v[38:39], v[4:5], v[18:19], v[40:41]
	v_fma_f64 v[18:19], v[2:3], v[18:19], -v[20:21]
	ds_load_b128 v[2:5], v1 offset:1952
	v_fma_f64 v[16:17], v[8:9], v[22:23], v[16:17]
	v_fma_f64 v[22:23], v[6:7], v[22:23], -v[24:25]
	ds_load_b128 v[6:9], v1 offset:1968
	s_waitcnt vmcnt(2) lgkmcnt(1)
	v_mul_f64 v[20:21], v[4:5], v[28:29]
	v_add_f64 v[10:11], v[10:11], v[14:15]
	v_add_f64 v[12:13], v[12:13], v[42:43]
	v_mul_f64 v[14:15], v[2:3], v[28:29]
	s_waitcnt vmcnt(1) lgkmcnt(0)
	v_mul_f64 v[24:25], v[8:9], v[32:33]
	v_fma_f64 v[1:2], v[2:3], v[26:27], -v[20:21]
	v_add_f64 v[10:11], v[10:11], v[18:19]
	v_add_f64 v[12:13], v[12:13], v[38:39]
	v_mul_f64 v[18:19], v[6:7], v[32:33]
	v_fma_f64 v[4:5], v[4:5], v[26:27], v[14:15]
	v_fma_f64 v[6:7], v[6:7], v[30:31], -v[24:25]
	v_add_f64 v[10:11], v[10:11], v[22:23]
	v_add_f64 v[12:13], v[12:13], v[16:17]
	v_fma_f64 v[8:9], v[8:9], v[30:31], v[18:19]
	s_delay_alu instid0(VALU_DEP_3) | instskip(NEXT) | instid1(VALU_DEP_3)
	v_add_f64 v[1:2], v[10:11], v[1:2]
	v_add_f64 v[3:4], v[12:13], v[4:5]
	s_delay_alu instid0(VALU_DEP_2) | instskip(NEXT) | instid1(VALU_DEP_2)
	v_add_f64 v[1:2], v[1:2], v[6:7]
	v_add_f64 v[3:4], v[3:4], v[8:9]
	s_waitcnt vmcnt(0)
	s_delay_alu instid0(VALU_DEP_2) | instskip(NEXT) | instid1(VALU_DEP_2)
	v_add_f64 v[1:2], v[34:35], -v[1:2]
	v_add_f64 v[3:4], v[36:37], -v[3:4]
	scratch_store_b128 off, v[1:4], off offset:848
	v_cmpx_lt_u32_e32 52, v174
	s_cbranch_execz .LBB125_293
; %bb.292:
	scratch_load_b32 v1, off, off offset:1024 ; 4-byte Folded Reload
	v_mov_b32_e32 v5, 0
	s_delay_alu instid0(VALU_DEP_1)
	v_mov_b32_e32 v6, v5
	v_mov_b32_e32 v7, v5
	;; [unrolled: 1-line block ×3, first 2 shown]
	s_waitcnt vmcnt(0)
	scratch_load_b128 v[1:4], v1, off
	scratch_store_b128 off, v[5:8], off offset:832
	s_waitcnt vmcnt(0)
	ds_store_b128 v255, v[1:4]
.LBB125_293:
	s_or_b32 exec_lo, exec_lo, s2
	s_waitcnt lgkmcnt(0)
	s_waitcnt_vscnt null, 0x0
	s_barrier
	buffer_gl0_inv
	s_clause 0x7
	scratch_load_b128 v[2:5], off, off offset:848
	scratch_load_b128 v[6:9], off, off offset:864
	scratch_load_b128 v[10:13], off, off offset:880
	scratch_load_b128 v[14:17], off, off offset:896
	scratch_load_b128 v[18:21], off, off offset:912
	scratch_load_b128 v[22:25], off, off offset:928
	scratch_load_b128 v[26:29], off, off offset:944
	scratch_load_b128 v[30:33], off, off offset:960
	v_mov_b32_e32 v1, 0
	scratch_load_b128 v[38:41], off, off offset:976
	s_mov_b32 s2, exec_lo
	ds_load_b128 v[34:37], v1 offset:1840
	ds_load_b128 v[42:45], v1 offset:1856
	s_waitcnt vmcnt(8) lgkmcnt(1)
	v_mul_f64 v[46:47], v[36:37], v[4:5]
	v_mul_f64 v[4:5], v[34:35], v[4:5]
	s_waitcnt vmcnt(7) lgkmcnt(0)
	v_mul_f64 v[48:49], v[42:43], v[8:9]
	v_mul_f64 v[8:9], v[44:45], v[8:9]
	s_delay_alu instid0(VALU_DEP_4) | instskip(NEXT) | instid1(VALU_DEP_4)
	v_fma_f64 v[34:35], v[34:35], v[2:3], -v[46:47]
	v_fma_f64 v[36:37], v[36:37], v[2:3], v[4:5]
	ds_load_b128 v[2:5], v1 offset:1872
	v_fma_f64 v[44:45], v[44:45], v[6:7], v[48:49]
	v_fma_f64 v[42:43], v[42:43], v[6:7], -v[8:9]
	ds_load_b128 v[6:9], v1 offset:1888
	s_waitcnt vmcnt(6) lgkmcnt(1)
	v_mul_f64 v[46:47], v[2:3], v[12:13]
	v_mul_f64 v[12:13], v[4:5], v[12:13]
	s_waitcnt vmcnt(5) lgkmcnt(0)
	v_mul_f64 v[54:55], v[6:7], v[16:17]
	v_mul_f64 v[16:17], v[8:9], v[16:17]
	v_add_f64 v[48:49], v[34:35], 0
	v_add_f64 v[52:53], v[36:37], 0
	scratch_load_b128 v[34:37], off, off offset:832
	v_fma_f64 v[46:47], v[4:5], v[10:11], v[46:47]
	v_fma_f64 v[10:11], v[2:3], v[10:11], -v[12:13]
	ds_load_b128 v[2:5], v1 offset:1904
	v_add_f64 v[12:13], v[48:49], v[42:43]
	v_add_f64 v[42:43], v[52:53], v[44:45]
	v_fma_f64 v[48:49], v[8:9], v[14:15], v[54:55]
	v_fma_f64 v[14:15], v[6:7], v[14:15], -v[16:17]
	ds_load_b128 v[6:9], v1 offset:1920
	s_waitcnt vmcnt(5) lgkmcnt(1)
	v_mul_f64 v[44:45], v[2:3], v[20:21]
	v_mul_f64 v[20:21], v[4:5], v[20:21]
	s_waitcnt vmcnt(4) lgkmcnt(0)
	v_mul_f64 v[16:17], v[6:7], v[24:25]
	v_mul_f64 v[24:25], v[8:9], v[24:25]
	v_add_f64 v[10:11], v[12:13], v[10:11]
	v_add_f64 v[12:13], v[42:43], v[46:47]
	v_fma_f64 v[42:43], v[4:5], v[18:19], v[44:45]
	v_fma_f64 v[18:19], v[2:3], v[18:19], -v[20:21]
	ds_load_b128 v[2:5], v1 offset:1936
	v_fma_f64 v[16:17], v[8:9], v[22:23], v[16:17]
	v_fma_f64 v[22:23], v[6:7], v[22:23], -v[24:25]
	ds_load_b128 v[6:9], v1 offset:1952
	s_waitcnt vmcnt(3) lgkmcnt(1)
	v_mul_f64 v[20:21], v[4:5], v[28:29]
	v_add_f64 v[10:11], v[10:11], v[14:15]
	v_add_f64 v[12:13], v[12:13], v[48:49]
	v_mul_f64 v[14:15], v[2:3], v[28:29]
	s_waitcnt vmcnt(2) lgkmcnt(0)
	v_mul_f64 v[24:25], v[8:9], v[32:33]
	v_fma_f64 v[20:21], v[2:3], v[26:27], -v[20:21]
	v_add_f64 v[10:11], v[10:11], v[18:19]
	v_add_f64 v[12:13], v[12:13], v[42:43]
	v_mul_f64 v[18:19], v[6:7], v[32:33]
	v_fma_f64 v[14:15], v[4:5], v[26:27], v[14:15]
	ds_load_b128 v[2:5], v1 offset:1968
	v_fma_f64 v[6:7], v[6:7], v[30:31], -v[24:25]
	v_add_f64 v[10:11], v[10:11], v[22:23]
	v_add_f64 v[12:13], v[12:13], v[16:17]
	s_waitcnt vmcnt(1) lgkmcnt(0)
	v_mul_f64 v[16:17], v[2:3], v[40:41]
	v_mul_f64 v[22:23], v[4:5], v[40:41]
	v_fma_f64 v[8:9], v[8:9], v[30:31], v[18:19]
	v_add_f64 v[10:11], v[10:11], v[20:21]
	v_add_f64 v[12:13], v[12:13], v[14:15]
	v_fma_f64 v[4:5], v[4:5], v[38:39], v[16:17]
	v_fma_f64 v[2:3], v[2:3], v[38:39], -v[22:23]
	s_delay_alu instid0(VALU_DEP_4) | instskip(NEXT) | instid1(VALU_DEP_4)
	v_add_f64 v[6:7], v[10:11], v[6:7]
	v_add_f64 v[8:9], v[12:13], v[8:9]
	s_delay_alu instid0(VALU_DEP_2) | instskip(NEXT) | instid1(VALU_DEP_2)
	v_add_f64 v[2:3], v[6:7], v[2:3]
	v_add_f64 v[4:5], v[8:9], v[4:5]
	s_waitcnt vmcnt(0)
	s_delay_alu instid0(VALU_DEP_2) | instskip(NEXT) | instid1(VALU_DEP_2)
	v_add_f64 v[2:3], v[34:35], -v[2:3]
	v_add_f64 v[4:5], v[36:37], -v[4:5]
	scratch_store_b128 off, v[2:5], off offset:832
	v_cmpx_lt_u32_e32 51, v174
	s_cbranch_execz .LBB125_295
; %bb.294:
	scratch_load_b32 v2, off, off offset:1028 ; 4-byte Folded Reload
	v_mov_b32_e32 v3, v1
	v_mov_b32_e32 v4, v1
	s_waitcnt vmcnt(0)
	scratch_load_b128 v[5:8], v2, off
	v_mov_b32_e32 v2, v1
	scratch_store_b128 off, v[1:4], off offset:816
	s_waitcnt vmcnt(0)
	ds_store_b128 v255, v[5:8]
.LBB125_295:
	s_or_b32 exec_lo, exec_lo, s2
	s_waitcnt lgkmcnt(0)
	s_waitcnt_vscnt null, 0x0
	s_barrier
	buffer_gl0_inv
	s_clause 0x8
	scratch_load_b128 v[2:5], off, off offset:832
	scratch_load_b128 v[6:9], off, off offset:848
	;; [unrolled: 1-line block ×9, first 2 shown]
	ds_load_b128 v[38:41], v1 offset:1824
	ds_load_b128 v[42:45], v1 offset:1840
	s_clause 0x1
	scratch_load_b128 v[46:49], off, off offset:816
	scratch_load_b128 v[185:188], off, off offset:976
	s_mov_b32 s2, exec_lo
	s_waitcnt vmcnt(10) lgkmcnt(1)
	v_mul_f64 v[52:53], v[40:41], v[4:5]
	v_mul_f64 v[4:5], v[38:39], v[4:5]
	s_waitcnt vmcnt(9) lgkmcnt(0)
	v_mul_f64 v[54:55], v[42:43], v[8:9]
	v_mul_f64 v[8:9], v[44:45], v[8:9]
	s_delay_alu instid0(VALU_DEP_4) | instskip(NEXT) | instid1(VALU_DEP_4)
	v_fma_f64 v[52:53], v[38:39], v[2:3], -v[52:53]
	v_fma_f64 v[56:57], v[40:41], v[2:3], v[4:5]
	ds_load_b128 v[2:5], v1 offset:1856
	ds_load_b128 v[38:41], v1 offset:1872
	v_fma_f64 v[44:45], v[44:45], v[6:7], v[54:55]
	v_fma_f64 v[6:7], v[42:43], v[6:7], -v[8:9]
	s_waitcnt vmcnt(8) lgkmcnt(1)
	v_mul_f64 v[58:59], v[2:3], v[12:13]
	v_mul_f64 v[12:13], v[4:5], v[12:13]
	v_add_f64 v[8:9], v[52:53], 0
	v_add_f64 v[42:43], v[56:57], 0
	s_waitcnt vmcnt(7) lgkmcnt(0)
	v_mul_f64 v[52:53], v[38:39], v[16:17]
	v_mul_f64 v[16:17], v[40:41], v[16:17]
	v_fma_f64 v[54:55], v[4:5], v[10:11], v[58:59]
	v_fma_f64 v[10:11], v[2:3], v[10:11], -v[12:13]
	v_add_f64 v[12:13], v[8:9], v[6:7]
	v_add_f64 v[42:43], v[42:43], v[44:45]
	ds_load_b128 v[2:5], v1 offset:1888
	ds_load_b128 v[6:9], v1 offset:1904
	v_fma_f64 v[40:41], v[40:41], v[14:15], v[52:53]
	v_fma_f64 v[14:15], v[38:39], v[14:15], -v[16:17]
	s_waitcnt vmcnt(6) lgkmcnt(1)
	v_mul_f64 v[44:45], v[2:3], v[20:21]
	v_mul_f64 v[20:21], v[4:5], v[20:21]
	s_waitcnt vmcnt(5) lgkmcnt(0)
	v_mul_f64 v[16:17], v[6:7], v[24:25]
	v_mul_f64 v[24:25], v[8:9], v[24:25]
	v_add_f64 v[10:11], v[12:13], v[10:11]
	v_add_f64 v[12:13], v[42:43], v[54:55]
	v_fma_f64 v[38:39], v[4:5], v[18:19], v[44:45]
	v_fma_f64 v[18:19], v[2:3], v[18:19], -v[20:21]
	v_fma_f64 v[8:9], v[8:9], v[22:23], v[16:17]
	v_fma_f64 v[6:7], v[6:7], v[22:23], -v[24:25]
	v_add_f64 v[14:15], v[10:11], v[14:15]
	v_add_f64 v[20:21], v[12:13], v[40:41]
	ds_load_b128 v[2:5], v1 offset:1920
	ds_load_b128 v[10:13], v1 offset:1936
	s_waitcnt vmcnt(4) lgkmcnt(1)
	v_mul_f64 v[40:41], v[2:3], v[28:29]
	v_mul_f64 v[28:29], v[4:5], v[28:29]
	v_add_f64 v[14:15], v[14:15], v[18:19]
	v_add_f64 v[16:17], v[20:21], v[38:39]
	s_waitcnt vmcnt(3) lgkmcnt(0)
	v_mul_f64 v[18:19], v[10:11], v[32:33]
	v_mul_f64 v[20:21], v[12:13], v[32:33]
	v_fma_f64 v[22:23], v[4:5], v[26:27], v[40:41]
	v_fma_f64 v[24:25], v[2:3], v[26:27], -v[28:29]
	v_add_f64 v[14:15], v[14:15], v[6:7]
	v_add_f64 v[16:17], v[16:17], v[8:9]
	ds_load_b128 v[2:5], v1 offset:1952
	ds_load_b128 v[6:9], v1 offset:1968
	v_fma_f64 v[12:13], v[12:13], v[30:31], v[18:19]
	v_fma_f64 v[10:11], v[10:11], v[30:31], -v[20:21]
	s_waitcnt vmcnt(2) lgkmcnt(1)
	v_mul_f64 v[26:27], v[2:3], v[36:37]
	v_mul_f64 v[28:29], v[4:5], v[36:37]
	s_waitcnt vmcnt(0) lgkmcnt(0)
	v_mul_f64 v[18:19], v[6:7], v[187:188]
	v_mul_f64 v[20:21], v[8:9], v[187:188]
	v_add_f64 v[14:15], v[14:15], v[24:25]
	v_add_f64 v[16:17], v[16:17], v[22:23]
	v_fma_f64 v[4:5], v[4:5], v[34:35], v[26:27]
	v_fma_f64 v[1:2], v[2:3], v[34:35], -v[28:29]
	v_fma_f64 v[8:9], v[8:9], v[185:186], v[18:19]
	v_fma_f64 v[6:7], v[6:7], v[185:186], -v[20:21]
	v_add_f64 v[10:11], v[14:15], v[10:11]
	v_add_f64 v[12:13], v[16:17], v[12:13]
	s_delay_alu instid0(VALU_DEP_2) | instskip(NEXT) | instid1(VALU_DEP_2)
	v_add_f64 v[1:2], v[10:11], v[1:2]
	v_add_f64 v[3:4], v[12:13], v[4:5]
	s_delay_alu instid0(VALU_DEP_2) | instskip(NEXT) | instid1(VALU_DEP_2)
	;; [unrolled: 3-line block ×3, first 2 shown]
	v_add_f64 v[1:2], v[46:47], -v[1:2]
	v_add_f64 v[3:4], v[48:49], -v[3:4]
	scratch_store_b128 off, v[1:4], off offset:816
	v_cmpx_lt_u32_e32 50, v174
	s_cbranch_execz .LBB125_297
; %bb.296:
	scratch_load_b32 v1, off, off offset:1032 ; 4-byte Folded Reload
	v_mov_b32_e32 v5, 0
	s_delay_alu instid0(VALU_DEP_1)
	v_mov_b32_e32 v6, v5
	v_mov_b32_e32 v7, v5
	;; [unrolled: 1-line block ×3, first 2 shown]
	s_waitcnt vmcnt(0)
	scratch_load_b128 v[1:4], v1, off
	scratch_store_b128 off, v[5:8], off offset:800
	s_waitcnt vmcnt(0)
	ds_store_b128 v255, v[1:4]
.LBB125_297:
	s_or_b32 exec_lo, exec_lo, s2
	s_waitcnt lgkmcnt(0)
	s_waitcnt_vscnt null, 0x0
	s_barrier
	buffer_gl0_inv
	s_clause 0x7
	scratch_load_b128 v[2:5], off, off offset:816
	scratch_load_b128 v[6:9], off, off offset:832
	;; [unrolled: 1-line block ×8, first 2 shown]
	v_mov_b32_e32 v1, 0
	s_mov_b32 s2, exec_lo
	ds_load_b128 v[34:37], v1 offset:1808
	s_clause 0x1
	scratch_load_b128 v[38:41], off, off offset:944
	scratch_load_b128 v[42:45], off, off offset:800
	ds_load_b128 v[46:49], v1 offset:1824
	scratch_load_b128 v[185:188], off, off offset:960
	ds_load_b128 v[189:192], v1 offset:1856
	s_waitcnt vmcnt(10) lgkmcnt(2)
	v_mul_f64 v[52:53], v[36:37], v[4:5]
	v_mul_f64 v[4:5], v[34:35], v[4:5]
	s_delay_alu instid0(VALU_DEP_2) | instskip(NEXT) | instid1(VALU_DEP_2)
	v_fma_f64 v[52:53], v[34:35], v[2:3], -v[52:53]
	v_fma_f64 v[56:57], v[36:37], v[2:3], v[4:5]
	scratch_load_b128 v[34:37], off, off offset:976
	ds_load_b128 v[2:5], v1 offset:1840
	s_waitcnt vmcnt(10) lgkmcnt(2)
	v_mul_f64 v[54:55], v[46:47], v[8:9]
	v_mul_f64 v[8:9], v[48:49], v[8:9]
	s_waitcnt vmcnt(9) lgkmcnt(0)
	v_mul_f64 v[58:59], v[2:3], v[12:13]
	v_mul_f64 v[12:13], v[4:5], v[12:13]
	s_delay_alu instid0(VALU_DEP_4) | instskip(NEXT) | instid1(VALU_DEP_4)
	v_fma_f64 v[48:49], v[48:49], v[6:7], v[54:55]
	v_fma_f64 v[6:7], v[46:47], v[6:7], -v[8:9]
	v_add_f64 v[8:9], v[52:53], 0
	v_add_f64 v[46:47], v[56:57], 0
	s_waitcnt vmcnt(8)
	v_mul_f64 v[52:53], v[189:190], v[16:17]
	v_mul_f64 v[16:17], v[191:192], v[16:17]
	v_fma_f64 v[54:55], v[4:5], v[10:11], v[58:59]
	v_fma_f64 v[10:11], v[2:3], v[10:11], -v[12:13]
	v_add_f64 v[12:13], v[8:9], v[6:7]
	v_add_f64 v[46:47], v[46:47], v[48:49]
	ds_load_b128 v[2:5], v1 offset:1872
	ds_load_b128 v[6:9], v1 offset:1888
	v_fma_f64 v[52:53], v[191:192], v[14:15], v[52:53]
	v_fma_f64 v[14:15], v[189:190], v[14:15], -v[16:17]
	s_waitcnt vmcnt(7) lgkmcnt(1)
	v_mul_f64 v[48:49], v[2:3], v[20:21]
	v_mul_f64 v[20:21], v[4:5], v[20:21]
	s_waitcnt vmcnt(6) lgkmcnt(0)
	v_mul_f64 v[16:17], v[6:7], v[24:25]
	v_mul_f64 v[24:25], v[8:9], v[24:25]
	v_add_f64 v[10:11], v[12:13], v[10:11]
	v_add_f64 v[12:13], v[46:47], v[54:55]
	v_fma_f64 v[46:47], v[4:5], v[18:19], v[48:49]
	v_fma_f64 v[18:19], v[2:3], v[18:19], -v[20:21]
	v_fma_f64 v[8:9], v[8:9], v[22:23], v[16:17]
	v_fma_f64 v[6:7], v[6:7], v[22:23], -v[24:25]
	v_add_f64 v[14:15], v[10:11], v[14:15]
	v_add_f64 v[20:21], v[12:13], v[52:53]
	ds_load_b128 v[2:5], v1 offset:1904
	ds_load_b128 v[10:13], v1 offset:1920
	s_waitcnt vmcnt(5) lgkmcnt(1)
	v_mul_f64 v[48:49], v[2:3], v[28:29]
	v_mul_f64 v[28:29], v[4:5], v[28:29]
	v_add_f64 v[14:15], v[14:15], v[18:19]
	v_add_f64 v[16:17], v[20:21], v[46:47]
	s_waitcnt vmcnt(4) lgkmcnt(0)
	v_mul_f64 v[18:19], v[10:11], v[32:33]
	v_mul_f64 v[20:21], v[12:13], v[32:33]
	v_fma_f64 v[22:23], v[4:5], v[26:27], v[48:49]
	v_fma_f64 v[24:25], v[2:3], v[26:27], -v[28:29]
	v_add_f64 v[14:15], v[14:15], v[6:7]
	v_add_f64 v[16:17], v[16:17], v[8:9]
	ds_load_b128 v[2:5], v1 offset:1936
	ds_load_b128 v[6:9], v1 offset:1952
	v_fma_f64 v[12:13], v[12:13], v[30:31], v[18:19]
	v_fma_f64 v[10:11], v[10:11], v[30:31], -v[20:21]
	s_waitcnt vmcnt(3) lgkmcnt(1)
	v_mul_f64 v[26:27], v[2:3], v[40:41]
	v_mul_f64 v[28:29], v[4:5], v[40:41]
	s_waitcnt vmcnt(1) lgkmcnt(0)
	v_mul_f64 v[18:19], v[6:7], v[187:188]
	v_mul_f64 v[20:21], v[8:9], v[187:188]
	v_add_f64 v[14:15], v[14:15], v[24:25]
	v_add_f64 v[16:17], v[16:17], v[22:23]
	v_fma_f64 v[22:23], v[4:5], v[38:39], v[26:27]
	v_fma_f64 v[24:25], v[2:3], v[38:39], -v[28:29]
	ds_load_b128 v[2:5], v1 offset:1968
	v_fma_f64 v[8:9], v[8:9], v[185:186], v[18:19]
	v_fma_f64 v[6:7], v[6:7], v[185:186], -v[20:21]
	v_add_f64 v[10:11], v[14:15], v[10:11]
	v_add_f64 v[12:13], v[16:17], v[12:13]
	s_waitcnt vmcnt(0) lgkmcnt(0)
	v_mul_f64 v[14:15], v[2:3], v[36:37]
	v_mul_f64 v[16:17], v[4:5], v[36:37]
	s_delay_alu instid0(VALU_DEP_4) | instskip(NEXT) | instid1(VALU_DEP_4)
	v_add_f64 v[10:11], v[10:11], v[24:25]
	v_add_f64 v[12:13], v[12:13], v[22:23]
	s_delay_alu instid0(VALU_DEP_4) | instskip(NEXT) | instid1(VALU_DEP_4)
	v_fma_f64 v[4:5], v[4:5], v[34:35], v[14:15]
	v_fma_f64 v[2:3], v[2:3], v[34:35], -v[16:17]
	s_delay_alu instid0(VALU_DEP_4) | instskip(NEXT) | instid1(VALU_DEP_4)
	v_add_f64 v[6:7], v[10:11], v[6:7]
	v_add_f64 v[8:9], v[12:13], v[8:9]
	s_delay_alu instid0(VALU_DEP_2) | instskip(NEXT) | instid1(VALU_DEP_2)
	v_add_f64 v[2:3], v[6:7], v[2:3]
	v_add_f64 v[4:5], v[8:9], v[4:5]
	s_delay_alu instid0(VALU_DEP_2) | instskip(NEXT) | instid1(VALU_DEP_2)
	v_add_f64 v[2:3], v[42:43], -v[2:3]
	v_add_f64 v[4:5], v[44:45], -v[4:5]
	scratch_store_b128 off, v[2:5], off offset:800
	v_cmpx_lt_u32_e32 49, v174
	s_cbranch_execz .LBB125_299
; %bb.298:
	scratch_load_b32 v2, off, off offset:1036 ; 4-byte Folded Reload
	v_mov_b32_e32 v3, v1
	v_mov_b32_e32 v4, v1
	s_waitcnt vmcnt(0)
	scratch_load_b128 v[5:8], v2, off
	v_mov_b32_e32 v2, v1
	scratch_store_b128 off, v[1:4], off offset:784
	s_waitcnt vmcnt(0)
	ds_store_b128 v255, v[5:8]
.LBB125_299:
	s_or_b32 exec_lo, exec_lo, s2
	s_waitcnt lgkmcnt(0)
	s_waitcnt_vscnt null, 0x0
	s_barrier
	buffer_gl0_inv
	s_clause 0x8
	scratch_load_b128 v[2:5], off, off offset:800
	scratch_load_b128 v[6:9], off, off offset:816
	;; [unrolled: 1-line block ×9, first 2 shown]
	ds_load_b128 v[38:41], v1 offset:1792
	ds_load_b128 v[42:45], v1 offset:1808
	s_clause 0x1
	scratch_load_b128 v[46:49], off, off offset:784
	scratch_load_b128 v[185:188], off, off offset:944
	s_mov_b32 s2, exec_lo
	ds_load_b128 v[189:192], v1 offset:1840
	s_waitcnt vmcnt(10) lgkmcnt(2)
	v_mul_f64 v[52:53], v[40:41], v[4:5]
	v_mul_f64 v[4:5], v[38:39], v[4:5]
	s_waitcnt vmcnt(9) lgkmcnt(1)
	v_mul_f64 v[54:55], v[42:43], v[8:9]
	v_mul_f64 v[8:9], v[44:45], v[8:9]
	s_delay_alu instid0(VALU_DEP_4) | instskip(NEXT) | instid1(VALU_DEP_4)
	v_fma_f64 v[52:53], v[38:39], v[2:3], -v[52:53]
	v_fma_f64 v[56:57], v[40:41], v[2:3], v[4:5]
	ds_load_b128 v[2:5], v1 offset:1824
	scratch_load_b128 v[38:41], off, off offset:960
	v_fma_f64 v[44:45], v[44:45], v[6:7], v[54:55]
	v_fma_f64 v[42:43], v[42:43], v[6:7], -v[8:9]
	scratch_load_b128 v[6:9], off, off offset:976
	s_waitcnt vmcnt(10) lgkmcnt(0)
	v_mul_f64 v[58:59], v[2:3], v[12:13]
	v_mul_f64 v[12:13], v[4:5], v[12:13]
	v_add_f64 v[52:53], v[52:53], 0
	v_add_f64 v[54:55], v[56:57], 0
	s_waitcnt vmcnt(9)
	v_mul_f64 v[56:57], v[189:190], v[16:17]
	v_mul_f64 v[16:17], v[191:192], v[16:17]
	v_fma_f64 v[58:59], v[4:5], v[10:11], v[58:59]
	v_fma_f64 v[60:61], v[2:3], v[10:11], -v[12:13]
	ds_load_b128 v[2:5], v1 offset:1856
	ds_load_b128 v[10:13], v1 offset:1872
	v_add_f64 v[42:43], v[52:53], v[42:43]
	v_add_f64 v[44:45], v[54:55], v[44:45]
	v_fma_f64 v[54:55], v[191:192], v[14:15], v[56:57]
	v_fma_f64 v[14:15], v[189:190], v[14:15], -v[16:17]
	s_waitcnt vmcnt(8) lgkmcnt(1)
	v_mul_f64 v[52:53], v[2:3], v[20:21]
	v_mul_f64 v[20:21], v[4:5], v[20:21]
	v_add_f64 v[16:17], v[42:43], v[60:61]
	v_add_f64 v[42:43], v[44:45], v[58:59]
	s_waitcnt vmcnt(7) lgkmcnt(0)
	v_mul_f64 v[44:45], v[10:11], v[24:25]
	v_mul_f64 v[24:25], v[12:13], v[24:25]
	v_fma_f64 v[52:53], v[4:5], v[18:19], v[52:53]
	v_fma_f64 v[18:19], v[2:3], v[18:19], -v[20:21]
	v_add_f64 v[20:21], v[16:17], v[14:15]
	v_add_f64 v[42:43], v[42:43], v[54:55]
	ds_load_b128 v[2:5], v1 offset:1888
	ds_load_b128 v[14:17], v1 offset:1904
	v_fma_f64 v[12:13], v[12:13], v[22:23], v[44:45]
	v_fma_f64 v[10:11], v[10:11], v[22:23], -v[24:25]
	s_waitcnt vmcnt(6) lgkmcnt(1)
	v_mul_f64 v[54:55], v[2:3], v[28:29]
	v_mul_f64 v[28:29], v[4:5], v[28:29]
	s_waitcnt vmcnt(5) lgkmcnt(0)
	v_mul_f64 v[22:23], v[14:15], v[32:33]
	v_mul_f64 v[24:25], v[16:17], v[32:33]
	v_add_f64 v[18:19], v[20:21], v[18:19]
	v_add_f64 v[20:21], v[42:43], v[52:53]
	v_fma_f64 v[32:33], v[4:5], v[26:27], v[54:55]
	v_fma_f64 v[26:27], v[2:3], v[26:27], -v[28:29]
	v_fma_f64 v[16:17], v[16:17], v[30:31], v[22:23]
	v_fma_f64 v[14:15], v[14:15], v[30:31], -v[24:25]
	v_add_f64 v[18:19], v[18:19], v[10:11]
	v_add_f64 v[20:21], v[20:21], v[12:13]
	ds_load_b128 v[2:5], v1 offset:1920
	ds_load_b128 v[10:13], v1 offset:1936
	s_waitcnt vmcnt(4) lgkmcnt(1)
	v_mul_f64 v[28:29], v[2:3], v[36:37]
	v_mul_f64 v[36:37], v[4:5], v[36:37]
	s_waitcnt vmcnt(2) lgkmcnt(0)
	v_mul_f64 v[22:23], v[10:11], v[187:188]
	v_mul_f64 v[24:25], v[12:13], v[187:188]
	v_add_f64 v[18:19], v[18:19], v[26:27]
	v_add_f64 v[20:21], v[20:21], v[32:33]
	v_fma_f64 v[26:27], v[4:5], v[34:35], v[28:29]
	v_fma_f64 v[28:29], v[2:3], v[34:35], -v[36:37]
	v_fma_f64 v[12:13], v[12:13], v[185:186], v[22:23]
	v_fma_f64 v[10:11], v[10:11], v[185:186], -v[24:25]
	v_add_f64 v[18:19], v[18:19], v[14:15]
	v_add_f64 v[20:21], v[20:21], v[16:17]
	ds_load_b128 v[2:5], v1 offset:1952
	ds_load_b128 v[14:17], v1 offset:1968
	s_waitcnt vmcnt(1) lgkmcnt(1)
	v_mul_f64 v[30:31], v[2:3], v[40:41]
	v_mul_f64 v[32:33], v[4:5], v[40:41]
	s_waitcnt vmcnt(0) lgkmcnt(0)
	v_mul_f64 v[22:23], v[14:15], v[8:9]
	v_mul_f64 v[8:9], v[16:17], v[8:9]
	v_add_f64 v[18:19], v[18:19], v[28:29]
	v_add_f64 v[20:21], v[20:21], v[26:27]
	v_fma_f64 v[4:5], v[4:5], v[38:39], v[30:31]
	v_fma_f64 v[1:2], v[2:3], v[38:39], -v[32:33]
	v_fma_f64 v[16:17], v[16:17], v[6:7], v[22:23]
	v_fma_f64 v[6:7], v[14:15], v[6:7], -v[8:9]
	v_add_f64 v[10:11], v[18:19], v[10:11]
	v_add_f64 v[12:13], v[20:21], v[12:13]
	s_delay_alu instid0(VALU_DEP_2) | instskip(NEXT) | instid1(VALU_DEP_2)
	v_add_f64 v[1:2], v[10:11], v[1:2]
	v_add_f64 v[3:4], v[12:13], v[4:5]
	s_delay_alu instid0(VALU_DEP_2) | instskip(NEXT) | instid1(VALU_DEP_2)
	;; [unrolled: 3-line block ×3, first 2 shown]
	v_add_f64 v[1:2], v[46:47], -v[1:2]
	v_add_f64 v[3:4], v[48:49], -v[3:4]
	scratch_store_b128 off, v[1:4], off offset:784
	v_cmpx_lt_u32_e32 48, v174
	s_cbranch_execz .LBB125_301
; %bb.300:
	scratch_load_b32 v1, off, off offset:1040 ; 4-byte Folded Reload
	v_mov_b32_e32 v5, 0
	s_delay_alu instid0(VALU_DEP_1)
	v_mov_b32_e32 v6, v5
	v_mov_b32_e32 v7, v5
	;; [unrolled: 1-line block ×3, first 2 shown]
	s_waitcnt vmcnt(0)
	scratch_load_b128 v[1:4], v1, off
	scratch_store_b128 off, v[5:8], off offset:768
	s_waitcnt vmcnt(0)
	ds_store_b128 v255, v[1:4]
.LBB125_301:
	s_or_b32 exec_lo, exec_lo, s2
	s_waitcnt lgkmcnt(0)
	s_waitcnt_vscnt null, 0x0
	s_barrier
	buffer_gl0_inv
	s_clause 0x4
	scratch_load_b128 v[2:5], off, off offset:784
	scratch_load_b128 v[6:9], off, off offset:800
	;; [unrolled: 1-line block ×5, first 2 shown]
	v_mov_b32_e32 v1, 0
	scratch_load_b128 v[26:29], off, off offset:768
	s_mov_b32 s2, exec_lo
	ds_load_b128 v[22:25], v1 offset:1776
	ds_load_b128 v[30:33], v1 offset:1792
	s_waitcnt vmcnt(5) lgkmcnt(1)
	v_mul_f64 v[34:35], v[24:25], v[4:5]
	v_mul_f64 v[4:5], v[22:23], v[4:5]
	s_waitcnt vmcnt(4) lgkmcnt(0)
	v_mul_f64 v[36:37], v[30:31], v[8:9]
	v_mul_f64 v[8:9], v[32:33], v[8:9]
	s_delay_alu instid0(VALU_DEP_4) | instskip(NEXT) | instid1(VALU_DEP_4)
	v_fma_f64 v[22:23], v[22:23], v[2:3], -v[34:35]
	v_fma_f64 v[24:25], v[24:25], v[2:3], v[4:5]
	ds_load_b128 v[2:5], v1 offset:1808
	v_fma_f64 v[32:33], v[32:33], v[6:7], v[36:37]
	v_fma_f64 v[30:31], v[30:31], v[6:7], -v[8:9]
	ds_load_b128 v[6:9], v1 offset:1824
	s_waitcnt vmcnt(3) lgkmcnt(1)
	v_mul_f64 v[34:35], v[2:3], v[12:13]
	v_mul_f64 v[12:13], v[4:5], v[12:13]
	s_waitcnt vmcnt(2) lgkmcnt(0)
	v_mul_f64 v[36:37], v[6:7], v[16:17]
	s_delay_alu instid0(VALU_DEP_3) | instskip(NEXT) | instid1(VALU_DEP_3)
	v_fma_f64 v[34:35], v[4:5], v[10:11], v[34:35]
	v_fma_f64 v[38:39], v[2:3], v[10:11], -v[12:13]
	v_mul_f64 v[10:11], v[8:9], v[16:17]
	ds_load_b128 v[2:5], v1 offset:1840
	v_fma_f64 v[16:17], v[8:9], v[14:15], v[36:37]
	v_fma_f64 v[14:15], v[6:7], v[14:15], -v[10:11]
	ds_load_b128 v[6:9], v1 offset:1856
	s_waitcnt vmcnt(1) lgkmcnt(1)
	v_mul_f64 v[10:11], v[2:3], v[20:21]
	v_mul_f64 v[12:13], v[4:5], v[20:21]
	s_delay_alu instid0(VALU_DEP_2) | instskip(NEXT) | instid1(VALU_DEP_2)
	v_fma_f64 v[20:21], v[4:5], v[18:19], v[10:11]
	v_fma_f64 v[18:19], v[2:3], v[18:19], -v[12:13]
	s_clause 0x1
	scratch_load_b128 v[2:5], off, off offset:864
	scratch_load_b128 v[10:13], off, off offset:880
	s_waitcnt vmcnt(1) lgkmcnt(0)
	v_mul_f64 v[36:37], v[6:7], v[4:5]
	v_mul_f64 v[4:5], v[8:9], v[4:5]
	s_delay_alu instid0(VALU_DEP_2) | instskip(NEXT) | instid1(VALU_DEP_2)
	v_fma_f64 v[36:37], v[8:9], v[2:3], v[36:37]
	v_fma_f64 v[40:41], v[6:7], v[2:3], -v[4:5]
	ds_load_b128 v[2:5], v1 offset:1872
	ds_load_b128 v[6:9], v1 offset:1888
	s_waitcnt vmcnt(0) lgkmcnt(1)
	v_mul_f64 v[42:43], v[2:3], v[12:13]
	s_delay_alu instid0(VALU_DEP_1) | instskip(SKIP_1) | instid1(VALU_DEP_1)
	v_fma_f64 v[42:43], v[4:5], v[10:11], v[42:43]
	v_mul_f64 v[4:5], v[4:5], v[12:13]
	v_fma_f64 v[44:45], v[2:3], v[10:11], -v[4:5]
	s_clause 0x1
	scratch_load_b128 v[2:5], off, off offset:896
	scratch_load_b128 v[10:13], off, off offset:912
	s_waitcnt vmcnt(1) lgkmcnt(0)
	v_mul_f64 v[46:47], v[6:7], v[4:5]
	v_mul_f64 v[4:5], v[8:9], v[4:5]
	s_delay_alu instid0(VALU_DEP_2) | instskip(NEXT) | instid1(VALU_DEP_2)
	v_fma_f64 v[46:47], v[8:9], v[2:3], v[46:47]
	v_fma_f64 v[48:49], v[6:7], v[2:3], -v[4:5]
	ds_load_b128 v[2:5], v1 offset:1904
	ds_load_b128 v[6:9], v1 offset:1920
	s_waitcnt vmcnt(0) lgkmcnt(1)
	v_mul_f64 v[52:53], v[2:3], v[12:13]
	s_delay_alu instid0(VALU_DEP_1) | instskip(SKIP_1) | instid1(VALU_DEP_1)
	v_fma_f64 v[52:53], v[4:5], v[10:11], v[52:53]
	v_mul_f64 v[4:5], v[4:5], v[12:13]
	v_fma_f64 v[54:55], v[2:3], v[10:11], -v[4:5]
	v_add_f64 v[2:3], v[22:23], 0
	v_add_f64 v[4:5], v[24:25], 0
	s_delay_alu instid0(VALU_DEP_2) | instskip(NEXT) | instid1(VALU_DEP_2)
	v_add_f64 v[2:3], v[2:3], v[30:31]
	v_add_f64 v[4:5], v[4:5], v[32:33]
	s_delay_alu instid0(VALU_DEP_2) | instskip(NEXT) | instid1(VALU_DEP_2)
	v_add_f64 v[2:3], v[2:3], v[38:39]
	v_add_f64 v[10:11], v[4:5], v[34:35]
	s_delay_alu instid0(VALU_DEP_2)
	v_add_f64 v[12:13], v[2:3], v[14:15]
	scratch_load_b128 v[2:5], off, off offset:928
	v_add_f64 v[14:15], v[10:11], v[16:17]
	v_add_f64 v[16:17], v[12:13], v[18:19]
	scratch_load_b128 v[10:13], off, off offset:944
	v_add_f64 v[18:19], v[14:15], v[20:21]
	;; [unrolled: 3-line block ×4, first 2 shown]
	v_add_f64 v[24:25], v[24:25], v[48:49]
	s_delay_alu instid0(VALU_DEP_2) | instskip(NEXT) | instid1(VALU_DEP_2)
	v_add_f64 v[22:23], v[22:23], v[46:47]
	v_add_f64 v[24:25], v[24:25], v[54:55]
	s_delay_alu instid0(VALU_DEP_2) | instskip(SKIP_3) | instid1(VALU_DEP_2)
	v_add_f64 v[22:23], v[22:23], v[52:53]
	s_waitcnt vmcnt(3) lgkmcnt(0)
	v_mul_f64 v[30:31], v[6:7], v[4:5]
	v_mul_f64 v[4:5], v[8:9], v[4:5]
	v_fma_f64 v[30:31], v[8:9], v[2:3], v[30:31]
	s_delay_alu instid0(VALU_DEP_2)
	v_fma_f64 v[32:33], v[6:7], v[2:3], -v[4:5]
	ds_load_b128 v[2:5], v1 offset:1936
	ds_load_b128 v[6:9], v1 offset:1952
	s_waitcnt vmcnt(2) lgkmcnt(1)
	v_mul_f64 v[34:35], v[2:3], v[12:13]
	v_mul_f64 v[12:13], v[4:5], v[12:13]
	s_waitcnt vmcnt(1) lgkmcnt(0)
	v_mul_f64 v[36:37], v[6:7], v[16:17]
	v_add_f64 v[22:23], v[22:23], v[30:31]
	s_delay_alu instid0(VALU_DEP_4) | instskip(NEXT) | instid1(VALU_DEP_4)
	v_fma_f64 v[34:35], v[4:5], v[10:11], v[34:35]
	v_fma_f64 v[10:11], v[2:3], v[10:11], -v[12:13]
	v_mul_f64 v[12:13], v[8:9], v[16:17]
	v_add_f64 v[16:17], v[24:25], v[32:33]
	ds_load_b128 v[2:5], v1 offset:1968
	v_fma_f64 v[8:9], v[8:9], v[14:15], v[36:37]
	s_waitcnt vmcnt(0) lgkmcnt(0)
	v_mul_f64 v[24:25], v[2:3], v[20:21]
	v_mul_f64 v[20:21], v[4:5], v[20:21]
	v_fma_f64 v[6:7], v[6:7], v[14:15], -v[12:13]
	v_add_f64 v[10:11], v[16:17], v[10:11]
	v_add_f64 v[12:13], v[22:23], v[34:35]
	v_fma_f64 v[4:5], v[4:5], v[18:19], v[24:25]
	v_fma_f64 v[2:3], v[2:3], v[18:19], -v[20:21]
	s_delay_alu instid0(VALU_DEP_4) | instskip(NEXT) | instid1(VALU_DEP_4)
	v_add_f64 v[6:7], v[10:11], v[6:7]
	v_add_f64 v[8:9], v[12:13], v[8:9]
	s_delay_alu instid0(VALU_DEP_2) | instskip(NEXT) | instid1(VALU_DEP_2)
	v_add_f64 v[2:3], v[6:7], v[2:3]
	v_add_f64 v[4:5], v[8:9], v[4:5]
	s_delay_alu instid0(VALU_DEP_2) | instskip(NEXT) | instid1(VALU_DEP_2)
	v_add_f64 v[2:3], v[26:27], -v[2:3]
	v_add_f64 v[4:5], v[28:29], -v[4:5]
	scratch_store_b128 off, v[2:5], off offset:768
	v_cmpx_lt_u32_e32 47, v174
	s_cbranch_execz .LBB125_303
; %bb.302:
	scratch_load_b32 v2, off, off offset:1044 ; 4-byte Folded Reload
	v_mov_b32_e32 v3, v1
	v_mov_b32_e32 v4, v1
	s_waitcnt vmcnt(0)
	scratch_load_b128 v[5:8], v2, off
	v_mov_b32_e32 v2, v1
	scratch_store_b128 off, v[1:4], off offset:752
	s_waitcnt vmcnt(0)
	ds_store_b128 v255, v[5:8]
.LBB125_303:
	s_or_b32 exec_lo, exec_lo, s2
	s_waitcnt lgkmcnt(0)
	s_waitcnt_vscnt null, 0x0
	s_barrier
	buffer_gl0_inv
	s_clause 0x4
	scratch_load_b128 v[2:5], off, off offset:768
	scratch_load_b128 v[6:9], off, off offset:784
	;; [unrolled: 1-line block ×5, first 2 shown]
	ds_load_b128 v[22:25], v1 offset:1760
	ds_load_b128 v[26:29], v1 offset:1776
	scratch_load_b128 v[30:33], off, off offset:752
	s_mov_b32 s2, exec_lo
	s_waitcnt vmcnt(5) lgkmcnt(1)
	v_mul_f64 v[34:35], v[24:25], v[4:5]
	v_mul_f64 v[4:5], v[22:23], v[4:5]
	s_waitcnt vmcnt(4) lgkmcnt(0)
	v_mul_f64 v[36:37], v[26:27], v[8:9]
	v_mul_f64 v[8:9], v[28:29], v[8:9]
	s_delay_alu instid0(VALU_DEP_4) | instskip(NEXT) | instid1(VALU_DEP_4)
	v_fma_f64 v[22:23], v[22:23], v[2:3], -v[34:35]
	v_fma_f64 v[24:25], v[24:25], v[2:3], v[4:5]
	ds_load_b128 v[2:5], v1 offset:1792
	v_fma_f64 v[28:29], v[28:29], v[6:7], v[36:37]
	v_fma_f64 v[26:27], v[26:27], v[6:7], -v[8:9]
	ds_load_b128 v[6:9], v1 offset:1808
	s_waitcnt vmcnt(3) lgkmcnt(1)
	v_mul_f64 v[34:35], v[2:3], v[12:13]
	v_mul_f64 v[12:13], v[4:5], v[12:13]
	s_waitcnt vmcnt(2) lgkmcnt(0)
	v_mul_f64 v[36:37], v[6:7], v[16:17]
	s_delay_alu instid0(VALU_DEP_3) | instskip(NEXT) | instid1(VALU_DEP_3)
	v_fma_f64 v[34:35], v[4:5], v[10:11], v[34:35]
	v_fma_f64 v[38:39], v[2:3], v[10:11], -v[12:13]
	v_mul_f64 v[10:11], v[8:9], v[16:17]
	ds_load_b128 v[2:5], v1 offset:1824
	v_fma_f64 v[16:17], v[8:9], v[14:15], v[36:37]
	v_fma_f64 v[14:15], v[6:7], v[14:15], -v[10:11]
	ds_load_b128 v[6:9], v1 offset:1840
	s_waitcnt vmcnt(1) lgkmcnt(1)
	v_mul_f64 v[10:11], v[2:3], v[20:21]
	v_mul_f64 v[12:13], v[4:5], v[20:21]
	s_delay_alu instid0(VALU_DEP_2) | instskip(NEXT) | instid1(VALU_DEP_2)
	v_fma_f64 v[20:21], v[4:5], v[18:19], v[10:11]
	v_fma_f64 v[18:19], v[2:3], v[18:19], -v[12:13]
	s_clause 0x1
	scratch_load_b128 v[2:5], off, off offset:848
	scratch_load_b128 v[10:13], off, off offset:864
	s_waitcnt vmcnt(1) lgkmcnt(0)
	v_mul_f64 v[36:37], v[6:7], v[4:5]
	v_mul_f64 v[4:5], v[8:9], v[4:5]
	s_delay_alu instid0(VALU_DEP_2) | instskip(NEXT) | instid1(VALU_DEP_2)
	v_fma_f64 v[36:37], v[8:9], v[2:3], v[36:37]
	v_fma_f64 v[40:41], v[6:7], v[2:3], -v[4:5]
	ds_load_b128 v[2:5], v1 offset:1856
	ds_load_b128 v[6:9], v1 offset:1872
	s_waitcnt vmcnt(0) lgkmcnt(1)
	v_mul_f64 v[42:43], v[2:3], v[12:13]
	s_delay_alu instid0(VALU_DEP_1) | instskip(SKIP_1) | instid1(VALU_DEP_1)
	v_fma_f64 v[42:43], v[4:5], v[10:11], v[42:43]
	v_mul_f64 v[4:5], v[4:5], v[12:13]
	v_fma_f64 v[44:45], v[2:3], v[10:11], -v[4:5]
	s_clause 0x1
	scratch_load_b128 v[2:5], off, off offset:880
	scratch_load_b128 v[10:13], off, off offset:896
	s_waitcnt vmcnt(1) lgkmcnt(0)
	v_mul_f64 v[46:47], v[6:7], v[4:5]
	v_mul_f64 v[4:5], v[8:9], v[4:5]
	s_delay_alu instid0(VALU_DEP_2) | instskip(NEXT) | instid1(VALU_DEP_2)
	v_fma_f64 v[46:47], v[8:9], v[2:3], v[46:47]
	v_fma_f64 v[48:49], v[6:7], v[2:3], -v[4:5]
	ds_load_b128 v[2:5], v1 offset:1888
	ds_load_b128 v[6:9], v1 offset:1904
	s_waitcnt vmcnt(0) lgkmcnt(1)
	v_mul_f64 v[52:53], v[2:3], v[12:13]
	s_delay_alu instid0(VALU_DEP_1) | instskip(SKIP_1) | instid1(VALU_DEP_1)
	v_fma_f64 v[52:53], v[4:5], v[10:11], v[52:53]
	v_mul_f64 v[4:5], v[4:5], v[12:13]
	;; [unrolled: 17-line block ×3, first 2 shown]
	v_fma_f64 v[90:91], v[2:3], v[10:11], -v[4:5]
	v_add_f64 v[2:3], v[22:23], 0
	v_add_f64 v[4:5], v[24:25], 0
	s_delay_alu instid0(VALU_DEP_2) | instskip(NEXT) | instid1(VALU_DEP_2)
	v_add_f64 v[2:3], v[2:3], v[26:27]
	v_add_f64 v[4:5], v[4:5], v[28:29]
	s_delay_alu instid0(VALU_DEP_2) | instskip(NEXT) | instid1(VALU_DEP_2)
	;; [unrolled: 3-line block ×4, first 2 shown]
	v_add_f64 v[2:3], v[2:3], v[18:19]
	v_add_f64 v[10:11], v[4:5], v[20:21]
	s_delay_alu instid0(VALU_DEP_2)
	v_add_f64 v[12:13], v[2:3], v[40:41]
	scratch_load_b128 v[2:5], off, off offset:944
	v_add_f64 v[14:15], v[10:11], v[36:37]
	v_add_f64 v[16:17], v[12:13], v[44:45]
	scratch_load_b128 v[10:13], off, off offset:960
	v_add_f64 v[18:19], v[14:15], v[42:43]
	;; [unrolled: 3-line block ×3, first 2 shown]
	v_add_f64 v[20:21], v[20:21], v[54:55]
	s_delay_alu instid0(VALU_DEP_2) | instskip(NEXT) | instid1(VALU_DEP_2)
	v_add_f64 v[18:19], v[18:19], v[52:53]
	v_add_f64 v[28:29], v[20:21], v[58:59]
	s_delay_alu instid0(VALU_DEP_2)
	v_add_f64 v[34:35], v[18:19], v[56:57]
	ds_load_b128 v[18:21], v1 offset:1952
	ds_load_b128 v[22:25], v1 offset:1968
	s_waitcnt vmcnt(2) lgkmcnt(2)
	v_mul_f64 v[26:27], v[6:7], v[4:5]
	v_mul_f64 v[4:5], v[8:9], v[4:5]
	s_waitcnt vmcnt(1) lgkmcnt(1)
	v_mul_f64 v[36:37], v[18:19], v[12:13]
	s_delay_alu instid0(VALU_DEP_3) | instskip(NEXT) | instid1(VALU_DEP_3)
	v_fma_f64 v[8:9], v[8:9], v[2:3], v[26:27]
	v_fma_f64 v[1:2], v[6:7], v[2:3], -v[4:5]
	v_mul_f64 v[3:4], v[20:21], v[12:13]
	v_add_f64 v[5:6], v[28:29], v[90:91]
	v_add_f64 v[12:13], v[34:35], v[60:61]
	s_waitcnt vmcnt(0) lgkmcnt(0)
	v_mul_f64 v[26:27], v[22:23], v[16:17]
	v_mul_f64 v[16:17], v[24:25], v[16:17]
	v_fma_f64 v[20:21], v[20:21], v[10:11], v[36:37]
	v_fma_f64 v[3:4], v[18:19], v[10:11], -v[3:4]
	v_add_f64 v[1:2], v[5:6], v[1:2]
	v_add_f64 v[5:6], v[12:13], v[8:9]
	v_fma_f64 v[7:8], v[24:25], v[14:15], v[26:27]
	v_fma_f64 v[9:10], v[22:23], v[14:15], -v[16:17]
	s_delay_alu instid0(VALU_DEP_4) | instskip(NEXT) | instid1(VALU_DEP_4)
	v_add_f64 v[1:2], v[1:2], v[3:4]
	v_add_f64 v[3:4], v[5:6], v[20:21]
	s_delay_alu instid0(VALU_DEP_2) | instskip(NEXT) | instid1(VALU_DEP_2)
	v_add_f64 v[1:2], v[1:2], v[9:10]
	v_add_f64 v[3:4], v[3:4], v[7:8]
	s_delay_alu instid0(VALU_DEP_2) | instskip(NEXT) | instid1(VALU_DEP_2)
	v_add_f64 v[1:2], v[30:31], -v[1:2]
	v_add_f64 v[3:4], v[32:33], -v[3:4]
	scratch_store_b128 off, v[1:4], off offset:752
	v_cmpx_lt_u32_e32 46, v174
	s_cbranch_execz .LBB125_305
; %bb.304:
	scratch_load_b32 v1, off, off offset:1048 ; 4-byte Folded Reload
	v_mov_b32_e32 v5, 0
	s_delay_alu instid0(VALU_DEP_1)
	v_mov_b32_e32 v6, v5
	v_mov_b32_e32 v7, v5
	;; [unrolled: 1-line block ×3, first 2 shown]
	s_waitcnt vmcnt(0)
	scratch_load_b128 v[1:4], v1, off
	scratch_store_b128 off, v[5:8], off offset:736
	s_waitcnt vmcnt(0)
	ds_store_b128 v255, v[1:4]
.LBB125_305:
	s_or_b32 exec_lo, exec_lo, s2
	s_waitcnt lgkmcnt(0)
	s_waitcnt_vscnt null, 0x0
	s_barrier
	buffer_gl0_inv
	s_clause 0x4
	scratch_load_b128 v[2:5], off, off offset:752
	scratch_load_b128 v[6:9], off, off offset:768
	;; [unrolled: 1-line block ×5, first 2 shown]
	v_mov_b32_e32 v1, 0
	scratch_load_b128 v[26:29], off, off offset:736
	s_mov_b32 s2, exec_lo
	ds_load_b128 v[22:25], v1 offset:1744
	ds_load_b128 v[30:33], v1 offset:1760
	s_waitcnt vmcnt(5) lgkmcnt(1)
	v_mul_f64 v[34:35], v[24:25], v[4:5]
	v_mul_f64 v[4:5], v[22:23], v[4:5]
	s_waitcnt vmcnt(4) lgkmcnt(0)
	v_mul_f64 v[36:37], v[30:31], v[8:9]
	v_mul_f64 v[8:9], v[32:33], v[8:9]
	s_delay_alu instid0(VALU_DEP_4) | instskip(NEXT) | instid1(VALU_DEP_4)
	v_fma_f64 v[22:23], v[22:23], v[2:3], -v[34:35]
	v_fma_f64 v[24:25], v[24:25], v[2:3], v[4:5]
	ds_load_b128 v[2:5], v1 offset:1776
	v_fma_f64 v[32:33], v[32:33], v[6:7], v[36:37]
	v_fma_f64 v[30:31], v[30:31], v[6:7], -v[8:9]
	ds_load_b128 v[6:9], v1 offset:1792
	s_waitcnt vmcnt(3) lgkmcnt(1)
	v_mul_f64 v[34:35], v[2:3], v[12:13]
	v_mul_f64 v[12:13], v[4:5], v[12:13]
	s_waitcnt vmcnt(2) lgkmcnt(0)
	v_mul_f64 v[36:37], v[6:7], v[16:17]
	s_delay_alu instid0(VALU_DEP_3) | instskip(NEXT) | instid1(VALU_DEP_3)
	v_fma_f64 v[34:35], v[4:5], v[10:11], v[34:35]
	v_fma_f64 v[38:39], v[2:3], v[10:11], -v[12:13]
	v_mul_f64 v[10:11], v[8:9], v[16:17]
	ds_load_b128 v[2:5], v1 offset:1808
	v_fma_f64 v[16:17], v[8:9], v[14:15], v[36:37]
	v_fma_f64 v[14:15], v[6:7], v[14:15], -v[10:11]
	ds_load_b128 v[6:9], v1 offset:1824
	s_waitcnt vmcnt(1) lgkmcnt(1)
	v_mul_f64 v[10:11], v[2:3], v[20:21]
	v_mul_f64 v[12:13], v[4:5], v[20:21]
	s_delay_alu instid0(VALU_DEP_2) | instskip(NEXT) | instid1(VALU_DEP_2)
	v_fma_f64 v[20:21], v[4:5], v[18:19], v[10:11]
	v_fma_f64 v[18:19], v[2:3], v[18:19], -v[12:13]
	s_clause 0x1
	scratch_load_b128 v[2:5], off, off offset:832
	scratch_load_b128 v[10:13], off, off offset:848
	s_waitcnt vmcnt(1) lgkmcnt(0)
	v_mul_f64 v[36:37], v[6:7], v[4:5]
	v_mul_f64 v[4:5], v[8:9], v[4:5]
	s_delay_alu instid0(VALU_DEP_2) | instskip(NEXT) | instid1(VALU_DEP_2)
	v_fma_f64 v[36:37], v[8:9], v[2:3], v[36:37]
	v_fma_f64 v[40:41], v[6:7], v[2:3], -v[4:5]
	ds_load_b128 v[2:5], v1 offset:1840
	ds_load_b128 v[6:9], v1 offset:1856
	s_waitcnt vmcnt(0) lgkmcnt(1)
	v_mul_f64 v[42:43], v[2:3], v[12:13]
	s_delay_alu instid0(VALU_DEP_1) | instskip(SKIP_1) | instid1(VALU_DEP_1)
	v_fma_f64 v[42:43], v[4:5], v[10:11], v[42:43]
	v_mul_f64 v[4:5], v[4:5], v[12:13]
	v_fma_f64 v[44:45], v[2:3], v[10:11], -v[4:5]
	s_clause 0x1
	scratch_load_b128 v[2:5], off, off offset:864
	scratch_load_b128 v[10:13], off, off offset:880
	s_waitcnt vmcnt(1) lgkmcnt(0)
	v_mul_f64 v[46:47], v[6:7], v[4:5]
	v_mul_f64 v[4:5], v[8:9], v[4:5]
	s_delay_alu instid0(VALU_DEP_2) | instskip(NEXT) | instid1(VALU_DEP_2)
	v_fma_f64 v[46:47], v[8:9], v[2:3], v[46:47]
	v_fma_f64 v[48:49], v[6:7], v[2:3], -v[4:5]
	ds_load_b128 v[2:5], v1 offset:1872
	ds_load_b128 v[6:9], v1 offset:1888
	s_waitcnt vmcnt(0) lgkmcnt(1)
	v_mul_f64 v[52:53], v[2:3], v[12:13]
	s_delay_alu instid0(VALU_DEP_1) | instskip(SKIP_1) | instid1(VALU_DEP_1)
	v_fma_f64 v[52:53], v[4:5], v[10:11], v[52:53]
	v_mul_f64 v[4:5], v[4:5], v[12:13]
	;; [unrolled: 17-line block ×3, first 2 shown]
	v_fma_f64 v[90:91], v[2:3], v[10:11], -v[4:5]
	v_add_f64 v[2:3], v[22:23], 0
	v_add_f64 v[4:5], v[24:25], 0
	s_delay_alu instid0(VALU_DEP_2) | instskip(NEXT) | instid1(VALU_DEP_2)
	v_add_f64 v[2:3], v[2:3], v[30:31]
	v_add_f64 v[4:5], v[4:5], v[32:33]
	s_delay_alu instid0(VALU_DEP_2) | instskip(NEXT) | instid1(VALU_DEP_2)
	;; [unrolled: 3-line block ×4, first 2 shown]
	v_add_f64 v[2:3], v[2:3], v[18:19]
	v_add_f64 v[10:11], v[4:5], v[20:21]
	s_delay_alu instid0(VALU_DEP_2)
	v_add_f64 v[12:13], v[2:3], v[40:41]
	scratch_load_b128 v[2:5], off, off offset:928
	v_add_f64 v[14:15], v[10:11], v[36:37]
	v_add_f64 v[16:17], v[12:13], v[44:45]
	scratch_load_b128 v[10:13], off, off offset:944
	v_add_f64 v[18:19], v[14:15], v[42:43]
	;; [unrolled: 3-line block ×4, first 2 shown]
	v_add_f64 v[24:25], v[24:25], v[58:59]
	s_delay_alu instid0(VALU_DEP_2) | instskip(NEXT) | instid1(VALU_DEP_2)
	v_add_f64 v[22:23], v[22:23], v[56:57]
	v_add_f64 v[24:25], v[24:25], v[90:91]
	s_delay_alu instid0(VALU_DEP_2) | instskip(SKIP_3) | instid1(VALU_DEP_2)
	v_add_f64 v[22:23], v[22:23], v[60:61]
	s_waitcnt vmcnt(3) lgkmcnt(0)
	v_mul_f64 v[30:31], v[6:7], v[4:5]
	v_mul_f64 v[4:5], v[8:9], v[4:5]
	v_fma_f64 v[30:31], v[8:9], v[2:3], v[30:31]
	s_delay_alu instid0(VALU_DEP_2)
	v_fma_f64 v[32:33], v[6:7], v[2:3], -v[4:5]
	ds_load_b128 v[2:5], v1 offset:1936
	ds_load_b128 v[6:9], v1 offset:1952
	s_waitcnt vmcnt(2) lgkmcnt(1)
	v_mul_f64 v[34:35], v[2:3], v[12:13]
	v_mul_f64 v[12:13], v[4:5], v[12:13]
	s_waitcnt vmcnt(1) lgkmcnt(0)
	v_mul_f64 v[36:37], v[6:7], v[16:17]
	v_add_f64 v[22:23], v[22:23], v[30:31]
	s_delay_alu instid0(VALU_DEP_4) | instskip(NEXT) | instid1(VALU_DEP_4)
	v_fma_f64 v[34:35], v[4:5], v[10:11], v[34:35]
	v_fma_f64 v[10:11], v[2:3], v[10:11], -v[12:13]
	v_mul_f64 v[12:13], v[8:9], v[16:17]
	v_add_f64 v[16:17], v[24:25], v[32:33]
	ds_load_b128 v[2:5], v1 offset:1968
	v_fma_f64 v[8:9], v[8:9], v[14:15], v[36:37]
	s_waitcnt vmcnt(0) lgkmcnt(0)
	v_mul_f64 v[24:25], v[2:3], v[20:21]
	v_mul_f64 v[20:21], v[4:5], v[20:21]
	v_fma_f64 v[6:7], v[6:7], v[14:15], -v[12:13]
	v_add_f64 v[10:11], v[16:17], v[10:11]
	v_add_f64 v[12:13], v[22:23], v[34:35]
	v_fma_f64 v[4:5], v[4:5], v[18:19], v[24:25]
	v_fma_f64 v[2:3], v[2:3], v[18:19], -v[20:21]
	s_delay_alu instid0(VALU_DEP_4) | instskip(NEXT) | instid1(VALU_DEP_4)
	v_add_f64 v[6:7], v[10:11], v[6:7]
	v_add_f64 v[8:9], v[12:13], v[8:9]
	s_delay_alu instid0(VALU_DEP_2) | instskip(NEXT) | instid1(VALU_DEP_2)
	v_add_f64 v[2:3], v[6:7], v[2:3]
	v_add_f64 v[4:5], v[8:9], v[4:5]
	s_delay_alu instid0(VALU_DEP_2) | instskip(NEXT) | instid1(VALU_DEP_2)
	v_add_f64 v[2:3], v[26:27], -v[2:3]
	v_add_f64 v[4:5], v[28:29], -v[4:5]
	scratch_store_b128 off, v[2:5], off offset:736
	v_cmpx_lt_u32_e32 45, v174
	s_cbranch_execz .LBB125_307
; %bb.306:
	scratch_load_b32 v2, off, off offset:1052 ; 4-byte Folded Reload
	v_mov_b32_e32 v3, v1
	v_mov_b32_e32 v4, v1
	s_waitcnt vmcnt(0)
	scratch_load_b128 v[5:8], v2, off
	v_mov_b32_e32 v2, v1
	scratch_store_b128 off, v[1:4], off offset:720
	s_waitcnt vmcnt(0)
	ds_store_b128 v255, v[5:8]
.LBB125_307:
	s_or_b32 exec_lo, exec_lo, s2
	s_waitcnt lgkmcnt(0)
	s_waitcnt_vscnt null, 0x0
	s_barrier
	buffer_gl0_inv
	s_clause 0x4
	scratch_load_b128 v[2:5], off, off offset:736
	scratch_load_b128 v[6:9], off, off offset:752
	;; [unrolled: 1-line block ×5, first 2 shown]
	ds_load_b128 v[22:25], v1 offset:1728
	ds_load_b128 v[26:29], v1 offset:1744
	scratch_load_b128 v[30:33], off, off offset:720
	s_mov_b32 s2, exec_lo
	s_waitcnt vmcnt(5) lgkmcnt(1)
	v_mul_f64 v[34:35], v[24:25], v[4:5]
	v_mul_f64 v[4:5], v[22:23], v[4:5]
	s_waitcnt vmcnt(4) lgkmcnt(0)
	v_mul_f64 v[36:37], v[26:27], v[8:9]
	v_mul_f64 v[8:9], v[28:29], v[8:9]
	s_delay_alu instid0(VALU_DEP_4) | instskip(NEXT) | instid1(VALU_DEP_4)
	v_fma_f64 v[22:23], v[22:23], v[2:3], -v[34:35]
	v_fma_f64 v[24:25], v[24:25], v[2:3], v[4:5]
	ds_load_b128 v[2:5], v1 offset:1760
	v_fma_f64 v[28:29], v[28:29], v[6:7], v[36:37]
	v_fma_f64 v[26:27], v[26:27], v[6:7], -v[8:9]
	ds_load_b128 v[6:9], v1 offset:1776
	s_waitcnt vmcnt(3) lgkmcnt(1)
	v_mul_f64 v[34:35], v[2:3], v[12:13]
	v_mul_f64 v[12:13], v[4:5], v[12:13]
	s_waitcnt vmcnt(2) lgkmcnt(0)
	v_mul_f64 v[36:37], v[6:7], v[16:17]
	s_delay_alu instid0(VALU_DEP_3) | instskip(NEXT) | instid1(VALU_DEP_3)
	v_fma_f64 v[34:35], v[4:5], v[10:11], v[34:35]
	v_fma_f64 v[38:39], v[2:3], v[10:11], -v[12:13]
	v_mul_f64 v[10:11], v[8:9], v[16:17]
	ds_load_b128 v[2:5], v1 offset:1792
	v_fma_f64 v[16:17], v[8:9], v[14:15], v[36:37]
	v_fma_f64 v[14:15], v[6:7], v[14:15], -v[10:11]
	ds_load_b128 v[6:9], v1 offset:1808
	s_waitcnt vmcnt(1) lgkmcnt(1)
	v_mul_f64 v[10:11], v[2:3], v[20:21]
	v_mul_f64 v[12:13], v[4:5], v[20:21]
	s_delay_alu instid0(VALU_DEP_2) | instskip(NEXT) | instid1(VALU_DEP_2)
	v_fma_f64 v[20:21], v[4:5], v[18:19], v[10:11]
	v_fma_f64 v[18:19], v[2:3], v[18:19], -v[12:13]
	s_clause 0x1
	scratch_load_b128 v[2:5], off, off offset:816
	scratch_load_b128 v[10:13], off, off offset:832
	s_waitcnt vmcnt(1) lgkmcnt(0)
	v_mul_f64 v[36:37], v[6:7], v[4:5]
	v_mul_f64 v[4:5], v[8:9], v[4:5]
	s_delay_alu instid0(VALU_DEP_2) | instskip(NEXT) | instid1(VALU_DEP_2)
	v_fma_f64 v[36:37], v[8:9], v[2:3], v[36:37]
	v_fma_f64 v[40:41], v[6:7], v[2:3], -v[4:5]
	ds_load_b128 v[2:5], v1 offset:1824
	ds_load_b128 v[6:9], v1 offset:1840
	s_waitcnt vmcnt(0) lgkmcnt(1)
	v_mul_f64 v[42:43], v[2:3], v[12:13]
	s_delay_alu instid0(VALU_DEP_1) | instskip(SKIP_1) | instid1(VALU_DEP_1)
	v_fma_f64 v[42:43], v[4:5], v[10:11], v[42:43]
	v_mul_f64 v[4:5], v[4:5], v[12:13]
	v_fma_f64 v[44:45], v[2:3], v[10:11], -v[4:5]
	s_clause 0x1
	scratch_load_b128 v[2:5], off, off offset:848
	scratch_load_b128 v[10:13], off, off offset:864
	s_waitcnt vmcnt(1) lgkmcnt(0)
	v_mul_f64 v[46:47], v[6:7], v[4:5]
	v_mul_f64 v[4:5], v[8:9], v[4:5]
	s_delay_alu instid0(VALU_DEP_2) | instskip(NEXT) | instid1(VALU_DEP_2)
	v_fma_f64 v[46:47], v[8:9], v[2:3], v[46:47]
	v_fma_f64 v[48:49], v[6:7], v[2:3], -v[4:5]
	ds_load_b128 v[2:5], v1 offset:1856
	ds_load_b128 v[6:9], v1 offset:1872
	s_waitcnt vmcnt(0) lgkmcnt(1)
	v_mul_f64 v[52:53], v[2:3], v[12:13]
	s_delay_alu instid0(VALU_DEP_1) | instskip(SKIP_1) | instid1(VALU_DEP_1)
	v_fma_f64 v[52:53], v[4:5], v[10:11], v[52:53]
	v_mul_f64 v[4:5], v[4:5], v[12:13]
	;; [unrolled: 17-line block ×4, first 2 shown]
	v_fma_f64 v[191:192], v[2:3], v[10:11], -v[4:5]
	v_add_f64 v[2:3], v[22:23], 0
	v_add_f64 v[4:5], v[24:25], 0
	s_delay_alu instid0(VALU_DEP_2) | instskip(NEXT) | instid1(VALU_DEP_2)
	v_add_f64 v[2:3], v[2:3], v[26:27]
	v_add_f64 v[4:5], v[4:5], v[28:29]
	s_delay_alu instid0(VALU_DEP_2) | instskip(NEXT) | instid1(VALU_DEP_2)
	;; [unrolled: 3-line block ×6, first 2 shown]
	v_add_f64 v[2:3], v[2:3], v[44:45]
	v_add_f64 v[10:11], v[4:5], v[42:43]
	s_delay_alu instid0(VALU_DEP_2)
	v_add_f64 v[12:13], v[2:3], v[48:49]
	scratch_load_b128 v[2:5], off, off offset:944
	v_add_f64 v[14:15], v[10:11], v[46:47]
	v_add_f64 v[16:17], v[12:13], v[54:55]
	scratch_load_b128 v[10:13], off, off offset:960
	v_add_f64 v[18:19], v[14:15], v[52:53]
	;; [unrolled: 3-line block ×3, first 2 shown]
	v_add_f64 v[20:21], v[20:21], v[90:91]
	s_delay_alu instid0(VALU_DEP_2) | instskip(NEXT) | instid1(VALU_DEP_2)
	v_add_f64 v[18:19], v[18:19], v[60:61]
	v_add_f64 v[28:29], v[20:21], v[187:188]
	s_delay_alu instid0(VALU_DEP_2)
	v_add_f64 v[34:35], v[18:19], v[185:186]
	ds_load_b128 v[18:21], v1 offset:1952
	ds_load_b128 v[22:25], v1 offset:1968
	s_waitcnt vmcnt(2) lgkmcnt(2)
	v_mul_f64 v[26:27], v[6:7], v[4:5]
	v_mul_f64 v[4:5], v[8:9], v[4:5]
	s_waitcnt vmcnt(1) lgkmcnt(1)
	v_mul_f64 v[36:37], v[18:19], v[12:13]
	s_delay_alu instid0(VALU_DEP_3) | instskip(NEXT) | instid1(VALU_DEP_3)
	v_fma_f64 v[8:9], v[8:9], v[2:3], v[26:27]
	v_fma_f64 v[1:2], v[6:7], v[2:3], -v[4:5]
	v_mul_f64 v[3:4], v[20:21], v[12:13]
	v_add_f64 v[5:6], v[28:29], v[191:192]
	v_add_f64 v[12:13], v[34:35], v[189:190]
	s_waitcnt vmcnt(0) lgkmcnt(0)
	v_mul_f64 v[26:27], v[22:23], v[16:17]
	v_mul_f64 v[16:17], v[24:25], v[16:17]
	v_fma_f64 v[20:21], v[20:21], v[10:11], v[36:37]
	v_fma_f64 v[3:4], v[18:19], v[10:11], -v[3:4]
	v_add_f64 v[1:2], v[5:6], v[1:2]
	v_add_f64 v[5:6], v[12:13], v[8:9]
	v_fma_f64 v[7:8], v[24:25], v[14:15], v[26:27]
	v_fma_f64 v[9:10], v[22:23], v[14:15], -v[16:17]
	s_delay_alu instid0(VALU_DEP_4) | instskip(NEXT) | instid1(VALU_DEP_4)
	v_add_f64 v[1:2], v[1:2], v[3:4]
	v_add_f64 v[3:4], v[5:6], v[20:21]
	s_delay_alu instid0(VALU_DEP_2) | instskip(NEXT) | instid1(VALU_DEP_2)
	v_add_f64 v[1:2], v[1:2], v[9:10]
	v_add_f64 v[3:4], v[3:4], v[7:8]
	s_delay_alu instid0(VALU_DEP_2) | instskip(NEXT) | instid1(VALU_DEP_2)
	v_add_f64 v[1:2], v[30:31], -v[1:2]
	v_add_f64 v[3:4], v[32:33], -v[3:4]
	scratch_store_b128 off, v[1:4], off offset:720
	v_cmpx_lt_u32_e32 44, v174
	s_cbranch_execz .LBB125_309
; %bb.308:
	scratch_load_b32 v1, off, off offset:1060 ; 4-byte Folded Reload
	v_mov_b32_e32 v5, 0
	s_delay_alu instid0(VALU_DEP_1)
	v_mov_b32_e32 v6, v5
	v_mov_b32_e32 v7, v5
	;; [unrolled: 1-line block ×3, first 2 shown]
	s_waitcnt vmcnt(0)
	scratch_load_b128 v[1:4], v1, off
	scratch_store_b128 off, v[5:8], off offset:704
	s_waitcnt vmcnt(0)
	ds_store_b128 v255, v[1:4]
.LBB125_309:
	s_or_b32 exec_lo, exec_lo, s2
	s_waitcnt lgkmcnt(0)
	s_waitcnt_vscnt null, 0x0
	s_barrier
	buffer_gl0_inv
	s_clause 0x4
	scratch_load_b128 v[2:5], off, off offset:720
	scratch_load_b128 v[6:9], off, off offset:736
	;; [unrolled: 1-line block ×5, first 2 shown]
	v_mov_b32_e32 v1, 0
	scratch_load_b128 v[26:29], off, off offset:704
	s_mov_b32 s2, exec_lo
	ds_load_b128 v[22:25], v1 offset:1712
	ds_load_b128 v[30:33], v1 offset:1728
	s_waitcnt vmcnt(5) lgkmcnt(1)
	v_mul_f64 v[34:35], v[24:25], v[4:5]
	v_mul_f64 v[4:5], v[22:23], v[4:5]
	s_waitcnt vmcnt(4) lgkmcnt(0)
	v_mul_f64 v[36:37], v[30:31], v[8:9]
	v_mul_f64 v[8:9], v[32:33], v[8:9]
	s_delay_alu instid0(VALU_DEP_4) | instskip(NEXT) | instid1(VALU_DEP_4)
	v_fma_f64 v[22:23], v[22:23], v[2:3], -v[34:35]
	v_fma_f64 v[24:25], v[24:25], v[2:3], v[4:5]
	ds_load_b128 v[2:5], v1 offset:1744
	v_fma_f64 v[32:33], v[32:33], v[6:7], v[36:37]
	v_fma_f64 v[30:31], v[30:31], v[6:7], -v[8:9]
	ds_load_b128 v[6:9], v1 offset:1760
	s_waitcnt vmcnt(3) lgkmcnt(1)
	v_mul_f64 v[34:35], v[2:3], v[12:13]
	v_mul_f64 v[12:13], v[4:5], v[12:13]
	s_waitcnt vmcnt(2) lgkmcnt(0)
	v_mul_f64 v[36:37], v[6:7], v[16:17]
	s_delay_alu instid0(VALU_DEP_3) | instskip(NEXT) | instid1(VALU_DEP_3)
	v_fma_f64 v[34:35], v[4:5], v[10:11], v[34:35]
	v_fma_f64 v[38:39], v[2:3], v[10:11], -v[12:13]
	v_mul_f64 v[10:11], v[8:9], v[16:17]
	ds_load_b128 v[2:5], v1 offset:1776
	v_fma_f64 v[16:17], v[8:9], v[14:15], v[36:37]
	v_fma_f64 v[14:15], v[6:7], v[14:15], -v[10:11]
	ds_load_b128 v[6:9], v1 offset:1792
	s_waitcnt vmcnt(1) lgkmcnt(1)
	v_mul_f64 v[10:11], v[2:3], v[20:21]
	v_mul_f64 v[12:13], v[4:5], v[20:21]
	s_delay_alu instid0(VALU_DEP_2) | instskip(NEXT) | instid1(VALU_DEP_2)
	v_fma_f64 v[20:21], v[4:5], v[18:19], v[10:11]
	v_fma_f64 v[18:19], v[2:3], v[18:19], -v[12:13]
	s_clause 0x1
	scratch_load_b128 v[2:5], off, off offset:800
	scratch_load_b128 v[10:13], off, off offset:816
	s_waitcnt vmcnt(1) lgkmcnt(0)
	v_mul_f64 v[36:37], v[6:7], v[4:5]
	v_mul_f64 v[4:5], v[8:9], v[4:5]
	s_delay_alu instid0(VALU_DEP_2) | instskip(NEXT) | instid1(VALU_DEP_2)
	v_fma_f64 v[36:37], v[8:9], v[2:3], v[36:37]
	v_fma_f64 v[40:41], v[6:7], v[2:3], -v[4:5]
	ds_load_b128 v[2:5], v1 offset:1808
	ds_load_b128 v[6:9], v1 offset:1824
	s_waitcnt vmcnt(0) lgkmcnt(1)
	v_mul_f64 v[42:43], v[2:3], v[12:13]
	s_delay_alu instid0(VALU_DEP_1) | instskip(SKIP_1) | instid1(VALU_DEP_1)
	v_fma_f64 v[42:43], v[4:5], v[10:11], v[42:43]
	v_mul_f64 v[4:5], v[4:5], v[12:13]
	v_fma_f64 v[44:45], v[2:3], v[10:11], -v[4:5]
	s_clause 0x1
	scratch_load_b128 v[2:5], off, off offset:832
	scratch_load_b128 v[10:13], off, off offset:848
	s_waitcnt vmcnt(1) lgkmcnt(0)
	v_mul_f64 v[46:47], v[6:7], v[4:5]
	v_mul_f64 v[4:5], v[8:9], v[4:5]
	s_delay_alu instid0(VALU_DEP_2) | instskip(NEXT) | instid1(VALU_DEP_2)
	v_fma_f64 v[46:47], v[8:9], v[2:3], v[46:47]
	v_fma_f64 v[48:49], v[6:7], v[2:3], -v[4:5]
	ds_load_b128 v[2:5], v1 offset:1840
	ds_load_b128 v[6:9], v1 offset:1856
	s_waitcnt vmcnt(0) lgkmcnt(1)
	v_mul_f64 v[52:53], v[2:3], v[12:13]
	s_delay_alu instid0(VALU_DEP_1) | instskip(SKIP_1) | instid1(VALU_DEP_1)
	v_fma_f64 v[52:53], v[4:5], v[10:11], v[52:53]
	v_mul_f64 v[4:5], v[4:5], v[12:13]
	;; [unrolled: 17-line block ×4, first 2 shown]
	v_fma_f64 v[191:192], v[2:3], v[10:11], -v[4:5]
	v_add_f64 v[2:3], v[22:23], 0
	v_add_f64 v[4:5], v[24:25], 0
	s_delay_alu instid0(VALU_DEP_2) | instskip(NEXT) | instid1(VALU_DEP_2)
	v_add_f64 v[2:3], v[2:3], v[30:31]
	v_add_f64 v[4:5], v[4:5], v[32:33]
	s_delay_alu instid0(VALU_DEP_2) | instskip(NEXT) | instid1(VALU_DEP_2)
	;; [unrolled: 3-line block ×6, first 2 shown]
	v_add_f64 v[2:3], v[2:3], v[44:45]
	v_add_f64 v[10:11], v[4:5], v[42:43]
	s_delay_alu instid0(VALU_DEP_2)
	v_add_f64 v[12:13], v[2:3], v[48:49]
	scratch_load_b128 v[2:5], off, off offset:928
	v_add_f64 v[14:15], v[10:11], v[46:47]
	v_add_f64 v[16:17], v[12:13], v[54:55]
	scratch_load_b128 v[10:13], off, off offset:944
	v_add_f64 v[18:19], v[14:15], v[52:53]
	;; [unrolled: 3-line block ×4, first 2 shown]
	v_add_f64 v[24:25], v[24:25], v[187:188]
	s_delay_alu instid0(VALU_DEP_2) | instskip(NEXT) | instid1(VALU_DEP_2)
	v_add_f64 v[22:23], v[22:23], v[185:186]
	v_add_f64 v[24:25], v[24:25], v[191:192]
	s_delay_alu instid0(VALU_DEP_2) | instskip(SKIP_3) | instid1(VALU_DEP_2)
	v_add_f64 v[22:23], v[22:23], v[189:190]
	s_waitcnt vmcnt(3) lgkmcnt(0)
	v_mul_f64 v[30:31], v[6:7], v[4:5]
	v_mul_f64 v[4:5], v[8:9], v[4:5]
	v_fma_f64 v[30:31], v[8:9], v[2:3], v[30:31]
	s_delay_alu instid0(VALU_DEP_2)
	v_fma_f64 v[32:33], v[6:7], v[2:3], -v[4:5]
	ds_load_b128 v[2:5], v1 offset:1936
	ds_load_b128 v[6:9], v1 offset:1952
	s_waitcnt vmcnt(2) lgkmcnt(1)
	v_mul_f64 v[34:35], v[2:3], v[12:13]
	v_mul_f64 v[12:13], v[4:5], v[12:13]
	s_waitcnt vmcnt(1) lgkmcnt(0)
	v_mul_f64 v[36:37], v[6:7], v[16:17]
	v_add_f64 v[22:23], v[22:23], v[30:31]
	s_delay_alu instid0(VALU_DEP_4) | instskip(NEXT) | instid1(VALU_DEP_4)
	v_fma_f64 v[34:35], v[4:5], v[10:11], v[34:35]
	v_fma_f64 v[10:11], v[2:3], v[10:11], -v[12:13]
	v_mul_f64 v[12:13], v[8:9], v[16:17]
	v_add_f64 v[16:17], v[24:25], v[32:33]
	ds_load_b128 v[2:5], v1 offset:1968
	v_fma_f64 v[8:9], v[8:9], v[14:15], v[36:37]
	s_waitcnt vmcnt(0) lgkmcnt(0)
	v_mul_f64 v[24:25], v[2:3], v[20:21]
	v_mul_f64 v[20:21], v[4:5], v[20:21]
	v_fma_f64 v[6:7], v[6:7], v[14:15], -v[12:13]
	v_add_f64 v[10:11], v[16:17], v[10:11]
	v_add_f64 v[12:13], v[22:23], v[34:35]
	v_fma_f64 v[4:5], v[4:5], v[18:19], v[24:25]
	v_fma_f64 v[2:3], v[2:3], v[18:19], -v[20:21]
	s_delay_alu instid0(VALU_DEP_4) | instskip(NEXT) | instid1(VALU_DEP_4)
	v_add_f64 v[6:7], v[10:11], v[6:7]
	v_add_f64 v[8:9], v[12:13], v[8:9]
	s_delay_alu instid0(VALU_DEP_2) | instskip(NEXT) | instid1(VALU_DEP_2)
	v_add_f64 v[2:3], v[6:7], v[2:3]
	v_add_f64 v[4:5], v[8:9], v[4:5]
	s_delay_alu instid0(VALU_DEP_2) | instskip(NEXT) | instid1(VALU_DEP_2)
	v_add_f64 v[2:3], v[26:27], -v[2:3]
	v_add_f64 v[4:5], v[28:29], -v[4:5]
	scratch_store_b128 off, v[2:5], off offset:704
	v_cmpx_lt_u32_e32 43, v174
	s_cbranch_execz .LBB125_311
; %bb.310:
	scratch_load_b32 v2, off, off offset:1068 ; 4-byte Folded Reload
	v_mov_b32_e32 v3, v1
	v_mov_b32_e32 v4, v1
	s_waitcnt vmcnt(0)
	scratch_load_b128 v[5:8], v2, off
	v_mov_b32_e32 v2, v1
	scratch_store_b128 off, v[1:4], off offset:688
	s_waitcnt vmcnt(0)
	ds_store_b128 v255, v[5:8]
.LBB125_311:
	s_or_b32 exec_lo, exec_lo, s2
	s_waitcnt lgkmcnt(0)
	s_waitcnt_vscnt null, 0x0
	s_barrier
	buffer_gl0_inv
	s_clause 0x4
	scratch_load_b128 v[2:5], off, off offset:704
	scratch_load_b128 v[6:9], off, off offset:720
	;; [unrolled: 1-line block ×5, first 2 shown]
	ds_load_b128 v[22:25], v1 offset:1696
	ds_load_b128 v[26:29], v1 offset:1712
	scratch_load_b128 v[30:33], off, off offset:688
	s_mov_b32 s2, exec_lo
	s_waitcnt vmcnt(5) lgkmcnt(1)
	v_mul_f64 v[34:35], v[24:25], v[4:5]
	v_mul_f64 v[4:5], v[22:23], v[4:5]
	s_waitcnt vmcnt(4) lgkmcnt(0)
	v_mul_f64 v[36:37], v[26:27], v[8:9]
	v_mul_f64 v[8:9], v[28:29], v[8:9]
	s_delay_alu instid0(VALU_DEP_4) | instskip(NEXT) | instid1(VALU_DEP_4)
	v_fma_f64 v[22:23], v[22:23], v[2:3], -v[34:35]
	v_fma_f64 v[24:25], v[24:25], v[2:3], v[4:5]
	ds_load_b128 v[2:5], v1 offset:1728
	v_fma_f64 v[28:29], v[28:29], v[6:7], v[36:37]
	v_fma_f64 v[26:27], v[26:27], v[6:7], -v[8:9]
	ds_load_b128 v[6:9], v1 offset:1744
	s_waitcnt vmcnt(3) lgkmcnt(1)
	v_mul_f64 v[34:35], v[2:3], v[12:13]
	v_mul_f64 v[12:13], v[4:5], v[12:13]
	s_waitcnt vmcnt(2) lgkmcnt(0)
	v_mul_f64 v[36:37], v[6:7], v[16:17]
	s_delay_alu instid0(VALU_DEP_3) | instskip(NEXT) | instid1(VALU_DEP_3)
	v_fma_f64 v[34:35], v[4:5], v[10:11], v[34:35]
	v_fma_f64 v[38:39], v[2:3], v[10:11], -v[12:13]
	v_mul_f64 v[10:11], v[8:9], v[16:17]
	ds_load_b128 v[2:5], v1 offset:1760
	v_fma_f64 v[16:17], v[8:9], v[14:15], v[36:37]
	v_fma_f64 v[14:15], v[6:7], v[14:15], -v[10:11]
	ds_load_b128 v[6:9], v1 offset:1776
	s_waitcnt vmcnt(1) lgkmcnt(1)
	v_mul_f64 v[10:11], v[2:3], v[20:21]
	v_mul_f64 v[12:13], v[4:5], v[20:21]
	s_delay_alu instid0(VALU_DEP_2) | instskip(NEXT) | instid1(VALU_DEP_2)
	v_fma_f64 v[20:21], v[4:5], v[18:19], v[10:11]
	v_fma_f64 v[18:19], v[2:3], v[18:19], -v[12:13]
	s_clause 0x1
	scratch_load_b128 v[2:5], off, off offset:784
	scratch_load_b128 v[10:13], off, off offset:800
	s_waitcnt vmcnt(1) lgkmcnt(0)
	v_mul_f64 v[36:37], v[6:7], v[4:5]
	v_mul_f64 v[4:5], v[8:9], v[4:5]
	s_delay_alu instid0(VALU_DEP_2) | instskip(NEXT) | instid1(VALU_DEP_2)
	v_fma_f64 v[36:37], v[8:9], v[2:3], v[36:37]
	v_fma_f64 v[40:41], v[6:7], v[2:3], -v[4:5]
	ds_load_b128 v[2:5], v1 offset:1792
	ds_load_b128 v[6:9], v1 offset:1808
	s_waitcnt vmcnt(0) lgkmcnt(1)
	v_mul_f64 v[42:43], v[2:3], v[12:13]
	s_delay_alu instid0(VALU_DEP_1) | instskip(SKIP_1) | instid1(VALU_DEP_1)
	v_fma_f64 v[42:43], v[4:5], v[10:11], v[42:43]
	v_mul_f64 v[4:5], v[4:5], v[12:13]
	v_fma_f64 v[44:45], v[2:3], v[10:11], -v[4:5]
	s_clause 0x1
	scratch_load_b128 v[2:5], off, off offset:816
	scratch_load_b128 v[10:13], off, off offset:832
	s_waitcnt vmcnt(1) lgkmcnt(0)
	v_mul_f64 v[46:47], v[6:7], v[4:5]
	v_mul_f64 v[4:5], v[8:9], v[4:5]
	s_delay_alu instid0(VALU_DEP_2) | instskip(NEXT) | instid1(VALU_DEP_2)
	v_fma_f64 v[46:47], v[8:9], v[2:3], v[46:47]
	v_fma_f64 v[48:49], v[6:7], v[2:3], -v[4:5]
	ds_load_b128 v[2:5], v1 offset:1824
	ds_load_b128 v[6:9], v1 offset:1840
	s_waitcnt vmcnt(0) lgkmcnt(1)
	v_mul_f64 v[52:53], v[2:3], v[12:13]
	s_delay_alu instid0(VALU_DEP_1) | instskip(SKIP_1) | instid1(VALU_DEP_1)
	v_fma_f64 v[52:53], v[4:5], v[10:11], v[52:53]
	v_mul_f64 v[4:5], v[4:5], v[12:13]
	;; [unrolled: 17-line block ×5, first 2 shown]
	v_fma_f64 v[199:200], v[2:3], v[10:11], -v[4:5]
	v_add_f64 v[2:3], v[22:23], 0
	v_add_f64 v[4:5], v[24:25], 0
	s_delay_alu instid0(VALU_DEP_2) | instskip(NEXT) | instid1(VALU_DEP_2)
	v_add_f64 v[2:3], v[2:3], v[26:27]
	v_add_f64 v[4:5], v[4:5], v[28:29]
	s_delay_alu instid0(VALU_DEP_2) | instskip(NEXT) | instid1(VALU_DEP_2)
	;; [unrolled: 3-line block ×8, first 2 shown]
	v_add_f64 v[2:3], v[2:3], v[54:55]
	v_add_f64 v[10:11], v[4:5], v[52:53]
	s_delay_alu instid0(VALU_DEP_2)
	v_add_f64 v[12:13], v[2:3], v[58:59]
	scratch_load_b128 v[2:5], off, off offset:944
	v_add_f64 v[14:15], v[10:11], v[56:57]
	v_add_f64 v[16:17], v[12:13], v[90:91]
	scratch_load_b128 v[10:13], off, off offset:960
	v_add_f64 v[18:19], v[14:15], v[60:61]
	;; [unrolled: 3-line block ×3, first 2 shown]
	v_add_f64 v[20:21], v[20:21], v[191:192]
	s_delay_alu instid0(VALU_DEP_2) | instskip(NEXT) | instid1(VALU_DEP_2)
	v_add_f64 v[18:19], v[18:19], v[189:190]
	v_add_f64 v[28:29], v[20:21], v[195:196]
	s_delay_alu instid0(VALU_DEP_2)
	v_add_f64 v[34:35], v[18:19], v[193:194]
	ds_load_b128 v[18:21], v1 offset:1952
	ds_load_b128 v[22:25], v1 offset:1968
	s_waitcnt vmcnt(2) lgkmcnt(2)
	v_mul_f64 v[26:27], v[6:7], v[4:5]
	v_mul_f64 v[4:5], v[8:9], v[4:5]
	s_waitcnt vmcnt(1) lgkmcnt(1)
	v_mul_f64 v[36:37], v[18:19], v[12:13]
	s_delay_alu instid0(VALU_DEP_3) | instskip(NEXT) | instid1(VALU_DEP_3)
	v_fma_f64 v[8:9], v[8:9], v[2:3], v[26:27]
	v_fma_f64 v[1:2], v[6:7], v[2:3], -v[4:5]
	v_mul_f64 v[3:4], v[20:21], v[12:13]
	v_add_f64 v[5:6], v[28:29], v[199:200]
	v_add_f64 v[12:13], v[34:35], v[197:198]
	s_waitcnt vmcnt(0) lgkmcnt(0)
	v_mul_f64 v[26:27], v[22:23], v[16:17]
	v_mul_f64 v[16:17], v[24:25], v[16:17]
	v_fma_f64 v[20:21], v[20:21], v[10:11], v[36:37]
	v_fma_f64 v[3:4], v[18:19], v[10:11], -v[3:4]
	v_add_f64 v[1:2], v[5:6], v[1:2]
	v_add_f64 v[5:6], v[12:13], v[8:9]
	v_fma_f64 v[7:8], v[24:25], v[14:15], v[26:27]
	v_fma_f64 v[9:10], v[22:23], v[14:15], -v[16:17]
	s_delay_alu instid0(VALU_DEP_4) | instskip(NEXT) | instid1(VALU_DEP_4)
	v_add_f64 v[1:2], v[1:2], v[3:4]
	v_add_f64 v[3:4], v[5:6], v[20:21]
	s_delay_alu instid0(VALU_DEP_2) | instskip(NEXT) | instid1(VALU_DEP_2)
	v_add_f64 v[1:2], v[1:2], v[9:10]
	v_add_f64 v[3:4], v[3:4], v[7:8]
	s_delay_alu instid0(VALU_DEP_2) | instskip(NEXT) | instid1(VALU_DEP_2)
	v_add_f64 v[1:2], v[30:31], -v[1:2]
	v_add_f64 v[3:4], v[32:33], -v[3:4]
	scratch_store_b128 off, v[1:4], off offset:688
	v_cmpx_lt_u32_e32 42, v174
	s_cbranch_execz .LBB125_313
; %bb.312:
	scratch_load_b32 v1, off, off offset:1076 ; 4-byte Folded Reload
	v_mov_b32_e32 v5, 0
	s_delay_alu instid0(VALU_DEP_1)
	v_mov_b32_e32 v6, v5
	v_mov_b32_e32 v7, v5
	;; [unrolled: 1-line block ×3, first 2 shown]
	s_waitcnt vmcnt(0)
	scratch_load_b128 v[1:4], v1, off
	scratch_store_b128 off, v[5:8], off offset:672
	s_waitcnt vmcnt(0)
	ds_store_b128 v255, v[1:4]
.LBB125_313:
	s_or_b32 exec_lo, exec_lo, s2
	s_waitcnt lgkmcnt(0)
	s_waitcnt_vscnt null, 0x0
	s_barrier
	buffer_gl0_inv
	s_clause 0x4
	scratch_load_b128 v[2:5], off, off offset:688
	scratch_load_b128 v[6:9], off, off offset:704
	;; [unrolled: 1-line block ×5, first 2 shown]
	v_mov_b32_e32 v1, 0
	scratch_load_b128 v[26:29], off, off offset:672
	s_mov_b32 s2, exec_lo
	ds_load_b128 v[22:25], v1 offset:1680
	ds_load_b128 v[30:33], v1 offset:1696
	s_waitcnt vmcnt(5) lgkmcnt(1)
	v_mul_f64 v[34:35], v[24:25], v[4:5]
	v_mul_f64 v[4:5], v[22:23], v[4:5]
	s_waitcnt vmcnt(4) lgkmcnt(0)
	v_mul_f64 v[36:37], v[30:31], v[8:9]
	v_mul_f64 v[8:9], v[32:33], v[8:9]
	s_delay_alu instid0(VALU_DEP_4) | instskip(NEXT) | instid1(VALU_DEP_4)
	v_fma_f64 v[22:23], v[22:23], v[2:3], -v[34:35]
	v_fma_f64 v[24:25], v[24:25], v[2:3], v[4:5]
	ds_load_b128 v[2:5], v1 offset:1712
	v_fma_f64 v[32:33], v[32:33], v[6:7], v[36:37]
	v_fma_f64 v[30:31], v[30:31], v[6:7], -v[8:9]
	ds_load_b128 v[6:9], v1 offset:1728
	s_waitcnt vmcnt(3) lgkmcnt(1)
	v_mul_f64 v[34:35], v[2:3], v[12:13]
	v_mul_f64 v[12:13], v[4:5], v[12:13]
	s_waitcnt vmcnt(2) lgkmcnt(0)
	v_mul_f64 v[36:37], v[6:7], v[16:17]
	s_delay_alu instid0(VALU_DEP_3) | instskip(NEXT) | instid1(VALU_DEP_3)
	v_fma_f64 v[34:35], v[4:5], v[10:11], v[34:35]
	v_fma_f64 v[38:39], v[2:3], v[10:11], -v[12:13]
	v_mul_f64 v[10:11], v[8:9], v[16:17]
	ds_load_b128 v[2:5], v1 offset:1744
	v_fma_f64 v[16:17], v[8:9], v[14:15], v[36:37]
	v_fma_f64 v[14:15], v[6:7], v[14:15], -v[10:11]
	ds_load_b128 v[6:9], v1 offset:1760
	s_waitcnt vmcnt(1) lgkmcnt(1)
	v_mul_f64 v[10:11], v[2:3], v[20:21]
	v_mul_f64 v[12:13], v[4:5], v[20:21]
	s_delay_alu instid0(VALU_DEP_2) | instskip(NEXT) | instid1(VALU_DEP_2)
	v_fma_f64 v[20:21], v[4:5], v[18:19], v[10:11]
	v_fma_f64 v[18:19], v[2:3], v[18:19], -v[12:13]
	s_clause 0x1
	scratch_load_b128 v[2:5], off, off offset:768
	scratch_load_b128 v[10:13], off, off offset:784
	s_waitcnt vmcnt(1) lgkmcnt(0)
	v_mul_f64 v[36:37], v[6:7], v[4:5]
	v_mul_f64 v[4:5], v[8:9], v[4:5]
	s_delay_alu instid0(VALU_DEP_2) | instskip(NEXT) | instid1(VALU_DEP_2)
	v_fma_f64 v[36:37], v[8:9], v[2:3], v[36:37]
	v_fma_f64 v[40:41], v[6:7], v[2:3], -v[4:5]
	ds_load_b128 v[2:5], v1 offset:1776
	ds_load_b128 v[6:9], v1 offset:1792
	s_waitcnt vmcnt(0) lgkmcnt(1)
	v_mul_f64 v[42:43], v[2:3], v[12:13]
	s_delay_alu instid0(VALU_DEP_1) | instskip(SKIP_1) | instid1(VALU_DEP_1)
	v_fma_f64 v[42:43], v[4:5], v[10:11], v[42:43]
	v_mul_f64 v[4:5], v[4:5], v[12:13]
	v_fma_f64 v[44:45], v[2:3], v[10:11], -v[4:5]
	s_clause 0x1
	scratch_load_b128 v[2:5], off, off offset:800
	scratch_load_b128 v[10:13], off, off offset:816
	s_waitcnt vmcnt(1) lgkmcnt(0)
	v_mul_f64 v[46:47], v[6:7], v[4:5]
	v_mul_f64 v[4:5], v[8:9], v[4:5]
	s_delay_alu instid0(VALU_DEP_2) | instskip(NEXT) | instid1(VALU_DEP_2)
	v_fma_f64 v[46:47], v[8:9], v[2:3], v[46:47]
	v_fma_f64 v[48:49], v[6:7], v[2:3], -v[4:5]
	ds_load_b128 v[2:5], v1 offset:1808
	ds_load_b128 v[6:9], v1 offset:1824
	s_waitcnt vmcnt(0) lgkmcnt(1)
	v_mul_f64 v[52:53], v[2:3], v[12:13]
	s_delay_alu instid0(VALU_DEP_1) | instskip(SKIP_1) | instid1(VALU_DEP_1)
	v_fma_f64 v[52:53], v[4:5], v[10:11], v[52:53]
	v_mul_f64 v[4:5], v[4:5], v[12:13]
	;; [unrolled: 17-line block ×5, first 2 shown]
	v_fma_f64 v[199:200], v[2:3], v[10:11], -v[4:5]
	v_add_f64 v[2:3], v[22:23], 0
	v_add_f64 v[4:5], v[24:25], 0
	s_delay_alu instid0(VALU_DEP_2) | instskip(NEXT) | instid1(VALU_DEP_2)
	v_add_f64 v[2:3], v[2:3], v[30:31]
	v_add_f64 v[4:5], v[4:5], v[32:33]
	s_delay_alu instid0(VALU_DEP_2) | instskip(NEXT) | instid1(VALU_DEP_2)
	;; [unrolled: 3-line block ×8, first 2 shown]
	v_add_f64 v[2:3], v[2:3], v[54:55]
	v_add_f64 v[10:11], v[4:5], v[52:53]
	s_delay_alu instid0(VALU_DEP_2)
	v_add_f64 v[12:13], v[2:3], v[58:59]
	scratch_load_b128 v[2:5], off, off offset:928
	v_add_f64 v[14:15], v[10:11], v[56:57]
	v_add_f64 v[16:17], v[12:13], v[90:91]
	scratch_load_b128 v[10:13], off, off offset:944
	v_add_f64 v[18:19], v[14:15], v[60:61]
	;; [unrolled: 3-line block ×4, first 2 shown]
	v_add_f64 v[24:25], v[24:25], v[195:196]
	s_delay_alu instid0(VALU_DEP_2) | instskip(NEXT) | instid1(VALU_DEP_2)
	v_add_f64 v[22:23], v[22:23], v[193:194]
	v_add_f64 v[24:25], v[24:25], v[199:200]
	s_delay_alu instid0(VALU_DEP_2) | instskip(SKIP_3) | instid1(VALU_DEP_2)
	v_add_f64 v[22:23], v[22:23], v[197:198]
	s_waitcnt vmcnt(3) lgkmcnt(0)
	v_mul_f64 v[30:31], v[6:7], v[4:5]
	v_mul_f64 v[4:5], v[8:9], v[4:5]
	v_fma_f64 v[30:31], v[8:9], v[2:3], v[30:31]
	s_delay_alu instid0(VALU_DEP_2)
	v_fma_f64 v[32:33], v[6:7], v[2:3], -v[4:5]
	ds_load_b128 v[2:5], v1 offset:1936
	ds_load_b128 v[6:9], v1 offset:1952
	s_waitcnt vmcnt(2) lgkmcnt(1)
	v_mul_f64 v[34:35], v[2:3], v[12:13]
	v_mul_f64 v[12:13], v[4:5], v[12:13]
	s_waitcnt vmcnt(1) lgkmcnt(0)
	v_mul_f64 v[36:37], v[6:7], v[16:17]
	v_add_f64 v[22:23], v[22:23], v[30:31]
	s_delay_alu instid0(VALU_DEP_4) | instskip(NEXT) | instid1(VALU_DEP_4)
	v_fma_f64 v[34:35], v[4:5], v[10:11], v[34:35]
	v_fma_f64 v[10:11], v[2:3], v[10:11], -v[12:13]
	v_mul_f64 v[12:13], v[8:9], v[16:17]
	v_add_f64 v[16:17], v[24:25], v[32:33]
	ds_load_b128 v[2:5], v1 offset:1968
	v_fma_f64 v[8:9], v[8:9], v[14:15], v[36:37]
	s_waitcnt vmcnt(0) lgkmcnt(0)
	v_mul_f64 v[24:25], v[2:3], v[20:21]
	v_mul_f64 v[20:21], v[4:5], v[20:21]
	v_fma_f64 v[6:7], v[6:7], v[14:15], -v[12:13]
	v_add_f64 v[10:11], v[16:17], v[10:11]
	v_add_f64 v[12:13], v[22:23], v[34:35]
	v_fma_f64 v[4:5], v[4:5], v[18:19], v[24:25]
	v_fma_f64 v[2:3], v[2:3], v[18:19], -v[20:21]
	s_delay_alu instid0(VALU_DEP_4) | instskip(NEXT) | instid1(VALU_DEP_4)
	v_add_f64 v[6:7], v[10:11], v[6:7]
	v_add_f64 v[8:9], v[12:13], v[8:9]
	s_delay_alu instid0(VALU_DEP_2) | instskip(NEXT) | instid1(VALU_DEP_2)
	v_add_f64 v[2:3], v[6:7], v[2:3]
	v_add_f64 v[4:5], v[8:9], v[4:5]
	s_delay_alu instid0(VALU_DEP_2) | instskip(NEXT) | instid1(VALU_DEP_2)
	v_add_f64 v[2:3], v[26:27], -v[2:3]
	v_add_f64 v[4:5], v[28:29], -v[4:5]
	scratch_store_b128 off, v[2:5], off offset:672
	v_cmpx_lt_u32_e32 41, v174
	s_cbranch_execz .LBB125_315
; %bb.314:
	scratch_load_b32 v2, off, off offset:1088 ; 4-byte Folded Reload
	v_mov_b32_e32 v3, v1
	v_mov_b32_e32 v4, v1
	s_waitcnt vmcnt(0)
	scratch_load_b128 v[5:8], v2, off
	v_mov_b32_e32 v2, v1
	scratch_store_b128 off, v[1:4], off offset:656
	s_waitcnt vmcnt(0)
	ds_store_b128 v255, v[5:8]
.LBB125_315:
	s_or_b32 exec_lo, exec_lo, s2
	s_waitcnt lgkmcnt(0)
	s_waitcnt_vscnt null, 0x0
	s_barrier
	buffer_gl0_inv
	s_clause 0x4
	scratch_load_b128 v[2:5], off, off offset:672
	scratch_load_b128 v[6:9], off, off offset:688
	;; [unrolled: 1-line block ×5, first 2 shown]
	ds_load_b128 v[22:25], v1 offset:1664
	ds_load_b128 v[26:29], v1 offset:1680
	scratch_load_b128 v[30:33], off, off offset:656
	s_mov_b32 s2, exec_lo
	s_waitcnt vmcnt(5) lgkmcnt(1)
	v_mul_f64 v[34:35], v[24:25], v[4:5]
	v_mul_f64 v[4:5], v[22:23], v[4:5]
	s_waitcnt vmcnt(4) lgkmcnt(0)
	v_mul_f64 v[36:37], v[26:27], v[8:9]
	v_mul_f64 v[8:9], v[28:29], v[8:9]
	s_delay_alu instid0(VALU_DEP_4) | instskip(NEXT) | instid1(VALU_DEP_4)
	v_fma_f64 v[22:23], v[22:23], v[2:3], -v[34:35]
	v_fma_f64 v[24:25], v[24:25], v[2:3], v[4:5]
	ds_load_b128 v[2:5], v1 offset:1696
	v_fma_f64 v[28:29], v[28:29], v[6:7], v[36:37]
	v_fma_f64 v[26:27], v[26:27], v[6:7], -v[8:9]
	ds_load_b128 v[6:9], v1 offset:1712
	s_waitcnt vmcnt(3) lgkmcnt(1)
	v_mul_f64 v[34:35], v[2:3], v[12:13]
	v_mul_f64 v[12:13], v[4:5], v[12:13]
	s_waitcnt vmcnt(2) lgkmcnt(0)
	v_mul_f64 v[36:37], v[6:7], v[16:17]
	s_delay_alu instid0(VALU_DEP_3) | instskip(NEXT) | instid1(VALU_DEP_3)
	v_fma_f64 v[34:35], v[4:5], v[10:11], v[34:35]
	v_fma_f64 v[38:39], v[2:3], v[10:11], -v[12:13]
	v_mul_f64 v[10:11], v[8:9], v[16:17]
	ds_load_b128 v[2:5], v1 offset:1728
	v_fma_f64 v[16:17], v[8:9], v[14:15], v[36:37]
	v_fma_f64 v[14:15], v[6:7], v[14:15], -v[10:11]
	ds_load_b128 v[6:9], v1 offset:1744
	s_waitcnt vmcnt(1) lgkmcnt(1)
	v_mul_f64 v[10:11], v[2:3], v[20:21]
	v_mul_f64 v[12:13], v[4:5], v[20:21]
	s_delay_alu instid0(VALU_DEP_2) | instskip(NEXT) | instid1(VALU_DEP_2)
	v_fma_f64 v[20:21], v[4:5], v[18:19], v[10:11]
	v_fma_f64 v[18:19], v[2:3], v[18:19], -v[12:13]
	s_clause 0x1
	scratch_load_b128 v[2:5], off, off offset:752
	scratch_load_b128 v[10:13], off, off offset:768
	s_waitcnt vmcnt(1) lgkmcnt(0)
	v_mul_f64 v[36:37], v[6:7], v[4:5]
	v_mul_f64 v[4:5], v[8:9], v[4:5]
	s_delay_alu instid0(VALU_DEP_2) | instskip(NEXT) | instid1(VALU_DEP_2)
	v_fma_f64 v[36:37], v[8:9], v[2:3], v[36:37]
	v_fma_f64 v[40:41], v[6:7], v[2:3], -v[4:5]
	ds_load_b128 v[2:5], v1 offset:1760
	ds_load_b128 v[6:9], v1 offset:1776
	s_waitcnt vmcnt(0) lgkmcnt(1)
	v_mul_f64 v[42:43], v[2:3], v[12:13]
	s_delay_alu instid0(VALU_DEP_1) | instskip(SKIP_1) | instid1(VALU_DEP_1)
	v_fma_f64 v[42:43], v[4:5], v[10:11], v[42:43]
	v_mul_f64 v[4:5], v[4:5], v[12:13]
	v_fma_f64 v[44:45], v[2:3], v[10:11], -v[4:5]
	s_clause 0x1
	scratch_load_b128 v[2:5], off, off offset:784
	scratch_load_b128 v[10:13], off, off offset:800
	s_waitcnt vmcnt(1) lgkmcnt(0)
	v_mul_f64 v[46:47], v[6:7], v[4:5]
	v_mul_f64 v[4:5], v[8:9], v[4:5]
	s_delay_alu instid0(VALU_DEP_2) | instskip(NEXT) | instid1(VALU_DEP_2)
	v_fma_f64 v[46:47], v[8:9], v[2:3], v[46:47]
	v_fma_f64 v[48:49], v[6:7], v[2:3], -v[4:5]
	ds_load_b128 v[2:5], v1 offset:1792
	ds_load_b128 v[6:9], v1 offset:1808
	s_waitcnt vmcnt(0) lgkmcnt(1)
	v_mul_f64 v[52:53], v[2:3], v[12:13]
	s_delay_alu instid0(VALU_DEP_1) | instskip(SKIP_1) | instid1(VALU_DEP_1)
	v_fma_f64 v[52:53], v[4:5], v[10:11], v[52:53]
	v_mul_f64 v[4:5], v[4:5], v[12:13]
	;; [unrolled: 17-line block ×6, first 2 shown]
	v_fma_f64 v[217:218], v[2:3], v[10:11], -v[4:5]
	v_add_f64 v[2:3], v[22:23], 0
	v_add_f64 v[4:5], v[24:25], 0
	s_delay_alu instid0(VALU_DEP_2) | instskip(NEXT) | instid1(VALU_DEP_2)
	v_add_f64 v[2:3], v[2:3], v[26:27]
	v_add_f64 v[4:5], v[4:5], v[28:29]
	s_delay_alu instid0(VALU_DEP_2) | instskip(NEXT) | instid1(VALU_DEP_2)
	;; [unrolled: 3-line block ×10, first 2 shown]
	v_add_f64 v[2:3], v[2:3], v[90:91]
	v_add_f64 v[10:11], v[4:5], v[60:61]
	s_delay_alu instid0(VALU_DEP_2)
	v_add_f64 v[12:13], v[2:3], v[187:188]
	scratch_load_b128 v[2:5], off, off offset:944
	v_add_f64 v[14:15], v[10:11], v[185:186]
	v_add_f64 v[16:17], v[12:13], v[191:192]
	scratch_load_b128 v[10:13], off, off offset:960
	v_add_f64 v[18:19], v[14:15], v[189:190]
	;; [unrolled: 3-line block ×3, first 2 shown]
	v_add_f64 v[20:21], v[20:21], v[199:200]
	s_delay_alu instid0(VALU_DEP_2) | instskip(NEXT) | instid1(VALU_DEP_2)
	v_add_f64 v[18:19], v[18:19], v[197:198]
	v_add_f64 v[28:29], v[20:21], v[206:207]
	s_delay_alu instid0(VALU_DEP_2)
	v_add_f64 v[34:35], v[18:19], v[201:202]
	ds_load_b128 v[18:21], v1 offset:1952
	ds_load_b128 v[22:25], v1 offset:1968
	s_waitcnt vmcnt(2) lgkmcnt(2)
	v_mul_f64 v[26:27], v[6:7], v[4:5]
	v_mul_f64 v[4:5], v[8:9], v[4:5]
	s_waitcnt vmcnt(1) lgkmcnt(1)
	v_mul_f64 v[36:37], v[18:19], v[12:13]
	s_delay_alu instid0(VALU_DEP_3) | instskip(NEXT) | instid1(VALU_DEP_3)
	v_fma_f64 v[8:9], v[8:9], v[2:3], v[26:27]
	v_fma_f64 v[1:2], v[6:7], v[2:3], -v[4:5]
	v_mul_f64 v[3:4], v[20:21], v[12:13]
	v_add_f64 v[5:6], v[28:29], v[217:218]
	v_add_f64 v[12:13], v[34:35], v[211:212]
	s_waitcnt vmcnt(0) lgkmcnt(0)
	v_mul_f64 v[26:27], v[22:23], v[16:17]
	v_mul_f64 v[16:17], v[24:25], v[16:17]
	v_fma_f64 v[20:21], v[20:21], v[10:11], v[36:37]
	v_fma_f64 v[3:4], v[18:19], v[10:11], -v[3:4]
	v_add_f64 v[1:2], v[5:6], v[1:2]
	v_add_f64 v[5:6], v[12:13], v[8:9]
	v_fma_f64 v[7:8], v[24:25], v[14:15], v[26:27]
	v_fma_f64 v[9:10], v[22:23], v[14:15], -v[16:17]
	s_delay_alu instid0(VALU_DEP_4) | instskip(NEXT) | instid1(VALU_DEP_4)
	v_add_f64 v[1:2], v[1:2], v[3:4]
	v_add_f64 v[3:4], v[5:6], v[20:21]
	s_delay_alu instid0(VALU_DEP_2) | instskip(NEXT) | instid1(VALU_DEP_2)
	v_add_f64 v[1:2], v[1:2], v[9:10]
	v_add_f64 v[3:4], v[3:4], v[7:8]
	s_delay_alu instid0(VALU_DEP_2) | instskip(NEXT) | instid1(VALU_DEP_2)
	v_add_f64 v[1:2], v[30:31], -v[1:2]
	v_add_f64 v[3:4], v[32:33], -v[3:4]
	scratch_store_b128 off, v[1:4], off offset:656
	v_cmpx_lt_u32_e32 40, v174
	s_cbranch_execz .LBB125_317
; %bb.316:
	scratch_load_b32 v1, off, off offset:1092 ; 4-byte Folded Reload
	v_mov_b32_e32 v5, 0
	s_delay_alu instid0(VALU_DEP_1)
	v_mov_b32_e32 v6, v5
	v_mov_b32_e32 v7, v5
	v_mov_b32_e32 v8, v5
	s_waitcnt vmcnt(0)
	scratch_load_b128 v[1:4], v1, off
	scratch_store_b128 off, v[5:8], off offset:640
	s_waitcnt vmcnt(0)
	ds_store_b128 v255, v[1:4]
.LBB125_317:
	s_or_b32 exec_lo, exec_lo, s2
	s_waitcnt lgkmcnt(0)
	s_waitcnt_vscnt null, 0x0
	s_barrier
	buffer_gl0_inv
	s_clause 0x4
	scratch_load_b128 v[2:5], off, off offset:656
	scratch_load_b128 v[6:9], off, off offset:672
	;; [unrolled: 1-line block ×5, first 2 shown]
	v_mov_b32_e32 v1, 0
	scratch_load_b128 v[26:29], off, off offset:640
	s_mov_b32 s2, exec_lo
	ds_load_b128 v[22:25], v1 offset:1648
	ds_load_b128 v[30:33], v1 offset:1664
	s_waitcnt vmcnt(5) lgkmcnt(1)
	v_mul_f64 v[34:35], v[24:25], v[4:5]
	v_mul_f64 v[4:5], v[22:23], v[4:5]
	s_waitcnt vmcnt(4) lgkmcnt(0)
	v_mul_f64 v[36:37], v[30:31], v[8:9]
	v_mul_f64 v[8:9], v[32:33], v[8:9]
	s_delay_alu instid0(VALU_DEP_4) | instskip(NEXT) | instid1(VALU_DEP_4)
	v_fma_f64 v[22:23], v[22:23], v[2:3], -v[34:35]
	v_fma_f64 v[24:25], v[24:25], v[2:3], v[4:5]
	ds_load_b128 v[2:5], v1 offset:1680
	v_fma_f64 v[32:33], v[32:33], v[6:7], v[36:37]
	v_fma_f64 v[30:31], v[30:31], v[6:7], -v[8:9]
	ds_load_b128 v[6:9], v1 offset:1696
	s_waitcnt vmcnt(3) lgkmcnt(1)
	v_mul_f64 v[34:35], v[2:3], v[12:13]
	v_mul_f64 v[12:13], v[4:5], v[12:13]
	s_waitcnt vmcnt(2) lgkmcnt(0)
	v_mul_f64 v[36:37], v[6:7], v[16:17]
	s_delay_alu instid0(VALU_DEP_3) | instskip(NEXT) | instid1(VALU_DEP_3)
	v_fma_f64 v[34:35], v[4:5], v[10:11], v[34:35]
	v_fma_f64 v[38:39], v[2:3], v[10:11], -v[12:13]
	v_mul_f64 v[10:11], v[8:9], v[16:17]
	ds_load_b128 v[2:5], v1 offset:1712
	v_fma_f64 v[16:17], v[8:9], v[14:15], v[36:37]
	v_fma_f64 v[14:15], v[6:7], v[14:15], -v[10:11]
	ds_load_b128 v[6:9], v1 offset:1728
	s_waitcnt vmcnt(1) lgkmcnt(1)
	v_mul_f64 v[10:11], v[2:3], v[20:21]
	v_mul_f64 v[12:13], v[4:5], v[20:21]
	s_delay_alu instid0(VALU_DEP_2) | instskip(NEXT) | instid1(VALU_DEP_2)
	v_fma_f64 v[20:21], v[4:5], v[18:19], v[10:11]
	v_fma_f64 v[18:19], v[2:3], v[18:19], -v[12:13]
	s_clause 0x1
	scratch_load_b128 v[2:5], off, off offset:736
	scratch_load_b128 v[10:13], off, off offset:752
	s_waitcnt vmcnt(1) lgkmcnt(0)
	v_mul_f64 v[36:37], v[6:7], v[4:5]
	v_mul_f64 v[4:5], v[8:9], v[4:5]
	s_delay_alu instid0(VALU_DEP_2) | instskip(NEXT) | instid1(VALU_DEP_2)
	v_fma_f64 v[36:37], v[8:9], v[2:3], v[36:37]
	v_fma_f64 v[40:41], v[6:7], v[2:3], -v[4:5]
	ds_load_b128 v[2:5], v1 offset:1744
	ds_load_b128 v[6:9], v1 offset:1760
	s_waitcnt vmcnt(0) lgkmcnt(1)
	v_mul_f64 v[42:43], v[2:3], v[12:13]
	s_delay_alu instid0(VALU_DEP_1) | instskip(SKIP_1) | instid1(VALU_DEP_1)
	v_fma_f64 v[42:43], v[4:5], v[10:11], v[42:43]
	v_mul_f64 v[4:5], v[4:5], v[12:13]
	v_fma_f64 v[44:45], v[2:3], v[10:11], -v[4:5]
	s_clause 0x1
	scratch_load_b128 v[2:5], off, off offset:768
	scratch_load_b128 v[10:13], off, off offset:784
	s_waitcnt vmcnt(1) lgkmcnt(0)
	v_mul_f64 v[46:47], v[6:7], v[4:5]
	v_mul_f64 v[4:5], v[8:9], v[4:5]
	s_delay_alu instid0(VALU_DEP_2) | instskip(NEXT) | instid1(VALU_DEP_2)
	v_fma_f64 v[46:47], v[8:9], v[2:3], v[46:47]
	v_fma_f64 v[48:49], v[6:7], v[2:3], -v[4:5]
	ds_load_b128 v[2:5], v1 offset:1776
	ds_load_b128 v[6:9], v1 offset:1792
	s_waitcnt vmcnt(0) lgkmcnt(1)
	v_mul_f64 v[52:53], v[2:3], v[12:13]
	s_delay_alu instid0(VALU_DEP_1) | instskip(SKIP_1) | instid1(VALU_DEP_1)
	v_fma_f64 v[52:53], v[4:5], v[10:11], v[52:53]
	v_mul_f64 v[4:5], v[4:5], v[12:13]
	;; [unrolled: 17-line block ×6, first 2 shown]
	v_fma_f64 v[217:218], v[2:3], v[10:11], -v[4:5]
	v_add_f64 v[2:3], v[22:23], 0
	v_add_f64 v[4:5], v[24:25], 0
	s_delay_alu instid0(VALU_DEP_2) | instskip(NEXT) | instid1(VALU_DEP_2)
	v_add_f64 v[2:3], v[2:3], v[30:31]
	v_add_f64 v[4:5], v[4:5], v[32:33]
	s_delay_alu instid0(VALU_DEP_2) | instskip(NEXT) | instid1(VALU_DEP_2)
	v_add_f64 v[2:3], v[2:3], v[38:39]
	v_add_f64 v[4:5], v[4:5], v[34:35]
	s_delay_alu instid0(VALU_DEP_2) | instskip(NEXT) | instid1(VALU_DEP_2)
	v_add_f64 v[2:3], v[2:3], v[14:15]
	v_add_f64 v[4:5], v[4:5], v[16:17]
	s_delay_alu instid0(VALU_DEP_2) | instskip(NEXT) | instid1(VALU_DEP_2)
	v_add_f64 v[2:3], v[2:3], v[18:19]
	v_add_f64 v[4:5], v[4:5], v[20:21]
	s_delay_alu instid0(VALU_DEP_2) | instskip(NEXT) | instid1(VALU_DEP_2)
	v_add_f64 v[2:3], v[2:3], v[40:41]
	v_add_f64 v[4:5], v[4:5], v[36:37]
	s_delay_alu instid0(VALU_DEP_2) | instskip(NEXT) | instid1(VALU_DEP_2)
	v_add_f64 v[2:3], v[2:3], v[44:45]
	v_add_f64 v[4:5], v[4:5], v[42:43]
	s_delay_alu instid0(VALU_DEP_2) | instskip(NEXT) | instid1(VALU_DEP_2)
	v_add_f64 v[2:3], v[2:3], v[48:49]
	v_add_f64 v[4:5], v[4:5], v[46:47]
	s_delay_alu instid0(VALU_DEP_2) | instskip(NEXT) | instid1(VALU_DEP_2)
	v_add_f64 v[2:3], v[2:3], v[54:55]
	v_add_f64 v[4:5], v[4:5], v[52:53]
	s_delay_alu instid0(VALU_DEP_2) | instskip(NEXT) | instid1(VALU_DEP_2)
	v_add_f64 v[2:3], v[2:3], v[58:59]
	v_add_f64 v[4:5], v[4:5], v[56:57]
	s_delay_alu instid0(VALU_DEP_2) | instskip(NEXT) | instid1(VALU_DEP_2)
	v_add_f64 v[2:3], v[2:3], v[90:91]
	v_add_f64 v[10:11], v[4:5], v[60:61]
	s_delay_alu instid0(VALU_DEP_2)
	v_add_f64 v[12:13], v[2:3], v[187:188]
	scratch_load_b128 v[2:5], off, off offset:928
	v_add_f64 v[14:15], v[10:11], v[185:186]
	v_add_f64 v[16:17], v[12:13], v[191:192]
	scratch_load_b128 v[10:13], off, off offset:944
	v_add_f64 v[18:19], v[14:15], v[189:190]
	;; [unrolled: 3-line block ×4, first 2 shown]
	v_add_f64 v[24:25], v[24:25], v[206:207]
	s_delay_alu instid0(VALU_DEP_2) | instskip(NEXT) | instid1(VALU_DEP_2)
	v_add_f64 v[22:23], v[22:23], v[201:202]
	v_add_f64 v[24:25], v[24:25], v[217:218]
	s_delay_alu instid0(VALU_DEP_2) | instskip(SKIP_3) | instid1(VALU_DEP_2)
	v_add_f64 v[22:23], v[22:23], v[211:212]
	s_waitcnt vmcnt(3) lgkmcnt(0)
	v_mul_f64 v[30:31], v[6:7], v[4:5]
	v_mul_f64 v[4:5], v[8:9], v[4:5]
	v_fma_f64 v[30:31], v[8:9], v[2:3], v[30:31]
	s_delay_alu instid0(VALU_DEP_2)
	v_fma_f64 v[32:33], v[6:7], v[2:3], -v[4:5]
	ds_load_b128 v[2:5], v1 offset:1936
	ds_load_b128 v[6:9], v1 offset:1952
	s_waitcnt vmcnt(2) lgkmcnt(1)
	v_mul_f64 v[34:35], v[2:3], v[12:13]
	v_mul_f64 v[12:13], v[4:5], v[12:13]
	s_waitcnt vmcnt(1) lgkmcnt(0)
	v_mul_f64 v[36:37], v[6:7], v[16:17]
	v_add_f64 v[22:23], v[22:23], v[30:31]
	s_delay_alu instid0(VALU_DEP_4) | instskip(NEXT) | instid1(VALU_DEP_4)
	v_fma_f64 v[34:35], v[4:5], v[10:11], v[34:35]
	v_fma_f64 v[10:11], v[2:3], v[10:11], -v[12:13]
	v_mul_f64 v[12:13], v[8:9], v[16:17]
	v_add_f64 v[16:17], v[24:25], v[32:33]
	ds_load_b128 v[2:5], v1 offset:1968
	v_fma_f64 v[8:9], v[8:9], v[14:15], v[36:37]
	s_waitcnt vmcnt(0) lgkmcnt(0)
	v_mul_f64 v[24:25], v[2:3], v[20:21]
	v_mul_f64 v[20:21], v[4:5], v[20:21]
	v_fma_f64 v[6:7], v[6:7], v[14:15], -v[12:13]
	v_add_f64 v[10:11], v[16:17], v[10:11]
	v_add_f64 v[12:13], v[22:23], v[34:35]
	v_fma_f64 v[4:5], v[4:5], v[18:19], v[24:25]
	v_fma_f64 v[2:3], v[2:3], v[18:19], -v[20:21]
	s_delay_alu instid0(VALU_DEP_4) | instskip(NEXT) | instid1(VALU_DEP_4)
	v_add_f64 v[6:7], v[10:11], v[6:7]
	v_add_f64 v[8:9], v[12:13], v[8:9]
	s_delay_alu instid0(VALU_DEP_2) | instskip(NEXT) | instid1(VALU_DEP_2)
	v_add_f64 v[2:3], v[6:7], v[2:3]
	v_add_f64 v[4:5], v[8:9], v[4:5]
	s_delay_alu instid0(VALU_DEP_2) | instskip(NEXT) | instid1(VALU_DEP_2)
	v_add_f64 v[2:3], v[26:27], -v[2:3]
	v_add_f64 v[4:5], v[28:29], -v[4:5]
	scratch_store_b128 off, v[2:5], off offset:640
	v_cmpx_lt_u32_e32 39, v174
	s_cbranch_execz .LBB125_319
; %bb.318:
	scratch_load_b32 v2, off, off offset:1104 ; 4-byte Folded Reload
	v_mov_b32_e32 v3, v1
	v_mov_b32_e32 v4, v1
	s_waitcnt vmcnt(0)
	scratch_load_b128 v[5:8], v2, off
	v_mov_b32_e32 v2, v1
	scratch_store_b128 off, v[1:4], off offset:624
	s_waitcnt vmcnt(0)
	ds_store_b128 v255, v[5:8]
.LBB125_319:
	s_or_b32 exec_lo, exec_lo, s2
	s_waitcnt lgkmcnt(0)
	s_waitcnt_vscnt null, 0x0
	s_barrier
	buffer_gl0_inv
	s_clause 0x4
	scratch_load_b128 v[2:5], off, off offset:640
	scratch_load_b128 v[6:9], off, off offset:656
	;; [unrolled: 1-line block ×5, first 2 shown]
	ds_load_b128 v[22:25], v1 offset:1632
	ds_load_b128 v[26:29], v1 offset:1648
	scratch_load_b128 v[30:33], off, off offset:624
	s_mov_b32 s2, exec_lo
	s_waitcnt vmcnt(5) lgkmcnt(1)
	v_mul_f64 v[34:35], v[24:25], v[4:5]
	v_mul_f64 v[4:5], v[22:23], v[4:5]
	s_waitcnt vmcnt(4) lgkmcnt(0)
	v_mul_f64 v[36:37], v[26:27], v[8:9]
	v_mul_f64 v[8:9], v[28:29], v[8:9]
	s_delay_alu instid0(VALU_DEP_4) | instskip(NEXT) | instid1(VALU_DEP_4)
	v_fma_f64 v[22:23], v[22:23], v[2:3], -v[34:35]
	v_fma_f64 v[24:25], v[24:25], v[2:3], v[4:5]
	ds_load_b128 v[2:5], v1 offset:1664
	v_fma_f64 v[28:29], v[28:29], v[6:7], v[36:37]
	v_fma_f64 v[26:27], v[26:27], v[6:7], -v[8:9]
	ds_load_b128 v[6:9], v1 offset:1680
	s_waitcnt vmcnt(3) lgkmcnt(1)
	v_mul_f64 v[34:35], v[2:3], v[12:13]
	v_mul_f64 v[12:13], v[4:5], v[12:13]
	s_waitcnt vmcnt(2) lgkmcnt(0)
	v_mul_f64 v[36:37], v[6:7], v[16:17]
	s_delay_alu instid0(VALU_DEP_3) | instskip(NEXT) | instid1(VALU_DEP_3)
	v_fma_f64 v[34:35], v[4:5], v[10:11], v[34:35]
	v_fma_f64 v[38:39], v[2:3], v[10:11], -v[12:13]
	v_mul_f64 v[10:11], v[8:9], v[16:17]
	ds_load_b128 v[2:5], v1 offset:1696
	v_fma_f64 v[16:17], v[8:9], v[14:15], v[36:37]
	v_fma_f64 v[14:15], v[6:7], v[14:15], -v[10:11]
	ds_load_b128 v[6:9], v1 offset:1712
	s_waitcnt vmcnt(1) lgkmcnt(1)
	v_mul_f64 v[10:11], v[2:3], v[20:21]
	v_mul_f64 v[12:13], v[4:5], v[20:21]
	s_delay_alu instid0(VALU_DEP_2) | instskip(NEXT) | instid1(VALU_DEP_2)
	v_fma_f64 v[20:21], v[4:5], v[18:19], v[10:11]
	v_fma_f64 v[18:19], v[2:3], v[18:19], -v[12:13]
	s_clause 0x1
	scratch_load_b128 v[2:5], off, off offset:720
	scratch_load_b128 v[10:13], off, off offset:736
	s_waitcnt vmcnt(1) lgkmcnt(0)
	v_mul_f64 v[36:37], v[6:7], v[4:5]
	v_mul_f64 v[4:5], v[8:9], v[4:5]
	s_delay_alu instid0(VALU_DEP_2) | instskip(NEXT) | instid1(VALU_DEP_2)
	v_fma_f64 v[36:37], v[8:9], v[2:3], v[36:37]
	v_fma_f64 v[40:41], v[6:7], v[2:3], -v[4:5]
	ds_load_b128 v[2:5], v1 offset:1728
	ds_load_b128 v[6:9], v1 offset:1744
	s_waitcnt vmcnt(0) lgkmcnt(1)
	v_mul_f64 v[42:43], v[2:3], v[12:13]
	s_delay_alu instid0(VALU_DEP_1) | instskip(SKIP_1) | instid1(VALU_DEP_1)
	v_fma_f64 v[42:43], v[4:5], v[10:11], v[42:43]
	v_mul_f64 v[4:5], v[4:5], v[12:13]
	v_fma_f64 v[44:45], v[2:3], v[10:11], -v[4:5]
	s_clause 0x1
	scratch_load_b128 v[2:5], off, off offset:752
	scratch_load_b128 v[10:13], off, off offset:768
	s_waitcnt vmcnt(1) lgkmcnt(0)
	v_mul_f64 v[46:47], v[6:7], v[4:5]
	v_mul_f64 v[4:5], v[8:9], v[4:5]
	s_delay_alu instid0(VALU_DEP_2) | instskip(NEXT) | instid1(VALU_DEP_2)
	v_fma_f64 v[46:47], v[8:9], v[2:3], v[46:47]
	v_fma_f64 v[48:49], v[6:7], v[2:3], -v[4:5]
	ds_load_b128 v[2:5], v1 offset:1760
	ds_load_b128 v[6:9], v1 offset:1776
	s_waitcnt vmcnt(0) lgkmcnt(1)
	v_mul_f64 v[52:53], v[2:3], v[12:13]
	s_delay_alu instid0(VALU_DEP_1) | instskip(SKIP_1) | instid1(VALU_DEP_1)
	v_fma_f64 v[52:53], v[4:5], v[10:11], v[52:53]
	v_mul_f64 v[4:5], v[4:5], v[12:13]
	;; [unrolled: 17-line block ×7, first 2 shown]
	v_fma_f64 v[239:240], v[2:3], v[10:11], -v[4:5]
	v_add_f64 v[2:3], v[22:23], 0
	v_add_f64 v[4:5], v[24:25], 0
	s_delay_alu instid0(VALU_DEP_2) | instskip(NEXT) | instid1(VALU_DEP_2)
	v_add_f64 v[2:3], v[2:3], v[26:27]
	v_add_f64 v[4:5], v[4:5], v[28:29]
	s_delay_alu instid0(VALU_DEP_2) | instskip(NEXT) | instid1(VALU_DEP_2)
	;; [unrolled: 3-line block ×12, first 2 shown]
	v_add_f64 v[2:3], v[2:3], v[191:192]
	v_add_f64 v[10:11], v[4:5], v[189:190]
	s_delay_alu instid0(VALU_DEP_2)
	v_add_f64 v[12:13], v[2:3], v[195:196]
	scratch_load_b128 v[2:5], off, off offset:944
	v_add_f64 v[14:15], v[10:11], v[193:194]
	v_add_f64 v[16:17], v[12:13], v[199:200]
	scratch_load_b128 v[10:13], off, off offset:960
	v_add_f64 v[18:19], v[14:15], v[197:198]
	;; [unrolled: 3-line block ×3, first 2 shown]
	v_add_f64 v[20:21], v[20:21], v[217:218]
	s_delay_alu instid0(VALU_DEP_2) | instskip(NEXT) | instid1(VALU_DEP_2)
	v_add_f64 v[18:19], v[18:19], v[211:212]
	v_add_f64 v[28:29], v[20:21], v[233:234]
	s_delay_alu instid0(VALU_DEP_2)
	v_add_f64 v[34:35], v[18:19], v[231:232]
	ds_load_b128 v[18:21], v1 offset:1952
	ds_load_b128 v[22:25], v1 offset:1968
	s_waitcnt vmcnt(2) lgkmcnt(2)
	v_mul_f64 v[26:27], v[6:7], v[4:5]
	v_mul_f64 v[4:5], v[8:9], v[4:5]
	s_waitcnt vmcnt(1) lgkmcnt(1)
	v_mul_f64 v[36:37], v[18:19], v[12:13]
	s_delay_alu instid0(VALU_DEP_3) | instskip(NEXT) | instid1(VALU_DEP_3)
	v_fma_f64 v[8:9], v[8:9], v[2:3], v[26:27]
	v_fma_f64 v[1:2], v[6:7], v[2:3], -v[4:5]
	v_mul_f64 v[3:4], v[20:21], v[12:13]
	v_add_f64 v[5:6], v[28:29], v[239:240]
	v_add_f64 v[12:13], v[34:35], v[237:238]
	s_waitcnt vmcnt(0) lgkmcnt(0)
	v_mul_f64 v[26:27], v[22:23], v[16:17]
	v_mul_f64 v[16:17], v[24:25], v[16:17]
	v_fma_f64 v[20:21], v[20:21], v[10:11], v[36:37]
	v_fma_f64 v[3:4], v[18:19], v[10:11], -v[3:4]
	v_add_f64 v[1:2], v[5:6], v[1:2]
	v_add_f64 v[5:6], v[12:13], v[8:9]
	v_fma_f64 v[7:8], v[24:25], v[14:15], v[26:27]
	v_fma_f64 v[9:10], v[22:23], v[14:15], -v[16:17]
	s_delay_alu instid0(VALU_DEP_4) | instskip(NEXT) | instid1(VALU_DEP_4)
	v_add_f64 v[1:2], v[1:2], v[3:4]
	v_add_f64 v[3:4], v[5:6], v[20:21]
	s_delay_alu instid0(VALU_DEP_2) | instskip(NEXT) | instid1(VALU_DEP_2)
	v_add_f64 v[1:2], v[1:2], v[9:10]
	v_add_f64 v[3:4], v[3:4], v[7:8]
	s_delay_alu instid0(VALU_DEP_2) | instskip(NEXT) | instid1(VALU_DEP_2)
	v_add_f64 v[1:2], v[30:31], -v[1:2]
	v_add_f64 v[3:4], v[32:33], -v[3:4]
	scratch_store_b128 off, v[1:4], off offset:624
	v_cmpx_lt_u32_e32 38, v174
	s_cbranch_execz .LBB125_321
; %bb.320:
	scratch_load_b32 v1, off, off offset:1108 ; 4-byte Folded Reload
	v_mov_b32_e32 v5, 0
	s_delay_alu instid0(VALU_DEP_1)
	v_mov_b32_e32 v6, v5
	v_mov_b32_e32 v7, v5
	;; [unrolled: 1-line block ×3, first 2 shown]
	s_waitcnt vmcnt(0)
	scratch_load_b128 v[1:4], v1, off
	scratch_store_b128 off, v[5:8], off offset:608
	s_waitcnt vmcnt(0)
	ds_store_b128 v255, v[1:4]
.LBB125_321:
	s_or_b32 exec_lo, exec_lo, s2
	s_waitcnt lgkmcnt(0)
	s_waitcnt_vscnt null, 0x0
	s_barrier
	buffer_gl0_inv
	s_clause 0x4
	scratch_load_b128 v[2:5], off, off offset:624
	scratch_load_b128 v[6:9], off, off offset:640
	;; [unrolled: 1-line block ×5, first 2 shown]
	v_mov_b32_e32 v1, 0
	scratch_load_b128 v[26:29], off, off offset:608
	s_mov_b32 s2, exec_lo
	ds_load_b128 v[22:25], v1 offset:1616
	ds_load_b128 v[30:33], v1 offset:1632
	s_waitcnt vmcnt(5) lgkmcnt(1)
	v_mul_f64 v[34:35], v[24:25], v[4:5]
	v_mul_f64 v[4:5], v[22:23], v[4:5]
	s_waitcnt vmcnt(4) lgkmcnt(0)
	v_mul_f64 v[36:37], v[30:31], v[8:9]
	v_mul_f64 v[8:9], v[32:33], v[8:9]
	s_delay_alu instid0(VALU_DEP_4) | instskip(NEXT) | instid1(VALU_DEP_4)
	v_fma_f64 v[22:23], v[22:23], v[2:3], -v[34:35]
	v_fma_f64 v[24:25], v[24:25], v[2:3], v[4:5]
	ds_load_b128 v[2:5], v1 offset:1648
	v_fma_f64 v[32:33], v[32:33], v[6:7], v[36:37]
	v_fma_f64 v[30:31], v[30:31], v[6:7], -v[8:9]
	ds_load_b128 v[6:9], v1 offset:1664
	s_waitcnt vmcnt(3) lgkmcnt(1)
	v_mul_f64 v[34:35], v[2:3], v[12:13]
	v_mul_f64 v[12:13], v[4:5], v[12:13]
	s_waitcnt vmcnt(2) lgkmcnt(0)
	v_mul_f64 v[36:37], v[6:7], v[16:17]
	s_delay_alu instid0(VALU_DEP_3) | instskip(NEXT) | instid1(VALU_DEP_3)
	v_fma_f64 v[34:35], v[4:5], v[10:11], v[34:35]
	v_fma_f64 v[38:39], v[2:3], v[10:11], -v[12:13]
	v_mul_f64 v[10:11], v[8:9], v[16:17]
	ds_load_b128 v[2:5], v1 offset:1680
	v_fma_f64 v[16:17], v[8:9], v[14:15], v[36:37]
	v_fma_f64 v[14:15], v[6:7], v[14:15], -v[10:11]
	ds_load_b128 v[6:9], v1 offset:1696
	s_waitcnt vmcnt(1) lgkmcnt(1)
	v_mul_f64 v[10:11], v[2:3], v[20:21]
	v_mul_f64 v[12:13], v[4:5], v[20:21]
	s_delay_alu instid0(VALU_DEP_2) | instskip(NEXT) | instid1(VALU_DEP_2)
	v_fma_f64 v[20:21], v[4:5], v[18:19], v[10:11]
	v_fma_f64 v[18:19], v[2:3], v[18:19], -v[12:13]
	s_clause 0x1
	scratch_load_b128 v[2:5], off, off offset:704
	scratch_load_b128 v[10:13], off, off offset:720
	s_waitcnt vmcnt(1) lgkmcnt(0)
	v_mul_f64 v[36:37], v[6:7], v[4:5]
	v_mul_f64 v[4:5], v[8:9], v[4:5]
	s_delay_alu instid0(VALU_DEP_2) | instskip(NEXT) | instid1(VALU_DEP_2)
	v_fma_f64 v[36:37], v[8:9], v[2:3], v[36:37]
	v_fma_f64 v[40:41], v[6:7], v[2:3], -v[4:5]
	ds_load_b128 v[2:5], v1 offset:1712
	ds_load_b128 v[6:9], v1 offset:1728
	s_waitcnt vmcnt(0) lgkmcnt(1)
	v_mul_f64 v[42:43], v[2:3], v[12:13]
	s_delay_alu instid0(VALU_DEP_1) | instskip(SKIP_1) | instid1(VALU_DEP_1)
	v_fma_f64 v[42:43], v[4:5], v[10:11], v[42:43]
	v_mul_f64 v[4:5], v[4:5], v[12:13]
	v_fma_f64 v[44:45], v[2:3], v[10:11], -v[4:5]
	s_clause 0x1
	scratch_load_b128 v[2:5], off, off offset:736
	scratch_load_b128 v[10:13], off, off offset:752
	s_waitcnt vmcnt(1) lgkmcnt(0)
	v_mul_f64 v[46:47], v[6:7], v[4:5]
	v_mul_f64 v[4:5], v[8:9], v[4:5]
	s_delay_alu instid0(VALU_DEP_2) | instskip(NEXT) | instid1(VALU_DEP_2)
	v_fma_f64 v[46:47], v[8:9], v[2:3], v[46:47]
	v_fma_f64 v[48:49], v[6:7], v[2:3], -v[4:5]
	ds_load_b128 v[2:5], v1 offset:1744
	ds_load_b128 v[6:9], v1 offset:1760
	s_waitcnt vmcnt(0) lgkmcnt(1)
	v_mul_f64 v[52:53], v[2:3], v[12:13]
	s_delay_alu instid0(VALU_DEP_1) | instskip(SKIP_1) | instid1(VALU_DEP_1)
	v_fma_f64 v[52:53], v[4:5], v[10:11], v[52:53]
	v_mul_f64 v[4:5], v[4:5], v[12:13]
	;; [unrolled: 17-line block ×7, first 2 shown]
	v_fma_f64 v[239:240], v[2:3], v[10:11], -v[4:5]
	v_add_f64 v[2:3], v[22:23], 0
	v_add_f64 v[4:5], v[24:25], 0
	s_delay_alu instid0(VALU_DEP_2) | instskip(NEXT) | instid1(VALU_DEP_2)
	v_add_f64 v[2:3], v[2:3], v[30:31]
	v_add_f64 v[4:5], v[4:5], v[32:33]
	s_delay_alu instid0(VALU_DEP_2) | instskip(NEXT) | instid1(VALU_DEP_2)
	;; [unrolled: 3-line block ×12, first 2 shown]
	v_add_f64 v[2:3], v[2:3], v[191:192]
	v_add_f64 v[10:11], v[4:5], v[189:190]
	s_delay_alu instid0(VALU_DEP_2)
	v_add_f64 v[12:13], v[2:3], v[195:196]
	scratch_load_b128 v[2:5], off, off offset:928
	v_add_f64 v[14:15], v[10:11], v[193:194]
	v_add_f64 v[16:17], v[12:13], v[199:200]
	scratch_load_b128 v[10:13], off, off offset:944
	v_add_f64 v[18:19], v[14:15], v[197:198]
	;; [unrolled: 3-line block ×4, first 2 shown]
	v_add_f64 v[24:25], v[24:25], v[233:234]
	s_delay_alu instid0(VALU_DEP_2) | instskip(NEXT) | instid1(VALU_DEP_2)
	v_add_f64 v[22:23], v[22:23], v[231:232]
	v_add_f64 v[24:25], v[24:25], v[239:240]
	s_delay_alu instid0(VALU_DEP_2) | instskip(SKIP_3) | instid1(VALU_DEP_2)
	v_add_f64 v[22:23], v[22:23], v[237:238]
	s_waitcnt vmcnt(3) lgkmcnt(0)
	v_mul_f64 v[30:31], v[6:7], v[4:5]
	v_mul_f64 v[4:5], v[8:9], v[4:5]
	v_fma_f64 v[30:31], v[8:9], v[2:3], v[30:31]
	s_delay_alu instid0(VALU_DEP_2)
	v_fma_f64 v[32:33], v[6:7], v[2:3], -v[4:5]
	ds_load_b128 v[2:5], v1 offset:1936
	ds_load_b128 v[6:9], v1 offset:1952
	s_waitcnt vmcnt(2) lgkmcnt(1)
	v_mul_f64 v[34:35], v[2:3], v[12:13]
	v_mul_f64 v[12:13], v[4:5], v[12:13]
	s_waitcnt vmcnt(1) lgkmcnt(0)
	v_mul_f64 v[36:37], v[6:7], v[16:17]
	v_add_f64 v[22:23], v[22:23], v[30:31]
	s_delay_alu instid0(VALU_DEP_4) | instskip(NEXT) | instid1(VALU_DEP_4)
	v_fma_f64 v[34:35], v[4:5], v[10:11], v[34:35]
	v_fma_f64 v[10:11], v[2:3], v[10:11], -v[12:13]
	v_mul_f64 v[12:13], v[8:9], v[16:17]
	v_add_f64 v[16:17], v[24:25], v[32:33]
	ds_load_b128 v[2:5], v1 offset:1968
	v_fma_f64 v[8:9], v[8:9], v[14:15], v[36:37]
	s_waitcnt vmcnt(0) lgkmcnt(0)
	v_mul_f64 v[24:25], v[2:3], v[20:21]
	v_mul_f64 v[20:21], v[4:5], v[20:21]
	v_fma_f64 v[6:7], v[6:7], v[14:15], -v[12:13]
	v_add_f64 v[10:11], v[16:17], v[10:11]
	v_add_f64 v[12:13], v[22:23], v[34:35]
	v_fma_f64 v[4:5], v[4:5], v[18:19], v[24:25]
	v_fma_f64 v[2:3], v[2:3], v[18:19], -v[20:21]
	s_delay_alu instid0(VALU_DEP_4) | instskip(NEXT) | instid1(VALU_DEP_4)
	v_add_f64 v[6:7], v[10:11], v[6:7]
	v_add_f64 v[8:9], v[12:13], v[8:9]
	s_delay_alu instid0(VALU_DEP_2) | instskip(NEXT) | instid1(VALU_DEP_2)
	v_add_f64 v[2:3], v[6:7], v[2:3]
	v_add_f64 v[4:5], v[8:9], v[4:5]
	s_delay_alu instid0(VALU_DEP_2) | instskip(NEXT) | instid1(VALU_DEP_2)
	v_add_f64 v[2:3], v[26:27], -v[2:3]
	v_add_f64 v[4:5], v[28:29], -v[4:5]
	scratch_store_b128 off, v[2:5], off offset:608
	v_cmpx_lt_u32_e32 37, v174
	s_cbranch_execz .LBB125_323
; %bb.322:
	scratch_load_b32 v2, off, off offset:1120 ; 4-byte Folded Reload
	v_mov_b32_e32 v3, v1
	v_mov_b32_e32 v4, v1
	s_waitcnt vmcnt(0)
	scratch_load_b128 v[5:8], v2, off
	v_mov_b32_e32 v2, v1
	scratch_store_b128 off, v[1:4], off offset:592
	s_waitcnt vmcnt(0)
	ds_store_b128 v255, v[5:8]
.LBB125_323:
	s_or_b32 exec_lo, exec_lo, s2
	s_waitcnt lgkmcnt(0)
	s_waitcnt_vscnt null, 0x0
	s_barrier
	buffer_gl0_inv
	s_clause 0x4
	scratch_load_b128 v[2:5], off, off offset:608
	scratch_load_b128 v[6:9], off, off offset:624
	;; [unrolled: 1-line block ×5, first 2 shown]
	ds_load_b128 v[22:25], v1 offset:1600
	ds_load_b128 v[26:29], v1 offset:1616
	scratch_load_b128 v[30:33], off, off offset:592
	s_mov_b32 s2, exec_lo
	s_waitcnt vmcnt(5) lgkmcnt(1)
	v_mul_f64 v[34:35], v[24:25], v[4:5]
	v_mul_f64 v[4:5], v[22:23], v[4:5]
	s_waitcnt vmcnt(4) lgkmcnt(0)
	v_mul_f64 v[36:37], v[26:27], v[8:9]
	v_mul_f64 v[8:9], v[28:29], v[8:9]
	s_delay_alu instid0(VALU_DEP_4) | instskip(NEXT) | instid1(VALU_DEP_4)
	v_fma_f64 v[22:23], v[22:23], v[2:3], -v[34:35]
	v_fma_f64 v[24:25], v[24:25], v[2:3], v[4:5]
	ds_load_b128 v[2:5], v1 offset:1632
	v_fma_f64 v[28:29], v[28:29], v[6:7], v[36:37]
	v_fma_f64 v[26:27], v[26:27], v[6:7], -v[8:9]
	ds_load_b128 v[6:9], v1 offset:1648
	s_waitcnt vmcnt(3) lgkmcnt(1)
	v_mul_f64 v[34:35], v[2:3], v[12:13]
	v_mul_f64 v[12:13], v[4:5], v[12:13]
	s_waitcnt vmcnt(2) lgkmcnt(0)
	v_mul_f64 v[36:37], v[6:7], v[16:17]
	s_delay_alu instid0(VALU_DEP_3) | instskip(NEXT) | instid1(VALU_DEP_3)
	v_fma_f64 v[34:35], v[4:5], v[10:11], v[34:35]
	v_fma_f64 v[38:39], v[2:3], v[10:11], -v[12:13]
	v_mul_f64 v[10:11], v[8:9], v[16:17]
	ds_load_b128 v[2:5], v1 offset:1664
	v_fma_f64 v[16:17], v[8:9], v[14:15], v[36:37]
	v_fma_f64 v[14:15], v[6:7], v[14:15], -v[10:11]
	ds_load_b128 v[6:9], v1 offset:1680
	s_waitcnt vmcnt(1) lgkmcnt(1)
	v_mul_f64 v[10:11], v[2:3], v[20:21]
	v_mul_f64 v[12:13], v[4:5], v[20:21]
	s_delay_alu instid0(VALU_DEP_2) | instskip(NEXT) | instid1(VALU_DEP_2)
	v_fma_f64 v[20:21], v[4:5], v[18:19], v[10:11]
	v_fma_f64 v[18:19], v[2:3], v[18:19], -v[12:13]
	s_clause 0x1
	scratch_load_b128 v[2:5], off, off offset:688
	scratch_load_b128 v[10:13], off, off offset:704
	s_waitcnt vmcnt(1) lgkmcnt(0)
	v_mul_f64 v[36:37], v[6:7], v[4:5]
	v_mul_f64 v[4:5], v[8:9], v[4:5]
	s_delay_alu instid0(VALU_DEP_2) | instskip(NEXT) | instid1(VALU_DEP_2)
	v_fma_f64 v[36:37], v[8:9], v[2:3], v[36:37]
	v_fma_f64 v[40:41], v[6:7], v[2:3], -v[4:5]
	ds_load_b128 v[2:5], v1 offset:1696
	ds_load_b128 v[6:9], v1 offset:1712
	s_waitcnt vmcnt(0) lgkmcnt(1)
	v_mul_f64 v[42:43], v[2:3], v[12:13]
	s_delay_alu instid0(VALU_DEP_1) | instskip(SKIP_1) | instid1(VALU_DEP_1)
	v_fma_f64 v[42:43], v[4:5], v[10:11], v[42:43]
	v_mul_f64 v[4:5], v[4:5], v[12:13]
	v_fma_f64 v[44:45], v[2:3], v[10:11], -v[4:5]
	s_clause 0x1
	scratch_load_b128 v[2:5], off, off offset:720
	scratch_load_b128 v[10:13], off, off offset:736
	s_waitcnt vmcnt(1) lgkmcnt(0)
	v_mul_f64 v[46:47], v[6:7], v[4:5]
	v_mul_f64 v[4:5], v[8:9], v[4:5]
	s_delay_alu instid0(VALU_DEP_2) | instskip(NEXT) | instid1(VALU_DEP_2)
	v_fma_f64 v[46:47], v[8:9], v[2:3], v[46:47]
	v_fma_f64 v[48:49], v[6:7], v[2:3], -v[4:5]
	ds_load_b128 v[2:5], v1 offset:1728
	ds_load_b128 v[6:9], v1 offset:1744
	s_waitcnt vmcnt(0) lgkmcnt(1)
	v_mul_f64 v[52:53], v[2:3], v[12:13]
	s_delay_alu instid0(VALU_DEP_1) | instskip(SKIP_1) | instid1(VALU_DEP_1)
	v_fma_f64 v[52:53], v[4:5], v[10:11], v[52:53]
	v_mul_f64 v[4:5], v[4:5], v[12:13]
	v_fma_f64 v[54:55], v[2:3], v[10:11], -v[4:5]
	s_clause 0x1
	scratch_load_b128 v[2:5], off, off offset:752
	scratch_load_b128 v[10:13], off, off offset:768
	s_waitcnt vmcnt(1) lgkmcnt(0)
	v_mul_f64 v[56:57], v[6:7], v[4:5]
	v_mul_f64 v[4:5], v[8:9], v[4:5]
	s_delay_alu instid0(VALU_DEP_2) | instskip(NEXT) | instid1(VALU_DEP_2)
	v_fma_f64 v[56:57], v[8:9], v[2:3], v[56:57]
	v_fma_f64 v[58:59], v[6:7], v[2:3], -v[4:5]
	ds_load_b128 v[2:5], v1 offset:1760
	ds_load_b128 v[6:9], v1 offset:1776
	s_waitcnt vmcnt(0) lgkmcnt(1)
	v_mul_f64 v[60:61], v[2:3], v[12:13]
	s_delay_alu instid0(VALU_DEP_1) | instskip(SKIP_1) | instid1(VALU_DEP_1)
	v_fma_f64 v[60:61], v[4:5], v[10:11], v[60:61]
	v_mul_f64 v[4:5], v[4:5], v[12:13]
	v_fma_f64 v[90:91], v[2:3], v[10:11], -v[4:5]
	s_clause 0x1
	scratch_load_b128 v[2:5], off, off offset:784
	scratch_load_b128 v[10:13], off, off offset:800
	s_waitcnt vmcnt(1) lgkmcnt(0)
	v_mul_f64 v[185:186], v[6:7], v[4:5]
	v_mul_f64 v[4:5], v[8:9], v[4:5]
	s_delay_alu instid0(VALU_DEP_2) | instskip(NEXT) | instid1(VALU_DEP_2)
	v_fma_f64 v[185:186], v[8:9], v[2:3], v[185:186]
	v_fma_f64 v[187:188], v[6:7], v[2:3], -v[4:5]
	ds_load_b128 v[2:5], v1 offset:1792
	ds_load_b128 v[6:9], v1 offset:1808
	s_waitcnt vmcnt(0) lgkmcnt(1)
	v_mul_f64 v[189:190], v[2:3], v[12:13]
	s_delay_alu instid0(VALU_DEP_1) | instskip(SKIP_1) | instid1(VALU_DEP_1)
	v_fma_f64 v[189:190], v[4:5], v[10:11], v[189:190]
	v_mul_f64 v[4:5], v[4:5], v[12:13]
	v_fma_f64 v[191:192], v[2:3], v[10:11], -v[4:5]
	s_clause 0x1
	scratch_load_b128 v[2:5], off, off offset:816
	scratch_load_b128 v[10:13], off, off offset:832
	s_waitcnt vmcnt(1) lgkmcnt(0)
	v_mul_f64 v[193:194], v[6:7], v[4:5]
	v_mul_f64 v[4:5], v[8:9], v[4:5]
	s_delay_alu instid0(VALU_DEP_2) | instskip(NEXT) | instid1(VALU_DEP_2)
	v_fma_f64 v[193:194], v[8:9], v[2:3], v[193:194]
	v_fma_f64 v[195:196], v[6:7], v[2:3], -v[4:5]
	ds_load_b128 v[2:5], v1 offset:1824
	ds_load_b128 v[6:9], v1 offset:1840
	s_waitcnt vmcnt(0) lgkmcnt(1)
	v_mul_f64 v[197:198], v[2:3], v[12:13]
	s_delay_alu instid0(VALU_DEP_1) | instskip(SKIP_1) | instid1(VALU_DEP_1)
	v_fma_f64 v[197:198], v[4:5], v[10:11], v[197:198]
	v_mul_f64 v[4:5], v[4:5], v[12:13]
	v_fma_f64 v[199:200], v[2:3], v[10:11], -v[4:5]
	s_clause 0x1
	scratch_load_b128 v[2:5], off, off offset:848
	scratch_load_b128 v[10:13], off, off offset:864
	s_waitcnt vmcnt(1) lgkmcnt(0)
	v_mul_f64 v[201:202], v[6:7], v[4:5]
	v_mul_f64 v[4:5], v[8:9], v[4:5]
	s_delay_alu instid0(VALU_DEP_2) | instskip(NEXT) | instid1(VALU_DEP_2)
	v_fma_f64 v[201:202], v[8:9], v[2:3], v[201:202]
	v_fma_f64 v[206:207], v[6:7], v[2:3], -v[4:5]
	ds_load_b128 v[2:5], v1 offset:1856
	ds_load_b128 v[6:9], v1 offset:1872
	s_waitcnt vmcnt(0) lgkmcnt(1)
	v_mul_f64 v[211:212], v[2:3], v[12:13]
	s_delay_alu instid0(VALU_DEP_1) | instskip(SKIP_1) | instid1(VALU_DEP_1)
	v_fma_f64 v[211:212], v[4:5], v[10:11], v[211:212]
	v_mul_f64 v[4:5], v[4:5], v[12:13]
	v_fma_f64 v[217:218], v[2:3], v[10:11], -v[4:5]
	s_clause 0x1
	scratch_load_b128 v[2:5], off, off offset:880
	scratch_load_b128 v[10:13], off, off offset:896
	s_waitcnt vmcnt(1) lgkmcnt(0)
	v_mul_f64 v[231:232], v[6:7], v[4:5]
	v_mul_f64 v[4:5], v[8:9], v[4:5]
	s_delay_alu instid0(VALU_DEP_2) | instskip(NEXT) | instid1(VALU_DEP_2)
	v_fma_f64 v[231:232], v[8:9], v[2:3], v[231:232]
	v_fma_f64 v[233:234], v[6:7], v[2:3], -v[4:5]
	ds_load_b128 v[2:5], v1 offset:1888
	ds_load_b128 v[6:9], v1 offset:1904
	s_waitcnt vmcnt(0) lgkmcnt(1)
	v_mul_f64 v[237:238], v[2:3], v[12:13]
	s_delay_alu instid0(VALU_DEP_1) | instskip(SKIP_1) | instid1(VALU_DEP_1)
	v_fma_f64 v[237:238], v[4:5], v[10:11], v[237:238]
	v_mul_f64 v[4:5], v[4:5], v[12:13]
	v_fma_f64 v[239:240], v[2:3], v[10:11], -v[4:5]
	s_clause 0x1
	scratch_load_b128 v[2:5], off, off offset:912
	scratch_load_b128 v[10:13], off, off offset:928
	s_waitcnt vmcnt(1) lgkmcnt(0)
	v_mul_f64 v[241:242], v[6:7], v[4:5]
	v_mul_f64 v[4:5], v[8:9], v[4:5]
	s_delay_alu instid0(VALU_DEP_2) | instskip(NEXT) | instid1(VALU_DEP_2)
	v_fma_f64 v[241:242], v[8:9], v[2:3], v[241:242]
	v_fma_f64 v[243:244], v[6:7], v[2:3], -v[4:5]
	ds_load_b128 v[2:5], v1 offset:1920
	ds_load_b128 v[6:9], v1 offset:1936
	s_waitcnt vmcnt(0) lgkmcnt(1)
	v_mul_f64 v[245:246], v[2:3], v[12:13]
	s_delay_alu instid0(VALU_DEP_1) | instskip(SKIP_1) | instid1(VALU_DEP_1)
	v_fma_f64 v[245:246], v[4:5], v[10:11], v[245:246]
	v_mul_f64 v[4:5], v[4:5], v[12:13]
	v_fma_f64 v[247:248], v[2:3], v[10:11], -v[4:5]
	v_add_f64 v[2:3], v[22:23], 0
	v_add_f64 v[4:5], v[24:25], 0
	s_delay_alu instid0(VALU_DEP_2) | instskip(NEXT) | instid1(VALU_DEP_2)
	v_add_f64 v[2:3], v[2:3], v[26:27]
	v_add_f64 v[4:5], v[4:5], v[28:29]
	s_delay_alu instid0(VALU_DEP_2) | instskip(NEXT) | instid1(VALU_DEP_2)
	;; [unrolled: 3-line block ×14, first 2 shown]
	v_add_f64 v[2:3], v[2:3], v[199:200]
	v_add_f64 v[10:11], v[4:5], v[197:198]
	s_delay_alu instid0(VALU_DEP_2)
	v_add_f64 v[12:13], v[2:3], v[206:207]
	scratch_load_b128 v[2:5], off, off offset:944
	v_add_f64 v[14:15], v[10:11], v[201:202]
	v_add_f64 v[16:17], v[12:13], v[217:218]
	scratch_load_b128 v[10:13], off, off offset:960
	v_add_f64 v[18:19], v[14:15], v[211:212]
	;; [unrolled: 3-line block ×3, first 2 shown]
	v_add_f64 v[20:21], v[20:21], v[239:240]
	s_delay_alu instid0(VALU_DEP_2) | instskip(NEXT) | instid1(VALU_DEP_2)
	v_add_f64 v[18:19], v[18:19], v[237:238]
	v_add_f64 v[28:29], v[20:21], v[243:244]
	s_delay_alu instid0(VALU_DEP_2)
	v_add_f64 v[34:35], v[18:19], v[241:242]
	ds_load_b128 v[18:21], v1 offset:1952
	ds_load_b128 v[22:25], v1 offset:1968
	s_waitcnt vmcnt(2) lgkmcnt(2)
	v_mul_f64 v[26:27], v[6:7], v[4:5]
	v_mul_f64 v[4:5], v[8:9], v[4:5]
	s_waitcnt vmcnt(1) lgkmcnt(1)
	v_mul_f64 v[36:37], v[18:19], v[12:13]
	s_delay_alu instid0(VALU_DEP_3) | instskip(NEXT) | instid1(VALU_DEP_3)
	v_fma_f64 v[8:9], v[8:9], v[2:3], v[26:27]
	v_fma_f64 v[1:2], v[6:7], v[2:3], -v[4:5]
	v_mul_f64 v[3:4], v[20:21], v[12:13]
	v_add_f64 v[5:6], v[28:29], v[247:248]
	v_add_f64 v[12:13], v[34:35], v[245:246]
	s_waitcnt vmcnt(0) lgkmcnt(0)
	v_mul_f64 v[26:27], v[22:23], v[16:17]
	v_mul_f64 v[16:17], v[24:25], v[16:17]
	v_fma_f64 v[20:21], v[20:21], v[10:11], v[36:37]
	v_fma_f64 v[3:4], v[18:19], v[10:11], -v[3:4]
	v_add_f64 v[1:2], v[5:6], v[1:2]
	v_add_f64 v[5:6], v[12:13], v[8:9]
	v_fma_f64 v[7:8], v[24:25], v[14:15], v[26:27]
	v_fma_f64 v[9:10], v[22:23], v[14:15], -v[16:17]
	s_delay_alu instid0(VALU_DEP_4) | instskip(NEXT) | instid1(VALU_DEP_4)
	v_add_f64 v[1:2], v[1:2], v[3:4]
	v_add_f64 v[3:4], v[5:6], v[20:21]
	s_delay_alu instid0(VALU_DEP_2) | instskip(NEXT) | instid1(VALU_DEP_2)
	v_add_f64 v[1:2], v[1:2], v[9:10]
	v_add_f64 v[3:4], v[3:4], v[7:8]
	s_delay_alu instid0(VALU_DEP_2) | instskip(NEXT) | instid1(VALU_DEP_2)
	v_add_f64 v[1:2], v[30:31], -v[1:2]
	v_add_f64 v[3:4], v[32:33], -v[3:4]
	scratch_store_b128 off, v[1:4], off offset:592
	v_cmpx_lt_u32_e32 36, v174
	s_cbranch_execz .LBB125_325
; %bb.324:
	scratch_load_b32 v1, off, off offset:1128 ; 4-byte Folded Reload
	v_mov_b32_e32 v5, 0
	s_delay_alu instid0(VALU_DEP_1)
	v_mov_b32_e32 v6, v5
	v_mov_b32_e32 v7, v5
	;; [unrolled: 1-line block ×3, first 2 shown]
	s_waitcnt vmcnt(0)
	scratch_load_b128 v[1:4], v1, off
	scratch_store_b128 off, v[5:8], off offset:576
	s_waitcnt vmcnt(0)
	ds_store_b128 v255, v[1:4]
.LBB125_325:
	s_or_b32 exec_lo, exec_lo, s2
	s_waitcnt lgkmcnt(0)
	s_waitcnt_vscnt null, 0x0
	s_barrier
	buffer_gl0_inv
	s_clause 0x4
	scratch_load_b128 v[2:5], off, off offset:592
	scratch_load_b128 v[6:9], off, off offset:608
	scratch_load_b128 v[10:13], off, off offset:624
	scratch_load_b128 v[14:17], off, off offset:640
	scratch_load_b128 v[18:21], off, off offset:656
	v_mov_b32_e32 v1, 0
	scratch_load_b128 v[26:29], off, off offset:576
	s_mov_b32 s2, exec_lo
	ds_load_b128 v[22:25], v1 offset:1584
	ds_load_b128 v[30:33], v1 offset:1600
	s_waitcnt vmcnt(5) lgkmcnt(1)
	v_mul_f64 v[34:35], v[24:25], v[4:5]
	v_mul_f64 v[4:5], v[22:23], v[4:5]
	s_waitcnt vmcnt(4) lgkmcnt(0)
	v_mul_f64 v[36:37], v[30:31], v[8:9]
	v_mul_f64 v[8:9], v[32:33], v[8:9]
	s_delay_alu instid0(VALU_DEP_4) | instskip(NEXT) | instid1(VALU_DEP_4)
	v_fma_f64 v[22:23], v[22:23], v[2:3], -v[34:35]
	v_fma_f64 v[24:25], v[24:25], v[2:3], v[4:5]
	ds_load_b128 v[2:5], v1 offset:1616
	v_fma_f64 v[32:33], v[32:33], v[6:7], v[36:37]
	v_fma_f64 v[30:31], v[30:31], v[6:7], -v[8:9]
	ds_load_b128 v[6:9], v1 offset:1632
	s_waitcnt vmcnt(3) lgkmcnt(1)
	v_mul_f64 v[34:35], v[2:3], v[12:13]
	v_mul_f64 v[12:13], v[4:5], v[12:13]
	s_waitcnt vmcnt(2) lgkmcnt(0)
	v_mul_f64 v[36:37], v[6:7], v[16:17]
	s_delay_alu instid0(VALU_DEP_3) | instskip(NEXT) | instid1(VALU_DEP_3)
	v_fma_f64 v[34:35], v[4:5], v[10:11], v[34:35]
	v_fma_f64 v[38:39], v[2:3], v[10:11], -v[12:13]
	v_mul_f64 v[10:11], v[8:9], v[16:17]
	ds_load_b128 v[2:5], v1 offset:1648
	v_fma_f64 v[16:17], v[8:9], v[14:15], v[36:37]
	v_fma_f64 v[14:15], v[6:7], v[14:15], -v[10:11]
	ds_load_b128 v[6:9], v1 offset:1664
	s_waitcnt vmcnt(1) lgkmcnt(1)
	v_mul_f64 v[10:11], v[2:3], v[20:21]
	v_mul_f64 v[12:13], v[4:5], v[20:21]
	s_delay_alu instid0(VALU_DEP_2) | instskip(NEXT) | instid1(VALU_DEP_2)
	v_fma_f64 v[20:21], v[4:5], v[18:19], v[10:11]
	v_fma_f64 v[18:19], v[2:3], v[18:19], -v[12:13]
	s_clause 0x1
	scratch_load_b128 v[2:5], off, off offset:672
	scratch_load_b128 v[10:13], off, off offset:688
	s_waitcnt vmcnt(1) lgkmcnt(0)
	v_mul_f64 v[36:37], v[6:7], v[4:5]
	v_mul_f64 v[4:5], v[8:9], v[4:5]
	s_delay_alu instid0(VALU_DEP_2) | instskip(NEXT) | instid1(VALU_DEP_2)
	v_fma_f64 v[36:37], v[8:9], v[2:3], v[36:37]
	v_fma_f64 v[40:41], v[6:7], v[2:3], -v[4:5]
	ds_load_b128 v[2:5], v1 offset:1680
	ds_load_b128 v[6:9], v1 offset:1696
	s_waitcnt vmcnt(0) lgkmcnt(1)
	v_mul_f64 v[42:43], v[2:3], v[12:13]
	s_delay_alu instid0(VALU_DEP_1) | instskip(SKIP_1) | instid1(VALU_DEP_1)
	v_fma_f64 v[42:43], v[4:5], v[10:11], v[42:43]
	v_mul_f64 v[4:5], v[4:5], v[12:13]
	v_fma_f64 v[44:45], v[2:3], v[10:11], -v[4:5]
	s_clause 0x1
	scratch_load_b128 v[2:5], off, off offset:704
	scratch_load_b128 v[10:13], off, off offset:720
	s_waitcnt vmcnt(1) lgkmcnt(0)
	v_mul_f64 v[46:47], v[6:7], v[4:5]
	v_mul_f64 v[4:5], v[8:9], v[4:5]
	s_delay_alu instid0(VALU_DEP_2) | instskip(NEXT) | instid1(VALU_DEP_2)
	v_fma_f64 v[46:47], v[8:9], v[2:3], v[46:47]
	v_fma_f64 v[48:49], v[6:7], v[2:3], -v[4:5]
	ds_load_b128 v[2:5], v1 offset:1712
	ds_load_b128 v[6:9], v1 offset:1728
	s_waitcnt vmcnt(0) lgkmcnt(1)
	v_mul_f64 v[52:53], v[2:3], v[12:13]
	s_delay_alu instid0(VALU_DEP_1) | instskip(SKIP_1) | instid1(VALU_DEP_1)
	v_fma_f64 v[52:53], v[4:5], v[10:11], v[52:53]
	v_mul_f64 v[4:5], v[4:5], v[12:13]
	;; [unrolled: 17-line block ×8, first 2 shown]
	v_fma_f64 v[247:248], v[2:3], v[10:11], -v[4:5]
	v_add_f64 v[2:3], v[22:23], 0
	v_add_f64 v[4:5], v[24:25], 0
	s_delay_alu instid0(VALU_DEP_2) | instskip(NEXT) | instid1(VALU_DEP_2)
	v_add_f64 v[2:3], v[2:3], v[30:31]
	v_add_f64 v[4:5], v[4:5], v[32:33]
	s_delay_alu instid0(VALU_DEP_2) | instskip(NEXT) | instid1(VALU_DEP_2)
	;; [unrolled: 3-line block ×14, first 2 shown]
	v_add_f64 v[2:3], v[2:3], v[199:200]
	v_add_f64 v[10:11], v[4:5], v[197:198]
	s_delay_alu instid0(VALU_DEP_2)
	v_add_f64 v[12:13], v[2:3], v[206:207]
	scratch_load_b128 v[2:5], off, off offset:928
	v_add_f64 v[14:15], v[10:11], v[201:202]
	v_add_f64 v[16:17], v[12:13], v[217:218]
	scratch_load_b128 v[10:13], off, off offset:944
	v_add_f64 v[18:19], v[14:15], v[211:212]
	;; [unrolled: 3-line block ×4, first 2 shown]
	v_add_f64 v[24:25], v[24:25], v[243:244]
	s_delay_alu instid0(VALU_DEP_2) | instskip(NEXT) | instid1(VALU_DEP_2)
	v_add_f64 v[22:23], v[22:23], v[241:242]
	v_add_f64 v[24:25], v[24:25], v[247:248]
	s_delay_alu instid0(VALU_DEP_2) | instskip(SKIP_3) | instid1(VALU_DEP_2)
	v_add_f64 v[22:23], v[22:23], v[245:246]
	s_waitcnt vmcnt(3) lgkmcnt(0)
	v_mul_f64 v[30:31], v[6:7], v[4:5]
	v_mul_f64 v[4:5], v[8:9], v[4:5]
	v_fma_f64 v[30:31], v[8:9], v[2:3], v[30:31]
	s_delay_alu instid0(VALU_DEP_2)
	v_fma_f64 v[32:33], v[6:7], v[2:3], -v[4:5]
	ds_load_b128 v[2:5], v1 offset:1936
	ds_load_b128 v[6:9], v1 offset:1952
	s_waitcnt vmcnt(2) lgkmcnt(1)
	v_mul_f64 v[34:35], v[2:3], v[12:13]
	v_mul_f64 v[12:13], v[4:5], v[12:13]
	s_waitcnt vmcnt(1) lgkmcnt(0)
	v_mul_f64 v[36:37], v[6:7], v[16:17]
	v_add_f64 v[22:23], v[22:23], v[30:31]
	s_delay_alu instid0(VALU_DEP_4) | instskip(NEXT) | instid1(VALU_DEP_4)
	v_fma_f64 v[34:35], v[4:5], v[10:11], v[34:35]
	v_fma_f64 v[10:11], v[2:3], v[10:11], -v[12:13]
	v_mul_f64 v[12:13], v[8:9], v[16:17]
	v_add_f64 v[16:17], v[24:25], v[32:33]
	ds_load_b128 v[2:5], v1 offset:1968
	v_fma_f64 v[8:9], v[8:9], v[14:15], v[36:37]
	s_waitcnt vmcnt(0) lgkmcnt(0)
	v_mul_f64 v[24:25], v[2:3], v[20:21]
	v_mul_f64 v[20:21], v[4:5], v[20:21]
	v_fma_f64 v[6:7], v[6:7], v[14:15], -v[12:13]
	v_add_f64 v[10:11], v[16:17], v[10:11]
	v_add_f64 v[12:13], v[22:23], v[34:35]
	v_fma_f64 v[4:5], v[4:5], v[18:19], v[24:25]
	v_fma_f64 v[2:3], v[2:3], v[18:19], -v[20:21]
	s_delay_alu instid0(VALU_DEP_4) | instskip(NEXT) | instid1(VALU_DEP_4)
	v_add_f64 v[6:7], v[10:11], v[6:7]
	v_add_f64 v[8:9], v[12:13], v[8:9]
	s_delay_alu instid0(VALU_DEP_2) | instskip(NEXT) | instid1(VALU_DEP_2)
	v_add_f64 v[2:3], v[6:7], v[2:3]
	v_add_f64 v[4:5], v[8:9], v[4:5]
	s_delay_alu instid0(VALU_DEP_2) | instskip(NEXT) | instid1(VALU_DEP_2)
	v_add_f64 v[2:3], v[26:27], -v[2:3]
	v_add_f64 v[4:5], v[28:29], -v[4:5]
	scratch_store_b128 off, v[2:5], off offset:576
	v_cmpx_lt_u32_e32 35, v174
	s_cbranch_execz .LBB125_327
; %bb.326:
	scratch_load_b32 v2, off, off offset:1144 ; 4-byte Folded Reload
	v_mov_b32_e32 v3, v1
	v_mov_b32_e32 v4, v1
	s_waitcnt vmcnt(0)
	scratch_load_b128 v[5:8], v2, off
	v_mov_b32_e32 v2, v1
	scratch_store_b128 off, v[1:4], off offset:560
	s_waitcnt vmcnt(0)
	ds_store_b128 v255, v[5:8]
.LBB125_327:
	s_or_b32 exec_lo, exec_lo, s2
	s_waitcnt lgkmcnt(0)
	s_waitcnt_vscnt null, 0x0
	s_barrier
	buffer_gl0_inv
	s_clause 0x4
	scratch_load_b128 v[2:5], off, off offset:576
	scratch_load_b128 v[6:9], off, off offset:592
	;; [unrolled: 1-line block ×5, first 2 shown]
	ds_load_b128 v[22:25], v1 offset:1568
	ds_load_b128 v[26:29], v1 offset:1584
	scratch_load_b128 v[30:33], off, off offset:560
	s_mov_b32 s2, exec_lo
	s_waitcnt vmcnt(5) lgkmcnt(1)
	v_mul_f64 v[34:35], v[24:25], v[4:5]
	v_mul_f64 v[4:5], v[22:23], v[4:5]
	s_waitcnt vmcnt(4) lgkmcnt(0)
	v_mul_f64 v[36:37], v[26:27], v[8:9]
	v_mul_f64 v[8:9], v[28:29], v[8:9]
	s_delay_alu instid0(VALU_DEP_4) | instskip(NEXT) | instid1(VALU_DEP_4)
	v_fma_f64 v[22:23], v[22:23], v[2:3], -v[34:35]
	v_fma_f64 v[24:25], v[24:25], v[2:3], v[4:5]
	ds_load_b128 v[2:5], v1 offset:1600
	v_fma_f64 v[28:29], v[28:29], v[6:7], v[36:37]
	v_fma_f64 v[26:27], v[26:27], v[6:7], -v[8:9]
	ds_load_b128 v[6:9], v1 offset:1616
	s_waitcnt vmcnt(3) lgkmcnt(1)
	v_mul_f64 v[34:35], v[2:3], v[12:13]
	v_mul_f64 v[12:13], v[4:5], v[12:13]
	s_waitcnt vmcnt(2) lgkmcnt(0)
	v_mul_f64 v[36:37], v[6:7], v[16:17]
	s_delay_alu instid0(VALU_DEP_3) | instskip(NEXT) | instid1(VALU_DEP_3)
	v_fma_f64 v[34:35], v[4:5], v[10:11], v[34:35]
	v_fma_f64 v[38:39], v[2:3], v[10:11], -v[12:13]
	v_mul_f64 v[10:11], v[8:9], v[16:17]
	ds_load_b128 v[2:5], v1 offset:1632
	v_fma_f64 v[16:17], v[8:9], v[14:15], v[36:37]
	v_fma_f64 v[14:15], v[6:7], v[14:15], -v[10:11]
	ds_load_b128 v[6:9], v1 offset:1648
	s_waitcnt vmcnt(1) lgkmcnt(1)
	v_mul_f64 v[10:11], v[2:3], v[20:21]
	v_mul_f64 v[12:13], v[4:5], v[20:21]
	s_delay_alu instid0(VALU_DEP_2) | instskip(NEXT) | instid1(VALU_DEP_2)
	v_fma_f64 v[20:21], v[4:5], v[18:19], v[10:11]
	v_fma_f64 v[18:19], v[2:3], v[18:19], -v[12:13]
	s_clause 0x1
	scratch_load_b128 v[2:5], off, off offset:656
	scratch_load_b128 v[10:13], off, off offset:672
	s_waitcnt vmcnt(1) lgkmcnt(0)
	v_mul_f64 v[36:37], v[6:7], v[4:5]
	v_mul_f64 v[4:5], v[8:9], v[4:5]
	s_delay_alu instid0(VALU_DEP_2) | instskip(NEXT) | instid1(VALU_DEP_2)
	v_fma_f64 v[36:37], v[8:9], v[2:3], v[36:37]
	v_fma_f64 v[40:41], v[6:7], v[2:3], -v[4:5]
	ds_load_b128 v[2:5], v1 offset:1664
	ds_load_b128 v[6:9], v1 offset:1680
	s_waitcnt vmcnt(0) lgkmcnt(1)
	v_mul_f64 v[42:43], v[2:3], v[12:13]
	s_delay_alu instid0(VALU_DEP_1) | instskip(SKIP_1) | instid1(VALU_DEP_1)
	v_fma_f64 v[42:43], v[4:5], v[10:11], v[42:43]
	v_mul_f64 v[4:5], v[4:5], v[12:13]
	v_fma_f64 v[44:45], v[2:3], v[10:11], -v[4:5]
	s_clause 0x1
	scratch_load_b128 v[2:5], off, off offset:688
	scratch_load_b128 v[10:13], off, off offset:704
	s_waitcnt vmcnt(1) lgkmcnt(0)
	v_mul_f64 v[46:47], v[6:7], v[4:5]
	v_mul_f64 v[4:5], v[8:9], v[4:5]
	s_delay_alu instid0(VALU_DEP_2) | instskip(NEXT) | instid1(VALU_DEP_2)
	v_fma_f64 v[46:47], v[8:9], v[2:3], v[46:47]
	v_fma_f64 v[48:49], v[6:7], v[2:3], -v[4:5]
	ds_load_b128 v[2:5], v1 offset:1696
	ds_load_b128 v[6:9], v1 offset:1712
	s_waitcnt vmcnt(0) lgkmcnt(1)
	v_mul_f64 v[52:53], v[2:3], v[12:13]
	s_delay_alu instid0(VALU_DEP_1) | instskip(SKIP_1) | instid1(VALU_DEP_1)
	v_fma_f64 v[52:53], v[4:5], v[10:11], v[52:53]
	v_mul_f64 v[4:5], v[4:5], v[12:13]
	;; [unrolled: 17-line block ×9, first 2 shown]
	v_fma_f64 v[223:224], v[2:3], v[10:11], -v[4:5]
	v_add_f64 v[2:3], v[22:23], 0
	v_add_f64 v[4:5], v[24:25], 0
	s_delay_alu instid0(VALU_DEP_2) | instskip(NEXT) | instid1(VALU_DEP_2)
	v_add_f64 v[2:3], v[2:3], v[26:27]
	v_add_f64 v[4:5], v[4:5], v[28:29]
	s_delay_alu instid0(VALU_DEP_2) | instskip(NEXT) | instid1(VALU_DEP_2)
	;; [unrolled: 3-line block ×16, first 2 shown]
	v_add_f64 v[2:3], v[2:3], v[217:218]
	v_add_f64 v[10:11], v[4:5], v[211:212]
	s_delay_alu instid0(VALU_DEP_2)
	v_add_f64 v[12:13], v[2:3], v[233:234]
	scratch_load_b128 v[2:5], off, off offset:944
	v_add_f64 v[14:15], v[10:11], v[231:232]
	v_add_f64 v[16:17], v[12:13], v[239:240]
	scratch_load_b128 v[10:13], off, off offset:960
	v_add_f64 v[18:19], v[14:15], v[237:238]
	;; [unrolled: 3-line block ×3, first 2 shown]
	v_add_f64 v[20:21], v[20:21], v[247:248]
	s_delay_alu instid0(VALU_DEP_2) | instskip(NEXT) | instid1(VALU_DEP_2)
	v_add_f64 v[18:19], v[18:19], v[245:246]
	v_add_f64 v[28:29], v[20:21], v[251:252]
	s_delay_alu instid0(VALU_DEP_2)
	v_add_f64 v[34:35], v[18:19], v[249:250]
	ds_load_b128 v[18:21], v1 offset:1952
	ds_load_b128 v[22:25], v1 offset:1968
	s_waitcnt vmcnt(2) lgkmcnt(2)
	v_mul_f64 v[26:27], v[6:7], v[4:5]
	v_mul_f64 v[4:5], v[8:9], v[4:5]
	s_waitcnt vmcnt(1) lgkmcnt(1)
	v_mul_f64 v[36:37], v[18:19], v[12:13]
	s_delay_alu instid0(VALU_DEP_3) | instskip(NEXT) | instid1(VALU_DEP_3)
	v_fma_f64 v[8:9], v[8:9], v[2:3], v[26:27]
	v_fma_f64 v[1:2], v[6:7], v[2:3], -v[4:5]
	v_mul_f64 v[3:4], v[20:21], v[12:13]
	v_add_f64 v[5:6], v[28:29], v[223:224]
	v_add_f64 v[12:13], v[34:35], v[253:254]
	s_waitcnt vmcnt(0) lgkmcnt(0)
	v_mul_f64 v[26:27], v[22:23], v[16:17]
	v_mul_f64 v[16:17], v[24:25], v[16:17]
	v_fma_f64 v[20:21], v[20:21], v[10:11], v[36:37]
	v_fma_f64 v[3:4], v[18:19], v[10:11], -v[3:4]
	v_add_f64 v[1:2], v[5:6], v[1:2]
	v_add_f64 v[5:6], v[12:13], v[8:9]
	v_fma_f64 v[7:8], v[24:25], v[14:15], v[26:27]
	v_fma_f64 v[9:10], v[22:23], v[14:15], -v[16:17]
	s_delay_alu instid0(VALU_DEP_4) | instskip(NEXT) | instid1(VALU_DEP_4)
	v_add_f64 v[1:2], v[1:2], v[3:4]
	v_add_f64 v[3:4], v[5:6], v[20:21]
	s_delay_alu instid0(VALU_DEP_2) | instskip(NEXT) | instid1(VALU_DEP_2)
	v_add_f64 v[1:2], v[1:2], v[9:10]
	v_add_f64 v[3:4], v[3:4], v[7:8]
	s_delay_alu instid0(VALU_DEP_2) | instskip(NEXT) | instid1(VALU_DEP_2)
	v_add_f64 v[1:2], v[30:31], -v[1:2]
	v_add_f64 v[3:4], v[32:33], -v[3:4]
	scratch_store_b128 off, v[1:4], off offset:560
	v_cmpx_lt_u32_e32 34, v174
	s_cbranch_execz .LBB125_329
; %bb.328:
	scratch_load_b32 v1, off, off offset:1152 ; 4-byte Folded Reload
	v_mov_b32_e32 v5, 0
	s_delay_alu instid0(VALU_DEP_1)
	v_mov_b32_e32 v6, v5
	v_mov_b32_e32 v7, v5
	;; [unrolled: 1-line block ×3, first 2 shown]
	s_waitcnt vmcnt(0)
	scratch_load_b128 v[1:4], v1, off
	scratch_store_b128 off, v[5:8], off offset:544
	s_waitcnt vmcnt(0)
	ds_store_b128 v255, v[1:4]
.LBB125_329:
	s_or_b32 exec_lo, exec_lo, s2
	s_waitcnt lgkmcnt(0)
	s_waitcnt_vscnt null, 0x0
	s_barrier
	buffer_gl0_inv
	s_clause 0x4
	scratch_load_b128 v[2:5], off, off offset:560
	scratch_load_b128 v[6:9], off, off offset:576
	;; [unrolled: 1-line block ×5, first 2 shown]
	v_mov_b32_e32 v1, 0
	scratch_load_b128 v[26:29], off, off offset:544
	s_mov_b32 s2, exec_lo
	ds_load_b128 v[22:25], v1 offset:1552
	ds_load_b128 v[30:33], v1 offset:1568
	s_waitcnt vmcnt(5) lgkmcnt(1)
	v_mul_f64 v[34:35], v[24:25], v[4:5]
	v_mul_f64 v[4:5], v[22:23], v[4:5]
	s_waitcnt vmcnt(4) lgkmcnt(0)
	v_mul_f64 v[36:37], v[30:31], v[8:9]
	v_mul_f64 v[8:9], v[32:33], v[8:9]
	s_delay_alu instid0(VALU_DEP_4) | instskip(NEXT) | instid1(VALU_DEP_4)
	v_fma_f64 v[22:23], v[22:23], v[2:3], -v[34:35]
	v_fma_f64 v[24:25], v[24:25], v[2:3], v[4:5]
	ds_load_b128 v[2:5], v1 offset:1584
	v_fma_f64 v[32:33], v[32:33], v[6:7], v[36:37]
	v_fma_f64 v[30:31], v[30:31], v[6:7], -v[8:9]
	ds_load_b128 v[6:9], v1 offset:1600
	s_waitcnt vmcnt(3) lgkmcnt(1)
	v_mul_f64 v[34:35], v[2:3], v[12:13]
	v_mul_f64 v[12:13], v[4:5], v[12:13]
	s_waitcnt vmcnt(2) lgkmcnt(0)
	v_mul_f64 v[36:37], v[6:7], v[16:17]
	s_delay_alu instid0(VALU_DEP_3) | instskip(NEXT) | instid1(VALU_DEP_3)
	v_fma_f64 v[34:35], v[4:5], v[10:11], v[34:35]
	v_fma_f64 v[38:39], v[2:3], v[10:11], -v[12:13]
	v_mul_f64 v[10:11], v[8:9], v[16:17]
	ds_load_b128 v[2:5], v1 offset:1616
	v_fma_f64 v[16:17], v[8:9], v[14:15], v[36:37]
	v_fma_f64 v[14:15], v[6:7], v[14:15], -v[10:11]
	ds_load_b128 v[6:9], v1 offset:1632
	s_waitcnt vmcnt(1) lgkmcnt(1)
	v_mul_f64 v[10:11], v[2:3], v[20:21]
	v_mul_f64 v[12:13], v[4:5], v[20:21]
	s_delay_alu instid0(VALU_DEP_2) | instskip(NEXT) | instid1(VALU_DEP_2)
	v_fma_f64 v[20:21], v[4:5], v[18:19], v[10:11]
	v_fma_f64 v[18:19], v[2:3], v[18:19], -v[12:13]
	s_clause 0x1
	scratch_load_b128 v[2:5], off, off offset:640
	scratch_load_b128 v[10:13], off, off offset:656
	s_waitcnt vmcnt(1) lgkmcnt(0)
	v_mul_f64 v[36:37], v[6:7], v[4:5]
	v_mul_f64 v[4:5], v[8:9], v[4:5]
	s_delay_alu instid0(VALU_DEP_2) | instskip(NEXT) | instid1(VALU_DEP_2)
	v_fma_f64 v[36:37], v[8:9], v[2:3], v[36:37]
	v_fma_f64 v[40:41], v[6:7], v[2:3], -v[4:5]
	ds_load_b128 v[2:5], v1 offset:1648
	ds_load_b128 v[6:9], v1 offset:1664
	s_waitcnt vmcnt(0) lgkmcnt(1)
	v_mul_f64 v[42:43], v[2:3], v[12:13]
	s_delay_alu instid0(VALU_DEP_1) | instskip(SKIP_1) | instid1(VALU_DEP_1)
	v_fma_f64 v[42:43], v[4:5], v[10:11], v[42:43]
	v_mul_f64 v[4:5], v[4:5], v[12:13]
	v_fma_f64 v[44:45], v[2:3], v[10:11], -v[4:5]
	s_clause 0x1
	scratch_load_b128 v[2:5], off, off offset:672
	scratch_load_b128 v[10:13], off, off offset:688
	s_waitcnt vmcnt(1) lgkmcnt(0)
	v_mul_f64 v[46:47], v[6:7], v[4:5]
	v_mul_f64 v[4:5], v[8:9], v[4:5]
	s_delay_alu instid0(VALU_DEP_2) | instskip(NEXT) | instid1(VALU_DEP_2)
	v_fma_f64 v[46:47], v[8:9], v[2:3], v[46:47]
	v_fma_f64 v[48:49], v[6:7], v[2:3], -v[4:5]
	ds_load_b128 v[2:5], v1 offset:1680
	ds_load_b128 v[6:9], v1 offset:1696
	s_waitcnt vmcnt(0) lgkmcnt(1)
	v_mul_f64 v[52:53], v[2:3], v[12:13]
	s_delay_alu instid0(VALU_DEP_1) | instskip(SKIP_1) | instid1(VALU_DEP_1)
	v_fma_f64 v[52:53], v[4:5], v[10:11], v[52:53]
	v_mul_f64 v[4:5], v[4:5], v[12:13]
	;; [unrolled: 17-line block ×9, first 2 shown]
	v_fma_f64 v[253:254], v[2:3], v[10:11], -v[4:5]
	v_add_f64 v[2:3], v[22:23], 0
	v_add_f64 v[4:5], v[24:25], 0
	s_delay_alu instid0(VALU_DEP_2) | instskip(NEXT) | instid1(VALU_DEP_2)
	v_add_f64 v[2:3], v[2:3], v[30:31]
	v_add_f64 v[4:5], v[4:5], v[32:33]
	s_delay_alu instid0(VALU_DEP_2) | instskip(NEXT) | instid1(VALU_DEP_2)
	;; [unrolled: 3-line block ×16, first 2 shown]
	v_add_f64 v[2:3], v[2:3], v[217:218]
	v_add_f64 v[10:11], v[4:5], v[211:212]
	s_delay_alu instid0(VALU_DEP_2)
	v_add_f64 v[12:13], v[2:3], v[231:232]
	scratch_load_b128 v[2:5], off, off offset:928
	v_add_f64 v[14:15], v[10:11], v[223:224]
	v_add_f64 v[16:17], v[12:13], v[237:238]
	scratch_load_b128 v[10:13], off, off offset:944
	v_add_f64 v[18:19], v[14:15], v[233:234]
	;; [unrolled: 3-line block ×4, first 2 shown]
	v_add_f64 v[24:25], v[24:25], v[249:250]
	s_delay_alu instid0(VALU_DEP_2) | instskip(NEXT) | instid1(VALU_DEP_2)
	v_add_f64 v[22:23], v[22:23], v[247:248]
	v_add_f64 v[24:25], v[24:25], v[253:254]
	s_delay_alu instid0(VALU_DEP_2) | instskip(SKIP_3) | instid1(VALU_DEP_2)
	v_add_f64 v[22:23], v[22:23], v[251:252]
	s_waitcnt vmcnt(3) lgkmcnt(0)
	v_mul_f64 v[30:31], v[6:7], v[4:5]
	v_mul_f64 v[4:5], v[8:9], v[4:5]
	v_fma_f64 v[30:31], v[8:9], v[2:3], v[30:31]
	s_delay_alu instid0(VALU_DEP_2)
	v_fma_f64 v[32:33], v[6:7], v[2:3], -v[4:5]
	ds_load_b128 v[2:5], v1 offset:1936
	ds_load_b128 v[6:9], v1 offset:1952
	s_waitcnt vmcnt(2) lgkmcnt(1)
	v_mul_f64 v[34:35], v[2:3], v[12:13]
	v_mul_f64 v[12:13], v[4:5], v[12:13]
	s_waitcnt vmcnt(1) lgkmcnt(0)
	v_mul_f64 v[36:37], v[6:7], v[16:17]
	v_add_f64 v[22:23], v[22:23], v[30:31]
	s_delay_alu instid0(VALU_DEP_4) | instskip(NEXT) | instid1(VALU_DEP_4)
	v_fma_f64 v[34:35], v[4:5], v[10:11], v[34:35]
	v_fma_f64 v[10:11], v[2:3], v[10:11], -v[12:13]
	v_mul_f64 v[12:13], v[8:9], v[16:17]
	v_add_f64 v[16:17], v[24:25], v[32:33]
	ds_load_b128 v[2:5], v1 offset:1968
	v_fma_f64 v[8:9], v[8:9], v[14:15], v[36:37]
	s_waitcnt vmcnt(0) lgkmcnt(0)
	v_mul_f64 v[24:25], v[2:3], v[20:21]
	v_mul_f64 v[20:21], v[4:5], v[20:21]
	v_fma_f64 v[6:7], v[6:7], v[14:15], -v[12:13]
	v_add_f64 v[10:11], v[16:17], v[10:11]
	v_add_f64 v[12:13], v[22:23], v[34:35]
	v_fma_f64 v[4:5], v[4:5], v[18:19], v[24:25]
	v_fma_f64 v[2:3], v[2:3], v[18:19], -v[20:21]
	s_delay_alu instid0(VALU_DEP_4) | instskip(NEXT) | instid1(VALU_DEP_4)
	v_add_f64 v[6:7], v[10:11], v[6:7]
	v_add_f64 v[8:9], v[12:13], v[8:9]
	s_delay_alu instid0(VALU_DEP_2) | instskip(NEXT) | instid1(VALU_DEP_2)
	v_add_f64 v[2:3], v[6:7], v[2:3]
	v_add_f64 v[4:5], v[8:9], v[4:5]
	s_delay_alu instid0(VALU_DEP_2) | instskip(NEXT) | instid1(VALU_DEP_2)
	v_add_f64 v[2:3], v[26:27], -v[2:3]
	v_add_f64 v[4:5], v[28:29], -v[4:5]
	scratch_store_b128 off, v[2:5], off offset:544
	v_cmpx_lt_u32_e32 33, v174
	s_cbranch_execz .LBB125_331
; %bb.330:
	scratch_load_b32 v2, off, off offset:1168 ; 4-byte Folded Reload
	v_mov_b32_e32 v3, v1
	v_mov_b32_e32 v4, v1
	s_waitcnt vmcnt(0)
	scratch_load_b128 v[5:8], v2, off
	v_mov_b32_e32 v2, v1
	scratch_store_b128 off, v[1:4], off offset:528
	s_waitcnt vmcnt(0)
	ds_store_b128 v255, v[5:8]
.LBB125_331:
	s_or_b32 exec_lo, exec_lo, s2
	s_waitcnt lgkmcnt(0)
	s_waitcnt_vscnt null, 0x0
	s_barrier
	buffer_gl0_inv
	s_clause 0x4
	scratch_load_b128 v[2:5], off, off offset:544
	scratch_load_b128 v[6:9], off, off offset:560
	;; [unrolled: 1-line block ×5, first 2 shown]
	ds_load_b128 v[22:25], v1 offset:1536
	ds_load_b128 v[26:29], v1 offset:1552
	scratch_load_b128 v[30:33], off, off offset:528
	s_mov_b32 s2, exec_lo
	s_waitcnt vmcnt(5) lgkmcnt(1)
	v_mul_f64 v[34:35], v[24:25], v[4:5]
	v_mul_f64 v[4:5], v[22:23], v[4:5]
	s_waitcnt vmcnt(4) lgkmcnt(0)
	v_mul_f64 v[36:37], v[26:27], v[8:9]
	v_mul_f64 v[8:9], v[28:29], v[8:9]
	s_delay_alu instid0(VALU_DEP_4) | instskip(NEXT) | instid1(VALU_DEP_4)
	v_fma_f64 v[22:23], v[22:23], v[2:3], -v[34:35]
	v_fma_f64 v[24:25], v[24:25], v[2:3], v[4:5]
	ds_load_b128 v[2:5], v1 offset:1568
	v_fma_f64 v[28:29], v[28:29], v[6:7], v[36:37]
	v_fma_f64 v[26:27], v[26:27], v[6:7], -v[8:9]
	ds_load_b128 v[6:9], v1 offset:1584
	s_waitcnt vmcnt(3) lgkmcnt(1)
	v_mul_f64 v[34:35], v[2:3], v[12:13]
	v_mul_f64 v[12:13], v[4:5], v[12:13]
	s_waitcnt vmcnt(2) lgkmcnt(0)
	v_mul_f64 v[36:37], v[6:7], v[16:17]
	s_delay_alu instid0(VALU_DEP_3) | instskip(NEXT) | instid1(VALU_DEP_3)
	v_fma_f64 v[34:35], v[4:5], v[10:11], v[34:35]
	v_fma_f64 v[38:39], v[2:3], v[10:11], -v[12:13]
	v_mul_f64 v[10:11], v[8:9], v[16:17]
	ds_load_b128 v[2:5], v1 offset:1600
	v_fma_f64 v[16:17], v[8:9], v[14:15], v[36:37]
	v_fma_f64 v[14:15], v[6:7], v[14:15], -v[10:11]
	ds_load_b128 v[6:9], v1 offset:1616
	s_waitcnt vmcnt(1) lgkmcnt(1)
	v_mul_f64 v[10:11], v[2:3], v[20:21]
	v_mul_f64 v[12:13], v[4:5], v[20:21]
	s_delay_alu instid0(VALU_DEP_2) | instskip(NEXT) | instid1(VALU_DEP_2)
	v_fma_f64 v[20:21], v[4:5], v[18:19], v[10:11]
	v_fma_f64 v[18:19], v[2:3], v[18:19], -v[12:13]
	s_clause 0x1
	scratch_load_b128 v[2:5], off, off offset:624
	scratch_load_b128 v[10:13], off, off offset:640
	s_waitcnt vmcnt(1) lgkmcnt(0)
	v_mul_f64 v[36:37], v[6:7], v[4:5]
	v_mul_f64 v[4:5], v[8:9], v[4:5]
	s_delay_alu instid0(VALU_DEP_2) | instskip(NEXT) | instid1(VALU_DEP_2)
	v_fma_f64 v[36:37], v[8:9], v[2:3], v[36:37]
	v_fma_f64 v[40:41], v[6:7], v[2:3], -v[4:5]
	ds_load_b128 v[2:5], v1 offset:1632
	ds_load_b128 v[6:9], v1 offset:1648
	s_waitcnt vmcnt(0) lgkmcnt(1)
	v_mul_f64 v[42:43], v[2:3], v[12:13]
	s_delay_alu instid0(VALU_DEP_1) | instskip(SKIP_1) | instid1(VALU_DEP_1)
	v_fma_f64 v[42:43], v[4:5], v[10:11], v[42:43]
	v_mul_f64 v[4:5], v[4:5], v[12:13]
	v_fma_f64 v[44:45], v[2:3], v[10:11], -v[4:5]
	s_clause 0x1
	scratch_load_b128 v[2:5], off, off offset:656
	scratch_load_b128 v[10:13], off, off offset:672
	s_waitcnt vmcnt(1) lgkmcnt(0)
	v_mul_f64 v[46:47], v[6:7], v[4:5]
	v_mul_f64 v[4:5], v[8:9], v[4:5]
	s_delay_alu instid0(VALU_DEP_2) | instskip(NEXT) | instid1(VALU_DEP_2)
	v_fma_f64 v[46:47], v[8:9], v[2:3], v[46:47]
	v_fma_f64 v[48:49], v[6:7], v[2:3], -v[4:5]
	ds_load_b128 v[2:5], v1 offset:1664
	ds_load_b128 v[6:9], v1 offset:1680
	s_waitcnt vmcnt(0) lgkmcnt(1)
	v_mul_f64 v[52:53], v[2:3], v[12:13]
	s_delay_alu instid0(VALU_DEP_1) | instskip(SKIP_1) | instid1(VALU_DEP_1)
	v_fma_f64 v[52:53], v[4:5], v[10:11], v[52:53]
	v_mul_f64 v[4:5], v[4:5], v[12:13]
	;; [unrolled: 17-line block ×10, first 2 shown]
	v_fma_f64 v[177:178], v[2:3], v[10:11], -v[4:5]
	v_add_f64 v[2:3], v[22:23], 0
	v_add_f64 v[4:5], v[24:25], 0
	s_delay_alu instid0(VALU_DEP_2) | instskip(NEXT) | instid1(VALU_DEP_2)
	v_add_f64 v[2:3], v[2:3], v[26:27]
	v_add_f64 v[4:5], v[4:5], v[28:29]
	s_delay_alu instid0(VALU_DEP_2) | instskip(NEXT) | instid1(VALU_DEP_2)
	v_add_f64 v[2:3], v[2:3], v[38:39]
	v_add_f64 v[4:5], v[4:5], v[34:35]
	s_delay_alu instid0(VALU_DEP_2) | instskip(NEXT) | instid1(VALU_DEP_2)
	v_add_f64 v[2:3], v[2:3], v[14:15]
	v_add_f64 v[4:5], v[4:5], v[16:17]
	s_delay_alu instid0(VALU_DEP_2) | instskip(NEXT) | instid1(VALU_DEP_2)
	v_add_f64 v[2:3], v[2:3], v[18:19]
	v_add_f64 v[4:5], v[4:5], v[20:21]
	s_delay_alu instid0(VALU_DEP_2) | instskip(NEXT) | instid1(VALU_DEP_2)
	v_add_f64 v[2:3], v[2:3], v[40:41]
	v_add_f64 v[4:5], v[4:5], v[36:37]
	s_delay_alu instid0(VALU_DEP_2) | instskip(NEXT) | instid1(VALU_DEP_2)
	v_add_f64 v[2:3], v[2:3], v[44:45]
	v_add_f64 v[4:5], v[4:5], v[42:43]
	s_delay_alu instid0(VALU_DEP_2) | instskip(NEXT) | instid1(VALU_DEP_2)
	v_add_f64 v[2:3], v[2:3], v[48:49]
	v_add_f64 v[4:5], v[4:5], v[46:47]
	s_delay_alu instid0(VALU_DEP_2) | instskip(NEXT) | instid1(VALU_DEP_2)
	v_add_f64 v[2:3], v[2:3], v[54:55]
	v_add_f64 v[4:5], v[4:5], v[52:53]
	s_delay_alu instid0(VALU_DEP_2) | instskip(NEXT) | instid1(VALU_DEP_2)
	v_add_f64 v[2:3], v[2:3], v[58:59]
	v_add_f64 v[4:5], v[4:5], v[56:57]
	s_delay_alu instid0(VALU_DEP_2) | instskip(NEXT) | instid1(VALU_DEP_2)
	v_add_f64 v[2:3], v[2:3], v[90:91]
	v_add_f64 v[4:5], v[4:5], v[60:61]
	s_delay_alu instid0(VALU_DEP_2) | instskip(NEXT) | instid1(VALU_DEP_2)
	v_add_f64 v[2:3], v[2:3], v[187:188]
	v_add_f64 v[4:5], v[4:5], v[185:186]
	s_delay_alu instid0(VALU_DEP_2) | instskip(NEXT) | instid1(VALU_DEP_2)
	v_add_f64 v[2:3], v[2:3], v[191:192]
	v_add_f64 v[4:5], v[4:5], v[189:190]
	s_delay_alu instid0(VALU_DEP_2) | instskip(NEXT) | instid1(VALU_DEP_2)
	v_add_f64 v[2:3], v[2:3], v[195:196]
	v_add_f64 v[4:5], v[4:5], v[193:194]
	s_delay_alu instid0(VALU_DEP_2) | instskip(NEXT) | instid1(VALU_DEP_2)
	v_add_f64 v[2:3], v[2:3], v[199:200]
	v_add_f64 v[4:5], v[4:5], v[197:198]
	s_delay_alu instid0(VALU_DEP_2) | instskip(NEXT) | instid1(VALU_DEP_2)
	v_add_f64 v[2:3], v[2:3], v[206:207]
	v_add_f64 v[4:5], v[4:5], v[201:202]
	s_delay_alu instid0(VALU_DEP_2) | instskip(NEXT) | instid1(VALU_DEP_2)
	v_add_f64 v[2:3], v[2:3], v[217:218]
	v_add_f64 v[4:5], v[4:5], v[211:212]
	s_delay_alu instid0(VALU_DEP_2) | instskip(NEXT) | instid1(VALU_DEP_2)
	v_add_f64 v[2:3], v[2:3], v[231:232]
	v_add_f64 v[4:5], v[4:5], v[223:224]
	s_delay_alu instid0(VALU_DEP_2) | instskip(NEXT) | instid1(VALU_DEP_2)
	v_add_f64 v[2:3], v[2:3], v[237:238]
	v_add_f64 v[10:11], v[4:5], v[233:234]
	s_delay_alu instid0(VALU_DEP_2)
	v_add_f64 v[12:13], v[2:3], v[241:242]
	scratch_load_b128 v[2:5], off, off offset:944
	v_add_f64 v[14:15], v[10:11], v[239:240]
	v_add_f64 v[16:17], v[12:13], v[245:246]
	scratch_load_b128 v[10:13], off, off offset:960
	v_add_f64 v[18:19], v[14:15], v[243:244]
	;; [unrolled: 3-line block ×3, first 2 shown]
	v_add_f64 v[20:21], v[20:21], v[253:254]
	s_delay_alu instid0(VALU_DEP_2) | instskip(NEXT) | instid1(VALU_DEP_2)
	v_add_f64 v[18:19], v[18:19], v[251:252]
	v_add_f64 v[28:29], v[20:21], v[229:230]
	s_delay_alu instid0(VALU_DEP_2)
	v_add_f64 v[34:35], v[18:19], v[227:228]
	ds_load_b128 v[18:21], v1 offset:1952
	ds_load_b128 v[22:25], v1 offset:1968
	s_waitcnt vmcnt(2) lgkmcnt(2)
	v_mul_f64 v[26:27], v[6:7], v[4:5]
	v_mul_f64 v[4:5], v[8:9], v[4:5]
	s_waitcnt vmcnt(1) lgkmcnt(1)
	v_mul_f64 v[36:37], v[18:19], v[12:13]
	s_delay_alu instid0(VALU_DEP_3) | instskip(NEXT) | instid1(VALU_DEP_3)
	v_fma_f64 v[8:9], v[8:9], v[2:3], v[26:27]
	v_fma_f64 v[1:2], v[6:7], v[2:3], -v[4:5]
	v_mul_f64 v[3:4], v[20:21], v[12:13]
	v_add_f64 v[5:6], v[28:29], v[177:178]
	v_add_f64 v[12:13], v[34:35], v[175:176]
	s_waitcnt vmcnt(0) lgkmcnt(0)
	v_mul_f64 v[26:27], v[22:23], v[16:17]
	v_mul_f64 v[16:17], v[24:25], v[16:17]
	v_fma_f64 v[20:21], v[20:21], v[10:11], v[36:37]
	v_fma_f64 v[3:4], v[18:19], v[10:11], -v[3:4]
	v_add_f64 v[1:2], v[5:6], v[1:2]
	v_add_f64 v[5:6], v[12:13], v[8:9]
	v_fma_f64 v[7:8], v[24:25], v[14:15], v[26:27]
	v_fma_f64 v[9:10], v[22:23], v[14:15], -v[16:17]
	s_delay_alu instid0(VALU_DEP_4) | instskip(NEXT) | instid1(VALU_DEP_4)
	v_add_f64 v[1:2], v[1:2], v[3:4]
	v_add_f64 v[3:4], v[5:6], v[20:21]
	s_delay_alu instid0(VALU_DEP_2) | instskip(NEXT) | instid1(VALU_DEP_2)
	v_add_f64 v[1:2], v[1:2], v[9:10]
	v_add_f64 v[3:4], v[3:4], v[7:8]
	s_delay_alu instid0(VALU_DEP_2) | instskip(NEXT) | instid1(VALU_DEP_2)
	v_add_f64 v[1:2], v[30:31], -v[1:2]
	v_add_f64 v[3:4], v[32:33], -v[3:4]
	scratch_store_b128 off, v[1:4], off offset:528
	v_cmpx_lt_u32_e32 32, v174
	s_cbranch_execz .LBB125_333
; %bb.332:
	scratch_load_b32 v1, off, off offset:1176 ; 4-byte Folded Reload
	v_mov_b32_e32 v5, 0
	s_delay_alu instid0(VALU_DEP_1)
	v_mov_b32_e32 v6, v5
	v_mov_b32_e32 v7, v5
	;; [unrolled: 1-line block ×3, first 2 shown]
	s_waitcnt vmcnt(0)
	scratch_load_b128 v[1:4], v1, off
	scratch_store_b128 off, v[5:8], off offset:512
	s_waitcnt vmcnt(0)
	ds_store_b128 v255, v[1:4]
.LBB125_333:
	s_or_b32 exec_lo, exec_lo, s2
	s_waitcnt lgkmcnt(0)
	s_waitcnt_vscnt null, 0x0
	s_barrier
	buffer_gl0_inv
	s_clause 0x4
	scratch_load_b128 v[2:5], off, off offset:528
	scratch_load_b128 v[6:9], off, off offset:544
	;; [unrolled: 1-line block ×5, first 2 shown]
	v_mov_b32_e32 v1, 0
	scratch_load_b128 v[26:29], off, off offset:512
	s_mov_b32 s2, exec_lo
	ds_load_b128 v[22:25], v1 offset:1520
	ds_load_b128 v[30:33], v1 offset:1536
	s_waitcnt vmcnt(5) lgkmcnt(1)
	v_mul_f64 v[34:35], v[24:25], v[4:5]
	v_mul_f64 v[4:5], v[22:23], v[4:5]
	s_waitcnt vmcnt(4) lgkmcnt(0)
	v_mul_f64 v[36:37], v[30:31], v[8:9]
	v_mul_f64 v[8:9], v[32:33], v[8:9]
	s_delay_alu instid0(VALU_DEP_4) | instskip(NEXT) | instid1(VALU_DEP_4)
	v_fma_f64 v[22:23], v[22:23], v[2:3], -v[34:35]
	v_fma_f64 v[24:25], v[24:25], v[2:3], v[4:5]
	ds_load_b128 v[2:5], v1 offset:1552
	v_fma_f64 v[32:33], v[32:33], v[6:7], v[36:37]
	v_fma_f64 v[30:31], v[30:31], v[6:7], -v[8:9]
	ds_load_b128 v[6:9], v1 offset:1568
	s_waitcnt vmcnt(3) lgkmcnt(1)
	v_mul_f64 v[34:35], v[2:3], v[12:13]
	v_mul_f64 v[12:13], v[4:5], v[12:13]
	s_waitcnt vmcnt(2) lgkmcnt(0)
	v_mul_f64 v[36:37], v[6:7], v[16:17]
	s_delay_alu instid0(VALU_DEP_3) | instskip(NEXT) | instid1(VALU_DEP_3)
	v_fma_f64 v[34:35], v[4:5], v[10:11], v[34:35]
	v_fma_f64 v[38:39], v[2:3], v[10:11], -v[12:13]
	v_mul_f64 v[10:11], v[8:9], v[16:17]
	ds_load_b128 v[2:5], v1 offset:1584
	v_fma_f64 v[16:17], v[8:9], v[14:15], v[36:37]
	v_fma_f64 v[14:15], v[6:7], v[14:15], -v[10:11]
	ds_load_b128 v[6:9], v1 offset:1600
	s_waitcnt vmcnt(1) lgkmcnt(1)
	v_mul_f64 v[10:11], v[2:3], v[20:21]
	v_mul_f64 v[12:13], v[4:5], v[20:21]
	s_delay_alu instid0(VALU_DEP_2) | instskip(NEXT) | instid1(VALU_DEP_2)
	v_fma_f64 v[20:21], v[4:5], v[18:19], v[10:11]
	v_fma_f64 v[18:19], v[2:3], v[18:19], -v[12:13]
	s_clause 0x1
	scratch_load_b128 v[2:5], off, off offset:608
	scratch_load_b128 v[10:13], off, off offset:624
	s_waitcnt vmcnt(1) lgkmcnt(0)
	v_mul_f64 v[36:37], v[6:7], v[4:5]
	v_mul_f64 v[4:5], v[8:9], v[4:5]
	s_delay_alu instid0(VALU_DEP_2) | instskip(NEXT) | instid1(VALU_DEP_2)
	v_fma_f64 v[36:37], v[8:9], v[2:3], v[36:37]
	v_fma_f64 v[40:41], v[6:7], v[2:3], -v[4:5]
	ds_load_b128 v[2:5], v1 offset:1616
	ds_load_b128 v[6:9], v1 offset:1632
	s_waitcnt vmcnt(0) lgkmcnt(1)
	v_mul_f64 v[42:43], v[2:3], v[12:13]
	s_delay_alu instid0(VALU_DEP_1) | instskip(SKIP_1) | instid1(VALU_DEP_1)
	v_fma_f64 v[42:43], v[4:5], v[10:11], v[42:43]
	v_mul_f64 v[4:5], v[4:5], v[12:13]
	v_fma_f64 v[44:45], v[2:3], v[10:11], -v[4:5]
	s_clause 0x1
	scratch_load_b128 v[2:5], off, off offset:640
	scratch_load_b128 v[10:13], off, off offset:656
	s_waitcnt vmcnt(1) lgkmcnt(0)
	v_mul_f64 v[46:47], v[6:7], v[4:5]
	v_mul_f64 v[4:5], v[8:9], v[4:5]
	s_delay_alu instid0(VALU_DEP_2) | instskip(NEXT) | instid1(VALU_DEP_2)
	v_fma_f64 v[46:47], v[8:9], v[2:3], v[46:47]
	v_fma_f64 v[48:49], v[6:7], v[2:3], -v[4:5]
	ds_load_b128 v[2:5], v1 offset:1648
	ds_load_b128 v[6:9], v1 offset:1664
	s_waitcnt vmcnt(0) lgkmcnt(1)
	v_mul_f64 v[52:53], v[2:3], v[12:13]
	s_delay_alu instid0(VALU_DEP_1) | instskip(SKIP_1) | instid1(VALU_DEP_1)
	v_fma_f64 v[52:53], v[4:5], v[10:11], v[52:53]
	v_mul_f64 v[4:5], v[4:5], v[12:13]
	;; [unrolled: 17-line block ×10, first 2 shown]
	v_fma_f64 v[253:254], v[2:3], v[10:11], -v[4:5]
	v_add_f64 v[2:3], v[22:23], 0
	v_add_f64 v[4:5], v[24:25], 0
	s_delay_alu instid0(VALU_DEP_2) | instskip(NEXT) | instid1(VALU_DEP_2)
	v_add_f64 v[2:3], v[2:3], v[30:31]
	v_add_f64 v[4:5], v[4:5], v[32:33]
	s_delay_alu instid0(VALU_DEP_2) | instskip(NEXT) | instid1(VALU_DEP_2)
	;; [unrolled: 3-line block ×18, first 2 shown]
	v_add_f64 v[2:3], v[2:3], v[227:228]
	v_add_f64 v[10:11], v[4:5], v[223:224]
	s_delay_alu instid0(VALU_DEP_2)
	v_add_f64 v[12:13], v[2:3], v[231:232]
	scratch_load_b128 v[2:5], off, off offset:928
	v_add_f64 v[14:15], v[10:11], v[229:230]
	v_add_f64 v[16:17], v[12:13], v[237:238]
	scratch_load_b128 v[10:13], off, off offset:944
	v_add_f64 v[18:19], v[14:15], v[233:234]
	;; [unrolled: 3-line block ×4, first 2 shown]
	v_add_f64 v[24:25], v[24:25], v[249:250]
	s_delay_alu instid0(VALU_DEP_2) | instskip(NEXT) | instid1(VALU_DEP_2)
	v_add_f64 v[22:23], v[22:23], v[247:248]
	v_add_f64 v[24:25], v[24:25], v[253:254]
	s_delay_alu instid0(VALU_DEP_2) | instskip(SKIP_3) | instid1(VALU_DEP_2)
	v_add_f64 v[22:23], v[22:23], v[251:252]
	s_waitcnt vmcnt(3) lgkmcnt(0)
	v_mul_f64 v[30:31], v[6:7], v[4:5]
	v_mul_f64 v[4:5], v[8:9], v[4:5]
	v_fma_f64 v[30:31], v[8:9], v[2:3], v[30:31]
	s_delay_alu instid0(VALU_DEP_2)
	v_fma_f64 v[32:33], v[6:7], v[2:3], -v[4:5]
	ds_load_b128 v[2:5], v1 offset:1936
	ds_load_b128 v[6:9], v1 offset:1952
	s_waitcnt vmcnt(2) lgkmcnt(1)
	v_mul_f64 v[34:35], v[2:3], v[12:13]
	v_mul_f64 v[12:13], v[4:5], v[12:13]
	s_waitcnt vmcnt(1) lgkmcnt(0)
	v_mul_f64 v[36:37], v[6:7], v[16:17]
	v_add_f64 v[22:23], v[22:23], v[30:31]
	s_delay_alu instid0(VALU_DEP_4) | instskip(NEXT) | instid1(VALU_DEP_4)
	v_fma_f64 v[34:35], v[4:5], v[10:11], v[34:35]
	v_fma_f64 v[10:11], v[2:3], v[10:11], -v[12:13]
	v_mul_f64 v[12:13], v[8:9], v[16:17]
	v_add_f64 v[16:17], v[24:25], v[32:33]
	ds_load_b128 v[2:5], v1 offset:1968
	v_fma_f64 v[8:9], v[8:9], v[14:15], v[36:37]
	s_waitcnt vmcnt(0) lgkmcnt(0)
	v_mul_f64 v[24:25], v[2:3], v[20:21]
	v_mul_f64 v[20:21], v[4:5], v[20:21]
	v_fma_f64 v[6:7], v[6:7], v[14:15], -v[12:13]
	v_add_f64 v[10:11], v[16:17], v[10:11]
	v_add_f64 v[12:13], v[22:23], v[34:35]
	v_fma_f64 v[4:5], v[4:5], v[18:19], v[24:25]
	v_fma_f64 v[2:3], v[2:3], v[18:19], -v[20:21]
	s_delay_alu instid0(VALU_DEP_4) | instskip(NEXT) | instid1(VALU_DEP_4)
	v_add_f64 v[6:7], v[10:11], v[6:7]
	v_add_f64 v[8:9], v[12:13], v[8:9]
	s_delay_alu instid0(VALU_DEP_2) | instskip(NEXT) | instid1(VALU_DEP_2)
	v_add_f64 v[2:3], v[6:7], v[2:3]
	v_add_f64 v[4:5], v[8:9], v[4:5]
	s_delay_alu instid0(VALU_DEP_2) | instskip(NEXT) | instid1(VALU_DEP_2)
	v_add_f64 v[2:3], v[26:27], -v[2:3]
	v_add_f64 v[4:5], v[28:29], -v[4:5]
	scratch_store_b128 off, v[2:5], off offset:512
	v_cmpx_lt_u32_e32 31, v174
	s_cbranch_execz .LBB125_335
; %bb.334:
	scratch_load_b32 v2, off, off offset:1192 ; 4-byte Folded Reload
	v_mov_b32_e32 v3, v1
	v_mov_b32_e32 v4, v1
	s_waitcnt vmcnt(0)
	scratch_load_b128 v[5:8], v2, off
	v_mov_b32_e32 v2, v1
	scratch_store_b128 off, v[1:4], off offset:496
	s_waitcnt vmcnt(0)
	ds_store_b128 v255, v[5:8]
.LBB125_335:
	s_or_b32 exec_lo, exec_lo, s2
	s_waitcnt lgkmcnt(0)
	s_waitcnt_vscnt null, 0x0
	s_barrier
	buffer_gl0_inv
	s_clause 0x4
	scratch_load_b128 v[2:5], off, off offset:512
	scratch_load_b128 v[6:9], off, off offset:528
	;; [unrolled: 1-line block ×5, first 2 shown]
	ds_load_b128 v[22:25], v1 offset:1504
	ds_load_b128 v[26:29], v1 offset:1520
	scratch_load_b128 v[30:33], off, off offset:496
	s_mov_b32 s2, exec_lo
	s_waitcnt vmcnt(5) lgkmcnt(1)
	v_mul_f64 v[34:35], v[24:25], v[4:5]
	v_mul_f64 v[4:5], v[22:23], v[4:5]
	s_waitcnt vmcnt(4) lgkmcnt(0)
	v_mul_f64 v[36:37], v[26:27], v[8:9]
	v_mul_f64 v[8:9], v[28:29], v[8:9]
	s_delay_alu instid0(VALU_DEP_4) | instskip(NEXT) | instid1(VALU_DEP_4)
	v_fma_f64 v[22:23], v[22:23], v[2:3], -v[34:35]
	v_fma_f64 v[24:25], v[24:25], v[2:3], v[4:5]
	ds_load_b128 v[2:5], v1 offset:1536
	v_fma_f64 v[28:29], v[28:29], v[6:7], v[36:37]
	v_fma_f64 v[26:27], v[26:27], v[6:7], -v[8:9]
	ds_load_b128 v[6:9], v1 offset:1552
	s_waitcnt vmcnt(3) lgkmcnt(1)
	v_mul_f64 v[34:35], v[2:3], v[12:13]
	v_mul_f64 v[12:13], v[4:5], v[12:13]
	s_waitcnt vmcnt(2) lgkmcnt(0)
	v_mul_f64 v[36:37], v[6:7], v[16:17]
	s_delay_alu instid0(VALU_DEP_3) | instskip(NEXT) | instid1(VALU_DEP_3)
	v_fma_f64 v[34:35], v[4:5], v[10:11], v[34:35]
	v_fma_f64 v[38:39], v[2:3], v[10:11], -v[12:13]
	v_mul_f64 v[10:11], v[8:9], v[16:17]
	ds_load_b128 v[2:5], v1 offset:1568
	v_fma_f64 v[16:17], v[8:9], v[14:15], v[36:37]
	v_fma_f64 v[14:15], v[6:7], v[14:15], -v[10:11]
	ds_load_b128 v[6:9], v1 offset:1584
	s_waitcnt vmcnt(1) lgkmcnt(1)
	v_mul_f64 v[10:11], v[2:3], v[20:21]
	v_mul_f64 v[12:13], v[4:5], v[20:21]
	s_delay_alu instid0(VALU_DEP_2) | instskip(NEXT) | instid1(VALU_DEP_2)
	v_fma_f64 v[20:21], v[4:5], v[18:19], v[10:11]
	v_fma_f64 v[18:19], v[2:3], v[18:19], -v[12:13]
	s_clause 0x1
	scratch_load_b128 v[2:5], off, off offset:592
	scratch_load_b128 v[10:13], off, off offset:608
	s_waitcnt vmcnt(1) lgkmcnt(0)
	v_mul_f64 v[36:37], v[6:7], v[4:5]
	v_mul_f64 v[4:5], v[8:9], v[4:5]
	s_delay_alu instid0(VALU_DEP_2) | instskip(NEXT) | instid1(VALU_DEP_2)
	v_fma_f64 v[36:37], v[8:9], v[2:3], v[36:37]
	v_fma_f64 v[40:41], v[6:7], v[2:3], -v[4:5]
	ds_load_b128 v[2:5], v1 offset:1600
	ds_load_b128 v[6:9], v1 offset:1616
	s_waitcnt vmcnt(0) lgkmcnt(1)
	v_mul_f64 v[42:43], v[2:3], v[12:13]
	s_delay_alu instid0(VALU_DEP_1) | instskip(SKIP_1) | instid1(VALU_DEP_1)
	v_fma_f64 v[42:43], v[4:5], v[10:11], v[42:43]
	v_mul_f64 v[4:5], v[4:5], v[12:13]
	v_fma_f64 v[44:45], v[2:3], v[10:11], -v[4:5]
	s_clause 0x1
	scratch_load_b128 v[2:5], off, off offset:624
	scratch_load_b128 v[10:13], off, off offset:640
	s_waitcnt vmcnt(1) lgkmcnt(0)
	v_mul_f64 v[46:47], v[6:7], v[4:5]
	v_mul_f64 v[4:5], v[8:9], v[4:5]
	s_delay_alu instid0(VALU_DEP_2) | instskip(NEXT) | instid1(VALU_DEP_2)
	v_fma_f64 v[46:47], v[8:9], v[2:3], v[46:47]
	v_fma_f64 v[48:49], v[6:7], v[2:3], -v[4:5]
	ds_load_b128 v[2:5], v1 offset:1632
	ds_load_b128 v[6:9], v1 offset:1648
	s_waitcnt vmcnt(0) lgkmcnt(1)
	v_mul_f64 v[52:53], v[2:3], v[12:13]
	s_delay_alu instid0(VALU_DEP_1) | instskip(SKIP_1) | instid1(VALU_DEP_1)
	v_fma_f64 v[52:53], v[4:5], v[10:11], v[52:53]
	v_mul_f64 v[4:5], v[4:5], v[12:13]
	;; [unrolled: 17-line block ×11, first 2 shown]
	v_fma_f64 v[183:184], v[2:3], v[10:11], -v[4:5]
	v_add_f64 v[2:3], v[22:23], 0
	v_add_f64 v[4:5], v[24:25], 0
	s_delay_alu instid0(VALU_DEP_2) | instskip(NEXT) | instid1(VALU_DEP_2)
	v_add_f64 v[2:3], v[2:3], v[26:27]
	v_add_f64 v[4:5], v[4:5], v[28:29]
	s_delay_alu instid0(VALU_DEP_2) | instskip(NEXT) | instid1(VALU_DEP_2)
	;; [unrolled: 3-line block ×20, first 2 shown]
	v_add_f64 v[2:3], v[2:3], v[237:238]
	v_add_f64 v[10:11], v[4:5], v[233:234]
	s_delay_alu instid0(VALU_DEP_2)
	v_add_f64 v[12:13], v[2:3], v[241:242]
	scratch_load_b128 v[2:5], off, off offset:944
	v_add_f64 v[14:15], v[10:11], v[239:240]
	v_add_f64 v[16:17], v[12:13], v[245:246]
	scratch_load_b128 v[10:13], off, off offset:960
	v_add_f64 v[18:19], v[14:15], v[243:244]
	;; [unrolled: 3-line block ×3, first 2 shown]
	v_add_f64 v[20:21], v[20:21], v[253:254]
	s_delay_alu instid0(VALU_DEP_2) | instskip(NEXT) | instid1(VALU_DEP_2)
	v_add_f64 v[18:19], v[18:19], v[251:252]
	v_add_f64 v[28:29], v[20:21], v[181:182]
	s_delay_alu instid0(VALU_DEP_2)
	v_add_f64 v[34:35], v[18:19], v[179:180]
	ds_load_b128 v[18:21], v1 offset:1952
	ds_load_b128 v[22:25], v1 offset:1968
	s_waitcnt vmcnt(2) lgkmcnt(2)
	v_mul_f64 v[26:27], v[6:7], v[4:5]
	v_mul_f64 v[4:5], v[8:9], v[4:5]
	s_waitcnt vmcnt(1) lgkmcnt(1)
	v_mul_f64 v[36:37], v[18:19], v[12:13]
	s_delay_alu instid0(VALU_DEP_3) | instskip(NEXT) | instid1(VALU_DEP_3)
	v_fma_f64 v[8:9], v[8:9], v[2:3], v[26:27]
	v_fma_f64 v[1:2], v[6:7], v[2:3], -v[4:5]
	v_mul_f64 v[3:4], v[20:21], v[12:13]
	v_add_f64 v[5:6], v[28:29], v[183:184]
	v_add_f64 v[12:13], v[34:35], v[208:209]
	s_waitcnt vmcnt(0) lgkmcnt(0)
	v_mul_f64 v[26:27], v[22:23], v[16:17]
	v_mul_f64 v[16:17], v[24:25], v[16:17]
	v_fma_f64 v[20:21], v[20:21], v[10:11], v[36:37]
	v_fma_f64 v[3:4], v[18:19], v[10:11], -v[3:4]
	v_add_f64 v[1:2], v[5:6], v[1:2]
	v_add_f64 v[5:6], v[12:13], v[8:9]
	v_fma_f64 v[7:8], v[24:25], v[14:15], v[26:27]
	v_fma_f64 v[9:10], v[22:23], v[14:15], -v[16:17]
	s_delay_alu instid0(VALU_DEP_4) | instskip(NEXT) | instid1(VALU_DEP_4)
	v_add_f64 v[1:2], v[1:2], v[3:4]
	v_add_f64 v[3:4], v[5:6], v[20:21]
	s_delay_alu instid0(VALU_DEP_2) | instskip(NEXT) | instid1(VALU_DEP_2)
	v_add_f64 v[1:2], v[1:2], v[9:10]
	v_add_f64 v[3:4], v[3:4], v[7:8]
	s_delay_alu instid0(VALU_DEP_2) | instskip(NEXT) | instid1(VALU_DEP_2)
	v_add_f64 v[1:2], v[30:31], -v[1:2]
	v_add_f64 v[3:4], v[32:33], -v[3:4]
	scratch_store_b128 off, v[1:4], off offset:496
	v_cmpx_lt_u32_e32 30, v174
	s_cbranch_execz .LBB125_337
; %bb.336:
	scratch_load_b32 v1, off, off offset:1056 ; 4-byte Folded Reload
	v_mov_b32_e32 v5, 0
	s_delay_alu instid0(VALU_DEP_1)
	v_mov_b32_e32 v6, v5
	v_mov_b32_e32 v7, v5
	;; [unrolled: 1-line block ×3, first 2 shown]
	s_waitcnt vmcnt(0)
	scratch_load_b128 v[1:4], v1, off
	scratch_store_b128 off, v[5:8], off offset:480
	s_waitcnt vmcnt(0)
	ds_store_b128 v255, v[1:4]
.LBB125_337:
	s_or_b32 exec_lo, exec_lo, s2
	s_waitcnt lgkmcnt(0)
	s_waitcnt_vscnt null, 0x0
	s_barrier
	buffer_gl0_inv
	s_clause 0x4
	scratch_load_b128 v[2:5], off, off offset:496
	scratch_load_b128 v[6:9], off, off offset:512
	scratch_load_b128 v[10:13], off, off offset:528
	scratch_load_b128 v[14:17], off, off offset:544
	scratch_load_b128 v[18:21], off, off offset:560
	v_mov_b32_e32 v1, 0
	scratch_load_b128 v[26:29], off, off offset:480
	s_mov_b32 s2, exec_lo
	ds_load_b128 v[22:25], v1 offset:1488
	ds_load_b128 v[30:33], v1 offset:1504
	s_waitcnt vmcnt(5) lgkmcnt(1)
	v_mul_f64 v[34:35], v[24:25], v[4:5]
	v_mul_f64 v[4:5], v[22:23], v[4:5]
	s_waitcnt vmcnt(4) lgkmcnt(0)
	v_mul_f64 v[36:37], v[30:31], v[8:9]
	v_mul_f64 v[8:9], v[32:33], v[8:9]
	s_delay_alu instid0(VALU_DEP_4) | instskip(NEXT) | instid1(VALU_DEP_4)
	v_fma_f64 v[22:23], v[22:23], v[2:3], -v[34:35]
	v_fma_f64 v[24:25], v[24:25], v[2:3], v[4:5]
	ds_load_b128 v[2:5], v1 offset:1520
	v_fma_f64 v[32:33], v[32:33], v[6:7], v[36:37]
	v_fma_f64 v[30:31], v[30:31], v[6:7], -v[8:9]
	ds_load_b128 v[6:9], v1 offset:1536
	s_waitcnt vmcnt(3) lgkmcnt(1)
	v_mul_f64 v[34:35], v[2:3], v[12:13]
	v_mul_f64 v[12:13], v[4:5], v[12:13]
	s_waitcnt vmcnt(2) lgkmcnt(0)
	v_mul_f64 v[36:37], v[6:7], v[16:17]
	s_delay_alu instid0(VALU_DEP_3) | instskip(NEXT) | instid1(VALU_DEP_3)
	v_fma_f64 v[34:35], v[4:5], v[10:11], v[34:35]
	v_fma_f64 v[38:39], v[2:3], v[10:11], -v[12:13]
	v_mul_f64 v[10:11], v[8:9], v[16:17]
	ds_load_b128 v[2:5], v1 offset:1552
	v_fma_f64 v[16:17], v[8:9], v[14:15], v[36:37]
	v_fma_f64 v[14:15], v[6:7], v[14:15], -v[10:11]
	ds_load_b128 v[6:9], v1 offset:1568
	s_waitcnt vmcnt(1) lgkmcnt(1)
	v_mul_f64 v[10:11], v[2:3], v[20:21]
	v_mul_f64 v[12:13], v[4:5], v[20:21]
	s_delay_alu instid0(VALU_DEP_2) | instskip(NEXT) | instid1(VALU_DEP_2)
	v_fma_f64 v[20:21], v[4:5], v[18:19], v[10:11]
	v_fma_f64 v[18:19], v[2:3], v[18:19], -v[12:13]
	s_clause 0x1
	scratch_load_b128 v[2:5], off, off offset:576
	scratch_load_b128 v[10:13], off, off offset:592
	s_waitcnt vmcnt(1) lgkmcnt(0)
	v_mul_f64 v[36:37], v[6:7], v[4:5]
	v_mul_f64 v[4:5], v[8:9], v[4:5]
	s_delay_alu instid0(VALU_DEP_2) | instskip(NEXT) | instid1(VALU_DEP_2)
	v_fma_f64 v[36:37], v[8:9], v[2:3], v[36:37]
	v_fma_f64 v[40:41], v[6:7], v[2:3], -v[4:5]
	ds_load_b128 v[2:5], v1 offset:1584
	ds_load_b128 v[6:9], v1 offset:1600
	s_waitcnt vmcnt(0) lgkmcnt(1)
	v_mul_f64 v[42:43], v[2:3], v[12:13]
	s_delay_alu instid0(VALU_DEP_1) | instskip(SKIP_1) | instid1(VALU_DEP_1)
	v_fma_f64 v[42:43], v[4:5], v[10:11], v[42:43]
	v_mul_f64 v[4:5], v[4:5], v[12:13]
	v_fma_f64 v[44:45], v[2:3], v[10:11], -v[4:5]
	s_clause 0x1
	scratch_load_b128 v[2:5], off, off offset:608
	scratch_load_b128 v[10:13], off, off offset:624
	s_waitcnt vmcnt(1) lgkmcnt(0)
	v_mul_f64 v[46:47], v[6:7], v[4:5]
	v_mul_f64 v[4:5], v[8:9], v[4:5]
	s_delay_alu instid0(VALU_DEP_2) | instskip(NEXT) | instid1(VALU_DEP_2)
	v_fma_f64 v[46:47], v[8:9], v[2:3], v[46:47]
	v_fma_f64 v[48:49], v[6:7], v[2:3], -v[4:5]
	ds_load_b128 v[2:5], v1 offset:1616
	ds_load_b128 v[6:9], v1 offset:1632
	s_waitcnt vmcnt(0) lgkmcnt(1)
	v_mul_f64 v[52:53], v[2:3], v[12:13]
	s_delay_alu instid0(VALU_DEP_1) | instskip(SKIP_1) | instid1(VALU_DEP_1)
	v_fma_f64 v[52:53], v[4:5], v[10:11], v[52:53]
	v_mul_f64 v[4:5], v[4:5], v[12:13]
	;; [unrolled: 17-line block ×11, first 2 shown]
	v_fma_f64 v[253:254], v[2:3], v[10:11], -v[4:5]
	v_add_f64 v[2:3], v[22:23], 0
	v_add_f64 v[4:5], v[24:25], 0
	s_delay_alu instid0(VALU_DEP_2) | instskip(NEXT) | instid1(VALU_DEP_2)
	v_add_f64 v[2:3], v[2:3], v[30:31]
	v_add_f64 v[4:5], v[4:5], v[32:33]
	s_delay_alu instid0(VALU_DEP_2) | instskip(NEXT) | instid1(VALU_DEP_2)
	;; [unrolled: 3-line block ×20, first 2 shown]
	v_add_f64 v[2:3], v[2:3], v[227:228]
	v_add_f64 v[10:11], v[4:5], v[223:224]
	s_delay_alu instid0(VALU_DEP_2)
	v_add_f64 v[12:13], v[2:3], v[231:232]
	scratch_load_b128 v[2:5], off, off offset:928
	v_add_f64 v[14:15], v[10:11], v[229:230]
	v_add_f64 v[16:17], v[12:13], v[237:238]
	scratch_load_b128 v[10:13], off, off offset:944
	v_add_f64 v[18:19], v[14:15], v[233:234]
	;; [unrolled: 3-line block ×4, first 2 shown]
	v_add_f64 v[24:25], v[24:25], v[249:250]
	s_delay_alu instid0(VALU_DEP_2) | instskip(NEXT) | instid1(VALU_DEP_2)
	v_add_f64 v[22:23], v[22:23], v[247:248]
	v_add_f64 v[24:25], v[24:25], v[253:254]
	s_delay_alu instid0(VALU_DEP_2) | instskip(SKIP_3) | instid1(VALU_DEP_2)
	v_add_f64 v[22:23], v[22:23], v[251:252]
	s_waitcnt vmcnt(3) lgkmcnt(0)
	v_mul_f64 v[30:31], v[6:7], v[4:5]
	v_mul_f64 v[4:5], v[8:9], v[4:5]
	v_fma_f64 v[30:31], v[8:9], v[2:3], v[30:31]
	s_delay_alu instid0(VALU_DEP_2)
	v_fma_f64 v[32:33], v[6:7], v[2:3], -v[4:5]
	ds_load_b128 v[2:5], v1 offset:1936
	ds_load_b128 v[6:9], v1 offset:1952
	s_waitcnt vmcnt(2) lgkmcnt(1)
	v_mul_f64 v[34:35], v[2:3], v[12:13]
	v_mul_f64 v[12:13], v[4:5], v[12:13]
	s_waitcnt vmcnt(1) lgkmcnt(0)
	v_mul_f64 v[36:37], v[6:7], v[16:17]
	v_add_f64 v[22:23], v[22:23], v[30:31]
	s_delay_alu instid0(VALU_DEP_4) | instskip(NEXT) | instid1(VALU_DEP_4)
	v_fma_f64 v[34:35], v[4:5], v[10:11], v[34:35]
	v_fma_f64 v[10:11], v[2:3], v[10:11], -v[12:13]
	v_mul_f64 v[12:13], v[8:9], v[16:17]
	v_add_f64 v[16:17], v[24:25], v[32:33]
	ds_load_b128 v[2:5], v1 offset:1968
	v_fma_f64 v[8:9], v[8:9], v[14:15], v[36:37]
	s_waitcnt vmcnt(0) lgkmcnt(0)
	v_mul_f64 v[24:25], v[2:3], v[20:21]
	v_mul_f64 v[20:21], v[4:5], v[20:21]
	v_fma_f64 v[6:7], v[6:7], v[14:15], -v[12:13]
	v_add_f64 v[10:11], v[16:17], v[10:11]
	v_add_f64 v[12:13], v[22:23], v[34:35]
	v_fma_f64 v[4:5], v[4:5], v[18:19], v[24:25]
	v_fma_f64 v[2:3], v[2:3], v[18:19], -v[20:21]
	s_delay_alu instid0(VALU_DEP_4) | instskip(NEXT) | instid1(VALU_DEP_4)
	v_add_f64 v[6:7], v[10:11], v[6:7]
	v_add_f64 v[8:9], v[12:13], v[8:9]
	s_delay_alu instid0(VALU_DEP_2) | instskip(NEXT) | instid1(VALU_DEP_2)
	v_add_f64 v[2:3], v[6:7], v[2:3]
	v_add_f64 v[4:5], v[8:9], v[4:5]
	s_delay_alu instid0(VALU_DEP_2) | instskip(NEXT) | instid1(VALU_DEP_2)
	v_add_f64 v[2:3], v[26:27], -v[2:3]
	v_add_f64 v[4:5], v[28:29], -v[4:5]
	scratch_store_b128 off, v[2:5], off offset:480
	v_cmpx_lt_u32_e32 29, v174
	s_cbranch_execz .LBB125_339
; %bb.338:
	scratch_load_b32 v2, off, off offset:1064 ; 4-byte Folded Reload
	v_mov_b32_e32 v3, v1
	v_mov_b32_e32 v4, v1
	s_waitcnt vmcnt(0)
	scratch_load_b128 v[5:8], v2, off
	v_mov_b32_e32 v2, v1
	scratch_store_b128 off, v[1:4], off offset:464
	s_waitcnt vmcnt(0)
	ds_store_b128 v255, v[5:8]
.LBB125_339:
	s_or_b32 exec_lo, exec_lo, s2
	s_waitcnt lgkmcnt(0)
	s_waitcnt_vscnt null, 0x0
	s_barrier
	buffer_gl0_inv
	s_clause 0x4
	scratch_load_b128 v[2:5], off, off offset:480
	scratch_load_b128 v[6:9], off, off offset:496
	;; [unrolled: 1-line block ×5, first 2 shown]
	ds_load_b128 v[22:25], v1 offset:1472
	ds_load_b128 v[26:29], v1 offset:1488
	scratch_load_b128 v[30:33], off, off offset:464
	s_mov_b32 s2, exec_lo
	s_waitcnt vmcnt(5) lgkmcnt(1)
	v_mul_f64 v[34:35], v[24:25], v[4:5]
	v_mul_f64 v[4:5], v[22:23], v[4:5]
	s_waitcnt vmcnt(4) lgkmcnt(0)
	v_mul_f64 v[36:37], v[26:27], v[8:9]
	v_mul_f64 v[8:9], v[28:29], v[8:9]
	s_delay_alu instid0(VALU_DEP_4) | instskip(NEXT) | instid1(VALU_DEP_4)
	v_fma_f64 v[22:23], v[22:23], v[2:3], -v[34:35]
	v_fma_f64 v[24:25], v[24:25], v[2:3], v[4:5]
	ds_load_b128 v[2:5], v1 offset:1504
	v_fma_f64 v[28:29], v[28:29], v[6:7], v[36:37]
	v_fma_f64 v[26:27], v[26:27], v[6:7], -v[8:9]
	ds_load_b128 v[6:9], v1 offset:1520
	s_waitcnt vmcnt(3) lgkmcnt(1)
	v_mul_f64 v[34:35], v[2:3], v[12:13]
	v_mul_f64 v[12:13], v[4:5], v[12:13]
	s_waitcnt vmcnt(2) lgkmcnt(0)
	v_mul_f64 v[36:37], v[6:7], v[16:17]
	s_delay_alu instid0(VALU_DEP_3) | instskip(NEXT) | instid1(VALU_DEP_3)
	v_fma_f64 v[34:35], v[4:5], v[10:11], v[34:35]
	v_fma_f64 v[38:39], v[2:3], v[10:11], -v[12:13]
	v_mul_f64 v[10:11], v[8:9], v[16:17]
	ds_load_b128 v[2:5], v1 offset:1536
	v_fma_f64 v[16:17], v[8:9], v[14:15], v[36:37]
	v_fma_f64 v[14:15], v[6:7], v[14:15], -v[10:11]
	ds_load_b128 v[6:9], v1 offset:1552
	s_waitcnt vmcnt(1) lgkmcnt(1)
	v_mul_f64 v[10:11], v[2:3], v[20:21]
	v_mul_f64 v[12:13], v[4:5], v[20:21]
	s_delay_alu instid0(VALU_DEP_2) | instskip(NEXT) | instid1(VALU_DEP_2)
	v_fma_f64 v[20:21], v[4:5], v[18:19], v[10:11]
	v_fma_f64 v[18:19], v[2:3], v[18:19], -v[12:13]
	s_clause 0x1
	scratch_load_b128 v[2:5], off, off offset:560
	scratch_load_b128 v[10:13], off, off offset:576
	s_waitcnt vmcnt(1) lgkmcnt(0)
	v_mul_f64 v[36:37], v[6:7], v[4:5]
	v_mul_f64 v[4:5], v[8:9], v[4:5]
	s_delay_alu instid0(VALU_DEP_2) | instskip(NEXT) | instid1(VALU_DEP_2)
	v_fma_f64 v[36:37], v[8:9], v[2:3], v[36:37]
	v_fma_f64 v[40:41], v[6:7], v[2:3], -v[4:5]
	ds_load_b128 v[2:5], v1 offset:1568
	ds_load_b128 v[6:9], v1 offset:1584
	s_waitcnt vmcnt(0) lgkmcnt(1)
	v_mul_f64 v[42:43], v[2:3], v[12:13]
	s_delay_alu instid0(VALU_DEP_1) | instskip(SKIP_1) | instid1(VALU_DEP_1)
	v_fma_f64 v[42:43], v[4:5], v[10:11], v[42:43]
	v_mul_f64 v[4:5], v[4:5], v[12:13]
	v_fma_f64 v[44:45], v[2:3], v[10:11], -v[4:5]
	s_clause 0x1
	scratch_load_b128 v[2:5], off, off offset:592
	scratch_load_b128 v[10:13], off, off offset:608
	s_waitcnt vmcnt(1) lgkmcnt(0)
	v_mul_f64 v[46:47], v[6:7], v[4:5]
	v_mul_f64 v[4:5], v[8:9], v[4:5]
	s_delay_alu instid0(VALU_DEP_2) | instskip(NEXT) | instid1(VALU_DEP_2)
	v_fma_f64 v[46:47], v[8:9], v[2:3], v[46:47]
	v_fma_f64 v[48:49], v[6:7], v[2:3], -v[4:5]
	ds_load_b128 v[2:5], v1 offset:1600
	ds_load_b128 v[6:9], v1 offset:1616
	s_waitcnt vmcnt(0) lgkmcnt(1)
	v_mul_f64 v[52:53], v[2:3], v[12:13]
	s_delay_alu instid0(VALU_DEP_1) | instskip(SKIP_1) | instid1(VALU_DEP_1)
	v_fma_f64 v[52:53], v[4:5], v[10:11], v[52:53]
	v_mul_f64 v[4:5], v[4:5], v[12:13]
	;; [unrolled: 17-line block ×12, first 2 shown]
	v_fma_f64 v[221:222], v[2:3], v[10:11], -v[4:5]
	v_add_f64 v[2:3], v[22:23], 0
	v_add_f64 v[4:5], v[24:25], 0
	s_delay_alu instid0(VALU_DEP_2) | instskip(NEXT) | instid1(VALU_DEP_2)
	v_add_f64 v[2:3], v[2:3], v[26:27]
	v_add_f64 v[4:5], v[4:5], v[28:29]
	s_delay_alu instid0(VALU_DEP_2) | instskip(NEXT) | instid1(VALU_DEP_2)
	;; [unrolled: 3-line block ×22, first 2 shown]
	v_add_f64 v[2:3], v[2:3], v[237:238]
	v_add_f64 v[10:11], v[4:5], v[233:234]
	s_delay_alu instid0(VALU_DEP_2)
	v_add_f64 v[12:13], v[2:3], v[241:242]
	scratch_load_b128 v[2:5], off, off offset:944
	v_add_f64 v[14:15], v[10:11], v[239:240]
	v_add_f64 v[16:17], v[12:13], v[245:246]
	scratch_load_b128 v[10:13], off, off offset:960
	v_add_f64 v[18:19], v[14:15], v[243:244]
	;; [unrolled: 3-line block ×3, first 2 shown]
	v_add_f64 v[20:21], v[20:21], v[253:254]
	s_delay_alu instid0(VALU_DEP_2) | instskip(NEXT) | instid1(VALU_DEP_2)
	v_add_f64 v[18:19], v[18:19], v[251:252]
	v_add_f64 v[28:29], v[20:21], v[215:216]
	s_delay_alu instid0(VALU_DEP_2)
	v_add_f64 v[34:35], v[18:19], v[213:214]
	ds_load_b128 v[18:21], v1 offset:1952
	ds_load_b128 v[22:25], v1 offset:1968
	s_waitcnt vmcnt(2) lgkmcnt(2)
	v_mul_f64 v[26:27], v[6:7], v[4:5]
	v_mul_f64 v[4:5], v[8:9], v[4:5]
	s_waitcnt vmcnt(1) lgkmcnt(1)
	v_mul_f64 v[36:37], v[18:19], v[12:13]
	s_delay_alu instid0(VALU_DEP_3) | instskip(NEXT) | instid1(VALU_DEP_3)
	v_fma_f64 v[8:9], v[8:9], v[2:3], v[26:27]
	v_fma_f64 v[1:2], v[6:7], v[2:3], -v[4:5]
	v_mul_f64 v[3:4], v[20:21], v[12:13]
	v_add_f64 v[5:6], v[28:29], v[221:222]
	v_add_f64 v[12:13], v[34:35], v[219:220]
	s_waitcnt vmcnt(0) lgkmcnt(0)
	v_mul_f64 v[26:27], v[22:23], v[16:17]
	v_mul_f64 v[16:17], v[24:25], v[16:17]
	v_fma_f64 v[20:21], v[20:21], v[10:11], v[36:37]
	v_fma_f64 v[3:4], v[18:19], v[10:11], -v[3:4]
	v_add_f64 v[1:2], v[5:6], v[1:2]
	v_add_f64 v[5:6], v[12:13], v[8:9]
	v_fma_f64 v[7:8], v[24:25], v[14:15], v[26:27]
	v_fma_f64 v[9:10], v[22:23], v[14:15], -v[16:17]
	s_delay_alu instid0(VALU_DEP_4) | instskip(NEXT) | instid1(VALU_DEP_4)
	v_add_f64 v[1:2], v[1:2], v[3:4]
	v_add_f64 v[3:4], v[5:6], v[20:21]
	s_delay_alu instid0(VALU_DEP_2) | instskip(NEXT) | instid1(VALU_DEP_2)
	v_add_f64 v[1:2], v[1:2], v[9:10]
	v_add_f64 v[3:4], v[3:4], v[7:8]
	s_delay_alu instid0(VALU_DEP_2) | instskip(NEXT) | instid1(VALU_DEP_2)
	v_add_f64 v[1:2], v[30:31], -v[1:2]
	v_add_f64 v[3:4], v[32:33], -v[3:4]
	scratch_store_b128 off, v[1:4], off offset:464
	v_cmpx_lt_u32_e32 28, v174
	s_cbranch_execz .LBB125_341
; %bb.340:
	scratch_load_b32 v1, off, off offset:1072 ; 4-byte Folded Reload
	v_mov_b32_e32 v5, 0
	s_delay_alu instid0(VALU_DEP_1)
	v_mov_b32_e32 v6, v5
	v_mov_b32_e32 v7, v5
	;; [unrolled: 1-line block ×3, first 2 shown]
	s_waitcnt vmcnt(0)
	scratch_load_b128 v[1:4], v1, off
	scratch_store_b128 off, v[5:8], off offset:448
	s_waitcnt vmcnt(0)
	ds_store_b128 v255, v[1:4]
.LBB125_341:
	s_or_b32 exec_lo, exec_lo, s2
	s_waitcnt lgkmcnt(0)
	s_waitcnt_vscnt null, 0x0
	s_barrier
	buffer_gl0_inv
	s_clause 0x4
	scratch_load_b128 v[2:5], off, off offset:464
	scratch_load_b128 v[6:9], off, off offset:480
	;; [unrolled: 1-line block ×5, first 2 shown]
	v_mov_b32_e32 v1, 0
	scratch_load_b128 v[26:29], off, off offset:448
	s_mov_b32 s2, exec_lo
	ds_load_b128 v[22:25], v1 offset:1456
	ds_load_b128 v[30:33], v1 offset:1472
	s_waitcnt vmcnt(5) lgkmcnt(1)
	v_mul_f64 v[34:35], v[24:25], v[4:5]
	v_mul_f64 v[4:5], v[22:23], v[4:5]
	s_waitcnt vmcnt(4) lgkmcnt(0)
	v_mul_f64 v[36:37], v[30:31], v[8:9]
	v_mul_f64 v[8:9], v[32:33], v[8:9]
	s_delay_alu instid0(VALU_DEP_4) | instskip(NEXT) | instid1(VALU_DEP_4)
	v_fma_f64 v[22:23], v[22:23], v[2:3], -v[34:35]
	v_fma_f64 v[24:25], v[24:25], v[2:3], v[4:5]
	ds_load_b128 v[2:5], v1 offset:1488
	v_fma_f64 v[32:33], v[32:33], v[6:7], v[36:37]
	v_fma_f64 v[30:31], v[30:31], v[6:7], -v[8:9]
	ds_load_b128 v[6:9], v1 offset:1504
	s_waitcnt vmcnt(3) lgkmcnt(1)
	v_mul_f64 v[34:35], v[2:3], v[12:13]
	v_mul_f64 v[12:13], v[4:5], v[12:13]
	s_waitcnt vmcnt(2) lgkmcnt(0)
	v_mul_f64 v[36:37], v[6:7], v[16:17]
	s_delay_alu instid0(VALU_DEP_3) | instskip(NEXT) | instid1(VALU_DEP_3)
	v_fma_f64 v[34:35], v[4:5], v[10:11], v[34:35]
	v_fma_f64 v[38:39], v[2:3], v[10:11], -v[12:13]
	v_mul_f64 v[10:11], v[8:9], v[16:17]
	ds_load_b128 v[2:5], v1 offset:1520
	v_fma_f64 v[16:17], v[8:9], v[14:15], v[36:37]
	v_fma_f64 v[14:15], v[6:7], v[14:15], -v[10:11]
	ds_load_b128 v[6:9], v1 offset:1536
	s_waitcnt vmcnt(1) lgkmcnt(1)
	v_mul_f64 v[10:11], v[2:3], v[20:21]
	v_mul_f64 v[12:13], v[4:5], v[20:21]
	s_delay_alu instid0(VALU_DEP_2) | instskip(NEXT) | instid1(VALU_DEP_2)
	v_fma_f64 v[20:21], v[4:5], v[18:19], v[10:11]
	v_fma_f64 v[18:19], v[2:3], v[18:19], -v[12:13]
	s_clause 0x1
	scratch_load_b128 v[2:5], off, off offset:544
	scratch_load_b128 v[10:13], off, off offset:560
	s_waitcnt vmcnt(1) lgkmcnt(0)
	v_mul_f64 v[36:37], v[6:7], v[4:5]
	v_mul_f64 v[4:5], v[8:9], v[4:5]
	s_delay_alu instid0(VALU_DEP_2) | instskip(NEXT) | instid1(VALU_DEP_2)
	v_fma_f64 v[36:37], v[8:9], v[2:3], v[36:37]
	v_fma_f64 v[40:41], v[6:7], v[2:3], -v[4:5]
	ds_load_b128 v[2:5], v1 offset:1552
	ds_load_b128 v[6:9], v1 offset:1568
	s_waitcnt vmcnt(0) lgkmcnt(1)
	v_mul_f64 v[42:43], v[2:3], v[12:13]
	s_delay_alu instid0(VALU_DEP_1) | instskip(SKIP_1) | instid1(VALU_DEP_1)
	v_fma_f64 v[42:43], v[4:5], v[10:11], v[42:43]
	v_mul_f64 v[4:5], v[4:5], v[12:13]
	v_fma_f64 v[44:45], v[2:3], v[10:11], -v[4:5]
	s_clause 0x1
	scratch_load_b128 v[2:5], off, off offset:576
	scratch_load_b128 v[10:13], off, off offset:592
	s_waitcnt vmcnt(1) lgkmcnt(0)
	v_mul_f64 v[46:47], v[6:7], v[4:5]
	v_mul_f64 v[4:5], v[8:9], v[4:5]
	s_delay_alu instid0(VALU_DEP_2) | instskip(NEXT) | instid1(VALU_DEP_2)
	v_fma_f64 v[46:47], v[8:9], v[2:3], v[46:47]
	v_fma_f64 v[48:49], v[6:7], v[2:3], -v[4:5]
	ds_load_b128 v[2:5], v1 offset:1584
	ds_load_b128 v[6:9], v1 offset:1600
	s_waitcnt vmcnt(0) lgkmcnt(1)
	v_mul_f64 v[52:53], v[2:3], v[12:13]
	s_delay_alu instid0(VALU_DEP_1) | instskip(SKIP_1) | instid1(VALU_DEP_1)
	v_fma_f64 v[52:53], v[4:5], v[10:11], v[52:53]
	v_mul_f64 v[4:5], v[4:5], v[12:13]
	;; [unrolled: 17-line block ×12, first 2 shown]
	v_fma_f64 v[253:254], v[2:3], v[10:11], -v[4:5]
	v_add_f64 v[2:3], v[22:23], 0
	v_add_f64 v[4:5], v[24:25], 0
	s_delay_alu instid0(VALU_DEP_2) | instskip(NEXT) | instid1(VALU_DEP_2)
	v_add_f64 v[2:3], v[2:3], v[30:31]
	v_add_f64 v[4:5], v[4:5], v[32:33]
	s_delay_alu instid0(VALU_DEP_2) | instskip(NEXT) | instid1(VALU_DEP_2)
	;; [unrolled: 3-line block ×22, first 2 shown]
	v_add_f64 v[2:3], v[2:3], v[227:228]
	v_add_f64 v[10:11], v[4:5], v[223:224]
	s_delay_alu instid0(VALU_DEP_2)
	v_add_f64 v[12:13], v[2:3], v[231:232]
	scratch_load_b128 v[2:5], off, off offset:928
	v_add_f64 v[14:15], v[10:11], v[229:230]
	v_add_f64 v[16:17], v[12:13], v[237:238]
	scratch_load_b128 v[10:13], off, off offset:944
	v_add_f64 v[18:19], v[14:15], v[233:234]
	;; [unrolled: 3-line block ×4, first 2 shown]
	v_add_f64 v[24:25], v[24:25], v[249:250]
	s_delay_alu instid0(VALU_DEP_2) | instskip(NEXT) | instid1(VALU_DEP_2)
	v_add_f64 v[22:23], v[22:23], v[247:248]
	v_add_f64 v[24:25], v[24:25], v[253:254]
	s_delay_alu instid0(VALU_DEP_2) | instskip(SKIP_3) | instid1(VALU_DEP_2)
	v_add_f64 v[22:23], v[22:23], v[251:252]
	s_waitcnt vmcnt(3) lgkmcnt(0)
	v_mul_f64 v[30:31], v[6:7], v[4:5]
	v_mul_f64 v[4:5], v[8:9], v[4:5]
	v_fma_f64 v[30:31], v[8:9], v[2:3], v[30:31]
	s_delay_alu instid0(VALU_DEP_2)
	v_fma_f64 v[32:33], v[6:7], v[2:3], -v[4:5]
	ds_load_b128 v[2:5], v1 offset:1936
	ds_load_b128 v[6:9], v1 offset:1952
	s_waitcnt vmcnt(2) lgkmcnt(1)
	v_mul_f64 v[34:35], v[2:3], v[12:13]
	v_mul_f64 v[12:13], v[4:5], v[12:13]
	s_waitcnt vmcnt(1) lgkmcnt(0)
	v_mul_f64 v[36:37], v[6:7], v[16:17]
	v_add_f64 v[22:23], v[22:23], v[30:31]
	s_delay_alu instid0(VALU_DEP_4) | instskip(NEXT) | instid1(VALU_DEP_4)
	v_fma_f64 v[34:35], v[4:5], v[10:11], v[34:35]
	v_fma_f64 v[10:11], v[2:3], v[10:11], -v[12:13]
	v_mul_f64 v[12:13], v[8:9], v[16:17]
	v_add_f64 v[16:17], v[24:25], v[32:33]
	ds_load_b128 v[2:5], v1 offset:1968
	v_fma_f64 v[8:9], v[8:9], v[14:15], v[36:37]
	s_waitcnt vmcnt(0) lgkmcnt(0)
	v_mul_f64 v[24:25], v[2:3], v[20:21]
	v_mul_f64 v[20:21], v[4:5], v[20:21]
	v_fma_f64 v[6:7], v[6:7], v[14:15], -v[12:13]
	v_add_f64 v[10:11], v[16:17], v[10:11]
	v_add_f64 v[12:13], v[22:23], v[34:35]
	v_fma_f64 v[4:5], v[4:5], v[18:19], v[24:25]
	v_fma_f64 v[2:3], v[2:3], v[18:19], -v[20:21]
	s_delay_alu instid0(VALU_DEP_4) | instskip(NEXT) | instid1(VALU_DEP_4)
	v_add_f64 v[6:7], v[10:11], v[6:7]
	v_add_f64 v[8:9], v[12:13], v[8:9]
	s_delay_alu instid0(VALU_DEP_2) | instskip(NEXT) | instid1(VALU_DEP_2)
	v_add_f64 v[2:3], v[6:7], v[2:3]
	v_add_f64 v[4:5], v[8:9], v[4:5]
	s_delay_alu instid0(VALU_DEP_2) | instskip(NEXT) | instid1(VALU_DEP_2)
	v_add_f64 v[2:3], v[26:27], -v[2:3]
	v_add_f64 v[4:5], v[28:29], -v[4:5]
	scratch_store_b128 off, v[2:5], off offset:448
	v_cmpx_lt_u32_e32 27, v174
	s_cbranch_execz .LBB125_343
; %bb.342:
	scratch_load_b32 v2, off, off offset:1080 ; 4-byte Folded Reload
	v_mov_b32_e32 v3, v1
	v_mov_b32_e32 v4, v1
	s_waitcnt vmcnt(0)
	scratch_load_b128 v[5:8], v2, off
	v_mov_b32_e32 v2, v1
	scratch_store_b128 off, v[1:4], off offset:432
	s_waitcnt vmcnt(0)
	ds_store_b128 v255, v[5:8]
.LBB125_343:
	s_or_b32 exec_lo, exec_lo, s2
	s_waitcnt lgkmcnt(0)
	s_waitcnt_vscnt null, 0x0
	s_barrier
	buffer_gl0_inv
	s_clause 0x4
	scratch_load_b128 v[2:5], off, off offset:448
	scratch_load_b128 v[6:9], off, off offset:464
	;; [unrolled: 1-line block ×5, first 2 shown]
	ds_load_b128 v[22:25], v1 offset:1440
	ds_load_b128 v[26:29], v1 offset:1456
	scratch_load_b128 v[30:33], off, off offset:432
	s_mov_b32 s2, exec_lo
	s_waitcnt vmcnt(5) lgkmcnt(1)
	v_mul_f64 v[34:35], v[24:25], v[4:5]
	v_mul_f64 v[4:5], v[22:23], v[4:5]
	s_waitcnt vmcnt(4) lgkmcnt(0)
	v_mul_f64 v[36:37], v[26:27], v[8:9]
	v_mul_f64 v[8:9], v[28:29], v[8:9]
	s_delay_alu instid0(VALU_DEP_4) | instskip(NEXT) | instid1(VALU_DEP_4)
	v_fma_f64 v[22:23], v[22:23], v[2:3], -v[34:35]
	v_fma_f64 v[24:25], v[24:25], v[2:3], v[4:5]
	ds_load_b128 v[2:5], v1 offset:1472
	v_fma_f64 v[28:29], v[28:29], v[6:7], v[36:37]
	v_fma_f64 v[26:27], v[26:27], v[6:7], -v[8:9]
	ds_load_b128 v[6:9], v1 offset:1488
	s_waitcnt vmcnt(3) lgkmcnt(1)
	v_mul_f64 v[34:35], v[2:3], v[12:13]
	v_mul_f64 v[12:13], v[4:5], v[12:13]
	s_waitcnt vmcnt(2) lgkmcnt(0)
	v_mul_f64 v[36:37], v[6:7], v[16:17]
	s_delay_alu instid0(VALU_DEP_3) | instskip(NEXT) | instid1(VALU_DEP_3)
	v_fma_f64 v[34:35], v[4:5], v[10:11], v[34:35]
	v_fma_f64 v[38:39], v[2:3], v[10:11], -v[12:13]
	v_mul_f64 v[10:11], v[8:9], v[16:17]
	ds_load_b128 v[2:5], v1 offset:1504
	v_fma_f64 v[16:17], v[8:9], v[14:15], v[36:37]
	v_fma_f64 v[14:15], v[6:7], v[14:15], -v[10:11]
	ds_load_b128 v[6:9], v1 offset:1520
	s_waitcnt vmcnt(1) lgkmcnt(1)
	v_mul_f64 v[10:11], v[2:3], v[20:21]
	v_mul_f64 v[12:13], v[4:5], v[20:21]
	s_delay_alu instid0(VALU_DEP_2) | instskip(NEXT) | instid1(VALU_DEP_2)
	v_fma_f64 v[20:21], v[4:5], v[18:19], v[10:11]
	v_fma_f64 v[18:19], v[2:3], v[18:19], -v[12:13]
	s_clause 0x1
	scratch_load_b128 v[2:5], off, off offset:528
	scratch_load_b128 v[10:13], off, off offset:544
	s_waitcnt vmcnt(1) lgkmcnt(0)
	v_mul_f64 v[36:37], v[6:7], v[4:5]
	v_mul_f64 v[4:5], v[8:9], v[4:5]
	s_delay_alu instid0(VALU_DEP_2) | instskip(NEXT) | instid1(VALU_DEP_2)
	v_fma_f64 v[36:37], v[8:9], v[2:3], v[36:37]
	v_fma_f64 v[40:41], v[6:7], v[2:3], -v[4:5]
	ds_load_b128 v[2:5], v1 offset:1536
	ds_load_b128 v[6:9], v1 offset:1552
	s_waitcnt vmcnt(0) lgkmcnt(1)
	v_mul_f64 v[42:43], v[2:3], v[12:13]
	s_delay_alu instid0(VALU_DEP_1) | instskip(SKIP_1) | instid1(VALU_DEP_1)
	v_fma_f64 v[42:43], v[4:5], v[10:11], v[42:43]
	v_mul_f64 v[4:5], v[4:5], v[12:13]
	v_fma_f64 v[44:45], v[2:3], v[10:11], -v[4:5]
	s_clause 0x1
	scratch_load_b128 v[2:5], off, off offset:560
	scratch_load_b128 v[10:13], off, off offset:576
	s_waitcnt vmcnt(1) lgkmcnt(0)
	v_mul_f64 v[46:47], v[6:7], v[4:5]
	v_mul_f64 v[4:5], v[8:9], v[4:5]
	s_delay_alu instid0(VALU_DEP_2) | instskip(NEXT) | instid1(VALU_DEP_2)
	v_fma_f64 v[46:47], v[8:9], v[2:3], v[46:47]
	v_fma_f64 v[48:49], v[6:7], v[2:3], -v[4:5]
	ds_load_b128 v[2:5], v1 offset:1568
	ds_load_b128 v[6:9], v1 offset:1584
	s_waitcnt vmcnt(0) lgkmcnt(1)
	v_mul_f64 v[52:53], v[2:3], v[12:13]
	s_delay_alu instid0(VALU_DEP_1) | instskip(SKIP_1) | instid1(VALU_DEP_1)
	v_fma_f64 v[52:53], v[4:5], v[10:11], v[52:53]
	v_mul_f64 v[4:5], v[4:5], v[12:13]
	v_fma_f64 v[54:55], v[2:3], v[10:11], -v[4:5]
	s_clause 0x1
	scratch_load_b128 v[2:5], off, off offset:592
	scratch_load_b128 v[10:13], off, off offset:608
	s_waitcnt vmcnt(1) lgkmcnt(0)
	v_mul_f64 v[56:57], v[6:7], v[4:5]
	v_mul_f64 v[4:5], v[8:9], v[4:5]
	s_delay_alu instid0(VALU_DEP_2) | instskip(NEXT) | instid1(VALU_DEP_2)
	v_fma_f64 v[56:57], v[8:9], v[2:3], v[56:57]
	v_fma_f64 v[58:59], v[6:7], v[2:3], -v[4:5]
	ds_load_b128 v[2:5], v1 offset:1600
	ds_load_b128 v[6:9], v1 offset:1616
	s_waitcnt vmcnt(0) lgkmcnt(1)
	v_mul_f64 v[60:61], v[2:3], v[12:13]
	s_delay_alu instid0(VALU_DEP_1) | instskip(SKIP_1) | instid1(VALU_DEP_1)
	v_fma_f64 v[60:61], v[4:5], v[10:11], v[60:61]
	v_mul_f64 v[4:5], v[4:5], v[12:13]
	v_fma_f64 v[90:91], v[2:3], v[10:11], -v[4:5]
	s_clause 0x1
	scratch_load_b128 v[2:5], off, off offset:624
	scratch_load_b128 v[10:13], off, off offset:640
	s_waitcnt vmcnt(1) lgkmcnt(0)
	v_mul_f64 v[175:176], v[6:7], v[4:5]
	v_mul_f64 v[4:5], v[8:9], v[4:5]
	s_delay_alu instid0(VALU_DEP_2) | instskip(NEXT) | instid1(VALU_DEP_2)
	v_fma_f64 v[175:176], v[8:9], v[2:3], v[175:176]
	v_fma_f64 v[177:178], v[6:7], v[2:3], -v[4:5]
	ds_load_b128 v[2:5], v1 offset:1632
	ds_load_b128 v[6:9], v1 offset:1648
	s_waitcnt vmcnt(0) lgkmcnt(1)
	v_mul_f64 v[179:180], v[2:3], v[12:13]
	s_delay_alu instid0(VALU_DEP_1) | instskip(SKIP_1) | instid1(VALU_DEP_1)
	v_fma_f64 v[179:180], v[4:5], v[10:11], v[179:180]
	v_mul_f64 v[4:5], v[4:5], v[12:13]
	v_fma_f64 v[181:182], v[2:3], v[10:11], -v[4:5]
	s_clause 0x1
	scratch_load_b128 v[2:5], off, off offset:656
	scratch_load_b128 v[10:13], off, off offset:672
	s_waitcnt vmcnt(1) lgkmcnt(0)
	v_mul_f64 v[183:184], v[6:7], v[4:5]
	v_mul_f64 v[4:5], v[8:9], v[4:5]
	s_delay_alu instid0(VALU_DEP_2) | instskip(NEXT) | instid1(VALU_DEP_2)
	v_fma_f64 v[183:184], v[8:9], v[2:3], v[183:184]
	v_fma_f64 v[185:186], v[6:7], v[2:3], -v[4:5]
	ds_load_b128 v[2:5], v1 offset:1664
	ds_load_b128 v[6:9], v1 offset:1680
	s_waitcnt vmcnt(0) lgkmcnt(1)
	v_mul_f64 v[187:188], v[2:3], v[12:13]
	s_delay_alu instid0(VALU_DEP_1) | instskip(SKIP_1) | instid1(VALU_DEP_1)
	v_fma_f64 v[187:188], v[4:5], v[10:11], v[187:188]
	v_mul_f64 v[4:5], v[4:5], v[12:13]
	v_fma_f64 v[189:190], v[2:3], v[10:11], -v[4:5]
	s_clause 0x1
	scratch_load_b128 v[2:5], off, off offset:688
	scratch_load_b128 v[10:13], off, off offset:704
	s_waitcnt vmcnt(1) lgkmcnt(0)
	v_mul_f64 v[191:192], v[6:7], v[4:5]
	v_mul_f64 v[4:5], v[8:9], v[4:5]
	s_delay_alu instid0(VALU_DEP_2) | instskip(NEXT) | instid1(VALU_DEP_2)
	v_fma_f64 v[191:192], v[8:9], v[2:3], v[191:192]
	v_fma_f64 v[193:194], v[6:7], v[2:3], -v[4:5]
	ds_load_b128 v[2:5], v1 offset:1696
	ds_load_b128 v[6:9], v1 offset:1712
	s_waitcnt vmcnt(0) lgkmcnt(1)
	v_mul_f64 v[195:196], v[2:3], v[12:13]
	s_delay_alu instid0(VALU_DEP_1) | instskip(SKIP_1) | instid1(VALU_DEP_1)
	v_fma_f64 v[195:196], v[4:5], v[10:11], v[195:196]
	v_mul_f64 v[4:5], v[4:5], v[12:13]
	v_fma_f64 v[197:198], v[2:3], v[10:11], -v[4:5]
	s_clause 0x1
	scratch_load_b128 v[2:5], off, off offset:720
	scratch_load_b128 v[10:13], off, off offset:736
	s_waitcnt vmcnt(1) lgkmcnt(0)
	v_mul_f64 v[199:200], v[6:7], v[4:5]
	v_mul_f64 v[4:5], v[8:9], v[4:5]
	s_delay_alu instid0(VALU_DEP_2) | instskip(NEXT) | instid1(VALU_DEP_2)
	v_fma_f64 v[199:200], v[8:9], v[2:3], v[199:200]
	v_fma_f64 v[201:202], v[6:7], v[2:3], -v[4:5]
	ds_load_b128 v[2:5], v1 offset:1728
	ds_load_b128 v[6:9], v1 offset:1744
	s_waitcnt vmcnt(0) lgkmcnt(1)
	v_mul_f64 v[206:207], v[2:3], v[12:13]
	s_delay_alu instid0(VALU_DEP_1) | instskip(SKIP_1) | instid1(VALU_DEP_1)
	v_fma_f64 v[206:207], v[4:5], v[10:11], v[206:207]
	v_mul_f64 v[4:5], v[4:5], v[12:13]
	v_fma_f64 v[208:209], v[2:3], v[10:11], -v[4:5]
	s_clause 0x1
	scratch_load_b128 v[2:5], off, off offset:752
	scratch_load_b128 v[10:13], off, off offset:768
	s_waitcnt vmcnt(1) lgkmcnt(0)
	v_mul_f64 v[211:212], v[6:7], v[4:5]
	v_mul_f64 v[4:5], v[8:9], v[4:5]
	s_delay_alu instid0(VALU_DEP_2) | instskip(NEXT) | instid1(VALU_DEP_2)
	v_fma_f64 v[211:212], v[8:9], v[2:3], v[211:212]
	v_fma_f64 v[213:214], v[6:7], v[2:3], -v[4:5]
	ds_load_b128 v[2:5], v1 offset:1760
	ds_load_b128 v[6:9], v1 offset:1776
	s_waitcnt vmcnt(0) lgkmcnt(1)
	v_mul_f64 v[215:216], v[2:3], v[12:13]
	s_delay_alu instid0(VALU_DEP_1) | instskip(SKIP_1) | instid1(VALU_DEP_1)
	v_fma_f64 v[215:216], v[4:5], v[10:11], v[215:216]
	v_mul_f64 v[4:5], v[4:5], v[12:13]
	v_fma_f64 v[217:218], v[2:3], v[10:11], -v[4:5]
	s_clause 0x1
	scratch_load_b128 v[2:5], off, off offset:784
	scratch_load_b128 v[10:13], off, off offset:800
	s_waitcnt vmcnt(1) lgkmcnt(0)
	v_mul_f64 v[219:220], v[6:7], v[4:5]
	v_mul_f64 v[4:5], v[8:9], v[4:5]
	s_delay_alu instid0(VALU_DEP_2) | instskip(NEXT) | instid1(VALU_DEP_2)
	v_fma_f64 v[219:220], v[8:9], v[2:3], v[219:220]
	v_fma_f64 v[221:222], v[6:7], v[2:3], -v[4:5]
	ds_load_b128 v[2:5], v1 offset:1792
	ds_load_b128 v[6:9], v1 offset:1808
	s_waitcnt vmcnt(0) lgkmcnt(1)
	v_mul_f64 v[223:224], v[2:3], v[12:13]
	s_delay_alu instid0(VALU_DEP_1) | instskip(SKIP_1) | instid1(VALU_DEP_1)
	v_fma_f64 v[223:224], v[4:5], v[10:11], v[223:224]
	v_mul_f64 v[4:5], v[4:5], v[12:13]
	v_fma_f64 v[227:228], v[2:3], v[10:11], -v[4:5]
	s_clause 0x1
	scratch_load_b128 v[2:5], off, off offset:816
	scratch_load_b128 v[10:13], off, off offset:832
	s_waitcnt vmcnt(1) lgkmcnt(0)
	v_mul_f64 v[229:230], v[6:7], v[4:5]
	v_mul_f64 v[4:5], v[8:9], v[4:5]
	s_delay_alu instid0(VALU_DEP_2) | instskip(NEXT) | instid1(VALU_DEP_2)
	v_fma_f64 v[229:230], v[8:9], v[2:3], v[229:230]
	v_fma_f64 v[231:232], v[6:7], v[2:3], -v[4:5]
	ds_load_b128 v[2:5], v1 offset:1824
	ds_load_b128 v[6:9], v1 offset:1840
	s_waitcnt vmcnt(0) lgkmcnt(1)
	v_mul_f64 v[233:234], v[2:3], v[12:13]
	s_delay_alu instid0(VALU_DEP_1) | instskip(SKIP_1) | instid1(VALU_DEP_1)
	v_fma_f64 v[233:234], v[4:5], v[10:11], v[233:234]
	v_mul_f64 v[4:5], v[4:5], v[12:13]
	v_fma_f64 v[237:238], v[2:3], v[10:11], -v[4:5]
	s_clause 0x1
	scratch_load_b128 v[2:5], off, off offset:848
	scratch_load_b128 v[10:13], off, off offset:864
	s_waitcnt vmcnt(1) lgkmcnt(0)
	v_mul_f64 v[239:240], v[6:7], v[4:5]
	v_mul_f64 v[4:5], v[8:9], v[4:5]
	s_delay_alu instid0(VALU_DEP_2) | instskip(NEXT) | instid1(VALU_DEP_2)
	v_fma_f64 v[239:240], v[8:9], v[2:3], v[239:240]
	v_fma_f64 v[241:242], v[6:7], v[2:3], -v[4:5]
	ds_load_b128 v[2:5], v1 offset:1856
	ds_load_b128 v[6:9], v1 offset:1872
	s_waitcnt vmcnt(0) lgkmcnt(1)
	v_mul_f64 v[243:244], v[2:3], v[12:13]
	s_delay_alu instid0(VALU_DEP_1) | instskip(SKIP_1) | instid1(VALU_DEP_1)
	v_fma_f64 v[243:244], v[4:5], v[10:11], v[243:244]
	v_mul_f64 v[4:5], v[4:5], v[12:13]
	v_fma_f64 v[245:246], v[2:3], v[10:11], -v[4:5]
	s_clause 0x1
	scratch_load_b128 v[2:5], off, off offset:880
	scratch_load_b128 v[10:13], off, off offset:896
	s_waitcnt vmcnt(1) lgkmcnt(0)
	v_mul_f64 v[247:248], v[6:7], v[4:5]
	v_mul_f64 v[4:5], v[8:9], v[4:5]
	s_delay_alu instid0(VALU_DEP_2) | instskip(NEXT) | instid1(VALU_DEP_2)
	v_fma_f64 v[247:248], v[8:9], v[2:3], v[247:248]
	v_fma_f64 v[249:250], v[6:7], v[2:3], -v[4:5]
	ds_load_b128 v[2:5], v1 offset:1888
	ds_load_b128 v[6:9], v1 offset:1904
	s_waitcnt vmcnt(0) lgkmcnt(1)
	v_mul_f64 v[251:252], v[2:3], v[12:13]
	s_delay_alu instid0(VALU_DEP_1) | instskip(SKIP_1) | instid1(VALU_DEP_1)
	v_fma_f64 v[251:252], v[4:5], v[10:11], v[251:252]
	v_mul_f64 v[4:5], v[4:5], v[12:13]
	v_fma_f64 v[253:254], v[2:3], v[10:11], -v[4:5]
	s_clause 0x1
	scratch_load_b128 v[2:5], off, off offset:912
	scratch_load_b128 v[10:13], off, off offset:928
	s_waitcnt vmcnt(1) lgkmcnt(0)
	v_mul_f64 v[225:226], v[6:7], v[4:5]
	v_mul_f64 v[4:5], v[8:9], v[4:5]
	s_delay_alu instid0(VALU_DEP_2) | instskip(NEXT) | instid1(VALU_DEP_2)
	v_fma_f64 v[225:226], v[8:9], v[2:3], v[225:226]
	v_fma_f64 v[203:204], v[6:7], v[2:3], -v[4:5]
	ds_load_b128 v[2:5], v1 offset:1920
	ds_load_b128 v[6:9], v1 offset:1936
	s_waitcnt vmcnt(0) lgkmcnt(1)
	v_mul_f64 v[235:236], v[2:3], v[12:13]
	s_delay_alu instid0(VALU_DEP_1) | instskip(SKIP_1) | instid1(VALU_DEP_1)
	v_fma_f64 v[235:236], v[4:5], v[10:11], v[235:236]
	v_mul_f64 v[4:5], v[4:5], v[12:13]
	v_fma_f64 v[62:63], v[2:3], v[10:11], -v[4:5]
	v_add_f64 v[2:3], v[22:23], 0
	v_add_f64 v[4:5], v[24:25], 0
	s_delay_alu instid0(VALU_DEP_2) | instskip(NEXT) | instid1(VALU_DEP_2)
	v_add_f64 v[2:3], v[2:3], v[26:27]
	v_add_f64 v[4:5], v[4:5], v[28:29]
	s_delay_alu instid0(VALU_DEP_2) | instskip(NEXT) | instid1(VALU_DEP_2)
	;; [unrolled: 3-line block ×24, first 2 shown]
	v_add_f64 v[2:3], v[2:3], v[237:238]
	v_add_f64 v[10:11], v[4:5], v[233:234]
	s_delay_alu instid0(VALU_DEP_2)
	v_add_f64 v[12:13], v[2:3], v[241:242]
	scratch_load_b128 v[2:5], off, off offset:944
	v_add_f64 v[14:15], v[10:11], v[239:240]
	v_add_f64 v[16:17], v[12:13], v[245:246]
	scratch_load_b128 v[10:13], off, off offset:960
	v_add_f64 v[18:19], v[14:15], v[243:244]
	;; [unrolled: 3-line block ×3, first 2 shown]
	v_add_f64 v[20:21], v[20:21], v[253:254]
	s_delay_alu instid0(VALU_DEP_2) | instskip(NEXT) | instid1(VALU_DEP_2)
	v_add_f64 v[18:19], v[18:19], v[251:252]
	v_add_f64 v[28:29], v[20:21], v[203:204]
	s_delay_alu instid0(VALU_DEP_2)
	v_add_f64 v[34:35], v[18:19], v[225:226]
	ds_load_b128 v[18:21], v1 offset:1952
	ds_load_b128 v[22:25], v1 offset:1968
	s_waitcnt vmcnt(2) lgkmcnt(2)
	v_mul_f64 v[26:27], v[6:7], v[4:5]
	v_mul_f64 v[4:5], v[8:9], v[4:5]
	s_waitcnt vmcnt(1) lgkmcnt(1)
	v_mul_f64 v[36:37], v[18:19], v[12:13]
	s_delay_alu instid0(VALU_DEP_3) | instskip(NEXT) | instid1(VALU_DEP_3)
	v_fma_f64 v[8:9], v[8:9], v[2:3], v[26:27]
	v_fma_f64 v[1:2], v[6:7], v[2:3], -v[4:5]
	v_mul_f64 v[3:4], v[20:21], v[12:13]
	v_add_f64 v[5:6], v[28:29], v[62:63]
	v_add_f64 v[12:13], v[34:35], v[235:236]
	s_waitcnt vmcnt(0) lgkmcnt(0)
	v_mul_f64 v[26:27], v[22:23], v[16:17]
	v_mul_f64 v[16:17], v[24:25], v[16:17]
	v_fma_f64 v[20:21], v[20:21], v[10:11], v[36:37]
	v_fma_f64 v[3:4], v[18:19], v[10:11], -v[3:4]
	v_add_f64 v[1:2], v[5:6], v[1:2]
	v_add_f64 v[5:6], v[12:13], v[8:9]
	v_fma_f64 v[7:8], v[24:25], v[14:15], v[26:27]
	v_fma_f64 v[9:10], v[22:23], v[14:15], -v[16:17]
	s_delay_alu instid0(VALU_DEP_4) | instskip(NEXT) | instid1(VALU_DEP_4)
	v_add_f64 v[1:2], v[1:2], v[3:4]
	v_add_f64 v[3:4], v[5:6], v[20:21]
	s_delay_alu instid0(VALU_DEP_2) | instskip(NEXT) | instid1(VALU_DEP_2)
	v_add_f64 v[1:2], v[1:2], v[9:10]
	v_add_f64 v[3:4], v[3:4], v[7:8]
	s_delay_alu instid0(VALU_DEP_2) | instskip(NEXT) | instid1(VALU_DEP_2)
	v_add_f64 v[1:2], v[30:31], -v[1:2]
	v_add_f64 v[3:4], v[32:33], -v[3:4]
	scratch_store_b128 off, v[1:4], off offset:432
	v_cmpx_lt_u32_e32 26, v174
	s_cbranch_execz .LBB125_345
; %bb.344:
	scratch_load_b32 v1, off, off offset:1084 ; 4-byte Folded Reload
	v_mov_b32_e32 v5, 0
	s_delay_alu instid0(VALU_DEP_1)
	v_mov_b32_e32 v6, v5
	v_mov_b32_e32 v7, v5
	;; [unrolled: 1-line block ×3, first 2 shown]
	s_waitcnt vmcnt(0)
	scratch_load_b128 v[1:4], v1, off
	scratch_store_b128 off, v[5:8], off offset:416
	s_waitcnt vmcnt(0)
	ds_store_b128 v255, v[1:4]
.LBB125_345:
	s_or_b32 exec_lo, exec_lo, s2
	s_waitcnt lgkmcnt(0)
	s_waitcnt_vscnt null, 0x0
	s_barrier
	buffer_gl0_inv
	s_clause 0x4
	scratch_load_b128 v[2:5], off, off offset:432
	scratch_load_b128 v[6:9], off, off offset:448
	;; [unrolled: 1-line block ×5, first 2 shown]
	v_mov_b32_e32 v1, 0
	scratch_load_b128 v[26:29], off, off offset:416
	s_mov_b32 s2, exec_lo
	ds_load_b128 v[22:25], v1 offset:1424
	ds_load_b128 v[30:33], v1 offset:1440
	s_waitcnt vmcnt(5) lgkmcnt(1)
	v_mul_f64 v[34:35], v[24:25], v[4:5]
	v_mul_f64 v[4:5], v[22:23], v[4:5]
	s_waitcnt vmcnt(4) lgkmcnt(0)
	v_mul_f64 v[36:37], v[30:31], v[8:9]
	v_mul_f64 v[8:9], v[32:33], v[8:9]
	s_delay_alu instid0(VALU_DEP_4) | instskip(NEXT) | instid1(VALU_DEP_4)
	v_fma_f64 v[22:23], v[22:23], v[2:3], -v[34:35]
	v_fma_f64 v[24:25], v[24:25], v[2:3], v[4:5]
	ds_load_b128 v[2:5], v1 offset:1456
	v_fma_f64 v[32:33], v[32:33], v[6:7], v[36:37]
	v_fma_f64 v[30:31], v[30:31], v[6:7], -v[8:9]
	ds_load_b128 v[6:9], v1 offset:1472
	s_waitcnt vmcnt(3) lgkmcnt(1)
	v_mul_f64 v[34:35], v[2:3], v[12:13]
	v_mul_f64 v[12:13], v[4:5], v[12:13]
	s_waitcnt vmcnt(2) lgkmcnt(0)
	v_mul_f64 v[36:37], v[6:7], v[16:17]
	s_delay_alu instid0(VALU_DEP_3) | instskip(NEXT) | instid1(VALU_DEP_3)
	v_fma_f64 v[34:35], v[4:5], v[10:11], v[34:35]
	v_fma_f64 v[38:39], v[2:3], v[10:11], -v[12:13]
	v_mul_f64 v[10:11], v[8:9], v[16:17]
	ds_load_b128 v[2:5], v1 offset:1488
	v_fma_f64 v[16:17], v[8:9], v[14:15], v[36:37]
	v_fma_f64 v[14:15], v[6:7], v[14:15], -v[10:11]
	ds_load_b128 v[6:9], v1 offset:1504
	s_waitcnt vmcnt(1) lgkmcnt(1)
	v_mul_f64 v[10:11], v[2:3], v[20:21]
	v_mul_f64 v[12:13], v[4:5], v[20:21]
	s_delay_alu instid0(VALU_DEP_2) | instskip(NEXT) | instid1(VALU_DEP_2)
	v_fma_f64 v[20:21], v[4:5], v[18:19], v[10:11]
	v_fma_f64 v[18:19], v[2:3], v[18:19], -v[12:13]
	s_clause 0x1
	scratch_load_b128 v[2:5], off, off offset:512
	scratch_load_b128 v[10:13], off, off offset:528
	s_waitcnt vmcnt(1) lgkmcnt(0)
	v_mul_f64 v[36:37], v[6:7], v[4:5]
	v_mul_f64 v[4:5], v[8:9], v[4:5]
	s_delay_alu instid0(VALU_DEP_2) | instskip(NEXT) | instid1(VALU_DEP_2)
	v_fma_f64 v[36:37], v[8:9], v[2:3], v[36:37]
	v_fma_f64 v[40:41], v[6:7], v[2:3], -v[4:5]
	ds_load_b128 v[2:5], v1 offset:1520
	ds_load_b128 v[6:9], v1 offset:1536
	s_waitcnt vmcnt(0) lgkmcnt(1)
	v_mul_f64 v[42:43], v[2:3], v[12:13]
	s_delay_alu instid0(VALU_DEP_1) | instskip(SKIP_1) | instid1(VALU_DEP_1)
	v_fma_f64 v[42:43], v[4:5], v[10:11], v[42:43]
	v_mul_f64 v[4:5], v[4:5], v[12:13]
	v_fma_f64 v[44:45], v[2:3], v[10:11], -v[4:5]
	s_clause 0x1
	scratch_load_b128 v[2:5], off, off offset:544
	scratch_load_b128 v[10:13], off, off offset:560
	s_waitcnt vmcnt(1) lgkmcnt(0)
	v_mul_f64 v[46:47], v[6:7], v[4:5]
	v_mul_f64 v[4:5], v[8:9], v[4:5]
	s_delay_alu instid0(VALU_DEP_2) | instskip(NEXT) | instid1(VALU_DEP_2)
	v_fma_f64 v[46:47], v[8:9], v[2:3], v[46:47]
	v_fma_f64 v[48:49], v[6:7], v[2:3], -v[4:5]
	ds_load_b128 v[2:5], v1 offset:1552
	ds_load_b128 v[6:9], v1 offset:1568
	s_waitcnt vmcnt(0) lgkmcnt(1)
	v_mul_f64 v[52:53], v[2:3], v[12:13]
	s_delay_alu instid0(VALU_DEP_1) | instskip(SKIP_1) | instid1(VALU_DEP_1)
	v_fma_f64 v[52:53], v[4:5], v[10:11], v[52:53]
	v_mul_f64 v[4:5], v[4:5], v[12:13]
	;; [unrolled: 17-line block ×13, first 2 shown]
	v_fma_f64 v[253:254], v[2:3], v[10:11], -v[4:5]
	v_add_f64 v[2:3], v[22:23], 0
	v_add_f64 v[4:5], v[24:25], 0
	s_delay_alu instid0(VALU_DEP_2) | instskip(NEXT) | instid1(VALU_DEP_2)
	v_add_f64 v[2:3], v[2:3], v[30:31]
	v_add_f64 v[4:5], v[4:5], v[32:33]
	s_delay_alu instid0(VALU_DEP_2) | instskip(NEXT) | instid1(VALU_DEP_2)
	;; [unrolled: 3-line block ×24, first 2 shown]
	v_add_f64 v[2:3], v[2:3], v[229:230]
	v_add_f64 v[10:11], v[4:5], v[227:228]
	s_delay_alu instid0(VALU_DEP_2)
	v_add_f64 v[12:13], v[2:3], v[233:234]
	scratch_load_b128 v[2:5], off, off offset:928
	v_add_f64 v[14:15], v[10:11], v[231:232]
	v_add_f64 v[16:17], v[12:13], v[237:238]
	scratch_load_b128 v[10:13], off, off offset:944
	v_add_f64 v[18:19], v[14:15], v[235:236]
	;; [unrolled: 3-line block ×4, first 2 shown]
	v_add_f64 v[24:25], v[24:25], v[249:250]
	s_delay_alu instid0(VALU_DEP_2) | instskip(NEXT) | instid1(VALU_DEP_2)
	v_add_f64 v[22:23], v[22:23], v[247:248]
	v_add_f64 v[24:25], v[24:25], v[253:254]
	s_delay_alu instid0(VALU_DEP_2) | instskip(SKIP_3) | instid1(VALU_DEP_2)
	v_add_f64 v[22:23], v[22:23], v[251:252]
	s_waitcnt vmcnt(3) lgkmcnt(0)
	v_mul_f64 v[30:31], v[6:7], v[4:5]
	v_mul_f64 v[4:5], v[8:9], v[4:5]
	v_fma_f64 v[30:31], v[8:9], v[2:3], v[30:31]
	s_delay_alu instid0(VALU_DEP_2)
	v_fma_f64 v[32:33], v[6:7], v[2:3], -v[4:5]
	ds_load_b128 v[2:5], v1 offset:1936
	ds_load_b128 v[6:9], v1 offset:1952
	s_waitcnt vmcnt(2) lgkmcnt(1)
	v_mul_f64 v[34:35], v[2:3], v[12:13]
	v_mul_f64 v[12:13], v[4:5], v[12:13]
	s_waitcnt vmcnt(1) lgkmcnt(0)
	v_mul_f64 v[36:37], v[6:7], v[16:17]
	v_add_f64 v[22:23], v[22:23], v[30:31]
	s_delay_alu instid0(VALU_DEP_4) | instskip(NEXT) | instid1(VALU_DEP_4)
	v_fma_f64 v[34:35], v[4:5], v[10:11], v[34:35]
	v_fma_f64 v[10:11], v[2:3], v[10:11], -v[12:13]
	v_mul_f64 v[12:13], v[8:9], v[16:17]
	v_add_f64 v[16:17], v[24:25], v[32:33]
	ds_load_b128 v[2:5], v1 offset:1968
	v_fma_f64 v[8:9], v[8:9], v[14:15], v[36:37]
	s_waitcnt vmcnt(0) lgkmcnt(0)
	v_mul_f64 v[24:25], v[2:3], v[20:21]
	v_mul_f64 v[20:21], v[4:5], v[20:21]
	v_fma_f64 v[6:7], v[6:7], v[14:15], -v[12:13]
	v_add_f64 v[10:11], v[16:17], v[10:11]
	v_add_f64 v[12:13], v[22:23], v[34:35]
	v_fma_f64 v[4:5], v[4:5], v[18:19], v[24:25]
	v_fma_f64 v[2:3], v[2:3], v[18:19], -v[20:21]
	s_delay_alu instid0(VALU_DEP_4) | instskip(NEXT) | instid1(VALU_DEP_4)
	v_add_f64 v[6:7], v[10:11], v[6:7]
	v_add_f64 v[8:9], v[12:13], v[8:9]
	s_delay_alu instid0(VALU_DEP_2) | instskip(NEXT) | instid1(VALU_DEP_2)
	v_add_f64 v[2:3], v[6:7], v[2:3]
	v_add_f64 v[4:5], v[8:9], v[4:5]
	s_delay_alu instid0(VALU_DEP_2) | instskip(NEXT) | instid1(VALU_DEP_2)
	v_add_f64 v[2:3], v[26:27], -v[2:3]
	v_add_f64 v[4:5], v[28:29], -v[4:5]
	scratch_store_b128 off, v[2:5], off offset:416
	v_cmpx_lt_u32_e32 25, v174
	s_cbranch_execz .LBB125_347
; %bb.346:
	scratch_load_b32 v2, off, off offset:1096 ; 4-byte Folded Reload
	v_mov_b32_e32 v3, v1
	v_mov_b32_e32 v4, v1
	s_waitcnt vmcnt(0)
	scratch_load_b128 v[5:8], v2, off
	v_mov_b32_e32 v2, v1
	scratch_store_b128 off, v[1:4], off offset:400
	s_waitcnt vmcnt(0)
	ds_store_b128 v255, v[5:8]
.LBB125_347:
	s_or_b32 exec_lo, exec_lo, s2
	s_waitcnt lgkmcnt(0)
	s_waitcnt_vscnt null, 0x0
	s_barrier
	buffer_gl0_inv
	s_clause 0x4
	scratch_load_b128 v[2:5], off, off offset:416
	scratch_load_b128 v[6:9], off, off offset:432
	;; [unrolled: 1-line block ×5, first 2 shown]
	ds_load_b128 v[22:25], v1 offset:1408
	ds_load_b128 v[26:29], v1 offset:1424
	scratch_load_b128 v[30:33], off, off offset:400
	s_mov_b32 s2, exec_lo
	s_waitcnt vmcnt(5) lgkmcnt(1)
	v_mul_f64 v[34:35], v[24:25], v[4:5]
	v_mul_f64 v[4:5], v[22:23], v[4:5]
	s_waitcnt vmcnt(4) lgkmcnt(0)
	v_mul_f64 v[36:37], v[26:27], v[8:9]
	v_mul_f64 v[8:9], v[28:29], v[8:9]
	s_delay_alu instid0(VALU_DEP_4) | instskip(NEXT) | instid1(VALU_DEP_4)
	v_fma_f64 v[22:23], v[22:23], v[2:3], -v[34:35]
	v_fma_f64 v[24:25], v[24:25], v[2:3], v[4:5]
	ds_load_b128 v[2:5], v1 offset:1440
	v_fma_f64 v[28:29], v[28:29], v[6:7], v[36:37]
	v_fma_f64 v[26:27], v[26:27], v[6:7], -v[8:9]
	ds_load_b128 v[6:9], v1 offset:1456
	s_waitcnt vmcnt(3) lgkmcnt(1)
	v_mul_f64 v[34:35], v[2:3], v[12:13]
	v_mul_f64 v[12:13], v[4:5], v[12:13]
	s_waitcnt vmcnt(2) lgkmcnt(0)
	v_mul_f64 v[36:37], v[6:7], v[16:17]
	s_delay_alu instid0(VALU_DEP_3) | instskip(NEXT) | instid1(VALU_DEP_3)
	v_fma_f64 v[34:35], v[4:5], v[10:11], v[34:35]
	v_fma_f64 v[38:39], v[2:3], v[10:11], -v[12:13]
	v_mul_f64 v[10:11], v[8:9], v[16:17]
	ds_load_b128 v[2:5], v1 offset:1472
	v_fma_f64 v[16:17], v[8:9], v[14:15], v[36:37]
	v_fma_f64 v[14:15], v[6:7], v[14:15], -v[10:11]
	ds_load_b128 v[6:9], v1 offset:1488
	s_waitcnt vmcnt(1) lgkmcnt(1)
	v_mul_f64 v[10:11], v[2:3], v[20:21]
	v_mul_f64 v[12:13], v[4:5], v[20:21]
	s_delay_alu instid0(VALU_DEP_2) | instskip(NEXT) | instid1(VALU_DEP_2)
	v_fma_f64 v[20:21], v[4:5], v[18:19], v[10:11]
	v_fma_f64 v[18:19], v[2:3], v[18:19], -v[12:13]
	s_clause 0x1
	scratch_load_b128 v[2:5], off, off offset:496
	scratch_load_b128 v[10:13], off, off offset:512
	s_waitcnt vmcnt(1) lgkmcnt(0)
	v_mul_f64 v[36:37], v[6:7], v[4:5]
	v_mul_f64 v[4:5], v[8:9], v[4:5]
	s_delay_alu instid0(VALU_DEP_2) | instskip(NEXT) | instid1(VALU_DEP_2)
	v_fma_f64 v[36:37], v[8:9], v[2:3], v[36:37]
	v_fma_f64 v[40:41], v[6:7], v[2:3], -v[4:5]
	ds_load_b128 v[2:5], v1 offset:1504
	ds_load_b128 v[6:9], v1 offset:1520
	s_waitcnt vmcnt(0) lgkmcnt(1)
	v_mul_f64 v[42:43], v[2:3], v[12:13]
	s_delay_alu instid0(VALU_DEP_1) | instskip(SKIP_1) | instid1(VALU_DEP_1)
	v_fma_f64 v[42:43], v[4:5], v[10:11], v[42:43]
	v_mul_f64 v[4:5], v[4:5], v[12:13]
	v_fma_f64 v[44:45], v[2:3], v[10:11], -v[4:5]
	s_clause 0x1
	scratch_load_b128 v[2:5], off, off offset:528
	scratch_load_b128 v[10:13], off, off offset:544
	s_waitcnt vmcnt(1) lgkmcnt(0)
	v_mul_f64 v[46:47], v[6:7], v[4:5]
	v_mul_f64 v[4:5], v[8:9], v[4:5]
	s_delay_alu instid0(VALU_DEP_2) | instskip(NEXT) | instid1(VALU_DEP_2)
	v_fma_f64 v[46:47], v[8:9], v[2:3], v[46:47]
	v_fma_f64 v[48:49], v[6:7], v[2:3], -v[4:5]
	ds_load_b128 v[2:5], v1 offset:1536
	ds_load_b128 v[6:9], v1 offset:1552
	s_waitcnt vmcnt(0) lgkmcnt(1)
	v_mul_f64 v[52:53], v[2:3], v[12:13]
	s_delay_alu instid0(VALU_DEP_1) | instskip(SKIP_1) | instid1(VALU_DEP_1)
	v_fma_f64 v[52:53], v[4:5], v[10:11], v[52:53]
	v_mul_f64 v[4:5], v[4:5], v[12:13]
	;; [unrolled: 17-line block ×14, first 2 shown]
	v_fma_f64 v[70:71], v[2:3], v[10:11], -v[4:5]
	v_add_f64 v[2:3], v[22:23], 0
	v_add_f64 v[4:5], v[24:25], 0
	s_delay_alu instid0(VALU_DEP_2) | instskip(NEXT) | instid1(VALU_DEP_2)
	v_add_f64 v[2:3], v[2:3], v[26:27]
	v_add_f64 v[4:5], v[4:5], v[28:29]
	s_delay_alu instid0(VALU_DEP_2) | instskip(NEXT) | instid1(VALU_DEP_2)
	;; [unrolled: 3-line block ×26, first 2 shown]
	v_add_f64 v[2:3], v[2:3], v[237:238]
	v_add_f64 v[10:11], v[4:5], v[235:236]
	s_delay_alu instid0(VALU_DEP_2)
	v_add_f64 v[12:13], v[2:3], v[241:242]
	scratch_load_b128 v[2:5], off, off offset:944
	v_add_f64 v[14:15], v[10:11], v[239:240]
	v_add_f64 v[16:17], v[12:13], v[245:246]
	scratch_load_b128 v[10:13], off, off offset:960
	v_add_f64 v[18:19], v[14:15], v[243:244]
	;; [unrolled: 3-line block ×3, first 2 shown]
	v_add_f64 v[20:21], v[20:21], v[253:254]
	s_delay_alu instid0(VALU_DEP_2) | instskip(NEXT) | instid1(VALU_DEP_2)
	v_add_f64 v[18:19], v[18:19], v[251:252]
	v_add_f64 v[28:29], v[20:21], v[66:67]
	s_delay_alu instid0(VALU_DEP_2)
	v_add_f64 v[34:35], v[18:19], v[64:65]
	ds_load_b128 v[18:21], v1 offset:1952
	ds_load_b128 v[22:25], v1 offset:1968
	s_waitcnt vmcnt(2) lgkmcnt(2)
	v_mul_f64 v[26:27], v[6:7], v[4:5]
	v_mul_f64 v[4:5], v[8:9], v[4:5]
	s_waitcnt vmcnt(1) lgkmcnt(1)
	v_mul_f64 v[36:37], v[18:19], v[12:13]
	s_delay_alu instid0(VALU_DEP_3) | instskip(NEXT) | instid1(VALU_DEP_3)
	v_fma_f64 v[8:9], v[8:9], v[2:3], v[26:27]
	v_fma_f64 v[1:2], v[6:7], v[2:3], -v[4:5]
	v_mul_f64 v[3:4], v[20:21], v[12:13]
	v_add_f64 v[5:6], v[28:29], v[70:71]
	v_add_f64 v[12:13], v[34:35], v[68:69]
	s_waitcnt vmcnt(0) lgkmcnt(0)
	v_mul_f64 v[26:27], v[22:23], v[16:17]
	v_mul_f64 v[16:17], v[24:25], v[16:17]
	v_fma_f64 v[20:21], v[20:21], v[10:11], v[36:37]
	v_fma_f64 v[3:4], v[18:19], v[10:11], -v[3:4]
	v_add_f64 v[1:2], v[5:6], v[1:2]
	v_add_f64 v[5:6], v[12:13], v[8:9]
	v_fma_f64 v[7:8], v[24:25], v[14:15], v[26:27]
	v_fma_f64 v[9:10], v[22:23], v[14:15], -v[16:17]
	s_delay_alu instid0(VALU_DEP_4) | instskip(NEXT) | instid1(VALU_DEP_4)
	v_add_f64 v[1:2], v[1:2], v[3:4]
	v_add_f64 v[3:4], v[5:6], v[20:21]
	s_delay_alu instid0(VALU_DEP_2) | instskip(NEXT) | instid1(VALU_DEP_2)
	v_add_f64 v[1:2], v[1:2], v[9:10]
	v_add_f64 v[3:4], v[3:4], v[7:8]
	s_delay_alu instid0(VALU_DEP_2) | instskip(NEXT) | instid1(VALU_DEP_2)
	v_add_f64 v[1:2], v[30:31], -v[1:2]
	v_add_f64 v[3:4], v[32:33], -v[3:4]
	scratch_store_b128 off, v[1:4], off offset:400
	v_cmpx_lt_u32_e32 24, v174
	s_cbranch_execz .LBB125_349
; %bb.348:
	scratch_load_b32 v1, off, off offset:1100 ; 4-byte Folded Reload
	v_mov_b32_e32 v5, 0
	s_delay_alu instid0(VALU_DEP_1)
	v_mov_b32_e32 v6, v5
	v_mov_b32_e32 v7, v5
	;; [unrolled: 1-line block ×3, first 2 shown]
	s_waitcnt vmcnt(0)
	scratch_load_b128 v[1:4], v1, off
	scratch_store_b128 off, v[5:8], off offset:384
	s_waitcnt vmcnt(0)
	ds_store_b128 v255, v[1:4]
.LBB125_349:
	s_or_b32 exec_lo, exec_lo, s2
	s_waitcnt lgkmcnt(0)
	s_waitcnt_vscnt null, 0x0
	s_barrier
	buffer_gl0_inv
	s_clause 0x4
	scratch_load_b128 v[2:5], off, off offset:400
	scratch_load_b128 v[6:9], off, off offset:416
	;; [unrolled: 1-line block ×5, first 2 shown]
	v_mov_b32_e32 v1, 0
	scratch_load_b128 v[26:29], off, off offset:384
	s_mov_b32 s2, exec_lo
	ds_load_b128 v[22:25], v1 offset:1392
	ds_load_b128 v[30:33], v1 offset:1408
	s_waitcnt vmcnt(5) lgkmcnt(1)
	v_mul_f64 v[34:35], v[24:25], v[4:5]
	v_mul_f64 v[4:5], v[22:23], v[4:5]
	s_waitcnt vmcnt(4) lgkmcnt(0)
	v_mul_f64 v[36:37], v[30:31], v[8:9]
	v_mul_f64 v[8:9], v[32:33], v[8:9]
	s_delay_alu instid0(VALU_DEP_4) | instskip(NEXT) | instid1(VALU_DEP_4)
	v_fma_f64 v[22:23], v[22:23], v[2:3], -v[34:35]
	v_fma_f64 v[24:25], v[24:25], v[2:3], v[4:5]
	ds_load_b128 v[2:5], v1 offset:1424
	v_fma_f64 v[32:33], v[32:33], v[6:7], v[36:37]
	v_fma_f64 v[30:31], v[30:31], v[6:7], -v[8:9]
	ds_load_b128 v[6:9], v1 offset:1440
	s_waitcnt vmcnt(3) lgkmcnt(1)
	v_mul_f64 v[34:35], v[2:3], v[12:13]
	v_mul_f64 v[12:13], v[4:5], v[12:13]
	s_waitcnt vmcnt(2) lgkmcnt(0)
	v_mul_f64 v[36:37], v[6:7], v[16:17]
	s_delay_alu instid0(VALU_DEP_3) | instskip(NEXT) | instid1(VALU_DEP_3)
	v_fma_f64 v[34:35], v[4:5], v[10:11], v[34:35]
	v_fma_f64 v[38:39], v[2:3], v[10:11], -v[12:13]
	v_mul_f64 v[10:11], v[8:9], v[16:17]
	ds_load_b128 v[2:5], v1 offset:1456
	v_fma_f64 v[16:17], v[8:9], v[14:15], v[36:37]
	v_fma_f64 v[14:15], v[6:7], v[14:15], -v[10:11]
	ds_load_b128 v[6:9], v1 offset:1472
	s_waitcnt vmcnt(1) lgkmcnt(1)
	v_mul_f64 v[10:11], v[2:3], v[20:21]
	v_mul_f64 v[12:13], v[4:5], v[20:21]
	s_delay_alu instid0(VALU_DEP_2) | instskip(NEXT) | instid1(VALU_DEP_2)
	v_fma_f64 v[20:21], v[4:5], v[18:19], v[10:11]
	v_fma_f64 v[18:19], v[2:3], v[18:19], -v[12:13]
	s_clause 0x1
	scratch_load_b128 v[2:5], off, off offset:480
	scratch_load_b128 v[10:13], off, off offset:496
	s_waitcnt vmcnt(1) lgkmcnt(0)
	v_mul_f64 v[36:37], v[6:7], v[4:5]
	v_mul_f64 v[4:5], v[8:9], v[4:5]
	s_delay_alu instid0(VALU_DEP_2) | instskip(NEXT) | instid1(VALU_DEP_2)
	v_fma_f64 v[36:37], v[8:9], v[2:3], v[36:37]
	v_fma_f64 v[40:41], v[6:7], v[2:3], -v[4:5]
	ds_load_b128 v[2:5], v1 offset:1488
	ds_load_b128 v[6:9], v1 offset:1504
	s_waitcnt vmcnt(0) lgkmcnt(1)
	v_mul_f64 v[42:43], v[2:3], v[12:13]
	s_delay_alu instid0(VALU_DEP_1) | instskip(SKIP_1) | instid1(VALU_DEP_1)
	v_fma_f64 v[42:43], v[4:5], v[10:11], v[42:43]
	v_mul_f64 v[4:5], v[4:5], v[12:13]
	v_fma_f64 v[44:45], v[2:3], v[10:11], -v[4:5]
	s_clause 0x1
	scratch_load_b128 v[2:5], off, off offset:512
	scratch_load_b128 v[10:13], off, off offset:528
	s_waitcnt vmcnt(1) lgkmcnt(0)
	v_mul_f64 v[46:47], v[6:7], v[4:5]
	v_mul_f64 v[4:5], v[8:9], v[4:5]
	s_delay_alu instid0(VALU_DEP_2) | instskip(NEXT) | instid1(VALU_DEP_2)
	v_fma_f64 v[46:47], v[8:9], v[2:3], v[46:47]
	v_fma_f64 v[48:49], v[6:7], v[2:3], -v[4:5]
	ds_load_b128 v[2:5], v1 offset:1520
	ds_load_b128 v[6:9], v1 offset:1536
	s_waitcnt vmcnt(0) lgkmcnt(1)
	v_mul_f64 v[52:53], v[2:3], v[12:13]
	s_delay_alu instid0(VALU_DEP_1) | instskip(SKIP_1) | instid1(VALU_DEP_1)
	v_fma_f64 v[52:53], v[4:5], v[10:11], v[52:53]
	v_mul_f64 v[4:5], v[4:5], v[12:13]
	;; [unrolled: 17-line block ×14, first 2 shown]
	v_fma_f64 v[253:254], v[2:3], v[10:11], -v[4:5]
	v_add_f64 v[2:3], v[22:23], 0
	v_add_f64 v[4:5], v[24:25], 0
	s_delay_alu instid0(VALU_DEP_2) | instskip(NEXT) | instid1(VALU_DEP_2)
	v_add_f64 v[2:3], v[2:3], v[30:31]
	v_add_f64 v[4:5], v[4:5], v[32:33]
	s_delay_alu instid0(VALU_DEP_2) | instskip(NEXT) | instid1(VALU_DEP_2)
	;; [unrolled: 3-line block ×26, first 2 shown]
	v_add_f64 v[2:3], v[2:3], v[229:230]
	v_add_f64 v[10:11], v[4:5], v[227:228]
	s_delay_alu instid0(VALU_DEP_2)
	v_add_f64 v[12:13], v[2:3], v[233:234]
	scratch_load_b128 v[2:5], off, off offset:928
	v_add_f64 v[14:15], v[10:11], v[231:232]
	v_add_f64 v[16:17], v[12:13], v[237:238]
	scratch_load_b128 v[10:13], off, off offset:944
	v_add_f64 v[18:19], v[14:15], v[235:236]
	v_add_f64 v[20:21], v[16:17], v[241:242]
	scratch_load_b128 v[14:17], off, off offset:960
	v_add_f64 v[22:23], v[18:19], v[239:240]
	v_add_f64 v[24:25], v[20:21], v[245:246]
	scratch_load_b128 v[18:21], off, off offset:976
	v_add_f64 v[22:23], v[22:23], v[243:244]
	v_add_f64 v[24:25], v[24:25], v[249:250]
	s_delay_alu instid0(VALU_DEP_2) | instskip(NEXT) | instid1(VALU_DEP_2)
	v_add_f64 v[22:23], v[22:23], v[247:248]
	v_add_f64 v[24:25], v[24:25], v[253:254]
	s_delay_alu instid0(VALU_DEP_2) | instskip(SKIP_3) | instid1(VALU_DEP_2)
	v_add_f64 v[22:23], v[22:23], v[251:252]
	s_waitcnt vmcnt(3) lgkmcnt(0)
	v_mul_f64 v[30:31], v[6:7], v[4:5]
	v_mul_f64 v[4:5], v[8:9], v[4:5]
	v_fma_f64 v[30:31], v[8:9], v[2:3], v[30:31]
	s_delay_alu instid0(VALU_DEP_2)
	v_fma_f64 v[32:33], v[6:7], v[2:3], -v[4:5]
	ds_load_b128 v[2:5], v1 offset:1936
	ds_load_b128 v[6:9], v1 offset:1952
	s_waitcnt vmcnt(2) lgkmcnt(1)
	v_mul_f64 v[34:35], v[2:3], v[12:13]
	v_mul_f64 v[12:13], v[4:5], v[12:13]
	s_waitcnt vmcnt(1) lgkmcnt(0)
	v_mul_f64 v[36:37], v[6:7], v[16:17]
	v_add_f64 v[22:23], v[22:23], v[30:31]
	s_delay_alu instid0(VALU_DEP_4) | instskip(NEXT) | instid1(VALU_DEP_4)
	v_fma_f64 v[34:35], v[4:5], v[10:11], v[34:35]
	v_fma_f64 v[10:11], v[2:3], v[10:11], -v[12:13]
	v_mul_f64 v[12:13], v[8:9], v[16:17]
	v_add_f64 v[16:17], v[24:25], v[32:33]
	ds_load_b128 v[2:5], v1 offset:1968
	v_fma_f64 v[8:9], v[8:9], v[14:15], v[36:37]
	s_waitcnt vmcnt(0) lgkmcnt(0)
	v_mul_f64 v[24:25], v[2:3], v[20:21]
	v_mul_f64 v[20:21], v[4:5], v[20:21]
	v_fma_f64 v[6:7], v[6:7], v[14:15], -v[12:13]
	v_add_f64 v[10:11], v[16:17], v[10:11]
	v_add_f64 v[12:13], v[22:23], v[34:35]
	v_fma_f64 v[4:5], v[4:5], v[18:19], v[24:25]
	v_fma_f64 v[2:3], v[2:3], v[18:19], -v[20:21]
	s_delay_alu instid0(VALU_DEP_4) | instskip(NEXT) | instid1(VALU_DEP_4)
	v_add_f64 v[6:7], v[10:11], v[6:7]
	v_add_f64 v[8:9], v[12:13], v[8:9]
	s_delay_alu instid0(VALU_DEP_2) | instskip(NEXT) | instid1(VALU_DEP_2)
	v_add_f64 v[2:3], v[6:7], v[2:3]
	v_add_f64 v[4:5], v[8:9], v[4:5]
	s_delay_alu instid0(VALU_DEP_2) | instskip(NEXT) | instid1(VALU_DEP_2)
	v_add_f64 v[2:3], v[26:27], -v[2:3]
	v_add_f64 v[4:5], v[28:29], -v[4:5]
	scratch_store_b128 off, v[2:5], off offset:384
	v_cmpx_lt_u32_e32 23, v174
	s_cbranch_execz .LBB125_351
; %bb.350:
	scratch_load_b32 v2, off, off offset:1112 ; 4-byte Folded Reload
	v_mov_b32_e32 v3, v1
	v_mov_b32_e32 v4, v1
	s_waitcnt vmcnt(0)
	scratch_load_b128 v[5:8], v2, off
	v_mov_b32_e32 v2, v1
	scratch_store_b128 off, v[1:4], off offset:368
	s_waitcnt vmcnt(0)
	ds_store_b128 v255, v[5:8]
.LBB125_351:
	s_or_b32 exec_lo, exec_lo, s2
	s_waitcnt lgkmcnt(0)
	s_waitcnt_vscnt null, 0x0
	s_barrier
	buffer_gl0_inv
	s_clause 0x4
	scratch_load_b128 v[2:5], off, off offset:384
	scratch_load_b128 v[6:9], off, off offset:400
	;; [unrolled: 1-line block ×5, first 2 shown]
	ds_load_b128 v[22:25], v1 offset:1376
	ds_load_b128 v[26:29], v1 offset:1392
	scratch_load_b128 v[30:33], off, off offset:368
	s_mov_b32 s2, exec_lo
	s_waitcnt vmcnt(5) lgkmcnt(1)
	v_mul_f64 v[34:35], v[24:25], v[4:5]
	v_mul_f64 v[4:5], v[22:23], v[4:5]
	s_waitcnt vmcnt(4) lgkmcnt(0)
	v_mul_f64 v[36:37], v[26:27], v[8:9]
	v_mul_f64 v[8:9], v[28:29], v[8:9]
	s_delay_alu instid0(VALU_DEP_4) | instskip(NEXT) | instid1(VALU_DEP_4)
	v_fma_f64 v[22:23], v[22:23], v[2:3], -v[34:35]
	v_fma_f64 v[24:25], v[24:25], v[2:3], v[4:5]
	ds_load_b128 v[2:5], v1 offset:1408
	v_fma_f64 v[28:29], v[28:29], v[6:7], v[36:37]
	v_fma_f64 v[26:27], v[26:27], v[6:7], -v[8:9]
	ds_load_b128 v[6:9], v1 offset:1424
	s_waitcnt vmcnt(3) lgkmcnt(1)
	v_mul_f64 v[34:35], v[2:3], v[12:13]
	v_mul_f64 v[12:13], v[4:5], v[12:13]
	s_waitcnt vmcnt(2) lgkmcnt(0)
	v_mul_f64 v[36:37], v[6:7], v[16:17]
	s_delay_alu instid0(VALU_DEP_3) | instskip(NEXT) | instid1(VALU_DEP_3)
	v_fma_f64 v[34:35], v[4:5], v[10:11], v[34:35]
	v_fma_f64 v[38:39], v[2:3], v[10:11], -v[12:13]
	v_mul_f64 v[10:11], v[8:9], v[16:17]
	ds_load_b128 v[2:5], v1 offset:1440
	v_fma_f64 v[16:17], v[8:9], v[14:15], v[36:37]
	v_fma_f64 v[14:15], v[6:7], v[14:15], -v[10:11]
	ds_load_b128 v[6:9], v1 offset:1456
	s_waitcnt vmcnt(1) lgkmcnt(1)
	v_mul_f64 v[10:11], v[2:3], v[20:21]
	v_mul_f64 v[12:13], v[4:5], v[20:21]
	s_delay_alu instid0(VALU_DEP_2) | instskip(NEXT) | instid1(VALU_DEP_2)
	v_fma_f64 v[20:21], v[4:5], v[18:19], v[10:11]
	v_fma_f64 v[18:19], v[2:3], v[18:19], -v[12:13]
	s_clause 0x1
	scratch_load_b128 v[2:5], off, off offset:464
	scratch_load_b128 v[10:13], off, off offset:480
	s_waitcnt vmcnt(1) lgkmcnt(0)
	v_mul_f64 v[36:37], v[6:7], v[4:5]
	v_mul_f64 v[4:5], v[8:9], v[4:5]
	s_delay_alu instid0(VALU_DEP_2) | instskip(NEXT) | instid1(VALU_DEP_2)
	v_fma_f64 v[36:37], v[8:9], v[2:3], v[36:37]
	v_fma_f64 v[40:41], v[6:7], v[2:3], -v[4:5]
	ds_load_b128 v[2:5], v1 offset:1472
	ds_load_b128 v[6:9], v1 offset:1488
	s_waitcnt vmcnt(0) lgkmcnt(1)
	v_mul_f64 v[42:43], v[2:3], v[12:13]
	s_delay_alu instid0(VALU_DEP_1) | instskip(SKIP_1) | instid1(VALU_DEP_1)
	v_fma_f64 v[42:43], v[4:5], v[10:11], v[42:43]
	v_mul_f64 v[4:5], v[4:5], v[12:13]
	v_fma_f64 v[44:45], v[2:3], v[10:11], -v[4:5]
	s_clause 0x1
	scratch_load_b128 v[2:5], off, off offset:496
	scratch_load_b128 v[10:13], off, off offset:512
	s_waitcnt vmcnt(1) lgkmcnt(0)
	v_mul_f64 v[46:47], v[6:7], v[4:5]
	v_mul_f64 v[4:5], v[8:9], v[4:5]
	s_delay_alu instid0(VALU_DEP_2) | instskip(NEXT) | instid1(VALU_DEP_2)
	v_fma_f64 v[46:47], v[8:9], v[2:3], v[46:47]
	v_fma_f64 v[48:49], v[6:7], v[2:3], -v[4:5]
	ds_load_b128 v[2:5], v1 offset:1504
	ds_load_b128 v[6:9], v1 offset:1520
	s_waitcnt vmcnt(0) lgkmcnt(1)
	v_mul_f64 v[52:53], v[2:3], v[12:13]
	s_delay_alu instid0(VALU_DEP_1) | instskip(SKIP_1) | instid1(VALU_DEP_1)
	v_fma_f64 v[52:53], v[4:5], v[10:11], v[52:53]
	v_mul_f64 v[4:5], v[4:5], v[12:13]
	v_fma_f64 v[54:55], v[2:3], v[10:11], -v[4:5]
	s_clause 0x1
	scratch_load_b128 v[2:5], off, off offset:528
	scratch_load_b128 v[10:13], off, off offset:544
	s_waitcnt vmcnt(1) lgkmcnt(0)
	v_mul_f64 v[56:57], v[6:7], v[4:5]
	v_mul_f64 v[4:5], v[8:9], v[4:5]
	s_delay_alu instid0(VALU_DEP_2) | instskip(NEXT) | instid1(VALU_DEP_2)
	v_fma_f64 v[56:57], v[8:9], v[2:3], v[56:57]
	v_fma_f64 v[58:59], v[6:7], v[2:3], -v[4:5]
	ds_load_b128 v[2:5], v1 offset:1536
	ds_load_b128 v[6:9], v1 offset:1552
	s_waitcnt vmcnt(0) lgkmcnt(1)
	v_mul_f64 v[60:61], v[2:3], v[12:13]
	s_delay_alu instid0(VALU_DEP_1) | instskip(SKIP_1) | instid1(VALU_DEP_1)
	v_fma_f64 v[60:61], v[4:5], v[10:11], v[60:61]
	v_mul_f64 v[4:5], v[4:5], v[12:13]
	v_fma_f64 v[62:63], v[2:3], v[10:11], -v[4:5]
	s_clause 0x1
	scratch_load_b128 v[2:5], off, off offset:560
	scratch_load_b128 v[10:13], off, off offset:576
	s_waitcnt vmcnt(1) lgkmcnt(0)
	v_mul_f64 v[64:65], v[6:7], v[4:5]
	v_mul_f64 v[4:5], v[8:9], v[4:5]
	s_delay_alu instid0(VALU_DEP_2) | instskip(NEXT) | instid1(VALU_DEP_2)
	v_fma_f64 v[64:65], v[8:9], v[2:3], v[64:65]
	v_fma_f64 v[66:67], v[6:7], v[2:3], -v[4:5]
	ds_load_b128 v[2:5], v1 offset:1568
	ds_load_b128 v[6:9], v1 offset:1584
	s_waitcnt vmcnt(0) lgkmcnt(1)
	v_mul_f64 v[68:69], v[2:3], v[12:13]
	s_delay_alu instid0(VALU_DEP_1) | instskip(SKIP_1) | instid1(VALU_DEP_1)
	v_fma_f64 v[68:69], v[4:5], v[10:11], v[68:69]
	v_mul_f64 v[4:5], v[4:5], v[12:13]
	v_fma_f64 v[70:71], v[2:3], v[10:11], -v[4:5]
	s_clause 0x1
	scratch_load_b128 v[2:5], off, off offset:592
	scratch_load_b128 v[10:13], off, off offset:608
	s_waitcnt vmcnt(1) lgkmcnt(0)
	v_mul_f64 v[90:91], v[6:7], v[4:5]
	v_mul_f64 v[4:5], v[8:9], v[4:5]
	s_delay_alu instid0(VALU_DEP_2) | instskip(NEXT) | instid1(VALU_DEP_2)
	v_fma_f64 v[90:91], v[8:9], v[2:3], v[90:91]
	v_fma_f64 v[175:176], v[6:7], v[2:3], -v[4:5]
	ds_load_b128 v[2:5], v1 offset:1600
	ds_load_b128 v[6:9], v1 offset:1616
	s_waitcnt vmcnt(0) lgkmcnt(1)
	v_mul_f64 v[177:178], v[2:3], v[12:13]
	s_delay_alu instid0(VALU_DEP_1) | instskip(SKIP_1) | instid1(VALU_DEP_1)
	v_fma_f64 v[177:178], v[4:5], v[10:11], v[177:178]
	v_mul_f64 v[4:5], v[4:5], v[12:13]
	v_fma_f64 v[179:180], v[2:3], v[10:11], -v[4:5]
	s_clause 0x1
	scratch_load_b128 v[2:5], off, off offset:624
	scratch_load_b128 v[10:13], off, off offset:640
	s_waitcnt vmcnt(1) lgkmcnt(0)
	v_mul_f64 v[181:182], v[6:7], v[4:5]
	v_mul_f64 v[4:5], v[8:9], v[4:5]
	s_delay_alu instid0(VALU_DEP_2) | instskip(NEXT) | instid1(VALU_DEP_2)
	v_fma_f64 v[181:182], v[8:9], v[2:3], v[181:182]
	v_fma_f64 v[183:184], v[6:7], v[2:3], -v[4:5]
	ds_load_b128 v[2:5], v1 offset:1632
	ds_load_b128 v[6:9], v1 offset:1648
	s_waitcnt vmcnt(0) lgkmcnt(1)
	v_mul_f64 v[185:186], v[2:3], v[12:13]
	s_delay_alu instid0(VALU_DEP_1) | instskip(SKIP_1) | instid1(VALU_DEP_1)
	v_fma_f64 v[185:186], v[4:5], v[10:11], v[185:186]
	v_mul_f64 v[4:5], v[4:5], v[12:13]
	v_fma_f64 v[187:188], v[2:3], v[10:11], -v[4:5]
	s_clause 0x1
	scratch_load_b128 v[2:5], off, off offset:656
	scratch_load_b128 v[10:13], off, off offset:672
	s_waitcnt vmcnt(1) lgkmcnt(0)
	v_mul_f64 v[189:190], v[6:7], v[4:5]
	v_mul_f64 v[4:5], v[8:9], v[4:5]
	s_delay_alu instid0(VALU_DEP_2) | instskip(NEXT) | instid1(VALU_DEP_2)
	v_fma_f64 v[189:190], v[8:9], v[2:3], v[189:190]
	v_fma_f64 v[191:192], v[6:7], v[2:3], -v[4:5]
	ds_load_b128 v[2:5], v1 offset:1664
	ds_load_b128 v[6:9], v1 offset:1680
	s_waitcnt vmcnt(0) lgkmcnt(1)
	v_mul_f64 v[193:194], v[2:3], v[12:13]
	s_delay_alu instid0(VALU_DEP_1) | instskip(SKIP_1) | instid1(VALU_DEP_1)
	v_fma_f64 v[193:194], v[4:5], v[10:11], v[193:194]
	v_mul_f64 v[4:5], v[4:5], v[12:13]
	v_fma_f64 v[195:196], v[2:3], v[10:11], -v[4:5]
	s_clause 0x1
	scratch_load_b128 v[2:5], off, off offset:688
	scratch_load_b128 v[10:13], off, off offset:704
	s_waitcnt vmcnt(1) lgkmcnt(0)
	v_mul_f64 v[197:198], v[6:7], v[4:5]
	v_mul_f64 v[4:5], v[8:9], v[4:5]
	s_delay_alu instid0(VALU_DEP_2) | instskip(NEXT) | instid1(VALU_DEP_2)
	v_fma_f64 v[197:198], v[8:9], v[2:3], v[197:198]
	v_fma_f64 v[199:200], v[6:7], v[2:3], -v[4:5]
	ds_load_b128 v[2:5], v1 offset:1696
	ds_load_b128 v[6:9], v1 offset:1712
	s_waitcnt vmcnt(0) lgkmcnt(1)
	v_mul_f64 v[201:202], v[2:3], v[12:13]
	s_delay_alu instid0(VALU_DEP_1) | instskip(SKIP_1) | instid1(VALU_DEP_1)
	v_fma_f64 v[201:202], v[4:5], v[10:11], v[201:202]
	v_mul_f64 v[4:5], v[4:5], v[12:13]
	v_fma_f64 v[203:204], v[2:3], v[10:11], -v[4:5]
	s_clause 0x1
	scratch_load_b128 v[2:5], off, off offset:720
	scratch_load_b128 v[10:13], off, off offset:736
	s_waitcnt vmcnt(1) lgkmcnt(0)
	v_mul_f64 v[206:207], v[6:7], v[4:5]
	v_mul_f64 v[4:5], v[8:9], v[4:5]
	s_delay_alu instid0(VALU_DEP_2) | instskip(NEXT) | instid1(VALU_DEP_2)
	v_fma_f64 v[206:207], v[8:9], v[2:3], v[206:207]
	v_fma_f64 v[208:209], v[6:7], v[2:3], -v[4:5]
	ds_load_b128 v[2:5], v1 offset:1728
	ds_load_b128 v[6:9], v1 offset:1744
	s_waitcnt vmcnt(0) lgkmcnt(1)
	v_mul_f64 v[211:212], v[2:3], v[12:13]
	s_delay_alu instid0(VALU_DEP_1) | instskip(SKIP_1) | instid1(VALU_DEP_1)
	v_fma_f64 v[211:212], v[4:5], v[10:11], v[211:212]
	v_mul_f64 v[4:5], v[4:5], v[12:13]
	v_fma_f64 v[213:214], v[2:3], v[10:11], -v[4:5]
	s_clause 0x1
	scratch_load_b128 v[2:5], off, off offset:752
	scratch_load_b128 v[10:13], off, off offset:768
	s_waitcnt vmcnt(1) lgkmcnt(0)
	v_mul_f64 v[215:216], v[6:7], v[4:5]
	v_mul_f64 v[4:5], v[8:9], v[4:5]
	s_delay_alu instid0(VALU_DEP_2) | instskip(NEXT) | instid1(VALU_DEP_2)
	v_fma_f64 v[215:216], v[8:9], v[2:3], v[215:216]
	v_fma_f64 v[217:218], v[6:7], v[2:3], -v[4:5]
	ds_load_b128 v[2:5], v1 offset:1760
	ds_load_b128 v[6:9], v1 offset:1776
	s_waitcnt vmcnt(0) lgkmcnt(1)
	v_mul_f64 v[219:220], v[2:3], v[12:13]
	s_delay_alu instid0(VALU_DEP_1) | instskip(SKIP_1) | instid1(VALU_DEP_1)
	v_fma_f64 v[219:220], v[4:5], v[10:11], v[219:220]
	v_mul_f64 v[4:5], v[4:5], v[12:13]
	v_fma_f64 v[221:222], v[2:3], v[10:11], -v[4:5]
	s_clause 0x1
	scratch_load_b128 v[2:5], off, off offset:784
	scratch_load_b128 v[10:13], off, off offset:800
	s_waitcnt vmcnt(1) lgkmcnt(0)
	v_mul_f64 v[223:224], v[6:7], v[4:5]
	v_mul_f64 v[4:5], v[8:9], v[4:5]
	s_delay_alu instid0(VALU_DEP_2) | instskip(NEXT) | instid1(VALU_DEP_2)
	v_fma_f64 v[223:224], v[8:9], v[2:3], v[223:224]
	v_fma_f64 v[225:226], v[6:7], v[2:3], -v[4:5]
	ds_load_b128 v[2:5], v1 offset:1792
	ds_load_b128 v[6:9], v1 offset:1808
	s_waitcnt vmcnt(0) lgkmcnt(1)
	v_mul_f64 v[227:228], v[2:3], v[12:13]
	s_delay_alu instid0(VALU_DEP_1) | instskip(SKIP_1) | instid1(VALU_DEP_1)
	v_fma_f64 v[227:228], v[4:5], v[10:11], v[227:228]
	v_mul_f64 v[4:5], v[4:5], v[12:13]
	v_fma_f64 v[229:230], v[2:3], v[10:11], -v[4:5]
	s_clause 0x1
	scratch_load_b128 v[2:5], off, off offset:816
	scratch_load_b128 v[10:13], off, off offset:832
	s_waitcnt vmcnt(1) lgkmcnt(0)
	v_mul_f64 v[231:232], v[6:7], v[4:5]
	v_mul_f64 v[4:5], v[8:9], v[4:5]
	s_delay_alu instid0(VALU_DEP_2) | instskip(NEXT) | instid1(VALU_DEP_2)
	v_fma_f64 v[231:232], v[8:9], v[2:3], v[231:232]
	v_fma_f64 v[233:234], v[6:7], v[2:3], -v[4:5]
	ds_load_b128 v[2:5], v1 offset:1824
	ds_load_b128 v[6:9], v1 offset:1840
	s_waitcnt vmcnt(0) lgkmcnt(1)
	v_mul_f64 v[235:236], v[2:3], v[12:13]
	s_delay_alu instid0(VALU_DEP_1) | instskip(SKIP_1) | instid1(VALU_DEP_1)
	v_fma_f64 v[235:236], v[4:5], v[10:11], v[235:236]
	v_mul_f64 v[4:5], v[4:5], v[12:13]
	v_fma_f64 v[237:238], v[2:3], v[10:11], -v[4:5]
	s_clause 0x1
	scratch_load_b128 v[2:5], off, off offset:848
	scratch_load_b128 v[10:13], off, off offset:864
	s_waitcnt vmcnt(1) lgkmcnt(0)
	v_mul_f64 v[239:240], v[6:7], v[4:5]
	v_mul_f64 v[4:5], v[8:9], v[4:5]
	s_delay_alu instid0(VALU_DEP_2) | instskip(NEXT) | instid1(VALU_DEP_2)
	v_fma_f64 v[239:240], v[8:9], v[2:3], v[239:240]
	v_fma_f64 v[241:242], v[6:7], v[2:3], -v[4:5]
	ds_load_b128 v[2:5], v1 offset:1856
	ds_load_b128 v[6:9], v1 offset:1872
	s_waitcnt vmcnt(0) lgkmcnt(1)
	v_mul_f64 v[243:244], v[2:3], v[12:13]
	s_delay_alu instid0(VALU_DEP_1) | instskip(SKIP_1) | instid1(VALU_DEP_1)
	v_fma_f64 v[243:244], v[4:5], v[10:11], v[243:244]
	v_mul_f64 v[4:5], v[4:5], v[12:13]
	v_fma_f64 v[245:246], v[2:3], v[10:11], -v[4:5]
	s_clause 0x1
	scratch_load_b128 v[2:5], off, off offset:880
	scratch_load_b128 v[10:13], off, off offset:896
	s_waitcnt vmcnt(1) lgkmcnt(0)
	v_mul_f64 v[247:248], v[6:7], v[4:5]
	v_mul_f64 v[4:5], v[8:9], v[4:5]
	s_delay_alu instid0(VALU_DEP_2) | instskip(NEXT) | instid1(VALU_DEP_2)
	v_fma_f64 v[247:248], v[8:9], v[2:3], v[247:248]
	v_fma_f64 v[249:250], v[6:7], v[2:3], -v[4:5]
	ds_load_b128 v[2:5], v1 offset:1888
	ds_load_b128 v[6:9], v1 offset:1904
	s_waitcnt vmcnt(0) lgkmcnt(1)
	v_mul_f64 v[251:252], v[2:3], v[12:13]
	s_delay_alu instid0(VALU_DEP_1) | instskip(SKIP_1) | instid1(VALU_DEP_1)
	v_fma_f64 v[251:252], v[4:5], v[10:11], v[251:252]
	v_mul_f64 v[4:5], v[4:5], v[12:13]
	v_fma_f64 v[253:254], v[2:3], v[10:11], -v[4:5]
	s_clause 0x1
	scratch_load_b128 v[2:5], off, off offset:912
	scratch_load_b128 v[10:13], off, off offset:928
	s_waitcnt vmcnt(1) lgkmcnt(0)
	v_mul_f64 v[72:73], v[6:7], v[4:5]
	v_mul_f64 v[4:5], v[8:9], v[4:5]
	s_delay_alu instid0(VALU_DEP_2) | instskip(NEXT) | instid1(VALU_DEP_2)
	v_fma_f64 v[72:73], v[8:9], v[2:3], v[72:73]
	v_fma_f64 v[74:75], v[6:7], v[2:3], -v[4:5]
	ds_load_b128 v[2:5], v1 offset:1920
	ds_load_b128 v[6:9], v1 offset:1936
	s_waitcnt vmcnt(0) lgkmcnt(1)
	v_mul_f64 v[76:77], v[2:3], v[12:13]
	s_delay_alu instid0(VALU_DEP_1) | instskip(SKIP_1) | instid1(VALU_DEP_1)
	v_fma_f64 v[76:77], v[4:5], v[10:11], v[76:77]
	v_mul_f64 v[4:5], v[4:5], v[12:13]
	v_fma_f64 v[78:79], v[2:3], v[10:11], -v[4:5]
	v_add_f64 v[2:3], v[22:23], 0
	v_add_f64 v[4:5], v[24:25], 0
	s_delay_alu instid0(VALU_DEP_2) | instskip(NEXT) | instid1(VALU_DEP_2)
	v_add_f64 v[2:3], v[2:3], v[26:27]
	v_add_f64 v[4:5], v[4:5], v[28:29]
	s_delay_alu instid0(VALU_DEP_2) | instskip(NEXT) | instid1(VALU_DEP_2)
	;; [unrolled: 3-line block ×28, first 2 shown]
	v_add_f64 v[2:3], v[2:3], v[237:238]
	v_add_f64 v[10:11], v[4:5], v[235:236]
	s_delay_alu instid0(VALU_DEP_2)
	v_add_f64 v[12:13], v[2:3], v[241:242]
	scratch_load_b128 v[2:5], off, off offset:944
	v_add_f64 v[14:15], v[10:11], v[239:240]
	v_add_f64 v[16:17], v[12:13], v[245:246]
	scratch_load_b128 v[10:13], off, off offset:960
	v_add_f64 v[18:19], v[14:15], v[243:244]
	;; [unrolled: 3-line block ×3, first 2 shown]
	v_add_f64 v[20:21], v[20:21], v[253:254]
	s_delay_alu instid0(VALU_DEP_2) | instskip(NEXT) | instid1(VALU_DEP_2)
	v_add_f64 v[18:19], v[18:19], v[251:252]
	v_add_f64 v[28:29], v[20:21], v[74:75]
	s_delay_alu instid0(VALU_DEP_2)
	v_add_f64 v[34:35], v[18:19], v[72:73]
	ds_load_b128 v[18:21], v1 offset:1952
	ds_load_b128 v[22:25], v1 offset:1968
	s_waitcnt vmcnt(2) lgkmcnt(2)
	v_mul_f64 v[26:27], v[6:7], v[4:5]
	v_mul_f64 v[4:5], v[8:9], v[4:5]
	s_waitcnt vmcnt(1) lgkmcnt(1)
	v_mul_f64 v[36:37], v[18:19], v[12:13]
	s_delay_alu instid0(VALU_DEP_3) | instskip(NEXT) | instid1(VALU_DEP_3)
	v_fma_f64 v[8:9], v[8:9], v[2:3], v[26:27]
	v_fma_f64 v[1:2], v[6:7], v[2:3], -v[4:5]
	v_mul_f64 v[3:4], v[20:21], v[12:13]
	v_add_f64 v[5:6], v[28:29], v[78:79]
	v_add_f64 v[12:13], v[34:35], v[76:77]
	s_waitcnt vmcnt(0) lgkmcnt(0)
	v_mul_f64 v[26:27], v[22:23], v[16:17]
	v_mul_f64 v[16:17], v[24:25], v[16:17]
	v_fma_f64 v[20:21], v[20:21], v[10:11], v[36:37]
	v_fma_f64 v[3:4], v[18:19], v[10:11], -v[3:4]
	v_add_f64 v[1:2], v[5:6], v[1:2]
	v_add_f64 v[5:6], v[12:13], v[8:9]
	v_fma_f64 v[7:8], v[24:25], v[14:15], v[26:27]
	v_fma_f64 v[9:10], v[22:23], v[14:15], -v[16:17]
	s_delay_alu instid0(VALU_DEP_4) | instskip(NEXT) | instid1(VALU_DEP_4)
	v_add_f64 v[1:2], v[1:2], v[3:4]
	v_add_f64 v[3:4], v[5:6], v[20:21]
	s_delay_alu instid0(VALU_DEP_2) | instskip(NEXT) | instid1(VALU_DEP_2)
	v_add_f64 v[1:2], v[1:2], v[9:10]
	v_add_f64 v[3:4], v[3:4], v[7:8]
	s_delay_alu instid0(VALU_DEP_2) | instskip(NEXT) | instid1(VALU_DEP_2)
	v_add_f64 v[1:2], v[30:31], -v[1:2]
	v_add_f64 v[3:4], v[32:33], -v[3:4]
	scratch_store_b128 off, v[1:4], off offset:368
	v_cmpx_lt_u32_e32 22, v174
	s_cbranch_execz .LBB125_353
; %bb.352:
	scratch_load_b32 v1, off, off offset:1116 ; 4-byte Folded Reload
	v_mov_b32_e32 v5, 0
	s_delay_alu instid0(VALU_DEP_1)
	v_mov_b32_e32 v6, v5
	v_mov_b32_e32 v7, v5
	;; [unrolled: 1-line block ×3, first 2 shown]
	s_waitcnt vmcnt(0)
	scratch_load_b128 v[1:4], v1, off
	scratch_store_b128 off, v[5:8], off offset:352
	s_waitcnt vmcnt(0)
	ds_store_b128 v255, v[1:4]
.LBB125_353:
	s_or_b32 exec_lo, exec_lo, s2
	s_waitcnt lgkmcnt(0)
	s_waitcnt_vscnt null, 0x0
	s_barrier
	buffer_gl0_inv
	s_clause 0x4
	scratch_load_b128 v[2:5], off, off offset:368
	scratch_load_b128 v[6:9], off, off offset:384
	;; [unrolled: 1-line block ×5, first 2 shown]
	v_mov_b32_e32 v1, 0
	scratch_load_b128 v[26:29], off, off offset:352
	s_mov_b32 s2, exec_lo
	ds_load_b128 v[22:25], v1 offset:1360
	ds_load_b128 v[30:33], v1 offset:1376
	s_waitcnt vmcnt(5) lgkmcnt(1)
	v_mul_f64 v[34:35], v[24:25], v[4:5]
	v_mul_f64 v[4:5], v[22:23], v[4:5]
	s_waitcnt vmcnt(4) lgkmcnt(0)
	v_mul_f64 v[36:37], v[30:31], v[8:9]
	v_mul_f64 v[8:9], v[32:33], v[8:9]
	s_delay_alu instid0(VALU_DEP_4) | instskip(NEXT) | instid1(VALU_DEP_4)
	v_fma_f64 v[22:23], v[22:23], v[2:3], -v[34:35]
	v_fma_f64 v[24:25], v[24:25], v[2:3], v[4:5]
	ds_load_b128 v[2:5], v1 offset:1392
	v_fma_f64 v[32:33], v[32:33], v[6:7], v[36:37]
	v_fma_f64 v[30:31], v[30:31], v[6:7], -v[8:9]
	ds_load_b128 v[6:9], v1 offset:1408
	s_waitcnt vmcnt(3) lgkmcnt(1)
	v_mul_f64 v[34:35], v[2:3], v[12:13]
	v_mul_f64 v[12:13], v[4:5], v[12:13]
	s_waitcnt vmcnt(2) lgkmcnt(0)
	v_mul_f64 v[36:37], v[6:7], v[16:17]
	s_delay_alu instid0(VALU_DEP_3) | instskip(NEXT) | instid1(VALU_DEP_3)
	v_fma_f64 v[34:35], v[4:5], v[10:11], v[34:35]
	v_fma_f64 v[38:39], v[2:3], v[10:11], -v[12:13]
	v_mul_f64 v[10:11], v[8:9], v[16:17]
	ds_load_b128 v[2:5], v1 offset:1424
	v_fma_f64 v[16:17], v[8:9], v[14:15], v[36:37]
	v_fma_f64 v[14:15], v[6:7], v[14:15], -v[10:11]
	ds_load_b128 v[6:9], v1 offset:1440
	s_waitcnt vmcnt(1) lgkmcnt(1)
	v_mul_f64 v[10:11], v[2:3], v[20:21]
	v_mul_f64 v[12:13], v[4:5], v[20:21]
	s_delay_alu instid0(VALU_DEP_2) | instskip(NEXT) | instid1(VALU_DEP_2)
	v_fma_f64 v[20:21], v[4:5], v[18:19], v[10:11]
	v_fma_f64 v[18:19], v[2:3], v[18:19], -v[12:13]
	s_clause 0x1
	scratch_load_b128 v[2:5], off, off offset:448
	scratch_load_b128 v[10:13], off, off offset:464
	s_waitcnt vmcnt(1) lgkmcnt(0)
	v_mul_f64 v[36:37], v[6:7], v[4:5]
	v_mul_f64 v[4:5], v[8:9], v[4:5]
	s_delay_alu instid0(VALU_DEP_2) | instskip(NEXT) | instid1(VALU_DEP_2)
	v_fma_f64 v[36:37], v[8:9], v[2:3], v[36:37]
	v_fma_f64 v[40:41], v[6:7], v[2:3], -v[4:5]
	ds_load_b128 v[2:5], v1 offset:1456
	ds_load_b128 v[6:9], v1 offset:1472
	s_waitcnt vmcnt(0) lgkmcnt(1)
	v_mul_f64 v[42:43], v[2:3], v[12:13]
	s_delay_alu instid0(VALU_DEP_1) | instskip(SKIP_1) | instid1(VALU_DEP_1)
	v_fma_f64 v[42:43], v[4:5], v[10:11], v[42:43]
	v_mul_f64 v[4:5], v[4:5], v[12:13]
	v_fma_f64 v[44:45], v[2:3], v[10:11], -v[4:5]
	s_clause 0x1
	scratch_load_b128 v[2:5], off, off offset:480
	scratch_load_b128 v[10:13], off, off offset:496
	s_waitcnt vmcnt(1) lgkmcnt(0)
	v_mul_f64 v[46:47], v[6:7], v[4:5]
	v_mul_f64 v[4:5], v[8:9], v[4:5]
	s_delay_alu instid0(VALU_DEP_2) | instskip(NEXT) | instid1(VALU_DEP_2)
	v_fma_f64 v[46:47], v[8:9], v[2:3], v[46:47]
	v_fma_f64 v[48:49], v[6:7], v[2:3], -v[4:5]
	ds_load_b128 v[2:5], v1 offset:1488
	ds_load_b128 v[6:9], v1 offset:1504
	s_waitcnt vmcnt(0) lgkmcnt(1)
	v_mul_f64 v[52:53], v[2:3], v[12:13]
	s_delay_alu instid0(VALU_DEP_1) | instskip(SKIP_1) | instid1(VALU_DEP_1)
	v_fma_f64 v[52:53], v[4:5], v[10:11], v[52:53]
	v_mul_f64 v[4:5], v[4:5], v[12:13]
	;; [unrolled: 17-line block ×15, first 2 shown]
	v_fma_f64 v[253:254], v[2:3], v[10:11], -v[4:5]
	v_add_f64 v[2:3], v[22:23], 0
	v_add_f64 v[4:5], v[24:25], 0
	s_delay_alu instid0(VALU_DEP_2) | instskip(NEXT) | instid1(VALU_DEP_2)
	v_add_f64 v[2:3], v[2:3], v[30:31]
	v_add_f64 v[4:5], v[4:5], v[32:33]
	s_delay_alu instid0(VALU_DEP_2) | instskip(NEXT) | instid1(VALU_DEP_2)
	;; [unrolled: 3-line block ×28, first 2 shown]
	v_add_f64 v[2:3], v[2:3], v[229:230]
	v_add_f64 v[10:11], v[4:5], v[227:228]
	s_delay_alu instid0(VALU_DEP_2)
	v_add_f64 v[12:13], v[2:3], v[233:234]
	scratch_load_b128 v[2:5], off, off offset:928
	v_add_f64 v[14:15], v[10:11], v[231:232]
	v_add_f64 v[16:17], v[12:13], v[237:238]
	scratch_load_b128 v[10:13], off, off offset:944
	v_add_f64 v[18:19], v[14:15], v[235:236]
	;; [unrolled: 3-line block ×4, first 2 shown]
	v_add_f64 v[24:25], v[24:25], v[249:250]
	s_delay_alu instid0(VALU_DEP_2) | instskip(NEXT) | instid1(VALU_DEP_2)
	v_add_f64 v[22:23], v[22:23], v[247:248]
	v_add_f64 v[24:25], v[24:25], v[253:254]
	s_delay_alu instid0(VALU_DEP_2) | instskip(SKIP_3) | instid1(VALU_DEP_2)
	v_add_f64 v[22:23], v[22:23], v[251:252]
	s_waitcnt vmcnt(3) lgkmcnt(0)
	v_mul_f64 v[30:31], v[6:7], v[4:5]
	v_mul_f64 v[4:5], v[8:9], v[4:5]
	v_fma_f64 v[30:31], v[8:9], v[2:3], v[30:31]
	s_delay_alu instid0(VALU_DEP_2)
	v_fma_f64 v[32:33], v[6:7], v[2:3], -v[4:5]
	ds_load_b128 v[2:5], v1 offset:1936
	ds_load_b128 v[6:9], v1 offset:1952
	s_waitcnt vmcnt(2) lgkmcnt(1)
	v_mul_f64 v[34:35], v[2:3], v[12:13]
	v_mul_f64 v[12:13], v[4:5], v[12:13]
	s_waitcnt vmcnt(1) lgkmcnt(0)
	v_mul_f64 v[36:37], v[6:7], v[16:17]
	v_add_f64 v[22:23], v[22:23], v[30:31]
	s_delay_alu instid0(VALU_DEP_4) | instskip(NEXT) | instid1(VALU_DEP_4)
	v_fma_f64 v[34:35], v[4:5], v[10:11], v[34:35]
	v_fma_f64 v[10:11], v[2:3], v[10:11], -v[12:13]
	v_mul_f64 v[12:13], v[8:9], v[16:17]
	v_add_f64 v[16:17], v[24:25], v[32:33]
	ds_load_b128 v[2:5], v1 offset:1968
	v_fma_f64 v[8:9], v[8:9], v[14:15], v[36:37]
	s_waitcnt vmcnt(0) lgkmcnt(0)
	v_mul_f64 v[24:25], v[2:3], v[20:21]
	v_mul_f64 v[20:21], v[4:5], v[20:21]
	v_fma_f64 v[6:7], v[6:7], v[14:15], -v[12:13]
	v_add_f64 v[10:11], v[16:17], v[10:11]
	v_add_f64 v[12:13], v[22:23], v[34:35]
	v_fma_f64 v[4:5], v[4:5], v[18:19], v[24:25]
	v_fma_f64 v[2:3], v[2:3], v[18:19], -v[20:21]
	s_delay_alu instid0(VALU_DEP_4) | instskip(NEXT) | instid1(VALU_DEP_4)
	v_add_f64 v[6:7], v[10:11], v[6:7]
	v_add_f64 v[8:9], v[12:13], v[8:9]
	s_delay_alu instid0(VALU_DEP_2) | instskip(NEXT) | instid1(VALU_DEP_2)
	v_add_f64 v[2:3], v[6:7], v[2:3]
	v_add_f64 v[4:5], v[8:9], v[4:5]
	s_delay_alu instid0(VALU_DEP_2) | instskip(NEXT) | instid1(VALU_DEP_2)
	v_add_f64 v[2:3], v[26:27], -v[2:3]
	v_add_f64 v[4:5], v[28:29], -v[4:5]
	scratch_store_b128 off, v[2:5], off offset:352
	v_cmpx_lt_u32_e32 21, v174
	s_cbranch_execz .LBB125_355
; %bb.354:
	scratch_load_b32 v2, off, off offset:1124 ; 4-byte Folded Reload
	v_mov_b32_e32 v3, v1
	v_mov_b32_e32 v4, v1
	s_waitcnt vmcnt(0)
	scratch_load_b128 v[5:8], v2, off
	v_mov_b32_e32 v2, v1
	scratch_store_b128 off, v[1:4], off offset:336
	s_waitcnt vmcnt(0)
	ds_store_b128 v255, v[5:8]
.LBB125_355:
	s_or_b32 exec_lo, exec_lo, s2
	s_waitcnt lgkmcnt(0)
	s_waitcnt_vscnt null, 0x0
	s_barrier
	buffer_gl0_inv
	s_clause 0x4
	scratch_load_b128 v[2:5], off, off offset:352
	scratch_load_b128 v[6:9], off, off offset:368
	;; [unrolled: 1-line block ×5, first 2 shown]
	ds_load_b128 v[22:25], v1 offset:1344
	ds_load_b128 v[26:29], v1 offset:1360
	scratch_load_b128 v[30:33], off, off offset:336
	s_mov_b32 s2, exec_lo
	s_waitcnt vmcnt(5) lgkmcnt(1)
	v_mul_f64 v[34:35], v[24:25], v[4:5]
	v_mul_f64 v[4:5], v[22:23], v[4:5]
	s_waitcnt vmcnt(4) lgkmcnt(0)
	v_mul_f64 v[36:37], v[26:27], v[8:9]
	v_mul_f64 v[8:9], v[28:29], v[8:9]
	s_delay_alu instid0(VALU_DEP_4) | instskip(NEXT) | instid1(VALU_DEP_4)
	v_fma_f64 v[22:23], v[22:23], v[2:3], -v[34:35]
	v_fma_f64 v[24:25], v[24:25], v[2:3], v[4:5]
	ds_load_b128 v[2:5], v1 offset:1376
	v_fma_f64 v[28:29], v[28:29], v[6:7], v[36:37]
	v_fma_f64 v[26:27], v[26:27], v[6:7], -v[8:9]
	ds_load_b128 v[6:9], v1 offset:1392
	s_waitcnt vmcnt(3) lgkmcnt(1)
	v_mul_f64 v[34:35], v[2:3], v[12:13]
	v_mul_f64 v[12:13], v[4:5], v[12:13]
	s_waitcnt vmcnt(2) lgkmcnt(0)
	v_mul_f64 v[36:37], v[6:7], v[16:17]
	s_delay_alu instid0(VALU_DEP_3) | instskip(NEXT) | instid1(VALU_DEP_3)
	v_fma_f64 v[34:35], v[4:5], v[10:11], v[34:35]
	v_fma_f64 v[38:39], v[2:3], v[10:11], -v[12:13]
	v_mul_f64 v[10:11], v[8:9], v[16:17]
	ds_load_b128 v[2:5], v1 offset:1408
	v_fma_f64 v[16:17], v[8:9], v[14:15], v[36:37]
	v_fma_f64 v[14:15], v[6:7], v[14:15], -v[10:11]
	ds_load_b128 v[6:9], v1 offset:1424
	s_waitcnt vmcnt(1) lgkmcnt(1)
	v_mul_f64 v[10:11], v[2:3], v[20:21]
	v_mul_f64 v[12:13], v[4:5], v[20:21]
	s_delay_alu instid0(VALU_DEP_2) | instskip(NEXT) | instid1(VALU_DEP_2)
	v_fma_f64 v[20:21], v[4:5], v[18:19], v[10:11]
	v_fma_f64 v[18:19], v[2:3], v[18:19], -v[12:13]
	s_clause 0x1
	scratch_load_b128 v[2:5], off, off offset:432
	scratch_load_b128 v[10:13], off, off offset:448
	s_waitcnt vmcnt(1) lgkmcnt(0)
	v_mul_f64 v[36:37], v[6:7], v[4:5]
	v_mul_f64 v[4:5], v[8:9], v[4:5]
	s_delay_alu instid0(VALU_DEP_2) | instskip(NEXT) | instid1(VALU_DEP_2)
	v_fma_f64 v[36:37], v[8:9], v[2:3], v[36:37]
	v_fma_f64 v[40:41], v[6:7], v[2:3], -v[4:5]
	ds_load_b128 v[2:5], v1 offset:1440
	ds_load_b128 v[6:9], v1 offset:1456
	s_waitcnt vmcnt(0) lgkmcnt(1)
	v_mul_f64 v[42:43], v[2:3], v[12:13]
	s_delay_alu instid0(VALU_DEP_1) | instskip(SKIP_1) | instid1(VALU_DEP_1)
	v_fma_f64 v[42:43], v[4:5], v[10:11], v[42:43]
	v_mul_f64 v[4:5], v[4:5], v[12:13]
	v_fma_f64 v[44:45], v[2:3], v[10:11], -v[4:5]
	s_clause 0x1
	scratch_load_b128 v[2:5], off, off offset:464
	scratch_load_b128 v[10:13], off, off offset:480
	s_waitcnt vmcnt(1) lgkmcnt(0)
	v_mul_f64 v[46:47], v[6:7], v[4:5]
	v_mul_f64 v[4:5], v[8:9], v[4:5]
	s_delay_alu instid0(VALU_DEP_2) | instskip(NEXT) | instid1(VALU_DEP_2)
	v_fma_f64 v[46:47], v[8:9], v[2:3], v[46:47]
	v_fma_f64 v[48:49], v[6:7], v[2:3], -v[4:5]
	ds_load_b128 v[2:5], v1 offset:1472
	ds_load_b128 v[6:9], v1 offset:1488
	s_waitcnt vmcnt(0) lgkmcnt(1)
	v_mul_f64 v[52:53], v[2:3], v[12:13]
	s_delay_alu instid0(VALU_DEP_1) | instskip(SKIP_1) | instid1(VALU_DEP_1)
	v_fma_f64 v[52:53], v[4:5], v[10:11], v[52:53]
	v_mul_f64 v[4:5], v[4:5], v[12:13]
	;; [unrolled: 17-line block ×16, first 2 shown]
	v_fma_f64 v[86:87], v[2:3], v[10:11], -v[4:5]
	v_add_f64 v[2:3], v[22:23], 0
	v_add_f64 v[4:5], v[24:25], 0
	s_delay_alu instid0(VALU_DEP_2) | instskip(NEXT) | instid1(VALU_DEP_2)
	v_add_f64 v[2:3], v[2:3], v[26:27]
	v_add_f64 v[4:5], v[4:5], v[28:29]
	s_delay_alu instid0(VALU_DEP_2) | instskip(NEXT) | instid1(VALU_DEP_2)
	;; [unrolled: 3-line block ×30, first 2 shown]
	v_add_f64 v[2:3], v[2:3], v[237:238]
	v_add_f64 v[10:11], v[4:5], v[235:236]
	s_delay_alu instid0(VALU_DEP_2)
	v_add_f64 v[12:13], v[2:3], v[241:242]
	scratch_load_b128 v[2:5], off, off offset:944
	v_add_f64 v[14:15], v[10:11], v[239:240]
	v_add_f64 v[16:17], v[12:13], v[245:246]
	scratch_load_b128 v[10:13], off, off offset:960
	v_add_f64 v[18:19], v[14:15], v[243:244]
	;; [unrolled: 3-line block ×3, first 2 shown]
	v_add_f64 v[20:21], v[20:21], v[253:254]
	s_delay_alu instid0(VALU_DEP_2) | instskip(NEXT) | instid1(VALU_DEP_2)
	v_add_f64 v[18:19], v[18:19], v[251:252]
	v_add_f64 v[28:29], v[20:21], v[82:83]
	s_delay_alu instid0(VALU_DEP_2)
	v_add_f64 v[34:35], v[18:19], v[80:81]
	ds_load_b128 v[18:21], v1 offset:1952
	ds_load_b128 v[22:25], v1 offset:1968
	s_waitcnt vmcnt(2) lgkmcnt(2)
	v_mul_f64 v[26:27], v[6:7], v[4:5]
	v_mul_f64 v[4:5], v[8:9], v[4:5]
	s_waitcnt vmcnt(1) lgkmcnt(1)
	v_mul_f64 v[36:37], v[18:19], v[12:13]
	s_delay_alu instid0(VALU_DEP_3) | instskip(NEXT) | instid1(VALU_DEP_3)
	v_fma_f64 v[8:9], v[8:9], v[2:3], v[26:27]
	v_fma_f64 v[1:2], v[6:7], v[2:3], -v[4:5]
	v_mul_f64 v[3:4], v[20:21], v[12:13]
	v_add_f64 v[5:6], v[28:29], v[86:87]
	v_add_f64 v[12:13], v[34:35], v[84:85]
	s_waitcnt vmcnt(0) lgkmcnt(0)
	v_mul_f64 v[26:27], v[22:23], v[16:17]
	v_mul_f64 v[16:17], v[24:25], v[16:17]
	v_fma_f64 v[20:21], v[20:21], v[10:11], v[36:37]
	v_fma_f64 v[3:4], v[18:19], v[10:11], -v[3:4]
	v_add_f64 v[1:2], v[5:6], v[1:2]
	v_add_f64 v[5:6], v[12:13], v[8:9]
	v_fma_f64 v[7:8], v[24:25], v[14:15], v[26:27]
	v_fma_f64 v[9:10], v[22:23], v[14:15], -v[16:17]
	s_delay_alu instid0(VALU_DEP_4) | instskip(NEXT) | instid1(VALU_DEP_4)
	v_add_f64 v[1:2], v[1:2], v[3:4]
	v_add_f64 v[3:4], v[5:6], v[20:21]
	s_delay_alu instid0(VALU_DEP_2) | instskip(NEXT) | instid1(VALU_DEP_2)
	v_add_f64 v[1:2], v[1:2], v[9:10]
	v_add_f64 v[3:4], v[3:4], v[7:8]
	s_delay_alu instid0(VALU_DEP_2) | instskip(NEXT) | instid1(VALU_DEP_2)
	v_add_f64 v[1:2], v[30:31], -v[1:2]
	v_add_f64 v[3:4], v[32:33], -v[3:4]
	scratch_store_b128 off, v[1:4], off offset:336
	v_cmpx_lt_u32_e32 20, v174
	s_cbranch_execz .LBB125_357
; %bb.356:
	scratch_load_b32 v1, off, off offset:1132 ; 4-byte Folded Reload
	v_mov_b32_e32 v5, 0
	s_delay_alu instid0(VALU_DEP_1)
	v_mov_b32_e32 v6, v5
	v_mov_b32_e32 v7, v5
	;; [unrolled: 1-line block ×3, first 2 shown]
	s_waitcnt vmcnt(0)
	scratch_load_b128 v[1:4], v1, off
	scratch_store_b128 off, v[5:8], off offset:320
	s_waitcnt vmcnt(0)
	ds_store_b128 v255, v[1:4]
.LBB125_357:
	s_or_b32 exec_lo, exec_lo, s2
	s_waitcnt lgkmcnt(0)
	s_waitcnt_vscnt null, 0x0
	s_barrier
	buffer_gl0_inv
	s_clause 0x4
	scratch_load_b128 v[2:5], off, off offset:336
	scratch_load_b128 v[6:9], off, off offset:352
	;; [unrolled: 1-line block ×5, first 2 shown]
	v_mov_b32_e32 v1, 0
	scratch_load_b128 v[26:29], off, off offset:320
	s_mov_b32 s2, exec_lo
	ds_load_b128 v[22:25], v1 offset:1328
	ds_load_b128 v[30:33], v1 offset:1344
	s_waitcnt vmcnt(5) lgkmcnt(1)
	v_mul_f64 v[34:35], v[24:25], v[4:5]
	v_mul_f64 v[4:5], v[22:23], v[4:5]
	s_waitcnt vmcnt(4) lgkmcnt(0)
	v_mul_f64 v[36:37], v[30:31], v[8:9]
	v_mul_f64 v[8:9], v[32:33], v[8:9]
	s_delay_alu instid0(VALU_DEP_4) | instskip(NEXT) | instid1(VALU_DEP_4)
	v_fma_f64 v[22:23], v[22:23], v[2:3], -v[34:35]
	v_fma_f64 v[24:25], v[24:25], v[2:3], v[4:5]
	ds_load_b128 v[2:5], v1 offset:1360
	v_fma_f64 v[32:33], v[32:33], v[6:7], v[36:37]
	v_fma_f64 v[30:31], v[30:31], v[6:7], -v[8:9]
	ds_load_b128 v[6:9], v1 offset:1376
	s_waitcnt vmcnt(3) lgkmcnt(1)
	v_mul_f64 v[34:35], v[2:3], v[12:13]
	v_mul_f64 v[12:13], v[4:5], v[12:13]
	s_waitcnt vmcnt(2) lgkmcnt(0)
	v_mul_f64 v[36:37], v[6:7], v[16:17]
	s_delay_alu instid0(VALU_DEP_3) | instskip(NEXT) | instid1(VALU_DEP_3)
	v_fma_f64 v[34:35], v[4:5], v[10:11], v[34:35]
	v_fma_f64 v[38:39], v[2:3], v[10:11], -v[12:13]
	v_mul_f64 v[10:11], v[8:9], v[16:17]
	ds_load_b128 v[2:5], v1 offset:1392
	v_fma_f64 v[16:17], v[8:9], v[14:15], v[36:37]
	v_fma_f64 v[14:15], v[6:7], v[14:15], -v[10:11]
	ds_load_b128 v[6:9], v1 offset:1408
	s_waitcnt vmcnt(1) lgkmcnt(1)
	v_mul_f64 v[10:11], v[2:3], v[20:21]
	v_mul_f64 v[12:13], v[4:5], v[20:21]
	s_delay_alu instid0(VALU_DEP_2) | instskip(NEXT) | instid1(VALU_DEP_2)
	v_fma_f64 v[20:21], v[4:5], v[18:19], v[10:11]
	v_fma_f64 v[18:19], v[2:3], v[18:19], -v[12:13]
	s_clause 0x1
	scratch_load_b128 v[2:5], off, off offset:416
	scratch_load_b128 v[10:13], off, off offset:432
	s_waitcnt vmcnt(1) lgkmcnt(0)
	v_mul_f64 v[36:37], v[6:7], v[4:5]
	v_mul_f64 v[4:5], v[8:9], v[4:5]
	s_delay_alu instid0(VALU_DEP_2) | instskip(NEXT) | instid1(VALU_DEP_2)
	v_fma_f64 v[36:37], v[8:9], v[2:3], v[36:37]
	v_fma_f64 v[40:41], v[6:7], v[2:3], -v[4:5]
	ds_load_b128 v[2:5], v1 offset:1424
	ds_load_b128 v[6:9], v1 offset:1440
	s_waitcnt vmcnt(0) lgkmcnt(1)
	v_mul_f64 v[42:43], v[2:3], v[12:13]
	s_delay_alu instid0(VALU_DEP_1) | instskip(SKIP_1) | instid1(VALU_DEP_1)
	v_fma_f64 v[42:43], v[4:5], v[10:11], v[42:43]
	v_mul_f64 v[4:5], v[4:5], v[12:13]
	v_fma_f64 v[44:45], v[2:3], v[10:11], -v[4:5]
	s_clause 0x1
	scratch_load_b128 v[2:5], off, off offset:448
	scratch_load_b128 v[10:13], off, off offset:464
	s_waitcnt vmcnt(1) lgkmcnt(0)
	v_mul_f64 v[46:47], v[6:7], v[4:5]
	v_mul_f64 v[4:5], v[8:9], v[4:5]
	s_delay_alu instid0(VALU_DEP_2) | instskip(NEXT) | instid1(VALU_DEP_2)
	v_fma_f64 v[46:47], v[8:9], v[2:3], v[46:47]
	v_fma_f64 v[48:49], v[6:7], v[2:3], -v[4:5]
	ds_load_b128 v[2:5], v1 offset:1456
	ds_load_b128 v[6:9], v1 offset:1472
	s_waitcnt vmcnt(0) lgkmcnt(1)
	v_mul_f64 v[52:53], v[2:3], v[12:13]
	s_delay_alu instid0(VALU_DEP_1) | instskip(SKIP_1) | instid1(VALU_DEP_1)
	v_fma_f64 v[52:53], v[4:5], v[10:11], v[52:53]
	v_mul_f64 v[4:5], v[4:5], v[12:13]
	;; [unrolled: 17-line block ×16, first 2 shown]
	v_fma_f64 v[253:254], v[2:3], v[10:11], -v[4:5]
	v_add_f64 v[2:3], v[22:23], 0
	v_add_f64 v[4:5], v[24:25], 0
	s_delay_alu instid0(VALU_DEP_2) | instskip(NEXT) | instid1(VALU_DEP_2)
	v_add_f64 v[2:3], v[2:3], v[30:31]
	v_add_f64 v[4:5], v[4:5], v[32:33]
	s_delay_alu instid0(VALU_DEP_2) | instskip(NEXT) | instid1(VALU_DEP_2)
	;; [unrolled: 3-line block ×30, first 2 shown]
	v_add_f64 v[2:3], v[2:3], v[229:230]
	v_add_f64 v[10:11], v[4:5], v[227:228]
	s_delay_alu instid0(VALU_DEP_2)
	v_add_f64 v[12:13], v[2:3], v[233:234]
	scratch_load_b128 v[2:5], off, off offset:928
	v_add_f64 v[14:15], v[10:11], v[231:232]
	v_add_f64 v[16:17], v[12:13], v[237:238]
	scratch_load_b128 v[10:13], off, off offset:944
	v_add_f64 v[18:19], v[14:15], v[235:236]
	v_add_f64 v[20:21], v[16:17], v[241:242]
	scratch_load_b128 v[14:17], off, off offset:960
	v_add_f64 v[22:23], v[18:19], v[239:240]
	v_add_f64 v[24:25], v[20:21], v[245:246]
	scratch_load_b128 v[18:21], off, off offset:976
	v_add_f64 v[22:23], v[22:23], v[243:244]
	v_add_f64 v[24:25], v[24:25], v[249:250]
	s_delay_alu instid0(VALU_DEP_2) | instskip(NEXT) | instid1(VALU_DEP_2)
	v_add_f64 v[22:23], v[22:23], v[247:248]
	v_add_f64 v[24:25], v[24:25], v[253:254]
	s_delay_alu instid0(VALU_DEP_2) | instskip(SKIP_3) | instid1(VALU_DEP_2)
	v_add_f64 v[22:23], v[22:23], v[251:252]
	s_waitcnt vmcnt(3) lgkmcnt(0)
	v_mul_f64 v[30:31], v[6:7], v[4:5]
	v_mul_f64 v[4:5], v[8:9], v[4:5]
	v_fma_f64 v[30:31], v[8:9], v[2:3], v[30:31]
	s_delay_alu instid0(VALU_DEP_2)
	v_fma_f64 v[32:33], v[6:7], v[2:3], -v[4:5]
	ds_load_b128 v[2:5], v1 offset:1936
	ds_load_b128 v[6:9], v1 offset:1952
	s_waitcnt vmcnt(2) lgkmcnt(1)
	v_mul_f64 v[34:35], v[2:3], v[12:13]
	v_mul_f64 v[12:13], v[4:5], v[12:13]
	s_waitcnt vmcnt(1) lgkmcnt(0)
	v_mul_f64 v[36:37], v[6:7], v[16:17]
	v_add_f64 v[22:23], v[22:23], v[30:31]
	s_delay_alu instid0(VALU_DEP_4) | instskip(NEXT) | instid1(VALU_DEP_4)
	v_fma_f64 v[34:35], v[4:5], v[10:11], v[34:35]
	v_fma_f64 v[10:11], v[2:3], v[10:11], -v[12:13]
	v_mul_f64 v[12:13], v[8:9], v[16:17]
	v_add_f64 v[16:17], v[24:25], v[32:33]
	ds_load_b128 v[2:5], v1 offset:1968
	v_fma_f64 v[8:9], v[8:9], v[14:15], v[36:37]
	s_waitcnt vmcnt(0) lgkmcnt(0)
	v_mul_f64 v[24:25], v[2:3], v[20:21]
	v_mul_f64 v[20:21], v[4:5], v[20:21]
	v_fma_f64 v[6:7], v[6:7], v[14:15], -v[12:13]
	v_add_f64 v[10:11], v[16:17], v[10:11]
	v_add_f64 v[12:13], v[22:23], v[34:35]
	v_fma_f64 v[4:5], v[4:5], v[18:19], v[24:25]
	v_fma_f64 v[2:3], v[2:3], v[18:19], -v[20:21]
	s_delay_alu instid0(VALU_DEP_4) | instskip(NEXT) | instid1(VALU_DEP_4)
	v_add_f64 v[6:7], v[10:11], v[6:7]
	v_add_f64 v[8:9], v[12:13], v[8:9]
	s_delay_alu instid0(VALU_DEP_2) | instskip(NEXT) | instid1(VALU_DEP_2)
	v_add_f64 v[2:3], v[6:7], v[2:3]
	v_add_f64 v[4:5], v[8:9], v[4:5]
	s_delay_alu instid0(VALU_DEP_2) | instskip(NEXT) | instid1(VALU_DEP_2)
	v_add_f64 v[2:3], v[26:27], -v[2:3]
	v_add_f64 v[4:5], v[28:29], -v[4:5]
	scratch_store_b128 off, v[2:5], off offset:320
	v_cmpx_lt_u32_e32 19, v174
	s_cbranch_execz .LBB125_359
; %bb.358:
	scratch_load_b32 v2, off, off offset:1136 ; 4-byte Folded Reload
	v_mov_b32_e32 v3, v1
	v_mov_b32_e32 v4, v1
	s_waitcnt vmcnt(0)
	scratch_load_b128 v[5:8], v2, off
	v_mov_b32_e32 v2, v1
	scratch_store_b128 off, v[1:4], off offset:304
	s_waitcnt vmcnt(0)
	ds_store_b128 v255, v[5:8]
.LBB125_359:
	s_or_b32 exec_lo, exec_lo, s2
	s_waitcnt lgkmcnt(0)
	s_waitcnt_vscnt null, 0x0
	s_barrier
	buffer_gl0_inv
	s_clause 0x4
	scratch_load_b128 v[2:5], off, off offset:320
	scratch_load_b128 v[6:9], off, off offset:336
	;; [unrolled: 1-line block ×5, first 2 shown]
	ds_load_b128 v[22:25], v1 offset:1312
	ds_load_b128 v[26:29], v1 offset:1328
	scratch_load_b128 v[30:33], off, off offset:304
	s_mov_b32 s2, exec_lo
	s_waitcnt vmcnt(5) lgkmcnt(1)
	v_mul_f64 v[34:35], v[24:25], v[4:5]
	v_mul_f64 v[4:5], v[22:23], v[4:5]
	s_waitcnt vmcnt(4) lgkmcnt(0)
	v_mul_f64 v[36:37], v[26:27], v[8:9]
	v_mul_f64 v[8:9], v[28:29], v[8:9]
	s_delay_alu instid0(VALU_DEP_4) | instskip(NEXT) | instid1(VALU_DEP_4)
	v_fma_f64 v[22:23], v[22:23], v[2:3], -v[34:35]
	v_fma_f64 v[24:25], v[24:25], v[2:3], v[4:5]
	ds_load_b128 v[2:5], v1 offset:1344
	v_fma_f64 v[28:29], v[28:29], v[6:7], v[36:37]
	v_fma_f64 v[26:27], v[26:27], v[6:7], -v[8:9]
	ds_load_b128 v[6:9], v1 offset:1360
	s_waitcnt vmcnt(3) lgkmcnt(1)
	v_mul_f64 v[34:35], v[2:3], v[12:13]
	v_mul_f64 v[12:13], v[4:5], v[12:13]
	s_waitcnt vmcnt(2) lgkmcnt(0)
	v_mul_f64 v[36:37], v[6:7], v[16:17]
	s_delay_alu instid0(VALU_DEP_3) | instskip(NEXT) | instid1(VALU_DEP_3)
	v_fma_f64 v[34:35], v[4:5], v[10:11], v[34:35]
	v_fma_f64 v[38:39], v[2:3], v[10:11], -v[12:13]
	v_mul_f64 v[10:11], v[8:9], v[16:17]
	ds_load_b128 v[2:5], v1 offset:1376
	v_fma_f64 v[16:17], v[8:9], v[14:15], v[36:37]
	v_fma_f64 v[14:15], v[6:7], v[14:15], -v[10:11]
	ds_load_b128 v[6:9], v1 offset:1392
	s_waitcnt vmcnt(1) lgkmcnt(1)
	v_mul_f64 v[10:11], v[2:3], v[20:21]
	v_mul_f64 v[12:13], v[4:5], v[20:21]
	s_delay_alu instid0(VALU_DEP_2) | instskip(NEXT) | instid1(VALU_DEP_2)
	v_fma_f64 v[20:21], v[4:5], v[18:19], v[10:11]
	v_fma_f64 v[18:19], v[2:3], v[18:19], -v[12:13]
	s_clause 0x1
	scratch_load_b128 v[2:5], off, off offset:400
	scratch_load_b128 v[10:13], off, off offset:416
	s_waitcnt vmcnt(1) lgkmcnt(0)
	v_mul_f64 v[36:37], v[6:7], v[4:5]
	v_mul_f64 v[4:5], v[8:9], v[4:5]
	s_delay_alu instid0(VALU_DEP_2) | instskip(NEXT) | instid1(VALU_DEP_2)
	v_fma_f64 v[36:37], v[8:9], v[2:3], v[36:37]
	v_fma_f64 v[40:41], v[6:7], v[2:3], -v[4:5]
	ds_load_b128 v[2:5], v1 offset:1408
	ds_load_b128 v[6:9], v1 offset:1424
	s_waitcnt vmcnt(0) lgkmcnt(1)
	v_mul_f64 v[42:43], v[2:3], v[12:13]
	s_delay_alu instid0(VALU_DEP_1) | instskip(SKIP_1) | instid1(VALU_DEP_1)
	v_fma_f64 v[42:43], v[4:5], v[10:11], v[42:43]
	v_mul_f64 v[4:5], v[4:5], v[12:13]
	v_fma_f64 v[44:45], v[2:3], v[10:11], -v[4:5]
	s_clause 0x1
	scratch_load_b128 v[2:5], off, off offset:432
	scratch_load_b128 v[10:13], off, off offset:448
	s_waitcnt vmcnt(1) lgkmcnt(0)
	v_mul_f64 v[46:47], v[6:7], v[4:5]
	v_mul_f64 v[4:5], v[8:9], v[4:5]
	s_delay_alu instid0(VALU_DEP_2) | instskip(NEXT) | instid1(VALU_DEP_2)
	v_fma_f64 v[46:47], v[8:9], v[2:3], v[46:47]
	v_fma_f64 v[48:49], v[6:7], v[2:3], -v[4:5]
	ds_load_b128 v[2:5], v1 offset:1440
	ds_load_b128 v[6:9], v1 offset:1456
	s_waitcnt vmcnt(0) lgkmcnt(1)
	v_mul_f64 v[52:53], v[2:3], v[12:13]
	s_delay_alu instid0(VALU_DEP_1) | instskip(SKIP_1) | instid1(VALU_DEP_1)
	v_fma_f64 v[52:53], v[4:5], v[10:11], v[52:53]
	v_mul_f64 v[4:5], v[4:5], v[12:13]
	v_fma_f64 v[54:55], v[2:3], v[10:11], -v[4:5]
	s_clause 0x1
	scratch_load_b128 v[2:5], off, off offset:464
	scratch_load_b128 v[10:13], off, off offset:480
	s_waitcnt vmcnt(1) lgkmcnt(0)
	v_mul_f64 v[56:57], v[6:7], v[4:5]
	v_mul_f64 v[4:5], v[8:9], v[4:5]
	s_delay_alu instid0(VALU_DEP_2) | instskip(NEXT) | instid1(VALU_DEP_2)
	v_fma_f64 v[56:57], v[8:9], v[2:3], v[56:57]
	v_fma_f64 v[58:59], v[6:7], v[2:3], -v[4:5]
	ds_load_b128 v[2:5], v1 offset:1472
	ds_load_b128 v[6:9], v1 offset:1488
	s_waitcnt vmcnt(0) lgkmcnt(1)
	v_mul_f64 v[60:61], v[2:3], v[12:13]
	s_delay_alu instid0(VALU_DEP_1) | instskip(SKIP_1) | instid1(VALU_DEP_1)
	v_fma_f64 v[60:61], v[4:5], v[10:11], v[60:61]
	v_mul_f64 v[4:5], v[4:5], v[12:13]
	v_fma_f64 v[62:63], v[2:3], v[10:11], -v[4:5]
	s_clause 0x1
	scratch_load_b128 v[2:5], off, off offset:496
	scratch_load_b128 v[10:13], off, off offset:512
	s_waitcnt vmcnt(1) lgkmcnt(0)
	v_mul_f64 v[64:65], v[6:7], v[4:5]
	v_mul_f64 v[4:5], v[8:9], v[4:5]
	s_delay_alu instid0(VALU_DEP_2) | instskip(NEXT) | instid1(VALU_DEP_2)
	v_fma_f64 v[64:65], v[8:9], v[2:3], v[64:65]
	v_fma_f64 v[66:67], v[6:7], v[2:3], -v[4:5]
	ds_load_b128 v[2:5], v1 offset:1504
	ds_load_b128 v[6:9], v1 offset:1520
	s_waitcnt vmcnt(0) lgkmcnt(1)
	v_mul_f64 v[68:69], v[2:3], v[12:13]
	s_delay_alu instid0(VALU_DEP_1) | instskip(SKIP_1) | instid1(VALU_DEP_1)
	v_fma_f64 v[68:69], v[4:5], v[10:11], v[68:69]
	v_mul_f64 v[4:5], v[4:5], v[12:13]
	v_fma_f64 v[70:71], v[2:3], v[10:11], -v[4:5]
	s_clause 0x1
	scratch_load_b128 v[2:5], off, off offset:528
	scratch_load_b128 v[10:13], off, off offset:544
	s_waitcnt vmcnt(1) lgkmcnt(0)
	v_mul_f64 v[72:73], v[6:7], v[4:5]
	v_mul_f64 v[4:5], v[8:9], v[4:5]
	s_delay_alu instid0(VALU_DEP_2) | instskip(NEXT) | instid1(VALU_DEP_2)
	v_fma_f64 v[72:73], v[8:9], v[2:3], v[72:73]
	v_fma_f64 v[74:75], v[6:7], v[2:3], -v[4:5]
	ds_load_b128 v[2:5], v1 offset:1536
	ds_load_b128 v[6:9], v1 offset:1552
	s_waitcnt vmcnt(0) lgkmcnt(1)
	v_mul_f64 v[76:77], v[2:3], v[12:13]
	s_delay_alu instid0(VALU_DEP_1) | instskip(SKIP_1) | instid1(VALU_DEP_1)
	v_fma_f64 v[76:77], v[4:5], v[10:11], v[76:77]
	v_mul_f64 v[4:5], v[4:5], v[12:13]
	v_fma_f64 v[78:79], v[2:3], v[10:11], -v[4:5]
	s_clause 0x1
	scratch_load_b128 v[2:5], off, off offset:560
	scratch_load_b128 v[10:13], off, off offset:576
	s_waitcnt vmcnt(1) lgkmcnt(0)
	v_mul_f64 v[80:81], v[6:7], v[4:5]
	v_mul_f64 v[4:5], v[8:9], v[4:5]
	s_delay_alu instid0(VALU_DEP_2) | instskip(NEXT) | instid1(VALU_DEP_2)
	v_fma_f64 v[80:81], v[8:9], v[2:3], v[80:81]
	v_fma_f64 v[82:83], v[6:7], v[2:3], -v[4:5]
	ds_load_b128 v[2:5], v1 offset:1568
	ds_load_b128 v[6:9], v1 offset:1584
	s_waitcnt vmcnt(0) lgkmcnt(1)
	v_mul_f64 v[84:85], v[2:3], v[12:13]
	s_delay_alu instid0(VALU_DEP_1) | instskip(SKIP_1) | instid1(VALU_DEP_1)
	v_fma_f64 v[84:85], v[4:5], v[10:11], v[84:85]
	v_mul_f64 v[4:5], v[4:5], v[12:13]
	v_fma_f64 v[86:87], v[2:3], v[10:11], -v[4:5]
	s_clause 0x1
	scratch_load_b128 v[2:5], off, off offset:592
	scratch_load_b128 v[10:13], off, off offset:608
	s_waitcnt vmcnt(1) lgkmcnt(0)
	v_mul_f64 v[90:91], v[6:7], v[4:5]
	v_mul_f64 v[4:5], v[8:9], v[4:5]
	s_delay_alu instid0(VALU_DEP_2) | instskip(NEXT) | instid1(VALU_DEP_2)
	v_fma_f64 v[90:91], v[8:9], v[2:3], v[90:91]
	v_fma_f64 v[175:176], v[6:7], v[2:3], -v[4:5]
	ds_load_b128 v[2:5], v1 offset:1600
	ds_load_b128 v[6:9], v1 offset:1616
	s_waitcnt vmcnt(0) lgkmcnt(1)
	v_mul_f64 v[177:178], v[2:3], v[12:13]
	s_delay_alu instid0(VALU_DEP_1) | instskip(SKIP_1) | instid1(VALU_DEP_1)
	v_fma_f64 v[177:178], v[4:5], v[10:11], v[177:178]
	v_mul_f64 v[4:5], v[4:5], v[12:13]
	v_fma_f64 v[179:180], v[2:3], v[10:11], -v[4:5]
	s_clause 0x1
	scratch_load_b128 v[2:5], off, off offset:624
	scratch_load_b128 v[10:13], off, off offset:640
	s_waitcnt vmcnt(1) lgkmcnt(0)
	v_mul_f64 v[181:182], v[6:7], v[4:5]
	v_mul_f64 v[4:5], v[8:9], v[4:5]
	s_delay_alu instid0(VALU_DEP_2) | instskip(NEXT) | instid1(VALU_DEP_2)
	v_fma_f64 v[181:182], v[8:9], v[2:3], v[181:182]
	v_fma_f64 v[183:184], v[6:7], v[2:3], -v[4:5]
	ds_load_b128 v[2:5], v1 offset:1632
	ds_load_b128 v[6:9], v1 offset:1648
	s_waitcnt vmcnt(0) lgkmcnt(1)
	v_mul_f64 v[185:186], v[2:3], v[12:13]
	s_delay_alu instid0(VALU_DEP_1) | instskip(SKIP_1) | instid1(VALU_DEP_1)
	v_fma_f64 v[185:186], v[4:5], v[10:11], v[185:186]
	v_mul_f64 v[4:5], v[4:5], v[12:13]
	v_fma_f64 v[187:188], v[2:3], v[10:11], -v[4:5]
	s_clause 0x1
	scratch_load_b128 v[2:5], off, off offset:656
	scratch_load_b128 v[10:13], off, off offset:672
	s_waitcnt vmcnt(1) lgkmcnt(0)
	v_mul_f64 v[189:190], v[6:7], v[4:5]
	v_mul_f64 v[4:5], v[8:9], v[4:5]
	s_delay_alu instid0(VALU_DEP_2) | instskip(NEXT) | instid1(VALU_DEP_2)
	v_fma_f64 v[189:190], v[8:9], v[2:3], v[189:190]
	v_fma_f64 v[191:192], v[6:7], v[2:3], -v[4:5]
	ds_load_b128 v[2:5], v1 offset:1664
	ds_load_b128 v[6:9], v1 offset:1680
	s_waitcnt vmcnt(0) lgkmcnt(1)
	v_mul_f64 v[193:194], v[2:3], v[12:13]
	s_delay_alu instid0(VALU_DEP_1) | instskip(SKIP_1) | instid1(VALU_DEP_1)
	v_fma_f64 v[193:194], v[4:5], v[10:11], v[193:194]
	v_mul_f64 v[4:5], v[4:5], v[12:13]
	v_fma_f64 v[195:196], v[2:3], v[10:11], -v[4:5]
	s_clause 0x1
	scratch_load_b128 v[2:5], off, off offset:688
	scratch_load_b128 v[10:13], off, off offset:704
	s_waitcnt vmcnt(1) lgkmcnt(0)
	v_mul_f64 v[197:198], v[6:7], v[4:5]
	v_mul_f64 v[4:5], v[8:9], v[4:5]
	s_delay_alu instid0(VALU_DEP_2) | instskip(NEXT) | instid1(VALU_DEP_2)
	v_fma_f64 v[197:198], v[8:9], v[2:3], v[197:198]
	v_fma_f64 v[199:200], v[6:7], v[2:3], -v[4:5]
	ds_load_b128 v[2:5], v1 offset:1696
	ds_load_b128 v[6:9], v1 offset:1712
	s_waitcnt vmcnt(0) lgkmcnt(1)
	v_mul_f64 v[201:202], v[2:3], v[12:13]
	s_delay_alu instid0(VALU_DEP_1) | instskip(SKIP_1) | instid1(VALU_DEP_1)
	v_fma_f64 v[201:202], v[4:5], v[10:11], v[201:202]
	v_mul_f64 v[4:5], v[4:5], v[12:13]
	v_fma_f64 v[203:204], v[2:3], v[10:11], -v[4:5]
	s_clause 0x1
	scratch_load_b128 v[2:5], off, off offset:720
	scratch_load_b128 v[10:13], off, off offset:736
	s_waitcnt vmcnt(1) lgkmcnt(0)
	v_mul_f64 v[206:207], v[6:7], v[4:5]
	v_mul_f64 v[4:5], v[8:9], v[4:5]
	s_delay_alu instid0(VALU_DEP_2) | instskip(NEXT) | instid1(VALU_DEP_2)
	v_fma_f64 v[206:207], v[8:9], v[2:3], v[206:207]
	v_fma_f64 v[208:209], v[6:7], v[2:3], -v[4:5]
	ds_load_b128 v[2:5], v1 offset:1728
	ds_load_b128 v[6:9], v1 offset:1744
	s_waitcnt vmcnt(0) lgkmcnt(1)
	v_mul_f64 v[211:212], v[2:3], v[12:13]
	s_delay_alu instid0(VALU_DEP_1) | instskip(SKIP_1) | instid1(VALU_DEP_1)
	v_fma_f64 v[211:212], v[4:5], v[10:11], v[211:212]
	v_mul_f64 v[4:5], v[4:5], v[12:13]
	v_fma_f64 v[213:214], v[2:3], v[10:11], -v[4:5]
	s_clause 0x1
	scratch_load_b128 v[2:5], off, off offset:752
	scratch_load_b128 v[10:13], off, off offset:768
	s_waitcnt vmcnt(1) lgkmcnt(0)
	v_mul_f64 v[215:216], v[6:7], v[4:5]
	v_mul_f64 v[4:5], v[8:9], v[4:5]
	s_delay_alu instid0(VALU_DEP_2) | instskip(NEXT) | instid1(VALU_DEP_2)
	v_fma_f64 v[215:216], v[8:9], v[2:3], v[215:216]
	v_fma_f64 v[217:218], v[6:7], v[2:3], -v[4:5]
	ds_load_b128 v[2:5], v1 offset:1760
	ds_load_b128 v[6:9], v1 offset:1776
	s_waitcnt vmcnt(0) lgkmcnt(1)
	v_mul_f64 v[219:220], v[2:3], v[12:13]
	s_delay_alu instid0(VALU_DEP_1) | instskip(SKIP_1) | instid1(VALU_DEP_1)
	v_fma_f64 v[219:220], v[4:5], v[10:11], v[219:220]
	v_mul_f64 v[4:5], v[4:5], v[12:13]
	v_fma_f64 v[221:222], v[2:3], v[10:11], -v[4:5]
	s_clause 0x1
	scratch_load_b128 v[2:5], off, off offset:784
	scratch_load_b128 v[10:13], off, off offset:800
	s_waitcnt vmcnt(1) lgkmcnt(0)
	v_mul_f64 v[223:224], v[6:7], v[4:5]
	v_mul_f64 v[4:5], v[8:9], v[4:5]
	s_delay_alu instid0(VALU_DEP_2) | instskip(NEXT) | instid1(VALU_DEP_2)
	v_fma_f64 v[223:224], v[8:9], v[2:3], v[223:224]
	v_fma_f64 v[225:226], v[6:7], v[2:3], -v[4:5]
	ds_load_b128 v[2:5], v1 offset:1792
	ds_load_b128 v[6:9], v1 offset:1808
	s_waitcnt vmcnt(0) lgkmcnt(1)
	v_mul_f64 v[227:228], v[2:3], v[12:13]
	s_delay_alu instid0(VALU_DEP_1) | instskip(SKIP_1) | instid1(VALU_DEP_1)
	v_fma_f64 v[227:228], v[4:5], v[10:11], v[227:228]
	v_mul_f64 v[4:5], v[4:5], v[12:13]
	v_fma_f64 v[229:230], v[2:3], v[10:11], -v[4:5]
	s_clause 0x1
	scratch_load_b128 v[2:5], off, off offset:816
	scratch_load_b128 v[10:13], off, off offset:832
	s_waitcnt vmcnt(1) lgkmcnt(0)
	v_mul_f64 v[231:232], v[6:7], v[4:5]
	v_mul_f64 v[4:5], v[8:9], v[4:5]
	s_delay_alu instid0(VALU_DEP_2) | instskip(NEXT) | instid1(VALU_DEP_2)
	v_fma_f64 v[231:232], v[8:9], v[2:3], v[231:232]
	v_fma_f64 v[233:234], v[6:7], v[2:3], -v[4:5]
	ds_load_b128 v[2:5], v1 offset:1824
	ds_load_b128 v[6:9], v1 offset:1840
	s_waitcnt vmcnt(0) lgkmcnt(1)
	v_mul_f64 v[235:236], v[2:3], v[12:13]
	s_delay_alu instid0(VALU_DEP_1) | instskip(SKIP_1) | instid1(VALU_DEP_1)
	v_fma_f64 v[235:236], v[4:5], v[10:11], v[235:236]
	v_mul_f64 v[4:5], v[4:5], v[12:13]
	v_fma_f64 v[237:238], v[2:3], v[10:11], -v[4:5]
	s_clause 0x1
	scratch_load_b128 v[2:5], off, off offset:848
	scratch_load_b128 v[10:13], off, off offset:864
	s_waitcnt vmcnt(1) lgkmcnt(0)
	v_mul_f64 v[239:240], v[6:7], v[4:5]
	v_mul_f64 v[4:5], v[8:9], v[4:5]
	s_delay_alu instid0(VALU_DEP_2) | instskip(NEXT) | instid1(VALU_DEP_2)
	v_fma_f64 v[239:240], v[8:9], v[2:3], v[239:240]
	v_fma_f64 v[241:242], v[6:7], v[2:3], -v[4:5]
	ds_load_b128 v[2:5], v1 offset:1856
	ds_load_b128 v[6:9], v1 offset:1872
	s_waitcnt vmcnt(0) lgkmcnt(1)
	v_mul_f64 v[243:244], v[2:3], v[12:13]
	s_delay_alu instid0(VALU_DEP_1) | instskip(SKIP_1) | instid1(VALU_DEP_1)
	v_fma_f64 v[243:244], v[4:5], v[10:11], v[243:244]
	v_mul_f64 v[4:5], v[4:5], v[12:13]
	v_fma_f64 v[245:246], v[2:3], v[10:11], -v[4:5]
	s_clause 0x1
	scratch_load_b128 v[2:5], off, off offset:880
	scratch_load_b128 v[10:13], off, off offset:896
	s_waitcnt vmcnt(1) lgkmcnt(0)
	v_mul_f64 v[247:248], v[6:7], v[4:5]
	v_mul_f64 v[4:5], v[8:9], v[4:5]
	s_delay_alu instid0(VALU_DEP_2) | instskip(NEXT) | instid1(VALU_DEP_2)
	v_fma_f64 v[247:248], v[8:9], v[2:3], v[247:248]
	v_fma_f64 v[249:250], v[6:7], v[2:3], -v[4:5]
	ds_load_b128 v[2:5], v1 offset:1888
	ds_load_b128 v[6:9], v1 offset:1904
	s_waitcnt vmcnt(0) lgkmcnt(1)
	v_mul_f64 v[251:252], v[2:3], v[12:13]
	s_delay_alu instid0(VALU_DEP_1) | instskip(SKIP_1) | instid1(VALU_DEP_1)
	v_fma_f64 v[251:252], v[4:5], v[10:11], v[251:252]
	v_mul_f64 v[4:5], v[4:5], v[12:13]
	v_fma_f64 v[253:254], v[2:3], v[10:11], -v[4:5]
	s_clause 0x1
	scratch_load_b128 v[2:5], off, off offset:912
	scratch_load_b128 v[10:13], off, off offset:928
	s_waitcnt vmcnt(1) lgkmcnt(0)
	v_mul_f64 v[88:89], v[6:7], v[4:5]
	v_mul_f64 v[4:5], v[8:9], v[4:5]
	s_delay_alu instid0(VALU_DEP_2) | instskip(NEXT) | instid1(VALU_DEP_2)
	v_fma_f64 v[88:89], v[8:9], v[2:3], v[88:89]
	v_fma_f64 v[92:93], v[6:7], v[2:3], -v[4:5]
	ds_load_b128 v[2:5], v1 offset:1920
	ds_load_b128 v[6:9], v1 offset:1936
	s_waitcnt vmcnt(0) lgkmcnt(1)
	v_mul_f64 v[94:95], v[2:3], v[12:13]
	s_delay_alu instid0(VALU_DEP_1) | instskip(SKIP_1) | instid1(VALU_DEP_1)
	v_fma_f64 v[94:95], v[4:5], v[10:11], v[94:95]
	v_mul_f64 v[4:5], v[4:5], v[12:13]
	v_fma_f64 v[96:97], v[2:3], v[10:11], -v[4:5]
	v_add_f64 v[2:3], v[22:23], 0
	v_add_f64 v[4:5], v[24:25], 0
	s_delay_alu instid0(VALU_DEP_2) | instskip(NEXT) | instid1(VALU_DEP_2)
	v_add_f64 v[2:3], v[2:3], v[26:27]
	v_add_f64 v[4:5], v[4:5], v[28:29]
	s_delay_alu instid0(VALU_DEP_2) | instskip(NEXT) | instid1(VALU_DEP_2)
	;; [unrolled: 3-line block ×32, first 2 shown]
	v_add_f64 v[2:3], v[2:3], v[237:238]
	v_add_f64 v[10:11], v[4:5], v[235:236]
	s_delay_alu instid0(VALU_DEP_2)
	v_add_f64 v[12:13], v[2:3], v[241:242]
	scratch_load_b128 v[2:5], off, off offset:944
	v_add_f64 v[14:15], v[10:11], v[239:240]
	v_add_f64 v[16:17], v[12:13], v[245:246]
	scratch_load_b128 v[10:13], off, off offset:960
	v_add_f64 v[18:19], v[14:15], v[243:244]
	;; [unrolled: 3-line block ×3, first 2 shown]
	v_add_f64 v[20:21], v[20:21], v[253:254]
	s_delay_alu instid0(VALU_DEP_2) | instskip(NEXT) | instid1(VALU_DEP_2)
	v_add_f64 v[18:19], v[18:19], v[251:252]
	v_add_f64 v[28:29], v[20:21], v[92:93]
	s_delay_alu instid0(VALU_DEP_2)
	v_add_f64 v[34:35], v[18:19], v[88:89]
	ds_load_b128 v[18:21], v1 offset:1952
	ds_load_b128 v[22:25], v1 offset:1968
	s_waitcnt vmcnt(2) lgkmcnt(2)
	v_mul_f64 v[26:27], v[6:7], v[4:5]
	v_mul_f64 v[4:5], v[8:9], v[4:5]
	s_waitcnt vmcnt(1) lgkmcnt(1)
	v_mul_f64 v[36:37], v[18:19], v[12:13]
	s_delay_alu instid0(VALU_DEP_3) | instskip(NEXT) | instid1(VALU_DEP_3)
	v_fma_f64 v[8:9], v[8:9], v[2:3], v[26:27]
	v_fma_f64 v[1:2], v[6:7], v[2:3], -v[4:5]
	v_mul_f64 v[3:4], v[20:21], v[12:13]
	v_add_f64 v[5:6], v[28:29], v[96:97]
	v_add_f64 v[12:13], v[34:35], v[94:95]
	s_waitcnt vmcnt(0) lgkmcnt(0)
	v_mul_f64 v[26:27], v[22:23], v[16:17]
	v_mul_f64 v[16:17], v[24:25], v[16:17]
	v_fma_f64 v[20:21], v[20:21], v[10:11], v[36:37]
	v_fma_f64 v[3:4], v[18:19], v[10:11], -v[3:4]
	v_add_f64 v[1:2], v[5:6], v[1:2]
	v_add_f64 v[5:6], v[12:13], v[8:9]
	v_fma_f64 v[7:8], v[24:25], v[14:15], v[26:27]
	v_fma_f64 v[9:10], v[22:23], v[14:15], -v[16:17]
	s_delay_alu instid0(VALU_DEP_4) | instskip(NEXT) | instid1(VALU_DEP_4)
	v_add_f64 v[1:2], v[1:2], v[3:4]
	v_add_f64 v[3:4], v[5:6], v[20:21]
	s_delay_alu instid0(VALU_DEP_2) | instskip(NEXT) | instid1(VALU_DEP_2)
	v_add_f64 v[1:2], v[1:2], v[9:10]
	v_add_f64 v[3:4], v[3:4], v[7:8]
	s_delay_alu instid0(VALU_DEP_2) | instskip(NEXT) | instid1(VALU_DEP_2)
	v_add_f64 v[1:2], v[30:31], -v[1:2]
	v_add_f64 v[3:4], v[32:33], -v[3:4]
	scratch_store_b128 off, v[1:4], off offset:304
	v_cmpx_lt_u32_e32 18, v174
	s_cbranch_execz .LBB125_361
; %bb.360:
	scratch_load_b32 v1, off, off offset:1140 ; 4-byte Folded Reload
	v_mov_b32_e32 v5, 0
	s_delay_alu instid0(VALU_DEP_1)
	v_mov_b32_e32 v6, v5
	v_mov_b32_e32 v7, v5
	;; [unrolled: 1-line block ×3, first 2 shown]
	s_waitcnt vmcnt(0)
	scratch_load_b128 v[1:4], v1, off
	scratch_store_b128 off, v[5:8], off offset:288
	s_waitcnt vmcnt(0)
	ds_store_b128 v255, v[1:4]
.LBB125_361:
	s_or_b32 exec_lo, exec_lo, s2
	s_waitcnt lgkmcnt(0)
	s_waitcnt_vscnt null, 0x0
	s_barrier
	buffer_gl0_inv
	s_clause 0x4
	scratch_load_b128 v[2:5], off, off offset:304
	scratch_load_b128 v[6:9], off, off offset:320
	;; [unrolled: 1-line block ×5, first 2 shown]
	v_mov_b32_e32 v1, 0
	scratch_load_b128 v[26:29], off, off offset:288
	s_mov_b32 s2, exec_lo
	ds_load_b128 v[22:25], v1 offset:1296
	ds_load_b128 v[30:33], v1 offset:1312
	s_waitcnt vmcnt(5) lgkmcnt(1)
	v_mul_f64 v[34:35], v[24:25], v[4:5]
	v_mul_f64 v[4:5], v[22:23], v[4:5]
	s_waitcnt vmcnt(4) lgkmcnt(0)
	v_mul_f64 v[36:37], v[30:31], v[8:9]
	v_mul_f64 v[8:9], v[32:33], v[8:9]
	s_delay_alu instid0(VALU_DEP_4) | instskip(NEXT) | instid1(VALU_DEP_4)
	v_fma_f64 v[22:23], v[22:23], v[2:3], -v[34:35]
	v_fma_f64 v[24:25], v[24:25], v[2:3], v[4:5]
	ds_load_b128 v[2:5], v1 offset:1328
	v_fma_f64 v[32:33], v[32:33], v[6:7], v[36:37]
	v_fma_f64 v[30:31], v[30:31], v[6:7], -v[8:9]
	ds_load_b128 v[6:9], v1 offset:1344
	s_waitcnt vmcnt(3) lgkmcnt(1)
	v_mul_f64 v[34:35], v[2:3], v[12:13]
	v_mul_f64 v[12:13], v[4:5], v[12:13]
	s_waitcnt vmcnt(2) lgkmcnt(0)
	v_mul_f64 v[36:37], v[6:7], v[16:17]
	s_delay_alu instid0(VALU_DEP_3) | instskip(NEXT) | instid1(VALU_DEP_3)
	v_fma_f64 v[34:35], v[4:5], v[10:11], v[34:35]
	v_fma_f64 v[38:39], v[2:3], v[10:11], -v[12:13]
	v_mul_f64 v[10:11], v[8:9], v[16:17]
	ds_load_b128 v[2:5], v1 offset:1360
	v_fma_f64 v[16:17], v[8:9], v[14:15], v[36:37]
	v_fma_f64 v[14:15], v[6:7], v[14:15], -v[10:11]
	ds_load_b128 v[6:9], v1 offset:1376
	s_waitcnt vmcnt(1) lgkmcnt(1)
	v_mul_f64 v[10:11], v[2:3], v[20:21]
	v_mul_f64 v[12:13], v[4:5], v[20:21]
	s_delay_alu instid0(VALU_DEP_2) | instskip(NEXT) | instid1(VALU_DEP_2)
	v_fma_f64 v[20:21], v[4:5], v[18:19], v[10:11]
	v_fma_f64 v[18:19], v[2:3], v[18:19], -v[12:13]
	s_clause 0x1
	scratch_load_b128 v[2:5], off, off offset:384
	scratch_load_b128 v[10:13], off, off offset:400
	s_waitcnt vmcnt(1) lgkmcnt(0)
	v_mul_f64 v[36:37], v[6:7], v[4:5]
	v_mul_f64 v[4:5], v[8:9], v[4:5]
	s_delay_alu instid0(VALU_DEP_2) | instskip(NEXT) | instid1(VALU_DEP_2)
	v_fma_f64 v[36:37], v[8:9], v[2:3], v[36:37]
	v_fma_f64 v[40:41], v[6:7], v[2:3], -v[4:5]
	ds_load_b128 v[2:5], v1 offset:1392
	ds_load_b128 v[6:9], v1 offset:1408
	s_waitcnt vmcnt(0) lgkmcnt(1)
	v_mul_f64 v[42:43], v[2:3], v[12:13]
	s_delay_alu instid0(VALU_DEP_1) | instskip(SKIP_1) | instid1(VALU_DEP_1)
	v_fma_f64 v[42:43], v[4:5], v[10:11], v[42:43]
	v_mul_f64 v[4:5], v[4:5], v[12:13]
	v_fma_f64 v[44:45], v[2:3], v[10:11], -v[4:5]
	s_clause 0x1
	scratch_load_b128 v[2:5], off, off offset:416
	scratch_load_b128 v[10:13], off, off offset:432
	s_waitcnt vmcnt(1) lgkmcnt(0)
	v_mul_f64 v[46:47], v[6:7], v[4:5]
	v_mul_f64 v[4:5], v[8:9], v[4:5]
	s_delay_alu instid0(VALU_DEP_2) | instskip(NEXT) | instid1(VALU_DEP_2)
	v_fma_f64 v[46:47], v[8:9], v[2:3], v[46:47]
	v_fma_f64 v[48:49], v[6:7], v[2:3], -v[4:5]
	ds_load_b128 v[2:5], v1 offset:1424
	ds_load_b128 v[6:9], v1 offset:1440
	s_waitcnt vmcnt(0) lgkmcnt(1)
	v_mul_f64 v[52:53], v[2:3], v[12:13]
	s_delay_alu instid0(VALU_DEP_1) | instskip(SKIP_1) | instid1(VALU_DEP_1)
	v_fma_f64 v[52:53], v[4:5], v[10:11], v[52:53]
	v_mul_f64 v[4:5], v[4:5], v[12:13]
	;; [unrolled: 17-line block ×17, first 2 shown]
	v_fma_f64 v[253:254], v[2:3], v[10:11], -v[4:5]
	v_add_f64 v[2:3], v[22:23], 0
	v_add_f64 v[4:5], v[24:25], 0
	s_delay_alu instid0(VALU_DEP_2) | instskip(NEXT) | instid1(VALU_DEP_2)
	v_add_f64 v[2:3], v[2:3], v[30:31]
	v_add_f64 v[4:5], v[4:5], v[32:33]
	s_delay_alu instid0(VALU_DEP_2) | instskip(NEXT) | instid1(VALU_DEP_2)
	;; [unrolled: 3-line block ×32, first 2 shown]
	v_add_f64 v[2:3], v[2:3], v[229:230]
	v_add_f64 v[10:11], v[4:5], v[227:228]
	s_delay_alu instid0(VALU_DEP_2)
	v_add_f64 v[12:13], v[2:3], v[233:234]
	scratch_load_b128 v[2:5], off, off offset:928
	v_add_f64 v[14:15], v[10:11], v[231:232]
	v_add_f64 v[16:17], v[12:13], v[237:238]
	scratch_load_b128 v[10:13], off, off offset:944
	v_add_f64 v[18:19], v[14:15], v[235:236]
	;; [unrolled: 3-line block ×4, first 2 shown]
	v_add_f64 v[24:25], v[24:25], v[249:250]
	s_delay_alu instid0(VALU_DEP_2) | instskip(NEXT) | instid1(VALU_DEP_2)
	v_add_f64 v[22:23], v[22:23], v[247:248]
	v_add_f64 v[24:25], v[24:25], v[253:254]
	s_delay_alu instid0(VALU_DEP_2) | instskip(SKIP_3) | instid1(VALU_DEP_2)
	v_add_f64 v[22:23], v[22:23], v[251:252]
	s_waitcnt vmcnt(3) lgkmcnt(0)
	v_mul_f64 v[30:31], v[6:7], v[4:5]
	v_mul_f64 v[4:5], v[8:9], v[4:5]
	v_fma_f64 v[30:31], v[8:9], v[2:3], v[30:31]
	s_delay_alu instid0(VALU_DEP_2)
	v_fma_f64 v[32:33], v[6:7], v[2:3], -v[4:5]
	ds_load_b128 v[2:5], v1 offset:1936
	ds_load_b128 v[6:9], v1 offset:1952
	s_waitcnt vmcnt(2) lgkmcnt(1)
	v_mul_f64 v[34:35], v[2:3], v[12:13]
	v_mul_f64 v[12:13], v[4:5], v[12:13]
	s_waitcnt vmcnt(1) lgkmcnt(0)
	v_mul_f64 v[36:37], v[6:7], v[16:17]
	v_add_f64 v[22:23], v[22:23], v[30:31]
	s_delay_alu instid0(VALU_DEP_4) | instskip(NEXT) | instid1(VALU_DEP_4)
	v_fma_f64 v[34:35], v[4:5], v[10:11], v[34:35]
	v_fma_f64 v[10:11], v[2:3], v[10:11], -v[12:13]
	v_mul_f64 v[12:13], v[8:9], v[16:17]
	v_add_f64 v[16:17], v[24:25], v[32:33]
	ds_load_b128 v[2:5], v1 offset:1968
	v_fma_f64 v[8:9], v[8:9], v[14:15], v[36:37]
	s_waitcnt vmcnt(0) lgkmcnt(0)
	v_mul_f64 v[24:25], v[2:3], v[20:21]
	v_mul_f64 v[20:21], v[4:5], v[20:21]
	v_fma_f64 v[6:7], v[6:7], v[14:15], -v[12:13]
	v_add_f64 v[10:11], v[16:17], v[10:11]
	v_add_f64 v[12:13], v[22:23], v[34:35]
	v_fma_f64 v[4:5], v[4:5], v[18:19], v[24:25]
	v_fma_f64 v[2:3], v[2:3], v[18:19], -v[20:21]
	s_delay_alu instid0(VALU_DEP_4) | instskip(NEXT) | instid1(VALU_DEP_4)
	v_add_f64 v[6:7], v[10:11], v[6:7]
	v_add_f64 v[8:9], v[12:13], v[8:9]
	s_delay_alu instid0(VALU_DEP_2) | instskip(NEXT) | instid1(VALU_DEP_2)
	v_add_f64 v[2:3], v[6:7], v[2:3]
	v_add_f64 v[4:5], v[8:9], v[4:5]
	s_delay_alu instid0(VALU_DEP_2) | instskip(NEXT) | instid1(VALU_DEP_2)
	v_add_f64 v[2:3], v[26:27], -v[2:3]
	v_add_f64 v[4:5], v[28:29], -v[4:5]
	scratch_store_b128 off, v[2:5], off offset:288
	v_cmpx_lt_u32_e32 17, v174
	s_cbranch_execz .LBB125_363
; %bb.362:
	scratch_load_b32 v2, off, off offset:1148 ; 4-byte Folded Reload
	v_mov_b32_e32 v3, v1
	v_mov_b32_e32 v4, v1
	s_waitcnt vmcnt(0)
	scratch_load_b128 v[5:8], v2, off
	v_mov_b32_e32 v2, v1
	scratch_store_b128 off, v[1:4], off offset:272
	s_waitcnt vmcnt(0)
	ds_store_b128 v255, v[5:8]
.LBB125_363:
	s_or_b32 exec_lo, exec_lo, s2
	s_waitcnt lgkmcnt(0)
	s_waitcnt_vscnt null, 0x0
	s_barrier
	buffer_gl0_inv
	s_clause 0x4
	scratch_load_b128 v[2:5], off, off offset:288
	scratch_load_b128 v[6:9], off, off offset:304
	scratch_load_b128 v[10:13], off, off offset:320
	scratch_load_b128 v[14:17], off, off offset:336
	scratch_load_b128 v[18:21], off, off offset:352
	ds_load_b128 v[22:25], v1 offset:1280
	ds_load_b128 v[26:29], v1 offset:1296
	scratch_load_b128 v[30:33], off, off offset:272
	s_mov_b32 s2, exec_lo
	s_waitcnt vmcnt(5) lgkmcnt(1)
	v_mul_f64 v[34:35], v[24:25], v[4:5]
	v_mul_f64 v[4:5], v[22:23], v[4:5]
	s_waitcnt vmcnt(4) lgkmcnt(0)
	v_mul_f64 v[36:37], v[26:27], v[8:9]
	v_mul_f64 v[8:9], v[28:29], v[8:9]
	s_delay_alu instid0(VALU_DEP_4) | instskip(NEXT) | instid1(VALU_DEP_4)
	v_fma_f64 v[22:23], v[22:23], v[2:3], -v[34:35]
	v_fma_f64 v[24:25], v[24:25], v[2:3], v[4:5]
	ds_load_b128 v[2:5], v1 offset:1312
	v_fma_f64 v[28:29], v[28:29], v[6:7], v[36:37]
	v_fma_f64 v[26:27], v[26:27], v[6:7], -v[8:9]
	ds_load_b128 v[6:9], v1 offset:1328
	s_waitcnt vmcnt(3) lgkmcnt(1)
	v_mul_f64 v[34:35], v[2:3], v[12:13]
	v_mul_f64 v[12:13], v[4:5], v[12:13]
	s_waitcnt vmcnt(2) lgkmcnt(0)
	v_mul_f64 v[36:37], v[6:7], v[16:17]
	s_delay_alu instid0(VALU_DEP_3) | instskip(NEXT) | instid1(VALU_DEP_3)
	v_fma_f64 v[34:35], v[4:5], v[10:11], v[34:35]
	v_fma_f64 v[38:39], v[2:3], v[10:11], -v[12:13]
	v_mul_f64 v[10:11], v[8:9], v[16:17]
	ds_load_b128 v[2:5], v1 offset:1344
	v_fma_f64 v[16:17], v[8:9], v[14:15], v[36:37]
	v_fma_f64 v[14:15], v[6:7], v[14:15], -v[10:11]
	ds_load_b128 v[6:9], v1 offset:1360
	s_waitcnt vmcnt(1) lgkmcnt(1)
	v_mul_f64 v[10:11], v[2:3], v[20:21]
	v_mul_f64 v[12:13], v[4:5], v[20:21]
	s_delay_alu instid0(VALU_DEP_2) | instskip(NEXT) | instid1(VALU_DEP_2)
	v_fma_f64 v[20:21], v[4:5], v[18:19], v[10:11]
	v_fma_f64 v[18:19], v[2:3], v[18:19], -v[12:13]
	s_clause 0x1
	scratch_load_b128 v[2:5], off, off offset:368
	scratch_load_b128 v[10:13], off, off offset:384
	s_waitcnt vmcnt(1) lgkmcnt(0)
	v_mul_f64 v[36:37], v[6:7], v[4:5]
	v_mul_f64 v[4:5], v[8:9], v[4:5]
	s_delay_alu instid0(VALU_DEP_2) | instskip(NEXT) | instid1(VALU_DEP_2)
	v_fma_f64 v[36:37], v[8:9], v[2:3], v[36:37]
	v_fma_f64 v[40:41], v[6:7], v[2:3], -v[4:5]
	ds_load_b128 v[2:5], v1 offset:1376
	ds_load_b128 v[6:9], v1 offset:1392
	s_waitcnt vmcnt(0) lgkmcnt(1)
	v_mul_f64 v[42:43], v[2:3], v[12:13]
	s_delay_alu instid0(VALU_DEP_1) | instskip(SKIP_1) | instid1(VALU_DEP_1)
	v_fma_f64 v[42:43], v[4:5], v[10:11], v[42:43]
	v_mul_f64 v[4:5], v[4:5], v[12:13]
	v_fma_f64 v[44:45], v[2:3], v[10:11], -v[4:5]
	s_clause 0x1
	scratch_load_b128 v[2:5], off, off offset:400
	scratch_load_b128 v[10:13], off, off offset:416
	s_waitcnt vmcnt(1) lgkmcnt(0)
	v_mul_f64 v[46:47], v[6:7], v[4:5]
	v_mul_f64 v[4:5], v[8:9], v[4:5]
	s_delay_alu instid0(VALU_DEP_2) | instskip(NEXT) | instid1(VALU_DEP_2)
	v_fma_f64 v[46:47], v[8:9], v[2:3], v[46:47]
	v_fma_f64 v[48:49], v[6:7], v[2:3], -v[4:5]
	ds_load_b128 v[2:5], v1 offset:1408
	ds_load_b128 v[6:9], v1 offset:1424
	s_waitcnt vmcnt(0) lgkmcnt(1)
	v_mul_f64 v[52:53], v[2:3], v[12:13]
	s_delay_alu instid0(VALU_DEP_1) | instskip(SKIP_1) | instid1(VALU_DEP_1)
	v_fma_f64 v[52:53], v[4:5], v[10:11], v[52:53]
	v_mul_f64 v[4:5], v[4:5], v[12:13]
	v_fma_f64 v[54:55], v[2:3], v[10:11], -v[4:5]
	s_clause 0x1
	scratch_load_b128 v[2:5], off, off offset:432
	scratch_load_b128 v[10:13], off, off offset:448
	s_waitcnt vmcnt(1) lgkmcnt(0)
	v_mul_f64 v[56:57], v[6:7], v[4:5]
	v_mul_f64 v[4:5], v[8:9], v[4:5]
	s_delay_alu instid0(VALU_DEP_2) | instskip(NEXT) | instid1(VALU_DEP_2)
	v_fma_f64 v[56:57], v[8:9], v[2:3], v[56:57]
	v_fma_f64 v[58:59], v[6:7], v[2:3], -v[4:5]
	ds_load_b128 v[2:5], v1 offset:1440
	ds_load_b128 v[6:9], v1 offset:1456
	s_waitcnt vmcnt(0) lgkmcnt(1)
	v_mul_f64 v[60:61], v[2:3], v[12:13]
	s_delay_alu instid0(VALU_DEP_1) | instskip(SKIP_1) | instid1(VALU_DEP_1)
	v_fma_f64 v[60:61], v[4:5], v[10:11], v[60:61]
	v_mul_f64 v[4:5], v[4:5], v[12:13]
	v_fma_f64 v[62:63], v[2:3], v[10:11], -v[4:5]
	s_clause 0x1
	scratch_load_b128 v[2:5], off, off offset:464
	scratch_load_b128 v[10:13], off, off offset:480
	s_waitcnt vmcnt(1) lgkmcnt(0)
	v_mul_f64 v[64:65], v[6:7], v[4:5]
	v_mul_f64 v[4:5], v[8:9], v[4:5]
	s_delay_alu instid0(VALU_DEP_2) | instskip(NEXT) | instid1(VALU_DEP_2)
	v_fma_f64 v[64:65], v[8:9], v[2:3], v[64:65]
	v_fma_f64 v[66:67], v[6:7], v[2:3], -v[4:5]
	ds_load_b128 v[2:5], v1 offset:1472
	ds_load_b128 v[6:9], v1 offset:1488
	s_waitcnt vmcnt(0) lgkmcnt(1)
	v_mul_f64 v[68:69], v[2:3], v[12:13]
	s_delay_alu instid0(VALU_DEP_1) | instskip(SKIP_1) | instid1(VALU_DEP_1)
	v_fma_f64 v[68:69], v[4:5], v[10:11], v[68:69]
	v_mul_f64 v[4:5], v[4:5], v[12:13]
	v_fma_f64 v[70:71], v[2:3], v[10:11], -v[4:5]
	s_clause 0x1
	scratch_load_b128 v[2:5], off, off offset:496
	scratch_load_b128 v[10:13], off, off offset:512
	s_waitcnt vmcnt(1) lgkmcnt(0)
	v_mul_f64 v[72:73], v[6:7], v[4:5]
	v_mul_f64 v[4:5], v[8:9], v[4:5]
	s_delay_alu instid0(VALU_DEP_2) | instskip(NEXT) | instid1(VALU_DEP_2)
	v_fma_f64 v[72:73], v[8:9], v[2:3], v[72:73]
	v_fma_f64 v[74:75], v[6:7], v[2:3], -v[4:5]
	ds_load_b128 v[2:5], v1 offset:1504
	ds_load_b128 v[6:9], v1 offset:1520
	s_waitcnt vmcnt(0) lgkmcnt(1)
	v_mul_f64 v[76:77], v[2:3], v[12:13]
	s_delay_alu instid0(VALU_DEP_1) | instskip(SKIP_1) | instid1(VALU_DEP_1)
	v_fma_f64 v[76:77], v[4:5], v[10:11], v[76:77]
	v_mul_f64 v[4:5], v[4:5], v[12:13]
	v_fma_f64 v[78:79], v[2:3], v[10:11], -v[4:5]
	s_clause 0x1
	scratch_load_b128 v[2:5], off, off offset:528
	scratch_load_b128 v[10:13], off, off offset:544
	s_waitcnt vmcnt(1) lgkmcnt(0)
	v_mul_f64 v[80:81], v[6:7], v[4:5]
	v_mul_f64 v[4:5], v[8:9], v[4:5]
	s_delay_alu instid0(VALU_DEP_2) | instskip(NEXT) | instid1(VALU_DEP_2)
	v_fma_f64 v[80:81], v[8:9], v[2:3], v[80:81]
	v_fma_f64 v[82:83], v[6:7], v[2:3], -v[4:5]
	ds_load_b128 v[2:5], v1 offset:1536
	ds_load_b128 v[6:9], v1 offset:1552
	s_waitcnt vmcnt(0) lgkmcnt(1)
	v_mul_f64 v[84:85], v[2:3], v[12:13]
	s_delay_alu instid0(VALU_DEP_1) | instskip(SKIP_1) | instid1(VALU_DEP_1)
	v_fma_f64 v[84:85], v[4:5], v[10:11], v[84:85]
	v_mul_f64 v[4:5], v[4:5], v[12:13]
	v_fma_f64 v[86:87], v[2:3], v[10:11], -v[4:5]
	s_clause 0x1
	scratch_load_b128 v[2:5], off, off offset:560
	scratch_load_b128 v[10:13], off, off offset:576
	s_waitcnt vmcnt(1) lgkmcnt(0)
	v_mul_f64 v[88:89], v[6:7], v[4:5]
	v_mul_f64 v[4:5], v[8:9], v[4:5]
	s_delay_alu instid0(VALU_DEP_2) | instskip(NEXT) | instid1(VALU_DEP_2)
	v_fma_f64 v[88:89], v[8:9], v[2:3], v[88:89]
	v_fma_f64 v[90:91], v[6:7], v[2:3], -v[4:5]
	ds_load_b128 v[2:5], v1 offset:1568
	ds_load_b128 v[6:9], v1 offset:1584
	s_waitcnt vmcnt(0) lgkmcnt(1)
	v_mul_f64 v[92:93], v[2:3], v[12:13]
	s_delay_alu instid0(VALU_DEP_1) | instskip(SKIP_1) | instid1(VALU_DEP_1)
	v_fma_f64 v[92:93], v[4:5], v[10:11], v[92:93]
	v_mul_f64 v[4:5], v[4:5], v[12:13]
	v_fma_f64 v[94:95], v[2:3], v[10:11], -v[4:5]
	s_clause 0x1
	scratch_load_b128 v[2:5], off, off offset:592
	scratch_load_b128 v[10:13], off, off offset:608
	s_waitcnt vmcnt(1) lgkmcnt(0)
	v_mul_f64 v[96:97], v[6:7], v[4:5]
	v_mul_f64 v[4:5], v[8:9], v[4:5]
	s_delay_alu instid0(VALU_DEP_2) | instskip(NEXT) | instid1(VALU_DEP_2)
	v_fma_f64 v[96:97], v[8:9], v[2:3], v[96:97]
	v_fma_f64 v[175:176], v[6:7], v[2:3], -v[4:5]
	ds_load_b128 v[2:5], v1 offset:1600
	ds_load_b128 v[6:9], v1 offset:1616
	s_waitcnt vmcnt(0) lgkmcnt(1)
	v_mul_f64 v[177:178], v[2:3], v[12:13]
	s_delay_alu instid0(VALU_DEP_1) | instskip(SKIP_1) | instid1(VALU_DEP_1)
	v_fma_f64 v[177:178], v[4:5], v[10:11], v[177:178]
	v_mul_f64 v[4:5], v[4:5], v[12:13]
	v_fma_f64 v[179:180], v[2:3], v[10:11], -v[4:5]
	s_clause 0x1
	scratch_load_b128 v[2:5], off, off offset:624
	scratch_load_b128 v[10:13], off, off offset:640
	s_waitcnt vmcnt(1) lgkmcnt(0)
	v_mul_f64 v[181:182], v[6:7], v[4:5]
	v_mul_f64 v[4:5], v[8:9], v[4:5]
	s_delay_alu instid0(VALU_DEP_2) | instskip(NEXT) | instid1(VALU_DEP_2)
	v_fma_f64 v[181:182], v[8:9], v[2:3], v[181:182]
	v_fma_f64 v[183:184], v[6:7], v[2:3], -v[4:5]
	ds_load_b128 v[2:5], v1 offset:1632
	ds_load_b128 v[6:9], v1 offset:1648
	s_waitcnt vmcnt(0) lgkmcnt(1)
	v_mul_f64 v[185:186], v[2:3], v[12:13]
	s_delay_alu instid0(VALU_DEP_1) | instskip(SKIP_1) | instid1(VALU_DEP_1)
	v_fma_f64 v[185:186], v[4:5], v[10:11], v[185:186]
	v_mul_f64 v[4:5], v[4:5], v[12:13]
	v_fma_f64 v[187:188], v[2:3], v[10:11], -v[4:5]
	s_clause 0x1
	scratch_load_b128 v[2:5], off, off offset:656
	scratch_load_b128 v[10:13], off, off offset:672
	s_waitcnt vmcnt(1) lgkmcnt(0)
	v_mul_f64 v[189:190], v[6:7], v[4:5]
	v_mul_f64 v[4:5], v[8:9], v[4:5]
	s_delay_alu instid0(VALU_DEP_2) | instskip(NEXT) | instid1(VALU_DEP_2)
	v_fma_f64 v[189:190], v[8:9], v[2:3], v[189:190]
	v_fma_f64 v[191:192], v[6:7], v[2:3], -v[4:5]
	ds_load_b128 v[2:5], v1 offset:1664
	ds_load_b128 v[6:9], v1 offset:1680
	s_waitcnt vmcnt(0) lgkmcnt(1)
	v_mul_f64 v[193:194], v[2:3], v[12:13]
	s_delay_alu instid0(VALU_DEP_1) | instskip(SKIP_1) | instid1(VALU_DEP_1)
	v_fma_f64 v[193:194], v[4:5], v[10:11], v[193:194]
	v_mul_f64 v[4:5], v[4:5], v[12:13]
	v_fma_f64 v[195:196], v[2:3], v[10:11], -v[4:5]
	s_clause 0x1
	scratch_load_b128 v[2:5], off, off offset:688
	scratch_load_b128 v[10:13], off, off offset:704
	s_waitcnt vmcnt(1) lgkmcnt(0)
	v_mul_f64 v[197:198], v[6:7], v[4:5]
	v_mul_f64 v[4:5], v[8:9], v[4:5]
	s_delay_alu instid0(VALU_DEP_2) | instskip(NEXT) | instid1(VALU_DEP_2)
	v_fma_f64 v[197:198], v[8:9], v[2:3], v[197:198]
	v_fma_f64 v[199:200], v[6:7], v[2:3], -v[4:5]
	ds_load_b128 v[2:5], v1 offset:1696
	ds_load_b128 v[6:9], v1 offset:1712
	s_waitcnt vmcnt(0) lgkmcnt(1)
	v_mul_f64 v[201:202], v[2:3], v[12:13]
	s_delay_alu instid0(VALU_DEP_1) | instskip(SKIP_1) | instid1(VALU_DEP_1)
	v_fma_f64 v[201:202], v[4:5], v[10:11], v[201:202]
	v_mul_f64 v[4:5], v[4:5], v[12:13]
	v_fma_f64 v[203:204], v[2:3], v[10:11], -v[4:5]
	s_clause 0x1
	scratch_load_b128 v[2:5], off, off offset:720
	scratch_load_b128 v[10:13], off, off offset:736
	s_waitcnt vmcnt(1) lgkmcnt(0)
	v_mul_f64 v[206:207], v[6:7], v[4:5]
	v_mul_f64 v[4:5], v[8:9], v[4:5]
	s_delay_alu instid0(VALU_DEP_2) | instskip(NEXT) | instid1(VALU_DEP_2)
	v_fma_f64 v[206:207], v[8:9], v[2:3], v[206:207]
	v_fma_f64 v[208:209], v[6:7], v[2:3], -v[4:5]
	ds_load_b128 v[2:5], v1 offset:1728
	ds_load_b128 v[6:9], v1 offset:1744
	s_waitcnt vmcnt(0) lgkmcnt(1)
	v_mul_f64 v[211:212], v[2:3], v[12:13]
	s_delay_alu instid0(VALU_DEP_1) | instskip(SKIP_1) | instid1(VALU_DEP_1)
	v_fma_f64 v[211:212], v[4:5], v[10:11], v[211:212]
	v_mul_f64 v[4:5], v[4:5], v[12:13]
	v_fma_f64 v[213:214], v[2:3], v[10:11], -v[4:5]
	s_clause 0x1
	scratch_load_b128 v[2:5], off, off offset:752
	scratch_load_b128 v[10:13], off, off offset:768
	s_waitcnt vmcnt(1) lgkmcnt(0)
	v_mul_f64 v[215:216], v[6:7], v[4:5]
	v_mul_f64 v[4:5], v[8:9], v[4:5]
	s_delay_alu instid0(VALU_DEP_2) | instskip(NEXT) | instid1(VALU_DEP_2)
	v_fma_f64 v[215:216], v[8:9], v[2:3], v[215:216]
	v_fma_f64 v[217:218], v[6:7], v[2:3], -v[4:5]
	ds_load_b128 v[2:5], v1 offset:1760
	ds_load_b128 v[6:9], v1 offset:1776
	s_waitcnt vmcnt(0) lgkmcnt(1)
	v_mul_f64 v[219:220], v[2:3], v[12:13]
	s_delay_alu instid0(VALU_DEP_1) | instskip(SKIP_1) | instid1(VALU_DEP_1)
	v_fma_f64 v[219:220], v[4:5], v[10:11], v[219:220]
	v_mul_f64 v[4:5], v[4:5], v[12:13]
	v_fma_f64 v[221:222], v[2:3], v[10:11], -v[4:5]
	s_clause 0x1
	scratch_load_b128 v[2:5], off, off offset:784
	scratch_load_b128 v[10:13], off, off offset:800
	s_waitcnt vmcnt(1) lgkmcnt(0)
	v_mul_f64 v[223:224], v[6:7], v[4:5]
	v_mul_f64 v[4:5], v[8:9], v[4:5]
	s_delay_alu instid0(VALU_DEP_2) | instskip(NEXT) | instid1(VALU_DEP_2)
	v_fma_f64 v[223:224], v[8:9], v[2:3], v[223:224]
	v_fma_f64 v[225:226], v[6:7], v[2:3], -v[4:5]
	ds_load_b128 v[2:5], v1 offset:1792
	ds_load_b128 v[6:9], v1 offset:1808
	s_waitcnt vmcnt(0) lgkmcnt(1)
	v_mul_f64 v[227:228], v[2:3], v[12:13]
	s_delay_alu instid0(VALU_DEP_1) | instskip(SKIP_1) | instid1(VALU_DEP_1)
	v_fma_f64 v[227:228], v[4:5], v[10:11], v[227:228]
	v_mul_f64 v[4:5], v[4:5], v[12:13]
	v_fma_f64 v[229:230], v[2:3], v[10:11], -v[4:5]
	s_clause 0x1
	scratch_load_b128 v[2:5], off, off offset:816
	scratch_load_b128 v[10:13], off, off offset:832
	s_waitcnt vmcnt(1) lgkmcnt(0)
	v_mul_f64 v[231:232], v[6:7], v[4:5]
	v_mul_f64 v[4:5], v[8:9], v[4:5]
	s_delay_alu instid0(VALU_DEP_2) | instskip(NEXT) | instid1(VALU_DEP_2)
	v_fma_f64 v[231:232], v[8:9], v[2:3], v[231:232]
	v_fma_f64 v[233:234], v[6:7], v[2:3], -v[4:5]
	ds_load_b128 v[2:5], v1 offset:1824
	ds_load_b128 v[6:9], v1 offset:1840
	s_waitcnt vmcnt(0) lgkmcnt(1)
	v_mul_f64 v[235:236], v[2:3], v[12:13]
	s_delay_alu instid0(VALU_DEP_1) | instskip(SKIP_1) | instid1(VALU_DEP_1)
	v_fma_f64 v[235:236], v[4:5], v[10:11], v[235:236]
	v_mul_f64 v[4:5], v[4:5], v[12:13]
	v_fma_f64 v[237:238], v[2:3], v[10:11], -v[4:5]
	s_clause 0x1
	scratch_load_b128 v[2:5], off, off offset:848
	scratch_load_b128 v[10:13], off, off offset:864
	s_waitcnt vmcnt(1) lgkmcnt(0)
	v_mul_f64 v[239:240], v[6:7], v[4:5]
	v_mul_f64 v[4:5], v[8:9], v[4:5]
	s_delay_alu instid0(VALU_DEP_2) | instskip(NEXT) | instid1(VALU_DEP_2)
	v_fma_f64 v[239:240], v[8:9], v[2:3], v[239:240]
	v_fma_f64 v[241:242], v[6:7], v[2:3], -v[4:5]
	ds_load_b128 v[2:5], v1 offset:1856
	ds_load_b128 v[6:9], v1 offset:1872
	s_waitcnt vmcnt(0) lgkmcnt(1)
	v_mul_f64 v[243:244], v[2:3], v[12:13]
	s_delay_alu instid0(VALU_DEP_1) | instskip(SKIP_1) | instid1(VALU_DEP_1)
	v_fma_f64 v[243:244], v[4:5], v[10:11], v[243:244]
	v_mul_f64 v[4:5], v[4:5], v[12:13]
	v_fma_f64 v[245:246], v[2:3], v[10:11], -v[4:5]
	s_clause 0x1
	scratch_load_b128 v[2:5], off, off offset:880
	scratch_load_b128 v[10:13], off, off offset:896
	s_waitcnt vmcnt(1) lgkmcnt(0)
	v_mul_f64 v[247:248], v[6:7], v[4:5]
	v_mul_f64 v[4:5], v[8:9], v[4:5]
	s_delay_alu instid0(VALU_DEP_2) | instskip(NEXT) | instid1(VALU_DEP_2)
	v_fma_f64 v[247:248], v[8:9], v[2:3], v[247:248]
	v_fma_f64 v[249:250], v[6:7], v[2:3], -v[4:5]
	ds_load_b128 v[2:5], v1 offset:1888
	ds_load_b128 v[6:9], v1 offset:1904
	s_waitcnt vmcnt(0) lgkmcnt(1)
	v_mul_f64 v[251:252], v[2:3], v[12:13]
	s_delay_alu instid0(VALU_DEP_1) | instskip(SKIP_1) | instid1(VALU_DEP_1)
	v_fma_f64 v[251:252], v[4:5], v[10:11], v[251:252]
	v_mul_f64 v[4:5], v[4:5], v[12:13]
	v_fma_f64 v[253:254], v[2:3], v[10:11], -v[4:5]
	s_clause 0x1
	scratch_load_b128 v[2:5], off, off offset:912
	scratch_load_b128 v[10:13], off, off offset:928
	s_waitcnt vmcnt(1) lgkmcnt(0)
	v_mul_f64 v[98:99], v[6:7], v[4:5]
	v_mul_f64 v[4:5], v[8:9], v[4:5]
	s_delay_alu instid0(VALU_DEP_2) | instskip(NEXT) | instid1(VALU_DEP_2)
	v_fma_f64 v[98:99], v[8:9], v[2:3], v[98:99]
	v_fma_f64 v[100:101], v[6:7], v[2:3], -v[4:5]
	ds_load_b128 v[2:5], v1 offset:1920
	ds_load_b128 v[6:9], v1 offset:1936
	s_waitcnt vmcnt(0) lgkmcnt(1)
	v_mul_f64 v[102:103], v[2:3], v[12:13]
	s_delay_alu instid0(VALU_DEP_1) | instskip(SKIP_1) | instid1(VALU_DEP_1)
	v_fma_f64 v[102:103], v[4:5], v[10:11], v[102:103]
	v_mul_f64 v[4:5], v[4:5], v[12:13]
	v_fma_f64 v[104:105], v[2:3], v[10:11], -v[4:5]
	v_add_f64 v[2:3], v[22:23], 0
	v_add_f64 v[4:5], v[24:25], 0
	s_delay_alu instid0(VALU_DEP_2) | instskip(NEXT) | instid1(VALU_DEP_2)
	v_add_f64 v[2:3], v[2:3], v[26:27]
	v_add_f64 v[4:5], v[4:5], v[28:29]
	s_delay_alu instid0(VALU_DEP_2) | instskip(NEXT) | instid1(VALU_DEP_2)
	;; [unrolled: 3-line block ×34, first 2 shown]
	v_add_f64 v[2:3], v[2:3], v[237:238]
	v_add_f64 v[10:11], v[4:5], v[235:236]
	s_delay_alu instid0(VALU_DEP_2)
	v_add_f64 v[12:13], v[2:3], v[241:242]
	scratch_load_b128 v[2:5], off, off offset:944
	v_add_f64 v[14:15], v[10:11], v[239:240]
	v_add_f64 v[16:17], v[12:13], v[245:246]
	scratch_load_b128 v[10:13], off, off offset:960
	v_add_f64 v[18:19], v[14:15], v[243:244]
	v_add_f64 v[20:21], v[16:17], v[249:250]
	scratch_load_b128 v[14:17], off, off offset:976
	v_add_f64 v[18:19], v[18:19], v[247:248]
	v_add_f64 v[20:21], v[20:21], v[253:254]
	s_delay_alu instid0(VALU_DEP_2) | instskip(NEXT) | instid1(VALU_DEP_2)
	v_add_f64 v[18:19], v[18:19], v[251:252]
	v_add_f64 v[28:29], v[20:21], v[100:101]
	s_delay_alu instid0(VALU_DEP_2)
	v_add_f64 v[34:35], v[18:19], v[98:99]
	ds_load_b128 v[18:21], v1 offset:1952
	ds_load_b128 v[22:25], v1 offset:1968
	s_waitcnt vmcnt(2) lgkmcnt(2)
	v_mul_f64 v[26:27], v[6:7], v[4:5]
	v_mul_f64 v[4:5], v[8:9], v[4:5]
	s_waitcnt vmcnt(1) lgkmcnt(1)
	v_mul_f64 v[36:37], v[18:19], v[12:13]
	s_delay_alu instid0(VALU_DEP_3) | instskip(NEXT) | instid1(VALU_DEP_3)
	v_fma_f64 v[8:9], v[8:9], v[2:3], v[26:27]
	v_fma_f64 v[1:2], v[6:7], v[2:3], -v[4:5]
	v_mul_f64 v[3:4], v[20:21], v[12:13]
	v_add_f64 v[5:6], v[28:29], v[104:105]
	v_add_f64 v[12:13], v[34:35], v[102:103]
	s_waitcnt vmcnt(0) lgkmcnt(0)
	v_mul_f64 v[26:27], v[22:23], v[16:17]
	v_mul_f64 v[16:17], v[24:25], v[16:17]
	v_fma_f64 v[20:21], v[20:21], v[10:11], v[36:37]
	v_fma_f64 v[3:4], v[18:19], v[10:11], -v[3:4]
	v_add_f64 v[1:2], v[5:6], v[1:2]
	v_add_f64 v[5:6], v[12:13], v[8:9]
	v_fma_f64 v[7:8], v[24:25], v[14:15], v[26:27]
	v_fma_f64 v[9:10], v[22:23], v[14:15], -v[16:17]
	s_delay_alu instid0(VALU_DEP_4) | instskip(NEXT) | instid1(VALU_DEP_4)
	v_add_f64 v[1:2], v[1:2], v[3:4]
	v_add_f64 v[3:4], v[5:6], v[20:21]
	s_delay_alu instid0(VALU_DEP_2) | instskip(NEXT) | instid1(VALU_DEP_2)
	v_add_f64 v[1:2], v[1:2], v[9:10]
	v_add_f64 v[3:4], v[3:4], v[7:8]
	s_delay_alu instid0(VALU_DEP_2) | instskip(NEXT) | instid1(VALU_DEP_2)
	v_add_f64 v[1:2], v[30:31], -v[1:2]
	v_add_f64 v[3:4], v[32:33], -v[3:4]
	scratch_store_b128 off, v[1:4], off offset:272
	v_cmpx_lt_u32_e32 16, v174
	s_cbranch_execz .LBB125_365
; %bb.364:
	scratch_load_b32 v1, off, off offset:1156 ; 4-byte Folded Reload
	v_mov_b32_e32 v5, 0
	s_delay_alu instid0(VALU_DEP_1)
	v_mov_b32_e32 v6, v5
	v_mov_b32_e32 v7, v5
	v_mov_b32_e32 v8, v5
	s_waitcnt vmcnt(0)
	scratch_load_b128 v[1:4], v1, off
	scratch_store_b128 off, v[5:8], off offset:256
	s_waitcnt vmcnt(0)
	ds_store_b128 v255, v[1:4]
.LBB125_365:
	s_or_b32 exec_lo, exec_lo, s2
	s_waitcnt lgkmcnt(0)
	s_waitcnt_vscnt null, 0x0
	s_barrier
	buffer_gl0_inv
	s_clause 0x4
	scratch_load_b128 v[2:5], off, off offset:272
	scratch_load_b128 v[6:9], off, off offset:288
	;; [unrolled: 1-line block ×5, first 2 shown]
	v_mov_b32_e32 v1, 0
	scratch_load_b128 v[26:29], off, off offset:256
	s_mov_b32 s2, exec_lo
	ds_load_b128 v[22:25], v1 offset:1264
	ds_load_b128 v[30:33], v1 offset:1280
	s_waitcnt vmcnt(5) lgkmcnt(1)
	v_mul_f64 v[34:35], v[24:25], v[4:5]
	v_mul_f64 v[4:5], v[22:23], v[4:5]
	s_waitcnt vmcnt(4) lgkmcnt(0)
	v_mul_f64 v[36:37], v[30:31], v[8:9]
	v_mul_f64 v[8:9], v[32:33], v[8:9]
	s_delay_alu instid0(VALU_DEP_4) | instskip(NEXT) | instid1(VALU_DEP_4)
	v_fma_f64 v[22:23], v[22:23], v[2:3], -v[34:35]
	v_fma_f64 v[24:25], v[24:25], v[2:3], v[4:5]
	ds_load_b128 v[2:5], v1 offset:1296
	v_fma_f64 v[32:33], v[32:33], v[6:7], v[36:37]
	v_fma_f64 v[30:31], v[30:31], v[6:7], -v[8:9]
	ds_load_b128 v[6:9], v1 offset:1312
	s_waitcnt vmcnt(3) lgkmcnt(1)
	v_mul_f64 v[34:35], v[2:3], v[12:13]
	v_mul_f64 v[12:13], v[4:5], v[12:13]
	s_waitcnt vmcnt(2) lgkmcnt(0)
	v_mul_f64 v[36:37], v[6:7], v[16:17]
	s_delay_alu instid0(VALU_DEP_3) | instskip(NEXT) | instid1(VALU_DEP_3)
	v_fma_f64 v[34:35], v[4:5], v[10:11], v[34:35]
	v_fma_f64 v[38:39], v[2:3], v[10:11], -v[12:13]
	v_mul_f64 v[10:11], v[8:9], v[16:17]
	ds_load_b128 v[2:5], v1 offset:1328
	v_fma_f64 v[16:17], v[8:9], v[14:15], v[36:37]
	v_fma_f64 v[14:15], v[6:7], v[14:15], -v[10:11]
	ds_load_b128 v[6:9], v1 offset:1344
	s_waitcnt vmcnt(1) lgkmcnt(1)
	v_mul_f64 v[10:11], v[2:3], v[20:21]
	v_mul_f64 v[12:13], v[4:5], v[20:21]
	s_delay_alu instid0(VALU_DEP_2) | instskip(NEXT) | instid1(VALU_DEP_2)
	v_fma_f64 v[20:21], v[4:5], v[18:19], v[10:11]
	v_fma_f64 v[18:19], v[2:3], v[18:19], -v[12:13]
	s_clause 0x1
	scratch_load_b128 v[2:5], off, off offset:352
	scratch_load_b128 v[10:13], off, off offset:368
	s_waitcnt vmcnt(1) lgkmcnt(0)
	v_mul_f64 v[36:37], v[6:7], v[4:5]
	v_mul_f64 v[4:5], v[8:9], v[4:5]
	s_delay_alu instid0(VALU_DEP_2) | instskip(NEXT) | instid1(VALU_DEP_2)
	v_fma_f64 v[36:37], v[8:9], v[2:3], v[36:37]
	v_fma_f64 v[40:41], v[6:7], v[2:3], -v[4:5]
	ds_load_b128 v[2:5], v1 offset:1360
	ds_load_b128 v[6:9], v1 offset:1376
	s_waitcnt vmcnt(0) lgkmcnt(1)
	v_mul_f64 v[42:43], v[2:3], v[12:13]
	s_delay_alu instid0(VALU_DEP_1) | instskip(SKIP_1) | instid1(VALU_DEP_1)
	v_fma_f64 v[42:43], v[4:5], v[10:11], v[42:43]
	v_mul_f64 v[4:5], v[4:5], v[12:13]
	v_fma_f64 v[44:45], v[2:3], v[10:11], -v[4:5]
	s_clause 0x1
	scratch_load_b128 v[2:5], off, off offset:384
	scratch_load_b128 v[10:13], off, off offset:400
	s_waitcnt vmcnt(1) lgkmcnt(0)
	v_mul_f64 v[46:47], v[6:7], v[4:5]
	v_mul_f64 v[4:5], v[8:9], v[4:5]
	s_delay_alu instid0(VALU_DEP_2) | instskip(NEXT) | instid1(VALU_DEP_2)
	v_fma_f64 v[46:47], v[8:9], v[2:3], v[46:47]
	v_fma_f64 v[48:49], v[6:7], v[2:3], -v[4:5]
	ds_load_b128 v[2:5], v1 offset:1392
	ds_load_b128 v[6:9], v1 offset:1408
	s_waitcnt vmcnt(0) lgkmcnt(1)
	v_mul_f64 v[52:53], v[2:3], v[12:13]
	s_delay_alu instid0(VALU_DEP_1) | instskip(SKIP_1) | instid1(VALU_DEP_1)
	v_fma_f64 v[52:53], v[4:5], v[10:11], v[52:53]
	v_mul_f64 v[4:5], v[4:5], v[12:13]
	;; [unrolled: 17-line block ×18, first 2 shown]
	v_fma_f64 v[253:254], v[2:3], v[10:11], -v[4:5]
	v_add_f64 v[2:3], v[22:23], 0
	v_add_f64 v[4:5], v[24:25], 0
	s_delay_alu instid0(VALU_DEP_2) | instskip(NEXT) | instid1(VALU_DEP_2)
	v_add_f64 v[2:3], v[2:3], v[30:31]
	v_add_f64 v[4:5], v[4:5], v[32:33]
	s_delay_alu instid0(VALU_DEP_2) | instskip(NEXT) | instid1(VALU_DEP_2)
	;; [unrolled: 3-line block ×34, first 2 shown]
	v_add_f64 v[2:3], v[2:3], v[229:230]
	v_add_f64 v[10:11], v[4:5], v[227:228]
	s_delay_alu instid0(VALU_DEP_2)
	v_add_f64 v[12:13], v[2:3], v[233:234]
	scratch_load_b128 v[2:5], off, off offset:928
	v_add_f64 v[14:15], v[10:11], v[231:232]
	v_add_f64 v[16:17], v[12:13], v[237:238]
	scratch_load_b128 v[10:13], off, off offset:944
	v_add_f64 v[18:19], v[14:15], v[235:236]
	;; [unrolled: 3-line block ×4, first 2 shown]
	v_add_f64 v[24:25], v[24:25], v[249:250]
	s_delay_alu instid0(VALU_DEP_2) | instskip(NEXT) | instid1(VALU_DEP_2)
	v_add_f64 v[22:23], v[22:23], v[247:248]
	v_add_f64 v[24:25], v[24:25], v[253:254]
	s_delay_alu instid0(VALU_DEP_2) | instskip(SKIP_3) | instid1(VALU_DEP_2)
	v_add_f64 v[22:23], v[22:23], v[251:252]
	s_waitcnt vmcnt(3) lgkmcnt(0)
	v_mul_f64 v[30:31], v[6:7], v[4:5]
	v_mul_f64 v[4:5], v[8:9], v[4:5]
	v_fma_f64 v[30:31], v[8:9], v[2:3], v[30:31]
	s_delay_alu instid0(VALU_DEP_2)
	v_fma_f64 v[32:33], v[6:7], v[2:3], -v[4:5]
	ds_load_b128 v[2:5], v1 offset:1936
	ds_load_b128 v[6:9], v1 offset:1952
	s_waitcnt vmcnt(2) lgkmcnt(1)
	v_mul_f64 v[34:35], v[2:3], v[12:13]
	v_mul_f64 v[12:13], v[4:5], v[12:13]
	s_waitcnt vmcnt(1) lgkmcnt(0)
	v_mul_f64 v[36:37], v[6:7], v[16:17]
	v_add_f64 v[22:23], v[22:23], v[30:31]
	s_delay_alu instid0(VALU_DEP_4) | instskip(NEXT) | instid1(VALU_DEP_4)
	v_fma_f64 v[34:35], v[4:5], v[10:11], v[34:35]
	v_fma_f64 v[10:11], v[2:3], v[10:11], -v[12:13]
	v_mul_f64 v[12:13], v[8:9], v[16:17]
	v_add_f64 v[16:17], v[24:25], v[32:33]
	ds_load_b128 v[2:5], v1 offset:1968
	v_fma_f64 v[8:9], v[8:9], v[14:15], v[36:37]
	s_waitcnt vmcnt(0) lgkmcnt(0)
	v_mul_f64 v[24:25], v[2:3], v[20:21]
	v_mul_f64 v[20:21], v[4:5], v[20:21]
	v_fma_f64 v[6:7], v[6:7], v[14:15], -v[12:13]
	v_add_f64 v[10:11], v[16:17], v[10:11]
	v_add_f64 v[12:13], v[22:23], v[34:35]
	v_fma_f64 v[4:5], v[4:5], v[18:19], v[24:25]
	v_fma_f64 v[2:3], v[2:3], v[18:19], -v[20:21]
	s_delay_alu instid0(VALU_DEP_4) | instskip(NEXT) | instid1(VALU_DEP_4)
	v_add_f64 v[6:7], v[10:11], v[6:7]
	v_add_f64 v[8:9], v[12:13], v[8:9]
	s_delay_alu instid0(VALU_DEP_2) | instskip(NEXT) | instid1(VALU_DEP_2)
	v_add_f64 v[2:3], v[6:7], v[2:3]
	v_add_f64 v[4:5], v[8:9], v[4:5]
	s_delay_alu instid0(VALU_DEP_2) | instskip(NEXT) | instid1(VALU_DEP_2)
	v_add_f64 v[2:3], v[26:27], -v[2:3]
	v_add_f64 v[4:5], v[28:29], -v[4:5]
	scratch_store_b128 off, v[2:5], off offset:256
	v_cmpx_lt_u32_e32 15, v174
	s_cbranch_execz .LBB125_367
; %bb.366:
	scratch_load_b32 v2, off, off offset:1160 ; 4-byte Folded Reload
	v_mov_b32_e32 v3, v1
	v_mov_b32_e32 v4, v1
	s_waitcnt vmcnt(0)
	scratch_load_b128 v[5:8], v2, off
	v_mov_b32_e32 v2, v1
	scratch_store_b128 off, v[1:4], off offset:240
	s_waitcnt vmcnt(0)
	ds_store_b128 v255, v[5:8]
.LBB125_367:
	s_or_b32 exec_lo, exec_lo, s2
	s_waitcnt lgkmcnt(0)
	s_waitcnt_vscnt null, 0x0
	s_barrier
	buffer_gl0_inv
	s_clause 0x4
	scratch_load_b128 v[2:5], off, off offset:256
	scratch_load_b128 v[6:9], off, off offset:272
	;; [unrolled: 1-line block ×5, first 2 shown]
	ds_load_b128 v[22:25], v1 offset:1248
	ds_load_b128 v[26:29], v1 offset:1264
	scratch_load_b128 v[30:33], off, off offset:240
	s_mov_b32 s2, exec_lo
	s_waitcnt vmcnt(5) lgkmcnt(1)
	v_mul_f64 v[34:35], v[24:25], v[4:5]
	v_mul_f64 v[4:5], v[22:23], v[4:5]
	s_waitcnt vmcnt(4) lgkmcnt(0)
	v_mul_f64 v[36:37], v[26:27], v[8:9]
	v_mul_f64 v[8:9], v[28:29], v[8:9]
	s_delay_alu instid0(VALU_DEP_4) | instskip(NEXT) | instid1(VALU_DEP_4)
	v_fma_f64 v[22:23], v[22:23], v[2:3], -v[34:35]
	v_fma_f64 v[24:25], v[24:25], v[2:3], v[4:5]
	ds_load_b128 v[2:5], v1 offset:1280
	v_fma_f64 v[28:29], v[28:29], v[6:7], v[36:37]
	v_fma_f64 v[26:27], v[26:27], v[6:7], -v[8:9]
	ds_load_b128 v[6:9], v1 offset:1296
	s_waitcnt vmcnt(3) lgkmcnt(1)
	v_mul_f64 v[34:35], v[2:3], v[12:13]
	v_mul_f64 v[12:13], v[4:5], v[12:13]
	s_waitcnt vmcnt(2) lgkmcnt(0)
	v_mul_f64 v[36:37], v[6:7], v[16:17]
	s_delay_alu instid0(VALU_DEP_3) | instskip(NEXT) | instid1(VALU_DEP_3)
	v_fma_f64 v[34:35], v[4:5], v[10:11], v[34:35]
	v_fma_f64 v[38:39], v[2:3], v[10:11], -v[12:13]
	v_mul_f64 v[10:11], v[8:9], v[16:17]
	ds_load_b128 v[2:5], v1 offset:1312
	v_fma_f64 v[16:17], v[8:9], v[14:15], v[36:37]
	v_fma_f64 v[14:15], v[6:7], v[14:15], -v[10:11]
	ds_load_b128 v[6:9], v1 offset:1328
	s_waitcnt vmcnt(1) lgkmcnt(1)
	v_mul_f64 v[10:11], v[2:3], v[20:21]
	v_mul_f64 v[12:13], v[4:5], v[20:21]
	s_delay_alu instid0(VALU_DEP_2) | instskip(NEXT) | instid1(VALU_DEP_2)
	v_fma_f64 v[20:21], v[4:5], v[18:19], v[10:11]
	v_fma_f64 v[18:19], v[2:3], v[18:19], -v[12:13]
	s_clause 0x1
	scratch_load_b128 v[2:5], off, off offset:336
	scratch_load_b128 v[10:13], off, off offset:352
	s_waitcnt vmcnt(1) lgkmcnt(0)
	v_mul_f64 v[36:37], v[6:7], v[4:5]
	v_mul_f64 v[4:5], v[8:9], v[4:5]
	s_delay_alu instid0(VALU_DEP_2) | instskip(NEXT) | instid1(VALU_DEP_2)
	v_fma_f64 v[36:37], v[8:9], v[2:3], v[36:37]
	v_fma_f64 v[40:41], v[6:7], v[2:3], -v[4:5]
	ds_load_b128 v[2:5], v1 offset:1344
	ds_load_b128 v[6:9], v1 offset:1360
	s_waitcnt vmcnt(0) lgkmcnt(1)
	v_mul_f64 v[42:43], v[2:3], v[12:13]
	s_delay_alu instid0(VALU_DEP_1) | instskip(SKIP_1) | instid1(VALU_DEP_1)
	v_fma_f64 v[42:43], v[4:5], v[10:11], v[42:43]
	v_mul_f64 v[4:5], v[4:5], v[12:13]
	v_fma_f64 v[44:45], v[2:3], v[10:11], -v[4:5]
	s_clause 0x1
	scratch_load_b128 v[2:5], off, off offset:368
	scratch_load_b128 v[10:13], off, off offset:384
	s_waitcnt vmcnt(1) lgkmcnt(0)
	v_mul_f64 v[46:47], v[6:7], v[4:5]
	v_mul_f64 v[4:5], v[8:9], v[4:5]
	s_delay_alu instid0(VALU_DEP_2) | instskip(NEXT) | instid1(VALU_DEP_2)
	v_fma_f64 v[46:47], v[8:9], v[2:3], v[46:47]
	v_fma_f64 v[48:49], v[6:7], v[2:3], -v[4:5]
	ds_load_b128 v[2:5], v1 offset:1376
	ds_load_b128 v[6:9], v1 offset:1392
	s_waitcnt vmcnt(0) lgkmcnt(1)
	v_mul_f64 v[52:53], v[2:3], v[12:13]
	s_delay_alu instid0(VALU_DEP_1) | instskip(SKIP_1) | instid1(VALU_DEP_1)
	v_fma_f64 v[52:53], v[4:5], v[10:11], v[52:53]
	v_mul_f64 v[4:5], v[4:5], v[12:13]
	;; [unrolled: 17-line block ×19, first 2 shown]
	v_fma_f64 v[112:113], v[2:3], v[10:11], -v[4:5]
	v_add_f64 v[2:3], v[22:23], 0
	v_add_f64 v[4:5], v[24:25], 0
	s_delay_alu instid0(VALU_DEP_2) | instskip(NEXT) | instid1(VALU_DEP_2)
	v_add_f64 v[2:3], v[2:3], v[26:27]
	v_add_f64 v[4:5], v[4:5], v[28:29]
	s_delay_alu instid0(VALU_DEP_2) | instskip(NEXT) | instid1(VALU_DEP_2)
	;; [unrolled: 3-line block ×36, first 2 shown]
	v_add_f64 v[2:3], v[2:3], v[237:238]
	v_add_f64 v[10:11], v[4:5], v[235:236]
	s_delay_alu instid0(VALU_DEP_2)
	v_add_f64 v[12:13], v[2:3], v[241:242]
	scratch_load_b128 v[2:5], off, off offset:944
	v_add_f64 v[14:15], v[10:11], v[239:240]
	v_add_f64 v[16:17], v[12:13], v[245:246]
	scratch_load_b128 v[10:13], off, off offset:960
	v_add_f64 v[18:19], v[14:15], v[243:244]
	;; [unrolled: 3-line block ×3, first 2 shown]
	v_add_f64 v[20:21], v[20:21], v[253:254]
	s_delay_alu instid0(VALU_DEP_2) | instskip(NEXT) | instid1(VALU_DEP_2)
	v_add_f64 v[18:19], v[18:19], v[251:252]
	v_add_f64 v[28:29], v[20:21], v[108:109]
	s_delay_alu instid0(VALU_DEP_2)
	v_add_f64 v[34:35], v[18:19], v[106:107]
	ds_load_b128 v[18:21], v1 offset:1952
	ds_load_b128 v[22:25], v1 offset:1968
	s_waitcnt vmcnt(2) lgkmcnt(2)
	v_mul_f64 v[26:27], v[6:7], v[4:5]
	v_mul_f64 v[4:5], v[8:9], v[4:5]
	s_waitcnt vmcnt(1) lgkmcnt(1)
	v_mul_f64 v[36:37], v[18:19], v[12:13]
	s_delay_alu instid0(VALU_DEP_3) | instskip(NEXT) | instid1(VALU_DEP_3)
	v_fma_f64 v[8:9], v[8:9], v[2:3], v[26:27]
	v_fma_f64 v[1:2], v[6:7], v[2:3], -v[4:5]
	v_mul_f64 v[3:4], v[20:21], v[12:13]
	v_add_f64 v[5:6], v[28:29], v[112:113]
	v_add_f64 v[12:13], v[34:35], v[110:111]
	s_waitcnt vmcnt(0) lgkmcnt(0)
	v_mul_f64 v[26:27], v[22:23], v[16:17]
	v_mul_f64 v[16:17], v[24:25], v[16:17]
	v_fma_f64 v[20:21], v[20:21], v[10:11], v[36:37]
	v_fma_f64 v[3:4], v[18:19], v[10:11], -v[3:4]
	v_add_f64 v[1:2], v[5:6], v[1:2]
	v_add_f64 v[5:6], v[12:13], v[8:9]
	v_fma_f64 v[7:8], v[24:25], v[14:15], v[26:27]
	v_fma_f64 v[9:10], v[22:23], v[14:15], -v[16:17]
	s_delay_alu instid0(VALU_DEP_4) | instskip(NEXT) | instid1(VALU_DEP_4)
	v_add_f64 v[1:2], v[1:2], v[3:4]
	v_add_f64 v[3:4], v[5:6], v[20:21]
	s_delay_alu instid0(VALU_DEP_2) | instskip(NEXT) | instid1(VALU_DEP_2)
	v_add_f64 v[1:2], v[1:2], v[9:10]
	v_add_f64 v[3:4], v[3:4], v[7:8]
	s_delay_alu instid0(VALU_DEP_2) | instskip(NEXT) | instid1(VALU_DEP_2)
	v_add_f64 v[1:2], v[30:31], -v[1:2]
	v_add_f64 v[3:4], v[32:33], -v[3:4]
	scratch_store_b128 off, v[1:4], off offset:240
	v_cmpx_lt_u32_e32 14, v174
	s_cbranch_execz .LBB125_369
; %bb.368:
	scratch_load_b32 v1, off, off offset:1164 ; 4-byte Folded Reload
	v_mov_b32_e32 v5, 0
	s_delay_alu instid0(VALU_DEP_1)
	v_mov_b32_e32 v6, v5
	v_mov_b32_e32 v7, v5
	;; [unrolled: 1-line block ×3, first 2 shown]
	s_waitcnt vmcnt(0)
	scratch_load_b128 v[1:4], v1, off
	scratch_store_b128 off, v[5:8], off offset:224
	s_waitcnt vmcnt(0)
	ds_store_b128 v255, v[1:4]
.LBB125_369:
	s_or_b32 exec_lo, exec_lo, s2
	s_waitcnt lgkmcnt(0)
	s_waitcnt_vscnt null, 0x0
	s_barrier
	buffer_gl0_inv
	s_clause 0x4
	scratch_load_b128 v[2:5], off, off offset:240
	scratch_load_b128 v[6:9], off, off offset:256
	scratch_load_b128 v[10:13], off, off offset:272
	scratch_load_b128 v[14:17], off, off offset:288
	scratch_load_b128 v[18:21], off, off offset:304
	v_mov_b32_e32 v1, 0
	scratch_load_b128 v[26:29], off, off offset:224
	s_mov_b32 s2, exec_lo
	ds_load_b128 v[22:25], v1 offset:1232
	ds_load_b128 v[30:33], v1 offset:1248
	s_waitcnt vmcnt(5) lgkmcnt(1)
	v_mul_f64 v[34:35], v[24:25], v[4:5]
	v_mul_f64 v[4:5], v[22:23], v[4:5]
	s_waitcnt vmcnt(4) lgkmcnt(0)
	v_mul_f64 v[36:37], v[30:31], v[8:9]
	v_mul_f64 v[8:9], v[32:33], v[8:9]
	s_delay_alu instid0(VALU_DEP_4) | instskip(NEXT) | instid1(VALU_DEP_4)
	v_fma_f64 v[22:23], v[22:23], v[2:3], -v[34:35]
	v_fma_f64 v[24:25], v[24:25], v[2:3], v[4:5]
	ds_load_b128 v[2:5], v1 offset:1264
	v_fma_f64 v[32:33], v[32:33], v[6:7], v[36:37]
	v_fma_f64 v[30:31], v[30:31], v[6:7], -v[8:9]
	ds_load_b128 v[6:9], v1 offset:1280
	s_waitcnt vmcnt(3) lgkmcnt(1)
	v_mul_f64 v[34:35], v[2:3], v[12:13]
	v_mul_f64 v[12:13], v[4:5], v[12:13]
	s_waitcnt vmcnt(2) lgkmcnt(0)
	v_mul_f64 v[36:37], v[6:7], v[16:17]
	s_delay_alu instid0(VALU_DEP_3) | instskip(NEXT) | instid1(VALU_DEP_3)
	v_fma_f64 v[34:35], v[4:5], v[10:11], v[34:35]
	v_fma_f64 v[38:39], v[2:3], v[10:11], -v[12:13]
	v_mul_f64 v[10:11], v[8:9], v[16:17]
	ds_load_b128 v[2:5], v1 offset:1296
	v_fma_f64 v[16:17], v[8:9], v[14:15], v[36:37]
	v_fma_f64 v[14:15], v[6:7], v[14:15], -v[10:11]
	ds_load_b128 v[6:9], v1 offset:1312
	s_waitcnt vmcnt(1) lgkmcnt(1)
	v_mul_f64 v[10:11], v[2:3], v[20:21]
	v_mul_f64 v[12:13], v[4:5], v[20:21]
	s_delay_alu instid0(VALU_DEP_2) | instskip(NEXT) | instid1(VALU_DEP_2)
	v_fma_f64 v[20:21], v[4:5], v[18:19], v[10:11]
	v_fma_f64 v[18:19], v[2:3], v[18:19], -v[12:13]
	s_clause 0x1
	scratch_load_b128 v[2:5], off, off offset:320
	scratch_load_b128 v[10:13], off, off offset:336
	s_waitcnt vmcnt(1) lgkmcnt(0)
	v_mul_f64 v[36:37], v[6:7], v[4:5]
	v_mul_f64 v[4:5], v[8:9], v[4:5]
	s_delay_alu instid0(VALU_DEP_2) | instskip(NEXT) | instid1(VALU_DEP_2)
	v_fma_f64 v[36:37], v[8:9], v[2:3], v[36:37]
	v_fma_f64 v[40:41], v[6:7], v[2:3], -v[4:5]
	ds_load_b128 v[2:5], v1 offset:1328
	ds_load_b128 v[6:9], v1 offset:1344
	s_waitcnt vmcnt(0) lgkmcnt(1)
	v_mul_f64 v[42:43], v[2:3], v[12:13]
	s_delay_alu instid0(VALU_DEP_1) | instskip(SKIP_1) | instid1(VALU_DEP_1)
	v_fma_f64 v[42:43], v[4:5], v[10:11], v[42:43]
	v_mul_f64 v[4:5], v[4:5], v[12:13]
	v_fma_f64 v[44:45], v[2:3], v[10:11], -v[4:5]
	s_clause 0x1
	scratch_load_b128 v[2:5], off, off offset:352
	scratch_load_b128 v[10:13], off, off offset:368
	s_waitcnt vmcnt(1) lgkmcnt(0)
	v_mul_f64 v[46:47], v[6:7], v[4:5]
	v_mul_f64 v[4:5], v[8:9], v[4:5]
	s_delay_alu instid0(VALU_DEP_2) | instskip(NEXT) | instid1(VALU_DEP_2)
	v_fma_f64 v[46:47], v[8:9], v[2:3], v[46:47]
	v_fma_f64 v[48:49], v[6:7], v[2:3], -v[4:5]
	ds_load_b128 v[2:5], v1 offset:1360
	ds_load_b128 v[6:9], v1 offset:1376
	s_waitcnt vmcnt(0) lgkmcnt(1)
	v_mul_f64 v[52:53], v[2:3], v[12:13]
	s_delay_alu instid0(VALU_DEP_1) | instskip(SKIP_1) | instid1(VALU_DEP_1)
	v_fma_f64 v[52:53], v[4:5], v[10:11], v[52:53]
	v_mul_f64 v[4:5], v[4:5], v[12:13]
	;; [unrolled: 17-line block ×19, first 2 shown]
	v_fma_f64 v[253:254], v[2:3], v[10:11], -v[4:5]
	v_add_f64 v[2:3], v[22:23], 0
	v_add_f64 v[4:5], v[24:25], 0
	s_delay_alu instid0(VALU_DEP_2) | instskip(NEXT) | instid1(VALU_DEP_2)
	v_add_f64 v[2:3], v[2:3], v[30:31]
	v_add_f64 v[4:5], v[4:5], v[32:33]
	s_delay_alu instid0(VALU_DEP_2) | instskip(NEXT) | instid1(VALU_DEP_2)
	v_add_f64 v[2:3], v[2:3], v[38:39]
	v_add_f64 v[4:5], v[4:5], v[34:35]
	s_delay_alu instid0(VALU_DEP_2) | instskip(NEXT) | instid1(VALU_DEP_2)
	v_add_f64 v[2:3], v[2:3], v[14:15]
	v_add_f64 v[4:5], v[4:5], v[16:17]
	s_delay_alu instid0(VALU_DEP_2) | instskip(NEXT) | instid1(VALU_DEP_2)
	v_add_f64 v[2:3], v[2:3], v[18:19]
	v_add_f64 v[4:5], v[4:5], v[20:21]
	s_delay_alu instid0(VALU_DEP_2) | instskip(NEXT) | instid1(VALU_DEP_2)
	v_add_f64 v[2:3], v[2:3], v[40:41]
	v_add_f64 v[4:5], v[4:5], v[36:37]
	s_delay_alu instid0(VALU_DEP_2) | instskip(NEXT) | instid1(VALU_DEP_2)
	v_add_f64 v[2:3], v[2:3], v[44:45]
	v_add_f64 v[4:5], v[4:5], v[42:43]
	s_delay_alu instid0(VALU_DEP_2) | instskip(NEXT) | instid1(VALU_DEP_2)
	v_add_f64 v[2:3], v[2:3], v[48:49]
	v_add_f64 v[4:5], v[4:5], v[46:47]
	s_delay_alu instid0(VALU_DEP_2) | instskip(NEXT) | instid1(VALU_DEP_2)
	v_add_f64 v[2:3], v[2:3], v[54:55]
	v_add_f64 v[4:5], v[4:5], v[52:53]
	s_delay_alu instid0(VALU_DEP_2) | instskip(NEXT) | instid1(VALU_DEP_2)
	v_add_f64 v[2:3], v[2:3], v[58:59]
	v_add_f64 v[4:5], v[4:5], v[56:57]
	s_delay_alu instid0(VALU_DEP_2) | instskip(NEXT) | instid1(VALU_DEP_2)
	v_add_f64 v[2:3], v[2:3], v[62:63]
	v_add_f64 v[4:5], v[4:5], v[60:61]
	s_delay_alu instid0(VALU_DEP_2) | instskip(NEXT) | instid1(VALU_DEP_2)
	v_add_f64 v[2:3], v[2:3], v[66:67]
	v_add_f64 v[4:5], v[4:5], v[64:65]
	s_delay_alu instid0(VALU_DEP_2) | instskip(NEXT) | instid1(VALU_DEP_2)
	v_add_f64 v[2:3], v[2:3], v[70:71]
	v_add_f64 v[4:5], v[4:5], v[68:69]
	s_delay_alu instid0(VALU_DEP_2) | instskip(NEXT) | instid1(VALU_DEP_2)
	v_add_f64 v[2:3], v[2:3], v[74:75]
	v_add_f64 v[4:5], v[4:5], v[72:73]
	s_delay_alu instid0(VALU_DEP_2) | instskip(NEXT) | instid1(VALU_DEP_2)
	v_add_f64 v[2:3], v[2:3], v[78:79]
	v_add_f64 v[4:5], v[4:5], v[76:77]
	s_delay_alu instid0(VALU_DEP_2) | instskip(NEXT) | instid1(VALU_DEP_2)
	v_add_f64 v[2:3], v[2:3], v[82:83]
	v_add_f64 v[4:5], v[4:5], v[80:81]
	s_delay_alu instid0(VALU_DEP_2) | instskip(NEXT) | instid1(VALU_DEP_2)
	v_add_f64 v[2:3], v[2:3], v[86:87]
	v_add_f64 v[4:5], v[4:5], v[84:85]
	s_delay_alu instid0(VALU_DEP_2) | instskip(NEXT) | instid1(VALU_DEP_2)
	v_add_f64 v[2:3], v[2:3], v[90:91]
	v_add_f64 v[4:5], v[4:5], v[88:89]
	s_delay_alu instid0(VALU_DEP_2) | instskip(NEXT) | instid1(VALU_DEP_2)
	v_add_f64 v[2:3], v[2:3], v[94:95]
	v_add_f64 v[4:5], v[4:5], v[92:93]
	s_delay_alu instid0(VALU_DEP_2) | instskip(NEXT) | instid1(VALU_DEP_2)
	v_add_f64 v[2:3], v[2:3], v[98:99]
	v_add_f64 v[4:5], v[4:5], v[96:97]
	s_delay_alu instid0(VALU_DEP_2) | instskip(NEXT) | instid1(VALU_DEP_2)
	v_add_f64 v[2:3], v[2:3], v[102:103]
	v_add_f64 v[4:5], v[4:5], v[100:101]
	s_delay_alu instid0(VALU_DEP_2) | instskip(NEXT) | instid1(VALU_DEP_2)
	v_add_f64 v[2:3], v[2:3], v[106:107]
	v_add_f64 v[4:5], v[4:5], v[104:105]
	s_delay_alu instid0(VALU_DEP_2) | instskip(NEXT) | instid1(VALU_DEP_2)
	v_add_f64 v[2:3], v[2:3], v[110:111]
	v_add_f64 v[4:5], v[4:5], v[108:109]
	s_delay_alu instid0(VALU_DEP_2) | instskip(NEXT) | instid1(VALU_DEP_2)
	v_add_f64 v[2:3], v[2:3], v[175:176]
	v_add_f64 v[4:5], v[4:5], v[112:113]
	s_delay_alu instid0(VALU_DEP_2) | instskip(NEXT) | instid1(VALU_DEP_2)
	v_add_f64 v[2:3], v[2:3], v[179:180]
	v_add_f64 v[4:5], v[4:5], v[177:178]
	s_delay_alu instid0(VALU_DEP_2) | instskip(NEXT) | instid1(VALU_DEP_2)
	v_add_f64 v[2:3], v[2:3], v[183:184]
	v_add_f64 v[4:5], v[4:5], v[181:182]
	s_delay_alu instid0(VALU_DEP_2) | instskip(NEXT) | instid1(VALU_DEP_2)
	v_add_f64 v[2:3], v[2:3], v[187:188]
	v_add_f64 v[4:5], v[4:5], v[185:186]
	s_delay_alu instid0(VALU_DEP_2) | instskip(NEXT) | instid1(VALU_DEP_2)
	v_add_f64 v[2:3], v[2:3], v[191:192]
	v_add_f64 v[4:5], v[4:5], v[189:190]
	s_delay_alu instid0(VALU_DEP_2) | instskip(NEXT) | instid1(VALU_DEP_2)
	v_add_f64 v[2:3], v[2:3], v[195:196]
	v_add_f64 v[4:5], v[4:5], v[193:194]
	s_delay_alu instid0(VALU_DEP_2) | instskip(NEXT) | instid1(VALU_DEP_2)
	v_add_f64 v[2:3], v[2:3], v[199:200]
	v_add_f64 v[4:5], v[4:5], v[197:198]
	s_delay_alu instid0(VALU_DEP_2) | instskip(NEXT) | instid1(VALU_DEP_2)
	v_add_f64 v[2:3], v[2:3], v[203:204]
	v_add_f64 v[4:5], v[4:5], v[201:202]
	s_delay_alu instid0(VALU_DEP_2) | instskip(NEXT) | instid1(VALU_DEP_2)
	v_add_f64 v[2:3], v[2:3], v[208:209]
	v_add_f64 v[4:5], v[4:5], v[206:207]
	s_delay_alu instid0(VALU_DEP_2) | instskip(NEXT) | instid1(VALU_DEP_2)
	v_add_f64 v[2:3], v[2:3], v[213:214]
	v_add_f64 v[4:5], v[4:5], v[211:212]
	s_delay_alu instid0(VALU_DEP_2) | instskip(NEXT) | instid1(VALU_DEP_2)
	v_add_f64 v[2:3], v[2:3], v[217:218]
	v_add_f64 v[4:5], v[4:5], v[215:216]
	s_delay_alu instid0(VALU_DEP_2) | instskip(NEXT) | instid1(VALU_DEP_2)
	v_add_f64 v[2:3], v[2:3], v[221:222]
	v_add_f64 v[4:5], v[4:5], v[219:220]
	s_delay_alu instid0(VALU_DEP_2) | instskip(NEXT) | instid1(VALU_DEP_2)
	v_add_f64 v[2:3], v[2:3], v[225:226]
	v_add_f64 v[4:5], v[4:5], v[223:224]
	s_delay_alu instid0(VALU_DEP_2) | instskip(NEXT) | instid1(VALU_DEP_2)
	v_add_f64 v[2:3], v[2:3], v[229:230]
	v_add_f64 v[10:11], v[4:5], v[227:228]
	s_delay_alu instid0(VALU_DEP_2)
	v_add_f64 v[12:13], v[2:3], v[233:234]
	scratch_load_b128 v[2:5], off, off offset:928
	v_add_f64 v[14:15], v[10:11], v[231:232]
	v_add_f64 v[16:17], v[12:13], v[237:238]
	scratch_load_b128 v[10:13], off, off offset:944
	v_add_f64 v[18:19], v[14:15], v[235:236]
	;; [unrolled: 3-line block ×4, first 2 shown]
	v_add_f64 v[24:25], v[24:25], v[249:250]
	s_delay_alu instid0(VALU_DEP_2) | instskip(NEXT) | instid1(VALU_DEP_2)
	v_add_f64 v[22:23], v[22:23], v[247:248]
	v_add_f64 v[24:25], v[24:25], v[253:254]
	s_delay_alu instid0(VALU_DEP_2) | instskip(SKIP_3) | instid1(VALU_DEP_2)
	v_add_f64 v[22:23], v[22:23], v[251:252]
	s_waitcnt vmcnt(3) lgkmcnt(0)
	v_mul_f64 v[30:31], v[6:7], v[4:5]
	v_mul_f64 v[4:5], v[8:9], v[4:5]
	v_fma_f64 v[30:31], v[8:9], v[2:3], v[30:31]
	s_delay_alu instid0(VALU_DEP_2)
	v_fma_f64 v[32:33], v[6:7], v[2:3], -v[4:5]
	ds_load_b128 v[2:5], v1 offset:1936
	ds_load_b128 v[6:9], v1 offset:1952
	s_waitcnt vmcnt(2) lgkmcnt(1)
	v_mul_f64 v[34:35], v[2:3], v[12:13]
	v_mul_f64 v[12:13], v[4:5], v[12:13]
	s_waitcnt vmcnt(1) lgkmcnt(0)
	v_mul_f64 v[36:37], v[6:7], v[16:17]
	v_add_f64 v[22:23], v[22:23], v[30:31]
	s_delay_alu instid0(VALU_DEP_4) | instskip(NEXT) | instid1(VALU_DEP_4)
	v_fma_f64 v[34:35], v[4:5], v[10:11], v[34:35]
	v_fma_f64 v[10:11], v[2:3], v[10:11], -v[12:13]
	v_mul_f64 v[12:13], v[8:9], v[16:17]
	v_add_f64 v[16:17], v[24:25], v[32:33]
	ds_load_b128 v[2:5], v1 offset:1968
	v_fma_f64 v[8:9], v[8:9], v[14:15], v[36:37]
	s_waitcnt vmcnt(0) lgkmcnt(0)
	v_mul_f64 v[24:25], v[2:3], v[20:21]
	v_mul_f64 v[20:21], v[4:5], v[20:21]
	v_fma_f64 v[6:7], v[6:7], v[14:15], -v[12:13]
	v_add_f64 v[10:11], v[16:17], v[10:11]
	v_add_f64 v[12:13], v[22:23], v[34:35]
	v_fma_f64 v[4:5], v[4:5], v[18:19], v[24:25]
	v_fma_f64 v[2:3], v[2:3], v[18:19], -v[20:21]
	s_delay_alu instid0(VALU_DEP_4) | instskip(NEXT) | instid1(VALU_DEP_4)
	v_add_f64 v[6:7], v[10:11], v[6:7]
	v_add_f64 v[8:9], v[12:13], v[8:9]
	s_delay_alu instid0(VALU_DEP_2) | instskip(NEXT) | instid1(VALU_DEP_2)
	v_add_f64 v[2:3], v[6:7], v[2:3]
	v_add_f64 v[4:5], v[8:9], v[4:5]
	s_delay_alu instid0(VALU_DEP_2) | instskip(NEXT) | instid1(VALU_DEP_2)
	v_add_f64 v[2:3], v[26:27], -v[2:3]
	v_add_f64 v[4:5], v[28:29], -v[4:5]
	scratch_store_b128 off, v[2:5], off offset:224
	v_cmpx_lt_u32_e32 13, v174
	s_cbranch_execz .LBB125_371
; %bb.370:
	scratch_load_b32 v2, off, off offset:1172 ; 4-byte Folded Reload
	v_mov_b32_e32 v3, v1
	v_mov_b32_e32 v4, v1
	s_waitcnt vmcnt(0)
	scratch_load_b128 v[5:8], v2, off
	v_mov_b32_e32 v2, v1
	scratch_store_b128 off, v[1:4], off offset:208
	s_waitcnt vmcnt(0)
	ds_store_b128 v255, v[5:8]
.LBB125_371:
	s_or_b32 exec_lo, exec_lo, s2
	s_waitcnt lgkmcnt(0)
	s_waitcnt_vscnt null, 0x0
	s_barrier
	buffer_gl0_inv
	s_clause 0x5
	scratch_load_b128 v[22:25], off, off offset:224
	scratch_load_b128 v[2:5], off, off offset:240
	;; [unrolled: 1-line block ×6, first 2 shown]
	ds_load_b128 v[26:29], v1 offset:1216
	s_mov_b32 s2, exec_lo
	s_waitcnt vmcnt(5) lgkmcnt(0)
	v_mul_f64 v[30:31], v[28:29], v[24:25]
	v_mul_f64 v[32:33], v[26:27], v[24:25]
	s_delay_alu instid0(VALU_DEP_2) | instskip(NEXT) | instid1(VALU_DEP_2)
	v_fma_f64 v[24:25], v[26:27], v[22:23], -v[30:31]
	v_fma_f64 v[22:23], v[28:29], v[22:23], v[32:33]
	ds_load_b128 v[26:29], v1 offset:1232
	s_waitcnt vmcnt(4) lgkmcnt(0)
	v_mul_f64 v[30:31], v[26:27], v[4:5]
	v_mul_f64 v[4:5], v[28:29], v[4:5]
	s_delay_alu instid0(VALU_DEP_2) | instskip(NEXT) | instid1(VALU_DEP_2)
	v_fma_f64 v[30:31], v[28:29], v[2:3], v[30:31]
	v_fma_f64 v[32:33], v[26:27], v[2:3], -v[4:5]
	ds_load_b128 v[2:5], v1 offset:1248
	s_waitcnt vmcnt(3) lgkmcnt(0)
	v_mul_f64 v[26:27], v[2:3], v[8:9]
	v_mul_f64 v[8:9], v[4:5], v[8:9]
	s_delay_alu instid0(VALU_DEP_2) | instskip(NEXT) | instid1(VALU_DEP_2)
	v_fma_f64 v[34:35], v[4:5], v[6:7], v[26:27]
	v_fma_f64 v[36:37], v[2:3], v[6:7], -v[8:9]
	;; [unrolled: 7-line block ×5, first 2 shown]
	scratch_load_b128 v[2:5], off, off offset:320
	ds_load_b128 v[6:9], v1 offset:1312
	s_waitcnt vmcnt(0) lgkmcnt(0)
	v_mul_f64 v[14:15], v[6:7], v[4:5]
	v_mul_f64 v[4:5], v[8:9], v[4:5]
	s_delay_alu instid0(VALU_DEP_2) | instskip(NEXT) | instid1(VALU_DEP_2)
	v_fma_f64 v[46:47], v[8:9], v[2:3], v[14:15]
	v_fma_f64 v[48:49], v[6:7], v[2:3], -v[4:5]
	scratch_load_b128 v[2:5], off, off offset:336
	ds_load_b128 v[6:9], v1 offset:1328
	s_waitcnt vmcnt(0) lgkmcnt(0)
	v_mul_f64 v[14:15], v[6:7], v[4:5]
	v_mul_f64 v[4:5], v[8:9], v[4:5]
	s_delay_alu instid0(VALU_DEP_2) | instskip(NEXT) | instid1(VALU_DEP_2)
	v_fma_f64 v[52:53], v[8:9], v[2:3], v[14:15]
	v_fma_f64 v[54:55], v[6:7], v[2:3], -v[4:5]
	;; [unrolled: 8-line block ×39, first 2 shown]
	v_add_f64 v[2:3], v[24:25], 0
	v_add_f64 v[4:5], v[22:23], 0
	scratch_load_b128 v[6:9], off, off offset:960
	v_add_f64 v[2:3], v[2:3], v[32:33]
	v_add_f64 v[4:5], v[4:5], v[30:31]
	s_delay_alu instid0(VALU_DEP_2) | instskip(NEXT) | instid1(VALU_DEP_2)
	v_add_f64 v[2:3], v[2:3], v[36:37]
	v_add_f64 v[4:5], v[4:5], v[34:35]
	s_delay_alu instid0(VALU_DEP_2) | instskip(NEXT) | instid1(VALU_DEP_2)
	v_add_f64 v[2:3], v[2:3], v[10:11]
	v_add_f64 v[4:5], v[4:5], v[12:13]
	scratch_load_b128 v[10:13], off, off offset:944
	v_add_f64 v[2:3], v[2:3], v[40:41]
	v_add_f64 v[4:5], v[4:5], v[38:39]
	s_delay_alu instid0(VALU_DEP_2) | instskip(NEXT) | instid1(VALU_DEP_2)
	v_add_f64 v[2:3], v[2:3], v[44:45]
	v_add_f64 v[4:5], v[4:5], v[42:43]
	s_delay_alu instid0(VALU_DEP_2) | instskip(NEXT) | instid1(VALU_DEP_2)
	;; [unrolled: 3-line block ×36, first 2 shown]
	v_add_f64 v[22:23], v[2:3], v[249:250]
	v_add_f64 v[30:31], v[4:5], v[247:248]
	scratch_load_b128 v[2:5], off, off offset:976
	v_add_f64 v[24:25], v[22:23], v[253:254]
	v_add_f64 v[22:23], v[30:31], v[251:252]
	scratch_load_b128 v[30:33], off, off offset:208
	v_add_f64 v[28:29], v[24:25], v[28:29]
	v_add_f64 v[26:27], v[22:23], v[26:27]
	ds_load_b128 v[22:25], v1 offset:1936
	v_add_f64 v[20:21], v[28:29], v[20:21]
	v_add_f64 v[18:19], v[26:27], v[18:19]
	s_delay_alu instid0(VALU_DEP_2) | instskip(NEXT) | instid1(VALU_DEP_2)
	v_add_f64 v[20:21], v[20:21], v[16:17]
	v_add_f64 v[18:19], v[18:19], v[14:15]
	ds_load_b128 v[14:17], v1 offset:1968
	s_waitcnt vmcnt(2) lgkmcnt(1)
	v_mul_f64 v[28:29], v[22:23], v[12:13]
	v_mul_f64 v[12:13], v[24:25], v[12:13]
	s_delay_alu instid0(VALU_DEP_2) | instskip(NEXT) | instid1(VALU_DEP_2)
	v_fma_f64 v[24:25], v[24:25], v[10:11], v[28:29]
	v_fma_f64 v[22:23], v[22:23], v[10:11], -v[12:13]
	ds_load_b128 v[10:13], v1 offset:1952
	s_waitcnt lgkmcnt(0)
	v_mul_f64 v[26:27], v[10:11], v[8:9]
	v_mul_f64 v[8:9], v[12:13], v[8:9]
	s_delay_alu instid0(VALU_DEP_2) | instskip(NEXT) | instid1(VALU_DEP_2)
	v_fma_f64 v[12:13], v[12:13], v[6:7], v[26:27]
	v_fma_f64 v[6:7], v[10:11], v[6:7], -v[8:9]
	v_add_f64 v[8:9], v[20:21], v[22:23]
	v_add_f64 v[10:11], v[18:19], v[24:25]
	s_waitcnt vmcnt(1)
	v_mul_f64 v[28:29], v[14:15], v[4:5]
	v_mul_f64 v[4:5], v[16:17], v[4:5]
	s_delay_alu instid0(VALU_DEP_2) | instskip(NEXT) | instid1(VALU_DEP_2)
	v_fma_f64 v[16:17], v[16:17], v[2:3], v[28:29]
	v_fma_f64 v[1:2], v[14:15], v[2:3], -v[4:5]
	v_add_f64 v[3:4], v[8:9], v[6:7]
	v_add_f64 v[5:6], v[10:11], v[12:13]
	s_delay_alu instid0(VALU_DEP_2) | instskip(NEXT) | instid1(VALU_DEP_2)
	v_add_f64 v[1:2], v[3:4], v[1:2]
	v_add_f64 v[3:4], v[5:6], v[16:17]
	s_waitcnt vmcnt(0)
	s_delay_alu instid0(VALU_DEP_2) | instskip(NEXT) | instid1(VALU_DEP_2)
	v_add_f64 v[1:2], v[30:31], -v[1:2]
	v_add_f64 v[3:4], v[32:33], -v[3:4]
	scratch_store_b128 off, v[1:4], off offset:208
	v_cmpx_lt_u32_e32 12, v174
	s_cbranch_execz .LBB125_373
; %bb.372:
	scratch_load_b32 v1, off, off offset:1180 ; 4-byte Folded Reload
	v_mov_b32_e32 v5, 0
	s_delay_alu instid0(VALU_DEP_1)
	v_mov_b32_e32 v6, v5
	v_mov_b32_e32 v7, v5
	;; [unrolled: 1-line block ×3, first 2 shown]
	s_waitcnt vmcnt(0)
	scratch_load_b128 v[1:4], v1, off
	scratch_store_b128 off, v[5:8], off offset:192
	s_waitcnt vmcnt(0)
	ds_store_b128 v255, v[1:4]
.LBB125_373:
	s_or_b32 exec_lo, exec_lo, s2
	s_waitcnt lgkmcnt(0)
	s_waitcnt_vscnt null, 0x0
	s_barrier
	buffer_gl0_inv
	s_clause 0x5
	scratch_load_b128 v[2:5], off, off offset:208
	scratch_load_b128 v[6:9], off, off offset:224
	;; [unrolled: 1-line block ×6, first 2 shown]
	v_mov_b32_e32 v1, 0
	s_mov_b32 s2, exec_lo
	ds_load_b128 v[26:29], v1 offset:1200
	s_waitcnt vmcnt(5) lgkmcnt(0)
	v_mul_f64 v[30:31], v[28:29], v[4:5]
	v_mul_f64 v[4:5], v[26:27], v[4:5]
	s_delay_alu instid0(VALU_DEP_2) | instskip(NEXT) | instid1(VALU_DEP_2)
	v_fma_f64 v[26:27], v[26:27], v[2:3], -v[30:31]
	v_fma_f64 v[28:29], v[28:29], v[2:3], v[4:5]
	ds_load_b128 v[2:5], v1 offset:1216
	s_waitcnt vmcnt(4) lgkmcnt(0)
	v_mul_f64 v[30:31], v[2:3], v[8:9]
	v_mul_f64 v[8:9], v[4:5], v[8:9]
	s_delay_alu instid0(VALU_DEP_2) | instskip(NEXT) | instid1(VALU_DEP_2)
	v_fma_f64 v[30:31], v[4:5], v[6:7], v[30:31]
	v_fma_f64 v[32:33], v[2:3], v[6:7], -v[8:9]
	ds_load_b128 v[2:5], v1 offset:1232
	s_waitcnt vmcnt(3) lgkmcnt(0)
	v_mul_f64 v[6:7], v[2:3], v[12:13]
	v_mul_f64 v[8:9], v[4:5], v[12:13]
	s_delay_alu instid0(VALU_DEP_2) | instskip(NEXT) | instid1(VALU_DEP_2)
	v_fma_f64 v[12:13], v[4:5], v[10:11], v[6:7]
	v_fma_f64 v[10:11], v[2:3], v[10:11], -v[8:9]
	;; [unrolled: 7-line block ×5, first 2 shown]
	scratch_load_b128 v[2:5], off, off offset:304
	ds_load_b128 v[6:9], v1 offset:1296
	s_waitcnt vmcnt(0) lgkmcnt(0)
	v_mul_f64 v[14:15], v[6:7], v[4:5]
	v_mul_f64 v[4:5], v[8:9], v[4:5]
	s_delay_alu instid0(VALU_DEP_2) | instskip(NEXT) | instid1(VALU_DEP_2)
	v_fma_f64 v[46:47], v[8:9], v[2:3], v[14:15]
	v_fma_f64 v[48:49], v[6:7], v[2:3], -v[4:5]
	scratch_load_b128 v[2:5], off, off offset:320
	ds_load_b128 v[6:9], v1 offset:1312
	s_waitcnt vmcnt(0) lgkmcnt(0)
	v_mul_f64 v[14:15], v[6:7], v[4:5]
	v_mul_f64 v[4:5], v[8:9], v[4:5]
	s_delay_alu instid0(VALU_DEP_2) | instskip(NEXT) | instid1(VALU_DEP_2)
	v_fma_f64 v[52:53], v[8:9], v[2:3], v[14:15]
	v_fma_f64 v[54:55], v[6:7], v[2:3], -v[4:5]
	;; [unrolled: 8-line block ×40, first 2 shown]
	v_add_f64 v[2:3], v[26:27], 0
	v_add_f64 v[4:5], v[28:29], 0
	scratch_load_b128 v[6:9], off, off offset:960
	v_add_f64 v[2:3], v[2:3], v[32:33]
	v_add_f64 v[4:5], v[4:5], v[30:31]
	s_delay_alu instid0(VALU_DEP_2) | instskip(NEXT) | instid1(VALU_DEP_2)
	v_add_f64 v[2:3], v[2:3], v[10:11]
	v_add_f64 v[4:5], v[4:5], v[12:13]
	scratch_load_b128 v[10:13], off, off offset:944
	v_add_f64 v[2:3], v[2:3], v[36:37]
	v_add_f64 v[4:5], v[4:5], v[34:35]
	s_delay_alu instid0(VALU_DEP_2) | instskip(NEXT) | instid1(VALU_DEP_2)
	v_add_f64 v[2:3], v[2:3], v[40:41]
	v_add_f64 v[4:5], v[4:5], v[38:39]
	s_delay_alu instid0(VALU_DEP_2) | instskip(NEXT) | instid1(VALU_DEP_2)
	;; [unrolled: 3-line block ×38, first 2 shown]
	v_add_f64 v[26:27], v[2:3], v[253:254]
	v_add_f64 v[30:31], v[4:5], v[251:252]
	scratch_load_b128 v[2:5], off, off offset:976
	v_add_f64 v[28:29], v[26:27], v[116:117]
	v_add_f64 v[26:27], v[30:31], v[114:115]
	scratch_load_b128 v[30:33], off, off offset:192
	v_add_f64 v[22:23], v[28:29], v[22:23]
	v_add_f64 v[18:19], v[26:27], v[18:19]
	ds_load_b128 v[26:29], v1 offset:1936
	v_add_f64 v[22:23], v[22:23], v[24:25]
	v_add_f64 v[18:19], v[18:19], v[20:21]
	s_delay_alu instid0(VALU_DEP_2) | instskip(NEXT) | instid1(VALU_DEP_2)
	v_add_f64 v[22:23], v[22:23], v[16:17]
	v_add_f64 v[18:19], v[18:19], v[14:15]
	ds_load_b128 v[14:17], v1 offset:1968
	s_waitcnt vmcnt(2) lgkmcnt(1)
	v_mul_f64 v[24:25], v[26:27], v[12:13]
	v_mul_f64 v[12:13], v[28:29], v[12:13]
	s_delay_alu instid0(VALU_DEP_2) | instskip(NEXT) | instid1(VALU_DEP_2)
	v_fma_f64 v[20:21], v[28:29], v[10:11], v[24:25]
	v_fma_f64 v[24:25], v[26:27], v[10:11], -v[12:13]
	ds_load_b128 v[10:13], v1 offset:1952
	s_waitcnt lgkmcnt(0)
	v_mul_f64 v[26:27], v[10:11], v[8:9]
	v_mul_f64 v[8:9], v[12:13], v[8:9]
	v_add_f64 v[18:19], v[18:19], v[20:21]
	s_delay_alu instid0(VALU_DEP_3) | instskip(NEXT) | instid1(VALU_DEP_3)
	v_fma_f64 v[12:13], v[12:13], v[6:7], v[26:27]
	v_fma_f64 v[6:7], v[10:11], v[6:7], -v[8:9]
	v_add_f64 v[10:11], v[22:23], v[24:25]
	s_waitcnt vmcnt(1)
	v_mul_f64 v[8:9], v[14:15], v[4:5]
	v_mul_f64 v[4:5], v[16:17], v[4:5]
	s_delay_alu instid0(VALU_DEP_2) | instskip(NEXT) | instid1(VALU_DEP_2)
	v_fma_f64 v[8:9], v[16:17], v[2:3], v[8:9]
	v_fma_f64 v[2:3], v[14:15], v[2:3], -v[4:5]
	v_add_f64 v[4:5], v[10:11], v[6:7]
	v_add_f64 v[6:7], v[18:19], v[12:13]
	s_delay_alu instid0(VALU_DEP_2) | instskip(NEXT) | instid1(VALU_DEP_2)
	v_add_f64 v[2:3], v[4:5], v[2:3]
	v_add_f64 v[4:5], v[6:7], v[8:9]
	s_waitcnt vmcnt(0)
	s_delay_alu instid0(VALU_DEP_2) | instskip(NEXT) | instid1(VALU_DEP_2)
	v_add_f64 v[2:3], v[30:31], -v[2:3]
	v_add_f64 v[4:5], v[32:33], -v[4:5]
	scratch_store_b128 off, v[2:5], off offset:192
	v_cmpx_lt_u32_e32 11, v174
	s_cbranch_execz .LBB125_375
; %bb.374:
	scratch_load_b32 v2, off, off offset:1184 ; 4-byte Folded Reload
	v_mov_b32_e32 v3, v1
	v_mov_b32_e32 v4, v1
	s_waitcnt vmcnt(0)
	scratch_load_b128 v[5:8], v2, off
	v_mov_b32_e32 v2, v1
	scratch_store_b128 off, v[1:4], off offset:176
	s_waitcnt vmcnt(0)
	ds_store_b128 v255, v[5:8]
.LBB125_375:
	s_or_b32 exec_lo, exec_lo, s2
	s_waitcnt lgkmcnt(0)
	s_waitcnt_vscnt null, 0x0
	s_barrier
	buffer_gl0_inv
	s_clause 0x8
	scratch_load_b128 v[34:37], off, off offset:192
	scratch_load_b128 v[38:41], off, off offset:208
	;; [unrolled: 1-line block ×9, first 2 shown]
	ds_load_b128 v[46:49], v1 offset:1184
	ds_load_b128 v[42:45], v1 offset:1200
	s_clause 0x1
	scratch_load_b128 v[2:5], off, off offset:176
	scratch_load_b128 v[185:188], off, off offset:336
	s_mov_b32 s2, exec_lo
	ds_load_b128 v[189:192], v1 offset:1232
	ds_load_b128 v[195:198], v1 offset:1392
	s_waitcnt vmcnt(10) lgkmcnt(3)
	v_mul_f64 v[52:53], v[48:49], v[36:37]
	v_mul_f64 v[36:37], v[46:47], v[36:37]
	s_waitcnt vmcnt(9) lgkmcnt(2)
	v_mul_f64 v[54:55], v[42:43], v[40:41]
	v_mul_f64 v[40:41], v[44:45], v[40:41]
	s_waitcnt vmcnt(7) lgkmcnt(1)
	v_mul_f64 v[60:61], v[191:192], v[28:29]
	v_fma_f64 v[52:53], v[46:47], v[34:35], -v[52:53]
	v_fma_f64 v[56:57], v[48:49], v[34:35], v[36:37]
	ds_load_b128 v[34:37], v1 offset:1216
	scratch_load_b128 v[46:49], off, off offset:352
	v_fma_f64 v[44:45], v[44:45], v[38:39], v[54:55]
	v_fma_f64 v[42:43], v[42:43], v[38:39], -v[40:41]
	scratch_load_b128 v[38:41], off, off offset:368
	v_fma_f64 v[60:61], v[189:190], v[26:27], -v[60:61]
	s_waitcnt lgkmcnt(0)
	v_mul_f64 v[58:59], v[34:35], v[32:33]
	v_mul_f64 v[32:33], v[36:37], v[32:33]
	v_add_f64 v[52:53], v[52:53], 0
	v_add_f64 v[54:55], v[56:57], 0
	v_mul_f64 v[56:57], v[189:190], v[28:29]
	v_fma_f64 v[36:37], v[36:37], v[30:31], v[58:59]
	v_fma_f64 v[58:59], v[34:35], v[30:31], -v[32:33]
	ds_load_b128 v[28:31], v1 offset:1248
	scratch_load_b128 v[32:35], off, off offset:384
	v_add_f64 v[52:53], v[52:53], v[42:43]
	v_add_f64 v[54:55], v[54:55], v[44:45]
	ds_load_b128 v[42:45], v1 offset:1264
	v_fma_f64 v[56:57], v[191:192], v[26:27], v[56:57]
	ds_load_b128 v[189:192], v1 offset:1296
	s_waitcnt vmcnt(9) lgkmcnt(2)
	v_mul_f64 v[62:63], v[28:29], v[24:25]
	v_mul_f64 v[64:65], v[30:31], v[24:25]
	scratch_load_b128 v[24:27], off, off offset:400
	v_add_f64 v[52:53], v[52:53], v[58:59]
	v_add_f64 v[36:37], v[54:55], v[36:37]
	s_waitcnt vmcnt(9) lgkmcnt(1)
	v_mul_f64 v[54:55], v[42:43], v[20:21]
	v_mul_f64 v[58:59], v[44:45], v[20:21]
	v_fma_f64 v[62:63], v[30:31], v[22:23], v[62:63]
	v_fma_f64 v[64:65], v[28:29], v[22:23], -v[64:65]
	ds_load_b128 v[20:23], v1 offset:1280
	scratch_load_b128 v[28:31], off, off offset:416
	v_add_f64 v[52:53], v[52:53], v[60:61]
	v_add_f64 v[36:37], v[36:37], v[56:57]
	s_waitcnt vmcnt(9) lgkmcnt(0)
	v_mul_f64 v[56:57], v[20:21], v[16:17]
	v_mul_f64 v[60:61], v[22:23], v[16:17]
	v_fma_f64 v[44:45], v[44:45], v[18:19], v[54:55]
	v_fma_f64 v[42:43], v[42:43], v[18:19], -v[58:59]
	scratch_load_b128 v[16:19], off, off offset:432
	s_waitcnt vmcnt(9)
	v_mul_f64 v[54:55], v[189:190], v[12:13]
	v_mul_f64 v[58:59], v[191:192], v[12:13]
	v_add_f64 v[52:53], v[52:53], v[64:65]
	v_add_f64 v[36:37], v[36:37], v[62:63]
	v_fma_f64 v[56:57], v[22:23], v[14:15], v[56:57]
	v_fma_f64 v[60:61], v[20:21], v[14:15], -v[60:61]
	ds_load_b128 v[12:15], v1 offset:1312
	scratch_load_b128 v[20:23], off, off offset:448
	v_fma_f64 v[54:55], v[191:192], v[10:11], v[54:55]
	v_fma_f64 v[58:59], v[189:190], v[10:11], -v[58:59]
	ds_load_b128 v[191:194], v1 offset:1360
	v_add_f64 v[52:53], v[52:53], v[42:43]
	v_add_f64 v[36:37], v[36:37], v[44:45]
	ds_load_b128 v[42:45], v1 offset:1328
	s_waitcnt vmcnt(9) lgkmcnt(2)
	v_mul_f64 v[62:63], v[12:13], v[8:9]
	v_mul_f64 v[64:65], v[14:15], v[8:9]
	scratch_load_b128 v[8:11], off, off offset:464
	v_add_f64 v[52:53], v[52:53], v[60:61]
	v_add_f64 v[36:37], v[36:37], v[56:57]
	s_waitcnt vmcnt(8) lgkmcnt(0)
	v_mul_f64 v[56:57], v[42:43], v[187:188]
	v_mul_f64 v[60:61], v[44:45], v[187:188]
	v_fma_f64 v[62:63], v[14:15], v[6:7], v[62:63]
	v_fma_f64 v[6:7], v[12:13], v[6:7], -v[64:65]
	ds_load_b128 v[12:15], v1 offset:1344
	scratch_load_b128 v[187:190], off, off offset:480
	v_add_f64 v[52:53], v[52:53], v[58:59]
	v_add_f64 v[36:37], v[36:37], v[54:55]
	v_fma_f64 v[56:57], v[44:45], v[185:186], v[56:57]
	v_fma_f64 v[58:59], v[42:43], v[185:186], -v[60:61]
	scratch_load_b128 v[42:45], off, off offset:496
	s_waitcnt vmcnt(9) lgkmcnt(0)
	v_mul_f64 v[54:55], v[12:13], v[48:49]
	v_mul_f64 v[48:49], v[14:15], v[48:49]
	v_add_f64 v[6:7], v[52:53], v[6:7]
	v_add_f64 v[36:37], v[36:37], v[62:63]
	s_waitcnt vmcnt(8)
	v_mul_f64 v[52:53], v[191:192], v[40:41]
	v_mul_f64 v[40:41], v[193:194], v[40:41]
	v_fma_f64 v[54:55], v[14:15], v[46:47], v[54:55]
	v_fma_f64 v[60:61], v[12:13], v[46:47], -v[48:49]
	ds_load_b128 v[12:15], v1 offset:1376
	scratch_load_b128 v[46:49], off, off offset:512
	v_add_f64 v[6:7], v[6:7], v[58:59]
	v_add_f64 v[36:37], v[36:37], v[56:57]
	v_fma_f64 v[52:53], v[193:194], v[38:39], v[52:53]
	s_waitcnt vmcnt(8) lgkmcnt(0)
	v_mul_f64 v[56:57], v[12:13], v[34:35]
	v_mul_f64 v[58:59], v[14:15], v[34:35]
	v_fma_f64 v[38:39], v[191:192], v[38:39], -v[40:41]
	ds_load_b128 v[191:194], v1 offset:1424
	v_add_f64 v[6:7], v[6:7], v[60:61]
	v_add_f64 v[40:41], v[36:37], v[54:55]
	scratch_load_b128 v[34:37], off, off offset:528
	s_waitcnt vmcnt(8)
	v_mul_f64 v[54:55], v[195:196], v[26:27]
	v_mul_f64 v[26:27], v[197:198], v[26:27]
	v_fma_f64 v[56:57], v[14:15], v[32:33], v[56:57]
	v_fma_f64 v[32:33], v[12:13], v[32:33], -v[58:59]
	ds_load_b128 v[12:15], v1 offset:1408
	s_waitcnt vmcnt(7) lgkmcnt(0)
	v_mul_f64 v[58:59], v[12:13], v[30:31]
	v_mul_f64 v[30:31], v[14:15], v[30:31]
	v_add_f64 v[6:7], v[6:7], v[38:39]
	v_add_f64 v[52:53], v[40:41], v[52:53]
	scratch_load_b128 v[38:41], off, off offset:544
	v_fma_f64 v[54:55], v[197:198], v[24:25], v[54:55]
	v_fma_f64 v[60:61], v[195:196], v[24:25], -v[26:27]
	scratch_load_b128 v[24:27], off, off offset:560
	ds_load_b128 v[195:198], v1 offset:1456
	v_add_f64 v[6:7], v[6:7], v[32:33]
	v_add_f64 v[32:33], v[52:53], v[56:57]
	s_waitcnt vmcnt(8)
	v_mul_f64 v[52:53], v[191:192], v[18:19]
	v_mul_f64 v[18:19], v[193:194], v[18:19]
	v_fma_f64 v[56:57], v[14:15], v[28:29], v[58:59]
	v_fma_f64 v[58:59], v[12:13], v[28:29], -v[30:31]
	ds_load_b128 v[12:15], v1 offset:1440
	scratch_load_b128 v[28:31], off, off offset:576
	v_add_f64 v[6:7], v[6:7], v[60:61]
	v_add_f64 v[32:33], v[32:33], v[54:55]
	s_waitcnt vmcnt(8) lgkmcnt(0)
	v_mul_f64 v[54:55], v[12:13], v[22:23]
	v_mul_f64 v[22:23], v[14:15], v[22:23]
	v_fma_f64 v[52:53], v[193:194], v[16:17], v[52:53]
	v_fma_f64 v[60:61], v[191:192], v[16:17], -v[18:19]
	scratch_load_b128 v[16:19], off, off offset:592
	ds_load_b128 v[191:194], v1 offset:1488
	v_add_f64 v[6:7], v[6:7], v[58:59]
	v_add_f64 v[32:33], v[32:33], v[56:57]
	s_waitcnt vmcnt(8)
	v_mul_f64 v[56:57], v[195:196], v[10:11]
	v_mul_f64 v[58:59], v[197:198], v[10:11]
	v_fma_f64 v[14:15], v[14:15], v[20:21], v[54:55]
	v_fma_f64 v[54:55], v[12:13], v[20:21], -v[22:23]
	ds_load_b128 v[10:13], v1 offset:1472
	scratch_load_b128 v[20:23], off, off offset:608
	v_add_f64 v[6:7], v[6:7], v[60:61]
	v_add_f64 v[32:33], v[32:33], v[52:53]
	s_waitcnt vmcnt(8) lgkmcnt(0)
	v_mul_f64 v[52:53], v[10:11], v[189:190]
	v_mul_f64 v[60:61], v[12:13], v[189:190]
	v_fma_f64 v[56:57], v[197:198], v[8:9], v[56:57]
	v_fma_f64 v[58:59], v[195:196], v[8:9], -v[58:59]
	ds_load_b128 v[195:198], v1 offset:1520
	v_add_f64 v[54:55], v[6:7], v[54:55]
	scratch_load_b128 v[6:9], off, off offset:624
	v_add_f64 v[14:15], v[32:33], v[14:15]
	s_waitcnt vmcnt(8)
	v_mul_f64 v[32:33], v[191:192], v[44:45]
	v_mul_f64 v[44:45], v[193:194], v[44:45]
	v_fma_f64 v[52:53], v[12:13], v[187:188], v[52:53]
	v_fma_f64 v[60:61], v[10:11], v[187:188], -v[60:61]
	ds_load_b128 v[10:13], v1 offset:1504
	scratch_load_b128 v[185:188], off, off offset:640
	v_add_f64 v[54:55], v[54:55], v[58:59]
	v_add_f64 v[14:15], v[14:15], v[56:57]
	s_waitcnt vmcnt(8) lgkmcnt(0)
	v_mul_f64 v[56:57], v[10:11], v[48:49]
	v_mul_f64 v[48:49], v[12:13], v[48:49]
	v_fma_f64 v[32:33], v[193:194], v[42:43], v[32:33]
	v_fma_f64 v[58:59], v[191:192], v[42:43], -v[44:45]
	scratch_load_b128 v[42:45], off, off offset:656
	ds_load_b128 v[189:192], v1 offset:1552
	v_add_f64 v[54:55], v[54:55], v[60:61]
	v_add_f64 v[14:15], v[14:15], v[52:53]
	v_fma_f64 v[56:57], v[12:13], v[46:47], v[56:57]
	v_fma_f64 v[60:61], v[10:11], v[46:47], -v[48:49]
	ds_load_b128 v[10:13], v1 offset:1536
	scratch_load_b128 v[46:49], off, off offset:672
	s_waitcnt vmcnt(9)
	v_mul_f64 v[52:53], v[195:196], v[36:37]
	v_mul_f64 v[36:37], v[197:198], v[36:37]
	v_add_f64 v[54:55], v[54:55], v[58:59]
	v_add_f64 v[14:15], v[14:15], v[32:33]
	s_waitcnt vmcnt(8) lgkmcnt(0)
	v_mul_f64 v[58:59], v[10:11], v[40:41]
	v_mul_f64 v[40:41], v[12:13], v[40:41]
	v_fma_f64 v[52:53], v[197:198], v[34:35], v[52:53]
	v_fma_f64 v[36:37], v[195:196], v[34:35], -v[36:37]
	scratch_load_b128 v[32:35], off, off offset:688
	ds_load_b128 v[193:196], v1 offset:1584
	ds_load_b128 v[197:200], v1 offset:1680
	v_add_f64 v[54:55], v[54:55], v[60:61]
	v_add_f64 v[14:15], v[14:15], v[56:57]
	s_waitcnt vmcnt(8)
	v_mul_f64 v[56:57], v[189:190], v[26:27]
	v_mul_f64 v[26:27], v[191:192], v[26:27]
	v_fma_f64 v[58:59], v[12:13], v[38:39], v[58:59]
	v_fma_f64 v[40:41], v[10:11], v[38:39], -v[40:41]
	ds_load_b128 v[10:13], v1 offset:1568
	v_add_f64 v[54:55], v[54:55], v[36:37]
	scratch_load_b128 v[36:39], off, off offset:704
	v_add_f64 v[14:15], v[14:15], v[52:53]
	s_waitcnt vmcnt(8) lgkmcnt(0)
	v_mul_f64 v[52:53], v[10:11], v[30:31]
	v_mul_f64 v[30:31], v[12:13], v[30:31]
	v_fma_f64 v[56:57], v[191:192], v[24:25], v[56:57]
	v_fma_f64 v[60:61], v[189:190], v[24:25], -v[26:27]
	scratch_load_b128 v[24:27], off, off offset:720
	ds_load_b128 v[189:192], v1 offset:1616
	v_add_f64 v[40:41], v[54:55], v[40:41]
	s_waitcnt vmcnt(8)
	v_mul_f64 v[54:55], v[193:194], v[18:19]
	v_add_f64 v[14:15], v[14:15], v[58:59]
	v_mul_f64 v[18:19], v[195:196], v[18:19]
	v_fma_f64 v[52:53], v[12:13], v[28:29], v[52:53]
	v_fma_f64 v[58:59], v[10:11], v[28:29], -v[30:31]
	ds_load_b128 v[10:13], v1 offset:1600
	scratch_load_b128 v[28:31], off, off offset:736
	v_add_f64 v[40:41], v[40:41], v[60:61]
	v_fma_f64 v[54:55], v[195:196], v[16:17], v[54:55]
	v_add_f64 v[14:15], v[14:15], v[56:57]
	s_waitcnt vmcnt(8) lgkmcnt(0)
	v_mul_f64 v[56:57], v[10:11], v[22:23]
	v_mul_f64 v[22:23], v[12:13], v[22:23]
	v_fma_f64 v[18:19], v[193:194], v[16:17], -v[18:19]
	ds_load_b128 v[193:196], v1 offset:1648
	v_add_f64 v[40:41], v[40:41], v[58:59]
	v_add_f64 v[52:53], v[14:15], v[52:53]
	scratch_load_b128 v[14:17], off, off offset:752
	v_fma_f64 v[12:13], v[12:13], v[20:21], v[56:57]
	v_fma_f64 v[22:23], v[10:11], v[20:21], -v[22:23]
	s_waitcnt vmcnt(8)
	v_mul_f64 v[58:59], v[189:190], v[8:9]
	v_mul_f64 v[60:61], v[191:192], v[8:9]
	ds_load_b128 v[8:11], v1 offset:1632
	v_add_f64 v[40:41], v[40:41], v[18:19]
	scratch_load_b128 v[18:21], off, off offset:768
	v_add_f64 v[52:53], v[52:53], v[54:55]
	s_waitcnt vmcnt(8) lgkmcnt(0)
	v_mul_f64 v[54:55], v[8:9], v[187:188]
	v_mul_f64 v[56:57], v[10:11], v[187:188]
	v_fma_f64 v[58:59], v[191:192], v[6:7], v[58:59]
	v_fma_f64 v[6:7], v[189:190], v[6:7], -v[60:61]
	scratch_load_b128 v[187:190], off, off offset:784
	v_add_f64 v[22:23], v[40:41], v[22:23]
	s_waitcnt vmcnt(8)
	v_mul_f64 v[40:41], v[193:194], v[44:45]
	v_add_f64 v[12:13], v[52:53], v[12:13]
	v_mul_f64 v[44:45], v[195:196], v[44:45]
	v_fma_f64 v[52:53], v[10:11], v[185:186], v[54:55]
	v_fma_f64 v[54:55], v[8:9], v[185:186], -v[56:57]
	v_add_f64 v[22:23], v[22:23], v[6:7]
	ds_load_b128 v[6:9], v1 offset:1664
	v_add_f64 v[56:57], v[12:13], v[58:59]
	scratch_load_b128 v[10:13], off, off offset:800
	v_fma_f64 v[60:61], v[195:196], v[42:43], v[40:41]
	v_fma_f64 v[44:45], v[193:194], v[42:43], -v[44:45]
	scratch_load_b128 v[40:43], off, off offset:816
	ds_load_b128 v[191:194], v1 offset:1712
	s_waitcnt vmcnt(9) lgkmcnt(1)
	v_mul_f64 v[58:59], v[6:7], v[48:49]
	v_mul_f64 v[48:49], v[8:9], v[48:49]
	v_add_f64 v[22:23], v[22:23], v[54:55]
	s_waitcnt vmcnt(8)
	v_mul_f64 v[54:55], v[197:198], v[34:35]
	v_add_f64 v[52:53], v[56:57], v[52:53]
	v_mul_f64 v[34:35], v[199:200], v[34:35]
	v_fma_f64 v[56:57], v[8:9], v[46:47], v[58:59]
	v_fma_f64 v[48:49], v[6:7], v[46:47], -v[48:49]
	ds_load_b128 v[6:9], v1 offset:1696
	v_add_f64 v[22:23], v[22:23], v[44:45]
	scratch_load_b128 v[44:47], off, off offset:832
	v_add_f64 v[52:53], v[52:53], v[60:61]
	v_fma_f64 v[54:55], v[199:200], v[32:33], v[54:55]
	v_fma_f64 v[60:61], v[197:198], v[32:33], -v[34:35]
	scratch_load_b128 v[32:35], off, off offset:848
	ds_load_b128 v[195:198], v1 offset:1744
	s_waitcnt vmcnt(9) lgkmcnt(1)
	v_mul_f64 v[58:59], v[6:7], v[38:39]
	v_mul_f64 v[38:39], v[8:9], v[38:39]
	v_add_f64 v[22:23], v[22:23], v[48:49]
	v_add_f64 v[48:49], v[52:53], v[56:57]
	s_waitcnt vmcnt(8)
	v_mul_f64 v[52:53], v[191:192], v[26:27]
	v_mul_f64 v[26:27], v[193:194], v[26:27]
	v_fma_f64 v[56:57], v[8:9], v[36:37], v[58:59]
	v_fma_f64 v[58:59], v[6:7], v[36:37], -v[38:39]
	ds_load_b128 v[6:9], v1 offset:1728
	scratch_load_b128 v[36:39], off, off offset:864
	v_add_f64 v[22:23], v[22:23], v[60:61]
	v_add_f64 v[48:49], v[48:49], v[54:55]
	s_waitcnt vmcnt(8) lgkmcnt(0)
	v_mul_f64 v[54:55], v[6:7], v[30:31]
	v_mul_f64 v[30:31], v[8:9], v[30:31]
	v_fma_f64 v[52:53], v[193:194], v[24:25], v[52:53]
	v_fma_f64 v[26:27], v[191:192], v[24:25], -v[26:27]
	ds_load_b128 v[191:194], v1 offset:1776
	v_add_f64 v[58:59], v[22:23], v[58:59]
	scratch_load_b128 v[22:25], off, off offset:880
	v_add_f64 v[48:49], v[48:49], v[56:57]
	v_fma_f64 v[54:55], v[8:9], v[28:29], v[54:55]
	v_fma_f64 v[30:31], v[6:7], v[28:29], -v[30:31]
	ds_load_b128 v[6:9], v1 offset:1760
	s_waitcnt vmcnt(8)
	v_mul_f64 v[56:57], v[195:196], v[16:17]
	v_mul_f64 v[16:17], v[197:198], v[16:17]
	v_add_f64 v[58:59], v[58:59], v[26:27]
	scratch_load_b128 v[26:29], off, off offset:896
	v_add_f64 v[48:49], v[48:49], v[52:53]
	s_waitcnt vmcnt(8) lgkmcnt(0)
	v_mul_f64 v[52:53], v[6:7], v[20:21]
	v_mul_f64 v[20:21], v[8:9], v[20:21]
	v_fma_f64 v[56:57], v[197:198], v[14:15], v[56:57]
	v_fma_f64 v[60:61], v[195:196], v[14:15], -v[16:17]
	scratch_load_b128 v[14:17], off, off offset:912
	ds_load_b128 v[195:198], v1 offset:1808
	v_add_f64 v[30:31], v[58:59], v[30:31]
	s_waitcnt vmcnt(8)
	v_mul_f64 v[58:59], v[193:194], v[189:190]
	v_add_f64 v[48:49], v[48:49], v[54:55]
	v_mul_f64 v[54:55], v[191:192], v[189:190]
	v_fma_f64 v[52:53], v[8:9], v[18:19], v[52:53]
	v_fma_f64 v[62:63], v[6:7], v[18:19], -v[20:21]
	ds_load_b128 v[6:9], v1 offset:1792
	scratch_load_b128 v[18:21], off, off offset:928
	v_add_f64 v[30:31], v[30:31], v[60:61]
	v_fma_f64 v[58:59], v[191:192], v[187:188], -v[58:59]
	v_add_f64 v[48:49], v[48:49], v[56:57]
	v_fma_f64 v[54:55], v[193:194], v[187:188], v[54:55]
	scratch_load_b128 v[185:188], off, off offset:944
	ds_load_b128 v[189:192], v1 offset:1840
	s_waitcnt vmcnt(9) lgkmcnt(1)
	v_mul_f64 v[56:57], v[6:7], v[12:13]
	v_mul_f64 v[12:13], v[8:9], v[12:13]
	v_add_f64 v[30:31], v[30:31], v[62:63]
	v_add_f64 v[48:49], v[48:49], v[52:53]
	s_waitcnt vmcnt(8)
	v_mul_f64 v[52:53], v[195:196], v[42:43]
	v_mul_f64 v[42:43], v[197:198], v[42:43]
	v_fma_f64 v[56:57], v[8:9], v[10:11], v[56:57]
	v_fma_f64 v[60:61], v[6:7], v[10:11], -v[12:13]
	ds_load_b128 v[6:9], v1 offset:1824
	scratch_load_b128 v[10:13], off, off offset:960
	v_add_f64 v[30:31], v[30:31], v[58:59]
	v_add_f64 v[48:49], v[48:49], v[54:55]
	v_fma_f64 v[52:53], v[197:198], v[40:41], v[52:53]
	v_fma_f64 v[58:59], v[195:196], v[40:41], -v[42:43]
	scratch_load_b128 v[40:43], off, off offset:976
	s_waitcnt vmcnt(9) lgkmcnt(0)
	v_mul_f64 v[54:55], v[6:7], v[46:47]
	v_mul_f64 v[46:47], v[8:9], v[46:47]
	v_add_f64 v[30:31], v[30:31], v[60:61]
	v_add_f64 v[48:49], v[48:49], v[56:57]
	s_waitcnt vmcnt(8)
	v_mul_f64 v[56:57], v[189:190], v[34:35]
	v_mul_f64 v[34:35], v[191:192], v[34:35]
	v_fma_f64 v[54:55], v[8:9], v[44:45], v[54:55]
	v_fma_f64 v[60:61], v[6:7], v[44:45], -v[46:47]
	ds_load_b128 v[6:9], v1 offset:1856
	ds_load_b128 v[44:47], v1 offset:1872
	v_add_f64 v[30:31], v[30:31], v[58:59]
	v_add_f64 v[48:49], v[48:49], v[52:53]
	s_waitcnt vmcnt(7) lgkmcnt(1)
	v_mul_f64 v[52:53], v[6:7], v[38:39]
	v_mul_f64 v[38:39], v[8:9], v[38:39]
	v_fma_f64 v[56:57], v[191:192], v[32:33], v[56:57]
	v_fma_f64 v[32:33], v[189:190], v[32:33], -v[34:35]
	v_add_f64 v[30:31], v[30:31], v[60:61]
	v_add_f64 v[34:35], v[48:49], v[54:55]
	v_fma_f64 v[52:53], v[8:9], v[36:37], v[52:53]
	v_fma_f64 v[36:37], v[6:7], v[36:37], -v[38:39]
	s_waitcnt vmcnt(6) lgkmcnt(0)
	v_mul_f64 v[48:49], v[44:45], v[24:25]
	v_mul_f64 v[24:25], v[46:47], v[24:25]
	v_add_f64 v[38:39], v[30:31], v[32:33]
	ds_load_b128 v[6:9], v1 offset:1888
	ds_load_b128 v[30:33], v1 offset:1904
	v_add_f64 v[34:35], v[34:35], v[56:57]
	v_fma_f64 v[46:47], v[46:47], v[22:23], v[48:49]
	v_fma_f64 v[22:23], v[44:45], v[22:23], -v[24:25]
	s_waitcnt vmcnt(5) lgkmcnt(1)
	v_mul_f64 v[54:55], v[6:7], v[28:29]
	v_mul_f64 v[28:29], v[8:9], v[28:29]
	v_add_f64 v[24:25], v[38:39], v[36:37]
	s_waitcnt vmcnt(4) lgkmcnt(0)
	v_mul_f64 v[36:37], v[30:31], v[16:17]
	v_add_f64 v[34:35], v[34:35], v[52:53]
	v_mul_f64 v[16:17], v[32:33], v[16:17]
	v_fma_f64 v[38:39], v[8:9], v[26:27], v[54:55]
	v_fma_f64 v[26:27], v[6:7], v[26:27], -v[28:29]
	v_add_f64 v[28:29], v[24:25], v[22:23]
	ds_load_b128 v[6:9], v1 offset:1920
	ds_load_b128 v[22:25], v1 offset:1936
	v_add_f64 v[34:35], v[34:35], v[46:47]
	v_fma_f64 v[32:33], v[32:33], v[14:15], v[36:37]
	v_fma_f64 v[14:15], v[30:31], v[14:15], -v[16:17]
	s_waitcnt vmcnt(3) lgkmcnt(1)
	v_mul_f64 v[44:45], v[6:7], v[20:21]
	v_mul_f64 v[20:21], v[8:9], v[20:21]
	s_waitcnt vmcnt(2) lgkmcnt(0)
	v_mul_f64 v[30:31], v[24:25], v[187:188]
	v_add_f64 v[16:17], v[28:29], v[26:27]
	v_mul_f64 v[28:29], v[22:23], v[187:188]
	v_add_f64 v[26:27], v[34:35], v[38:39]
	v_fma_f64 v[34:35], v[8:9], v[18:19], v[44:45]
	v_fma_f64 v[18:19], v[6:7], v[18:19], -v[20:21]
	v_fma_f64 v[22:23], v[22:23], v[185:186], -v[30:31]
	v_add_f64 v[20:21], v[16:17], v[14:15]
	ds_load_b128 v[6:9], v1 offset:1952
	ds_load_b128 v[14:17], v1 offset:1968
	v_add_f64 v[26:27], v[26:27], v[32:33]
	v_fma_f64 v[24:25], v[24:25], v[185:186], v[28:29]
	s_waitcnt vmcnt(1) lgkmcnt(1)
	v_mul_f64 v[32:33], v[6:7], v[12:13]
	v_mul_f64 v[12:13], v[8:9], v[12:13]
	s_waitcnt vmcnt(0) lgkmcnt(0)
	v_mul_f64 v[28:29], v[16:17], v[42:43]
	v_add_f64 v[18:19], v[20:21], v[18:19]
	v_add_f64 v[20:21], v[26:27], v[34:35]
	v_mul_f64 v[26:27], v[14:15], v[42:43]
	v_fma_f64 v[8:9], v[8:9], v[10:11], v[32:33]
	v_fma_f64 v[6:7], v[6:7], v[10:11], -v[12:13]
	v_fma_f64 v[14:15], v[14:15], v[40:41], -v[28:29]
	v_add_f64 v[10:11], v[18:19], v[22:23]
	v_add_f64 v[12:13], v[20:21], v[24:25]
	v_fma_f64 v[16:17], v[16:17], v[40:41], v[26:27]
	s_delay_alu instid0(VALU_DEP_3) | instskip(NEXT) | instid1(VALU_DEP_3)
	v_add_f64 v[6:7], v[10:11], v[6:7]
	v_add_f64 v[8:9], v[12:13], v[8:9]
	s_delay_alu instid0(VALU_DEP_2) | instskip(NEXT) | instid1(VALU_DEP_2)
	v_add_f64 v[6:7], v[6:7], v[14:15]
	v_add_f64 v[8:9], v[8:9], v[16:17]
	s_delay_alu instid0(VALU_DEP_2) | instskip(NEXT) | instid1(VALU_DEP_2)
	v_add_f64 v[1:2], v[2:3], -v[6:7]
	v_add_f64 v[3:4], v[4:5], -v[8:9]
	scratch_store_b128 off, v[1:4], off offset:176
	v_cmpx_lt_u32_e32 10, v174
	s_cbranch_execz .LBB125_377
; %bb.376:
	scratch_load_b32 v1, off, off offset:1188 ; 4-byte Folded Reload
	v_mov_b32_e32 v5, 0
	s_delay_alu instid0(VALU_DEP_1)
	v_mov_b32_e32 v6, v5
	v_mov_b32_e32 v7, v5
	;; [unrolled: 1-line block ×3, first 2 shown]
	s_waitcnt vmcnt(0)
	scratch_load_b128 v[1:4], v1, off
	scratch_store_b128 off, v[5:8], off offset:160
	s_waitcnt vmcnt(0)
	ds_store_b128 v255, v[1:4]
.LBB125_377:
	s_or_b32 exec_lo, exec_lo, s2
	s_waitcnt lgkmcnt(0)
	s_waitcnt_vscnt null, 0x0
	s_barrier
	buffer_gl0_inv
	s_clause 0x7
	scratch_load_b128 v[34:37], off, off offset:176
	scratch_load_b128 v[38:41], off, off offset:192
	;; [unrolled: 1-line block ×8, first 2 shown]
	v_mov_b32_e32 v1, 0
	s_mov_b32 s2, exec_lo
	ds_load_b128 v[46:49], v1 offset:1168
	s_clause 0x2
	scratch_load_b128 v[14:17], off, off offset:304
	scratch_load_b128 v[2:5], off, off offset:160
	;; [unrolled: 1-line block ×3, first 2 shown]
	ds_load_b128 v[42:45], v1 offset:1184
	ds_load_b128 v[189:192], v1 offset:1216
	;; [unrolled: 1-line block ×3, first 2 shown]
	s_waitcnt vmcnt(10) lgkmcnt(3)
	v_mul_f64 v[52:53], v[48:49], v[36:37]
	v_mul_f64 v[36:37], v[46:47], v[36:37]
	s_delay_alu instid0(VALU_DEP_2) | instskip(NEXT) | instid1(VALU_DEP_2)
	v_fma_f64 v[52:53], v[46:47], v[34:35], -v[52:53]
	v_fma_f64 v[56:57], v[48:49], v[34:35], v[36:37]
	ds_load_b128 v[34:37], v1 offset:1200
	s_waitcnt vmcnt(9) lgkmcnt(3)
	v_mul_f64 v[54:55], v[42:43], v[40:41]
	v_mul_f64 v[40:41], v[44:45], v[40:41]
	scratch_load_b128 v[46:49], off, off offset:336
	s_waitcnt vmcnt(9) lgkmcnt(0)
	v_mul_f64 v[58:59], v[34:35], v[32:33]
	v_mul_f64 v[32:33], v[36:37], v[32:33]
	v_add_f64 v[52:53], v[52:53], 0
	v_fma_f64 v[44:45], v[44:45], v[38:39], v[54:55]
	v_fma_f64 v[42:43], v[42:43], v[38:39], -v[40:41]
	v_add_f64 v[54:55], v[56:57], 0
	scratch_load_b128 v[38:41], off, off offset:352
	v_fma_f64 v[36:37], v[36:37], v[30:31], v[58:59]
	v_fma_f64 v[58:59], v[34:35], v[30:31], -v[32:33]
	scratch_load_b128 v[32:35], off, off offset:368
	v_add_f64 v[52:53], v[52:53], v[42:43]
	v_add_f64 v[54:55], v[54:55], v[44:45]
	ds_load_b128 v[42:45], v1 offset:1248
	s_waitcnt vmcnt(10)
	v_mul_f64 v[56:57], v[189:190], v[28:29]
	v_mul_f64 v[60:61], v[191:192], v[28:29]
	ds_load_b128 v[28:31], v1 offset:1232
	v_add_f64 v[52:53], v[52:53], v[58:59]
	v_add_f64 v[36:37], v[54:55], v[36:37]
	s_waitcnt vmcnt(8) lgkmcnt(1)
	v_mul_f64 v[54:55], v[42:43], v[20:21]
	v_fma_f64 v[56:57], v[191:192], v[26:27], v[56:57]
	v_fma_f64 v[60:61], v[189:190], v[26:27], -v[60:61]
	ds_load_b128 v[189:192], v1 offset:1280
	s_waitcnt lgkmcnt(1)
	v_mul_f64 v[62:63], v[28:29], v[24:25]
	v_mul_f64 v[64:65], v[30:31], v[24:25]
	scratch_load_b128 v[24:27], off, off offset:384
	v_mul_f64 v[58:59], v[44:45], v[20:21]
	v_fma_f64 v[54:55], v[44:45], v[18:19], v[54:55]
	v_add_f64 v[36:37], v[36:37], v[56:57]
	v_add_f64 v[52:53], v[52:53], v[60:61]
	s_waitcnt vmcnt(7) lgkmcnt(0)
	v_mul_f64 v[60:61], v[191:192], v[8:9]
	v_fma_f64 v[62:63], v[30:31], v[22:23], v[62:63]
	v_fma_f64 v[64:65], v[28:29], v[22:23], -v[64:65]
	scratch_load_b128 v[28:31], off, off offset:400
	ds_load_b128 v[20:23], v1 offset:1264
	v_fma_f64 v[18:19], v[42:43], v[18:19], -v[58:59]
	v_mul_f64 v[58:59], v[189:190], v[8:9]
	scratch_load_b128 v[42:45], off, off offset:416
	s_waitcnt lgkmcnt(0)
	v_mul_f64 v[56:57], v[20:21], v[12:13]
	v_mul_f64 v[12:13], v[22:23], v[12:13]
	v_add_f64 v[36:37], v[36:37], v[62:63]
	v_add_f64 v[52:53], v[52:53], v[64:65]
	s_delay_alu instid0(VALU_DEP_4) | instskip(NEXT) | instid1(VALU_DEP_4)
	v_fma_f64 v[22:23], v[22:23], v[10:11], v[56:57]
	v_fma_f64 v[12:13], v[20:21], v[10:11], -v[12:13]
	ds_load_b128 v[8:11], v1 offset:1296
	v_fma_f64 v[56:57], v[191:192], v[6:7], v[58:59]
	v_fma_f64 v[6:7], v[189:190], v[6:7], -v[60:61]
	scratch_load_b128 v[189:192], off, off offset:448
	v_add_f64 v[36:37], v[36:37], v[54:55]
	v_add_f64 v[52:53], v[52:53], v[18:19]
	scratch_load_b128 v[18:21], off, off offset:432
	v_add_f64 v[22:23], v[36:37], v[22:23]
	v_add_f64 v[12:13], v[52:53], v[12:13]
	s_waitcnt vmcnt(8)
	v_mul_f64 v[36:37], v[193:194], v[187:188]
	v_mul_f64 v[52:53], v[195:196], v[187:188]
	s_delay_alu instid0(VALU_DEP_4) | instskip(NEXT) | instid1(VALU_DEP_4)
	v_add_f64 v[22:23], v[22:23], v[56:57]
	v_add_f64 v[60:61], v[12:13], v[6:7]
	s_delay_alu instid0(VALU_DEP_4) | instskip(NEXT) | instid1(VALU_DEP_4)
	v_fma_f64 v[36:37], v[195:196], v[185:186], v[36:37]
	v_fma_f64 v[52:53], v[193:194], v[185:186], -v[52:53]
	ds_load_b128 v[193:196], v1 offset:1376
	s_waitcnt lgkmcnt(1)
	v_mul_f64 v[54:55], v[8:9], v[16:17]
	v_mul_f64 v[16:17], v[10:11], v[16:17]
	scratch_load_b128 v[185:188], off, off offset:480
	v_fma_f64 v[54:55], v[10:11], v[14:15], v[54:55]
	v_fma_f64 v[58:59], v[8:9], v[14:15], -v[16:17]
	ds_load_b128 v[6:9], v1 offset:1328
	ds_load_b128 v[14:17], v1 offset:1344
	scratch_load_b128 v[10:13], off, off offset:464
	s_waitcnt vmcnt(9) lgkmcnt(1)
	v_mul_f64 v[56:57], v[6:7], v[48:49]
	v_mul_f64 v[48:49], v[8:9], v[48:49]
	v_add_f64 v[22:23], v[22:23], v[54:55]
	v_add_f64 v[58:59], v[60:61], v[58:59]
	s_waitcnt vmcnt(8) lgkmcnt(0)
	v_mul_f64 v[54:55], v[14:15], v[40:41]
	v_mul_f64 v[40:41], v[16:17], v[40:41]
	v_fma_f64 v[56:57], v[8:9], v[46:47], v[56:57]
	v_fma_f64 v[60:61], v[6:7], v[46:47], -v[48:49]
	ds_load_b128 v[6:9], v1 offset:1360
	scratch_load_b128 v[46:49], off, off offset:496
	v_add_f64 v[22:23], v[22:23], v[36:37]
	v_add_f64 v[52:53], v[58:59], v[52:53]
	v_fma_f64 v[54:55], v[16:17], v[38:39], v[54:55]
	v_fma_f64 v[38:39], v[14:15], v[38:39], -v[40:41]
	scratch_load_b128 v[14:17], off, off offset:512
	v_add_f64 v[22:23], v[22:23], v[56:57]
	v_add_f64 v[40:41], v[52:53], v[60:61]
	s_waitcnt vmcnt(8)
	v_mul_f64 v[52:53], v[193:194], v[26:27]
	v_mul_f64 v[26:27], v[195:196], v[26:27]
	s_delay_alu instid0(VALU_DEP_4) | instskip(NEXT) | instid1(VALU_DEP_4)
	v_add_f64 v[22:23], v[22:23], v[54:55]
	v_add_f64 v[40:41], v[40:41], v[38:39]
	s_delay_alu instid0(VALU_DEP_4) | instskip(NEXT) | instid1(VALU_DEP_4)
	v_fma_f64 v[52:53], v[195:196], v[24:25], v[52:53]
	v_fma_f64 v[26:27], v[193:194], v[24:25], -v[26:27]
	ds_load_b128 v[193:196], v1 offset:1440
	s_waitcnt lgkmcnt(1)
	v_mul_f64 v[36:37], v[6:7], v[34:35]
	v_mul_f64 v[34:35], v[8:9], v[34:35]
	s_delay_alu instid0(VALU_DEP_2) | instskip(NEXT) | instid1(VALU_DEP_2)
	v_fma_f64 v[56:57], v[8:9], v[32:33], v[36:37]
	v_fma_f64 v[58:59], v[6:7], v[32:33], -v[34:35]
	scratch_load_b128 v[32:35], off, off offset:528
	ds_load_b128 v[6:9], v1 offset:1392
	ds_load_b128 v[36:39], v1 offset:1408
	s_waitcnt vmcnt(8) lgkmcnt(1)
	v_mul_f64 v[54:55], v[6:7], v[30:31]
	v_mul_f64 v[30:31], v[8:9], v[30:31]
	v_add_f64 v[56:57], v[22:23], v[56:57]
	v_add_f64 v[40:41], v[40:41], v[58:59]
	s_waitcnt vmcnt(7) lgkmcnt(0)
	v_mul_f64 v[58:59], v[36:37], v[44:45]
	v_mul_f64 v[44:45], v[38:39], v[44:45]
	scratch_load_b128 v[22:25], off, off offset:544
	v_fma_f64 v[54:55], v[8:9], v[28:29], v[54:55]
	v_fma_f64 v[30:31], v[6:7], v[28:29], -v[30:31]
	ds_load_b128 v[6:9], v1 offset:1424
	v_add_f64 v[52:53], v[56:57], v[52:53]
	v_add_f64 v[40:41], v[40:41], v[26:27]
	v_fma_f64 v[58:59], v[38:39], v[42:43], v[58:59]
	v_fma_f64 v[42:43], v[36:37], v[42:43], -v[44:45]
	s_clause 0x1
	scratch_load_b128 v[26:29], off, off offset:560
	scratch_load_b128 v[36:39], off, off offset:576
	s_waitcnt vmcnt(9)
	v_mul_f64 v[44:45], v[193:194], v[191:192]
	v_add_f64 v[30:31], v[40:41], v[30:31]
	v_add_f64 v[40:41], v[52:53], v[54:55]
	v_mul_f64 v[52:53], v[195:196], v[191:192]
	s_delay_alu instid0(VALU_DEP_4) | instskip(NEXT) | instid1(VALU_DEP_4)
	v_fma_f64 v[44:45], v[195:196], v[189:190], v[44:45]
	v_add_f64 v[30:31], v[30:31], v[42:43]
	s_delay_alu instid0(VALU_DEP_4)
	v_add_f64 v[58:59], v[40:41], v[58:59]
	ds_load_b128 v[40:43], v1 offset:1472
	s_waitcnt vmcnt(8) lgkmcnt(1)
	v_mul_f64 v[56:57], v[6:7], v[20:21]
	v_mul_f64 v[20:21], v[8:9], v[20:21]
	v_fma_f64 v[52:53], v[193:194], v[189:190], -v[52:53]
	scratch_load_b128 v[189:192], off, off offset:608
	ds_load_b128 v[193:196], v1 offset:1504
	v_fma_f64 v[54:55], v[8:9], v[18:19], v[56:57]
	v_fma_f64 v[56:57], v[6:7], v[18:19], -v[20:21]
	ds_load_b128 v[6:9], v1 offset:1456
	scratch_load_b128 v[18:21], off, off offset:592
	s_waitcnt vmcnt(8) lgkmcnt(0)
	v_mul_f64 v[60:61], v[6:7], v[12:13]
	v_mul_f64 v[12:13], v[8:9], v[12:13]
	v_add_f64 v[54:55], v[58:59], v[54:55]
	v_add_f64 v[30:31], v[30:31], v[56:57]
	v_mul_f64 v[56:57], v[40:41], v[187:188]
	v_mul_f64 v[58:59], v[42:43], v[187:188]
	v_fma_f64 v[60:61], v[8:9], v[10:11], v[60:61]
	v_fma_f64 v[62:63], v[6:7], v[10:11], -v[12:13]
	ds_load_b128 v[6:9], v1 offset:1488
	scratch_load_b128 v[10:13], off, off offset:624
	v_add_f64 v[44:45], v[54:55], v[44:45]
	v_add_f64 v[30:31], v[30:31], v[52:53]
	v_fma_f64 v[54:55], v[42:43], v[185:186], v[56:57]
	v_fma_f64 v[56:57], v[40:41], v[185:186], -v[58:59]
	ds_load_b128 v[185:188], v1 offset:1536
	scratch_load_b128 v[40:43], off, off offset:640
	s_waitcnt vmcnt(9) lgkmcnt(1)
	v_mul_f64 v[52:53], v[6:7], v[48:49]
	v_mul_f64 v[48:49], v[8:9], v[48:49]
	s_waitcnt vmcnt(8)
	v_mul_f64 v[58:59], v[193:194], v[16:17]
	v_mul_f64 v[16:17], v[195:196], v[16:17]
	v_add_f64 v[44:45], v[44:45], v[60:61]
	v_add_f64 v[30:31], v[30:31], v[62:63]
	v_fma_f64 v[52:53], v[8:9], v[46:47], v[52:53]
	v_fma_f64 v[48:49], v[6:7], v[46:47], -v[48:49]
	ds_load_b128 v[6:9], v1 offset:1520
	v_fma_f64 v[58:59], v[195:196], v[14:15], v[58:59]
	v_fma_f64 v[60:61], v[193:194], v[14:15], -v[16:17]
	ds_load_b128 v[193:196], v1 offset:1568
	scratch_load_b128 v[14:17], off, off offset:672
	v_add_f64 v[54:55], v[44:45], v[54:55]
	v_add_f64 v[30:31], v[30:31], v[56:57]
	scratch_load_b128 v[44:47], off, off offset:656
	s_waitcnt vmcnt(9) lgkmcnt(1)
	v_mul_f64 v[56:57], v[6:7], v[34:35]
	v_mul_f64 v[34:35], v[8:9], v[34:35]
	v_add_f64 v[30:31], v[30:31], v[48:49]
	v_add_f64 v[48:49], v[54:55], v[52:53]
	s_waitcnt vmcnt(8)
	v_mul_f64 v[52:53], v[185:186], v[24:25]
	v_mul_f64 v[24:25], v[187:188], v[24:25]
	v_fma_f64 v[54:55], v[8:9], v[32:33], v[56:57]
	v_fma_f64 v[34:35], v[6:7], v[32:33], -v[34:35]
	ds_load_b128 v[6:9], v1 offset:1552
	v_add_f64 v[56:57], v[30:31], v[60:61]
	v_add_f64 v[48:49], v[48:49], v[58:59]
	scratch_load_b128 v[30:33], off, off offset:688
	v_fma_f64 v[52:53], v[187:188], v[22:23], v[52:53]
	v_fma_f64 v[60:61], v[185:186], v[22:23], -v[24:25]
	ds_load_b128 v[185:188], v1 offset:1600
	s_waitcnt vmcnt(8) lgkmcnt(1)
	v_mul_f64 v[58:59], v[6:7], v[28:29]
	v_mul_f64 v[28:29], v[8:9], v[28:29]
	scratch_load_b128 v[22:25], off, off offset:704
	v_add_f64 v[34:35], v[56:57], v[34:35]
	v_add_f64 v[48:49], v[48:49], v[54:55]
	s_waitcnt vmcnt(8)
	v_mul_f64 v[54:55], v[193:194], v[38:39]
	v_mul_f64 v[38:39], v[195:196], v[38:39]
	v_fma_f64 v[56:57], v[8:9], v[26:27], v[58:59]
	v_fma_f64 v[58:59], v[6:7], v[26:27], -v[28:29]
	scratch_load_b128 v[26:29], off, off offset:720
	ds_load_b128 v[6:9], v1 offset:1584
	v_add_f64 v[34:35], v[34:35], v[60:61]
	v_add_f64 v[48:49], v[48:49], v[52:53]
	v_fma_f64 v[54:55], v[195:196], v[36:37], v[54:55]
	v_fma_f64 v[38:39], v[193:194], v[36:37], -v[38:39]
	s_waitcnt vmcnt(8) lgkmcnt(1)
	v_mul_f64 v[60:61], v[187:188], v[191:192]
	ds_load_b128 v[195:198], v1 offset:1664
	v_add_f64 v[58:59], v[34:35], v[58:59]
	v_add_f64 v[48:49], v[48:49], v[56:57]
	v_mul_f64 v[56:57], v[185:186], v[191:192]
	ds_load_b128 v[191:194], v1 offset:1632
	s_waitcnt vmcnt(7) lgkmcnt(2)
	v_mul_f64 v[52:53], v[6:7], v[20:21]
	v_mul_f64 v[20:21], v[8:9], v[20:21]
	scratch_load_b128 v[34:37], off, off offset:736
	v_add_f64 v[38:39], v[58:59], v[38:39]
	v_add_f64 v[48:49], v[48:49], v[54:55]
	v_fma_f64 v[56:57], v[187:188], v[189:190], v[56:57]
	v_fma_f64 v[58:59], v[185:186], v[189:190], -v[60:61]
	v_fma_f64 v[52:53], v[8:9], v[18:19], v[52:53]
	v_fma_f64 v[62:63], v[6:7], v[18:19], -v[20:21]
	scratch_load_b128 v[18:21], off, off offset:752
	ds_load_b128 v[6:9], v1 offset:1616
	scratch_load_b128 v[185:188], off, off offset:768
	s_waitcnt vmcnt(9) lgkmcnt(0)
	v_mul_f64 v[54:55], v[6:7], v[12:13]
	v_mul_f64 v[12:13], v[8:9], v[12:13]
	v_add_f64 v[48:49], v[48:49], v[52:53]
	v_add_f64 v[38:39], v[38:39], v[62:63]
	s_waitcnt vmcnt(8)
	v_mul_f64 v[52:53], v[191:192], v[42:43]
	v_mul_f64 v[42:43], v[193:194], v[42:43]
	v_fma_f64 v[54:55], v[8:9], v[10:11], v[54:55]
	v_fma_f64 v[60:61], v[6:7], v[10:11], -v[12:13]
	scratch_load_b128 v[10:13], off, off offset:784
	ds_load_b128 v[6:9], v1 offset:1648
	v_add_f64 v[48:49], v[48:49], v[56:57]
	v_add_f64 v[38:39], v[38:39], v[58:59]
	v_fma_f64 v[52:53], v[193:194], v[40:41], v[52:53]
	v_fma_f64 v[42:43], v[191:192], v[40:41], -v[42:43]
	ds_load_b128 v[189:192], v1 offset:1728
	s_waitcnt vmcnt(7) lgkmcnt(1)
	v_mul_f64 v[56:57], v[6:7], v[46:47]
	v_mul_f64 v[46:47], v[8:9], v[46:47]
	v_add_f64 v[48:49], v[48:49], v[54:55]
	v_add_f64 v[58:59], v[38:39], v[60:61]
	v_mul_f64 v[54:55], v[195:196], v[16:17]
	v_mul_f64 v[16:17], v[197:198], v[16:17]
	scratch_load_b128 v[38:41], off, off offset:800
	v_fma_f64 v[56:57], v[8:9], v[44:45], v[56:57]
	v_fma_f64 v[60:61], v[6:7], v[44:45], -v[46:47]
	ds_load_b128 v[6:9], v1 offset:1680
	v_add_f64 v[52:53], v[48:49], v[52:53]
	ds_load_b128 v[46:49], v1 offset:1696
	v_add_f64 v[58:59], v[58:59], v[42:43]
	v_fma_f64 v[54:55], v[197:198], v[14:15], v[54:55]
	v_fma_f64 v[64:65], v[195:196], v[14:15], -v[16:17]
	s_clause 0x1
	scratch_load_b128 v[42:45], off, off offset:816
	scratch_load_b128 v[14:17], off, off offset:832
	s_waitcnt vmcnt(9) lgkmcnt(1)
	v_mul_f64 v[62:63], v[6:7], v[32:33]
	v_mul_f64 v[32:33], v[8:9], v[32:33]
	v_add_f64 v[52:53], v[52:53], v[56:57]
	s_waitcnt vmcnt(8) lgkmcnt(0)
	v_mul_f64 v[56:57], v[46:47], v[24:25]
	v_add_f64 v[58:59], v[58:59], v[60:61]
	v_mul_f64 v[24:25], v[48:49], v[24:25]
	v_fma_f64 v[60:61], v[8:9], v[30:31], v[62:63]
	v_fma_f64 v[62:63], v[6:7], v[30:31], -v[32:33]
	scratch_load_b128 v[30:33], off, off offset:848
	ds_load_b128 v[6:9], v1 offset:1712
	v_add_f64 v[52:53], v[52:53], v[54:55]
	v_fma_f64 v[48:49], v[48:49], v[22:23], v[56:57]
	v_add_f64 v[58:59], v[58:59], v[64:65]
	v_fma_f64 v[46:47], v[46:47], v[22:23], -v[24:25]
	scratch_load_b128 v[22:25], off, off offset:864
	v_add_f64 v[52:53], v[52:53], v[60:61]
	v_add_f64 v[56:57], v[58:59], v[62:63]
	s_waitcnt vmcnt(8)
	v_mul_f64 v[58:59], v[189:190], v[36:37]
	v_mul_f64 v[36:37], v[191:192], v[36:37]
	s_delay_alu instid0(VALU_DEP_4) | instskip(NEXT) | instid1(VALU_DEP_4)
	v_add_f64 v[52:53], v[52:53], v[48:49]
	v_add_f64 v[56:57], v[56:57], v[46:47]
	ds_load_b128 v[46:49], v1 offset:1760
	s_waitcnt lgkmcnt(1)
	v_mul_f64 v[54:55], v[6:7], v[28:29]
	v_mul_f64 v[28:29], v[8:9], v[28:29]
	v_fma_f64 v[58:59], v[191:192], v[34:35], v[58:59]
	v_fma_f64 v[64:65], v[189:190], v[34:35], -v[36:37]
	scratch_load_b128 v[34:37], off, off offset:896
	ds_load_b128 v[191:194], v1 offset:1824
	v_fma_f64 v[54:55], v[8:9], v[26:27], v[54:55]
	v_fma_f64 v[60:61], v[6:7], v[26:27], -v[28:29]
	ds_load_b128 v[6:9], v1 offset:1744
	scratch_load_b128 v[26:29], off, off offset:880
	v_add_f64 v[52:53], v[52:53], v[54:55]
	v_add_f64 v[56:57], v[56:57], v[60:61]
	s_waitcnt vmcnt(8) lgkmcnt(2)
	v_mul_f64 v[54:55], v[46:47], v[187:188]
	v_mul_f64 v[60:61], v[48:49], v[187:188]
	ds_load_b128 v[187:190], v1 offset:1792
	s_waitcnt lgkmcnt(1)
	v_mul_f64 v[62:63], v[6:7], v[20:21]
	v_mul_f64 v[20:21], v[8:9], v[20:21]
	v_add_f64 v[52:53], v[52:53], v[58:59]
	v_add_f64 v[56:57], v[56:57], v[64:65]
	v_fma_f64 v[54:55], v[48:49], v[185:186], v[54:55]
	v_fma_f64 v[60:61], v[46:47], v[185:186], -v[60:61]
	scratch_load_b128 v[46:49], off, off offset:928
	v_fma_f64 v[62:63], v[8:9], v[18:19], v[62:63]
	v_fma_f64 v[66:67], v[6:7], v[18:19], -v[20:21]
	ds_load_b128 v[6:9], v1 offset:1776
	scratch_load_b128 v[18:21], off, off offset:912
	s_waitcnt vmcnt(9) lgkmcnt(0)
	v_mul_f64 v[58:59], v[6:7], v[12:13]
	v_mul_f64 v[12:13], v[8:9], v[12:13]
	v_add_f64 v[52:53], v[52:53], v[62:63]
	v_add_f64 v[56:57], v[56:57], v[66:67]
	s_waitcnt vmcnt(8)
	v_mul_f64 v[62:63], v[187:188], v[40:41]
	v_mul_f64 v[40:41], v[189:190], v[40:41]
	v_fma_f64 v[58:59], v[8:9], v[10:11], v[58:59]
	v_fma_f64 v[64:65], v[6:7], v[10:11], -v[12:13]
	ds_load_b128 v[6:9], v1 offset:1808
	scratch_load_b128 v[10:13], off, off offset:944
	v_add_f64 v[52:53], v[52:53], v[54:55]
	v_add_f64 v[56:57], v[56:57], v[60:61]
	v_fma_f64 v[60:61], v[189:190], v[38:39], v[62:63]
	v_fma_f64 v[62:63], v[187:188], v[38:39], -v[40:41]
	ds_load_b128 v[185:188], v1 offset:1856
	scratch_load_b128 v[38:41], off, off offset:960
	s_waitcnt vmcnt(9) lgkmcnt(1)
	v_mul_f64 v[54:55], v[6:7], v[44:45]
	v_mul_f64 v[44:45], v[8:9], v[44:45]
	v_add_f64 v[52:53], v[52:53], v[58:59]
	v_add_f64 v[56:57], v[56:57], v[64:65]
	s_waitcnt vmcnt(8)
	v_mul_f64 v[58:59], v[191:192], v[16:17]
	v_mul_f64 v[16:17], v[193:194], v[16:17]
	v_fma_f64 v[54:55], v[8:9], v[42:43], v[54:55]
	v_fma_f64 v[64:65], v[6:7], v[42:43], -v[44:45]
	scratch_load_b128 v[42:45], off, off offset:976
	ds_load_b128 v[6:9], v1 offset:1840
	v_add_f64 v[52:53], v[52:53], v[60:61]
	v_add_f64 v[56:57], v[56:57], v[62:63]
	s_waitcnt vmcnt(8) lgkmcnt(0)
	v_mul_f64 v[60:61], v[6:7], v[32:33]
	v_mul_f64 v[32:33], v[8:9], v[32:33]
	v_fma_f64 v[58:59], v[193:194], v[14:15], v[58:59]
	v_fma_f64 v[14:15], v[191:192], v[14:15], -v[16:17]
	v_add_f64 v[52:53], v[52:53], v[54:55]
	v_add_f64 v[16:17], v[56:57], v[64:65]
	s_waitcnt vmcnt(7)
	v_mul_f64 v[54:55], v[185:186], v[24:25]
	v_mul_f64 v[24:25], v[187:188], v[24:25]
	v_fma_f64 v[56:57], v[8:9], v[30:31], v[60:61]
	v_fma_f64 v[30:31], v[6:7], v[30:31], -v[32:33]
	v_add_f64 v[52:53], v[52:53], v[58:59]
	v_add_f64 v[32:33], v[16:17], v[14:15]
	ds_load_b128 v[6:9], v1 offset:1872
	ds_load_b128 v[14:17], v1 offset:1888
	v_fma_f64 v[54:55], v[187:188], v[22:23], v[54:55]
	v_fma_f64 v[22:23], v[185:186], v[22:23], -v[24:25]
	s_waitcnt vmcnt(5) lgkmcnt(1)
	v_mul_f64 v[58:59], v[6:7], v[28:29]
	v_mul_f64 v[28:29], v[8:9], v[28:29]
	v_add_f64 v[24:25], v[32:33], v[30:31]
	v_add_f64 v[30:31], v[52:53], v[56:57]
	s_waitcnt lgkmcnt(0)
	v_mul_f64 v[32:33], v[14:15], v[36:37]
	v_mul_f64 v[36:37], v[16:17], v[36:37]
	v_fma_f64 v[52:53], v[8:9], v[26:27], v[58:59]
	v_fma_f64 v[26:27], v[6:7], v[26:27], -v[28:29]
	v_add_f64 v[28:29], v[24:25], v[22:23]
	v_add_f64 v[30:31], v[30:31], v[54:55]
	ds_load_b128 v[6:9], v1 offset:1904
	ds_load_b128 v[22:25], v1 offset:1920
	v_fma_f64 v[16:17], v[16:17], v[34:35], v[32:33]
	v_fma_f64 v[14:15], v[14:15], v[34:35], -v[36:37]
	s_waitcnt vmcnt(3) lgkmcnt(1)
	v_mul_f64 v[54:55], v[6:7], v[20:21]
	v_mul_f64 v[20:21], v[8:9], v[20:21]
	s_waitcnt lgkmcnt(0)
	v_mul_f64 v[32:33], v[24:25], v[48:49]
	v_add_f64 v[26:27], v[28:29], v[26:27]
	v_add_f64 v[28:29], v[30:31], v[52:53]
	v_mul_f64 v[30:31], v[22:23], v[48:49]
	v_fma_f64 v[34:35], v[8:9], v[18:19], v[54:55]
	v_fma_f64 v[18:19], v[6:7], v[18:19], -v[20:21]
	v_fma_f64 v[22:23], v[22:23], v[46:47], -v[32:33]
	v_add_f64 v[20:21], v[26:27], v[14:15]
	v_add_f64 v[26:27], v[28:29], v[16:17]
	ds_load_b128 v[6:9], v1 offset:1936
	ds_load_b128 v[14:17], v1 offset:1952
	v_fma_f64 v[24:25], v[24:25], v[46:47], v[30:31]
	s_waitcnt vmcnt(2) lgkmcnt(1)
	v_mul_f64 v[28:29], v[6:7], v[12:13]
	v_mul_f64 v[12:13], v[8:9], v[12:13]
	s_waitcnt vmcnt(1) lgkmcnt(0)
	v_mul_f64 v[30:31], v[16:17], v[40:41]
	v_add_f64 v[18:19], v[20:21], v[18:19]
	v_add_f64 v[20:21], v[26:27], v[34:35]
	v_mul_f64 v[26:27], v[14:15], v[40:41]
	v_fma_f64 v[28:29], v[8:9], v[10:11], v[28:29]
	v_fma_f64 v[10:11], v[6:7], v[10:11], -v[12:13]
	ds_load_b128 v[6:9], v1 offset:1968
	v_fma_f64 v[14:15], v[14:15], v[38:39], -v[30:31]
	v_add_f64 v[12:13], v[18:19], v[22:23]
	v_add_f64 v[18:19], v[20:21], v[24:25]
	v_fma_f64 v[16:17], v[16:17], v[38:39], v[26:27]
	s_waitcnt vmcnt(0) lgkmcnt(0)
	v_mul_f64 v[20:21], v[6:7], v[44:45]
	v_mul_f64 v[22:23], v[8:9], v[44:45]
	v_add_f64 v[10:11], v[12:13], v[10:11]
	v_add_f64 v[12:13], v[18:19], v[28:29]
	s_delay_alu instid0(VALU_DEP_4) | instskip(NEXT) | instid1(VALU_DEP_4)
	v_fma_f64 v[8:9], v[8:9], v[42:43], v[20:21]
	v_fma_f64 v[6:7], v[6:7], v[42:43], -v[22:23]
	s_delay_alu instid0(VALU_DEP_4) | instskip(NEXT) | instid1(VALU_DEP_4)
	v_add_f64 v[10:11], v[10:11], v[14:15]
	v_add_f64 v[12:13], v[12:13], v[16:17]
	s_delay_alu instid0(VALU_DEP_2) | instskip(NEXT) | instid1(VALU_DEP_2)
	v_add_f64 v[6:7], v[10:11], v[6:7]
	v_add_f64 v[8:9], v[12:13], v[8:9]
	s_delay_alu instid0(VALU_DEP_2) | instskip(NEXT) | instid1(VALU_DEP_2)
	v_add_f64 v[2:3], v[2:3], -v[6:7]
	v_add_f64 v[4:5], v[4:5], -v[8:9]
	scratch_store_b128 off, v[2:5], off offset:160
	v_cmpx_lt_u32_e32 9, v174
	s_cbranch_execz .LBB125_379
; %bb.378:
	scratch_load_b32 v2, off, off offset:1196 ; 4-byte Folded Reload
	v_mov_b32_e32 v3, v1
	v_mov_b32_e32 v4, v1
	s_waitcnt vmcnt(0)
	scratch_load_b128 v[5:8], v2, off
	v_mov_b32_e32 v2, v1
	scratch_store_b128 off, v[1:4], off offset:144
	s_waitcnt vmcnt(0)
	ds_store_b128 v255, v[5:8]
.LBB125_379:
	s_or_b32 exec_lo, exec_lo, s2
	s_waitcnt lgkmcnt(0)
	s_waitcnt_vscnt null, 0x0
	s_barrier
	buffer_gl0_inv
	s_clause 0x8
	scratch_load_b128 v[34:37], off, off offset:160
	scratch_load_b128 v[38:41], off, off offset:176
	scratch_load_b128 v[30:33], off, off offset:192
	scratch_load_b128 v[26:29], off, off offset:208
	scratch_load_b128 v[22:25], off, off offset:224
	scratch_load_b128 v[18:21], off, off offset:240
	scratch_load_b128 v[14:17], off, off offset:256
	scratch_load_b128 v[10:13], off, off offset:272
	scratch_load_b128 v[6:9], off, off offset:288
	ds_load_b128 v[46:49], v1 offset:1152
	ds_load_b128 v[42:45], v1 offset:1168
	s_clause 0x1
	scratch_load_b128 v[2:5], off, off offset:144
	scratch_load_b128 v[185:188], off, off offset:304
	s_mov_b32 s2, exec_lo
	ds_load_b128 v[189:192], v1 offset:1200
	ds_load_b128 v[195:198], v1 offset:1360
	s_waitcnt vmcnt(10) lgkmcnt(3)
	v_mul_f64 v[52:53], v[48:49], v[36:37]
	v_mul_f64 v[36:37], v[46:47], v[36:37]
	s_waitcnt vmcnt(9) lgkmcnt(2)
	v_mul_f64 v[54:55], v[42:43], v[40:41]
	v_mul_f64 v[40:41], v[44:45], v[40:41]
	s_waitcnt vmcnt(7) lgkmcnt(1)
	v_mul_f64 v[60:61], v[191:192], v[28:29]
	v_fma_f64 v[52:53], v[46:47], v[34:35], -v[52:53]
	v_fma_f64 v[56:57], v[48:49], v[34:35], v[36:37]
	ds_load_b128 v[34:37], v1 offset:1184
	scratch_load_b128 v[46:49], off, off offset:320
	v_fma_f64 v[44:45], v[44:45], v[38:39], v[54:55]
	v_fma_f64 v[42:43], v[42:43], v[38:39], -v[40:41]
	scratch_load_b128 v[38:41], off, off offset:336
	v_fma_f64 v[60:61], v[189:190], v[26:27], -v[60:61]
	s_waitcnt lgkmcnt(0)
	v_mul_f64 v[58:59], v[34:35], v[32:33]
	v_mul_f64 v[32:33], v[36:37], v[32:33]
	v_add_f64 v[52:53], v[52:53], 0
	v_add_f64 v[54:55], v[56:57], 0
	v_mul_f64 v[56:57], v[189:190], v[28:29]
	v_fma_f64 v[36:37], v[36:37], v[30:31], v[58:59]
	v_fma_f64 v[58:59], v[34:35], v[30:31], -v[32:33]
	ds_load_b128 v[28:31], v1 offset:1216
	scratch_load_b128 v[32:35], off, off offset:352
	v_add_f64 v[52:53], v[52:53], v[42:43]
	v_add_f64 v[54:55], v[54:55], v[44:45]
	ds_load_b128 v[42:45], v1 offset:1232
	v_fma_f64 v[56:57], v[191:192], v[26:27], v[56:57]
	ds_load_b128 v[189:192], v1 offset:1264
	s_waitcnt vmcnt(9) lgkmcnt(2)
	v_mul_f64 v[62:63], v[28:29], v[24:25]
	v_mul_f64 v[64:65], v[30:31], v[24:25]
	scratch_load_b128 v[24:27], off, off offset:368
	v_add_f64 v[52:53], v[52:53], v[58:59]
	v_add_f64 v[36:37], v[54:55], v[36:37]
	s_waitcnt vmcnt(9) lgkmcnt(1)
	v_mul_f64 v[54:55], v[42:43], v[20:21]
	v_mul_f64 v[58:59], v[44:45], v[20:21]
	v_fma_f64 v[62:63], v[30:31], v[22:23], v[62:63]
	v_fma_f64 v[64:65], v[28:29], v[22:23], -v[64:65]
	ds_load_b128 v[20:23], v1 offset:1248
	scratch_load_b128 v[28:31], off, off offset:384
	v_add_f64 v[52:53], v[52:53], v[60:61]
	v_add_f64 v[36:37], v[36:37], v[56:57]
	s_waitcnt vmcnt(9) lgkmcnt(0)
	v_mul_f64 v[56:57], v[20:21], v[16:17]
	v_mul_f64 v[60:61], v[22:23], v[16:17]
	v_fma_f64 v[44:45], v[44:45], v[18:19], v[54:55]
	v_fma_f64 v[42:43], v[42:43], v[18:19], -v[58:59]
	scratch_load_b128 v[16:19], off, off offset:400
	s_waitcnt vmcnt(9)
	v_mul_f64 v[54:55], v[189:190], v[12:13]
	v_mul_f64 v[58:59], v[191:192], v[12:13]
	v_add_f64 v[52:53], v[52:53], v[64:65]
	v_add_f64 v[36:37], v[36:37], v[62:63]
	v_fma_f64 v[56:57], v[22:23], v[14:15], v[56:57]
	v_fma_f64 v[60:61], v[20:21], v[14:15], -v[60:61]
	ds_load_b128 v[12:15], v1 offset:1280
	scratch_load_b128 v[20:23], off, off offset:416
	v_fma_f64 v[54:55], v[191:192], v[10:11], v[54:55]
	v_fma_f64 v[58:59], v[189:190], v[10:11], -v[58:59]
	ds_load_b128 v[191:194], v1 offset:1328
	v_add_f64 v[52:53], v[52:53], v[42:43]
	v_add_f64 v[36:37], v[36:37], v[44:45]
	ds_load_b128 v[42:45], v1 offset:1296
	s_waitcnt vmcnt(9) lgkmcnt(2)
	v_mul_f64 v[62:63], v[12:13], v[8:9]
	v_mul_f64 v[64:65], v[14:15], v[8:9]
	scratch_load_b128 v[8:11], off, off offset:432
	v_add_f64 v[52:53], v[52:53], v[60:61]
	v_add_f64 v[36:37], v[36:37], v[56:57]
	s_waitcnt vmcnt(8) lgkmcnt(0)
	v_mul_f64 v[56:57], v[42:43], v[187:188]
	v_mul_f64 v[60:61], v[44:45], v[187:188]
	v_fma_f64 v[62:63], v[14:15], v[6:7], v[62:63]
	v_fma_f64 v[6:7], v[12:13], v[6:7], -v[64:65]
	ds_load_b128 v[12:15], v1 offset:1312
	scratch_load_b128 v[187:190], off, off offset:448
	v_add_f64 v[52:53], v[52:53], v[58:59]
	v_add_f64 v[36:37], v[36:37], v[54:55]
	v_fma_f64 v[56:57], v[44:45], v[185:186], v[56:57]
	v_fma_f64 v[58:59], v[42:43], v[185:186], -v[60:61]
	scratch_load_b128 v[42:45], off, off offset:464
	s_waitcnt vmcnt(9) lgkmcnt(0)
	v_mul_f64 v[54:55], v[12:13], v[48:49]
	v_mul_f64 v[48:49], v[14:15], v[48:49]
	v_add_f64 v[6:7], v[52:53], v[6:7]
	v_add_f64 v[36:37], v[36:37], v[62:63]
	s_waitcnt vmcnt(8)
	v_mul_f64 v[52:53], v[191:192], v[40:41]
	v_mul_f64 v[40:41], v[193:194], v[40:41]
	v_fma_f64 v[54:55], v[14:15], v[46:47], v[54:55]
	v_fma_f64 v[60:61], v[12:13], v[46:47], -v[48:49]
	ds_load_b128 v[12:15], v1 offset:1344
	scratch_load_b128 v[46:49], off, off offset:480
	v_add_f64 v[6:7], v[6:7], v[58:59]
	v_add_f64 v[36:37], v[36:37], v[56:57]
	v_fma_f64 v[52:53], v[193:194], v[38:39], v[52:53]
	s_waitcnt vmcnt(8) lgkmcnt(0)
	v_mul_f64 v[56:57], v[12:13], v[34:35]
	v_mul_f64 v[58:59], v[14:15], v[34:35]
	v_fma_f64 v[38:39], v[191:192], v[38:39], -v[40:41]
	ds_load_b128 v[191:194], v1 offset:1392
	v_add_f64 v[6:7], v[6:7], v[60:61]
	v_add_f64 v[40:41], v[36:37], v[54:55]
	scratch_load_b128 v[34:37], off, off offset:496
	s_waitcnt vmcnt(8)
	v_mul_f64 v[54:55], v[195:196], v[26:27]
	v_mul_f64 v[26:27], v[197:198], v[26:27]
	v_fma_f64 v[56:57], v[14:15], v[32:33], v[56:57]
	v_fma_f64 v[32:33], v[12:13], v[32:33], -v[58:59]
	ds_load_b128 v[12:15], v1 offset:1376
	s_waitcnt vmcnt(7) lgkmcnt(0)
	v_mul_f64 v[58:59], v[12:13], v[30:31]
	v_mul_f64 v[30:31], v[14:15], v[30:31]
	v_add_f64 v[6:7], v[6:7], v[38:39]
	v_add_f64 v[52:53], v[40:41], v[52:53]
	scratch_load_b128 v[38:41], off, off offset:512
	v_fma_f64 v[54:55], v[197:198], v[24:25], v[54:55]
	v_fma_f64 v[60:61], v[195:196], v[24:25], -v[26:27]
	scratch_load_b128 v[24:27], off, off offset:528
	ds_load_b128 v[195:198], v1 offset:1424
	v_add_f64 v[6:7], v[6:7], v[32:33]
	v_add_f64 v[32:33], v[52:53], v[56:57]
	s_waitcnt vmcnt(8)
	v_mul_f64 v[52:53], v[191:192], v[18:19]
	v_mul_f64 v[18:19], v[193:194], v[18:19]
	v_fma_f64 v[56:57], v[14:15], v[28:29], v[58:59]
	v_fma_f64 v[58:59], v[12:13], v[28:29], -v[30:31]
	ds_load_b128 v[12:15], v1 offset:1408
	scratch_load_b128 v[28:31], off, off offset:544
	v_add_f64 v[6:7], v[6:7], v[60:61]
	v_add_f64 v[32:33], v[32:33], v[54:55]
	s_waitcnt vmcnt(8) lgkmcnt(0)
	v_mul_f64 v[54:55], v[12:13], v[22:23]
	v_mul_f64 v[22:23], v[14:15], v[22:23]
	v_fma_f64 v[52:53], v[193:194], v[16:17], v[52:53]
	v_fma_f64 v[60:61], v[191:192], v[16:17], -v[18:19]
	scratch_load_b128 v[16:19], off, off offset:560
	ds_load_b128 v[191:194], v1 offset:1456
	v_add_f64 v[6:7], v[6:7], v[58:59]
	v_add_f64 v[32:33], v[32:33], v[56:57]
	s_waitcnt vmcnt(8)
	v_mul_f64 v[56:57], v[195:196], v[10:11]
	v_mul_f64 v[58:59], v[197:198], v[10:11]
	v_fma_f64 v[14:15], v[14:15], v[20:21], v[54:55]
	v_fma_f64 v[54:55], v[12:13], v[20:21], -v[22:23]
	ds_load_b128 v[10:13], v1 offset:1440
	scratch_load_b128 v[20:23], off, off offset:576
	v_add_f64 v[6:7], v[6:7], v[60:61]
	v_add_f64 v[32:33], v[32:33], v[52:53]
	s_waitcnt vmcnt(8) lgkmcnt(0)
	v_mul_f64 v[52:53], v[10:11], v[189:190]
	v_mul_f64 v[60:61], v[12:13], v[189:190]
	v_fma_f64 v[56:57], v[197:198], v[8:9], v[56:57]
	v_fma_f64 v[58:59], v[195:196], v[8:9], -v[58:59]
	ds_load_b128 v[195:198], v1 offset:1488
	v_add_f64 v[54:55], v[6:7], v[54:55]
	scratch_load_b128 v[6:9], off, off offset:592
	v_add_f64 v[14:15], v[32:33], v[14:15]
	s_waitcnt vmcnt(8)
	v_mul_f64 v[32:33], v[191:192], v[44:45]
	v_mul_f64 v[44:45], v[193:194], v[44:45]
	v_fma_f64 v[52:53], v[12:13], v[187:188], v[52:53]
	v_fma_f64 v[60:61], v[10:11], v[187:188], -v[60:61]
	ds_load_b128 v[10:13], v1 offset:1472
	scratch_load_b128 v[185:188], off, off offset:608
	v_add_f64 v[54:55], v[54:55], v[58:59]
	v_add_f64 v[14:15], v[14:15], v[56:57]
	s_waitcnt vmcnt(8) lgkmcnt(0)
	v_mul_f64 v[56:57], v[10:11], v[48:49]
	v_mul_f64 v[48:49], v[12:13], v[48:49]
	v_fma_f64 v[32:33], v[193:194], v[42:43], v[32:33]
	v_fma_f64 v[58:59], v[191:192], v[42:43], -v[44:45]
	scratch_load_b128 v[42:45], off, off offset:624
	ds_load_b128 v[189:192], v1 offset:1520
	v_add_f64 v[54:55], v[54:55], v[60:61]
	v_add_f64 v[14:15], v[14:15], v[52:53]
	v_fma_f64 v[56:57], v[12:13], v[46:47], v[56:57]
	v_fma_f64 v[60:61], v[10:11], v[46:47], -v[48:49]
	ds_load_b128 v[10:13], v1 offset:1504
	scratch_load_b128 v[46:49], off, off offset:640
	s_waitcnt vmcnt(9)
	v_mul_f64 v[52:53], v[195:196], v[36:37]
	v_mul_f64 v[36:37], v[197:198], v[36:37]
	v_add_f64 v[54:55], v[54:55], v[58:59]
	v_add_f64 v[14:15], v[14:15], v[32:33]
	s_waitcnt vmcnt(8) lgkmcnt(0)
	v_mul_f64 v[58:59], v[10:11], v[40:41]
	v_mul_f64 v[40:41], v[12:13], v[40:41]
	v_fma_f64 v[52:53], v[197:198], v[34:35], v[52:53]
	v_fma_f64 v[36:37], v[195:196], v[34:35], -v[36:37]
	scratch_load_b128 v[32:35], off, off offset:656
	ds_load_b128 v[193:196], v1 offset:1552
	ds_load_b128 v[197:200], v1 offset:1648
	v_add_f64 v[54:55], v[54:55], v[60:61]
	v_add_f64 v[14:15], v[14:15], v[56:57]
	s_waitcnt vmcnt(8)
	v_mul_f64 v[56:57], v[189:190], v[26:27]
	v_mul_f64 v[26:27], v[191:192], v[26:27]
	v_fma_f64 v[58:59], v[12:13], v[38:39], v[58:59]
	v_fma_f64 v[40:41], v[10:11], v[38:39], -v[40:41]
	ds_load_b128 v[10:13], v1 offset:1536
	v_add_f64 v[54:55], v[54:55], v[36:37]
	scratch_load_b128 v[36:39], off, off offset:672
	v_add_f64 v[14:15], v[14:15], v[52:53]
	s_waitcnt vmcnt(8) lgkmcnt(0)
	v_mul_f64 v[52:53], v[10:11], v[30:31]
	v_mul_f64 v[30:31], v[12:13], v[30:31]
	v_fma_f64 v[56:57], v[191:192], v[24:25], v[56:57]
	v_fma_f64 v[60:61], v[189:190], v[24:25], -v[26:27]
	scratch_load_b128 v[24:27], off, off offset:688
	ds_load_b128 v[189:192], v1 offset:1584
	v_add_f64 v[40:41], v[54:55], v[40:41]
	s_waitcnt vmcnt(8)
	v_mul_f64 v[54:55], v[193:194], v[18:19]
	v_add_f64 v[14:15], v[14:15], v[58:59]
	v_mul_f64 v[18:19], v[195:196], v[18:19]
	v_fma_f64 v[52:53], v[12:13], v[28:29], v[52:53]
	v_fma_f64 v[58:59], v[10:11], v[28:29], -v[30:31]
	ds_load_b128 v[10:13], v1 offset:1568
	scratch_load_b128 v[28:31], off, off offset:704
	v_add_f64 v[40:41], v[40:41], v[60:61]
	v_fma_f64 v[54:55], v[195:196], v[16:17], v[54:55]
	v_add_f64 v[14:15], v[14:15], v[56:57]
	s_waitcnt vmcnt(8) lgkmcnt(0)
	v_mul_f64 v[56:57], v[10:11], v[22:23]
	v_mul_f64 v[22:23], v[12:13], v[22:23]
	v_fma_f64 v[18:19], v[193:194], v[16:17], -v[18:19]
	ds_load_b128 v[193:196], v1 offset:1616
	v_add_f64 v[40:41], v[40:41], v[58:59]
	v_add_f64 v[52:53], v[14:15], v[52:53]
	scratch_load_b128 v[14:17], off, off offset:720
	v_fma_f64 v[12:13], v[12:13], v[20:21], v[56:57]
	v_fma_f64 v[22:23], v[10:11], v[20:21], -v[22:23]
	s_waitcnt vmcnt(8)
	v_mul_f64 v[58:59], v[189:190], v[8:9]
	v_mul_f64 v[60:61], v[191:192], v[8:9]
	ds_load_b128 v[8:11], v1 offset:1600
	v_add_f64 v[40:41], v[40:41], v[18:19]
	scratch_load_b128 v[18:21], off, off offset:736
	v_add_f64 v[52:53], v[52:53], v[54:55]
	s_waitcnt vmcnt(8) lgkmcnt(0)
	v_mul_f64 v[54:55], v[8:9], v[187:188]
	v_mul_f64 v[56:57], v[10:11], v[187:188]
	v_fma_f64 v[58:59], v[191:192], v[6:7], v[58:59]
	v_fma_f64 v[6:7], v[189:190], v[6:7], -v[60:61]
	scratch_load_b128 v[187:190], off, off offset:752
	v_add_f64 v[22:23], v[40:41], v[22:23]
	s_waitcnt vmcnt(8)
	v_mul_f64 v[40:41], v[193:194], v[44:45]
	v_add_f64 v[12:13], v[52:53], v[12:13]
	v_mul_f64 v[44:45], v[195:196], v[44:45]
	v_fma_f64 v[52:53], v[10:11], v[185:186], v[54:55]
	v_fma_f64 v[54:55], v[8:9], v[185:186], -v[56:57]
	v_add_f64 v[22:23], v[22:23], v[6:7]
	ds_load_b128 v[6:9], v1 offset:1632
	v_add_f64 v[56:57], v[12:13], v[58:59]
	scratch_load_b128 v[10:13], off, off offset:768
	v_fma_f64 v[60:61], v[195:196], v[42:43], v[40:41]
	v_fma_f64 v[44:45], v[193:194], v[42:43], -v[44:45]
	scratch_load_b128 v[40:43], off, off offset:784
	ds_load_b128 v[191:194], v1 offset:1680
	s_waitcnt vmcnt(9) lgkmcnt(1)
	v_mul_f64 v[58:59], v[6:7], v[48:49]
	v_mul_f64 v[48:49], v[8:9], v[48:49]
	v_add_f64 v[22:23], v[22:23], v[54:55]
	s_waitcnt vmcnt(8)
	v_mul_f64 v[54:55], v[197:198], v[34:35]
	v_add_f64 v[52:53], v[56:57], v[52:53]
	v_mul_f64 v[34:35], v[199:200], v[34:35]
	v_fma_f64 v[56:57], v[8:9], v[46:47], v[58:59]
	v_fma_f64 v[48:49], v[6:7], v[46:47], -v[48:49]
	ds_load_b128 v[6:9], v1 offset:1664
	v_add_f64 v[22:23], v[22:23], v[44:45]
	scratch_load_b128 v[44:47], off, off offset:800
	v_add_f64 v[52:53], v[52:53], v[60:61]
	v_fma_f64 v[54:55], v[199:200], v[32:33], v[54:55]
	v_fma_f64 v[60:61], v[197:198], v[32:33], -v[34:35]
	scratch_load_b128 v[32:35], off, off offset:816
	ds_load_b128 v[195:198], v1 offset:1712
	s_waitcnt vmcnt(9) lgkmcnt(1)
	v_mul_f64 v[58:59], v[6:7], v[38:39]
	v_mul_f64 v[38:39], v[8:9], v[38:39]
	v_add_f64 v[22:23], v[22:23], v[48:49]
	v_add_f64 v[48:49], v[52:53], v[56:57]
	s_waitcnt vmcnt(8)
	v_mul_f64 v[52:53], v[191:192], v[26:27]
	v_mul_f64 v[26:27], v[193:194], v[26:27]
	v_fma_f64 v[56:57], v[8:9], v[36:37], v[58:59]
	v_fma_f64 v[58:59], v[6:7], v[36:37], -v[38:39]
	ds_load_b128 v[6:9], v1 offset:1696
	scratch_load_b128 v[36:39], off, off offset:832
	v_add_f64 v[22:23], v[22:23], v[60:61]
	v_add_f64 v[48:49], v[48:49], v[54:55]
	s_waitcnt vmcnt(8) lgkmcnt(0)
	v_mul_f64 v[54:55], v[6:7], v[30:31]
	v_mul_f64 v[30:31], v[8:9], v[30:31]
	v_fma_f64 v[52:53], v[193:194], v[24:25], v[52:53]
	v_fma_f64 v[26:27], v[191:192], v[24:25], -v[26:27]
	ds_load_b128 v[191:194], v1 offset:1744
	v_add_f64 v[58:59], v[22:23], v[58:59]
	scratch_load_b128 v[22:25], off, off offset:848
	v_add_f64 v[48:49], v[48:49], v[56:57]
	v_fma_f64 v[54:55], v[8:9], v[28:29], v[54:55]
	v_fma_f64 v[30:31], v[6:7], v[28:29], -v[30:31]
	ds_load_b128 v[6:9], v1 offset:1728
	s_waitcnt vmcnt(8)
	v_mul_f64 v[56:57], v[195:196], v[16:17]
	v_mul_f64 v[16:17], v[197:198], v[16:17]
	v_add_f64 v[58:59], v[58:59], v[26:27]
	scratch_load_b128 v[26:29], off, off offset:864
	v_add_f64 v[48:49], v[48:49], v[52:53]
	s_waitcnt vmcnt(8) lgkmcnt(0)
	v_mul_f64 v[52:53], v[6:7], v[20:21]
	v_mul_f64 v[20:21], v[8:9], v[20:21]
	v_fma_f64 v[56:57], v[197:198], v[14:15], v[56:57]
	v_fma_f64 v[60:61], v[195:196], v[14:15], -v[16:17]
	scratch_load_b128 v[14:17], off, off offset:880
	ds_load_b128 v[195:198], v1 offset:1776
	v_add_f64 v[30:31], v[58:59], v[30:31]
	s_waitcnt vmcnt(8)
	v_mul_f64 v[58:59], v[193:194], v[189:190]
	v_add_f64 v[48:49], v[48:49], v[54:55]
	v_mul_f64 v[54:55], v[191:192], v[189:190]
	v_fma_f64 v[52:53], v[8:9], v[18:19], v[52:53]
	v_fma_f64 v[62:63], v[6:7], v[18:19], -v[20:21]
	ds_load_b128 v[6:9], v1 offset:1760
	scratch_load_b128 v[18:21], off, off offset:896
	v_add_f64 v[30:31], v[30:31], v[60:61]
	v_fma_f64 v[58:59], v[191:192], v[187:188], -v[58:59]
	v_add_f64 v[48:49], v[48:49], v[56:57]
	v_fma_f64 v[54:55], v[193:194], v[187:188], v[54:55]
	scratch_load_b128 v[185:188], off, off offset:912
	ds_load_b128 v[189:192], v1 offset:1808
	s_waitcnt vmcnt(9) lgkmcnt(1)
	v_mul_f64 v[56:57], v[6:7], v[12:13]
	v_mul_f64 v[12:13], v[8:9], v[12:13]
	v_add_f64 v[30:31], v[30:31], v[62:63]
	v_add_f64 v[48:49], v[48:49], v[52:53]
	s_waitcnt vmcnt(8)
	v_mul_f64 v[52:53], v[195:196], v[42:43]
	v_mul_f64 v[42:43], v[197:198], v[42:43]
	v_fma_f64 v[56:57], v[8:9], v[10:11], v[56:57]
	v_fma_f64 v[60:61], v[6:7], v[10:11], -v[12:13]
	ds_load_b128 v[6:9], v1 offset:1792
	scratch_load_b128 v[10:13], off, off offset:928
	v_add_f64 v[30:31], v[30:31], v[58:59]
	v_add_f64 v[48:49], v[48:49], v[54:55]
	v_fma_f64 v[52:53], v[197:198], v[40:41], v[52:53]
	v_fma_f64 v[58:59], v[195:196], v[40:41], -v[42:43]
	scratch_load_b128 v[40:43], off, off offset:944
	ds_load_b128 v[193:196], v1 offset:1840
	s_waitcnt vmcnt(9) lgkmcnt(1)
	v_mul_f64 v[54:55], v[6:7], v[46:47]
	v_mul_f64 v[46:47], v[8:9], v[46:47]
	v_add_f64 v[30:31], v[30:31], v[60:61]
	v_add_f64 v[48:49], v[48:49], v[56:57]
	s_waitcnt vmcnt(8)
	v_mul_f64 v[56:57], v[189:190], v[34:35]
	v_mul_f64 v[34:35], v[191:192], v[34:35]
	v_fma_f64 v[54:55], v[8:9], v[44:45], v[54:55]
	v_fma_f64 v[60:61], v[6:7], v[44:45], -v[46:47]
	ds_load_b128 v[6:9], v1 offset:1824
	scratch_load_b128 v[44:47], off, off offset:960
	v_add_f64 v[30:31], v[30:31], v[58:59]
	v_add_f64 v[48:49], v[48:49], v[52:53]
	s_waitcnt vmcnt(8) lgkmcnt(0)
	v_mul_f64 v[52:53], v[6:7], v[38:39]
	v_mul_f64 v[38:39], v[8:9], v[38:39]
	v_fma_f64 v[56:57], v[191:192], v[32:33], v[56:57]
	v_fma_f64 v[34:35], v[189:190], v[32:33], -v[34:35]
	v_add_f64 v[58:59], v[30:31], v[60:61]
	scratch_load_b128 v[30:33], off, off offset:976
	v_add_f64 v[48:49], v[48:49], v[54:55]
	v_fma_f64 v[52:53], v[8:9], v[36:37], v[52:53]
	v_fma_f64 v[38:39], v[6:7], v[36:37], -v[38:39]
	s_waitcnt vmcnt(8)
	v_mul_f64 v[54:55], v[193:194], v[24:25]
	v_mul_f64 v[24:25], v[195:196], v[24:25]
	v_add_f64 v[58:59], v[58:59], v[34:35]
	ds_load_b128 v[6:9], v1 offset:1856
	ds_load_b128 v[34:37], v1 offset:1872
	v_add_f64 v[48:49], v[48:49], v[56:57]
	v_fma_f64 v[54:55], v[195:196], v[22:23], v[54:55]
	v_fma_f64 v[22:23], v[193:194], v[22:23], -v[24:25]
	s_waitcnt vmcnt(7) lgkmcnt(1)
	v_mul_f64 v[56:57], v[6:7], v[28:29]
	v_mul_f64 v[28:29], v[8:9], v[28:29]
	v_add_f64 v[24:25], v[58:59], v[38:39]
	v_add_f64 v[38:39], v[48:49], v[52:53]
	s_waitcnt vmcnt(6) lgkmcnt(0)
	v_mul_f64 v[48:49], v[34:35], v[16:17]
	v_mul_f64 v[16:17], v[36:37], v[16:17]
	v_fma_f64 v[52:53], v[8:9], v[26:27], v[56:57]
	v_fma_f64 v[26:27], v[6:7], v[26:27], -v[28:29]
	v_add_f64 v[28:29], v[24:25], v[22:23]
	ds_load_b128 v[6:9], v1 offset:1888
	ds_load_b128 v[22:25], v1 offset:1904
	v_add_f64 v[38:39], v[38:39], v[54:55]
	v_fma_f64 v[36:37], v[36:37], v[14:15], v[48:49]
	v_fma_f64 v[14:15], v[34:35], v[14:15], -v[16:17]
	s_waitcnt vmcnt(5) lgkmcnt(1)
	v_mul_f64 v[54:55], v[6:7], v[20:21]
	v_mul_f64 v[20:21], v[8:9], v[20:21]
	s_waitcnt vmcnt(4) lgkmcnt(0)
	v_mul_f64 v[34:35], v[24:25], v[187:188]
	v_add_f64 v[16:17], v[28:29], v[26:27]
	v_mul_f64 v[28:29], v[22:23], v[187:188]
	v_add_f64 v[26:27], v[38:39], v[52:53]
	v_fma_f64 v[38:39], v[8:9], v[18:19], v[54:55]
	v_fma_f64 v[18:19], v[6:7], v[18:19], -v[20:21]
	v_fma_f64 v[22:23], v[22:23], v[185:186], -v[34:35]
	v_add_f64 v[20:21], v[16:17], v[14:15]
	ds_load_b128 v[6:9], v1 offset:1920
	ds_load_b128 v[14:17], v1 offset:1936
	v_add_f64 v[26:27], v[26:27], v[36:37]
	v_fma_f64 v[24:25], v[24:25], v[185:186], v[28:29]
	s_waitcnt vmcnt(3) lgkmcnt(1)
	v_mul_f64 v[36:37], v[6:7], v[12:13]
	v_mul_f64 v[12:13], v[8:9], v[12:13]
	s_waitcnt vmcnt(2) lgkmcnt(0)
	v_mul_f64 v[28:29], v[16:17], v[42:43]
	v_add_f64 v[18:19], v[20:21], v[18:19]
	v_add_f64 v[20:21], v[26:27], v[38:39]
	v_mul_f64 v[26:27], v[14:15], v[42:43]
	v_fma_f64 v[34:35], v[8:9], v[10:11], v[36:37]
	v_fma_f64 v[36:37], v[6:7], v[10:11], -v[12:13]
	ds_load_b128 v[6:9], v1 offset:1952
	ds_load_b128 v[10:13], v1 offset:1968
	v_fma_f64 v[14:15], v[14:15], v[40:41], -v[28:29]
	v_add_f64 v[18:19], v[18:19], v[22:23]
	v_add_f64 v[20:21], v[20:21], v[24:25]
	s_waitcnt vmcnt(1) lgkmcnt(1)
	v_mul_f64 v[22:23], v[6:7], v[46:47]
	v_mul_f64 v[24:25], v[8:9], v[46:47]
	v_fma_f64 v[16:17], v[16:17], v[40:41], v[26:27]
	v_add_f64 v[18:19], v[18:19], v[36:37]
	v_add_f64 v[20:21], v[20:21], v[34:35]
	v_fma_f64 v[8:9], v[8:9], v[44:45], v[22:23]
	v_fma_f64 v[6:7], v[6:7], v[44:45], -v[24:25]
	s_waitcnt vmcnt(0) lgkmcnt(0)
	v_mul_f64 v[26:27], v[10:11], v[32:33]
	v_mul_f64 v[28:29], v[12:13], v[32:33]
	v_add_f64 v[14:15], v[18:19], v[14:15]
	v_add_f64 v[16:17], v[20:21], v[16:17]
	s_delay_alu instid0(VALU_DEP_4) | instskip(NEXT) | instid1(VALU_DEP_4)
	v_fma_f64 v[12:13], v[12:13], v[30:31], v[26:27]
	v_fma_f64 v[10:11], v[10:11], v[30:31], -v[28:29]
	s_delay_alu instid0(VALU_DEP_4) | instskip(NEXT) | instid1(VALU_DEP_4)
	v_add_f64 v[6:7], v[14:15], v[6:7]
	v_add_f64 v[8:9], v[16:17], v[8:9]
	s_delay_alu instid0(VALU_DEP_2) | instskip(NEXT) | instid1(VALU_DEP_2)
	v_add_f64 v[6:7], v[6:7], v[10:11]
	v_add_f64 v[8:9], v[8:9], v[12:13]
	s_delay_alu instid0(VALU_DEP_2) | instskip(NEXT) | instid1(VALU_DEP_2)
	v_add_f64 v[1:2], v[2:3], -v[6:7]
	v_add_f64 v[3:4], v[4:5], -v[8:9]
	scratch_store_b128 off, v[1:4], off offset:144
	v_cmpx_lt_u32_e32 8, v174
	s_cbranch_execz .LBB125_381
; %bb.380:
	scratch_load_b32 v1, off, off offset:1200 ; 4-byte Folded Reload
	v_mov_b32_e32 v5, 0
	s_delay_alu instid0(VALU_DEP_1)
	v_mov_b32_e32 v6, v5
	v_mov_b32_e32 v7, v5
	;; [unrolled: 1-line block ×3, first 2 shown]
	s_waitcnt vmcnt(0)
	scratch_load_b128 v[1:4], v1, off
	scratch_store_b128 off, v[5:8], off offset:128
	s_waitcnt vmcnt(0)
	ds_store_b128 v255, v[1:4]
.LBB125_381:
	s_or_b32 exec_lo, exec_lo, s2
	s_waitcnt lgkmcnt(0)
	s_waitcnt_vscnt null, 0x0
	s_barrier
	buffer_gl0_inv
	s_clause 0x7
	scratch_load_b128 v[34:37], off, off offset:144
	scratch_load_b128 v[38:41], off, off offset:160
	scratch_load_b128 v[30:33], off, off offset:176
	scratch_load_b128 v[26:29], off, off offset:192
	scratch_load_b128 v[22:25], off, off offset:208
	scratch_load_b128 v[18:21], off, off offset:224
	scratch_load_b128 v[10:13], off, off offset:240
	scratch_load_b128 v[6:9], off, off offset:256
	v_mov_b32_e32 v1, 0
	s_mov_b32 s2, exec_lo
	ds_load_b128 v[46:49], v1 offset:1136
	s_clause 0x2
	scratch_load_b128 v[14:17], off, off offset:272
	scratch_load_b128 v[2:5], off, off offset:128
	;; [unrolled: 1-line block ×3, first 2 shown]
	ds_load_b128 v[42:45], v1 offset:1152
	ds_load_b128 v[189:192], v1 offset:1184
	;; [unrolled: 1-line block ×3, first 2 shown]
	s_waitcnt vmcnt(10) lgkmcnt(3)
	v_mul_f64 v[52:53], v[48:49], v[36:37]
	v_mul_f64 v[36:37], v[46:47], v[36:37]
	s_delay_alu instid0(VALU_DEP_2) | instskip(NEXT) | instid1(VALU_DEP_2)
	v_fma_f64 v[52:53], v[46:47], v[34:35], -v[52:53]
	v_fma_f64 v[56:57], v[48:49], v[34:35], v[36:37]
	ds_load_b128 v[34:37], v1 offset:1168
	s_waitcnt vmcnt(9) lgkmcnt(3)
	v_mul_f64 v[54:55], v[42:43], v[40:41]
	v_mul_f64 v[40:41], v[44:45], v[40:41]
	scratch_load_b128 v[46:49], off, off offset:304
	s_waitcnt vmcnt(9) lgkmcnt(0)
	v_mul_f64 v[58:59], v[34:35], v[32:33]
	v_mul_f64 v[32:33], v[36:37], v[32:33]
	v_add_f64 v[52:53], v[52:53], 0
	v_fma_f64 v[44:45], v[44:45], v[38:39], v[54:55]
	v_fma_f64 v[42:43], v[42:43], v[38:39], -v[40:41]
	v_add_f64 v[54:55], v[56:57], 0
	scratch_load_b128 v[38:41], off, off offset:320
	v_fma_f64 v[36:37], v[36:37], v[30:31], v[58:59]
	v_fma_f64 v[58:59], v[34:35], v[30:31], -v[32:33]
	scratch_load_b128 v[32:35], off, off offset:336
	v_add_f64 v[52:53], v[52:53], v[42:43]
	v_add_f64 v[54:55], v[54:55], v[44:45]
	ds_load_b128 v[42:45], v1 offset:1216
	s_waitcnt vmcnt(10)
	v_mul_f64 v[56:57], v[189:190], v[28:29]
	v_mul_f64 v[60:61], v[191:192], v[28:29]
	ds_load_b128 v[28:31], v1 offset:1200
	v_add_f64 v[52:53], v[52:53], v[58:59]
	v_add_f64 v[36:37], v[54:55], v[36:37]
	s_waitcnt vmcnt(8) lgkmcnt(1)
	v_mul_f64 v[54:55], v[42:43], v[20:21]
	v_fma_f64 v[56:57], v[191:192], v[26:27], v[56:57]
	v_fma_f64 v[60:61], v[189:190], v[26:27], -v[60:61]
	ds_load_b128 v[189:192], v1 offset:1248
	s_waitcnt lgkmcnt(1)
	v_mul_f64 v[62:63], v[28:29], v[24:25]
	v_mul_f64 v[64:65], v[30:31], v[24:25]
	scratch_load_b128 v[24:27], off, off offset:352
	v_mul_f64 v[58:59], v[44:45], v[20:21]
	v_fma_f64 v[54:55], v[44:45], v[18:19], v[54:55]
	v_add_f64 v[36:37], v[36:37], v[56:57]
	v_add_f64 v[52:53], v[52:53], v[60:61]
	s_waitcnt vmcnt(7) lgkmcnt(0)
	v_mul_f64 v[60:61], v[191:192], v[8:9]
	v_fma_f64 v[62:63], v[30:31], v[22:23], v[62:63]
	v_fma_f64 v[64:65], v[28:29], v[22:23], -v[64:65]
	scratch_load_b128 v[28:31], off, off offset:368
	ds_load_b128 v[20:23], v1 offset:1232
	v_fma_f64 v[18:19], v[42:43], v[18:19], -v[58:59]
	v_mul_f64 v[58:59], v[189:190], v[8:9]
	scratch_load_b128 v[42:45], off, off offset:384
	s_waitcnt lgkmcnt(0)
	v_mul_f64 v[56:57], v[20:21], v[12:13]
	v_mul_f64 v[12:13], v[22:23], v[12:13]
	v_add_f64 v[36:37], v[36:37], v[62:63]
	v_add_f64 v[52:53], v[52:53], v[64:65]
	s_delay_alu instid0(VALU_DEP_4) | instskip(NEXT) | instid1(VALU_DEP_4)
	v_fma_f64 v[22:23], v[22:23], v[10:11], v[56:57]
	v_fma_f64 v[12:13], v[20:21], v[10:11], -v[12:13]
	ds_load_b128 v[8:11], v1 offset:1264
	v_fma_f64 v[56:57], v[191:192], v[6:7], v[58:59]
	v_fma_f64 v[6:7], v[189:190], v[6:7], -v[60:61]
	scratch_load_b128 v[189:192], off, off offset:416
	v_add_f64 v[36:37], v[36:37], v[54:55]
	v_add_f64 v[52:53], v[52:53], v[18:19]
	scratch_load_b128 v[18:21], off, off offset:400
	v_add_f64 v[22:23], v[36:37], v[22:23]
	v_add_f64 v[12:13], v[52:53], v[12:13]
	s_waitcnt vmcnt(8)
	v_mul_f64 v[36:37], v[193:194], v[187:188]
	v_mul_f64 v[52:53], v[195:196], v[187:188]
	s_delay_alu instid0(VALU_DEP_4) | instskip(NEXT) | instid1(VALU_DEP_4)
	v_add_f64 v[22:23], v[22:23], v[56:57]
	v_add_f64 v[60:61], v[12:13], v[6:7]
	s_delay_alu instid0(VALU_DEP_4) | instskip(NEXT) | instid1(VALU_DEP_4)
	v_fma_f64 v[36:37], v[195:196], v[185:186], v[36:37]
	v_fma_f64 v[52:53], v[193:194], v[185:186], -v[52:53]
	ds_load_b128 v[193:196], v1 offset:1344
	s_waitcnt lgkmcnt(1)
	v_mul_f64 v[54:55], v[8:9], v[16:17]
	v_mul_f64 v[16:17], v[10:11], v[16:17]
	scratch_load_b128 v[185:188], off, off offset:448
	v_fma_f64 v[54:55], v[10:11], v[14:15], v[54:55]
	v_fma_f64 v[58:59], v[8:9], v[14:15], -v[16:17]
	ds_load_b128 v[6:9], v1 offset:1296
	ds_load_b128 v[14:17], v1 offset:1312
	scratch_load_b128 v[10:13], off, off offset:432
	s_waitcnt vmcnt(9) lgkmcnt(1)
	v_mul_f64 v[56:57], v[6:7], v[48:49]
	v_mul_f64 v[48:49], v[8:9], v[48:49]
	v_add_f64 v[22:23], v[22:23], v[54:55]
	v_add_f64 v[58:59], v[60:61], v[58:59]
	s_waitcnt vmcnt(8) lgkmcnt(0)
	v_mul_f64 v[54:55], v[14:15], v[40:41]
	v_mul_f64 v[40:41], v[16:17], v[40:41]
	v_fma_f64 v[56:57], v[8:9], v[46:47], v[56:57]
	v_fma_f64 v[60:61], v[6:7], v[46:47], -v[48:49]
	ds_load_b128 v[6:9], v1 offset:1328
	scratch_load_b128 v[46:49], off, off offset:464
	v_add_f64 v[22:23], v[22:23], v[36:37]
	v_add_f64 v[52:53], v[58:59], v[52:53]
	v_fma_f64 v[54:55], v[16:17], v[38:39], v[54:55]
	v_fma_f64 v[38:39], v[14:15], v[38:39], -v[40:41]
	scratch_load_b128 v[14:17], off, off offset:480
	v_add_f64 v[22:23], v[22:23], v[56:57]
	v_add_f64 v[40:41], v[52:53], v[60:61]
	s_waitcnt vmcnt(8)
	v_mul_f64 v[52:53], v[193:194], v[26:27]
	v_mul_f64 v[26:27], v[195:196], v[26:27]
	s_delay_alu instid0(VALU_DEP_4) | instskip(NEXT) | instid1(VALU_DEP_4)
	v_add_f64 v[22:23], v[22:23], v[54:55]
	v_add_f64 v[40:41], v[40:41], v[38:39]
	s_delay_alu instid0(VALU_DEP_4) | instskip(NEXT) | instid1(VALU_DEP_4)
	v_fma_f64 v[52:53], v[195:196], v[24:25], v[52:53]
	v_fma_f64 v[26:27], v[193:194], v[24:25], -v[26:27]
	ds_load_b128 v[193:196], v1 offset:1408
	s_waitcnt lgkmcnt(1)
	v_mul_f64 v[36:37], v[6:7], v[34:35]
	v_mul_f64 v[34:35], v[8:9], v[34:35]
	s_delay_alu instid0(VALU_DEP_2) | instskip(NEXT) | instid1(VALU_DEP_2)
	v_fma_f64 v[56:57], v[8:9], v[32:33], v[36:37]
	v_fma_f64 v[58:59], v[6:7], v[32:33], -v[34:35]
	scratch_load_b128 v[32:35], off, off offset:496
	ds_load_b128 v[6:9], v1 offset:1360
	ds_load_b128 v[36:39], v1 offset:1376
	s_waitcnt vmcnt(8) lgkmcnt(1)
	v_mul_f64 v[54:55], v[6:7], v[30:31]
	v_mul_f64 v[30:31], v[8:9], v[30:31]
	v_add_f64 v[56:57], v[22:23], v[56:57]
	v_add_f64 v[40:41], v[40:41], v[58:59]
	s_waitcnt vmcnt(7) lgkmcnt(0)
	v_mul_f64 v[58:59], v[36:37], v[44:45]
	v_mul_f64 v[44:45], v[38:39], v[44:45]
	scratch_load_b128 v[22:25], off, off offset:512
	v_fma_f64 v[54:55], v[8:9], v[28:29], v[54:55]
	v_fma_f64 v[30:31], v[6:7], v[28:29], -v[30:31]
	ds_load_b128 v[6:9], v1 offset:1392
	v_add_f64 v[52:53], v[56:57], v[52:53]
	v_add_f64 v[40:41], v[40:41], v[26:27]
	v_fma_f64 v[58:59], v[38:39], v[42:43], v[58:59]
	v_fma_f64 v[42:43], v[36:37], v[42:43], -v[44:45]
	s_clause 0x1
	scratch_load_b128 v[26:29], off, off offset:528
	scratch_load_b128 v[36:39], off, off offset:544
	s_waitcnt vmcnt(9)
	v_mul_f64 v[44:45], v[193:194], v[191:192]
	v_add_f64 v[30:31], v[40:41], v[30:31]
	v_add_f64 v[40:41], v[52:53], v[54:55]
	v_mul_f64 v[52:53], v[195:196], v[191:192]
	s_delay_alu instid0(VALU_DEP_4) | instskip(NEXT) | instid1(VALU_DEP_4)
	v_fma_f64 v[44:45], v[195:196], v[189:190], v[44:45]
	v_add_f64 v[30:31], v[30:31], v[42:43]
	s_delay_alu instid0(VALU_DEP_4)
	v_add_f64 v[58:59], v[40:41], v[58:59]
	ds_load_b128 v[40:43], v1 offset:1440
	s_waitcnt vmcnt(8) lgkmcnt(1)
	v_mul_f64 v[56:57], v[6:7], v[20:21]
	v_mul_f64 v[20:21], v[8:9], v[20:21]
	v_fma_f64 v[52:53], v[193:194], v[189:190], -v[52:53]
	scratch_load_b128 v[189:192], off, off offset:576
	ds_load_b128 v[193:196], v1 offset:1472
	v_fma_f64 v[54:55], v[8:9], v[18:19], v[56:57]
	v_fma_f64 v[56:57], v[6:7], v[18:19], -v[20:21]
	ds_load_b128 v[6:9], v1 offset:1424
	scratch_load_b128 v[18:21], off, off offset:560
	s_waitcnt vmcnt(8) lgkmcnt(0)
	v_mul_f64 v[60:61], v[6:7], v[12:13]
	v_mul_f64 v[12:13], v[8:9], v[12:13]
	v_add_f64 v[54:55], v[58:59], v[54:55]
	v_add_f64 v[30:31], v[30:31], v[56:57]
	v_mul_f64 v[56:57], v[40:41], v[187:188]
	v_mul_f64 v[58:59], v[42:43], v[187:188]
	v_fma_f64 v[60:61], v[8:9], v[10:11], v[60:61]
	v_fma_f64 v[62:63], v[6:7], v[10:11], -v[12:13]
	ds_load_b128 v[6:9], v1 offset:1456
	scratch_load_b128 v[10:13], off, off offset:592
	v_add_f64 v[44:45], v[54:55], v[44:45]
	v_add_f64 v[30:31], v[30:31], v[52:53]
	v_fma_f64 v[54:55], v[42:43], v[185:186], v[56:57]
	v_fma_f64 v[56:57], v[40:41], v[185:186], -v[58:59]
	ds_load_b128 v[185:188], v1 offset:1504
	scratch_load_b128 v[40:43], off, off offset:608
	s_waitcnt vmcnt(9) lgkmcnt(1)
	v_mul_f64 v[52:53], v[6:7], v[48:49]
	v_mul_f64 v[48:49], v[8:9], v[48:49]
	s_waitcnt vmcnt(8)
	v_mul_f64 v[58:59], v[193:194], v[16:17]
	v_mul_f64 v[16:17], v[195:196], v[16:17]
	v_add_f64 v[44:45], v[44:45], v[60:61]
	v_add_f64 v[30:31], v[30:31], v[62:63]
	v_fma_f64 v[52:53], v[8:9], v[46:47], v[52:53]
	v_fma_f64 v[48:49], v[6:7], v[46:47], -v[48:49]
	ds_load_b128 v[6:9], v1 offset:1488
	v_fma_f64 v[58:59], v[195:196], v[14:15], v[58:59]
	v_fma_f64 v[60:61], v[193:194], v[14:15], -v[16:17]
	ds_load_b128 v[193:196], v1 offset:1536
	scratch_load_b128 v[14:17], off, off offset:640
	v_add_f64 v[54:55], v[44:45], v[54:55]
	v_add_f64 v[30:31], v[30:31], v[56:57]
	scratch_load_b128 v[44:47], off, off offset:624
	s_waitcnt vmcnt(9) lgkmcnt(1)
	v_mul_f64 v[56:57], v[6:7], v[34:35]
	v_mul_f64 v[34:35], v[8:9], v[34:35]
	v_add_f64 v[30:31], v[30:31], v[48:49]
	v_add_f64 v[48:49], v[54:55], v[52:53]
	s_waitcnt vmcnt(8)
	v_mul_f64 v[52:53], v[185:186], v[24:25]
	v_mul_f64 v[24:25], v[187:188], v[24:25]
	v_fma_f64 v[54:55], v[8:9], v[32:33], v[56:57]
	v_fma_f64 v[34:35], v[6:7], v[32:33], -v[34:35]
	ds_load_b128 v[6:9], v1 offset:1520
	v_add_f64 v[56:57], v[30:31], v[60:61]
	v_add_f64 v[48:49], v[48:49], v[58:59]
	scratch_load_b128 v[30:33], off, off offset:656
	v_fma_f64 v[52:53], v[187:188], v[22:23], v[52:53]
	v_fma_f64 v[60:61], v[185:186], v[22:23], -v[24:25]
	ds_load_b128 v[185:188], v1 offset:1568
	s_waitcnt vmcnt(8) lgkmcnt(1)
	v_mul_f64 v[58:59], v[6:7], v[28:29]
	v_mul_f64 v[28:29], v[8:9], v[28:29]
	scratch_load_b128 v[22:25], off, off offset:672
	v_add_f64 v[34:35], v[56:57], v[34:35]
	v_add_f64 v[48:49], v[48:49], v[54:55]
	s_waitcnt vmcnt(8)
	v_mul_f64 v[54:55], v[193:194], v[38:39]
	v_mul_f64 v[38:39], v[195:196], v[38:39]
	v_fma_f64 v[56:57], v[8:9], v[26:27], v[58:59]
	v_fma_f64 v[58:59], v[6:7], v[26:27], -v[28:29]
	scratch_load_b128 v[26:29], off, off offset:688
	ds_load_b128 v[6:9], v1 offset:1552
	v_add_f64 v[34:35], v[34:35], v[60:61]
	v_add_f64 v[48:49], v[48:49], v[52:53]
	v_fma_f64 v[54:55], v[195:196], v[36:37], v[54:55]
	v_fma_f64 v[38:39], v[193:194], v[36:37], -v[38:39]
	s_waitcnt vmcnt(8) lgkmcnt(1)
	v_mul_f64 v[60:61], v[187:188], v[191:192]
	ds_load_b128 v[195:198], v1 offset:1632
	v_add_f64 v[58:59], v[34:35], v[58:59]
	v_add_f64 v[48:49], v[48:49], v[56:57]
	v_mul_f64 v[56:57], v[185:186], v[191:192]
	ds_load_b128 v[191:194], v1 offset:1600
	s_waitcnt vmcnt(7) lgkmcnt(2)
	v_mul_f64 v[52:53], v[6:7], v[20:21]
	v_mul_f64 v[20:21], v[8:9], v[20:21]
	scratch_load_b128 v[34:37], off, off offset:704
	v_add_f64 v[38:39], v[58:59], v[38:39]
	v_add_f64 v[48:49], v[48:49], v[54:55]
	v_fma_f64 v[56:57], v[187:188], v[189:190], v[56:57]
	v_fma_f64 v[58:59], v[185:186], v[189:190], -v[60:61]
	v_fma_f64 v[52:53], v[8:9], v[18:19], v[52:53]
	v_fma_f64 v[62:63], v[6:7], v[18:19], -v[20:21]
	scratch_load_b128 v[18:21], off, off offset:720
	ds_load_b128 v[6:9], v1 offset:1584
	scratch_load_b128 v[185:188], off, off offset:736
	s_waitcnt vmcnt(9) lgkmcnt(0)
	v_mul_f64 v[54:55], v[6:7], v[12:13]
	v_mul_f64 v[12:13], v[8:9], v[12:13]
	v_add_f64 v[48:49], v[48:49], v[52:53]
	v_add_f64 v[38:39], v[38:39], v[62:63]
	s_waitcnt vmcnt(8)
	v_mul_f64 v[52:53], v[191:192], v[42:43]
	v_mul_f64 v[42:43], v[193:194], v[42:43]
	v_fma_f64 v[54:55], v[8:9], v[10:11], v[54:55]
	v_fma_f64 v[60:61], v[6:7], v[10:11], -v[12:13]
	scratch_load_b128 v[10:13], off, off offset:752
	ds_load_b128 v[6:9], v1 offset:1616
	v_add_f64 v[48:49], v[48:49], v[56:57]
	v_add_f64 v[38:39], v[38:39], v[58:59]
	v_fma_f64 v[52:53], v[193:194], v[40:41], v[52:53]
	v_fma_f64 v[42:43], v[191:192], v[40:41], -v[42:43]
	ds_load_b128 v[189:192], v1 offset:1696
	s_waitcnt vmcnt(7) lgkmcnt(1)
	v_mul_f64 v[56:57], v[6:7], v[46:47]
	v_mul_f64 v[46:47], v[8:9], v[46:47]
	v_add_f64 v[48:49], v[48:49], v[54:55]
	v_add_f64 v[58:59], v[38:39], v[60:61]
	v_mul_f64 v[54:55], v[195:196], v[16:17]
	v_mul_f64 v[16:17], v[197:198], v[16:17]
	scratch_load_b128 v[38:41], off, off offset:768
	v_fma_f64 v[56:57], v[8:9], v[44:45], v[56:57]
	v_fma_f64 v[60:61], v[6:7], v[44:45], -v[46:47]
	ds_load_b128 v[6:9], v1 offset:1648
	v_add_f64 v[52:53], v[48:49], v[52:53]
	ds_load_b128 v[46:49], v1 offset:1664
	v_add_f64 v[58:59], v[58:59], v[42:43]
	v_fma_f64 v[54:55], v[197:198], v[14:15], v[54:55]
	v_fma_f64 v[64:65], v[195:196], v[14:15], -v[16:17]
	s_clause 0x1
	scratch_load_b128 v[42:45], off, off offset:784
	scratch_load_b128 v[14:17], off, off offset:800
	s_waitcnt vmcnt(9) lgkmcnt(1)
	v_mul_f64 v[62:63], v[6:7], v[32:33]
	v_mul_f64 v[32:33], v[8:9], v[32:33]
	v_add_f64 v[52:53], v[52:53], v[56:57]
	s_waitcnt vmcnt(8) lgkmcnt(0)
	v_mul_f64 v[56:57], v[46:47], v[24:25]
	v_add_f64 v[58:59], v[58:59], v[60:61]
	v_mul_f64 v[24:25], v[48:49], v[24:25]
	v_fma_f64 v[60:61], v[8:9], v[30:31], v[62:63]
	v_fma_f64 v[62:63], v[6:7], v[30:31], -v[32:33]
	scratch_load_b128 v[30:33], off, off offset:816
	ds_load_b128 v[6:9], v1 offset:1680
	v_add_f64 v[52:53], v[52:53], v[54:55]
	v_fma_f64 v[48:49], v[48:49], v[22:23], v[56:57]
	v_add_f64 v[58:59], v[58:59], v[64:65]
	v_fma_f64 v[46:47], v[46:47], v[22:23], -v[24:25]
	scratch_load_b128 v[22:25], off, off offset:832
	v_add_f64 v[52:53], v[52:53], v[60:61]
	v_add_f64 v[56:57], v[58:59], v[62:63]
	s_waitcnt vmcnt(8)
	v_mul_f64 v[58:59], v[189:190], v[36:37]
	v_mul_f64 v[36:37], v[191:192], v[36:37]
	s_delay_alu instid0(VALU_DEP_4) | instskip(NEXT) | instid1(VALU_DEP_4)
	v_add_f64 v[52:53], v[52:53], v[48:49]
	v_add_f64 v[56:57], v[56:57], v[46:47]
	ds_load_b128 v[46:49], v1 offset:1728
	s_waitcnt lgkmcnt(1)
	v_mul_f64 v[54:55], v[6:7], v[28:29]
	v_mul_f64 v[28:29], v[8:9], v[28:29]
	v_fma_f64 v[58:59], v[191:192], v[34:35], v[58:59]
	v_fma_f64 v[64:65], v[189:190], v[34:35], -v[36:37]
	scratch_load_b128 v[34:37], off, off offset:864
	ds_load_b128 v[191:194], v1 offset:1792
	v_fma_f64 v[54:55], v[8:9], v[26:27], v[54:55]
	v_fma_f64 v[60:61], v[6:7], v[26:27], -v[28:29]
	ds_load_b128 v[6:9], v1 offset:1712
	scratch_load_b128 v[26:29], off, off offset:848
	v_add_f64 v[52:53], v[52:53], v[54:55]
	v_add_f64 v[56:57], v[56:57], v[60:61]
	s_waitcnt vmcnt(8) lgkmcnt(2)
	v_mul_f64 v[54:55], v[46:47], v[187:188]
	v_mul_f64 v[60:61], v[48:49], v[187:188]
	ds_load_b128 v[187:190], v1 offset:1760
	s_waitcnt lgkmcnt(1)
	v_mul_f64 v[62:63], v[6:7], v[20:21]
	v_mul_f64 v[20:21], v[8:9], v[20:21]
	v_add_f64 v[52:53], v[52:53], v[58:59]
	v_add_f64 v[56:57], v[56:57], v[64:65]
	v_fma_f64 v[54:55], v[48:49], v[185:186], v[54:55]
	v_fma_f64 v[60:61], v[46:47], v[185:186], -v[60:61]
	scratch_load_b128 v[46:49], off, off offset:896
	v_fma_f64 v[62:63], v[8:9], v[18:19], v[62:63]
	v_fma_f64 v[66:67], v[6:7], v[18:19], -v[20:21]
	ds_load_b128 v[6:9], v1 offset:1744
	scratch_load_b128 v[18:21], off, off offset:880
	s_waitcnt vmcnt(9) lgkmcnt(0)
	v_mul_f64 v[58:59], v[6:7], v[12:13]
	v_mul_f64 v[12:13], v[8:9], v[12:13]
	v_add_f64 v[52:53], v[52:53], v[62:63]
	v_add_f64 v[56:57], v[56:57], v[66:67]
	s_waitcnt vmcnt(8)
	v_mul_f64 v[62:63], v[187:188], v[40:41]
	v_mul_f64 v[40:41], v[189:190], v[40:41]
	v_fma_f64 v[58:59], v[8:9], v[10:11], v[58:59]
	v_fma_f64 v[64:65], v[6:7], v[10:11], -v[12:13]
	ds_load_b128 v[6:9], v1 offset:1776
	scratch_load_b128 v[10:13], off, off offset:912
	v_add_f64 v[52:53], v[52:53], v[54:55]
	v_add_f64 v[56:57], v[56:57], v[60:61]
	v_fma_f64 v[60:61], v[189:190], v[38:39], v[62:63]
	v_fma_f64 v[62:63], v[187:188], v[38:39], -v[40:41]
	ds_load_b128 v[185:188], v1 offset:1824
	scratch_load_b128 v[38:41], off, off offset:928
	s_waitcnt vmcnt(9) lgkmcnt(1)
	v_mul_f64 v[54:55], v[6:7], v[44:45]
	v_mul_f64 v[44:45], v[8:9], v[44:45]
	v_add_f64 v[52:53], v[52:53], v[58:59]
	v_add_f64 v[56:57], v[56:57], v[64:65]
	s_waitcnt vmcnt(8)
	v_mul_f64 v[58:59], v[191:192], v[16:17]
	v_mul_f64 v[16:17], v[193:194], v[16:17]
	v_fma_f64 v[54:55], v[8:9], v[42:43], v[54:55]
	v_fma_f64 v[64:65], v[6:7], v[42:43], -v[44:45]
	scratch_load_b128 v[42:45], off, off offset:944
	ds_load_b128 v[6:9], v1 offset:1808
	v_add_f64 v[52:53], v[52:53], v[60:61]
	v_add_f64 v[56:57], v[56:57], v[62:63]
	v_fma_f64 v[58:59], v[193:194], v[14:15], v[58:59]
	v_fma_f64 v[62:63], v[191:192], v[14:15], -v[16:17]
	ds_load_b128 v[189:192], v1 offset:1856
	s_waitcnt vmcnt(8) lgkmcnt(1)
	v_mul_f64 v[60:61], v[6:7], v[32:33]
	v_mul_f64 v[32:33], v[8:9], v[32:33]
	scratch_load_b128 v[14:17], off, off offset:960
	v_add_f64 v[52:53], v[52:53], v[54:55]
	v_add_f64 v[56:57], v[56:57], v[64:65]
	s_waitcnt vmcnt(8)
	v_mul_f64 v[54:55], v[185:186], v[24:25]
	v_mul_f64 v[24:25], v[187:188], v[24:25]
	v_fma_f64 v[60:61], v[8:9], v[30:31], v[60:61]
	v_fma_f64 v[64:65], v[6:7], v[30:31], -v[32:33]
	scratch_load_b128 v[30:33], off, off offset:976
	ds_load_b128 v[6:9], v1 offset:1840
	v_add_f64 v[52:53], v[52:53], v[58:59]
	v_add_f64 v[56:57], v[56:57], v[62:63]
	v_fma_f64 v[54:55], v[187:188], v[22:23], v[54:55]
	v_fma_f64 v[22:23], v[185:186], v[22:23], -v[24:25]
	s_waitcnt vmcnt(7) lgkmcnt(0)
	v_mul_f64 v[58:59], v[6:7], v[28:29]
	v_mul_f64 v[28:29], v[8:9], v[28:29]
	v_add_f64 v[52:53], v[52:53], v[60:61]
	v_add_f64 v[24:25], v[56:57], v[64:65]
	v_mul_f64 v[56:57], v[189:190], v[36:37]
	v_mul_f64 v[36:37], v[191:192], v[36:37]
	v_fma_f64 v[58:59], v[8:9], v[26:27], v[58:59]
	v_fma_f64 v[26:27], v[6:7], v[26:27], -v[28:29]
	v_add_f64 v[52:53], v[52:53], v[54:55]
	v_add_f64 v[28:29], v[24:25], v[22:23]
	ds_load_b128 v[6:9], v1 offset:1872
	ds_load_b128 v[22:25], v1 offset:1888
	v_fma_f64 v[56:57], v[191:192], v[34:35], v[56:57]
	v_fma_f64 v[34:35], v[189:190], v[34:35], -v[36:37]
	s_waitcnt vmcnt(5) lgkmcnt(1)
	v_mul_f64 v[54:55], v[6:7], v[20:21]
	v_mul_f64 v[20:21], v[8:9], v[20:21]
	s_waitcnt lgkmcnt(0)
	v_mul_f64 v[36:37], v[22:23], v[48:49]
	v_mul_f64 v[48:49], v[24:25], v[48:49]
	v_add_f64 v[26:27], v[28:29], v[26:27]
	v_add_f64 v[28:29], v[52:53], v[58:59]
	v_fma_f64 v[52:53], v[8:9], v[18:19], v[54:55]
	v_fma_f64 v[54:55], v[6:7], v[18:19], -v[20:21]
	ds_load_b128 v[6:9], v1 offset:1904
	ds_load_b128 v[18:21], v1 offset:1920
	v_fma_f64 v[24:25], v[24:25], v[46:47], v[36:37]
	v_fma_f64 v[22:23], v[22:23], v[46:47], -v[48:49]
	v_add_f64 v[26:27], v[26:27], v[34:35]
	v_add_f64 v[28:29], v[28:29], v[56:57]
	s_waitcnt vmcnt(4) lgkmcnt(1)
	v_mul_f64 v[34:35], v[6:7], v[12:13]
	v_mul_f64 v[12:13], v[8:9], v[12:13]
	s_waitcnt vmcnt(3) lgkmcnt(0)
	v_mul_f64 v[36:37], v[18:19], v[40:41]
	v_mul_f64 v[40:41], v[20:21], v[40:41]
	v_add_f64 v[26:27], v[26:27], v[54:55]
	v_add_f64 v[28:29], v[28:29], v[52:53]
	v_fma_f64 v[34:35], v[8:9], v[10:11], v[34:35]
	v_fma_f64 v[46:47], v[6:7], v[10:11], -v[12:13]
	ds_load_b128 v[6:9], v1 offset:1936
	ds_load_b128 v[10:13], v1 offset:1952
	v_fma_f64 v[20:21], v[20:21], v[38:39], v[36:37]
	v_fma_f64 v[18:19], v[18:19], v[38:39], -v[40:41]
	v_add_f64 v[22:23], v[26:27], v[22:23]
	v_add_f64 v[24:25], v[28:29], v[24:25]
	s_waitcnt vmcnt(2) lgkmcnt(1)
	v_mul_f64 v[26:27], v[6:7], v[44:45]
	v_mul_f64 v[28:29], v[8:9], v[44:45]
	s_delay_alu instid0(VALU_DEP_4) | instskip(NEXT) | instid1(VALU_DEP_4)
	v_add_f64 v[22:23], v[22:23], v[46:47]
	v_add_f64 v[24:25], v[24:25], v[34:35]
	s_waitcnt vmcnt(1) lgkmcnt(0)
	v_mul_f64 v[34:35], v[10:11], v[16:17]
	v_mul_f64 v[16:17], v[12:13], v[16:17]
	v_fma_f64 v[26:27], v[8:9], v[42:43], v[26:27]
	v_fma_f64 v[28:29], v[6:7], v[42:43], -v[28:29]
	ds_load_b128 v[6:9], v1 offset:1968
	v_add_f64 v[18:19], v[22:23], v[18:19]
	v_add_f64 v[20:21], v[24:25], v[20:21]
	s_waitcnt vmcnt(0) lgkmcnt(0)
	v_mul_f64 v[22:23], v[6:7], v[32:33]
	v_mul_f64 v[24:25], v[8:9], v[32:33]
	v_fma_f64 v[12:13], v[12:13], v[14:15], v[34:35]
	v_fma_f64 v[10:11], v[10:11], v[14:15], -v[16:17]
	v_add_f64 v[14:15], v[18:19], v[28:29]
	v_add_f64 v[16:17], v[20:21], v[26:27]
	v_fma_f64 v[8:9], v[8:9], v[30:31], v[22:23]
	v_fma_f64 v[6:7], v[6:7], v[30:31], -v[24:25]
	s_delay_alu instid0(VALU_DEP_4) | instskip(NEXT) | instid1(VALU_DEP_4)
	v_add_f64 v[10:11], v[14:15], v[10:11]
	v_add_f64 v[12:13], v[16:17], v[12:13]
	s_delay_alu instid0(VALU_DEP_2) | instskip(NEXT) | instid1(VALU_DEP_2)
	v_add_f64 v[6:7], v[10:11], v[6:7]
	v_add_f64 v[8:9], v[12:13], v[8:9]
	s_delay_alu instid0(VALU_DEP_2) | instskip(NEXT) | instid1(VALU_DEP_2)
	v_add_f64 v[2:3], v[2:3], -v[6:7]
	v_add_f64 v[4:5], v[4:5], -v[8:9]
	scratch_store_b128 off, v[2:5], off offset:128
	v_cmpx_lt_u32_e32 7, v174
	s_cbranch_execz .LBB125_383
; %bb.382:
	scratch_load_b32 v2, off, off offset:1204 ; 4-byte Folded Reload
	v_mov_b32_e32 v3, v1
	v_mov_b32_e32 v4, v1
	s_waitcnt vmcnt(0)
	scratch_load_b128 v[5:8], v2, off
	v_mov_b32_e32 v2, v1
	scratch_store_b128 off, v[1:4], off offset:112
	s_waitcnt vmcnt(0)
	ds_store_b128 v255, v[5:8]
.LBB125_383:
	s_or_b32 exec_lo, exec_lo, s2
	s_waitcnt lgkmcnt(0)
	s_waitcnt_vscnt null, 0x0
	s_barrier
	buffer_gl0_inv
	s_clause 0x8
	scratch_load_b128 v[34:37], off, off offset:128
	scratch_load_b128 v[38:41], off, off offset:144
	;; [unrolled: 1-line block ×9, first 2 shown]
	ds_load_b128 v[46:49], v1 offset:1120
	ds_load_b128 v[42:45], v1 offset:1136
	s_clause 0x1
	scratch_load_b128 v[2:5], off, off offset:112
	scratch_load_b128 v[185:188], off, off offset:272
	s_mov_b32 s2, exec_lo
	ds_load_b128 v[189:192], v1 offset:1168
	ds_load_b128 v[195:198], v1 offset:1328
	s_waitcnt vmcnt(10) lgkmcnt(3)
	v_mul_f64 v[52:53], v[48:49], v[36:37]
	v_mul_f64 v[36:37], v[46:47], v[36:37]
	s_waitcnt vmcnt(9) lgkmcnt(2)
	v_mul_f64 v[54:55], v[42:43], v[40:41]
	v_mul_f64 v[40:41], v[44:45], v[40:41]
	s_waitcnt vmcnt(7) lgkmcnt(1)
	v_mul_f64 v[60:61], v[191:192], v[28:29]
	v_fma_f64 v[52:53], v[46:47], v[34:35], -v[52:53]
	v_fma_f64 v[56:57], v[48:49], v[34:35], v[36:37]
	ds_load_b128 v[34:37], v1 offset:1152
	scratch_load_b128 v[46:49], off, off offset:288
	v_fma_f64 v[44:45], v[44:45], v[38:39], v[54:55]
	v_fma_f64 v[42:43], v[42:43], v[38:39], -v[40:41]
	scratch_load_b128 v[38:41], off, off offset:304
	v_fma_f64 v[60:61], v[189:190], v[26:27], -v[60:61]
	s_waitcnt lgkmcnt(0)
	v_mul_f64 v[58:59], v[34:35], v[32:33]
	v_mul_f64 v[32:33], v[36:37], v[32:33]
	v_add_f64 v[52:53], v[52:53], 0
	v_add_f64 v[54:55], v[56:57], 0
	v_mul_f64 v[56:57], v[189:190], v[28:29]
	v_fma_f64 v[36:37], v[36:37], v[30:31], v[58:59]
	v_fma_f64 v[58:59], v[34:35], v[30:31], -v[32:33]
	ds_load_b128 v[28:31], v1 offset:1184
	scratch_load_b128 v[32:35], off, off offset:320
	v_add_f64 v[52:53], v[52:53], v[42:43]
	v_add_f64 v[54:55], v[54:55], v[44:45]
	ds_load_b128 v[42:45], v1 offset:1200
	v_fma_f64 v[56:57], v[191:192], v[26:27], v[56:57]
	ds_load_b128 v[189:192], v1 offset:1232
	s_waitcnt vmcnt(9) lgkmcnt(2)
	v_mul_f64 v[62:63], v[28:29], v[24:25]
	v_mul_f64 v[64:65], v[30:31], v[24:25]
	scratch_load_b128 v[24:27], off, off offset:336
	v_add_f64 v[52:53], v[52:53], v[58:59]
	v_add_f64 v[36:37], v[54:55], v[36:37]
	s_waitcnt vmcnt(9) lgkmcnt(1)
	v_mul_f64 v[54:55], v[42:43], v[20:21]
	v_mul_f64 v[58:59], v[44:45], v[20:21]
	v_fma_f64 v[62:63], v[30:31], v[22:23], v[62:63]
	v_fma_f64 v[64:65], v[28:29], v[22:23], -v[64:65]
	ds_load_b128 v[20:23], v1 offset:1216
	scratch_load_b128 v[28:31], off, off offset:352
	v_add_f64 v[52:53], v[52:53], v[60:61]
	v_add_f64 v[36:37], v[36:37], v[56:57]
	s_waitcnt vmcnt(9) lgkmcnt(0)
	v_mul_f64 v[56:57], v[20:21], v[16:17]
	v_mul_f64 v[60:61], v[22:23], v[16:17]
	v_fma_f64 v[44:45], v[44:45], v[18:19], v[54:55]
	v_fma_f64 v[42:43], v[42:43], v[18:19], -v[58:59]
	scratch_load_b128 v[16:19], off, off offset:368
	s_waitcnt vmcnt(9)
	v_mul_f64 v[54:55], v[189:190], v[12:13]
	v_mul_f64 v[58:59], v[191:192], v[12:13]
	v_add_f64 v[52:53], v[52:53], v[64:65]
	v_add_f64 v[36:37], v[36:37], v[62:63]
	v_fma_f64 v[56:57], v[22:23], v[14:15], v[56:57]
	v_fma_f64 v[60:61], v[20:21], v[14:15], -v[60:61]
	ds_load_b128 v[12:15], v1 offset:1248
	scratch_load_b128 v[20:23], off, off offset:384
	v_fma_f64 v[54:55], v[191:192], v[10:11], v[54:55]
	v_fma_f64 v[58:59], v[189:190], v[10:11], -v[58:59]
	ds_load_b128 v[191:194], v1 offset:1296
	v_add_f64 v[52:53], v[52:53], v[42:43]
	v_add_f64 v[36:37], v[36:37], v[44:45]
	ds_load_b128 v[42:45], v1 offset:1264
	s_waitcnt vmcnt(9) lgkmcnt(2)
	v_mul_f64 v[62:63], v[12:13], v[8:9]
	v_mul_f64 v[64:65], v[14:15], v[8:9]
	scratch_load_b128 v[8:11], off, off offset:400
	v_add_f64 v[52:53], v[52:53], v[60:61]
	v_add_f64 v[36:37], v[36:37], v[56:57]
	s_waitcnt vmcnt(8) lgkmcnt(0)
	v_mul_f64 v[56:57], v[42:43], v[187:188]
	v_mul_f64 v[60:61], v[44:45], v[187:188]
	v_fma_f64 v[62:63], v[14:15], v[6:7], v[62:63]
	v_fma_f64 v[6:7], v[12:13], v[6:7], -v[64:65]
	ds_load_b128 v[12:15], v1 offset:1280
	scratch_load_b128 v[187:190], off, off offset:416
	v_add_f64 v[52:53], v[52:53], v[58:59]
	v_add_f64 v[36:37], v[36:37], v[54:55]
	v_fma_f64 v[56:57], v[44:45], v[185:186], v[56:57]
	v_fma_f64 v[58:59], v[42:43], v[185:186], -v[60:61]
	scratch_load_b128 v[42:45], off, off offset:432
	s_waitcnt vmcnt(9) lgkmcnt(0)
	v_mul_f64 v[54:55], v[12:13], v[48:49]
	v_mul_f64 v[48:49], v[14:15], v[48:49]
	v_add_f64 v[6:7], v[52:53], v[6:7]
	v_add_f64 v[36:37], v[36:37], v[62:63]
	s_waitcnt vmcnt(8)
	v_mul_f64 v[52:53], v[191:192], v[40:41]
	v_mul_f64 v[40:41], v[193:194], v[40:41]
	v_fma_f64 v[54:55], v[14:15], v[46:47], v[54:55]
	v_fma_f64 v[60:61], v[12:13], v[46:47], -v[48:49]
	ds_load_b128 v[12:15], v1 offset:1312
	scratch_load_b128 v[46:49], off, off offset:448
	v_add_f64 v[6:7], v[6:7], v[58:59]
	v_add_f64 v[36:37], v[36:37], v[56:57]
	v_fma_f64 v[52:53], v[193:194], v[38:39], v[52:53]
	s_waitcnt vmcnt(8) lgkmcnt(0)
	v_mul_f64 v[56:57], v[12:13], v[34:35]
	v_mul_f64 v[58:59], v[14:15], v[34:35]
	v_fma_f64 v[38:39], v[191:192], v[38:39], -v[40:41]
	ds_load_b128 v[191:194], v1 offset:1360
	v_add_f64 v[6:7], v[6:7], v[60:61]
	v_add_f64 v[40:41], v[36:37], v[54:55]
	scratch_load_b128 v[34:37], off, off offset:464
	s_waitcnt vmcnt(8)
	v_mul_f64 v[54:55], v[195:196], v[26:27]
	v_mul_f64 v[26:27], v[197:198], v[26:27]
	v_fma_f64 v[56:57], v[14:15], v[32:33], v[56:57]
	v_fma_f64 v[32:33], v[12:13], v[32:33], -v[58:59]
	ds_load_b128 v[12:15], v1 offset:1344
	s_waitcnt vmcnt(7) lgkmcnt(0)
	v_mul_f64 v[58:59], v[12:13], v[30:31]
	v_mul_f64 v[30:31], v[14:15], v[30:31]
	v_add_f64 v[6:7], v[6:7], v[38:39]
	v_add_f64 v[52:53], v[40:41], v[52:53]
	scratch_load_b128 v[38:41], off, off offset:480
	v_fma_f64 v[54:55], v[197:198], v[24:25], v[54:55]
	v_fma_f64 v[60:61], v[195:196], v[24:25], -v[26:27]
	scratch_load_b128 v[24:27], off, off offset:496
	ds_load_b128 v[195:198], v1 offset:1392
	v_add_f64 v[6:7], v[6:7], v[32:33]
	v_add_f64 v[32:33], v[52:53], v[56:57]
	s_waitcnt vmcnt(8)
	v_mul_f64 v[52:53], v[191:192], v[18:19]
	v_mul_f64 v[18:19], v[193:194], v[18:19]
	v_fma_f64 v[56:57], v[14:15], v[28:29], v[58:59]
	v_fma_f64 v[58:59], v[12:13], v[28:29], -v[30:31]
	ds_load_b128 v[12:15], v1 offset:1376
	scratch_load_b128 v[28:31], off, off offset:512
	v_add_f64 v[6:7], v[6:7], v[60:61]
	v_add_f64 v[32:33], v[32:33], v[54:55]
	s_waitcnt vmcnt(8) lgkmcnt(0)
	v_mul_f64 v[54:55], v[12:13], v[22:23]
	v_mul_f64 v[22:23], v[14:15], v[22:23]
	v_fma_f64 v[52:53], v[193:194], v[16:17], v[52:53]
	v_fma_f64 v[60:61], v[191:192], v[16:17], -v[18:19]
	scratch_load_b128 v[16:19], off, off offset:528
	ds_load_b128 v[191:194], v1 offset:1424
	v_add_f64 v[6:7], v[6:7], v[58:59]
	v_add_f64 v[32:33], v[32:33], v[56:57]
	s_waitcnt vmcnt(8)
	v_mul_f64 v[56:57], v[195:196], v[10:11]
	v_mul_f64 v[58:59], v[197:198], v[10:11]
	v_fma_f64 v[14:15], v[14:15], v[20:21], v[54:55]
	v_fma_f64 v[54:55], v[12:13], v[20:21], -v[22:23]
	ds_load_b128 v[10:13], v1 offset:1408
	scratch_load_b128 v[20:23], off, off offset:544
	v_add_f64 v[6:7], v[6:7], v[60:61]
	v_add_f64 v[32:33], v[32:33], v[52:53]
	s_waitcnt vmcnt(8) lgkmcnt(0)
	v_mul_f64 v[52:53], v[10:11], v[189:190]
	v_mul_f64 v[60:61], v[12:13], v[189:190]
	v_fma_f64 v[56:57], v[197:198], v[8:9], v[56:57]
	v_fma_f64 v[58:59], v[195:196], v[8:9], -v[58:59]
	ds_load_b128 v[195:198], v1 offset:1456
	v_add_f64 v[54:55], v[6:7], v[54:55]
	scratch_load_b128 v[6:9], off, off offset:560
	v_add_f64 v[14:15], v[32:33], v[14:15]
	s_waitcnt vmcnt(8)
	v_mul_f64 v[32:33], v[191:192], v[44:45]
	v_mul_f64 v[44:45], v[193:194], v[44:45]
	v_fma_f64 v[52:53], v[12:13], v[187:188], v[52:53]
	v_fma_f64 v[60:61], v[10:11], v[187:188], -v[60:61]
	ds_load_b128 v[10:13], v1 offset:1440
	scratch_load_b128 v[185:188], off, off offset:576
	v_add_f64 v[54:55], v[54:55], v[58:59]
	v_add_f64 v[14:15], v[14:15], v[56:57]
	s_waitcnt vmcnt(8) lgkmcnt(0)
	v_mul_f64 v[56:57], v[10:11], v[48:49]
	v_mul_f64 v[48:49], v[12:13], v[48:49]
	v_fma_f64 v[32:33], v[193:194], v[42:43], v[32:33]
	v_fma_f64 v[58:59], v[191:192], v[42:43], -v[44:45]
	scratch_load_b128 v[42:45], off, off offset:592
	ds_load_b128 v[189:192], v1 offset:1488
	v_add_f64 v[54:55], v[54:55], v[60:61]
	v_add_f64 v[14:15], v[14:15], v[52:53]
	v_fma_f64 v[56:57], v[12:13], v[46:47], v[56:57]
	v_fma_f64 v[60:61], v[10:11], v[46:47], -v[48:49]
	ds_load_b128 v[10:13], v1 offset:1472
	scratch_load_b128 v[46:49], off, off offset:608
	s_waitcnt vmcnt(9)
	v_mul_f64 v[52:53], v[195:196], v[36:37]
	v_mul_f64 v[36:37], v[197:198], v[36:37]
	v_add_f64 v[54:55], v[54:55], v[58:59]
	v_add_f64 v[14:15], v[14:15], v[32:33]
	s_waitcnt vmcnt(8) lgkmcnt(0)
	v_mul_f64 v[58:59], v[10:11], v[40:41]
	v_mul_f64 v[40:41], v[12:13], v[40:41]
	v_fma_f64 v[52:53], v[197:198], v[34:35], v[52:53]
	v_fma_f64 v[36:37], v[195:196], v[34:35], -v[36:37]
	scratch_load_b128 v[32:35], off, off offset:624
	ds_load_b128 v[193:196], v1 offset:1520
	ds_load_b128 v[197:200], v1 offset:1616
	v_add_f64 v[54:55], v[54:55], v[60:61]
	v_add_f64 v[14:15], v[14:15], v[56:57]
	s_waitcnt vmcnt(8)
	v_mul_f64 v[56:57], v[189:190], v[26:27]
	v_mul_f64 v[26:27], v[191:192], v[26:27]
	v_fma_f64 v[58:59], v[12:13], v[38:39], v[58:59]
	v_fma_f64 v[40:41], v[10:11], v[38:39], -v[40:41]
	ds_load_b128 v[10:13], v1 offset:1504
	v_add_f64 v[54:55], v[54:55], v[36:37]
	scratch_load_b128 v[36:39], off, off offset:640
	v_add_f64 v[14:15], v[14:15], v[52:53]
	s_waitcnt vmcnt(8) lgkmcnt(0)
	v_mul_f64 v[52:53], v[10:11], v[30:31]
	v_mul_f64 v[30:31], v[12:13], v[30:31]
	v_fma_f64 v[56:57], v[191:192], v[24:25], v[56:57]
	v_fma_f64 v[60:61], v[189:190], v[24:25], -v[26:27]
	scratch_load_b128 v[24:27], off, off offset:656
	ds_load_b128 v[189:192], v1 offset:1552
	v_add_f64 v[40:41], v[54:55], v[40:41]
	s_waitcnt vmcnt(8)
	v_mul_f64 v[54:55], v[193:194], v[18:19]
	v_add_f64 v[14:15], v[14:15], v[58:59]
	v_mul_f64 v[18:19], v[195:196], v[18:19]
	v_fma_f64 v[52:53], v[12:13], v[28:29], v[52:53]
	v_fma_f64 v[58:59], v[10:11], v[28:29], -v[30:31]
	ds_load_b128 v[10:13], v1 offset:1536
	scratch_load_b128 v[28:31], off, off offset:672
	v_add_f64 v[40:41], v[40:41], v[60:61]
	v_fma_f64 v[54:55], v[195:196], v[16:17], v[54:55]
	v_add_f64 v[14:15], v[14:15], v[56:57]
	s_waitcnt vmcnt(8) lgkmcnt(0)
	v_mul_f64 v[56:57], v[10:11], v[22:23]
	v_mul_f64 v[22:23], v[12:13], v[22:23]
	v_fma_f64 v[18:19], v[193:194], v[16:17], -v[18:19]
	ds_load_b128 v[193:196], v1 offset:1584
	v_add_f64 v[40:41], v[40:41], v[58:59]
	v_add_f64 v[52:53], v[14:15], v[52:53]
	scratch_load_b128 v[14:17], off, off offset:688
	v_fma_f64 v[12:13], v[12:13], v[20:21], v[56:57]
	v_fma_f64 v[22:23], v[10:11], v[20:21], -v[22:23]
	s_waitcnt vmcnt(8)
	v_mul_f64 v[58:59], v[189:190], v[8:9]
	v_mul_f64 v[60:61], v[191:192], v[8:9]
	ds_load_b128 v[8:11], v1 offset:1568
	v_add_f64 v[40:41], v[40:41], v[18:19]
	scratch_load_b128 v[18:21], off, off offset:704
	v_add_f64 v[52:53], v[52:53], v[54:55]
	s_waitcnt vmcnt(8) lgkmcnt(0)
	v_mul_f64 v[54:55], v[8:9], v[187:188]
	v_mul_f64 v[56:57], v[10:11], v[187:188]
	v_fma_f64 v[58:59], v[191:192], v[6:7], v[58:59]
	v_fma_f64 v[6:7], v[189:190], v[6:7], -v[60:61]
	scratch_load_b128 v[187:190], off, off offset:720
	v_add_f64 v[22:23], v[40:41], v[22:23]
	s_waitcnt vmcnt(8)
	v_mul_f64 v[40:41], v[193:194], v[44:45]
	v_add_f64 v[12:13], v[52:53], v[12:13]
	v_mul_f64 v[44:45], v[195:196], v[44:45]
	v_fma_f64 v[52:53], v[10:11], v[185:186], v[54:55]
	v_fma_f64 v[54:55], v[8:9], v[185:186], -v[56:57]
	v_add_f64 v[22:23], v[22:23], v[6:7]
	ds_load_b128 v[6:9], v1 offset:1600
	v_add_f64 v[56:57], v[12:13], v[58:59]
	scratch_load_b128 v[10:13], off, off offset:736
	v_fma_f64 v[60:61], v[195:196], v[42:43], v[40:41]
	v_fma_f64 v[44:45], v[193:194], v[42:43], -v[44:45]
	scratch_load_b128 v[40:43], off, off offset:752
	ds_load_b128 v[191:194], v1 offset:1648
	s_waitcnt vmcnt(9) lgkmcnt(1)
	v_mul_f64 v[58:59], v[6:7], v[48:49]
	v_mul_f64 v[48:49], v[8:9], v[48:49]
	v_add_f64 v[22:23], v[22:23], v[54:55]
	s_waitcnt vmcnt(8)
	v_mul_f64 v[54:55], v[197:198], v[34:35]
	v_add_f64 v[52:53], v[56:57], v[52:53]
	v_mul_f64 v[34:35], v[199:200], v[34:35]
	v_fma_f64 v[56:57], v[8:9], v[46:47], v[58:59]
	v_fma_f64 v[48:49], v[6:7], v[46:47], -v[48:49]
	ds_load_b128 v[6:9], v1 offset:1632
	v_add_f64 v[22:23], v[22:23], v[44:45]
	scratch_load_b128 v[44:47], off, off offset:768
	v_add_f64 v[52:53], v[52:53], v[60:61]
	v_fma_f64 v[54:55], v[199:200], v[32:33], v[54:55]
	v_fma_f64 v[60:61], v[197:198], v[32:33], -v[34:35]
	scratch_load_b128 v[32:35], off, off offset:784
	ds_load_b128 v[195:198], v1 offset:1680
	s_waitcnt vmcnt(9) lgkmcnt(1)
	v_mul_f64 v[58:59], v[6:7], v[38:39]
	v_mul_f64 v[38:39], v[8:9], v[38:39]
	v_add_f64 v[22:23], v[22:23], v[48:49]
	v_add_f64 v[48:49], v[52:53], v[56:57]
	s_waitcnt vmcnt(8)
	v_mul_f64 v[52:53], v[191:192], v[26:27]
	v_mul_f64 v[26:27], v[193:194], v[26:27]
	v_fma_f64 v[56:57], v[8:9], v[36:37], v[58:59]
	v_fma_f64 v[58:59], v[6:7], v[36:37], -v[38:39]
	ds_load_b128 v[6:9], v1 offset:1664
	scratch_load_b128 v[36:39], off, off offset:800
	v_add_f64 v[22:23], v[22:23], v[60:61]
	v_add_f64 v[48:49], v[48:49], v[54:55]
	s_waitcnt vmcnt(8) lgkmcnt(0)
	v_mul_f64 v[54:55], v[6:7], v[30:31]
	v_mul_f64 v[30:31], v[8:9], v[30:31]
	v_fma_f64 v[52:53], v[193:194], v[24:25], v[52:53]
	v_fma_f64 v[26:27], v[191:192], v[24:25], -v[26:27]
	ds_load_b128 v[191:194], v1 offset:1712
	v_add_f64 v[58:59], v[22:23], v[58:59]
	scratch_load_b128 v[22:25], off, off offset:816
	v_add_f64 v[48:49], v[48:49], v[56:57]
	v_fma_f64 v[54:55], v[8:9], v[28:29], v[54:55]
	v_fma_f64 v[30:31], v[6:7], v[28:29], -v[30:31]
	ds_load_b128 v[6:9], v1 offset:1696
	s_waitcnt vmcnt(8)
	v_mul_f64 v[56:57], v[195:196], v[16:17]
	v_mul_f64 v[16:17], v[197:198], v[16:17]
	v_add_f64 v[58:59], v[58:59], v[26:27]
	scratch_load_b128 v[26:29], off, off offset:832
	v_add_f64 v[48:49], v[48:49], v[52:53]
	s_waitcnt vmcnt(8) lgkmcnt(0)
	v_mul_f64 v[52:53], v[6:7], v[20:21]
	v_mul_f64 v[20:21], v[8:9], v[20:21]
	v_fma_f64 v[56:57], v[197:198], v[14:15], v[56:57]
	v_fma_f64 v[60:61], v[195:196], v[14:15], -v[16:17]
	scratch_load_b128 v[14:17], off, off offset:848
	ds_load_b128 v[195:198], v1 offset:1744
	v_add_f64 v[30:31], v[58:59], v[30:31]
	s_waitcnt vmcnt(8)
	v_mul_f64 v[58:59], v[193:194], v[189:190]
	v_add_f64 v[48:49], v[48:49], v[54:55]
	v_mul_f64 v[54:55], v[191:192], v[189:190]
	v_fma_f64 v[52:53], v[8:9], v[18:19], v[52:53]
	v_fma_f64 v[62:63], v[6:7], v[18:19], -v[20:21]
	ds_load_b128 v[6:9], v1 offset:1728
	scratch_load_b128 v[18:21], off, off offset:864
	v_add_f64 v[30:31], v[30:31], v[60:61]
	v_fma_f64 v[58:59], v[191:192], v[187:188], -v[58:59]
	v_add_f64 v[48:49], v[48:49], v[56:57]
	v_fma_f64 v[54:55], v[193:194], v[187:188], v[54:55]
	scratch_load_b128 v[185:188], off, off offset:880
	ds_load_b128 v[189:192], v1 offset:1776
	s_waitcnt vmcnt(9) lgkmcnt(1)
	v_mul_f64 v[56:57], v[6:7], v[12:13]
	v_mul_f64 v[12:13], v[8:9], v[12:13]
	v_add_f64 v[30:31], v[30:31], v[62:63]
	v_add_f64 v[48:49], v[48:49], v[52:53]
	s_waitcnt vmcnt(8)
	v_mul_f64 v[52:53], v[195:196], v[42:43]
	v_mul_f64 v[42:43], v[197:198], v[42:43]
	v_fma_f64 v[56:57], v[8:9], v[10:11], v[56:57]
	v_fma_f64 v[60:61], v[6:7], v[10:11], -v[12:13]
	ds_load_b128 v[6:9], v1 offset:1760
	scratch_load_b128 v[10:13], off, off offset:896
	v_add_f64 v[30:31], v[30:31], v[58:59]
	v_add_f64 v[48:49], v[48:49], v[54:55]
	v_fma_f64 v[52:53], v[197:198], v[40:41], v[52:53]
	v_fma_f64 v[58:59], v[195:196], v[40:41], -v[42:43]
	scratch_load_b128 v[40:43], off, off offset:912
	ds_load_b128 v[193:196], v1 offset:1808
	s_waitcnt vmcnt(9) lgkmcnt(1)
	v_mul_f64 v[54:55], v[6:7], v[46:47]
	v_mul_f64 v[46:47], v[8:9], v[46:47]
	v_add_f64 v[30:31], v[30:31], v[60:61]
	v_add_f64 v[48:49], v[48:49], v[56:57]
	s_waitcnt vmcnt(8)
	v_mul_f64 v[56:57], v[189:190], v[34:35]
	v_mul_f64 v[34:35], v[191:192], v[34:35]
	v_fma_f64 v[54:55], v[8:9], v[44:45], v[54:55]
	v_fma_f64 v[60:61], v[6:7], v[44:45], -v[46:47]
	ds_load_b128 v[6:9], v1 offset:1792
	scratch_load_b128 v[44:47], off, off offset:928
	v_add_f64 v[30:31], v[30:31], v[58:59]
	v_add_f64 v[48:49], v[48:49], v[52:53]
	s_waitcnt vmcnt(8) lgkmcnt(0)
	v_mul_f64 v[52:53], v[6:7], v[38:39]
	v_mul_f64 v[38:39], v[8:9], v[38:39]
	v_fma_f64 v[56:57], v[191:192], v[32:33], v[56:57]
	v_fma_f64 v[34:35], v[189:190], v[32:33], -v[34:35]
	ds_load_b128 v[189:192], v1 offset:1840
	v_add_f64 v[58:59], v[30:31], v[60:61]
	scratch_load_b128 v[30:33], off, off offset:944
	v_add_f64 v[48:49], v[48:49], v[54:55]
	v_fma_f64 v[52:53], v[8:9], v[36:37], v[52:53]
	v_fma_f64 v[38:39], v[6:7], v[36:37], -v[38:39]
	ds_load_b128 v[6:9], v1 offset:1824
	s_waitcnt vmcnt(8)
	v_mul_f64 v[54:55], v[193:194], v[24:25]
	v_mul_f64 v[24:25], v[195:196], v[24:25]
	v_add_f64 v[58:59], v[58:59], v[34:35]
	scratch_load_b128 v[34:37], off, off offset:960
	v_add_f64 v[48:49], v[48:49], v[56:57]
	s_waitcnt vmcnt(8) lgkmcnt(0)
	v_mul_f64 v[56:57], v[6:7], v[28:29]
	v_mul_f64 v[28:29], v[8:9], v[28:29]
	v_fma_f64 v[54:55], v[195:196], v[22:23], v[54:55]
	v_fma_f64 v[60:61], v[193:194], v[22:23], -v[24:25]
	scratch_load_b128 v[22:25], off, off offset:976
	v_add_f64 v[38:39], v[58:59], v[38:39]
	v_add_f64 v[48:49], v[48:49], v[52:53]
	s_waitcnt vmcnt(8)
	v_mul_f64 v[52:53], v[189:190], v[16:17]
	v_mul_f64 v[16:17], v[191:192], v[16:17]
	v_fma_f64 v[56:57], v[8:9], v[26:27], v[56:57]
	v_fma_f64 v[58:59], v[6:7], v[26:27], -v[28:29]
	ds_load_b128 v[6:9], v1 offset:1856
	ds_load_b128 v[26:29], v1 offset:1872
	v_add_f64 v[38:39], v[38:39], v[60:61]
	v_add_f64 v[48:49], v[48:49], v[54:55]
	s_waitcnt vmcnt(7) lgkmcnt(1)
	v_mul_f64 v[54:55], v[6:7], v[20:21]
	v_mul_f64 v[20:21], v[8:9], v[20:21]
	v_fma_f64 v[52:53], v[191:192], v[14:15], v[52:53]
	v_fma_f64 v[14:15], v[189:190], v[14:15], -v[16:17]
	v_add_f64 v[16:17], v[38:39], v[58:59]
	v_add_f64 v[38:39], v[48:49], v[56:57]
	s_waitcnt vmcnt(6) lgkmcnt(0)
	v_mul_f64 v[48:49], v[26:27], v[187:188]
	v_mul_f64 v[56:57], v[28:29], v[187:188]
	v_fma_f64 v[54:55], v[8:9], v[18:19], v[54:55]
	v_fma_f64 v[18:19], v[6:7], v[18:19], -v[20:21]
	v_add_f64 v[20:21], v[16:17], v[14:15]
	ds_load_b128 v[6:9], v1 offset:1888
	ds_load_b128 v[14:17], v1 offset:1904
	v_add_f64 v[38:39], v[38:39], v[52:53]
	v_fma_f64 v[28:29], v[28:29], v[185:186], v[48:49]
	v_fma_f64 v[26:27], v[26:27], v[185:186], -v[56:57]
	s_waitcnt vmcnt(5) lgkmcnt(1)
	v_mul_f64 v[52:53], v[6:7], v[12:13]
	v_mul_f64 v[12:13], v[8:9], v[12:13]
	v_add_f64 v[18:19], v[20:21], v[18:19]
	v_add_f64 v[20:21], v[38:39], v[54:55]
	s_waitcnt vmcnt(4) lgkmcnt(0)
	v_mul_f64 v[38:39], v[14:15], v[42:43]
	v_mul_f64 v[42:43], v[16:17], v[42:43]
	v_fma_f64 v[48:49], v[8:9], v[10:11], v[52:53]
	v_fma_f64 v[52:53], v[6:7], v[10:11], -v[12:13]
	ds_load_b128 v[6:9], v1 offset:1920
	ds_load_b128 v[10:13], v1 offset:1936
	v_add_f64 v[18:19], v[18:19], v[26:27]
	v_add_f64 v[20:21], v[20:21], v[28:29]
	s_waitcnt vmcnt(3) lgkmcnt(1)
	v_mul_f64 v[26:27], v[6:7], v[46:47]
	v_mul_f64 v[28:29], v[8:9], v[46:47]
	v_fma_f64 v[16:17], v[16:17], v[40:41], v[38:39]
	v_fma_f64 v[14:15], v[14:15], v[40:41], -v[42:43]
	v_add_f64 v[18:19], v[18:19], v[52:53]
	v_add_f64 v[20:21], v[20:21], v[48:49]
	v_fma_f64 v[26:27], v[8:9], v[44:45], v[26:27]
	v_fma_f64 v[28:29], v[6:7], v[44:45], -v[28:29]
	s_waitcnt vmcnt(2) lgkmcnt(0)
	v_mul_f64 v[38:39], v[10:11], v[32:33]
	v_mul_f64 v[32:33], v[12:13], v[32:33]
	v_add_f64 v[18:19], v[18:19], v[14:15]
	v_add_f64 v[20:21], v[20:21], v[16:17]
	ds_load_b128 v[6:9], v1 offset:1952
	ds_load_b128 v[14:17], v1 offset:1968
	v_fma_f64 v[12:13], v[12:13], v[30:31], v[38:39]
	v_fma_f64 v[10:11], v[10:11], v[30:31], -v[32:33]
	s_waitcnt vmcnt(1) lgkmcnt(1)
	v_mul_f64 v[40:41], v[6:7], v[36:37]
	v_mul_f64 v[36:37], v[8:9], v[36:37]
	v_add_f64 v[18:19], v[18:19], v[28:29]
	v_add_f64 v[20:21], v[20:21], v[26:27]
	s_waitcnt vmcnt(0) lgkmcnt(0)
	v_mul_f64 v[26:27], v[14:15], v[24:25]
	v_mul_f64 v[24:25], v[16:17], v[24:25]
	v_fma_f64 v[8:9], v[8:9], v[34:35], v[40:41]
	v_fma_f64 v[6:7], v[6:7], v[34:35], -v[36:37]
	v_add_f64 v[10:11], v[18:19], v[10:11]
	v_add_f64 v[12:13], v[20:21], v[12:13]
	v_fma_f64 v[16:17], v[16:17], v[22:23], v[26:27]
	v_fma_f64 v[14:15], v[14:15], v[22:23], -v[24:25]
	s_delay_alu instid0(VALU_DEP_4) | instskip(NEXT) | instid1(VALU_DEP_4)
	v_add_f64 v[6:7], v[10:11], v[6:7]
	v_add_f64 v[8:9], v[12:13], v[8:9]
	s_delay_alu instid0(VALU_DEP_2) | instskip(NEXT) | instid1(VALU_DEP_2)
	v_add_f64 v[6:7], v[6:7], v[14:15]
	v_add_f64 v[8:9], v[8:9], v[16:17]
	s_delay_alu instid0(VALU_DEP_2) | instskip(NEXT) | instid1(VALU_DEP_2)
	v_add_f64 v[1:2], v[2:3], -v[6:7]
	v_add_f64 v[3:4], v[4:5], -v[8:9]
	scratch_store_b128 off, v[1:4], off offset:112
	v_cmpx_lt_u32_e32 6, v174
	s_cbranch_execz .LBB125_385
; %bb.384:
	scratch_load_b32 v1, off, off offset:1208 ; 4-byte Folded Reload
	v_mov_b32_e32 v5, 0
	s_delay_alu instid0(VALU_DEP_1)
	v_mov_b32_e32 v6, v5
	v_mov_b32_e32 v7, v5
	;; [unrolled: 1-line block ×3, first 2 shown]
	s_waitcnt vmcnt(0)
	scratch_load_b128 v[1:4], v1, off
	scratch_store_b128 off, v[5:8], off offset:96
	s_waitcnt vmcnt(0)
	ds_store_b128 v255, v[1:4]
.LBB125_385:
	s_or_b32 exec_lo, exec_lo, s2
	s_waitcnt lgkmcnt(0)
	s_waitcnt_vscnt null, 0x0
	s_barrier
	buffer_gl0_inv
	s_clause 0x7
	scratch_load_b128 v[34:37], off, off offset:112
	scratch_load_b128 v[38:41], off, off offset:128
	scratch_load_b128 v[30:33], off, off offset:144
	scratch_load_b128 v[26:29], off, off offset:160
	scratch_load_b128 v[22:25], off, off offset:176
	scratch_load_b128 v[18:21], off, off offset:192
	scratch_load_b128 v[10:13], off, off offset:208
	scratch_load_b128 v[6:9], off, off offset:224
	v_mov_b32_e32 v1, 0
	s_mov_b32 s2, exec_lo
	ds_load_b128 v[46:49], v1 offset:1104
	s_clause 0x2
	scratch_load_b128 v[14:17], off, off offset:240
	scratch_load_b128 v[2:5], off, off offset:96
	;; [unrolled: 1-line block ×3, first 2 shown]
	ds_load_b128 v[42:45], v1 offset:1120
	ds_load_b128 v[189:192], v1 offset:1152
	;; [unrolled: 1-line block ×3, first 2 shown]
	s_waitcnt vmcnt(10) lgkmcnt(3)
	v_mul_f64 v[52:53], v[48:49], v[36:37]
	v_mul_f64 v[36:37], v[46:47], v[36:37]
	s_delay_alu instid0(VALU_DEP_2) | instskip(NEXT) | instid1(VALU_DEP_2)
	v_fma_f64 v[52:53], v[46:47], v[34:35], -v[52:53]
	v_fma_f64 v[56:57], v[48:49], v[34:35], v[36:37]
	ds_load_b128 v[34:37], v1 offset:1136
	s_waitcnt vmcnt(9) lgkmcnt(3)
	v_mul_f64 v[54:55], v[42:43], v[40:41]
	v_mul_f64 v[40:41], v[44:45], v[40:41]
	scratch_load_b128 v[46:49], off, off offset:272
	s_waitcnt vmcnt(9) lgkmcnt(0)
	v_mul_f64 v[58:59], v[34:35], v[32:33]
	v_mul_f64 v[32:33], v[36:37], v[32:33]
	v_add_f64 v[52:53], v[52:53], 0
	v_fma_f64 v[44:45], v[44:45], v[38:39], v[54:55]
	v_fma_f64 v[42:43], v[42:43], v[38:39], -v[40:41]
	v_add_f64 v[54:55], v[56:57], 0
	scratch_load_b128 v[38:41], off, off offset:288
	v_fma_f64 v[36:37], v[36:37], v[30:31], v[58:59]
	v_fma_f64 v[58:59], v[34:35], v[30:31], -v[32:33]
	scratch_load_b128 v[32:35], off, off offset:304
	v_add_f64 v[52:53], v[52:53], v[42:43]
	v_add_f64 v[54:55], v[54:55], v[44:45]
	ds_load_b128 v[42:45], v1 offset:1184
	s_waitcnt vmcnt(10)
	v_mul_f64 v[56:57], v[189:190], v[28:29]
	v_mul_f64 v[60:61], v[191:192], v[28:29]
	ds_load_b128 v[28:31], v1 offset:1168
	v_add_f64 v[52:53], v[52:53], v[58:59]
	v_add_f64 v[36:37], v[54:55], v[36:37]
	s_waitcnt vmcnt(8) lgkmcnt(1)
	v_mul_f64 v[54:55], v[42:43], v[20:21]
	v_fma_f64 v[56:57], v[191:192], v[26:27], v[56:57]
	v_fma_f64 v[60:61], v[189:190], v[26:27], -v[60:61]
	ds_load_b128 v[189:192], v1 offset:1216
	s_waitcnt lgkmcnt(1)
	v_mul_f64 v[62:63], v[28:29], v[24:25]
	v_mul_f64 v[64:65], v[30:31], v[24:25]
	scratch_load_b128 v[24:27], off, off offset:320
	v_mul_f64 v[58:59], v[44:45], v[20:21]
	v_fma_f64 v[54:55], v[44:45], v[18:19], v[54:55]
	v_add_f64 v[36:37], v[36:37], v[56:57]
	v_add_f64 v[52:53], v[52:53], v[60:61]
	s_waitcnt vmcnt(7) lgkmcnt(0)
	v_mul_f64 v[60:61], v[191:192], v[8:9]
	v_fma_f64 v[62:63], v[30:31], v[22:23], v[62:63]
	v_fma_f64 v[64:65], v[28:29], v[22:23], -v[64:65]
	scratch_load_b128 v[28:31], off, off offset:336
	ds_load_b128 v[20:23], v1 offset:1200
	v_fma_f64 v[18:19], v[42:43], v[18:19], -v[58:59]
	v_mul_f64 v[58:59], v[189:190], v[8:9]
	scratch_load_b128 v[42:45], off, off offset:352
	s_waitcnt lgkmcnt(0)
	v_mul_f64 v[56:57], v[20:21], v[12:13]
	v_mul_f64 v[12:13], v[22:23], v[12:13]
	v_add_f64 v[36:37], v[36:37], v[62:63]
	v_add_f64 v[52:53], v[52:53], v[64:65]
	s_delay_alu instid0(VALU_DEP_4) | instskip(NEXT) | instid1(VALU_DEP_4)
	v_fma_f64 v[22:23], v[22:23], v[10:11], v[56:57]
	v_fma_f64 v[12:13], v[20:21], v[10:11], -v[12:13]
	ds_load_b128 v[8:11], v1 offset:1232
	v_fma_f64 v[56:57], v[191:192], v[6:7], v[58:59]
	v_fma_f64 v[6:7], v[189:190], v[6:7], -v[60:61]
	scratch_load_b128 v[189:192], off, off offset:384
	v_add_f64 v[36:37], v[36:37], v[54:55]
	v_add_f64 v[52:53], v[52:53], v[18:19]
	scratch_load_b128 v[18:21], off, off offset:368
	v_add_f64 v[22:23], v[36:37], v[22:23]
	v_add_f64 v[12:13], v[52:53], v[12:13]
	s_waitcnt vmcnt(8)
	v_mul_f64 v[36:37], v[193:194], v[187:188]
	v_mul_f64 v[52:53], v[195:196], v[187:188]
	s_delay_alu instid0(VALU_DEP_4) | instskip(NEXT) | instid1(VALU_DEP_4)
	v_add_f64 v[22:23], v[22:23], v[56:57]
	v_add_f64 v[60:61], v[12:13], v[6:7]
	s_delay_alu instid0(VALU_DEP_4) | instskip(NEXT) | instid1(VALU_DEP_4)
	v_fma_f64 v[36:37], v[195:196], v[185:186], v[36:37]
	v_fma_f64 v[52:53], v[193:194], v[185:186], -v[52:53]
	ds_load_b128 v[193:196], v1 offset:1312
	s_waitcnt lgkmcnt(1)
	v_mul_f64 v[54:55], v[8:9], v[16:17]
	v_mul_f64 v[16:17], v[10:11], v[16:17]
	scratch_load_b128 v[185:188], off, off offset:416
	v_fma_f64 v[54:55], v[10:11], v[14:15], v[54:55]
	v_fma_f64 v[58:59], v[8:9], v[14:15], -v[16:17]
	ds_load_b128 v[6:9], v1 offset:1264
	ds_load_b128 v[14:17], v1 offset:1280
	scratch_load_b128 v[10:13], off, off offset:400
	s_waitcnt vmcnt(9) lgkmcnt(1)
	v_mul_f64 v[56:57], v[6:7], v[48:49]
	v_mul_f64 v[48:49], v[8:9], v[48:49]
	v_add_f64 v[22:23], v[22:23], v[54:55]
	v_add_f64 v[58:59], v[60:61], v[58:59]
	s_waitcnt vmcnt(8) lgkmcnt(0)
	v_mul_f64 v[54:55], v[14:15], v[40:41]
	v_mul_f64 v[40:41], v[16:17], v[40:41]
	v_fma_f64 v[56:57], v[8:9], v[46:47], v[56:57]
	v_fma_f64 v[60:61], v[6:7], v[46:47], -v[48:49]
	ds_load_b128 v[6:9], v1 offset:1296
	scratch_load_b128 v[46:49], off, off offset:432
	v_add_f64 v[22:23], v[22:23], v[36:37]
	v_add_f64 v[52:53], v[58:59], v[52:53]
	v_fma_f64 v[54:55], v[16:17], v[38:39], v[54:55]
	v_fma_f64 v[38:39], v[14:15], v[38:39], -v[40:41]
	scratch_load_b128 v[14:17], off, off offset:448
	v_add_f64 v[22:23], v[22:23], v[56:57]
	v_add_f64 v[40:41], v[52:53], v[60:61]
	s_waitcnt vmcnt(8)
	v_mul_f64 v[52:53], v[193:194], v[26:27]
	v_mul_f64 v[26:27], v[195:196], v[26:27]
	s_delay_alu instid0(VALU_DEP_4) | instskip(NEXT) | instid1(VALU_DEP_4)
	v_add_f64 v[22:23], v[22:23], v[54:55]
	v_add_f64 v[40:41], v[40:41], v[38:39]
	s_delay_alu instid0(VALU_DEP_4) | instskip(NEXT) | instid1(VALU_DEP_4)
	v_fma_f64 v[52:53], v[195:196], v[24:25], v[52:53]
	v_fma_f64 v[26:27], v[193:194], v[24:25], -v[26:27]
	ds_load_b128 v[193:196], v1 offset:1376
	s_waitcnt lgkmcnt(1)
	v_mul_f64 v[36:37], v[6:7], v[34:35]
	v_mul_f64 v[34:35], v[8:9], v[34:35]
	s_delay_alu instid0(VALU_DEP_2) | instskip(NEXT) | instid1(VALU_DEP_2)
	v_fma_f64 v[56:57], v[8:9], v[32:33], v[36:37]
	v_fma_f64 v[58:59], v[6:7], v[32:33], -v[34:35]
	scratch_load_b128 v[32:35], off, off offset:464
	ds_load_b128 v[6:9], v1 offset:1328
	ds_load_b128 v[36:39], v1 offset:1344
	s_waitcnt vmcnt(8) lgkmcnt(1)
	v_mul_f64 v[54:55], v[6:7], v[30:31]
	v_mul_f64 v[30:31], v[8:9], v[30:31]
	v_add_f64 v[56:57], v[22:23], v[56:57]
	v_add_f64 v[40:41], v[40:41], v[58:59]
	s_waitcnt vmcnt(7) lgkmcnt(0)
	v_mul_f64 v[58:59], v[36:37], v[44:45]
	v_mul_f64 v[44:45], v[38:39], v[44:45]
	scratch_load_b128 v[22:25], off, off offset:480
	v_fma_f64 v[54:55], v[8:9], v[28:29], v[54:55]
	v_fma_f64 v[30:31], v[6:7], v[28:29], -v[30:31]
	ds_load_b128 v[6:9], v1 offset:1360
	v_add_f64 v[52:53], v[56:57], v[52:53]
	v_add_f64 v[40:41], v[40:41], v[26:27]
	v_fma_f64 v[58:59], v[38:39], v[42:43], v[58:59]
	v_fma_f64 v[42:43], v[36:37], v[42:43], -v[44:45]
	s_clause 0x1
	scratch_load_b128 v[26:29], off, off offset:496
	scratch_load_b128 v[36:39], off, off offset:512
	s_waitcnt vmcnt(9)
	v_mul_f64 v[44:45], v[193:194], v[191:192]
	v_add_f64 v[30:31], v[40:41], v[30:31]
	v_add_f64 v[40:41], v[52:53], v[54:55]
	v_mul_f64 v[52:53], v[195:196], v[191:192]
	s_delay_alu instid0(VALU_DEP_4) | instskip(NEXT) | instid1(VALU_DEP_4)
	v_fma_f64 v[44:45], v[195:196], v[189:190], v[44:45]
	v_add_f64 v[30:31], v[30:31], v[42:43]
	s_delay_alu instid0(VALU_DEP_4)
	v_add_f64 v[58:59], v[40:41], v[58:59]
	ds_load_b128 v[40:43], v1 offset:1408
	s_waitcnt vmcnt(8) lgkmcnt(1)
	v_mul_f64 v[56:57], v[6:7], v[20:21]
	v_mul_f64 v[20:21], v[8:9], v[20:21]
	v_fma_f64 v[52:53], v[193:194], v[189:190], -v[52:53]
	scratch_load_b128 v[189:192], off, off offset:544
	ds_load_b128 v[193:196], v1 offset:1440
	v_fma_f64 v[54:55], v[8:9], v[18:19], v[56:57]
	v_fma_f64 v[56:57], v[6:7], v[18:19], -v[20:21]
	ds_load_b128 v[6:9], v1 offset:1392
	scratch_load_b128 v[18:21], off, off offset:528
	s_waitcnt vmcnt(8) lgkmcnt(0)
	v_mul_f64 v[60:61], v[6:7], v[12:13]
	v_mul_f64 v[12:13], v[8:9], v[12:13]
	v_add_f64 v[54:55], v[58:59], v[54:55]
	v_add_f64 v[30:31], v[30:31], v[56:57]
	v_mul_f64 v[56:57], v[40:41], v[187:188]
	v_mul_f64 v[58:59], v[42:43], v[187:188]
	v_fma_f64 v[60:61], v[8:9], v[10:11], v[60:61]
	v_fma_f64 v[62:63], v[6:7], v[10:11], -v[12:13]
	ds_load_b128 v[6:9], v1 offset:1424
	scratch_load_b128 v[10:13], off, off offset:560
	v_add_f64 v[44:45], v[54:55], v[44:45]
	v_add_f64 v[30:31], v[30:31], v[52:53]
	v_fma_f64 v[54:55], v[42:43], v[185:186], v[56:57]
	v_fma_f64 v[56:57], v[40:41], v[185:186], -v[58:59]
	ds_load_b128 v[185:188], v1 offset:1472
	scratch_load_b128 v[40:43], off, off offset:576
	s_waitcnt vmcnt(9) lgkmcnt(1)
	v_mul_f64 v[52:53], v[6:7], v[48:49]
	v_mul_f64 v[48:49], v[8:9], v[48:49]
	s_waitcnt vmcnt(8)
	v_mul_f64 v[58:59], v[193:194], v[16:17]
	v_mul_f64 v[16:17], v[195:196], v[16:17]
	v_add_f64 v[44:45], v[44:45], v[60:61]
	v_add_f64 v[30:31], v[30:31], v[62:63]
	v_fma_f64 v[52:53], v[8:9], v[46:47], v[52:53]
	v_fma_f64 v[48:49], v[6:7], v[46:47], -v[48:49]
	ds_load_b128 v[6:9], v1 offset:1456
	v_fma_f64 v[58:59], v[195:196], v[14:15], v[58:59]
	v_fma_f64 v[60:61], v[193:194], v[14:15], -v[16:17]
	ds_load_b128 v[193:196], v1 offset:1504
	scratch_load_b128 v[14:17], off, off offset:608
	v_add_f64 v[54:55], v[44:45], v[54:55]
	v_add_f64 v[30:31], v[30:31], v[56:57]
	scratch_load_b128 v[44:47], off, off offset:592
	s_waitcnt vmcnt(9) lgkmcnt(1)
	v_mul_f64 v[56:57], v[6:7], v[34:35]
	v_mul_f64 v[34:35], v[8:9], v[34:35]
	v_add_f64 v[30:31], v[30:31], v[48:49]
	v_add_f64 v[48:49], v[54:55], v[52:53]
	s_waitcnt vmcnt(8)
	v_mul_f64 v[52:53], v[185:186], v[24:25]
	v_mul_f64 v[24:25], v[187:188], v[24:25]
	v_fma_f64 v[54:55], v[8:9], v[32:33], v[56:57]
	v_fma_f64 v[34:35], v[6:7], v[32:33], -v[34:35]
	ds_load_b128 v[6:9], v1 offset:1488
	v_add_f64 v[56:57], v[30:31], v[60:61]
	v_add_f64 v[48:49], v[48:49], v[58:59]
	scratch_load_b128 v[30:33], off, off offset:624
	v_fma_f64 v[52:53], v[187:188], v[22:23], v[52:53]
	v_fma_f64 v[60:61], v[185:186], v[22:23], -v[24:25]
	ds_load_b128 v[185:188], v1 offset:1536
	s_waitcnt vmcnt(8) lgkmcnt(1)
	v_mul_f64 v[58:59], v[6:7], v[28:29]
	v_mul_f64 v[28:29], v[8:9], v[28:29]
	scratch_load_b128 v[22:25], off, off offset:640
	v_add_f64 v[34:35], v[56:57], v[34:35]
	v_add_f64 v[48:49], v[48:49], v[54:55]
	s_waitcnt vmcnt(8)
	v_mul_f64 v[54:55], v[193:194], v[38:39]
	v_mul_f64 v[38:39], v[195:196], v[38:39]
	v_fma_f64 v[56:57], v[8:9], v[26:27], v[58:59]
	v_fma_f64 v[58:59], v[6:7], v[26:27], -v[28:29]
	scratch_load_b128 v[26:29], off, off offset:656
	ds_load_b128 v[6:9], v1 offset:1520
	v_add_f64 v[34:35], v[34:35], v[60:61]
	v_add_f64 v[48:49], v[48:49], v[52:53]
	v_fma_f64 v[54:55], v[195:196], v[36:37], v[54:55]
	v_fma_f64 v[38:39], v[193:194], v[36:37], -v[38:39]
	s_waitcnt vmcnt(8) lgkmcnt(1)
	v_mul_f64 v[60:61], v[187:188], v[191:192]
	ds_load_b128 v[195:198], v1 offset:1600
	v_add_f64 v[58:59], v[34:35], v[58:59]
	v_add_f64 v[48:49], v[48:49], v[56:57]
	v_mul_f64 v[56:57], v[185:186], v[191:192]
	ds_load_b128 v[191:194], v1 offset:1568
	s_waitcnt vmcnt(7) lgkmcnt(2)
	v_mul_f64 v[52:53], v[6:7], v[20:21]
	v_mul_f64 v[20:21], v[8:9], v[20:21]
	scratch_load_b128 v[34:37], off, off offset:672
	v_add_f64 v[38:39], v[58:59], v[38:39]
	v_add_f64 v[48:49], v[48:49], v[54:55]
	v_fma_f64 v[56:57], v[187:188], v[189:190], v[56:57]
	v_fma_f64 v[58:59], v[185:186], v[189:190], -v[60:61]
	v_fma_f64 v[52:53], v[8:9], v[18:19], v[52:53]
	v_fma_f64 v[62:63], v[6:7], v[18:19], -v[20:21]
	scratch_load_b128 v[18:21], off, off offset:688
	ds_load_b128 v[6:9], v1 offset:1552
	scratch_load_b128 v[185:188], off, off offset:704
	s_waitcnt vmcnt(9) lgkmcnt(0)
	v_mul_f64 v[54:55], v[6:7], v[12:13]
	v_mul_f64 v[12:13], v[8:9], v[12:13]
	v_add_f64 v[48:49], v[48:49], v[52:53]
	v_add_f64 v[38:39], v[38:39], v[62:63]
	s_waitcnt vmcnt(8)
	v_mul_f64 v[52:53], v[191:192], v[42:43]
	v_mul_f64 v[42:43], v[193:194], v[42:43]
	v_fma_f64 v[54:55], v[8:9], v[10:11], v[54:55]
	v_fma_f64 v[60:61], v[6:7], v[10:11], -v[12:13]
	scratch_load_b128 v[10:13], off, off offset:720
	ds_load_b128 v[6:9], v1 offset:1584
	v_add_f64 v[48:49], v[48:49], v[56:57]
	v_add_f64 v[38:39], v[38:39], v[58:59]
	v_fma_f64 v[52:53], v[193:194], v[40:41], v[52:53]
	v_fma_f64 v[42:43], v[191:192], v[40:41], -v[42:43]
	ds_load_b128 v[189:192], v1 offset:1664
	s_waitcnt vmcnt(7) lgkmcnt(1)
	v_mul_f64 v[56:57], v[6:7], v[46:47]
	v_mul_f64 v[46:47], v[8:9], v[46:47]
	v_add_f64 v[48:49], v[48:49], v[54:55]
	v_add_f64 v[58:59], v[38:39], v[60:61]
	v_mul_f64 v[54:55], v[195:196], v[16:17]
	v_mul_f64 v[16:17], v[197:198], v[16:17]
	scratch_load_b128 v[38:41], off, off offset:736
	v_fma_f64 v[56:57], v[8:9], v[44:45], v[56:57]
	v_fma_f64 v[60:61], v[6:7], v[44:45], -v[46:47]
	ds_load_b128 v[6:9], v1 offset:1616
	v_add_f64 v[52:53], v[48:49], v[52:53]
	ds_load_b128 v[46:49], v1 offset:1632
	v_add_f64 v[58:59], v[58:59], v[42:43]
	v_fma_f64 v[54:55], v[197:198], v[14:15], v[54:55]
	v_fma_f64 v[64:65], v[195:196], v[14:15], -v[16:17]
	s_clause 0x1
	scratch_load_b128 v[42:45], off, off offset:752
	scratch_load_b128 v[14:17], off, off offset:768
	s_waitcnt vmcnt(9) lgkmcnt(1)
	v_mul_f64 v[62:63], v[6:7], v[32:33]
	v_mul_f64 v[32:33], v[8:9], v[32:33]
	v_add_f64 v[52:53], v[52:53], v[56:57]
	s_waitcnt vmcnt(8) lgkmcnt(0)
	v_mul_f64 v[56:57], v[46:47], v[24:25]
	v_add_f64 v[58:59], v[58:59], v[60:61]
	v_mul_f64 v[24:25], v[48:49], v[24:25]
	v_fma_f64 v[60:61], v[8:9], v[30:31], v[62:63]
	v_fma_f64 v[62:63], v[6:7], v[30:31], -v[32:33]
	scratch_load_b128 v[30:33], off, off offset:784
	ds_load_b128 v[6:9], v1 offset:1648
	v_add_f64 v[52:53], v[52:53], v[54:55]
	v_fma_f64 v[48:49], v[48:49], v[22:23], v[56:57]
	v_add_f64 v[58:59], v[58:59], v[64:65]
	v_fma_f64 v[46:47], v[46:47], v[22:23], -v[24:25]
	scratch_load_b128 v[22:25], off, off offset:800
	v_add_f64 v[52:53], v[52:53], v[60:61]
	v_add_f64 v[56:57], v[58:59], v[62:63]
	s_waitcnt vmcnt(8)
	v_mul_f64 v[58:59], v[189:190], v[36:37]
	v_mul_f64 v[36:37], v[191:192], v[36:37]
	s_delay_alu instid0(VALU_DEP_4) | instskip(NEXT) | instid1(VALU_DEP_4)
	v_add_f64 v[52:53], v[52:53], v[48:49]
	v_add_f64 v[56:57], v[56:57], v[46:47]
	ds_load_b128 v[46:49], v1 offset:1696
	s_waitcnt lgkmcnt(1)
	v_mul_f64 v[54:55], v[6:7], v[28:29]
	v_mul_f64 v[28:29], v[8:9], v[28:29]
	v_fma_f64 v[58:59], v[191:192], v[34:35], v[58:59]
	v_fma_f64 v[64:65], v[189:190], v[34:35], -v[36:37]
	scratch_load_b128 v[34:37], off, off offset:832
	ds_load_b128 v[191:194], v1 offset:1760
	v_fma_f64 v[54:55], v[8:9], v[26:27], v[54:55]
	v_fma_f64 v[60:61], v[6:7], v[26:27], -v[28:29]
	ds_load_b128 v[6:9], v1 offset:1680
	scratch_load_b128 v[26:29], off, off offset:816
	v_add_f64 v[52:53], v[52:53], v[54:55]
	v_add_f64 v[56:57], v[56:57], v[60:61]
	s_waitcnt vmcnt(8) lgkmcnt(2)
	v_mul_f64 v[54:55], v[46:47], v[187:188]
	v_mul_f64 v[60:61], v[48:49], v[187:188]
	ds_load_b128 v[187:190], v1 offset:1728
	s_waitcnt lgkmcnt(1)
	v_mul_f64 v[62:63], v[6:7], v[20:21]
	v_mul_f64 v[20:21], v[8:9], v[20:21]
	v_add_f64 v[52:53], v[52:53], v[58:59]
	v_add_f64 v[56:57], v[56:57], v[64:65]
	v_fma_f64 v[54:55], v[48:49], v[185:186], v[54:55]
	v_fma_f64 v[60:61], v[46:47], v[185:186], -v[60:61]
	scratch_load_b128 v[46:49], off, off offset:864
	v_fma_f64 v[62:63], v[8:9], v[18:19], v[62:63]
	v_fma_f64 v[66:67], v[6:7], v[18:19], -v[20:21]
	ds_load_b128 v[6:9], v1 offset:1712
	scratch_load_b128 v[18:21], off, off offset:848
	s_waitcnt vmcnt(9) lgkmcnt(0)
	v_mul_f64 v[58:59], v[6:7], v[12:13]
	v_mul_f64 v[12:13], v[8:9], v[12:13]
	v_add_f64 v[52:53], v[52:53], v[62:63]
	v_add_f64 v[56:57], v[56:57], v[66:67]
	s_waitcnt vmcnt(8)
	v_mul_f64 v[62:63], v[187:188], v[40:41]
	v_mul_f64 v[40:41], v[189:190], v[40:41]
	v_fma_f64 v[58:59], v[8:9], v[10:11], v[58:59]
	v_fma_f64 v[64:65], v[6:7], v[10:11], -v[12:13]
	ds_load_b128 v[6:9], v1 offset:1744
	scratch_load_b128 v[10:13], off, off offset:880
	v_add_f64 v[52:53], v[52:53], v[54:55]
	v_add_f64 v[56:57], v[56:57], v[60:61]
	v_fma_f64 v[60:61], v[189:190], v[38:39], v[62:63]
	v_fma_f64 v[62:63], v[187:188], v[38:39], -v[40:41]
	ds_load_b128 v[185:188], v1 offset:1792
	scratch_load_b128 v[38:41], off, off offset:896
	s_waitcnt vmcnt(9) lgkmcnt(1)
	v_mul_f64 v[54:55], v[6:7], v[44:45]
	v_mul_f64 v[44:45], v[8:9], v[44:45]
	v_add_f64 v[52:53], v[52:53], v[58:59]
	v_add_f64 v[56:57], v[56:57], v[64:65]
	s_waitcnt vmcnt(8)
	v_mul_f64 v[58:59], v[191:192], v[16:17]
	v_mul_f64 v[16:17], v[193:194], v[16:17]
	v_fma_f64 v[54:55], v[8:9], v[42:43], v[54:55]
	v_fma_f64 v[64:65], v[6:7], v[42:43], -v[44:45]
	scratch_load_b128 v[42:45], off, off offset:912
	ds_load_b128 v[6:9], v1 offset:1776
	v_add_f64 v[52:53], v[52:53], v[60:61]
	v_add_f64 v[56:57], v[56:57], v[62:63]
	v_fma_f64 v[58:59], v[193:194], v[14:15], v[58:59]
	v_fma_f64 v[62:63], v[191:192], v[14:15], -v[16:17]
	ds_load_b128 v[189:192], v1 offset:1824
	s_waitcnt vmcnt(8) lgkmcnt(1)
	v_mul_f64 v[60:61], v[6:7], v[32:33]
	v_mul_f64 v[32:33], v[8:9], v[32:33]
	scratch_load_b128 v[14:17], off, off offset:928
	v_add_f64 v[52:53], v[52:53], v[54:55]
	v_add_f64 v[56:57], v[56:57], v[64:65]
	s_waitcnt vmcnt(8)
	v_mul_f64 v[54:55], v[185:186], v[24:25]
	v_mul_f64 v[24:25], v[187:188], v[24:25]
	v_fma_f64 v[60:61], v[8:9], v[30:31], v[60:61]
	v_fma_f64 v[64:65], v[6:7], v[30:31], -v[32:33]
	scratch_load_b128 v[30:33], off, off offset:944
	ds_load_b128 v[6:9], v1 offset:1808
	v_add_f64 v[52:53], v[52:53], v[58:59]
	v_add_f64 v[56:57], v[56:57], v[62:63]
	v_fma_f64 v[54:55], v[187:188], v[22:23], v[54:55]
	v_fma_f64 v[62:63], v[185:186], v[22:23], -v[24:25]
	ds_load_b128 v[185:188], v1 offset:1856
	scratch_load_b128 v[22:25], off, off offset:960
	s_waitcnt vmcnt(8) lgkmcnt(1)
	v_mul_f64 v[58:59], v[6:7], v[28:29]
	v_mul_f64 v[28:29], v[8:9], v[28:29]
	v_add_f64 v[52:53], v[52:53], v[60:61]
	v_add_f64 v[56:57], v[56:57], v[64:65]
	v_mul_f64 v[60:61], v[189:190], v[36:37]
	v_mul_f64 v[36:37], v[191:192], v[36:37]
	v_fma_f64 v[58:59], v[8:9], v[26:27], v[58:59]
	v_fma_f64 v[64:65], v[6:7], v[26:27], -v[28:29]
	scratch_load_b128 v[26:29], off, off offset:976
	ds_load_b128 v[6:9], v1 offset:1840
	v_add_f64 v[52:53], v[52:53], v[54:55]
	v_add_f64 v[56:57], v[56:57], v[62:63]
	v_fma_f64 v[60:61], v[191:192], v[34:35], v[60:61]
	v_fma_f64 v[34:35], v[189:190], v[34:35], -v[36:37]
	s_waitcnt vmcnt(7) lgkmcnt(0)
	v_mul_f64 v[54:55], v[6:7], v[20:21]
	v_mul_f64 v[20:21], v[8:9], v[20:21]
	v_add_f64 v[52:53], v[52:53], v[58:59]
	v_add_f64 v[36:37], v[56:57], v[64:65]
	v_mul_f64 v[56:57], v[185:186], v[48:49]
	v_mul_f64 v[48:49], v[187:188], v[48:49]
	v_fma_f64 v[54:55], v[8:9], v[18:19], v[54:55]
	v_fma_f64 v[58:59], v[6:7], v[18:19], -v[20:21]
	ds_load_b128 v[6:9], v1 offset:1872
	ds_load_b128 v[18:21], v1 offset:1888
	v_add_f64 v[34:35], v[36:37], v[34:35]
	v_add_f64 v[36:37], v[52:53], v[60:61]
	s_waitcnt vmcnt(6) lgkmcnt(1)
	v_mul_f64 v[52:53], v[6:7], v[12:13]
	v_mul_f64 v[12:13], v[8:9], v[12:13]
	v_fma_f64 v[56:57], v[187:188], v[46:47], v[56:57]
	v_fma_f64 v[46:47], v[185:186], v[46:47], -v[48:49]
	s_waitcnt vmcnt(5) lgkmcnt(0)
	v_mul_f64 v[48:49], v[18:19], v[40:41]
	v_mul_f64 v[40:41], v[20:21], v[40:41]
	v_add_f64 v[34:35], v[34:35], v[58:59]
	v_add_f64 v[36:37], v[36:37], v[54:55]
	v_fma_f64 v[52:53], v[8:9], v[10:11], v[52:53]
	v_fma_f64 v[54:55], v[6:7], v[10:11], -v[12:13]
	ds_load_b128 v[6:9], v1 offset:1904
	ds_load_b128 v[10:13], v1 offset:1920
	v_fma_f64 v[20:21], v[20:21], v[38:39], v[48:49]
	v_fma_f64 v[18:19], v[18:19], v[38:39], -v[40:41]
	v_add_f64 v[34:35], v[34:35], v[46:47]
	v_add_f64 v[36:37], v[36:37], v[56:57]
	s_waitcnt vmcnt(4) lgkmcnt(1)
	v_mul_f64 v[46:47], v[6:7], v[44:45]
	v_mul_f64 v[44:45], v[8:9], v[44:45]
	s_waitcnt vmcnt(3) lgkmcnt(0)
	v_mul_f64 v[38:39], v[10:11], v[16:17]
	v_mul_f64 v[40:41], v[12:13], v[16:17]
	v_add_f64 v[34:35], v[34:35], v[54:55]
	v_add_f64 v[36:37], v[36:37], v[52:53]
	v_fma_f64 v[46:47], v[8:9], v[42:43], v[46:47]
	v_fma_f64 v[42:43], v[6:7], v[42:43], -v[44:45]
	v_fma_f64 v[12:13], v[12:13], v[14:15], v[38:39]
	v_fma_f64 v[10:11], v[10:11], v[14:15], -v[40:41]
	v_add_f64 v[34:35], v[34:35], v[18:19]
	v_add_f64 v[20:21], v[36:37], v[20:21]
	ds_load_b128 v[6:9], v1 offset:1936
	ds_load_b128 v[16:19], v1 offset:1952
	s_waitcnt vmcnt(2) lgkmcnt(1)
	v_mul_f64 v[36:37], v[6:7], v[32:33]
	v_mul_f64 v[32:33], v[8:9], v[32:33]
	v_add_f64 v[14:15], v[34:35], v[42:43]
	v_add_f64 v[20:21], v[20:21], v[46:47]
	s_waitcnt vmcnt(1) lgkmcnt(0)
	v_mul_f64 v[34:35], v[16:17], v[24:25]
	v_mul_f64 v[24:25], v[18:19], v[24:25]
	v_fma_f64 v[36:37], v[8:9], v[30:31], v[36:37]
	v_fma_f64 v[30:31], v[6:7], v[30:31], -v[32:33]
	ds_load_b128 v[6:9], v1 offset:1968
	v_add_f64 v[10:11], v[14:15], v[10:11]
	v_add_f64 v[12:13], v[20:21], v[12:13]
	v_fma_f64 v[18:19], v[18:19], v[22:23], v[34:35]
	v_fma_f64 v[16:17], v[16:17], v[22:23], -v[24:25]
	s_waitcnt vmcnt(0) lgkmcnt(0)
	v_mul_f64 v[14:15], v[6:7], v[28:29]
	v_mul_f64 v[20:21], v[8:9], v[28:29]
	v_add_f64 v[10:11], v[10:11], v[30:31]
	v_add_f64 v[12:13], v[12:13], v[36:37]
	s_delay_alu instid0(VALU_DEP_4) | instskip(NEXT) | instid1(VALU_DEP_4)
	v_fma_f64 v[8:9], v[8:9], v[26:27], v[14:15]
	v_fma_f64 v[6:7], v[6:7], v[26:27], -v[20:21]
	s_delay_alu instid0(VALU_DEP_4) | instskip(NEXT) | instid1(VALU_DEP_4)
	v_add_f64 v[10:11], v[10:11], v[16:17]
	v_add_f64 v[12:13], v[12:13], v[18:19]
	s_delay_alu instid0(VALU_DEP_2) | instskip(NEXT) | instid1(VALU_DEP_2)
	v_add_f64 v[6:7], v[10:11], v[6:7]
	v_add_f64 v[8:9], v[12:13], v[8:9]
	s_delay_alu instid0(VALU_DEP_2) | instskip(NEXT) | instid1(VALU_DEP_2)
	v_add_f64 v[2:3], v[2:3], -v[6:7]
	v_add_f64 v[4:5], v[4:5], -v[8:9]
	scratch_store_b128 off, v[2:5], off offset:96
	v_cmpx_lt_u32_e32 5, v174
	s_cbranch_execz .LBB125_387
; %bb.386:
	scratch_load_b32 v2, off, off offset:1212 ; 4-byte Folded Reload
	v_mov_b32_e32 v3, v1
	v_mov_b32_e32 v4, v1
	s_waitcnt vmcnt(0)
	scratch_load_b128 v[5:8], v2, off
	v_mov_b32_e32 v2, v1
	scratch_store_b128 off, v[1:4], off offset:80
	s_waitcnt vmcnt(0)
	ds_store_b128 v255, v[5:8]
.LBB125_387:
	s_or_b32 exec_lo, exec_lo, s2
	s_waitcnt lgkmcnt(0)
	s_waitcnt_vscnt null, 0x0
	s_barrier
	buffer_gl0_inv
	s_clause 0x8
	scratch_load_b128 v[34:37], off, off offset:96
	scratch_load_b128 v[38:41], off, off offset:112
	;; [unrolled: 1-line block ×9, first 2 shown]
	ds_load_b128 v[46:49], v1 offset:1088
	ds_load_b128 v[42:45], v1 offset:1104
	s_clause 0x1
	scratch_load_b128 v[2:5], off, off offset:80
	scratch_load_b128 v[185:188], off, off offset:240
	s_mov_b32 s2, exec_lo
	ds_load_b128 v[189:192], v1 offset:1136
	ds_load_b128 v[195:198], v1 offset:1296
	s_waitcnt vmcnt(10) lgkmcnt(3)
	v_mul_f64 v[52:53], v[48:49], v[36:37]
	v_mul_f64 v[36:37], v[46:47], v[36:37]
	s_waitcnt vmcnt(9) lgkmcnt(2)
	v_mul_f64 v[54:55], v[42:43], v[40:41]
	v_mul_f64 v[40:41], v[44:45], v[40:41]
	s_waitcnt vmcnt(7) lgkmcnt(1)
	v_mul_f64 v[60:61], v[191:192], v[28:29]
	v_fma_f64 v[52:53], v[46:47], v[34:35], -v[52:53]
	v_fma_f64 v[56:57], v[48:49], v[34:35], v[36:37]
	ds_load_b128 v[34:37], v1 offset:1120
	scratch_load_b128 v[46:49], off, off offset:256
	v_fma_f64 v[44:45], v[44:45], v[38:39], v[54:55]
	v_fma_f64 v[42:43], v[42:43], v[38:39], -v[40:41]
	scratch_load_b128 v[38:41], off, off offset:272
	v_fma_f64 v[60:61], v[189:190], v[26:27], -v[60:61]
	s_waitcnt lgkmcnt(0)
	v_mul_f64 v[58:59], v[34:35], v[32:33]
	v_mul_f64 v[32:33], v[36:37], v[32:33]
	v_add_f64 v[52:53], v[52:53], 0
	v_add_f64 v[54:55], v[56:57], 0
	v_mul_f64 v[56:57], v[189:190], v[28:29]
	v_fma_f64 v[36:37], v[36:37], v[30:31], v[58:59]
	v_fma_f64 v[58:59], v[34:35], v[30:31], -v[32:33]
	ds_load_b128 v[28:31], v1 offset:1152
	scratch_load_b128 v[32:35], off, off offset:288
	v_add_f64 v[52:53], v[52:53], v[42:43]
	v_add_f64 v[54:55], v[54:55], v[44:45]
	ds_load_b128 v[42:45], v1 offset:1168
	v_fma_f64 v[56:57], v[191:192], v[26:27], v[56:57]
	ds_load_b128 v[189:192], v1 offset:1200
	s_waitcnt vmcnt(9) lgkmcnt(2)
	v_mul_f64 v[62:63], v[28:29], v[24:25]
	v_mul_f64 v[64:65], v[30:31], v[24:25]
	scratch_load_b128 v[24:27], off, off offset:304
	v_add_f64 v[52:53], v[52:53], v[58:59]
	v_add_f64 v[36:37], v[54:55], v[36:37]
	s_waitcnt vmcnt(9) lgkmcnt(1)
	v_mul_f64 v[54:55], v[42:43], v[20:21]
	v_mul_f64 v[58:59], v[44:45], v[20:21]
	v_fma_f64 v[62:63], v[30:31], v[22:23], v[62:63]
	v_fma_f64 v[64:65], v[28:29], v[22:23], -v[64:65]
	ds_load_b128 v[20:23], v1 offset:1184
	scratch_load_b128 v[28:31], off, off offset:320
	v_add_f64 v[52:53], v[52:53], v[60:61]
	v_add_f64 v[36:37], v[36:37], v[56:57]
	s_waitcnt vmcnt(9) lgkmcnt(0)
	v_mul_f64 v[56:57], v[20:21], v[16:17]
	v_mul_f64 v[60:61], v[22:23], v[16:17]
	v_fma_f64 v[44:45], v[44:45], v[18:19], v[54:55]
	v_fma_f64 v[42:43], v[42:43], v[18:19], -v[58:59]
	scratch_load_b128 v[16:19], off, off offset:336
	s_waitcnt vmcnt(9)
	v_mul_f64 v[54:55], v[189:190], v[12:13]
	v_mul_f64 v[58:59], v[191:192], v[12:13]
	v_add_f64 v[52:53], v[52:53], v[64:65]
	v_add_f64 v[36:37], v[36:37], v[62:63]
	v_fma_f64 v[56:57], v[22:23], v[14:15], v[56:57]
	v_fma_f64 v[60:61], v[20:21], v[14:15], -v[60:61]
	ds_load_b128 v[12:15], v1 offset:1216
	scratch_load_b128 v[20:23], off, off offset:352
	v_fma_f64 v[54:55], v[191:192], v[10:11], v[54:55]
	v_fma_f64 v[58:59], v[189:190], v[10:11], -v[58:59]
	ds_load_b128 v[191:194], v1 offset:1264
	v_add_f64 v[52:53], v[52:53], v[42:43]
	v_add_f64 v[36:37], v[36:37], v[44:45]
	ds_load_b128 v[42:45], v1 offset:1232
	s_waitcnt vmcnt(9) lgkmcnt(2)
	v_mul_f64 v[62:63], v[12:13], v[8:9]
	v_mul_f64 v[64:65], v[14:15], v[8:9]
	scratch_load_b128 v[8:11], off, off offset:368
	v_add_f64 v[52:53], v[52:53], v[60:61]
	v_add_f64 v[36:37], v[36:37], v[56:57]
	s_waitcnt vmcnt(8) lgkmcnt(0)
	v_mul_f64 v[56:57], v[42:43], v[187:188]
	v_mul_f64 v[60:61], v[44:45], v[187:188]
	v_fma_f64 v[62:63], v[14:15], v[6:7], v[62:63]
	v_fma_f64 v[6:7], v[12:13], v[6:7], -v[64:65]
	ds_load_b128 v[12:15], v1 offset:1248
	scratch_load_b128 v[187:190], off, off offset:384
	v_add_f64 v[52:53], v[52:53], v[58:59]
	v_add_f64 v[36:37], v[36:37], v[54:55]
	v_fma_f64 v[56:57], v[44:45], v[185:186], v[56:57]
	v_fma_f64 v[58:59], v[42:43], v[185:186], -v[60:61]
	scratch_load_b128 v[42:45], off, off offset:400
	s_waitcnt vmcnt(9) lgkmcnt(0)
	v_mul_f64 v[54:55], v[12:13], v[48:49]
	v_mul_f64 v[48:49], v[14:15], v[48:49]
	v_add_f64 v[6:7], v[52:53], v[6:7]
	v_add_f64 v[36:37], v[36:37], v[62:63]
	s_waitcnt vmcnt(8)
	v_mul_f64 v[52:53], v[191:192], v[40:41]
	v_mul_f64 v[40:41], v[193:194], v[40:41]
	v_fma_f64 v[54:55], v[14:15], v[46:47], v[54:55]
	v_fma_f64 v[60:61], v[12:13], v[46:47], -v[48:49]
	ds_load_b128 v[12:15], v1 offset:1280
	scratch_load_b128 v[46:49], off, off offset:416
	v_add_f64 v[6:7], v[6:7], v[58:59]
	v_add_f64 v[36:37], v[36:37], v[56:57]
	v_fma_f64 v[52:53], v[193:194], v[38:39], v[52:53]
	s_waitcnt vmcnt(8) lgkmcnt(0)
	v_mul_f64 v[56:57], v[12:13], v[34:35]
	v_mul_f64 v[58:59], v[14:15], v[34:35]
	v_fma_f64 v[38:39], v[191:192], v[38:39], -v[40:41]
	ds_load_b128 v[191:194], v1 offset:1328
	v_add_f64 v[6:7], v[6:7], v[60:61]
	v_add_f64 v[40:41], v[36:37], v[54:55]
	scratch_load_b128 v[34:37], off, off offset:432
	s_waitcnt vmcnt(8)
	v_mul_f64 v[54:55], v[195:196], v[26:27]
	v_mul_f64 v[26:27], v[197:198], v[26:27]
	v_fma_f64 v[56:57], v[14:15], v[32:33], v[56:57]
	v_fma_f64 v[32:33], v[12:13], v[32:33], -v[58:59]
	ds_load_b128 v[12:15], v1 offset:1312
	s_waitcnt vmcnt(7) lgkmcnt(0)
	v_mul_f64 v[58:59], v[12:13], v[30:31]
	v_mul_f64 v[30:31], v[14:15], v[30:31]
	v_add_f64 v[6:7], v[6:7], v[38:39]
	v_add_f64 v[52:53], v[40:41], v[52:53]
	scratch_load_b128 v[38:41], off, off offset:448
	v_fma_f64 v[54:55], v[197:198], v[24:25], v[54:55]
	v_fma_f64 v[60:61], v[195:196], v[24:25], -v[26:27]
	scratch_load_b128 v[24:27], off, off offset:464
	ds_load_b128 v[195:198], v1 offset:1360
	v_add_f64 v[6:7], v[6:7], v[32:33]
	v_add_f64 v[32:33], v[52:53], v[56:57]
	s_waitcnt vmcnt(8)
	v_mul_f64 v[52:53], v[191:192], v[18:19]
	v_mul_f64 v[18:19], v[193:194], v[18:19]
	v_fma_f64 v[56:57], v[14:15], v[28:29], v[58:59]
	v_fma_f64 v[58:59], v[12:13], v[28:29], -v[30:31]
	ds_load_b128 v[12:15], v1 offset:1344
	scratch_load_b128 v[28:31], off, off offset:480
	v_add_f64 v[6:7], v[6:7], v[60:61]
	v_add_f64 v[32:33], v[32:33], v[54:55]
	s_waitcnt vmcnt(8) lgkmcnt(0)
	v_mul_f64 v[54:55], v[12:13], v[22:23]
	v_mul_f64 v[22:23], v[14:15], v[22:23]
	v_fma_f64 v[52:53], v[193:194], v[16:17], v[52:53]
	v_fma_f64 v[60:61], v[191:192], v[16:17], -v[18:19]
	scratch_load_b128 v[16:19], off, off offset:496
	ds_load_b128 v[191:194], v1 offset:1392
	v_add_f64 v[6:7], v[6:7], v[58:59]
	v_add_f64 v[32:33], v[32:33], v[56:57]
	s_waitcnt vmcnt(8)
	v_mul_f64 v[56:57], v[195:196], v[10:11]
	v_mul_f64 v[58:59], v[197:198], v[10:11]
	v_fma_f64 v[14:15], v[14:15], v[20:21], v[54:55]
	v_fma_f64 v[54:55], v[12:13], v[20:21], -v[22:23]
	ds_load_b128 v[10:13], v1 offset:1376
	scratch_load_b128 v[20:23], off, off offset:512
	v_add_f64 v[6:7], v[6:7], v[60:61]
	v_add_f64 v[32:33], v[32:33], v[52:53]
	s_waitcnt vmcnt(8) lgkmcnt(0)
	v_mul_f64 v[52:53], v[10:11], v[189:190]
	v_mul_f64 v[60:61], v[12:13], v[189:190]
	v_fma_f64 v[56:57], v[197:198], v[8:9], v[56:57]
	v_fma_f64 v[58:59], v[195:196], v[8:9], -v[58:59]
	ds_load_b128 v[195:198], v1 offset:1424
	v_add_f64 v[54:55], v[6:7], v[54:55]
	scratch_load_b128 v[6:9], off, off offset:528
	v_add_f64 v[14:15], v[32:33], v[14:15]
	s_waitcnt vmcnt(8)
	v_mul_f64 v[32:33], v[191:192], v[44:45]
	v_mul_f64 v[44:45], v[193:194], v[44:45]
	v_fma_f64 v[52:53], v[12:13], v[187:188], v[52:53]
	v_fma_f64 v[60:61], v[10:11], v[187:188], -v[60:61]
	ds_load_b128 v[10:13], v1 offset:1408
	scratch_load_b128 v[185:188], off, off offset:544
	v_add_f64 v[54:55], v[54:55], v[58:59]
	v_add_f64 v[14:15], v[14:15], v[56:57]
	s_waitcnt vmcnt(8) lgkmcnt(0)
	v_mul_f64 v[56:57], v[10:11], v[48:49]
	v_mul_f64 v[48:49], v[12:13], v[48:49]
	v_fma_f64 v[32:33], v[193:194], v[42:43], v[32:33]
	v_fma_f64 v[58:59], v[191:192], v[42:43], -v[44:45]
	scratch_load_b128 v[42:45], off, off offset:560
	ds_load_b128 v[189:192], v1 offset:1456
	v_add_f64 v[54:55], v[54:55], v[60:61]
	v_add_f64 v[14:15], v[14:15], v[52:53]
	v_fma_f64 v[56:57], v[12:13], v[46:47], v[56:57]
	v_fma_f64 v[60:61], v[10:11], v[46:47], -v[48:49]
	ds_load_b128 v[10:13], v1 offset:1440
	scratch_load_b128 v[46:49], off, off offset:576
	s_waitcnt vmcnt(9)
	v_mul_f64 v[52:53], v[195:196], v[36:37]
	v_mul_f64 v[36:37], v[197:198], v[36:37]
	v_add_f64 v[54:55], v[54:55], v[58:59]
	v_add_f64 v[14:15], v[14:15], v[32:33]
	s_waitcnt vmcnt(8) lgkmcnt(0)
	v_mul_f64 v[58:59], v[10:11], v[40:41]
	v_mul_f64 v[40:41], v[12:13], v[40:41]
	v_fma_f64 v[52:53], v[197:198], v[34:35], v[52:53]
	v_fma_f64 v[36:37], v[195:196], v[34:35], -v[36:37]
	scratch_load_b128 v[32:35], off, off offset:592
	ds_load_b128 v[193:196], v1 offset:1488
	ds_load_b128 v[197:200], v1 offset:1584
	v_add_f64 v[54:55], v[54:55], v[60:61]
	v_add_f64 v[14:15], v[14:15], v[56:57]
	s_waitcnt vmcnt(8)
	v_mul_f64 v[56:57], v[189:190], v[26:27]
	v_mul_f64 v[26:27], v[191:192], v[26:27]
	v_fma_f64 v[58:59], v[12:13], v[38:39], v[58:59]
	v_fma_f64 v[40:41], v[10:11], v[38:39], -v[40:41]
	ds_load_b128 v[10:13], v1 offset:1472
	v_add_f64 v[54:55], v[54:55], v[36:37]
	scratch_load_b128 v[36:39], off, off offset:608
	v_add_f64 v[14:15], v[14:15], v[52:53]
	s_waitcnt vmcnt(8) lgkmcnt(0)
	v_mul_f64 v[52:53], v[10:11], v[30:31]
	v_mul_f64 v[30:31], v[12:13], v[30:31]
	v_fma_f64 v[56:57], v[191:192], v[24:25], v[56:57]
	v_fma_f64 v[60:61], v[189:190], v[24:25], -v[26:27]
	scratch_load_b128 v[24:27], off, off offset:624
	ds_load_b128 v[189:192], v1 offset:1520
	v_add_f64 v[40:41], v[54:55], v[40:41]
	s_waitcnt vmcnt(8)
	v_mul_f64 v[54:55], v[193:194], v[18:19]
	v_add_f64 v[14:15], v[14:15], v[58:59]
	v_mul_f64 v[18:19], v[195:196], v[18:19]
	v_fma_f64 v[52:53], v[12:13], v[28:29], v[52:53]
	v_fma_f64 v[58:59], v[10:11], v[28:29], -v[30:31]
	ds_load_b128 v[10:13], v1 offset:1504
	scratch_load_b128 v[28:31], off, off offset:640
	v_add_f64 v[40:41], v[40:41], v[60:61]
	v_fma_f64 v[54:55], v[195:196], v[16:17], v[54:55]
	v_add_f64 v[14:15], v[14:15], v[56:57]
	s_waitcnt vmcnt(8) lgkmcnt(0)
	v_mul_f64 v[56:57], v[10:11], v[22:23]
	v_mul_f64 v[22:23], v[12:13], v[22:23]
	v_fma_f64 v[18:19], v[193:194], v[16:17], -v[18:19]
	ds_load_b128 v[193:196], v1 offset:1552
	v_add_f64 v[40:41], v[40:41], v[58:59]
	v_add_f64 v[52:53], v[14:15], v[52:53]
	scratch_load_b128 v[14:17], off, off offset:656
	v_fma_f64 v[12:13], v[12:13], v[20:21], v[56:57]
	v_fma_f64 v[22:23], v[10:11], v[20:21], -v[22:23]
	s_waitcnt vmcnt(8)
	v_mul_f64 v[58:59], v[189:190], v[8:9]
	v_mul_f64 v[60:61], v[191:192], v[8:9]
	ds_load_b128 v[8:11], v1 offset:1536
	v_add_f64 v[40:41], v[40:41], v[18:19]
	scratch_load_b128 v[18:21], off, off offset:672
	v_add_f64 v[52:53], v[52:53], v[54:55]
	s_waitcnt vmcnt(8) lgkmcnt(0)
	v_mul_f64 v[54:55], v[8:9], v[187:188]
	v_mul_f64 v[56:57], v[10:11], v[187:188]
	v_fma_f64 v[58:59], v[191:192], v[6:7], v[58:59]
	v_fma_f64 v[6:7], v[189:190], v[6:7], -v[60:61]
	scratch_load_b128 v[187:190], off, off offset:688
	v_add_f64 v[22:23], v[40:41], v[22:23]
	s_waitcnt vmcnt(8)
	v_mul_f64 v[40:41], v[193:194], v[44:45]
	v_add_f64 v[12:13], v[52:53], v[12:13]
	v_mul_f64 v[44:45], v[195:196], v[44:45]
	v_fma_f64 v[52:53], v[10:11], v[185:186], v[54:55]
	v_fma_f64 v[54:55], v[8:9], v[185:186], -v[56:57]
	v_add_f64 v[22:23], v[22:23], v[6:7]
	ds_load_b128 v[6:9], v1 offset:1568
	v_add_f64 v[56:57], v[12:13], v[58:59]
	scratch_load_b128 v[10:13], off, off offset:704
	v_fma_f64 v[60:61], v[195:196], v[42:43], v[40:41]
	v_fma_f64 v[44:45], v[193:194], v[42:43], -v[44:45]
	scratch_load_b128 v[40:43], off, off offset:720
	ds_load_b128 v[191:194], v1 offset:1616
	s_waitcnt vmcnt(9) lgkmcnt(1)
	v_mul_f64 v[58:59], v[6:7], v[48:49]
	v_mul_f64 v[48:49], v[8:9], v[48:49]
	v_add_f64 v[22:23], v[22:23], v[54:55]
	s_waitcnt vmcnt(8)
	v_mul_f64 v[54:55], v[197:198], v[34:35]
	v_add_f64 v[52:53], v[56:57], v[52:53]
	v_mul_f64 v[34:35], v[199:200], v[34:35]
	v_fma_f64 v[56:57], v[8:9], v[46:47], v[58:59]
	v_fma_f64 v[48:49], v[6:7], v[46:47], -v[48:49]
	ds_load_b128 v[6:9], v1 offset:1600
	v_add_f64 v[22:23], v[22:23], v[44:45]
	scratch_load_b128 v[44:47], off, off offset:736
	v_add_f64 v[52:53], v[52:53], v[60:61]
	v_fma_f64 v[54:55], v[199:200], v[32:33], v[54:55]
	v_fma_f64 v[60:61], v[197:198], v[32:33], -v[34:35]
	scratch_load_b128 v[32:35], off, off offset:752
	ds_load_b128 v[195:198], v1 offset:1648
	s_waitcnt vmcnt(9) lgkmcnt(1)
	v_mul_f64 v[58:59], v[6:7], v[38:39]
	v_mul_f64 v[38:39], v[8:9], v[38:39]
	v_add_f64 v[22:23], v[22:23], v[48:49]
	v_add_f64 v[48:49], v[52:53], v[56:57]
	s_waitcnt vmcnt(8)
	v_mul_f64 v[52:53], v[191:192], v[26:27]
	v_mul_f64 v[26:27], v[193:194], v[26:27]
	v_fma_f64 v[56:57], v[8:9], v[36:37], v[58:59]
	v_fma_f64 v[58:59], v[6:7], v[36:37], -v[38:39]
	ds_load_b128 v[6:9], v1 offset:1632
	scratch_load_b128 v[36:39], off, off offset:768
	v_add_f64 v[22:23], v[22:23], v[60:61]
	v_add_f64 v[48:49], v[48:49], v[54:55]
	s_waitcnt vmcnt(8) lgkmcnt(0)
	v_mul_f64 v[54:55], v[6:7], v[30:31]
	v_mul_f64 v[30:31], v[8:9], v[30:31]
	v_fma_f64 v[52:53], v[193:194], v[24:25], v[52:53]
	v_fma_f64 v[26:27], v[191:192], v[24:25], -v[26:27]
	ds_load_b128 v[191:194], v1 offset:1680
	v_add_f64 v[58:59], v[22:23], v[58:59]
	scratch_load_b128 v[22:25], off, off offset:784
	v_add_f64 v[48:49], v[48:49], v[56:57]
	v_fma_f64 v[54:55], v[8:9], v[28:29], v[54:55]
	v_fma_f64 v[30:31], v[6:7], v[28:29], -v[30:31]
	ds_load_b128 v[6:9], v1 offset:1664
	s_waitcnt vmcnt(8)
	v_mul_f64 v[56:57], v[195:196], v[16:17]
	v_mul_f64 v[16:17], v[197:198], v[16:17]
	v_add_f64 v[58:59], v[58:59], v[26:27]
	scratch_load_b128 v[26:29], off, off offset:800
	v_add_f64 v[48:49], v[48:49], v[52:53]
	s_waitcnt vmcnt(8) lgkmcnt(0)
	v_mul_f64 v[52:53], v[6:7], v[20:21]
	v_mul_f64 v[20:21], v[8:9], v[20:21]
	v_fma_f64 v[56:57], v[197:198], v[14:15], v[56:57]
	v_fma_f64 v[60:61], v[195:196], v[14:15], -v[16:17]
	scratch_load_b128 v[14:17], off, off offset:816
	ds_load_b128 v[195:198], v1 offset:1712
	v_add_f64 v[30:31], v[58:59], v[30:31]
	s_waitcnt vmcnt(8)
	v_mul_f64 v[58:59], v[193:194], v[189:190]
	v_add_f64 v[48:49], v[48:49], v[54:55]
	v_mul_f64 v[54:55], v[191:192], v[189:190]
	v_fma_f64 v[52:53], v[8:9], v[18:19], v[52:53]
	v_fma_f64 v[62:63], v[6:7], v[18:19], -v[20:21]
	ds_load_b128 v[6:9], v1 offset:1696
	scratch_load_b128 v[18:21], off, off offset:832
	v_add_f64 v[30:31], v[30:31], v[60:61]
	v_fma_f64 v[58:59], v[191:192], v[187:188], -v[58:59]
	v_add_f64 v[48:49], v[48:49], v[56:57]
	v_fma_f64 v[54:55], v[193:194], v[187:188], v[54:55]
	scratch_load_b128 v[185:188], off, off offset:848
	ds_load_b128 v[189:192], v1 offset:1744
	s_waitcnt vmcnt(9) lgkmcnt(1)
	v_mul_f64 v[56:57], v[6:7], v[12:13]
	v_mul_f64 v[12:13], v[8:9], v[12:13]
	v_add_f64 v[30:31], v[30:31], v[62:63]
	v_add_f64 v[48:49], v[48:49], v[52:53]
	s_waitcnt vmcnt(8)
	v_mul_f64 v[52:53], v[195:196], v[42:43]
	v_mul_f64 v[42:43], v[197:198], v[42:43]
	v_fma_f64 v[56:57], v[8:9], v[10:11], v[56:57]
	v_fma_f64 v[60:61], v[6:7], v[10:11], -v[12:13]
	ds_load_b128 v[6:9], v1 offset:1728
	scratch_load_b128 v[10:13], off, off offset:864
	v_add_f64 v[30:31], v[30:31], v[58:59]
	v_add_f64 v[48:49], v[48:49], v[54:55]
	v_fma_f64 v[52:53], v[197:198], v[40:41], v[52:53]
	v_fma_f64 v[58:59], v[195:196], v[40:41], -v[42:43]
	scratch_load_b128 v[40:43], off, off offset:880
	ds_load_b128 v[193:196], v1 offset:1776
	s_waitcnt vmcnt(9) lgkmcnt(1)
	v_mul_f64 v[54:55], v[6:7], v[46:47]
	v_mul_f64 v[46:47], v[8:9], v[46:47]
	v_add_f64 v[30:31], v[30:31], v[60:61]
	v_add_f64 v[48:49], v[48:49], v[56:57]
	s_waitcnt vmcnt(8)
	v_mul_f64 v[56:57], v[189:190], v[34:35]
	v_mul_f64 v[34:35], v[191:192], v[34:35]
	v_fma_f64 v[54:55], v[8:9], v[44:45], v[54:55]
	v_fma_f64 v[60:61], v[6:7], v[44:45], -v[46:47]
	ds_load_b128 v[6:9], v1 offset:1760
	scratch_load_b128 v[44:47], off, off offset:896
	v_add_f64 v[30:31], v[30:31], v[58:59]
	v_add_f64 v[48:49], v[48:49], v[52:53]
	s_waitcnt vmcnt(8) lgkmcnt(0)
	v_mul_f64 v[52:53], v[6:7], v[38:39]
	v_mul_f64 v[38:39], v[8:9], v[38:39]
	v_fma_f64 v[56:57], v[191:192], v[32:33], v[56:57]
	v_fma_f64 v[34:35], v[189:190], v[32:33], -v[34:35]
	ds_load_b128 v[189:192], v1 offset:1808
	v_add_f64 v[58:59], v[30:31], v[60:61]
	scratch_load_b128 v[30:33], off, off offset:912
	v_add_f64 v[48:49], v[48:49], v[54:55]
	v_fma_f64 v[52:53], v[8:9], v[36:37], v[52:53]
	v_fma_f64 v[38:39], v[6:7], v[36:37], -v[38:39]
	ds_load_b128 v[6:9], v1 offset:1792
	s_waitcnt vmcnt(8)
	v_mul_f64 v[54:55], v[193:194], v[24:25]
	v_mul_f64 v[24:25], v[195:196], v[24:25]
	v_add_f64 v[58:59], v[58:59], v[34:35]
	scratch_load_b128 v[34:37], off, off offset:928
	v_add_f64 v[48:49], v[48:49], v[56:57]
	s_waitcnt vmcnt(8) lgkmcnt(0)
	v_mul_f64 v[56:57], v[6:7], v[28:29]
	v_mul_f64 v[28:29], v[8:9], v[28:29]
	v_fma_f64 v[54:55], v[195:196], v[22:23], v[54:55]
	v_fma_f64 v[60:61], v[193:194], v[22:23], -v[24:25]
	scratch_load_b128 v[22:25], off, off offset:944
	ds_load_b128 v[193:196], v1 offset:1840
	v_add_f64 v[38:39], v[58:59], v[38:39]
	v_add_f64 v[48:49], v[48:49], v[52:53]
	s_waitcnt vmcnt(8)
	v_mul_f64 v[52:53], v[189:190], v[16:17]
	v_mul_f64 v[16:17], v[191:192], v[16:17]
	v_fma_f64 v[56:57], v[8:9], v[26:27], v[56:57]
	v_fma_f64 v[58:59], v[6:7], v[26:27], -v[28:29]
	ds_load_b128 v[6:9], v1 offset:1824
	scratch_load_b128 v[26:29], off, off offset:960
	v_add_f64 v[38:39], v[38:39], v[60:61]
	v_add_f64 v[48:49], v[48:49], v[54:55]
	s_waitcnt vmcnt(8) lgkmcnt(0)
	v_mul_f64 v[54:55], v[6:7], v[20:21]
	v_mul_f64 v[20:21], v[8:9], v[20:21]
	v_fma_f64 v[52:53], v[191:192], v[14:15], v[52:53]
	v_fma_f64 v[60:61], v[189:190], v[14:15], -v[16:17]
	scratch_load_b128 v[14:17], off, off offset:976
	v_add_f64 v[38:39], v[38:39], v[58:59]
	s_waitcnt vmcnt(8)
	v_mul_f64 v[58:59], v[195:196], v[187:188]
	v_add_f64 v[48:49], v[48:49], v[56:57]
	v_mul_f64 v[56:57], v[193:194], v[187:188]
	v_fma_f64 v[54:55], v[8:9], v[18:19], v[54:55]
	v_fma_f64 v[62:63], v[6:7], v[18:19], -v[20:21]
	ds_load_b128 v[6:9], v1 offset:1856
	ds_load_b128 v[18:21], v1 offset:1872
	v_add_f64 v[38:39], v[38:39], v[60:61]
	v_fma_f64 v[58:59], v[193:194], v[185:186], -v[58:59]
	v_add_f64 v[48:49], v[48:49], v[52:53]
	s_waitcnt vmcnt(7) lgkmcnt(1)
	v_mul_f64 v[52:53], v[6:7], v[12:13]
	v_mul_f64 v[12:13], v[8:9], v[12:13]
	v_fma_f64 v[56:57], v[195:196], v[185:186], v[56:57]
	v_add_f64 v[38:39], v[38:39], v[62:63]
	v_add_f64 v[48:49], v[48:49], v[54:55]
	s_waitcnt vmcnt(6) lgkmcnt(0)
	v_mul_f64 v[54:55], v[18:19], v[42:43]
	v_mul_f64 v[42:43], v[20:21], v[42:43]
	v_fma_f64 v[52:53], v[8:9], v[10:11], v[52:53]
	v_fma_f64 v[60:61], v[6:7], v[10:11], -v[12:13]
	ds_load_b128 v[6:9], v1 offset:1888
	ds_load_b128 v[10:13], v1 offset:1904
	v_add_f64 v[38:39], v[38:39], v[58:59]
	v_add_f64 v[48:49], v[48:49], v[56:57]
	s_waitcnt vmcnt(5) lgkmcnt(1)
	v_mul_f64 v[56:57], v[6:7], v[46:47]
	v_mul_f64 v[46:47], v[8:9], v[46:47]
	v_fma_f64 v[20:21], v[20:21], v[40:41], v[54:55]
	v_fma_f64 v[18:19], v[18:19], v[40:41], -v[42:43]
	v_add_f64 v[38:39], v[38:39], v[60:61]
	v_add_f64 v[40:41], v[48:49], v[52:53]
	v_fma_f64 v[48:49], v[8:9], v[44:45], v[56:57]
	v_fma_f64 v[44:45], v[6:7], v[44:45], -v[46:47]
	s_waitcnt vmcnt(4) lgkmcnt(0)
	v_mul_f64 v[42:43], v[10:11], v[32:33]
	v_mul_f64 v[32:33], v[12:13], v[32:33]
	v_add_f64 v[38:39], v[38:39], v[18:19]
	v_add_f64 v[40:41], v[40:41], v[20:21]
	ds_load_b128 v[6:9], v1 offset:1920
	ds_load_b128 v[18:21], v1 offset:1936
	v_fma_f64 v[12:13], v[12:13], v[30:31], v[42:43]
	v_fma_f64 v[10:11], v[10:11], v[30:31], -v[32:33]
	s_waitcnt vmcnt(3) lgkmcnt(1)
	v_mul_f64 v[46:47], v[6:7], v[36:37]
	v_mul_f64 v[36:37], v[8:9], v[36:37]
	v_add_f64 v[30:31], v[38:39], v[44:45]
	s_waitcnt vmcnt(2) lgkmcnt(0)
	v_mul_f64 v[38:39], v[18:19], v[24:25]
	v_add_f64 v[32:33], v[40:41], v[48:49]
	v_mul_f64 v[24:25], v[20:21], v[24:25]
	v_fma_f64 v[40:41], v[8:9], v[34:35], v[46:47]
	v_fma_f64 v[34:35], v[6:7], v[34:35], -v[36:37]
	v_add_f64 v[30:31], v[30:31], v[10:11]
	v_fma_f64 v[20:21], v[20:21], v[22:23], v[38:39]
	v_add_f64 v[32:33], v[32:33], v[12:13]
	ds_load_b128 v[6:9], v1 offset:1952
	ds_load_b128 v[10:13], v1 offset:1968
	v_fma_f64 v[18:19], v[18:19], v[22:23], -v[24:25]
	s_waitcnt vmcnt(1) lgkmcnt(1)
	v_mul_f64 v[36:37], v[6:7], v[28:29]
	v_mul_f64 v[28:29], v[8:9], v[28:29]
	v_add_f64 v[22:23], v[30:31], v[34:35]
	s_waitcnt vmcnt(0) lgkmcnt(0)
	v_mul_f64 v[30:31], v[10:11], v[16:17]
	v_add_f64 v[24:25], v[32:33], v[40:41]
	v_mul_f64 v[16:17], v[12:13], v[16:17]
	v_fma_f64 v[8:9], v[8:9], v[26:27], v[36:37]
	v_fma_f64 v[6:7], v[6:7], v[26:27], -v[28:29]
	v_add_f64 v[18:19], v[22:23], v[18:19]
	v_fma_f64 v[12:13], v[12:13], v[14:15], v[30:31]
	v_add_f64 v[20:21], v[24:25], v[20:21]
	v_fma_f64 v[10:11], v[10:11], v[14:15], -v[16:17]
	s_delay_alu instid0(VALU_DEP_4) | instskip(NEXT) | instid1(VALU_DEP_3)
	v_add_f64 v[6:7], v[18:19], v[6:7]
	v_add_f64 v[8:9], v[20:21], v[8:9]
	s_delay_alu instid0(VALU_DEP_2) | instskip(NEXT) | instid1(VALU_DEP_2)
	v_add_f64 v[6:7], v[6:7], v[10:11]
	v_add_f64 v[8:9], v[8:9], v[12:13]
	s_delay_alu instid0(VALU_DEP_2) | instskip(NEXT) | instid1(VALU_DEP_2)
	v_add_f64 v[1:2], v[2:3], -v[6:7]
	v_add_f64 v[3:4], v[4:5], -v[8:9]
	scratch_store_b128 off, v[1:4], off offset:80
	v_cmpx_lt_u32_e32 4, v174
	s_cbranch_execz .LBB125_389
; %bb.388:
	v_add_nc_u32_e64 v1, 0, 64
	v_mov_b32_e32 v5, 0
	scratch_load_b128 v[1:4], v1, off
	v_mov_b32_e32 v6, v5
	v_mov_b32_e32 v7, v5
	;; [unrolled: 1-line block ×3, first 2 shown]
	scratch_store_b128 off, v[5:8], off offset:64
	s_waitcnt vmcnt(0)
	ds_store_b128 v255, v[1:4]
.LBB125_389:
	s_or_b32 exec_lo, exec_lo, s2
	s_waitcnt lgkmcnt(0)
	s_waitcnt_vscnt null, 0x0
	s_barrier
	buffer_gl0_inv
	s_clause 0x7
	scratch_load_b128 v[34:37], off, off offset:80
	scratch_load_b128 v[38:41], off, off offset:96
	scratch_load_b128 v[30:33], off, off offset:112
	scratch_load_b128 v[26:29], off, off offset:128
	scratch_load_b128 v[22:25], off, off offset:144
	scratch_load_b128 v[18:21], off, off offset:160
	scratch_load_b128 v[10:13], off, off offset:176
	scratch_load_b128 v[6:9], off, off offset:192
	v_mov_b32_e32 v1, 0
	s_mov_b32 s2, exec_lo
	ds_load_b128 v[46:49], v1 offset:1072
	s_clause 0x2
	scratch_load_b128 v[14:17], off, off offset:208
	scratch_load_b128 v[2:5], off, off offset:64
	;; [unrolled: 1-line block ×3, first 2 shown]
	ds_load_b128 v[42:45], v1 offset:1088
	ds_load_b128 v[189:192], v1 offset:1120
	;; [unrolled: 1-line block ×3, first 2 shown]
	s_waitcnt vmcnt(10) lgkmcnt(3)
	v_mul_f64 v[52:53], v[48:49], v[36:37]
	v_mul_f64 v[36:37], v[46:47], v[36:37]
	s_delay_alu instid0(VALU_DEP_2) | instskip(NEXT) | instid1(VALU_DEP_2)
	v_fma_f64 v[52:53], v[46:47], v[34:35], -v[52:53]
	v_fma_f64 v[56:57], v[48:49], v[34:35], v[36:37]
	ds_load_b128 v[34:37], v1 offset:1104
	s_waitcnt vmcnt(9) lgkmcnt(3)
	v_mul_f64 v[54:55], v[42:43], v[40:41]
	v_mul_f64 v[40:41], v[44:45], v[40:41]
	scratch_load_b128 v[46:49], off, off offset:240
	s_waitcnt vmcnt(9) lgkmcnt(0)
	v_mul_f64 v[58:59], v[34:35], v[32:33]
	v_mul_f64 v[32:33], v[36:37], v[32:33]
	v_add_f64 v[52:53], v[52:53], 0
	v_fma_f64 v[44:45], v[44:45], v[38:39], v[54:55]
	v_fma_f64 v[42:43], v[42:43], v[38:39], -v[40:41]
	v_add_f64 v[54:55], v[56:57], 0
	scratch_load_b128 v[38:41], off, off offset:256
	v_fma_f64 v[36:37], v[36:37], v[30:31], v[58:59]
	v_fma_f64 v[58:59], v[34:35], v[30:31], -v[32:33]
	scratch_load_b128 v[32:35], off, off offset:272
	v_add_f64 v[52:53], v[52:53], v[42:43]
	v_add_f64 v[54:55], v[54:55], v[44:45]
	ds_load_b128 v[42:45], v1 offset:1152
	s_waitcnt vmcnt(10)
	v_mul_f64 v[56:57], v[189:190], v[28:29]
	v_mul_f64 v[60:61], v[191:192], v[28:29]
	ds_load_b128 v[28:31], v1 offset:1136
	v_add_f64 v[52:53], v[52:53], v[58:59]
	v_add_f64 v[36:37], v[54:55], v[36:37]
	s_waitcnt vmcnt(8) lgkmcnt(1)
	v_mul_f64 v[54:55], v[42:43], v[20:21]
	v_fma_f64 v[56:57], v[191:192], v[26:27], v[56:57]
	v_fma_f64 v[60:61], v[189:190], v[26:27], -v[60:61]
	ds_load_b128 v[189:192], v1 offset:1184
	s_waitcnt lgkmcnt(1)
	v_mul_f64 v[62:63], v[28:29], v[24:25]
	v_mul_f64 v[64:65], v[30:31], v[24:25]
	scratch_load_b128 v[24:27], off, off offset:288
	v_mul_f64 v[58:59], v[44:45], v[20:21]
	v_fma_f64 v[54:55], v[44:45], v[18:19], v[54:55]
	v_add_f64 v[36:37], v[36:37], v[56:57]
	v_add_f64 v[52:53], v[52:53], v[60:61]
	s_waitcnt vmcnt(7) lgkmcnt(0)
	v_mul_f64 v[60:61], v[191:192], v[8:9]
	v_fma_f64 v[62:63], v[30:31], v[22:23], v[62:63]
	v_fma_f64 v[64:65], v[28:29], v[22:23], -v[64:65]
	scratch_load_b128 v[28:31], off, off offset:304
	ds_load_b128 v[20:23], v1 offset:1168
	v_fma_f64 v[18:19], v[42:43], v[18:19], -v[58:59]
	v_mul_f64 v[58:59], v[189:190], v[8:9]
	scratch_load_b128 v[42:45], off, off offset:320
	s_waitcnt lgkmcnt(0)
	v_mul_f64 v[56:57], v[20:21], v[12:13]
	v_mul_f64 v[12:13], v[22:23], v[12:13]
	v_add_f64 v[36:37], v[36:37], v[62:63]
	v_add_f64 v[52:53], v[52:53], v[64:65]
	s_delay_alu instid0(VALU_DEP_4) | instskip(NEXT) | instid1(VALU_DEP_4)
	v_fma_f64 v[22:23], v[22:23], v[10:11], v[56:57]
	v_fma_f64 v[12:13], v[20:21], v[10:11], -v[12:13]
	ds_load_b128 v[8:11], v1 offset:1200
	v_fma_f64 v[56:57], v[191:192], v[6:7], v[58:59]
	v_fma_f64 v[6:7], v[189:190], v[6:7], -v[60:61]
	scratch_load_b128 v[189:192], off, off offset:352
	v_add_f64 v[36:37], v[36:37], v[54:55]
	v_add_f64 v[52:53], v[52:53], v[18:19]
	scratch_load_b128 v[18:21], off, off offset:336
	v_add_f64 v[22:23], v[36:37], v[22:23]
	v_add_f64 v[12:13], v[52:53], v[12:13]
	s_waitcnt vmcnt(8)
	v_mul_f64 v[36:37], v[193:194], v[187:188]
	v_mul_f64 v[52:53], v[195:196], v[187:188]
	s_delay_alu instid0(VALU_DEP_4) | instskip(NEXT) | instid1(VALU_DEP_4)
	v_add_f64 v[22:23], v[22:23], v[56:57]
	v_add_f64 v[60:61], v[12:13], v[6:7]
	s_delay_alu instid0(VALU_DEP_4) | instskip(NEXT) | instid1(VALU_DEP_4)
	v_fma_f64 v[36:37], v[195:196], v[185:186], v[36:37]
	v_fma_f64 v[52:53], v[193:194], v[185:186], -v[52:53]
	ds_load_b128 v[193:196], v1 offset:1280
	s_waitcnt lgkmcnt(1)
	v_mul_f64 v[54:55], v[8:9], v[16:17]
	v_mul_f64 v[16:17], v[10:11], v[16:17]
	scratch_load_b128 v[185:188], off, off offset:384
	v_fma_f64 v[54:55], v[10:11], v[14:15], v[54:55]
	v_fma_f64 v[58:59], v[8:9], v[14:15], -v[16:17]
	ds_load_b128 v[6:9], v1 offset:1232
	ds_load_b128 v[14:17], v1 offset:1248
	scratch_load_b128 v[10:13], off, off offset:368
	s_waitcnt vmcnt(9) lgkmcnt(1)
	v_mul_f64 v[56:57], v[6:7], v[48:49]
	v_mul_f64 v[48:49], v[8:9], v[48:49]
	v_add_f64 v[22:23], v[22:23], v[54:55]
	v_add_f64 v[58:59], v[60:61], v[58:59]
	s_waitcnt vmcnt(8) lgkmcnt(0)
	v_mul_f64 v[54:55], v[14:15], v[40:41]
	v_mul_f64 v[40:41], v[16:17], v[40:41]
	v_fma_f64 v[56:57], v[8:9], v[46:47], v[56:57]
	v_fma_f64 v[60:61], v[6:7], v[46:47], -v[48:49]
	ds_load_b128 v[6:9], v1 offset:1264
	scratch_load_b128 v[46:49], off, off offset:400
	v_add_f64 v[22:23], v[22:23], v[36:37]
	v_add_f64 v[52:53], v[58:59], v[52:53]
	v_fma_f64 v[54:55], v[16:17], v[38:39], v[54:55]
	v_fma_f64 v[38:39], v[14:15], v[38:39], -v[40:41]
	scratch_load_b128 v[14:17], off, off offset:416
	v_add_f64 v[22:23], v[22:23], v[56:57]
	v_add_f64 v[40:41], v[52:53], v[60:61]
	s_waitcnt vmcnt(8)
	v_mul_f64 v[52:53], v[193:194], v[26:27]
	v_mul_f64 v[26:27], v[195:196], v[26:27]
	s_delay_alu instid0(VALU_DEP_4) | instskip(NEXT) | instid1(VALU_DEP_4)
	v_add_f64 v[22:23], v[22:23], v[54:55]
	v_add_f64 v[40:41], v[40:41], v[38:39]
	s_delay_alu instid0(VALU_DEP_4) | instskip(NEXT) | instid1(VALU_DEP_4)
	v_fma_f64 v[52:53], v[195:196], v[24:25], v[52:53]
	v_fma_f64 v[26:27], v[193:194], v[24:25], -v[26:27]
	ds_load_b128 v[193:196], v1 offset:1344
	s_waitcnt lgkmcnt(1)
	v_mul_f64 v[36:37], v[6:7], v[34:35]
	v_mul_f64 v[34:35], v[8:9], v[34:35]
	s_delay_alu instid0(VALU_DEP_2) | instskip(NEXT) | instid1(VALU_DEP_2)
	v_fma_f64 v[56:57], v[8:9], v[32:33], v[36:37]
	v_fma_f64 v[58:59], v[6:7], v[32:33], -v[34:35]
	scratch_load_b128 v[32:35], off, off offset:432
	ds_load_b128 v[6:9], v1 offset:1296
	ds_load_b128 v[36:39], v1 offset:1312
	s_waitcnt vmcnt(8) lgkmcnt(1)
	v_mul_f64 v[54:55], v[6:7], v[30:31]
	v_mul_f64 v[30:31], v[8:9], v[30:31]
	v_add_f64 v[56:57], v[22:23], v[56:57]
	v_add_f64 v[40:41], v[40:41], v[58:59]
	s_waitcnt vmcnt(7) lgkmcnt(0)
	v_mul_f64 v[58:59], v[36:37], v[44:45]
	v_mul_f64 v[44:45], v[38:39], v[44:45]
	scratch_load_b128 v[22:25], off, off offset:448
	v_fma_f64 v[54:55], v[8:9], v[28:29], v[54:55]
	v_fma_f64 v[30:31], v[6:7], v[28:29], -v[30:31]
	ds_load_b128 v[6:9], v1 offset:1328
	v_add_f64 v[52:53], v[56:57], v[52:53]
	v_add_f64 v[40:41], v[40:41], v[26:27]
	v_fma_f64 v[58:59], v[38:39], v[42:43], v[58:59]
	v_fma_f64 v[42:43], v[36:37], v[42:43], -v[44:45]
	s_clause 0x1
	scratch_load_b128 v[26:29], off, off offset:464
	scratch_load_b128 v[36:39], off, off offset:480
	s_waitcnt vmcnt(9)
	v_mul_f64 v[44:45], v[193:194], v[191:192]
	v_add_f64 v[30:31], v[40:41], v[30:31]
	v_add_f64 v[40:41], v[52:53], v[54:55]
	v_mul_f64 v[52:53], v[195:196], v[191:192]
	s_delay_alu instid0(VALU_DEP_4) | instskip(NEXT) | instid1(VALU_DEP_4)
	v_fma_f64 v[44:45], v[195:196], v[189:190], v[44:45]
	v_add_f64 v[30:31], v[30:31], v[42:43]
	s_delay_alu instid0(VALU_DEP_4)
	v_add_f64 v[58:59], v[40:41], v[58:59]
	ds_load_b128 v[40:43], v1 offset:1376
	s_waitcnt vmcnt(8) lgkmcnt(1)
	v_mul_f64 v[56:57], v[6:7], v[20:21]
	v_mul_f64 v[20:21], v[8:9], v[20:21]
	v_fma_f64 v[52:53], v[193:194], v[189:190], -v[52:53]
	scratch_load_b128 v[189:192], off, off offset:512
	ds_load_b128 v[193:196], v1 offset:1408
	v_fma_f64 v[54:55], v[8:9], v[18:19], v[56:57]
	v_fma_f64 v[56:57], v[6:7], v[18:19], -v[20:21]
	ds_load_b128 v[6:9], v1 offset:1360
	scratch_load_b128 v[18:21], off, off offset:496
	s_waitcnt vmcnt(8) lgkmcnt(0)
	v_mul_f64 v[60:61], v[6:7], v[12:13]
	v_mul_f64 v[12:13], v[8:9], v[12:13]
	v_add_f64 v[54:55], v[58:59], v[54:55]
	v_add_f64 v[30:31], v[30:31], v[56:57]
	v_mul_f64 v[56:57], v[40:41], v[187:188]
	v_mul_f64 v[58:59], v[42:43], v[187:188]
	v_fma_f64 v[60:61], v[8:9], v[10:11], v[60:61]
	v_fma_f64 v[62:63], v[6:7], v[10:11], -v[12:13]
	ds_load_b128 v[6:9], v1 offset:1392
	scratch_load_b128 v[10:13], off, off offset:528
	v_add_f64 v[44:45], v[54:55], v[44:45]
	v_add_f64 v[30:31], v[30:31], v[52:53]
	v_fma_f64 v[54:55], v[42:43], v[185:186], v[56:57]
	v_fma_f64 v[56:57], v[40:41], v[185:186], -v[58:59]
	ds_load_b128 v[185:188], v1 offset:1440
	scratch_load_b128 v[40:43], off, off offset:544
	s_waitcnt vmcnt(9) lgkmcnt(1)
	v_mul_f64 v[52:53], v[6:7], v[48:49]
	v_mul_f64 v[48:49], v[8:9], v[48:49]
	s_waitcnt vmcnt(8)
	v_mul_f64 v[58:59], v[193:194], v[16:17]
	v_mul_f64 v[16:17], v[195:196], v[16:17]
	v_add_f64 v[44:45], v[44:45], v[60:61]
	v_add_f64 v[30:31], v[30:31], v[62:63]
	v_fma_f64 v[52:53], v[8:9], v[46:47], v[52:53]
	v_fma_f64 v[48:49], v[6:7], v[46:47], -v[48:49]
	ds_load_b128 v[6:9], v1 offset:1424
	v_fma_f64 v[58:59], v[195:196], v[14:15], v[58:59]
	v_fma_f64 v[60:61], v[193:194], v[14:15], -v[16:17]
	ds_load_b128 v[193:196], v1 offset:1472
	scratch_load_b128 v[14:17], off, off offset:576
	v_add_f64 v[54:55], v[44:45], v[54:55]
	v_add_f64 v[30:31], v[30:31], v[56:57]
	scratch_load_b128 v[44:47], off, off offset:560
	s_waitcnt vmcnt(9) lgkmcnt(1)
	v_mul_f64 v[56:57], v[6:7], v[34:35]
	v_mul_f64 v[34:35], v[8:9], v[34:35]
	v_add_f64 v[30:31], v[30:31], v[48:49]
	v_add_f64 v[48:49], v[54:55], v[52:53]
	s_waitcnt vmcnt(8)
	v_mul_f64 v[52:53], v[185:186], v[24:25]
	v_mul_f64 v[24:25], v[187:188], v[24:25]
	v_fma_f64 v[54:55], v[8:9], v[32:33], v[56:57]
	v_fma_f64 v[34:35], v[6:7], v[32:33], -v[34:35]
	ds_load_b128 v[6:9], v1 offset:1456
	v_add_f64 v[56:57], v[30:31], v[60:61]
	v_add_f64 v[48:49], v[48:49], v[58:59]
	scratch_load_b128 v[30:33], off, off offset:592
	v_fma_f64 v[52:53], v[187:188], v[22:23], v[52:53]
	v_fma_f64 v[60:61], v[185:186], v[22:23], -v[24:25]
	ds_load_b128 v[185:188], v1 offset:1504
	s_waitcnt vmcnt(8) lgkmcnt(1)
	v_mul_f64 v[58:59], v[6:7], v[28:29]
	v_mul_f64 v[28:29], v[8:9], v[28:29]
	scratch_load_b128 v[22:25], off, off offset:608
	v_add_f64 v[34:35], v[56:57], v[34:35]
	v_add_f64 v[48:49], v[48:49], v[54:55]
	s_waitcnt vmcnt(8)
	v_mul_f64 v[54:55], v[193:194], v[38:39]
	v_mul_f64 v[38:39], v[195:196], v[38:39]
	v_fma_f64 v[56:57], v[8:9], v[26:27], v[58:59]
	v_fma_f64 v[58:59], v[6:7], v[26:27], -v[28:29]
	scratch_load_b128 v[26:29], off, off offset:624
	ds_load_b128 v[6:9], v1 offset:1488
	v_add_f64 v[34:35], v[34:35], v[60:61]
	v_add_f64 v[48:49], v[48:49], v[52:53]
	v_fma_f64 v[54:55], v[195:196], v[36:37], v[54:55]
	v_fma_f64 v[38:39], v[193:194], v[36:37], -v[38:39]
	s_waitcnt vmcnt(8) lgkmcnt(1)
	v_mul_f64 v[60:61], v[187:188], v[191:192]
	ds_load_b128 v[195:198], v1 offset:1568
	v_add_f64 v[58:59], v[34:35], v[58:59]
	v_add_f64 v[48:49], v[48:49], v[56:57]
	v_mul_f64 v[56:57], v[185:186], v[191:192]
	ds_load_b128 v[191:194], v1 offset:1536
	s_waitcnt vmcnt(7) lgkmcnt(2)
	v_mul_f64 v[52:53], v[6:7], v[20:21]
	v_mul_f64 v[20:21], v[8:9], v[20:21]
	scratch_load_b128 v[34:37], off, off offset:640
	v_add_f64 v[38:39], v[58:59], v[38:39]
	v_add_f64 v[48:49], v[48:49], v[54:55]
	v_fma_f64 v[56:57], v[187:188], v[189:190], v[56:57]
	v_fma_f64 v[58:59], v[185:186], v[189:190], -v[60:61]
	v_fma_f64 v[52:53], v[8:9], v[18:19], v[52:53]
	v_fma_f64 v[62:63], v[6:7], v[18:19], -v[20:21]
	scratch_load_b128 v[18:21], off, off offset:656
	ds_load_b128 v[6:9], v1 offset:1520
	scratch_load_b128 v[185:188], off, off offset:672
	s_waitcnt vmcnt(9) lgkmcnt(0)
	v_mul_f64 v[54:55], v[6:7], v[12:13]
	v_mul_f64 v[12:13], v[8:9], v[12:13]
	v_add_f64 v[48:49], v[48:49], v[52:53]
	v_add_f64 v[38:39], v[38:39], v[62:63]
	s_waitcnt vmcnt(8)
	v_mul_f64 v[52:53], v[191:192], v[42:43]
	v_mul_f64 v[42:43], v[193:194], v[42:43]
	v_fma_f64 v[54:55], v[8:9], v[10:11], v[54:55]
	v_fma_f64 v[60:61], v[6:7], v[10:11], -v[12:13]
	scratch_load_b128 v[10:13], off, off offset:688
	ds_load_b128 v[6:9], v1 offset:1552
	v_add_f64 v[48:49], v[48:49], v[56:57]
	v_add_f64 v[38:39], v[38:39], v[58:59]
	v_fma_f64 v[52:53], v[193:194], v[40:41], v[52:53]
	v_fma_f64 v[42:43], v[191:192], v[40:41], -v[42:43]
	ds_load_b128 v[189:192], v1 offset:1632
	s_waitcnt vmcnt(7) lgkmcnt(1)
	v_mul_f64 v[56:57], v[6:7], v[46:47]
	v_mul_f64 v[46:47], v[8:9], v[46:47]
	v_add_f64 v[48:49], v[48:49], v[54:55]
	v_add_f64 v[58:59], v[38:39], v[60:61]
	v_mul_f64 v[54:55], v[195:196], v[16:17]
	v_mul_f64 v[16:17], v[197:198], v[16:17]
	scratch_load_b128 v[38:41], off, off offset:704
	v_fma_f64 v[56:57], v[8:9], v[44:45], v[56:57]
	v_fma_f64 v[60:61], v[6:7], v[44:45], -v[46:47]
	ds_load_b128 v[6:9], v1 offset:1584
	v_add_f64 v[52:53], v[48:49], v[52:53]
	ds_load_b128 v[46:49], v1 offset:1600
	v_add_f64 v[58:59], v[58:59], v[42:43]
	v_fma_f64 v[54:55], v[197:198], v[14:15], v[54:55]
	v_fma_f64 v[64:65], v[195:196], v[14:15], -v[16:17]
	s_clause 0x1
	scratch_load_b128 v[42:45], off, off offset:720
	scratch_load_b128 v[14:17], off, off offset:736
	s_waitcnt vmcnt(9) lgkmcnt(1)
	v_mul_f64 v[62:63], v[6:7], v[32:33]
	v_mul_f64 v[32:33], v[8:9], v[32:33]
	v_add_f64 v[52:53], v[52:53], v[56:57]
	s_waitcnt vmcnt(8) lgkmcnt(0)
	v_mul_f64 v[56:57], v[46:47], v[24:25]
	v_add_f64 v[58:59], v[58:59], v[60:61]
	v_mul_f64 v[24:25], v[48:49], v[24:25]
	v_fma_f64 v[60:61], v[8:9], v[30:31], v[62:63]
	v_fma_f64 v[62:63], v[6:7], v[30:31], -v[32:33]
	scratch_load_b128 v[30:33], off, off offset:752
	ds_load_b128 v[6:9], v1 offset:1616
	v_add_f64 v[52:53], v[52:53], v[54:55]
	v_fma_f64 v[48:49], v[48:49], v[22:23], v[56:57]
	v_add_f64 v[58:59], v[58:59], v[64:65]
	v_fma_f64 v[46:47], v[46:47], v[22:23], -v[24:25]
	scratch_load_b128 v[22:25], off, off offset:768
	v_add_f64 v[52:53], v[52:53], v[60:61]
	v_add_f64 v[56:57], v[58:59], v[62:63]
	s_waitcnt vmcnt(8)
	v_mul_f64 v[58:59], v[189:190], v[36:37]
	v_mul_f64 v[36:37], v[191:192], v[36:37]
	s_delay_alu instid0(VALU_DEP_4) | instskip(NEXT) | instid1(VALU_DEP_4)
	v_add_f64 v[52:53], v[52:53], v[48:49]
	v_add_f64 v[56:57], v[56:57], v[46:47]
	ds_load_b128 v[46:49], v1 offset:1664
	s_waitcnt lgkmcnt(1)
	v_mul_f64 v[54:55], v[6:7], v[28:29]
	v_mul_f64 v[28:29], v[8:9], v[28:29]
	v_fma_f64 v[58:59], v[191:192], v[34:35], v[58:59]
	v_fma_f64 v[64:65], v[189:190], v[34:35], -v[36:37]
	scratch_load_b128 v[34:37], off, off offset:800
	ds_load_b128 v[191:194], v1 offset:1728
	v_fma_f64 v[54:55], v[8:9], v[26:27], v[54:55]
	v_fma_f64 v[60:61], v[6:7], v[26:27], -v[28:29]
	ds_load_b128 v[6:9], v1 offset:1648
	scratch_load_b128 v[26:29], off, off offset:784
	v_add_f64 v[52:53], v[52:53], v[54:55]
	v_add_f64 v[56:57], v[56:57], v[60:61]
	s_waitcnt vmcnt(8) lgkmcnt(2)
	v_mul_f64 v[54:55], v[46:47], v[187:188]
	v_mul_f64 v[60:61], v[48:49], v[187:188]
	ds_load_b128 v[187:190], v1 offset:1696
	s_waitcnt lgkmcnt(1)
	v_mul_f64 v[62:63], v[6:7], v[20:21]
	v_mul_f64 v[20:21], v[8:9], v[20:21]
	v_add_f64 v[52:53], v[52:53], v[58:59]
	v_add_f64 v[56:57], v[56:57], v[64:65]
	v_fma_f64 v[54:55], v[48:49], v[185:186], v[54:55]
	v_fma_f64 v[60:61], v[46:47], v[185:186], -v[60:61]
	scratch_load_b128 v[46:49], off, off offset:832
	v_fma_f64 v[62:63], v[8:9], v[18:19], v[62:63]
	v_fma_f64 v[66:67], v[6:7], v[18:19], -v[20:21]
	ds_load_b128 v[6:9], v1 offset:1680
	scratch_load_b128 v[18:21], off, off offset:816
	s_waitcnt vmcnt(9) lgkmcnt(0)
	v_mul_f64 v[58:59], v[6:7], v[12:13]
	v_mul_f64 v[12:13], v[8:9], v[12:13]
	v_add_f64 v[52:53], v[52:53], v[62:63]
	v_add_f64 v[56:57], v[56:57], v[66:67]
	s_waitcnt vmcnt(8)
	v_mul_f64 v[62:63], v[187:188], v[40:41]
	v_mul_f64 v[40:41], v[189:190], v[40:41]
	v_fma_f64 v[58:59], v[8:9], v[10:11], v[58:59]
	v_fma_f64 v[64:65], v[6:7], v[10:11], -v[12:13]
	ds_load_b128 v[6:9], v1 offset:1712
	scratch_load_b128 v[10:13], off, off offset:848
	v_add_f64 v[52:53], v[52:53], v[54:55]
	v_add_f64 v[56:57], v[56:57], v[60:61]
	v_fma_f64 v[60:61], v[189:190], v[38:39], v[62:63]
	v_fma_f64 v[62:63], v[187:188], v[38:39], -v[40:41]
	ds_load_b128 v[185:188], v1 offset:1760
	scratch_load_b128 v[38:41], off, off offset:864
	s_waitcnt vmcnt(9) lgkmcnt(1)
	v_mul_f64 v[54:55], v[6:7], v[44:45]
	v_mul_f64 v[44:45], v[8:9], v[44:45]
	v_add_f64 v[52:53], v[52:53], v[58:59]
	v_add_f64 v[56:57], v[56:57], v[64:65]
	s_waitcnt vmcnt(8)
	v_mul_f64 v[58:59], v[191:192], v[16:17]
	v_mul_f64 v[16:17], v[193:194], v[16:17]
	v_fma_f64 v[54:55], v[8:9], v[42:43], v[54:55]
	v_fma_f64 v[64:65], v[6:7], v[42:43], -v[44:45]
	scratch_load_b128 v[42:45], off, off offset:880
	ds_load_b128 v[6:9], v1 offset:1744
	v_add_f64 v[52:53], v[52:53], v[60:61]
	v_add_f64 v[56:57], v[56:57], v[62:63]
	v_fma_f64 v[58:59], v[193:194], v[14:15], v[58:59]
	v_fma_f64 v[62:63], v[191:192], v[14:15], -v[16:17]
	ds_load_b128 v[189:192], v1 offset:1792
	s_waitcnt vmcnt(8) lgkmcnt(1)
	v_mul_f64 v[60:61], v[6:7], v[32:33]
	v_mul_f64 v[32:33], v[8:9], v[32:33]
	scratch_load_b128 v[14:17], off, off offset:896
	v_add_f64 v[52:53], v[52:53], v[54:55]
	v_add_f64 v[56:57], v[56:57], v[64:65]
	s_waitcnt vmcnt(8)
	v_mul_f64 v[54:55], v[185:186], v[24:25]
	v_mul_f64 v[24:25], v[187:188], v[24:25]
	v_fma_f64 v[60:61], v[8:9], v[30:31], v[60:61]
	v_fma_f64 v[64:65], v[6:7], v[30:31], -v[32:33]
	scratch_load_b128 v[30:33], off, off offset:912
	ds_load_b128 v[6:9], v1 offset:1776
	v_add_f64 v[52:53], v[52:53], v[58:59]
	v_add_f64 v[56:57], v[56:57], v[62:63]
	v_fma_f64 v[54:55], v[187:188], v[22:23], v[54:55]
	v_fma_f64 v[62:63], v[185:186], v[22:23], -v[24:25]
	ds_load_b128 v[185:188], v1 offset:1824
	scratch_load_b128 v[22:25], off, off offset:928
	s_waitcnt vmcnt(8) lgkmcnt(1)
	v_mul_f64 v[58:59], v[6:7], v[28:29]
	v_mul_f64 v[28:29], v[8:9], v[28:29]
	v_add_f64 v[52:53], v[52:53], v[60:61]
	v_add_f64 v[56:57], v[56:57], v[64:65]
	v_mul_f64 v[60:61], v[189:190], v[36:37]
	v_mul_f64 v[36:37], v[191:192], v[36:37]
	v_fma_f64 v[58:59], v[8:9], v[26:27], v[58:59]
	v_fma_f64 v[64:65], v[6:7], v[26:27], -v[28:29]
	scratch_load_b128 v[26:29], off, off offset:944
	ds_load_b128 v[6:9], v1 offset:1808
	v_add_f64 v[52:53], v[52:53], v[54:55]
	v_add_f64 v[56:57], v[56:57], v[62:63]
	v_fma_f64 v[60:61], v[191:192], v[34:35], v[60:61]
	v_fma_f64 v[62:63], v[189:190], v[34:35], -v[36:37]
	ds_load_b128 v[189:192], v1 offset:1856
	scratch_load_b128 v[34:37], off, off offset:960
	s_waitcnt vmcnt(8) lgkmcnt(1)
	v_mul_f64 v[54:55], v[6:7], v[20:21]
	v_mul_f64 v[20:21], v[8:9], v[20:21]
	v_add_f64 v[52:53], v[52:53], v[58:59]
	v_add_f64 v[56:57], v[56:57], v[64:65]
	v_mul_f64 v[58:59], v[185:186], v[48:49]
	v_mul_f64 v[48:49], v[187:188], v[48:49]
	v_fma_f64 v[54:55], v[8:9], v[18:19], v[54:55]
	v_fma_f64 v[64:65], v[6:7], v[18:19], -v[20:21]
	scratch_load_b128 v[18:21], off, off offset:976
	ds_load_b128 v[6:9], v1 offset:1840
	v_add_f64 v[52:53], v[52:53], v[60:61]
	v_add_f64 v[56:57], v[56:57], v[62:63]
	v_fma_f64 v[58:59], v[187:188], v[46:47], v[58:59]
	v_fma_f64 v[46:47], v[185:186], v[46:47], -v[48:49]
	s_waitcnt vmcnt(8) lgkmcnt(0)
	v_mul_f64 v[60:61], v[6:7], v[12:13]
	v_mul_f64 v[12:13], v[8:9], v[12:13]
	v_add_f64 v[52:53], v[52:53], v[54:55]
	v_add_f64 v[48:49], v[56:57], v[64:65]
	s_waitcnt vmcnt(7)
	v_mul_f64 v[54:55], v[189:190], v[40:41]
	v_mul_f64 v[40:41], v[191:192], v[40:41]
	v_fma_f64 v[56:57], v[8:9], v[10:11], v[60:61]
	v_fma_f64 v[60:61], v[6:7], v[10:11], -v[12:13]
	ds_load_b128 v[6:9], v1 offset:1872
	ds_load_b128 v[10:13], v1 offset:1888
	v_add_f64 v[46:47], v[48:49], v[46:47]
	v_add_f64 v[48:49], v[52:53], v[58:59]
	s_waitcnt vmcnt(6) lgkmcnt(1)
	v_mul_f64 v[52:53], v[6:7], v[44:45]
	v_mul_f64 v[44:45], v[8:9], v[44:45]
	v_fma_f64 v[54:55], v[191:192], v[38:39], v[54:55]
	v_fma_f64 v[38:39], v[189:190], v[38:39], -v[40:41]
	v_add_f64 v[40:41], v[46:47], v[60:61]
	v_add_f64 v[46:47], v[48:49], v[56:57]
	s_waitcnt vmcnt(5) lgkmcnt(0)
	v_mul_f64 v[48:49], v[10:11], v[16:17]
	v_mul_f64 v[16:17], v[12:13], v[16:17]
	v_fma_f64 v[52:53], v[8:9], v[42:43], v[52:53]
	v_fma_f64 v[42:43], v[6:7], v[42:43], -v[44:45]
	v_add_f64 v[44:45], v[40:41], v[38:39]
	v_add_f64 v[46:47], v[46:47], v[54:55]
	ds_load_b128 v[6:9], v1 offset:1904
	ds_load_b128 v[38:41], v1 offset:1920
	v_fma_f64 v[12:13], v[12:13], v[14:15], v[48:49]
	v_fma_f64 v[10:11], v[10:11], v[14:15], -v[16:17]
	s_waitcnt vmcnt(4) lgkmcnt(1)
	v_mul_f64 v[54:55], v[6:7], v[32:33]
	v_mul_f64 v[32:33], v[8:9], v[32:33]
	v_add_f64 v[14:15], v[44:45], v[42:43]
	v_add_f64 v[16:17], v[46:47], v[52:53]
	s_waitcnt vmcnt(3) lgkmcnt(0)
	v_mul_f64 v[42:43], v[38:39], v[24:25]
	v_mul_f64 v[24:25], v[40:41], v[24:25]
	v_fma_f64 v[44:45], v[8:9], v[30:31], v[54:55]
	v_fma_f64 v[30:31], v[6:7], v[30:31], -v[32:33]
	v_add_f64 v[14:15], v[14:15], v[10:11]
	v_add_f64 v[16:17], v[16:17], v[12:13]
	ds_load_b128 v[6:9], v1 offset:1936
	ds_load_b128 v[10:13], v1 offset:1952
	v_fma_f64 v[40:41], v[40:41], v[22:23], v[42:43]
	v_fma_f64 v[22:23], v[38:39], v[22:23], -v[24:25]
	s_waitcnt vmcnt(2) lgkmcnt(1)
	v_mul_f64 v[32:33], v[6:7], v[28:29]
	v_mul_f64 v[28:29], v[8:9], v[28:29]
	s_waitcnt vmcnt(1) lgkmcnt(0)
	v_mul_f64 v[24:25], v[10:11], v[36:37]
	v_add_f64 v[14:15], v[14:15], v[30:31]
	v_add_f64 v[16:17], v[16:17], v[44:45]
	v_mul_f64 v[30:31], v[12:13], v[36:37]
	v_fma_f64 v[32:33], v[8:9], v[26:27], v[32:33]
	v_fma_f64 v[26:27], v[6:7], v[26:27], -v[28:29]
	ds_load_b128 v[6:9], v1 offset:1968
	v_fma_f64 v[12:13], v[12:13], v[34:35], v[24:25]
	v_add_f64 v[14:15], v[14:15], v[22:23]
	v_add_f64 v[16:17], v[16:17], v[40:41]
	v_fma_f64 v[10:11], v[10:11], v[34:35], -v[30:31]
	s_waitcnt vmcnt(0) lgkmcnt(0)
	v_mul_f64 v[22:23], v[6:7], v[20:21]
	v_mul_f64 v[20:21], v[8:9], v[20:21]
	v_add_f64 v[14:15], v[14:15], v[26:27]
	v_add_f64 v[16:17], v[16:17], v[32:33]
	s_delay_alu instid0(VALU_DEP_4) | instskip(NEXT) | instid1(VALU_DEP_4)
	v_fma_f64 v[8:9], v[8:9], v[18:19], v[22:23]
	v_fma_f64 v[6:7], v[6:7], v[18:19], -v[20:21]
	s_delay_alu instid0(VALU_DEP_4) | instskip(NEXT) | instid1(VALU_DEP_4)
	v_add_f64 v[10:11], v[14:15], v[10:11]
	v_add_f64 v[12:13], v[16:17], v[12:13]
	s_delay_alu instid0(VALU_DEP_2) | instskip(NEXT) | instid1(VALU_DEP_2)
	v_add_f64 v[6:7], v[10:11], v[6:7]
	v_add_f64 v[8:9], v[12:13], v[8:9]
	s_delay_alu instid0(VALU_DEP_2) | instskip(NEXT) | instid1(VALU_DEP_2)
	v_add_f64 v[2:3], v[2:3], -v[6:7]
	v_add_f64 v[4:5], v[4:5], -v[8:9]
	scratch_store_b128 off, v[2:5], off offset:64
	v_cmpx_lt_u32_e32 3, v174
	s_cbranch_execz .LBB125_391
; %bb.390:
	v_add_nc_u32_e64 v2, 0, 48
	v_mov_b32_e32 v3, v1
	v_mov_b32_e32 v4, v1
	scratch_load_b128 v[5:8], v2, off
	v_mov_b32_e32 v2, v1
	scratch_store_b128 off, v[1:4], off offset:48
	s_waitcnt vmcnt(0)
	ds_store_b128 v255, v[5:8]
.LBB125_391:
	s_or_b32 exec_lo, exec_lo, s2
	s_waitcnt lgkmcnt(0)
	s_waitcnt_vscnt null, 0x0
	s_barrier
	buffer_gl0_inv
	s_clause 0x8
	scratch_load_b128 v[34:37], off, off offset:64
	scratch_load_b128 v[38:41], off, off offset:80
	;; [unrolled: 1-line block ×9, first 2 shown]
	ds_load_b128 v[46:49], v1 offset:1056
	ds_load_b128 v[42:45], v1 offset:1072
	s_clause 0x1
	scratch_load_b128 v[2:5], off, off offset:48
	scratch_load_b128 v[185:188], off, off offset:208
	s_mov_b32 s2, exec_lo
	ds_load_b128 v[189:192], v1 offset:1104
	ds_load_b128 v[195:198], v1 offset:1264
	s_waitcnt vmcnt(10) lgkmcnt(3)
	v_mul_f64 v[52:53], v[48:49], v[36:37]
	v_mul_f64 v[36:37], v[46:47], v[36:37]
	s_waitcnt vmcnt(9) lgkmcnt(2)
	v_mul_f64 v[54:55], v[42:43], v[40:41]
	v_mul_f64 v[40:41], v[44:45], v[40:41]
	s_waitcnt vmcnt(7) lgkmcnt(1)
	v_mul_f64 v[60:61], v[191:192], v[28:29]
	v_fma_f64 v[52:53], v[46:47], v[34:35], -v[52:53]
	v_fma_f64 v[56:57], v[48:49], v[34:35], v[36:37]
	ds_load_b128 v[34:37], v1 offset:1088
	scratch_load_b128 v[46:49], off, off offset:224
	v_fma_f64 v[44:45], v[44:45], v[38:39], v[54:55]
	v_fma_f64 v[42:43], v[42:43], v[38:39], -v[40:41]
	scratch_load_b128 v[38:41], off, off offset:240
	v_fma_f64 v[60:61], v[189:190], v[26:27], -v[60:61]
	s_waitcnt lgkmcnt(0)
	v_mul_f64 v[58:59], v[34:35], v[32:33]
	v_mul_f64 v[32:33], v[36:37], v[32:33]
	v_add_f64 v[52:53], v[52:53], 0
	v_add_f64 v[54:55], v[56:57], 0
	v_mul_f64 v[56:57], v[189:190], v[28:29]
	v_fma_f64 v[36:37], v[36:37], v[30:31], v[58:59]
	v_fma_f64 v[58:59], v[34:35], v[30:31], -v[32:33]
	ds_load_b128 v[28:31], v1 offset:1120
	scratch_load_b128 v[32:35], off, off offset:256
	v_add_f64 v[52:53], v[52:53], v[42:43]
	v_add_f64 v[54:55], v[54:55], v[44:45]
	ds_load_b128 v[42:45], v1 offset:1136
	v_fma_f64 v[56:57], v[191:192], v[26:27], v[56:57]
	ds_load_b128 v[189:192], v1 offset:1168
	s_waitcnt vmcnt(9) lgkmcnt(2)
	v_mul_f64 v[62:63], v[28:29], v[24:25]
	v_mul_f64 v[64:65], v[30:31], v[24:25]
	scratch_load_b128 v[24:27], off, off offset:272
	v_add_f64 v[52:53], v[52:53], v[58:59]
	v_add_f64 v[36:37], v[54:55], v[36:37]
	s_waitcnt vmcnt(9) lgkmcnt(1)
	v_mul_f64 v[54:55], v[42:43], v[20:21]
	v_mul_f64 v[58:59], v[44:45], v[20:21]
	v_fma_f64 v[62:63], v[30:31], v[22:23], v[62:63]
	v_fma_f64 v[64:65], v[28:29], v[22:23], -v[64:65]
	ds_load_b128 v[20:23], v1 offset:1152
	scratch_load_b128 v[28:31], off, off offset:288
	v_add_f64 v[52:53], v[52:53], v[60:61]
	v_add_f64 v[36:37], v[36:37], v[56:57]
	s_waitcnt vmcnt(9) lgkmcnt(0)
	v_mul_f64 v[56:57], v[20:21], v[16:17]
	v_mul_f64 v[60:61], v[22:23], v[16:17]
	v_fma_f64 v[44:45], v[44:45], v[18:19], v[54:55]
	v_fma_f64 v[42:43], v[42:43], v[18:19], -v[58:59]
	scratch_load_b128 v[16:19], off, off offset:304
	s_waitcnt vmcnt(9)
	v_mul_f64 v[54:55], v[189:190], v[12:13]
	v_mul_f64 v[58:59], v[191:192], v[12:13]
	v_add_f64 v[52:53], v[52:53], v[64:65]
	v_add_f64 v[36:37], v[36:37], v[62:63]
	v_fma_f64 v[56:57], v[22:23], v[14:15], v[56:57]
	v_fma_f64 v[60:61], v[20:21], v[14:15], -v[60:61]
	ds_load_b128 v[12:15], v1 offset:1184
	scratch_load_b128 v[20:23], off, off offset:320
	v_fma_f64 v[54:55], v[191:192], v[10:11], v[54:55]
	v_fma_f64 v[58:59], v[189:190], v[10:11], -v[58:59]
	ds_load_b128 v[191:194], v1 offset:1232
	v_add_f64 v[52:53], v[52:53], v[42:43]
	v_add_f64 v[36:37], v[36:37], v[44:45]
	ds_load_b128 v[42:45], v1 offset:1200
	s_waitcnt vmcnt(9) lgkmcnt(2)
	v_mul_f64 v[62:63], v[12:13], v[8:9]
	v_mul_f64 v[64:65], v[14:15], v[8:9]
	scratch_load_b128 v[8:11], off, off offset:336
	v_add_f64 v[52:53], v[52:53], v[60:61]
	v_add_f64 v[36:37], v[36:37], v[56:57]
	s_waitcnt vmcnt(8) lgkmcnt(0)
	v_mul_f64 v[56:57], v[42:43], v[187:188]
	v_mul_f64 v[60:61], v[44:45], v[187:188]
	v_fma_f64 v[62:63], v[14:15], v[6:7], v[62:63]
	v_fma_f64 v[6:7], v[12:13], v[6:7], -v[64:65]
	ds_load_b128 v[12:15], v1 offset:1216
	scratch_load_b128 v[187:190], off, off offset:352
	v_add_f64 v[52:53], v[52:53], v[58:59]
	v_add_f64 v[36:37], v[36:37], v[54:55]
	v_fma_f64 v[56:57], v[44:45], v[185:186], v[56:57]
	v_fma_f64 v[58:59], v[42:43], v[185:186], -v[60:61]
	scratch_load_b128 v[42:45], off, off offset:368
	s_waitcnt vmcnt(9) lgkmcnt(0)
	v_mul_f64 v[54:55], v[12:13], v[48:49]
	v_mul_f64 v[48:49], v[14:15], v[48:49]
	v_add_f64 v[6:7], v[52:53], v[6:7]
	v_add_f64 v[36:37], v[36:37], v[62:63]
	s_waitcnt vmcnt(8)
	v_mul_f64 v[52:53], v[191:192], v[40:41]
	v_mul_f64 v[40:41], v[193:194], v[40:41]
	v_fma_f64 v[54:55], v[14:15], v[46:47], v[54:55]
	v_fma_f64 v[60:61], v[12:13], v[46:47], -v[48:49]
	ds_load_b128 v[12:15], v1 offset:1248
	scratch_load_b128 v[46:49], off, off offset:384
	v_add_f64 v[6:7], v[6:7], v[58:59]
	v_add_f64 v[36:37], v[36:37], v[56:57]
	v_fma_f64 v[52:53], v[193:194], v[38:39], v[52:53]
	s_waitcnt vmcnt(8) lgkmcnt(0)
	v_mul_f64 v[56:57], v[12:13], v[34:35]
	v_mul_f64 v[58:59], v[14:15], v[34:35]
	v_fma_f64 v[38:39], v[191:192], v[38:39], -v[40:41]
	ds_load_b128 v[191:194], v1 offset:1296
	v_add_f64 v[6:7], v[6:7], v[60:61]
	v_add_f64 v[40:41], v[36:37], v[54:55]
	scratch_load_b128 v[34:37], off, off offset:400
	s_waitcnt vmcnt(8)
	v_mul_f64 v[54:55], v[195:196], v[26:27]
	v_mul_f64 v[26:27], v[197:198], v[26:27]
	v_fma_f64 v[56:57], v[14:15], v[32:33], v[56:57]
	v_fma_f64 v[32:33], v[12:13], v[32:33], -v[58:59]
	ds_load_b128 v[12:15], v1 offset:1280
	s_waitcnt vmcnt(7) lgkmcnt(0)
	v_mul_f64 v[58:59], v[12:13], v[30:31]
	v_mul_f64 v[30:31], v[14:15], v[30:31]
	v_add_f64 v[6:7], v[6:7], v[38:39]
	v_add_f64 v[52:53], v[40:41], v[52:53]
	scratch_load_b128 v[38:41], off, off offset:416
	v_fma_f64 v[54:55], v[197:198], v[24:25], v[54:55]
	v_fma_f64 v[60:61], v[195:196], v[24:25], -v[26:27]
	scratch_load_b128 v[24:27], off, off offset:432
	ds_load_b128 v[195:198], v1 offset:1328
	v_add_f64 v[6:7], v[6:7], v[32:33]
	v_add_f64 v[32:33], v[52:53], v[56:57]
	s_waitcnt vmcnt(8)
	v_mul_f64 v[52:53], v[191:192], v[18:19]
	v_mul_f64 v[18:19], v[193:194], v[18:19]
	v_fma_f64 v[56:57], v[14:15], v[28:29], v[58:59]
	v_fma_f64 v[58:59], v[12:13], v[28:29], -v[30:31]
	ds_load_b128 v[12:15], v1 offset:1312
	scratch_load_b128 v[28:31], off, off offset:448
	v_add_f64 v[6:7], v[6:7], v[60:61]
	v_add_f64 v[32:33], v[32:33], v[54:55]
	s_waitcnt vmcnt(8) lgkmcnt(0)
	v_mul_f64 v[54:55], v[12:13], v[22:23]
	v_mul_f64 v[22:23], v[14:15], v[22:23]
	v_fma_f64 v[52:53], v[193:194], v[16:17], v[52:53]
	v_fma_f64 v[60:61], v[191:192], v[16:17], -v[18:19]
	scratch_load_b128 v[16:19], off, off offset:464
	ds_load_b128 v[191:194], v1 offset:1360
	v_add_f64 v[6:7], v[6:7], v[58:59]
	v_add_f64 v[32:33], v[32:33], v[56:57]
	s_waitcnt vmcnt(8)
	v_mul_f64 v[56:57], v[195:196], v[10:11]
	v_mul_f64 v[58:59], v[197:198], v[10:11]
	v_fma_f64 v[14:15], v[14:15], v[20:21], v[54:55]
	v_fma_f64 v[54:55], v[12:13], v[20:21], -v[22:23]
	ds_load_b128 v[10:13], v1 offset:1344
	scratch_load_b128 v[20:23], off, off offset:480
	v_add_f64 v[6:7], v[6:7], v[60:61]
	v_add_f64 v[32:33], v[32:33], v[52:53]
	s_waitcnt vmcnt(8) lgkmcnt(0)
	v_mul_f64 v[52:53], v[10:11], v[189:190]
	v_mul_f64 v[60:61], v[12:13], v[189:190]
	v_fma_f64 v[56:57], v[197:198], v[8:9], v[56:57]
	v_fma_f64 v[58:59], v[195:196], v[8:9], -v[58:59]
	ds_load_b128 v[195:198], v1 offset:1392
	v_add_f64 v[54:55], v[6:7], v[54:55]
	scratch_load_b128 v[6:9], off, off offset:496
	v_add_f64 v[14:15], v[32:33], v[14:15]
	s_waitcnt vmcnt(8)
	v_mul_f64 v[32:33], v[191:192], v[44:45]
	v_mul_f64 v[44:45], v[193:194], v[44:45]
	v_fma_f64 v[52:53], v[12:13], v[187:188], v[52:53]
	v_fma_f64 v[60:61], v[10:11], v[187:188], -v[60:61]
	ds_load_b128 v[10:13], v1 offset:1376
	scratch_load_b128 v[185:188], off, off offset:512
	v_add_f64 v[54:55], v[54:55], v[58:59]
	v_add_f64 v[14:15], v[14:15], v[56:57]
	s_waitcnt vmcnt(8) lgkmcnt(0)
	v_mul_f64 v[56:57], v[10:11], v[48:49]
	v_mul_f64 v[48:49], v[12:13], v[48:49]
	v_fma_f64 v[32:33], v[193:194], v[42:43], v[32:33]
	v_fma_f64 v[58:59], v[191:192], v[42:43], -v[44:45]
	scratch_load_b128 v[42:45], off, off offset:528
	ds_load_b128 v[189:192], v1 offset:1424
	v_add_f64 v[54:55], v[54:55], v[60:61]
	v_add_f64 v[14:15], v[14:15], v[52:53]
	v_fma_f64 v[56:57], v[12:13], v[46:47], v[56:57]
	v_fma_f64 v[60:61], v[10:11], v[46:47], -v[48:49]
	ds_load_b128 v[10:13], v1 offset:1408
	scratch_load_b128 v[46:49], off, off offset:544
	s_waitcnt vmcnt(9)
	v_mul_f64 v[52:53], v[195:196], v[36:37]
	v_mul_f64 v[36:37], v[197:198], v[36:37]
	v_add_f64 v[54:55], v[54:55], v[58:59]
	v_add_f64 v[14:15], v[14:15], v[32:33]
	s_waitcnt vmcnt(8) lgkmcnt(0)
	v_mul_f64 v[58:59], v[10:11], v[40:41]
	v_mul_f64 v[40:41], v[12:13], v[40:41]
	v_fma_f64 v[52:53], v[197:198], v[34:35], v[52:53]
	v_fma_f64 v[36:37], v[195:196], v[34:35], -v[36:37]
	scratch_load_b128 v[32:35], off, off offset:560
	ds_load_b128 v[193:196], v1 offset:1456
	ds_load_b128 v[197:200], v1 offset:1552
	v_add_f64 v[54:55], v[54:55], v[60:61]
	v_add_f64 v[14:15], v[14:15], v[56:57]
	s_waitcnt vmcnt(8)
	v_mul_f64 v[56:57], v[189:190], v[26:27]
	v_mul_f64 v[26:27], v[191:192], v[26:27]
	v_fma_f64 v[58:59], v[12:13], v[38:39], v[58:59]
	v_fma_f64 v[40:41], v[10:11], v[38:39], -v[40:41]
	ds_load_b128 v[10:13], v1 offset:1440
	v_add_f64 v[54:55], v[54:55], v[36:37]
	scratch_load_b128 v[36:39], off, off offset:576
	v_add_f64 v[14:15], v[14:15], v[52:53]
	s_waitcnt vmcnt(8) lgkmcnt(0)
	v_mul_f64 v[52:53], v[10:11], v[30:31]
	v_mul_f64 v[30:31], v[12:13], v[30:31]
	v_fma_f64 v[56:57], v[191:192], v[24:25], v[56:57]
	v_fma_f64 v[60:61], v[189:190], v[24:25], -v[26:27]
	scratch_load_b128 v[24:27], off, off offset:592
	ds_load_b128 v[189:192], v1 offset:1488
	v_add_f64 v[40:41], v[54:55], v[40:41]
	s_waitcnt vmcnt(8)
	v_mul_f64 v[54:55], v[193:194], v[18:19]
	v_add_f64 v[14:15], v[14:15], v[58:59]
	v_mul_f64 v[18:19], v[195:196], v[18:19]
	v_fma_f64 v[52:53], v[12:13], v[28:29], v[52:53]
	v_fma_f64 v[58:59], v[10:11], v[28:29], -v[30:31]
	ds_load_b128 v[10:13], v1 offset:1472
	scratch_load_b128 v[28:31], off, off offset:608
	v_add_f64 v[40:41], v[40:41], v[60:61]
	v_fma_f64 v[54:55], v[195:196], v[16:17], v[54:55]
	v_add_f64 v[14:15], v[14:15], v[56:57]
	s_waitcnt vmcnt(8) lgkmcnt(0)
	v_mul_f64 v[56:57], v[10:11], v[22:23]
	v_mul_f64 v[22:23], v[12:13], v[22:23]
	v_fma_f64 v[18:19], v[193:194], v[16:17], -v[18:19]
	ds_load_b128 v[193:196], v1 offset:1520
	v_add_f64 v[40:41], v[40:41], v[58:59]
	v_add_f64 v[52:53], v[14:15], v[52:53]
	scratch_load_b128 v[14:17], off, off offset:624
	v_fma_f64 v[12:13], v[12:13], v[20:21], v[56:57]
	v_fma_f64 v[22:23], v[10:11], v[20:21], -v[22:23]
	s_waitcnt vmcnt(8)
	v_mul_f64 v[58:59], v[189:190], v[8:9]
	v_mul_f64 v[60:61], v[191:192], v[8:9]
	ds_load_b128 v[8:11], v1 offset:1504
	v_add_f64 v[40:41], v[40:41], v[18:19]
	scratch_load_b128 v[18:21], off, off offset:640
	v_add_f64 v[52:53], v[52:53], v[54:55]
	s_waitcnt vmcnt(8) lgkmcnt(0)
	v_mul_f64 v[54:55], v[8:9], v[187:188]
	v_mul_f64 v[56:57], v[10:11], v[187:188]
	v_fma_f64 v[58:59], v[191:192], v[6:7], v[58:59]
	v_fma_f64 v[6:7], v[189:190], v[6:7], -v[60:61]
	scratch_load_b128 v[187:190], off, off offset:656
	v_add_f64 v[22:23], v[40:41], v[22:23]
	s_waitcnt vmcnt(8)
	v_mul_f64 v[40:41], v[193:194], v[44:45]
	v_add_f64 v[12:13], v[52:53], v[12:13]
	v_mul_f64 v[44:45], v[195:196], v[44:45]
	v_fma_f64 v[52:53], v[10:11], v[185:186], v[54:55]
	v_fma_f64 v[54:55], v[8:9], v[185:186], -v[56:57]
	v_add_f64 v[22:23], v[22:23], v[6:7]
	ds_load_b128 v[6:9], v1 offset:1536
	v_add_f64 v[56:57], v[12:13], v[58:59]
	scratch_load_b128 v[10:13], off, off offset:672
	v_fma_f64 v[60:61], v[195:196], v[42:43], v[40:41]
	v_fma_f64 v[44:45], v[193:194], v[42:43], -v[44:45]
	scratch_load_b128 v[40:43], off, off offset:688
	ds_load_b128 v[191:194], v1 offset:1584
	s_waitcnt vmcnt(9) lgkmcnt(1)
	v_mul_f64 v[58:59], v[6:7], v[48:49]
	v_mul_f64 v[48:49], v[8:9], v[48:49]
	v_add_f64 v[22:23], v[22:23], v[54:55]
	s_waitcnt vmcnt(8)
	v_mul_f64 v[54:55], v[197:198], v[34:35]
	v_add_f64 v[52:53], v[56:57], v[52:53]
	v_mul_f64 v[34:35], v[199:200], v[34:35]
	v_fma_f64 v[56:57], v[8:9], v[46:47], v[58:59]
	v_fma_f64 v[48:49], v[6:7], v[46:47], -v[48:49]
	ds_load_b128 v[6:9], v1 offset:1568
	v_add_f64 v[22:23], v[22:23], v[44:45]
	scratch_load_b128 v[44:47], off, off offset:704
	v_add_f64 v[52:53], v[52:53], v[60:61]
	v_fma_f64 v[54:55], v[199:200], v[32:33], v[54:55]
	v_fma_f64 v[60:61], v[197:198], v[32:33], -v[34:35]
	scratch_load_b128 v[32:35], off, off offset:720
	ds_load_b128 v[195:198], v1 offset:1616
	s_waitcnt vmcnt(9) lgkmcnt(1)
	v_mul_f64 v[58:59], v[6:7], v[38:39]
	v_mul_f64 v[38:39], v[8:9], v[38:39]
	v_add_f64 v[22:23], v[22:23], v[48:49]
	v_add_f64 v[48:49], v[52:53], v[56:57]
	s_waitcnt vmcnt(8)
	v_mul_f64 v[52:53], v[191:192], v[26:27]
	v_mul_f64 v[26:27], v[193:194], v[26:27]
	v_fma_f64 v[56:57], v[8:9], v[36:37], v[58:59]
	v_fma_f64 v[58:59], v[6:7], v[36:37], -v[38:39]
	ds_load_b128 v[6:9], v1 offset:1600
	scratch_load_b128 v[36:39], off, off offset:736
	v_add_f64 v[22:23], v[22:23], v[60:61]
	v_add_f64 v[48:49], v[48:49], v[54:55]
	s_waitcnt vmcnt(8) lgkmcnt(0)
	v_mul_f64 v[54:55], v[6:7], v[30:31]
	v_mul_f64 v[30:31], v[8:9], v[30:31]
	v_fma_f64 v[52:53], v[193:194], v[24:25], v[52:53]
	v_fma_f64 v[26:27], v[191:192], v[24:25], -v[26:27]
	ds_load_b128 v[191:194], v1 offset:1648
	v_add_f64 v[58:59], v[22:23], v[58:59]
	scratch_load_b128 v[22:25], off, off offset:752
	v_add_f64 v[48:49], v[48:49], v[56:57]
	v_fma_f64 v[54:55], v[8:9], v[28:29], v[54:55]
	v_fma_f64 v[30:31], v[6:7], v[28:29], -v[30:31]
	ds_load_b128 v[6:9], v1 offset:1632
	s_waitcnt vmcnt(8)
	v_mul_f64 v[56:57], v[195:196], v[16:17]
	v_mul_f64 v[16:17], v[197:198], v[16:17]
	v_add_f64 v[58:59], v[58:59], v[26:27]
	scratch_load_b128 v[26:29], off, off offset:768
	v_add_f64 v[48:49], v[48:49], v[52:53]
	s_waitcnt vmcnt(8) lgkmcnt(0)
	v_mul_f64 v[52:53], v[6:7], v[20:21]
	v_mul_f64 v[20:21], v[8:9], v[20:21]
	v_fma_f64 v[56:57], v[197:198], v[14:15], v[56:57]
	v_fma_f64 v[60:61], v[195:196], v[14:15], -v[16:17]
	scratch_load_b128 v[14:17], off, off offset:784
	ds_load_b128 v[195:198], v1 offset:1680
	v_add_f64 v[30:31], v[58:59], v[30:31]
	s_waitcnt vmcnt(8)
	v_mul_f64 v[58:59], v[193:194], v[189:190]
	v_add_f64 v[48:49], v[48:49], v[54:55]
	v_mul_f64 v[54:55], v[191:192], v[189:190]
	v_fma_f64 v[52:53], v[8:9], v[18:19], v[52:53]
	v_fma_f64 v[62:63], v[6:7], v[18:19], -v[20:21]
	ds_load_b128 v[6:9], v1 offset:1664
	scratch_load_b128 v[18:21], off, off offset:800
	v_add_f64 v[30:31], v[30:31], v[60:61]
	v_fma_f64 v[58:59], v[191:192], v[187:188], -v[58:59]
	v_add_f64 v[48:49], v[48:49], v[56:57]
	v_fma_f64 v[54:55], v[193:194], v[187:188], v[54:55]
	scratch_load_b128 v[185:188], off, off offset:816
	ds_load_b128 v[189:192], v1 offset:1712
	s_waitcnt vmcnt(9) lgkmcnt(1)
	v_mul_f64 v[56:57], v[6:7], v[12:13]
	v_mul_f64 v[12:13], v[8:9], v[12:13]
	v_add_f64 v[30:31], v[30:31], v[62:63]
	v_add_f64 v[48:49], v[48:49], v[52:53]
	s_waitcnt vmcnt(8)
	v_mul_f64 v[52:53], v[195:196], v[42:43]
	v_mul_f64 v[42:43], v[197:198], v[42:43]
	v_fma_f64 v[56:57], v[8:9], v[10:11], v[56:57]
	v_fma_f64 v[60:61], v[6:7], v[10:11], -v[12:13]
	ds_load_b128 v[6:9], v1 offset:1696
	scratch_load_b128 v[10:13], off, off offset:832
	v_add_f64 v[30:31], v[30:31], v[58:59]
	v_add_f64 v[48:49], v[48:49], v[54:55]
	v_fma_f64 v[52:53], v[197:198], v[40:41], v[52:53]
	v_fma_f64 v[58:59], v[195:196], v[40:41], -v[42:43]
	scratch_load_b128 v[40:43], off, off offset:848
	ds_load_b128 v[193:196], v1 offset:1744
	s_waitcnt vmcnt(9) lgkmcnt(1)
	v_mul_f64 v[54:55], v[6:7], v[46:47]
	v_mul_f64 v[46:47], v[8:9], v[46:47]
	v_add_f64 v[30:31], v[30:31], v[60:61]
	v_add_f64 v[48:49], v[48:49], v[56:57]
	s_waitcnt vmcnt(8)
	v_mul_f64 v[56:57], v[189:190], v[34:35]
	v_mul_f64 v[34:35], v[191:192], v[34:35]
	v_fma_f64 v[54:55], v[8:9], v[44:45], v[54:55]
	v_fma_f64 v[60:61], v[6:7], v[44:45], -v[46:47]
	ds_load_b128 v[6:9], v1 offset:1728
	scratch_load_b128 v[44:47], off, off offset:864
	v_add_f64 v[30:31], v[30:31], v[58:59]
	v_add_f64 v[48:49], v[48:49], v[52:53]
	s_waitcnt vmcnt(8) lgkmcnt(0)
	v_mul_f64 v[52:53], v[6:7], v[38:39]
	v_mul_f64 v[38:39], v[8:9], v[38:39]
	v_fma_f64 v[56:57], v[191:192], v[32:33], v[56:57]
	v_fma_f64 v[34:35], v[189:190], v[32:33], -v[34:35]
	ds_load_b128 v[189:192], v1 offset:1776
	v_add_f64 v[58:59], v[30:31], v[60:61]
	scratch_load_b128 v[30:33], off, off offset:880
	v_add_f64 v[48:49], v[48:49], v[54:55]
	v_fma_f64 v[52:53], v[8:9], v[36:37], v[52:53]
	v_fma_f64 v[38:39], v[6:7], v[36:37], -v[38:39]
	ds_load_b128 v[6:9], v1 offset:1760
	s_waitcnt vmcnt(8)
	v_mul_f64 v[54:55], v[193:194], v[24:25]
	v_mul_f64 v[24:25], v[195:196], v[24:25]
	v_add_f64 v[58:59], v[58:59], v[34:35]
	scratch_load_b128 v[34:37], off, off offset:896
	v_add_f64 v[48:49], v[48:49], v[56:57]
	s_waitcnt vmcnt(8) lgkmcnt(0)
	v_mul_f64 v[56:57], v[6:7], v[28:29]
	v_mul_f64 v[28:29], v[8:9], v[28:29]
	v_fma_f64 v[54:55], v[195:196], v[22:23], v[54:55]
	v_fma_f64 v[60:61], v[193:194], v[22:23], -v[24:25]
	scratch_load_b128 v[22:25], off, off offset:912
	ds_load_b128 v[193:196], v1 offset:1808
	v_add_f64 v[38:39], v[58:59], v[38:39]
	v_add_f64 v[48:49], v[48:49], v[52:53]
	s_waitcnt vmcnt(8)
	v_mul_f64 v[52:53], v[189:190], v[16:17]
	v_mul_f64 v[16:17], v[191:192], v[16:17]
	v_fma_f64 v[56:57], v[8:9], v[26:27], v[56:57]
	v_fma_f64 v[58:59], v[6:7], v[26:27], -v[28:29]
	ds_load_b128 v[6:9], v1 offset:1792
	scratch_load_b128 v[26:29], off, off offset:928
	v_add_f64 v[38:39], v[38:39], v[60:61]
	v_add_f64 v[48:49], v[48:49], v[54:55]
	s_waitcnt vmcnt(8) lgkmcnt(0)
	v_mul_f64 v[54:55], v[6:7], v[20:21]
	v_mul_f64 v[20:21], v[8:9], v[20:21]
	v_fma_f64 v[52:53], v[191:192], v[14:15], v[52:53]
	v_fma_f64 v[60:61], v[189:190], v[14:15], -v[16:17]
	scratch_load_b128 v[14:17], off, off offset:944
	v_add_f64 v[38:39], v[38:39], v[58:59]
	s_waitcnt vmcnt(8)
	v_mul_f64 v[58:59], v[195:196], v[187:188]
	v_add_f64 v[48:49], v[48:49], v[56:57]
	v_mul_f64 v[56:57], v[193:194], v[187:188]
	v_fma_f64 v[54:55], v[8:9], v[18:19], v[54:55]
	v_fma_f64 v[62:63], v[6:7], v[18:19], -v[20:21]
	ds_load_b128 v[6:9], v1 offset:1824
	ds_load_b128 v[187:190], v1 offset:1840
	scratch_load_b128 v[18:21], off, off offset:960
	v_add_f64 v[38:39], v[38:39], v[60:61]
	v_fma_f64 v[58:59], v[193:194], v[185:186], -v[58:59]
	scratch_load_b128 v[191:194], off, off offset:976
	v_add_f64 v[48:49], v[48:49], v[52:53]
	s_waitcnt vmcnt(9) lgkmcnt(1)
	v_mul_f64 v[52:53], v[6:7], v[12:13]
	v_mul_f64 v[12:13], v[8:9], v[12:13]
	v_fma_f64 v[56:57], v[195:196], v[185:186], v[56:57]
	v_add_f64 v[38:39], v[38:39], v[62:63]
	v_add_f64 v[48:49], v[48:49], v[54:55]
	s_waitcnt vmcnt(8) lgkmcnt(0)
	v_mul_f64 v[54:55], v[187:188], v[42:43]
	v_mul_f64 v[42:43], v[189:190], v[42:43]
	v_fma_f64 v[52:53], v[8:9], v[10:11], v[52:53]
	v_fma_f64 v[60:61], v[6:7], v[10:11], -v[12:13]
	ds_load_b128 v[6:9], v1 offset:1856
	ds_load_b128 v[10:13], v1 offset:1872
	v_add_f64 v[38:39], v[38:39], v[58:59]
	v_add_f64 v[48:49], v[48:49], v[56:57]
	s_waitcnt vmcnt(7) lgkmcnt(1)
	v_mul_f64 v[56:57], v[6:7], v[46:47]
	v_mul_f64 v[46:47], v[8:9], v[46:47]
	v_fma_f64 v[54:55], v[189:190], v[40:41], v[54:55]
	v_fma_f64 v[40:41], v[187:188], v[40:41], -v[42:43]
	v_add_f64 v[38:39], v[38:39], v[60:61]
	v_add_f64 v[42:43], v[48:49], v[52:53]
	v_fma_f64 v[52:53], v[8:9], v[44:45], v[56:57]
	v_fma_f64 v[44:45], v[6:7], v[44:45], -v[46:47]
	s_waitcnt vmcnt(6) lgkmcnt(0)
	v_mul_f64 v[48:49], v[10:11], v[32:33]
	v_mul_f64 v[32:33], v[12:13], v[32:33]
	v_add_f64 v[46:47], v[38:39], v[40:41]
	ds_load_b128 v[6:9], v1 offset:1888
	ds_load_b128 v[38:41], v1 offset:1904
	v_add_f64 v[42:43], v[42:43], v[54:55]
	v_fma_f64 v[12:13], v[12:13], v[30:31], v[48:49]
	v_fma_f64 v[10:11], v[10:11], v[30:31], -v[32:33]
	s_waitcnt vmcnt(5) lgkmcnt(1)
	v_mul_f64 v[54:55], v[6:7], v[36:37]
	v_mul_f64 v[36:37], v[8:9], v[36:37]
	v_add_f64 v[30:31], v[46:47], v[44:45]
	v_add_f64 v[32:33], v[42:43], v[52:53]
	s_waitcnt vmcnt(4) lgkmcnt(0)
	v_mul_f64 v[42:43], v[38:39], v[24:25]
	v_mul_f64 v[24:25], v[40:41], v[24:25]
	v_fma_f64 v[44:45], v[8:9], v[34:35], v[54:55]
	v_fma_f64 v[34:35], v[6:7], v[34:35], -v[36:37]
	v_add_f64 v[30:31], v[30:31], v[10:11]
	v_add_f64 v[32:33], v[32:33], v[12:13]
	ds_load_b128 v[6:9], v1 offset:1920
	ds_load_b128 v[10:13], v1 offset:1936
	v_fma_f64 v[40:41], v[40:41], v[22:23], v[42:43]
	v_fma_f64 v[22:23], v[38:39], v[22:23], -v[24:25]
	s_waitcnt vmcnt(3) lgkmcnt(1)
	v_mul_f64 v[36:37], v[6:7], v[28:29]
	v_mul_f64 v[28:29], v[8:9], v[28:29]
	v_add_f64 v[24:25], v[30:31], v[34:35]
	v_add_f64 v[30:31], v[32:33], v[44:45]
	s_waitcnt vmcnt(2) lgkmcnt(0)
	v_mul_f64 v[32:33], v[10:11], v[16:17]
	v_mul_f64 v[16:17], v[12:13], v[16:17]
	v_fma_f64 v[34:35], v[8:9], v[26:27], v[36:37]
	v_fma_f64 v[26:27], v[6:7], v[26:27], -v[28:29]
	v_add_f64 v[28:29], v[24:25], v[22:23]
	ds_load_b128 v[6:9], v1 offset:1952
	ds_load_b128 v[22:25], v1 offset:1968
	v_add_f64 v[30:31], v[30:31], v[40:41]
	v_fma_f64 v[12:13], v[12:13], v[14:15], v[32:33]
	v_fma_f64 v[10:11], v[10:11], v[14:15], -v[16:17]
	s_waitcnt vmcnt(1) lgkmcnt(1)
	v_mul_f64 v[36:37], v[6:7], v[20:21]
	v_mul_f64 v[20:21], v[8:9], v[20:21]
	v_add_f64 v[14:15], v[28:29], v[26:27]
	s_waitcnt vmcnt(0) lgkmcnt(0)
	v_mul_f64 v[26:27], v[22:23], v[193:194]
	v_mul_f64 v[28:29], v[24:25], v[193:194]
	v_add_f64 v[16:17], v[30:31], v[34:35]
	v_fma_f64 v[8:9], v[8:9], v[18:19], v[36:37]
	v_fma_f64 v[6:7], v[6:7], v[18:19], -v[20:21]
	v_add_f64 v[10:11], v[14:15], v[10:11]
	v_fma_f64 v[14:15], v[24:25], v[191:192], v[26:27]
	v_add_f64 v[12:13], v[16:17], v[12:13]
	v_fma_f64 v[16:17], v[22:23], v[191:192], -v[28:29]
	s_delay_alu instid0(VALU_DEP_4) | instskip(NEXT) | instid1(VALU_DEP_3)
	v_add_f64 v[6:7], v[10:11], v[6:7]
	v_add_f64 v[8:9], v[12:13], v[8:9]
	s_delay_alu instid0(VALU_DEP_2) | instskip(NEXT) | instid1(VALU_DEP_2)
	v_add_f64 v[6:7], v[6:7], v[16:17]
	v_add_f64 v[8:9], v[8:9], v[14:15]
	s_delay_alu instid0(VALU_DEP_2) | instskip(NEXT) | instid1(VALU_DEP_2)
	v_add_f64 v[1:2], v[2:3], -v[6:7]
	v_add_f64 v[3:4], v[4:5], -v[8:9]
	scratch_store_b128 off, v[1:4], off offset:48
	v_cmpx_lt_u32_e32 2, v174
	s_cbranch_execz .LBB125_393
; %bb.392:
	scratch_load_b128 v[1:4], v205, off
	v_mov_b32_e32 v5, 0
	s_delay_alu instid0(VALU_DEP_1)
	v_mov_b32_e32 v6, v5
	v_mov_b32_e32 v7, v5
	;; [unrolled: 1-line block ×3, first 2 shown]
	scratch_store_b128 off, v[5:8], off offset:32
	s_waitcnt vmcnt(0)
	ds_store_b128 v255, v[1:4]
.LBB125_393:
	s_or_b32 exec_lo, exec_lo, s2
	s_waitcnt lgkmcnt(0)
	s_waitcnt_vscnt null, 0x0
	s_barrier
	buffer_gl0_inv
	s_clause 0x7
	scratch_load_b128 v[34:37], off, off offset:48
	scratch_load_b128 v[38:41], off, off offset:64
	scratch_load_b128 v[30:33], off, off offset:80
	scratch_load_b128 v[26:29], off, off offset:96
	scratch_load_b128 v[22:25], off, off offset:112
	scratch_load_b128 v[18:21], off, off offset:128
	scratch_load_b128 v[10:13], off, off offset:144
	scratch_load_b128 v[6:9], off, off offset:160
	v_mov_b32_e32 v1, 0
	s_mov_b32 s2, exec_lo
	ds_load_b128 v[46:49], v1 offset:1040
	s_clause 0x2
	scratch_load_b128 v[14:17], off, off offset:176
	scratch_load_b128 v[2:5], off, off offset:32
	;; [unrolled: 1-line block ×3, first 2 shown]
	ds_load_b128 v[42:45], v1 offset:1056
	ds_load_b128 v[189:192], v1 offset:1088
	;; [unrolled: 1-line block ×3, first 2 shown]
	s_waitcnt vmcnt(10) lgkmcnt(3)
	v_mul_f64 v[52:53], v[48:49], v[36:37]
	v_mul_f64 v[36:37], v[46:47], v[36:37]
	s_delay_alu instid0(VALU_DEP_2) | instskip(NEXT) | instid1(VALU_DEP_2)
	v_fma_f64 v[52:53], v[46:47], v[34:35], -v[52:53]
	v_fma_f64 v[56:57], v[48:49], v[34:35], v[36:37]
	ds_load_b128 v[34:37], v1 offset:1072
	s_waitcnt vmcnt(9) lgkmcnt(3)
	v_mul_f64 v[54:55], v[42:43], v[40:41]
	v_mul_f64 v[40:41], v[44:45], v[40:41]
	scratch_load_b128 v[46:49], off, off offset:208
	s_waitcnt vmcnt(9) lgkmcnt(0)
	v_mul_f64 v[58:59], v[34:35], v[32:33]
	v_mul_f64 v[32:33], v[36:37], v[32:33]
	v_add_f64 v[52:53], v[52:53], 0
	v_fma_f64 v[44:45], v[44:45], v[38:39], v[54:55]
	v_fma_f64 v[42:43], v[42:43], v[38:39], -v[40:41]
	v_add_f64 v[54:55], v[56:57], 0
	scratch_load_b128 v[38:41], off, off offset:224
	v_fma_f64 v[36:37], v[36:37], v[30:31], v[58:59]
	v_fma_f64 v[58:59], v[34:35], v[30:31], -v[32:33]
	scratch_load_b128 v[32:35], off, off offset:240
	v_add_f64 v[52:53], v[52:53], v[42:43]
	v_add_f64 v[54:55], v[54:55], v[44:45]
	ds_load_b128 v[42:45], v1 offset:1120
	s_waitcnt vmcnt(10)
	v_mul_f64 v[56:57], v[189:190], v[28:29]
	v_mul_f64 v[60:61], v[191:192], v[28:29]
	ds_load_b128 v[28:31], v1 offset:1104
	v_add_f64 v[52:53], v[52:53], v[58:59]
	v_add_f64 v[36:37], v[54:55], v[36:37]
	s_waitcnt vmcnt(8) lgkmcnt(1)
	v_mul_f64 v[54:55], v[42:43], v[20:21]
	v_fma_f64 v[56:57], v[191:192], v[26:27], v[56:57]
	v_fma_f64 v[60:61], v[189:190], v[26:27], -v[60:61]
	ds_load_b128 v[189:192], v1 offset:1152
	s_waitcnt lgkmcnt(1)
	v_mul_f64 v[62:63], v[28:29], v[24:25]
	v_mul_f64 v[64:65], v[30:31], v[24:25]
	scratch_load_b128 v[24:27], off, off offset:256
	v_mul_f64 v[58:59], v[44:45], v[20:21]
	v_fma_f64 v[54:55], v[44:45], v[18:19], v[54:55]
	v_add_f64 v[36:37], v[36:37], v[56:57]
	v_add_f64 v[52:53], v[52:53], v[60:61]
	s_waitcnt vmcnt(7) lgkmcnt(0)
	v_mul_f64 v[60:61], v[191:192], v[8:9]
	v_fma_f64 v[62:63], v[30:31], v[22:23], v[62:63]
	v_fma_f64 v[64:65], v[28:29], v[22:23], -v[64:65]
	scratch_load_b128 v[28:31], off, off offset:272
	ds_load_b128 v[20:23], v1 offset:1136
	v_fma_f64 v[18:19], v[42:43], v[18:19], -v[58:59]
	v_mul_f64 v[58:59], v[189:190], v[8:9]
	scratch_load_b128 v[42:45], off, off offset:288
	s_waitcnt lgkmcnt(0)
	v_mul_f64 v[56:57], v[20:21], v[12:13]
	v_mul_f64 v[12:13], v[22:23], v[12:13]
	v_add_f64 v[36:37], v[36:37], v[62:63]
	v_add_f64 v[52:53], v[52:53], v[64:65]
	s_delay_alu instid0(VALU_DEP_4) | instskip(NEXT) | instid1(VALU_DEP_4)
	v_fma_f64 v[22:23], v[22:23], v[10:11], v[56:57]
	v_fma_f64 v[12:13], v[20:21], v[10:11], -v[12:13]
	ds_load_b128 v[8:11], v1 offset:1168
	v_fma_f64 v[56:57], v[191:192], v[6:7], v[58:59]
	v_fma_f64 v[6:7], v[189:190], v[6:7], -v[60:61]
	scratch_load_b128 v[189:192], off, off offset:320
	v_add_f64 v[36:37], v[36:37], v[54:55]
	v_add_f64 v[52:53], v[52:53], v[18:19]
	scratch_load_b128 v[18:21], off, off offset:304
	v_add_f64 v[22:23], v[36:37], v[22:23]
	v_add_f64 v[12:13], v[52:53], v[12:13]
	s_waitcnt vmcnt(8)
	v_mul_f64 v[36:37], v[193:194], v[187:188]
	v_mul_f64 v[52:53], v[195:196], v[187:188]
	s_delay_alu instid0(VALU_DEP_4) | instskip(NEXT) | instid1(VALU_DEP_4)
	v_add_f64 v[22:23], v[22:23], v[56:57]
	v_add_f64 v[60:61], v[12:13], v[6:7]
	s_delay_alu instid0(VALU_DEP_4) | instskip(NEXT) | instid1(VALU_DEP_4)
	v_fma_f64 v[36:37], v[195:196], v[185:186], v[36:37]
	v_fma_f64 v[52:53], v[193:194], v[185:186], -v[52:53]
	ds_load_b128 v[193:196], v1 offset:1248
	s_waitcnt lgkmcnt(1)
	v_mul_f64 v[54:55], v[8:9], v[16:17]
	v_mul_f64 v[16:17], v[10:11], v[16:17]
	scratch_load_b128 v[185:188], off, off offset:352
	v_fma_f64 v[54:55], v[10:11], v[14:15], v[54:55]
	v_fma_f64 v[58:59], v[8:9], v[14:15], -v[16:17]
	ds_load_b128 v[6:9], v1 offset:1200
	ds_load_b128 v[14:17], v1 offset:1216
	scratch_load_b128 v[10:13], off, off offset:336
	s_waitcnt vmcnt(9) lgkmcnt(1)
	v_mul_f64 v[56:57], v[6:7], v[48:49]
	v_mul_f64 v[48:49], v[8:9], v[48:49]
	v_add_f64 v[22:23], v[22:23], v[54:55]
	v_add_f64 v[58:59], v[60:61], v[58:59]
	s_waitcnt vmcnt(8) lgkmcnt(0)
	v_mul_f64 v[54:55], v[14:15], v[40:41]
	v_mul_f64 v[40:41], v[16:17], v[40:41]
	v_fma_f64 v[56:57], v[8:9], v[46:47], v[56:57]
	v_fma_f64 v[60:61], v[6:7], v[46:47], -v[48:49]
	ds_load_b128 v[6:9], v1 offset:1232
	scratch_load_b128 v[46:49], off, off offset:368
	v_add_f64 v[22:23], v[22:23], v[36:37]
	v_add_f64 v[52:53], v[58:59], v[52:53]
	v_fma_f64 v[54:55], v[16:17], v[38:39], v[54:55]
	v_fma_f64 v[38:39], v[14:15], v[38:39], -v[40:41]
	scratch_load_b128 v[14:17], off, off offset:384
	v_add_f64 v[22:23], v[22:23], v[56:57]
	v_add_f64 v[40:41], v[52:53], v[60:61]
	s_waitcnt vmcnt(8)
	v_mul_f64 v[52:53], v[193:194], v[26:27]
	v_mul_f64 v[26:27], v[195:196], v[26:27]
	s_delay_alu instid0(VALU_DEP_4) | instskip(NEXT) | instid1(VALU_DEP_4)
	v_add_f64 v[22:23], v[22:23], v[54:55]
	v_add_f64 v[40:41], v[40:41], v[38:39]
	s_delay_alu instid0(VALU_DEP_4) | instskip(NEXT) | instid1(VALU_DEP_4)
	v_fma_f64 v[52:53], v[195:196], v[24:25], v[52:53]
	v_fma_f64 v[26:27], v[193:194], v[24:25], -v[26:27]
	ds_load_b128 v[193:196], v1 offset:1312
	s_waitcnt lgkmcnt(1)
	v_mul_f64 v[36:37], v[6:7], v[34:35]
	v_mul_f64 v[34:35], v[8:9], v[34:35]
	s_delay_alu instid0(VALU_DEP_2) | instskip(NEXT) | instid1(VALU_DEP_2)
	v_fma_f64 v[56:57], v[8:9], v[32:33], v[36:37]
	v_fma_f64 v[58:59], v[6:7], v[32:33], -v[34:35]
	scratch_load_b128 v[32:35], off, off offset:400
	ds_load_b128 v[6:9], v1 offset:1264
	ds_load_b128 v[36:39], v1 offset:1280
	s_waitcnt vmcnt(8) lgkmcnt(1)
	v_mul_f64 v[54:55], v[6:7], v[30:31]
	v_mul_f64 v[30:31], v[8:9], v[30:31]
	v_add_f64 v[56:57], v[22:23], v[56:57]
	v_add_f64 v[40:41], v[40:41], v[58:59]
	s_waitcnt vmcnt(7) lgkmcnt(0)
	v_mul_f64 v[58:59], v[36:37], v[44:45]
	v_mul_f64 v[44:45], v[38:39], v[44:45]
	scratch_load_b128 v[22:25], off, off offset:416
	v_fma_f64 v[54:55], v[8:9], v[28:29], v[54:55]
	v_fma_f64 v[30:31], v[6:7], v[28:29], -v[30:31]
	ds_load_b128 v[6:9], v1 offset:1296
	v_add_f64 v[52:53], v[56:57], v[52:53]
	v_add_f64 v[40:41], v[40:41], v[26:27]
	v_fma_f64 v[58:59], v[38:39], v[42:43], v[58:59]
	v_fma_f64 v[42:43], v[36:37], v[42:43], -v[44:45]
	s_clause 0x1
	scratch_load_b128 v[26:29], off, off offset:432
	scratch_load_b128 v[36:39], off, off offset:448
	s_waitcnt vmcnt(9)
	v_mul_f64 v[44:45], v[193:194], v[191:192]
	v_add_f64 v[30:31], v[40:41], v[30:31]
	v_add_f64 v[40:41], v[52:53], v[54:55]
	v_mul_f64 v[52:53], v[195:196], v[191:192]
	s_delay_alu instid0(VALU_DEP_4) | instskip(NEXT) | instid1(VALU_DEP_4)
	v_fma_f64 v[44:45], v[195:196], v[189:190], v[44:45]
	v_add_f64 v[30:31], v[30:31], v[42:43]
	s_delay_alu instid0(VALU_DEP_4)
	v_add_f64 v[58:59], v[40:41], v[58:59]
	ds_load_b128 v[40:43], v1 offset:1344
	s_waitcnt vmcnt(8) lgkmcnt(1)
	v_mul_f64 v[56:57], v[6:7], v[20:21]
	v_mul_f64 v[20:21], v[8:9], v[20:21]
	v_fma_f64 v[52:53], v[193:194], v[189:190], -v[52:53]
	scratch_load_b128 v[189:192], off, off offset:480
	ds_load_b128 v[193:196], v1 offset:1376
	v_fma_f64 v[54:55], v[8:9], v[18:19], v[56:57]
	v_fma_f64 v[56:57], v[6:7], v[18:19], -v[20:21]
	ds_load_b128 v[6:9], v1 offset:1328
	scratch_load_b128 v[18:21], off, off offset:464
	s_waitcnt vmcnt(8) lgkmcnt(0)
	v_mul_f64 v[60:61], v[6:7], v[12:13]
	v_mul_f64 v[12:13], v[8:9], v[12:13]
	v_add_f64 v[54:55], v[58:59], v[54:55]
	v_add_f64 v[30:31], v[30:31], v[56:57]
	v_mul_f64 v[56:57], v[40:41], v[187:188]
	v_mul_f64 v[58:59], v[42:43], v[187:188]
	v_fma_f64 v[60:61], v[8:9], v[10:11], v[60:61]
	v_fma_f64 v[62:63], v[6:7], v[10:11], -v[12:13]
	ds_load_b128 v[6:9], v1 offset:1360
	scratch_load_b128 v[10:13], off, off offset:496
	v_add_f64 v[44:45], v[54:55], v[44:45]
	v_add_f64 v[30:31], v[30:31], v[52:53]
	v_fma_f64 v[54:55], v[42:43], v[185:186], v[56:57]
	v_fma_f64 v[56:57], v[40:41], v[185:186], -v[58:59]
	ds_load_b128 v[185:188], v1 offset:1408
	scratch_load_b128 v[40:43], off, off offset:512
	s_waitcnt vmcnt(9) lgkmcnt(1)
	v_mul_f64 v[52:53], v[6:7], v[48:49]
	v_mul_f64 v[48:49], v[8:9], v[48:49]
	s_waitcnt vmcnt(8)
	v_mul_f64 v[58:59], v[193:194], v[16:17]
	v_mul_f64 v[16:17], v[195:196], v[16:17]
	v_add_f64 v[44:45], v[44:45], v[60:61]
	v_add_f64 v[30:31], v[30:31], v[62:63]
	v_fma_f64 v[52:53], v[8:9], v[46:47], v[52:53]
	v_fma_f64 v[48:49], v[6:7], v[46:47], -v[48:49]
	ds_load_b128 v[6:9], v1 offset:1392
	v_fma_f64 v[58:59], v[195:196], v[14:15], v[58:59]
	v_fma_f64 v[60:61], v[193:194], v[14:15], -v[16:17]
	ds_load_b128 v[193:196], v1 offset:1440
	scratch_load_b128 v[14:17], off, off offset:544
	v_add_f64 v[54:55], v[44:45], v[54:55]
	v_add_f64 v[30:31], v[30:31], v[56:57]
	scratch_load_b128 v[44:47], off, off offset:528
	s_waitcnt vmcnt(9) lgkmcnt(1)
	v_mul_f64 v[56:57], v[6:7], v[34:35]
	v_mul_f64 v[34:35], v[8:9], v[34:35]
	v_add_f64 v[30:31], v[30:31], v[48:49]
	v_add_f64 v[48:49], v[54:55], v[52:53]
	s_waitcnt vmcnt(8)
	v_mul_f64 v[52:53], v[185:186], v[24:25]
	v_mul_f64 v[24:25], v[187:188], v[24:25]
	v_fma_f64 v[54:55], v[8:9], v[32:33], v[56:57]
	v_fma_f64 v[34:35], v[6:7], v[32:33], -v[34:35]
	ds_load_b128 v[6:9], v1 offset:1424
	v_add_f64 v[56:57], v[30:31], v[60:61]
	v_add_f64 v[48:49], v[48:49], v[58:59]
	scratch_load_b128 v[30:33], off, off offset:560
	v_fma_f64 v[52:53], v[187:188], v[22:23], v[52:53]
	v_fma_f64 v[60:61], v[185:186], v[22:23], -v[24:25]
	ds_load_b128 v[185:188], v1 offset:1472
	s_waitcnt vmcnt(8) lgkmcnt(1)
	v_mul_f64 v[58:59], v[6:7], v[28:29]
	v_mul_f64 v[28:29], v[8:9], v[28:29]
	scratch_load_b128 v[22:25], off, off offset:576
	v_add_f64 v[34:35], v[56:57], v[34:35]
	v_add_f64 v[48:49], v[48:49], v[54:55]
	s_waitcnt vmcnt(8)
	v_mul_f64 v[54:55], v[193:194], v[38:39]
	v_mul_f64 v[38:39], v[195:196], v[38:39]
	v_fma_f64 v[56:57], v[8:9], v[26:27], v[58:59]
	v_fma_f64 v[58:59], v[6:7], v[26:27], -v[28:29]
	scratch_load_b128 v[26:29], off, off offset:592
	ds_load_b128 v[6:9], v1 offset:1456
	v_add_f64 v[34:35], v[34:35], v[60:61]
	v_add_f64 v[48:49], v[48:49], v[52:53]
	v_fma_f64 v[54:55], v[195:196], v[36:37], v[54:55]
	v_fma_f64 v[38:39], v[193:194], v[36:37], -v[38:39]
	s_waitcnt vmcnt(8) lgkmcnt(1)
	v_mul_f64 v[60:61], v[187:188], v[191:192]
	ds_load_b128 v[195:198], v1 offset:1536
	v_add_f64 v[58:59], v[34:35], v[58:59]
	v_add_f64 v[48:49], v[48:49], v[56:57]
	v_mul_f64 v[56:57], v[185:186], v[191:192]
	ds_load_b128 v[191:194], v1 offset:1504
	s_waitcnt vmcnt(7) lgkmcnt(2)
	v_mul_f64 v[52:53], v[6:7], v[20:21]
	v_mul_f64 v[20:21], v[8:9], v[20:21]
	scratch_load_b128 v[34:37], off, off offset:608
	v_add_f64 v[38:39], v[58:59], v[38:39]
	v_add_f64 v[48:49], v[48:49], v[54:55]
	v_fma_f64 v[56:57], v[187:188], v[189:190], v[56:57]
	v_fma_f64 v[58:59], v[185:186], v[189:190], -v[60:61]
	v_fma_f64 v[52:53], v[8:9], v[18:19], v[52:53]
	v_fma_f64 v[62:63], v[6:7], v[18:19], -v[20:21]
	scratch_load_b128 v[18:21], off, off offset:624
	ds_load_b128 v[6:9], v1 offset:1488
	scratch_load_b128 v[185:188], off, off offset:640
	s_waitcnt vmcnt(9) lgkmcnt(0)
	v_mul_f64 v[54:55], v[6:7], v[12:13]
	v_mul_f64 v[12:13], v[8:9], v[12:13]
	v_add_f64 v[48:49], v[48:49], v[52:53]
	v_add_f64 v[38:39], v[38:39], v[62:63]
	s_waitcnt vmcnt(8)
	v_mul_f64 v[52:53], v[191:192], v[42:43]
	v_mul_f64 v[42:43], v[193:194], v[42:43]
	v_fma_f64 v[54:55], v[8:9], v[10:11], v[54:55]
	v_fma_f64 v[60:61], v[6:7], v[10:11], -v[12:13]
	scratch_load_b128 v[10:13], off, off offset:656
	ds_load_b128 v[6:9], v1 offset:1520
	v_add_f64 v[48:49], v[48:49], v[56:57]
	v_add_f64 v[38:39], v[38:39], v[58:59]
	v_fma_f64 v[52:53], v[193:194], v[40:41], v[52:53]
	v_fma_f64 v[42:43], v[191:192], v[40:41], -v[42:43]
	ds_load_b128 v[189:192], v1 offset:1600
	s_waitcnt vmcnt(7) lgkmcnt(1)
	v_mul_f64 v[56:57], v[6:7], v[46:47]
	v_mul_f64 v[46:47], v[8:9], v[46:47]
	v_add_f64 v[48:49], v[48:49], v[54:55]
	v_add_f64 v[58:59], v[38:39], v[60:61]
	v_mul_f64 v[54:55], v[195:196], v[16:17]
	v_mul_f64 v[16:17], v[197:198], v[16:17]
	scratch_load_b128 v[38:41], off, off offset:672
	v_fma_f64 v[56:57], v[8:9], v[44:45], v[56:57]
	v_fma_f64 v[60:61], v[6:7], v[44:45], -v[46:47]
	ds_load_b128 v[6:9], v1 offset:1552
	v_add_f64 v[52:53], v[48:49], v[52:53]
	ds_load_b128 v[46:49], v1 offset:1568
	v_add_f64 v[58:59], v[58:59], v[42:43]
	v_fma_f64 v[54:55], v[197:198], v[14:15], v[54:55]
	v_fma_f64 v[64:65], v[195:196], v[14:15], -v[16:17]
	s_clause 0x1
	scratch_load_b128 v[42:45], off, off offset:688
	scratch_load_b128 v[14:17], off, off offset:704
	s_waitcnt vmcnt(9) lgkmcnt(1)
	v_mul_f64 v[62:63], v[6:7], v[32:33]
	v_mul_f64 v[32:33], v[8:9], v[32:33]
	v_add_f64 v[52:53], v[52:53], v[56:57]
	s_waitcnt vmcnt(8) lgkmcnt(0)
	v_mul_f64 v[56:57], v[46:47], v[24:25]
	v_add_f64 v[58:59], v[58:59], v[60:61]
	v_mul_f64 v[24:25], v[48:49], v[24:25]
	v_fma_f64 v[60:61], v[8:9], v[30:31], v[62:63]
	v_fma_f64 v[62:63], v[6:7], v[30:31], -v[32:33]
	scratch_load_b128 v[30:33], off, off offset:720
	ds_load_b128 v[6:9], v1 offset:1584
	v_add_f64 v[52:53], v[52:53], v[54:55]
	v_fma_f64 v[48:49], v[48:49], v[22:23], v[56:57]
	v_add_f64 v[58:59], v[58:59], v[64:65]
	v_fma_f64 v[46:47], v[46:47], v[22:23], -v[24:25]
	scratch_load_b128 v[22:25], off, off offset:736
	v_add_f64 v[52:53], v[52:53], v[60:61]
	v_add_f64 v[56:57], v[58:59], v[62:63]
	s_waitcnt vmcnt(8)
	v_mul_f64 v[58:59], v[189:190], v[36:37]
	v_mul_f64 v[36:37], v[191:192], v[36:37]
	s_delay_alu instid0(VALU_DEP_4) | instskip(NEXT) | instid1(VALU_DEP_4)
	v_add_f64 v[52:53], v[52:53], v[48:49]
	v_add_f64 v[56:57], v[56:57], v[46:47]
	ds_load_b128 v[46:49], v1 offset:1632
	s_waitcnt lgkmcnt(1)
	v_mul_f64 v[54:55], v[6:7], v[28:29]
	v_mul_f64 v[28:29], v[8:9], v[28:29]
	v_fma_f64 v[58:59], v[191:192], v[34:35], v[58:59]
	v_fma_f64 v[64:65], v[189:190], v[34:35], -v[36:37]
	scratch_load_b128 v[34:37], off, off offset:768
	ds_load_b128 v[191:194], v1 offset:1696
	v_fma_f64 v[54:55], v[8:9], v[26:27], v[54:55]
	v_fma_f64 v[60:61], v[6:7], v[26:27], -v[28:29]
	ds_load_b128 v[6:9], v1 offset:1616
	scratch_load_b128 v[26:29], off, off offset:752
	v_add_f64 v[52:53], v[52:53], v[54:55]
	v_add_f64 v[56:57], v[56:57], v[60:61]
	s_waitcnt vmcnt(8) lgkmcnt(2)
	v_mul_f64 v[54:55], v[46:47], v[187:188]
	v_mul_f64 v[60:61], v[48:49], v[187:188]
	ds_load_b128 v[187:190], v1 offset:1664
	s_waitcnt lgkmcnt(1)
	v_mul_f64 v[62:63], v[6:7], v[20:21]
	v_mul_f64 v[20:21], v[8:9], v[20:21]
	v_add_f64 v[52:53], v[52:53], v[58:59]
	v_add_f64 v[56:57], v[56:57], v[64:65]
	v_fma_f64 v[54:55], v[48:49], v[185:186], v[54:55]
	v_fma_f64 v[60:61], v[46:47], v[185:186], -v[60:61]
	scratch_load_b128 v[46:49], off, off offset:800
	v_fma_f64 v[62:63], v[8:9], v[18:19], v[62:63]
	v_fma_f64 v[66:67], v[6:7], v[18:19], -v[20:21]
	ds_load_b128 v[6:9], v1 offset:1648
	scratch_load_b128 v[18:21], off, off offset:784
	s_waitcnt vmcnt(9) lgkmcnt(0)
	v_mul_f64 v[58:59], v[6:7], v[12:13]
	v_mul_f64 v[12:13], v[8:9], v[12:13]
	v_add_f64 v[52:53], v[52:53], v[62:63]
	v_add_f64 v[56:57], v[56:57], v[66:67]
	s_waitcnt vmcnt(8)
	v_mul_f64 v[62:63], v[187:188], v[40:41]
	v_mul_f64 v[40:41], v[189:190], v[40:41]
	v_fma_f64 v[58:59], v[8:9], v[10:11], v[58:59]
	v_fma_f64 v[64:65], v[6:7], v[10:11], -v[12:13]
	ds_load_b128 v[6:9], v1 offset:1680
	scratch_load_b128 v[10:13], off, off offset:816
	v_add_f64 v[52:53], v[52:53], v[54:55]
	v_add_f64 v[56:57], v[56:57], v[60:61]
	v_fma_f64 v[60:61], v[189:190], v[38:39], v[62:63]
	v_fma_f64 v[62:63], v[187:188], v[38:39], -v[40:41]
	ds_load_b128 v[185:188], v1 offset:1728
	scratch_load_b128 v[38:41], off, off offset:832
	s_waitcnt vmcnt(9) lgkmcnt(1)
	v_mul_f64 v[54:55], v[6:7], v[44:45]
	v_mul_f64 v[44:45], v[8:9], v[44:45]
	v_add_f64 v[52:53], v[52:53], v[58:59]
	v_add_f64 v[56:57], v[56:57], v[64:65]
	s_waitcnt vmcnt(8)
	v_mul_f64 v[58:59], v[191:192], v[16:17]
	v_mul_f64 v[16:17], v[193:194], v[16:17]
	v_fma_f64 v[54:55], v[8:9], v[42:43], v[54:55]
	v_fma_f64 v[64:65], v[6:7], v[42:43], -v[44:45]
	scratch_load_b128 v[42:45], off, off offset:848
	ds_load_b128 v[6:9], v1 offset:1712
	v_add_f64 v[52:53], v[52:53], v[60:61]
	v_add_f64 v[56:57], v[56:57], v[62:63]
	v_fma_f64 v[58:59], v[193:194], v[14:15], v[58:59]
	v_fma_f64 v[62:63], v[191:192], v[14:15], -v[16:17]
	ds_load_b128 v[189:192], v1 offset:1760
	s_waitcnt vmcnt(8) lgkmcnt(1)
	v_mul_f64 v[60:61], v[6:7], v[32:33]
	v_mul_f64 v[32:33], v[8:9], v[32:33]
	scratch_load_b128 v[14:17], off, off offset:864
	v_add_f64 v[52:53], v[52:53], v[54:55]
	v_add_f64 v[56:57], v[56:57], v[64:65]
	s_waitcnt vmcnt(8)
	v_mul_f64 v[54:55], v[185:186], v[24:25]
	v_mul_f64 v[24:25], v[187:188], v[24:25]
	v_fma_f64 v[60:61], v[8:9], v[30:31], v[60:61]
	v_fma_f64 v[64:65], v[6:7], v[30:31], -v[32:33]
	scratch_load_b128 v[30:33], off, off offset:880
	ds_load_b128 v[6:9], v1 offset:1744
	v_add_f64 v[52:53], v[52:53], v[58:59]
	v_add_f64 v[56:57], v[56:57], v[62:63]
	v_fma_f64 v[54:55], v[187:188], v[22:23], v[54:55]
	v_fma_f64 v[62:63], v[185:186], v[22:23], -v[24:25]
	ds_load_b128 v[185:188], v1 offset:1792
	scratch_load_b128 v[22:25], off, off offset:896
	s_waitcnt vmcnt(8) lgkmcnt(1)
	v_mul_f64 v[58:59], v[6:7], v[28:29]
	v_mul_f64 v[28:29], v[8:9], v[28:29]
	v_add_f64 v[52:53], v[52:53], v[60:61]
	v_add_f64 v[56:57], v[56:57], v[64:65]
	v_mul_f64 v[60:61], v[189:190], v[36:37]
	v_mul_f64 v[36:37], v[191:192], v[36:37]
	v_fma_f64 v[58:59], v[8:9], v[26:27], v[58:59]
	v_fma_f64 v[64:65], v[6:7], v[26:27], -v[28:29]
	scratch_load_b128 v[26:29], off, off offset:912
	ds_load_b128 v[6:9], v1 offset:1776
	v_add_f64 v[52:53], v[52:53], v[54:55]
	v_add_f64 v[56:57], v[56:57], v[62:63]
	v_fma_f64 v[60:61], v[191:192], v[34:35], v[60:61]
	v_fma_f64 v[62:63], v[189:190], v[34:35], -v[36:37]
	ds_load_b128 v[189:192], v1 offset:1824
	scratch_load_b128 v[34:37], off, off offset:928
	s_waitcnt vmcnt(8) lgkmcnt(1)
	v_mul_f64 v[54:55], v[6:7], v[20:21]
	v_mul_f64 v[20:21], v[8:9], v[20:21]
	v_add_f64 v[52:53], v[52:53], v[58:59]
	v_add_f64 v[56:57], v[56:57], v[64:65]
	v_mul_f64 v[58:59], v[185:186], v[48:49]
	v_mul_f64 v[48:49], v[187:188], v[48:49]
	v_fma_f64 v[54:55], v[8:9], v[18:19], v[54:55]
	v_fma_f64 v[64:65], v[6:7], v[18:19], -v[20:21]
	scratch_load_b128 v[18:21], off, off offset:944
	ds_load_b128 v[6:9], v1 offset:1808
	v_add_f64 v[52:53], v[52:53], v[60:61]
	v_add_f64 v[56:57], v[56:57], v[62:63]
	v_fma_f64 v[58:59], v[187:188], v[46:47], v[58:59]
	v_fma_f64 v[62:63], v[185:186], v[46:47], -v[48:49]
	ds_load_b128 v[185:188], v1 offset:1856
	s_waitcnt vmcnt(8) lgkmcnt(1)
	v_mul_f64 v[60:61], v[6:7], v[12:13]
	v_mul_f64 v[12:13], v[8:9], v[12:13]
	scratch_load_b128 v[46:49], off, off offset:960
	v_add_f64 v[52:53], v[52:53], v[54:55]
	v_add_f64 v[56:57], v[56:57], v[64:65]
	s_waitcnt vmcnt(8)
	v_mul_f64 v[54:55], v[189:190], v[40:41]
	v_mul_f64 v[40:41], v[191:192], v[40:41]
	v_fma_f64 v[60:61], v[8:9], v[10:11], v[60:61]
	v_fma_f64 v[64:65], v[6:7], v[10:11], -v[12:13]
	scratch_load_b128 v[10:13], off, off offset:976
	ds_load_b128 v[6:9], v1 offset:1840
	v_add_f64 v[52:53], v[52:53], v[58:59]
	v_add_f64 v[56:57], v[56:57], v[62:63]
	s_waitcnt vmcnt(8) lgkmcnt(0)
	v_mul_f64 v[58:59], v[6:7], v[44:45]
	v_mul_f64 v[44:45], v[8:9], v[44:45]
	v_fma_f64 v[54:55], v[191:192], v[38:39], v[54:55]
	v_fma_f64 v[38:39], v[189:190], v[38:39], -v[40:41]
	v_add_f64 v[52:53], v[52:53], v[60:61]
	v_add_f64 v[40:41], v[56:57], v[64:65]
	s_waitcnt vmcnt(7)
	v_mul_f64 v[56:57], v[185:186], v[16:17]
	v_mul_f64 v[16:17], v[187:188], v[16:17]
	v_fma_f64 v[58:59], v[8:9], v[42:43], v[58:59]
	v_fma_f64 v[42:43], v[6:7], v[42:43], -v[44:45]
	v_add_f64 v[52:53], v[52:53], v[54:55]
	v_add_f64 v[44:45], v[40:41], v[38:39]
	ds_load_b128 v[6:9], v1 offset:1872
	ds_load_b128 v[38:41], v1 offset:1888
	v_fma_f64 v[56:57], v[187:188], v[14:15], v[56:57]
	v_fma_f64 v[14:15], v[185:186], v[14:15], -v[16:17]
	s_waitcnt vmcnt(6) lgkmcnt(1)
	v_mul_f64 v[54:55], v[6:7], v[32:33]
	v_mul_f64 v[32:33], v[8:9], v[32:33]
	v_add_f64 v[16:17], v[44:45], v[42:43]
	v_add_f64 v[42:43], v[52:53], v[58:59]
	s_waitcnt vmcnt(5) lgkmcnt(0)
	v_mul_f64 v[44:45], v[38:39], v[24:25]
	v_mul_f64 v[24:25], v[40:41], v[24:25]
	v_fma_f64 v[52:53], v[8:9], v[30:31], v[54:55]
	v_fma_f64 v[30:31], v[6:7], v[30:31], -v[32:33]
	v_add_f64 v[32:33], v[16:17], v[14:15]
	v_add_f64 v[42:43], v[42:43], v[56:57]
	ds_load_b128 v[6:9], v1 offset:1904
	ds_load_b128 v[14:17], v1 offset:1920
	v_fma_f64 v[40:41], v[40:41], v[22:23], v[44:45]
	v_fma_f64 v[22:23], v[38:39], v[22:23], -v[24:25]
	s_waitcnt vmcnt(4) lgkmcnt(1)
	v_mul_f64 v[54:55], v[6:7], v[28:29]
	v_mul_f64 v[28:29], v[8:9], v[28:29]
	v_add_f64 v[24:25], v[32:33], v[30:31]
	v_add_f64 v[30:31], v[42:43], v[52:53]
	s_waitcnt vmcnt(3) lgkmcnt(0)
	v_mul_f64 v[32:33], v[14:15], v[36:37]
	v_mul_f64 v[36:37], v[16:17], v[36:37]
	v_fma_f64 v[38:39], v[8:9], v[26:27], v[54:55]
	v_fma_f64 v[26:27], v[6:7], v[26:27], -v[28:29]
	v_add_f64 v[28:29], v[24:25], v[22:23]
	v_add_f64 v[30:31], v[30:31], v[40:41]
	ds_load_b128 v[6:9], v1 offset:1936
	ds_load_b128 v[22:25], v1 offset:1952
	v_fma_f64 v[16:17], v[16:17], v[34:35], v[32:33]
	v_fma_f64 v[14:15], v[14:15], v[34:35], -v[36:37]
	s_waitcnt vmcnt(2) lgkmcnt(1)
	v_mul_f64 v[40:41], v[6:7], v[20:21]
	v_mul_f64 v[20:21], v[8:9], v[20:21]
	s_waitcnt vmcnt(1) lgkmcnt(0)
	v_mul_f64 v[32:33], v[24:25], v[48:49]
	v_add_f64 v[26:27], v[28:29], v[26:27]
	v_add_f64 v[28:29], v[30:31], v[38:39]
	v_mul_f64 v[30:31], v[22:23], v[48:49]
	v_fma_f64 v[34:35], v[8:9], v[18:19], v[40:41]
	v_fma_f64 v[18:19], v[6:7], v[18:19], -v[20:21]
	ds_load_b128 v[6:9], v1 offset:1968
	v_fma_f64 v[22:23], v[22:23], v[46:47], -v[32:33]
	v_add_f64 v[14:15], v[26:27], v[14:15]
	v_add_f64 v[16:17], v[28:29], v[16:17]
	v_fma_f64 v[24:25], v[24:25], v[46:47], v[30:31]
	s_waitcnt vmcnt(0) lgkmcnt(0)
	v_mul_f64 v[20:21], v[6:7], v[12:13]
	v_mul_f64 v[12:13], v[8:9], v[12:13]
	v_add_f64 v[14:15], v[14:15], v[18:19]
	v_add_f64 v[16:17], v[16:17], v[34:35]
	s_delay_alu instid0(VALU_DEP_4) | instskip(NEXT) | instid1(VALU_DEP_4)
	v_fma_f64 v[8:9], v[8:9], v[10:11], v[20:21]
	v_fma_f64 v[6:7], v[6:7], v[10:11], -v[12:13]
	s_delay_alu instid0(VALU_DEP_4) | instskip(NEXT) | instid1(VALU_DEP_4)
	v_add_f64 v[10:11], v[14:15], v[22:23]
	v_add_f64 v[12:13], v[16:17], v[24:25]
	s_delay_alu instid0(VALU_DEP_2) | instskip(NEXT) | instid1(VALU_DEP_2)
	v_add_f64 v[6:7], v[10:11], v[6:7]
	v_add_f64 v[8:9], v[12:13], v[8:9]
	s_delay_alu instid0(VALU_DEP_2) | instskip(NEXT) | instid1(VALU_DEP_2)
	v_add_f64 v[2:3], v[2:3], -v[6:7]
	v_add_f64 v[4:5], v[4:5], -v[8:9]
	scratch_store_b128 off, v[2:5], off offset:32
	v_cmpx_lt_u32_e32 1, v174
	s_cbranch_execz .LBB125_395
; %bb.394:
	scratch_load_b128 v[5:8], v210, off
	v_mov_b32_e32 v2, v1
	v_mov_b32_e32 v3, v1
	;; [unrolled: 1-line block ×3, first 2 shown]
	scratch_store_b128 off, v[1:4], off offset:16
	s_waitcnt vmcnt(0)
	ds_store_b128 v255, v[5:8]
.LBB125_395:
	s_or_b32 exec_lo, exec_lo, s2
	s_waitcnt lgkmcnt(0)
	s_waitcnt_vscnt null, 0x0
	s_barrier
	buffer_gl0_inv
	s_clause 0x8
	scratch_load_b128 v[34:37], off, off offset:32
	scratch_load_b128 v[38:41], off, off offset:48
	;; [unrolled: 1-line block ×9, first 2 shown]
	ds_load_b128 v[46:49], v1 offset:1024
	ds_load_b128 v[42:45], v1 offset:1040
	s_clause 0x1
	scratch_load_b128 v[2:5], off, off offset:16
	scratch_load_b128 v[185:188], off, off offset:176
	s_mov_b32 s2, exec_lo
	ds_load_b128 v[189:192], v1 offset:1072
	ds_load_b128 v[195:198], v1 offset:1232
	s_waitcnt vmcnt(10) lgkmcnt(3)
	v_mul_f64 v[52:53], v[48:49], v[36:37]
	v_mul_f64 v[36:37], v[46:47], v[36:37]
	s_waitcnt vmcnt(9) lgkmcnt(2)
	v_mul_f64 v[54:55], v[42:43], v[40:41]
	v_mul_f64 v[40:41], v[44:45], v[40:41]
	s_waitcnt vmcnt(7) lgkmcnt(1)
	v_mul_f64 v[60:61], v[191:192], v[28:29]
	v_fma_f64 v[52:53], v[46:47], v[34:35], -v[52:53]
	v_fma_f64 v[56:57], v[48:49], v[34:35], v[36:37]
	ds_load_b128 v[34:37], v1 offset:1056
	scratch_load_b128 v[46:49], off, off offset:192
	v_fma_f64 v[44:45], v[44:45], v[38:39], v[54:55]
	v_fma_f64 v[42:43], v[42:43], v[38:39], -v[40:41]
	scratch_load_b128 v[38:41], off, off offset:208
	v_fma_f64 v[60:61], v[189:190], v[26:27], -v[60:61]
	s_waitcnt lgkmcnt(0)
	v_mul_f64 v[58:59], v[34:35], v[32:33]
	v_mul_f64 v[32:33], v[36:37], v[32:33]
	v_add_f64 v[52:53], v[52:53], 0
	v_add_f64 v[54:55], v[56:57], 0
	v_mul_f64 v[56:57], v[189:190], v[28:29]
	v_fma_f64 v[36:37], v[36:37], v[30:31], v[58:59]
	v_fma_f64 v[58:59], v[34:35], v[30:31], -v[32:33]
	ds_load_b128 v[28:31], v1 offset:1088
	scratch_load_b128 v[32:35], off, off offset:224
	v_add_f64 v[52:53], v[52:53], v[42:43]
	v_add_f64 v[54:55], v[54:55], v[44:45]
	ds_load_b128 v[42:45], v1 offset:1104
	v_fma_f64 v[56:57], v[191:192], v[26:27], v[56:57]
	ds_load_b128 v[189:192], v1 offset:1136
	s_waitcnt vmcnt(9) lgkmcnt(2)
	v_mul_f64 v[62:63], v[28:29], v[24:25]
	v_mul_f64 v[64:65], v[30:31], v[24:25]
	scratch_load_b128 v[24:27], off, off offset:240
	v_add_f64 v[52:53], v[52:53], v[58:59]
	v_add_f64 v[36:37], v[54:55], v[36:37]
	s_waitcnt vmcnt(9) lgkmcnt(1)
	v_mul_f64 v[54:55], v[42:43], v[20:21]
	v_mul_f64 v[58:59], v[44:45], v[20:21]
	v_fma_f64 v[62:63], v[30:31], v[22:23], v[62:63]
	v_fma_f64 v[64:65], v[28:29], v[22:23], -v[64:65]
	ds_load_b128 v[20:23], v1 offset:1120
	scratch_load_b128 v[28:31], off, off offset:256
	v_add_f64 v[52:53], v[52:53], v[60:61]
	v_add_f64 v[36:37], v[36:37], v[56:57]
	s_waitcnt vmcnt(9) lgkmcnt(0)
	v_mul_f64 v[56:57], v[20:21], v[16:17]
	v_mul_f64 v[60:61], v[22:23], v[16:17]
	v_fma_f64 v[44:45], v[44:45], v[18:19], v[54:55]
	v_fma_f64 v[42:43], v[42:43], v[18:19], -v[58:59]
	scratch_load_b128 v[16:19], off, off offset:272
	s_waitcnt vmcnt(9)
	v_mul_f64 v[54:55], v[189:190], v[12:13]
	v_mul_f64 v[58:59], v[191:192], v[12:13]
	v_add_f64 v[52:53], v[52:53], v[64:65]
	v_add_f64 v[36:37], v[36:37], v[62:63]
	v_fma_f64 v[56:57], v[22:23], v[14:15], v[56:57]
	v_fma_f64 v[60:61], v[20:21], v[14:15], -v[60:61]
	ds_load_b128 v[12:15], v1 offset:1152
	scratch_load_b128 v[20:23], off, off offset:288
	v_fma_f64 v[54:55], v[191:192], v[10:11], v[54:55]
	v_fma_f64 v[58:59], v[189:190], v[10:11], -v[58:59]
	ds_load_b128 v[191:194], v1 offset:1200
	v_add_f64 v[52:53], v[52:53], v[42:43]
	v_add_f64 v[36:37], v[36:37], v[44:45]
	ds_load_b128 v[42:45], v1 offset:1168
	s_waitcnt vmcnt(9) lgkmcnt(2)
	v_mul_f64 v[62:63], v[12:13], v[8:9]
	v_mul_f64 v[64:65], v[14:15], v[8:9]
	scratch_load_b128 v[8:11], off, off offset:304
	v_add_f64 v[52:53], v[52:53], v[60:61]
	v_add_f64 v[36:37], v[36:37], v[56:57]
	s_waitcnt vmcnt(8) lgkmcnt(0)
	v_mul_f64 v[56:57], v[42:43], v[187:188]
	v_mul_f64 v[60:61], v[44:45], v[187:188]
	v_fma_f64 v[62:63], v[14:15], v[6:7], v[62:63]
	v_fma_f64 v[6:7], v[12:13], v[6:7], -v[64:65]
	ds_load_b128 v[12:15], v1 offset:1184
	scratch_load_b128 v[187:190], off, off offset:320
	v_add_f64 v[52:53], v[52:53], v[58:59]
	v_add_f64 v[36:37], v[36:37], v[54:55]
	v_fma_f64 v[56:57], v[44:45], v[185:186], v[56:57]
	v_fma_f64 v[58:59], v[42:43], v[185:186], -v[60:61]
	scratch_load_b128 v[42:45], off, off offset:336
	s_waitcnt vmcnt(9) lgkmcnt(0)
	v_mul_f64 v[54:55], v[12:13], v[48:49]
	v_mul_f64 v[48:49], v[14:15], v[48:49]
	v_add_f64 v[6:7], v[52:53], v[6:7]
	v_add_f64 v[36:37], v[36:37], v[62:63]
	s_waitcnt vmcnt(8)
	v_mul_f64 v[52:53], v[191:192], v[40:41]
	v_mul_f64 v[40:41], v[193:194], v[40:41]
	v_fma_f64 v[54:55], v[14:15], v[46:47], v[54:55]
	v_fma_f64 v[60:61], v[12:13], v[46:47], -v[48:49]
	ds_load_b128 v[12:15], v1 offset:1216
	scratch_load_b128 v[46:49], off, off offset:352
	v_add_f64 v[6:7], v[6:7], v[58:59]
	v_add_f64 v[36:37], v[36:37], v[56:57]
	v_fma_f64 v[52:53], v[193:194], v[38:39], v[52:53]
	s_waitcnt vmcnt(8) lgkmcnt(0)
	v_mul_f64 v[56:57], v[12:13], v[34:35]
	v_mul_f64 v[58:59], v[14:15], v[34:35]
	v_fma_f64 v[38:39], v[191:192], v[38:39], -v[40:41]
	ds_load_b128 v[191:194], v1 offset:1264
	v_add_f64 v[6:7], v[6:7], v[60:61]
	v_add_f64 v[40:41], v[36:37], v[54:55]
	scratch_load_b128 v[34:37], off, off offset:368
	s_waitcnt vmcnt(8)
	v_mul_f64 v[54:55], v[195:196], v[26:27]
	v_mul_f64 v[26:27], v[197:198], v[26:27]
	v_fma_f64 v[56:57], v[14:15], v[32:33], v[56:57]
	v_fma_f64 v[32:33], v[12:13], v[32:33], -v[58:59]
	ds_load_b128 v[12:15], v1 offset:1248
	s_waitcnt vmcnt(7) lgkmcnt(0)
	v_mul_f64 v[58:59], v[12:13], v[30:31]
	v_mul_f64 v[30:31], v[14:15], v[30:31]
	v_add_f64 v[6:7], v[6:7], v[38:39]
	v_add_f64 v[52:53], v[40:41], v[52:53]
	scratch_load_b128 v[38:41], off, off offset:384
	v_fma_f64 v[54:55], v[197:198], v[24:25], v[54:55]
	v_fma_f64 v[60:61], v[195:196], v[24:25], -v[26:27]
	scratch_load_b128 v[24:27], off, off offset:400
	ds_load_b128 v[195:198], v1 offset:1296
	v_add_f64 v[6:7], v[6:7], v[32:33]
	v_add_f64 v[32:33], v[52:53], v[56:57]
	s_waitcnt vmcnt(8)
	v_mul_f64 v[52:53], v[191:192], v[18:19]
	v_mul_f64 v[18:19], v[193:194], v[18:19]
	v_fma_f64 v[56:57], v[14:15], v[28:29], v[58:59]
	v_fma_f64 v[58:59], v[12:13], v[28:29], -v[30:31]
	ds_load_b128 v[12:15], v1 offset:1280
	scratch_load_b128 v[28:31], off, off offset:416
	v_add_f64 v[6:7], v[6:7], v[60:61]
	v_add_f64 v[32:33], v[32:33], v[54:55]
	s_waitcnt vmcnt(8) lgkmcnt(0)
	v_mul_f64 v[54:55], v[12:13], v[22:23]
	v_mul_f64 v[22:23], v[14:15], v[22:23]
	v_fma_f64 v[52:53], v[193:194], v[16:17], v[52:53]
	v_fma_f64 v[60:61], v[191:192], v[16:17], -v[18:19]
	scratch_load_b128 v[16:19], off, off offset:432
	ds_load_b128 v[191:194], v1 offset:1328
	v_add_f64 v[6:7], v[6:7], v[58:59]
	v_add_f64 v[32:33], v[32:33], v[56:57]
	s_waitcnt vmcnt(8)
	v_mul_f64 v[56:57], v[195:196], v[10:11]
	v_mul_f64 v[58:59], v[197:198], v[10:11]
	v_fma_f64 v[14:15], v[14:15], v[20:21], v[54:55]
	v_fma_f64 v[54:55], v[12:13], v[20:21], -v[22:23]
	ds_load_b128 v[10:13], v1 offset:1312
	scratch_load_b128 v[20:23], off, off offset:448
	v_add_f64 v[6:7], v[6:7], v[60:61]
	v_add_f64 v[32:33], v[32:33], v[52:53]
	s_waitcnt vmcnt(8) lgkmcnt(0)
	v_mul_f64 v[52:53], v[10:11], v[189:190]
	v_mul_f64 v[60:61], v[12:13], v[189:190]
	v_fma_f64 v[56:57], v[197:198], v[8:9], v[56:57]
	v_fma_f64 v[58:59], v[195:196], v[8:9], -v[58:59]
	ds_load_b128 v[195:198], v1 offset:1360
	v_add_f64 v[54:55], v[6:7], v[54:55]
	scratch_load_b128 v[6:9], off, off offset:464
	v_add_f64 v[14:15], v[32:33], v[14:15]
	s_waitcnt vmcnt(8)
	v_mul_f64 v[32:33], v[191:192], v[44:45]
	v_mul_f64 v[44:45], v[193:194], v[44:45]
	v_fma_f64 v[52:53], v[12:13], v[187:188], v[52:53]
	v_fma_f64 v[60:61], v[10:11], v[187:188], -v[60:61]
	ds_load_b128 v[10:13], v1 offset:1344
	scratch_load_b128 v[185:188], off, off offset:480
	v_add_f64 v[54:55], v[54:55], v[58:59]
	v_add_f64 v[14:15], v[14:15], v[56:57]
	s_waitcnt vmcnt(8) lgkmcnt(0)
	v_mul_f64 v[56:57], v[10:11], v[48:49]
	v_mul_f64 v[48:49], v[12:13], v[48:49]
	v_fma_f64 v[32:33], v[193:194], v[42:43], v[32:33]
	v_fma_f64 v[58:59], v[191:192], v[42:43], -v[44:45]
	scratch_load_b128 v[42:45], off, off offset:496
	ds_load_b128 v[189:192], v1 offset:1392
	v_add_f64 v[54:55], v[54:55], v[60:61]
	v_add_f64 v[14:15], v[14:15], v[52:53]
	v_fma_f64 v[56:57], v[12:13], v[46:47], v[56:57]
	v_fma_f64 v[60:61], v[10:11], v[46:47], -v[48:49]
	ds_load_b128 v[10:13], v1 offset:1376
	scratch_load_b128 v[46:49], off, off offset:512
	s_waitcnt vmcnt(9)
	v_mul_f64 v[52:53], v[195:196], v[36:37]
	v_mul_f64 v[36:37], v[197:198], v[36:37]
	v_add_f64 v[54:55], v[54:55], v[58:59]
	v_add_f64 v[14:15], v[14:15], v[32:33]
	s_waitcnt vmcnt(8) lgkmcnt(0)
	v_mul_f64 v[58:59], v[10:11], v[40:41]
	v_mul_f64 v[40:41], v[12:13], v[40:41]
	v_fma_f64 v[52:53], v[197:198], v[34:35], v[52:53]
	v_fma_f64 v[36:37], v[195:196], v[34:35], -v[36:37]
	scratch_load_b128 v[32:35], off, off offset:528
	ds_load_b128 v[193:196], v1 offset:1424
	ds_load_b128 v[197:200], v1 offset:1520
	v_add_f64 v[54:55], v[54:55], v[60:61]
	v_add_f64 v[14:15], v[14:15], v[56:57]
	s_waitcnt vmcnt(8)
	v_mul_f64 v[56:57], v[189:190], v[26:27]
	v_mul_f64 v[26:27], v[191:192], v[26:27]
	v_fma_f64 v[58:59], v[12:13], v[38:39], v[58:59]
	v_fma_f64 v[40:41], v[10:11], v[38:39], -v[40:41]
	ds_load_b128 v[10:13], v1 offset:1408
	v_add_f64 v[54:55], v[54:55], v[36:37]
	scratch_load_b128 v[36:39], off, off offset:544
	v_add_f64 v[14:15], v[14:15], v[52:53]
	s_waitcnt vmcnt(8) lgkmcnt(0)
	v_mul_f64 v[52:53], v[10:11], v[30:31]
	v_mul_f64 v[30:31], v[12:13], v[30:31]
	v_fma_f64 v[56:57], v[191:192], v[24:25], v[56:57]
	v_fma_f64 v[60:61], v[189:190], v[24:25], -v[26:27]
	scratch_load_b128 v[24:27], off, off offset:560
	ds_load_b128 v[189:192], v1 offset:1456
	v_add_f64 v[40:41], v[54:55], v[40:41]
	s_waitcnt vmcnt(8)
	v_mul_f64 v[54:55], v[193:194], v[18:19]
	v_add_f64 v[14:15], v[14:15], v[58:59]
	v_mul_f64 v[18:19], v[195:196], v[18:19]
	v_fma_f64 v[52:53], v[12:13], v[28:29], v[52:53]
	v_fma_f64 v[58:59], v[10:11], v[28:29], -v[30:31]
	ds_load_b128 v[10:13], v1 offset:1440
	scratch_load_b128 v[28:31], off, off offset:576
	v_add_f64 v[40:41], v[40:41], v[60:61]
	v_fma_f64 v[54:55], v[195:196], v[16:17], v[54:55]
	v_add_f64 v[14:15], v[14:15], v[56:57]
	s_waitcnt vmcnt(8) lgkmcnt(0)
	v_mul_f64 v[56:57], v[10:11], v[22:23]
	v_mul_f64 v[22:23], v[12:13], v[22:23]
	v_fma_f64 v[18:19], v[193:194], v[16:17], -v[18:19]
	ds_load_b128 v[193:196], v1 offset:1488
	v_add_f64 v[40:41], v[40:41], v[58:59]
	v_add_f64 v[52:53], v[14:15], v[52:53]
	scratch_load_b128 v[14:17], off, off offset:592
	v_fma_f64 v[12:13], v[12:13], v[20:21], v[56:57]
	v_fma_f64 v[22:23], v[10:11], v[20:21], -v[22:23]
	s_waitcnt vmcnt(8)
	v_mul_f64 v[58:59], v[189:190], v[8:9]
	v_mul_f64 v[60:61], v[191:192], v[8:9]
	ds_load_b128 v[8:11], v1 offset:1472
	v_add_f64 v[40:41], v[40:41], v[18:19]
	scratch_load_b128 v[18:21], off, off offset:608
	v_add_f64 v[52:53], v[52:53], v[54:55]
	s_waitcnt vmcnt(8) lgkmcnt(0)
	v_mul_f64 v[54:55], v[8:9], v[187:188]
	v_mul_f64 v[56:57], v[10:11], v[187:188]
	v_fma_f64 v[58:59], v[191:192], v[6:7], v[58:59]
	v_fma_f64 v[6:7], v[189:190], v[6:7], -v[60:61]
	scratch_load_b128 v[187:190], off, off offset:624
	v_add_f64 v[22:23], v[40:41], v[22:23]
	s_waitcnt vmcnt(8)
	v_mul_f64 v[40:41], v[193:194], v[44:45]
	v_add_f64 v[12:13], v[52:53], v[12:13]
	v_mul_f64 v[44:45], v[195:196], v[44:45]
	v_fma_f64 v[52:53], v[10:11], v[185:186], v[54:55]
	v_fma_f64 v[54:55], v[8:9], v[185:186], -v[56:57]
	v_add_f64 v[22:23], v[22:23], v[6:7]
	ds_load_b128 v[6:9], v1 offset:1504
	v_add_f64 v[56:57], v[12:13], v[58:59]
	scratch_load_b128 v[10:13], off, off offset:640
	v_fma_f64 v[60:61], v[195:196], v[42:43], v[40:41]
	v_fma_f64 v[44:45], v[193:194], v[42:43], -v[44:45]
	scratch_load_b128 v[40:43], off, off offset:656
	ds_load_b128 v[191:194], v1 offset:1552
	s_waitcnt vmcnt(9) lgkmcnt(1)
	v_mul_f64 v[58:59], v[6:7], v[48:49]
	v_mul_f64 v[48:49], v[8:9], v[48:49]
	v_add_f64 v[22:23], v[22:23], v[54:55]
	s_waitcnt vmcnt(8)
	v_mul_f64 v[54:55], v[197:198], v[34:35]
	v_add_f64 v[52:53], v[56:57], v[52:53]
	v_mul_f64 v[34:35], v[199:200], v[34:35]
	v_fma_f64 v[56:57], v[8:9], v[46:47], v[58:59]
	v_fma_f64 v[48:49], v[6:7], v[46:47], -v[48:49]
	ds_load_b128 v[6:9], v1 offset:1536
	v_add_f64 v[22:23], v[22:23], v[44:45]
	scratch_load_b128 v[44:47], off, off offset:672
	v_add_f64 v[52:53], v[52:53], v[60:61]
	v_fma_f64 v[54:55], v[199:200], v[32:33], v[54:55]
	v_fma_f64 v[60:61], v[197:198], v[32:33], -v[34:35]
	scratch_load_b128 v[32:35], off, off offset:688
	ds_load_b128 v[195:198], v1 offset:1584
	s_waitcnt vmcnt(9) lgkmcnt(1)
	v_mul_f64 v[58:59], v[6:7], v[38:39]
	v_mul_f64 v[38:39], v[8:9], v[38:39]
	v_add_f64 v[22:23], v[22:23], v[48:49]
	v_add_f64 v[48:49], v[52:53], v[56:57]
	s_waitcnt vmcnt(8)
	v_mul_f64 v[52:53], v[191:192], v[26:27]
	v_mul_f64 v[26:27], v[193:194], v[26:27]
	v_fma_f64 v[56:57], v[8:9], v[36:37], v[58:59]
	v_fma_f64 v[58:59], v[6:7], v[36:37], -v[38:39]
	ds_load_b128 v[6:9], v1 offset:1568
	scratch_load_b128 v[36:39], off, off offset:704
	v_add_f64 v[22:23], v[22:23], v[60:61]
	v_add_f64 v[48:49], v[48:49], v[54:55]
	s_waitcnt vmcnt(8) lgkmcnt(0)
	v_mul_f64 v[54:55], v[6:7], v[30:31]
	v_mul_f64 v[30:31], v[8:9], v[30:31]
	v_fma_f64 v[52:53], v[193:194], v[24:25], v[52:53]
	v_fma_f64 v[26:27], v[191:192], v[24:25], -v[26:27]
	ds_load_b128 v[191:194], v1 offset:1616
	v_add_f64 v[58:59], v[22:23], v[58:59]
	scratch_load_b128 v[22:25], off, off offset:720
	v_add_f64 v[48:49], v[48:49], v[56:57]
	v_fma_f64 v[54:55], v[8:9], v[28:29], v[54:55]
	v_fma_f64 v[30:31], v[6:7], v[28:29], -v[30:31]
	ds_load_b128 v[6:9], v1 offset:1600
	s_waitcnt vmcnt(8)
	v_mul_f64 v[56:57], v[195:196], v[16:17]
	v_mul_f64 v[16:17], v[197:198], v[16:17]
	v_add_f64 v[58:59], v[58:59], v[26:27]
	scratch_load_b128 v[26:29], off, off offset:736
	v_add_f64 v[48:49], v[48:49], v[52:53]
	s_waitcnt vmcnt(8) lgkmcnt(0)
	v_mul_f64 v[52:53], v[6:7], v[20:21]
	v_mul_f64 v[20:21], v[8:9], v[20:21]
	v_fma_f64 v[56:57], v[197:198], v[14:15], v[56:57]
	v_fma_f64 v[60:61], v[195:196], v[14:15], -v[16:17]
	scratch_load_b128 v[14:17], off, off offset:752
	ds_load_b128 v[195:198], v1 offset:1648
	v_add_f64 v[30:31], v[58:59], v[30:31]
	s_waitcnt vmcnt(8)
	v_mul_f64 v[58:59], v[193:194], v[189:190]
	v_add_f64 v[48:49], v[48:49], v[54:55]
	v_mul_f64 v[54:55], v[191:192], v[189:190]
	v_fma_f64 v[52:53], v[8:9], v[18:19], v[52:53]
	v_fma_f64 v[62:63], v[6:7], v[18:19], -v[20:21]
	ds_load_b128 v[6:9], v1 offset:1632
	scratch_load_b128 v[18:21], off, off offset:768
	v_add_f64 v[30:31], v[30:31], v[60:61]
	v_fma_f64 v[58:59], v[191:192], v[187:188], -v[58:59]
	v_add_f64 v[48:49], v[48:49], v[56:57]
	v_fma_f64 v[54:55], v[193:194], v[187:188], v[54:55]
	scratch_load_b128 v[185:188], off, off offset:784
	ds_load_b128 v[189:192], v1 offset:1680
	s_waitcnt vmcnt(9) lgkmcnt(1)
	v_mul_f64 v[56:57], v[6:7], v[12:13]
	v_mul_f64 v[12:13], v[8:9], v[12:13]
	v_add_f64 v[30:31], v[30:31], v[62:63]
	v_add_f64 v[48:49], v[48:49], v[52:53]
	s_waitcnt vmcnt(8)
	v_mul_f64 v[52:53], v[195:196], v[42:43]
	v_mul_f64 v[42:43], v[197:198], v[42:43]
	v_fma_f64 v[56:57], v[8:9], v[10:11], v[56:57]
	v_fma_f64 v[60:61], v[6:7], v[10:11], -v[12:13]
	ds_load_b128 v[6:9], v1 offset:1664
	scratch_load_b128 v[10:13], off, off offset:800
	v_add_f64 v[30:31], v[30:31], v[58:59]
	v_add_f64 v[48:49], v[48:49], v[54:55]
	v_fma_f64 v[52:53], v[197:198], v[40:41], v[52:53]
	v_fma_f64 v[58:59], v[195:196], v[40:41], -v[42:43]
	scratch_load_b128 v[40:43], off, off offset:816
	ds_load_b128 v[193:196], v1 offset:1712
	s_waitcnt vmcnt(9) lgkmcnt(1)
	v_mul_f64 v[54:55], v[6:7], v[46:47]
	v_mul_f64 v[46:47], v[8:9], v[46:47]
	v_add_f64 v[30:31], v[30:31], v[60:61]
	v_add_f64 v[48:49], v[48:49], v[56:57]
	s_waitcnt vmcnt(8)
	v_mul_f64 v[56:57], v[189:190], v[34:35]
	v_mul_f64 v[34:35], v[191:192], v[34:35]
	v_fma_f64 v[54:55], v[8:9], v[44:45], v[54:55]
	v_fma_f64 v[60:61], v[6:7], v[44:45], -v[46:47]
	ds_load_b128 v[6:9], v1 offset:1696
	scratch_load_b128 v[44:47], off, off offset:832
	v_add_f64 v[30:31], v[30:31], v[58:59]
	v_add_f64 v[48:49], v[48:49], v[52:53]
	s_waitcnt vmcnt(8) lgkmcnt(0)
	v_mul_f64 v[52:53], v[6:7], v[38:39]
	v_mul_f64 v[38:39], v[8:9], v[38:39]
	v_fma_f64 v[56:57], v[191:192], v[32:33], v[56:57]
	v_fma_f64 v[34:35], v[189:190], v[32:33], -v[34:35]
	ds_load_b128 v[189:192], v1 offset:1744
	v_add_f64 v[58:59], v[30:31], v[60:61]
	scratch_load_b128 v[30:33], off, off offset:848
	v_add_f64 v[48:49], v[48:49], v[54:55]
	v_fma_f64 v[52:53], v[8:9], v[36:37], v[52:53]
	v_fma_f64 v[38:39], v[6:7], v[36:37], -v[38:39]
	ds_load_b128 v[6:9], v1 offset:1728
	s_waitcnt vmcnt(8)
	v_mul_f64 v[54:55], v[193:194], v[24:25]
	v_mul_f64 v[24:25], v[195:196], v[24:25]
	v_add_f64 v[58:59], v[58:59], v[34:35]
	scratch_load_b128 v[34:37], off, off offset:864
	v_add_f64 v[48:49], v[48:49], v[56:57]
	s_waitcnt vmcnt(8) lgkmcnt(0)
	v_mul_f64 v[56:57], v[6:7], v[28:29]
	v_mul_f64 v[28:29], v[8:9], v[28:29]
	v_fma_f64 v[54:55], v[195:196], v[22:23], v[54:55]
	v_fma_f64 v[60:61], v[193:194], v[22:23], -v[24:25]
	scratch_load_b128 v[22:25], off, off offset:880
	ds_load_b128 v[193:196], v1 offset:1776
	v_add_f64 v[38:39], v[58:59], v[38:39]
	v_add_f64 v[48:49], v[48:49], v[52:53]
	s_waitcnt vmcnt(8)
	v_mul_f64 v[52:53], v[189:190], v[16:17]
	v_mul_f64 v[16:17], v[191:192], v[16:17]
	v_fma_f64 v[56:57], v[8:9], v[26:27], v[56:57]
	v_fma_f64 v[58:59], v[6:7], v[26:27], -v[28:29]
	ds_load_b128 v[6:9], v1 offset:1760
	scratch_load_b128 v[26:29], off, off offset:896
	v_add_f64 v[38:39], v[38:39], v[60:61]
	v_add_f64 v[48:49], v[48:49], v[54:55]
	s_waitcnt vmcnt(8) lgkmcnt(0)
	v_mul_f64 v[54:55], v[6:7], v[20:21]
	v_mul_f64 v[20:21], v[8:9], v[20:21]
	v_fma_f64 v[52:53], v[191:192], v[14:15], v[52:53]
	v_fma_f64 v[60:61], v[189:190], v[14:15], -v[16:17]
	scratch_load_b128 v[14:17], off, off offset:912
	v_add_f64 v[38:39], v[38:39], v[58:59]
	s_waitcnt vmcnt(8)
	v_mul_f64 v[58:59], v[195:196], v[187:188]
	v_add_f64 v[48:49], v[48:49], v[56:57]
	v_mul_f64 v[56:57], v[193:194], v[187:188]
	v_fma_f64 v[54:55], v[8:9], v[18:19], v[54:55]
	v_fma_f64 v[62:63], v[6:7], v[18:19], -v[20:21]
	ds_load_b128 v[6:9], v1 offset:1792
	ds_load_b128 v[187:190], v1 offset:1808
	scratch_load_b128 v[18:21], off, off offset:928
	v_add_f64 v[38:39], v[38:39], v[60:61]
	v_fma_f64 v[58:59], v[193:194], v[185:186], -v[58:59]
	scratch_load_b128 v[191:194], off, off offset:944
	v_add_f64 v[48:49], v[48:49], v[52:53]
	s_waitcnt vmcnt(9) lgkmcnt(1)
	v_mul_f64 v[52:53], v[6:7], v[12:13]
	v_mul_f64 v[12:13], v[8:9], v[12:13]
	v_fma_f64 v[56:57], v[195:196], v[185:186], v[56:57]
	ds_load_b128 v[195:198], v1 offset:1840
	v_add_f64 v[38:39], v[38:39], v[62:63]
	v_add_f64 v[48:49], v[48:49], v[54:55]
	s_waitcnt vmcnt(8) lgkmcnt(1)
	v_mul_f64 v[54:55], v[187:188], v[42:43]
	v_mul_f64 v[42:43], v[189:190], v[42:43]
	v_fma_f64 v[52:53], v[8:9], v[10:11], v[52:53]
	v_fma_f64 v[60:61], v[6:7], v[10:11], -v[12:13]
	ds_load_b128 v[6:9], v1 offset:1824
	scratch_load_b128 v[10:13], off, off offset:960
	v_add_f64 v[38:39], v[38:39], v[58:59]
	v_add_f64 v[48:49], v[48:49], v[56:57]
	s_waitcnt vmcnt(8) lgkmcnt(0)
	v_mul_f64 v[56:57], v[6:7], v[46:47]
	v_mul_f64 v[46:47], v[8:9], v[46:47]
	v_fma_f64 v[54:55], v[189:190], v[40:41], v[54:55]
	v_fma_f64 v[42:43], v[187:188], v[40:41], -v[42:43]
	v_add_f64 v[58:59], v[38:39], v[60:61]
	scratch_load_b128 v[38:41], off, off offset:976
	v_add_f64 v[48:49], v[48:49], v[52:53]
	v_fma_f64 v[56:57], v[8:9], v[44:45], v[56:57]
	v_fma_f64 v[46:47], v[6:7], v[44:45], -v[46:47]
	s_waitcnt vmcnt(8)
	v_mul_f64 v[52:53], v[195:196], v[32:33]
	v_mul_f64 v[32:33], v[197:198], v[32:33]
	v_add_f64 v[58:59], v[58:59], v[42:43]
	ds_load_b128 v[6:9], v1 offset:1856
	ds_load_b128 v[42:45], v1 offset:1872
	v_add_f64 v[48:49], v[48:49], v[54:55]
	v_fma_f64 v[52:53], v[197:198], v[30:31], v[52:53]
	v_fma_f64 v[30:31], v[195:196], v[30:31], -v[32:33]
	s_waitcnt vmcnt(7) lgkmcnt(1)
	v_mul_f64 v[54:55], v[6:7], v[36:37]
	v_mul_f64 v[36:37], v[8:9], v[36:37]
	v_add_f64 v[32:33], v[58:59], v[46:47]
	v_add_f64 v[46:47], v[48:49], v[56:57]
	s_waitcnt vmcnt(6) lgkmcnt(0)
	v_mul_f64 v[48:49], v[42:43], v[24:25]
	v_mul_f64 v[24:25], v[44:45], v[24:25]
	v_fma_f64 v[54:55], v[8:9], v[34:35], v[54:55]
	v_fma_f64 v[34:35], v[6:7], v[34:35], -v[36:37]
	v_add_f64 v[36:37], v[32:33], v[30:31]
	ds_load_b128 v[6:9], v1 offset:1888
	ds_load_b128 v[30:33], v1 offset:1904
	v_add_f64 v[46:47], v[46:47], v[52:53]
	v_fma_f64 v[44:45], v[44:45], v[22:23], v[48:49]
	v_fma_f64 v[22:23], v[42:43], v[22:23], -v[24:25]
	s_waitcnt vmcnt(5) lgkmcnt(1)
	v_mul_f64 v[52:53], v[6:7], v[28:29]
	v_mul_f64 v[28:29], v[8:9], v[28:29]
	v_add_f64 v[24:25], v[36:37], v[34:35]
	s_waitcnt vmcnt(4) lgkmcnt(0)
	v_mul_f64 v[36:37], v[30:31], v[16:17]
	v_mul_f64 v[16:17], v[32:33], v[16:17]
	v_add_f64 v[34:35], v[46:47], v[54:55]
	v_fma_f64 v[42:43], v[8:9], v[26:27], v[52:53]
	v_fma_f64 v[26:27], v[6:7], v[26:27], -v[28:29]
	v_add_f64 v[28:29], v[24:25], v[22:23]
	ds_load_b128 v[6:9], v1 offset:1920
	ds_load_b128 v[22:25], v1 offset:1936
	v_fma_f64 v[32:33], v[32:33], v[14:15], v[36:37]
	v_add_f64 v[34:35], v[34:35], v[44:45]
	v_fma_f64 v[14:15], v[30:31], v[14:15], -v[16:17]
	s_waitcnt vmcnt(3) lgkmcnt(1)
	v_mul_f64 v[44:45], v[6:7], v[20:21]
	v_mul_f64 v[20:21], v[8:9], v[20:21]
	s_waitcnt vmcnt(2) lgkmcnt(0)
	v_mul_f64 v[30:31], v[24:25], v[193:194]
	v_add_f64 v[16:17], v[28:29], v[26:27]
	v_mul_f64 v[28:29], v[22:23], v[193:194]
	v_add_f64 v[26:27], v[34:35], v[42:43]
	v_fma_f64 v[34:35], v[8:9], v[18:19], v[44:45]
	v_fma_f64 v[18:19], v[6:7], v[18:19], -v[20:21]
	v_fma_f64 v[22:23], v[22:23], v[191:192], -v[30:31]
	v_add_f64 v[20:21], v[16:17], v[14:15]
	ds_load_b128 v[6:9], v1 offset:1952
	ds_load_b128 v[14:17], v1 offset:1968
	v_fma_f64 v[24:25], v[24:25], v[191:192], v[28:29]
	v_add_f64 v[26:27], v[26:27], v[32:33]
	s_waitcnt vmcnt(1) lgkmcnt(1)
	v_mul_f64 v[32:33], v[6:7], v[12:13]
	v_mul_f64 v[12:13], v[8:9], v[12:13]
	v_add_f64 v[18:19], v[20:21], v[18:19]
	s_delay_alu instid0(VALU_DEP_4)
	v_add_f64 v[20:21], v[26:27], v[34:35]
	s_waitcnt vmcnt(0) lgkmcnt(0)
	v_mul_f64 v[26:27], v[14:15], v[40:41]
	v_mul_f64 v[28:29], v[16:17], v[40:41]
	v_fma_f64 v[8:9], v[8:9], v[10:11], v[32:33]
	v_fma_f64 v[6:7], v[6:7], v[10:11], -v[12:13]
	v_add_f64 v[10:11], v[18:19], v[22:23]
	v_add_f64 v[12:13], v[20:21], v[24:25]
	v_fma_f64 v[16:17], v[16:17], v[38:39], v[26:27]
	v_fma_f64 v[14:15], v[14:15], v[38:39], -v[28:29]
	s_delay_alu instid0(VALU_DEP_4) | instskip(NEXT) | instid1(VALU_DEP_4)
	v_add_f64 v[6:7], v[10:11], v[6:7]
	v_add_f64 v[8:9], v[12:13], v[8:9]
	s_delay_alu instid0(VALU_DEP_2) | instskip(NEXT) | instid1(VALU_DEP_2)
	v_add_f64 v[6:7], v[6:7], v[14:15]
	v_add_f64 v[8:9], v[8:9], v[16:17]
	s_delay_alu instid0(VALU_DEP_2) | instskip(NEXT) | instid1(VALU_DEP_2)
	v_add_f64 v[1:2], v[2:3], -v[6:7]
	v_add_f64 v[3:4], v[4:5], -v[8:9]
	scratch_store_b128 off, v[1:4], off offset:16
	v_cmpx_ne_u32_e32 0, v174
	s_cbranch_execz .LBB125_397
; %bb.396:
	scratch_load_b128 v[1:4], off, off
	v_mov_b32_e32 v5, 0
	s_delay_alu instid0(VALU_DEP_1)
	v_mov_b32_e32 v6, v5
	v_mov_b32_e32 v7, v5
	;; [unrolled: 1-line block ×3, first 2 shown]
	scratch_store_b128 off, v[5:8], off
	s_waitcnt vmcnt(0)
	ds_store_b128 v255, v[1:4]
.LBB125_397:
	s_or_b32 exec_lo, exec_lo, s2
	s_waitcnt lgkmcnt(0)
	s_waitcnt_vscnt null, 0x0
	s_barrier
	buffer_gl0_inv
	s_clause 0x7
	scratch_load_b128 v[29:32], off, off offset:16
	scratch_load_b128 v[33:36], off, off offset:32
	;; [unrolled: 1-line block ×8, first 2 shown]
	v_mov_b32_e32 v49, 0
	s_and_b32 vcc_lo, exec_lo, s14
	ds_load_b128 v[45:48], v49 offset:1008
	s_clause 0x2
	scratch_load_b128 v[13:16], off, off offset:144
	scratch_load_b128 v[1:4], off, off
	scratch_load_b128 v[185:188], off, off offset:160
	ds_load_b128 v[41:44], v49 offset:1024
	ds_load_b128 v[189:192], v49 offset:1056
	;; [unrolled: 1-line block ×3, first 2 shown]
	s_waitcnt vmcnt(10) lgkmcnt(3)
	v_mul_f64 v[52:53], v[47:48], v[31:32]
	v_mul_f64 v[31:32], v[45:46], v[31:32]
	s_delay_alu instid0(VALU_DEP_2) | instskip(NEXT) | instid1(VALU_DEP_2)
	v_fma_f64 v[52:53], v[45:46], v[29:30], -v[52:53]
	v_fma_f64 v[56:57], v[47:48], v[29:30], v[31:32]
	ds_load_b128 v[29:32], v49 offset:1040
	s_waitcnt vmcnt(9) lgkmcnt(3)
	v_mul_f64 v[54:55], v[41:42], v[35:36]
	v_mul_f64 v[35:36], v[43:44], v[35:36]
	scratch_load_b128 v[45:48], off, off offset:176
	s_waitcnt vmcnt(9) lgkmcnt(0)
	v_mul_f64 v[58:59], v[29:30], v[39:40]
	v_mul_f64 v[39:40], v[31:32], v[39:40]
	v_add_f64 v[52:53], v[52:53], 0
	v_fma_f64 v[43:44], v[43:44], v[33:34], v[54:55]
	v_fma_f64 v[41:42], v[41:42], v[33:34], -v[35:36]
	v_add_f64 v[54:55], v[56:57], 0
	scratch_load_b128 v[33:36], off, off offset:192
	v_fma_f64 v[31:32], v[31:32], v[37:38], v[58:59]
	v_fma_f64 v[58:59], v[29:30], v[37:38], -v[39:40]
	scratch_load_b128 v[37:40], off, off offset:208
	v_add_f64 v[52:53], v[52:53], v[41:42]
	v_add_f64 v[54:55], v[54:55], v[43:44]
	ds_load_b128 v[41:44], v49 offset:1088
	s_waitcnt vmcnt(10)
	v_mul_f64 v[56:57], v[189:190], v[27:28]
	v_mul_f64 v[60:61], v[191:192], v[27:28]
	ds_load_b128 v[27:30], v49 offset:1072
	v_add_f64 v[52:53], v[52:53], v[58:59]
	v_add_f64 v[31:32], v[54:55], v[31:32]
	s_waitcnt vmcnt(8) lgkmcnt(1)
	v_mul_f64 v[54:55], v[41:42], v[19:20]
	v_fma_f64 v[56:57], v[191:192], v[25:26], v[56:57]
	v_fma_f64 v[60:61], v[189:190], v[25:26], -v[60:61]
	ds_load_b128 v[189:192], v49 offset:1120
	s_waitcnt lgkmcnt(1)
	v_mul_f64 v[62:63], v[27:28], v[23:24]
	v_mul_f64 v[64:65], v[29:30], v[23:24]
	scratch_load_b128 v[23:26], off, off offset:224
	v_mul_f64 v[58:59], v[43:44], v[19:20]
	v_fma_f64 v[54:55], v[43:44], v[17:18], v[54:55]
	v_add_f64 v[31:32], v[31:32], v[56:57]
	v_add_f64 v[52:53], v[52:53], v[60:61]
	s_waitcnt vmcnt(7) lgkmcnt(0)
	v_mul_f64 v[60:61], v[191:192], v[7:8]
	v_fma_f64 v[62:63], v[29:30], v[21:22], v[62:63]
	v_fma_f64 v[64:65], v[27:28], v[21:22], -v[64:65]
	scratch_load_b128 v[27:30], off, off offset:240
	ds_load_b128 v[19:22], v49 offset:1104
	v_fma_f64 v[17:18], v[41:42], v[17:18], -v[58:59]
	v_mul_f64 v[58:59], v[189:190], v[7:8]
	scratch_load_b128 v[41:44], off, off offset:256
	s_waitcnt lgkmcnt(0)
	v_mul_f64 v[56:57], v[19:20], v[11:12]
	v_mul_f64 v[11:12], v[21:22], v[11:12]
	v_add_f64 v[31:32], v[31:32], v[62:63]
	v_add_f64 v[52:53], v[52:53], v[64:65]
	s_delay_alu instid0(VALU_DEP_4) | instskip(NEXT) | instid1(VALU_DEP_4)
	v_fma_f64 v[21:22], v[21:22], v[9:10], v[56:57]
	v_fma_f64 v[11:12], v[19:20], v[9:10], -v[11:12]
	ds_load_b128 v[7:10], v49 offset:1136
	v_fma_f64 v[56:57], v[191:192], v[5:6], v[58:59]
	v_fma_f64 v[5:6], v[189:190], v[5:6], -v[60:61]
	scratch_load_b128 v[189:192], off, off offset:288
	v_add_f64 v[31:32], v[31:32], v[54:55]
	v_add_f64 v[52:53], v[52:53], v[17:18]
	scratch_load_b128 v[17:20], off, off offset:272
	v_add_f64 v[21:22], v[31:32], v[21:22]
	v_add_f64 v[11:12], v[52:53], v[11:12]
	s_waitcnt vmcnt(8)
	v_mul_f64 v[31:32], v[193:194], v[187:188]
	v_mul_f64 v[52:53], v[195:196], v[187:188]
	s_delay_alu instid0(VALU_DEP_4) | instskip(NEXT) | instid1(VALU_DEP_4)
	v_add_f64 v[21:22], v[21:22], v[56:57]
	v_add_f64 v[60:61], v[11:12], v[5:6]
	s_delay_alu instid0(VALU_DEP_4) | instskip(NEXT) | instid1(VALU_DEP_4)
	v_fma_f64 v[31:32], v[195:196], v[185:186], v[31:32]
	v_fma_f64 v[52:53], v[193:194], v[185:186], -v[52:53]
	ds_load_b128 v[193:196], v49 offset:1216
	s_waitcnt lgkmcnt(1)
	v_mul_f64 v[54:55], v[7:8], v[15:16]
	v_mul_f64 v[15:16], v[9:10], v[15:16]
	scratch_load_b128 v[185:188], off, off offset:320
	v_fma_f64 v[54:55], v[9:10], v[13:14], v[54:55]
	v_fma_f64 v[58:59], v[7:8], v[13:14], -v[15:16]
	ds_load_b128 v[5:8], v49 offset:1168
	ds_load_b128 v[13:16], v49 offset:1184
	scratch_load_b128 v[9:12], off, off offset:304
	s_waitcnt vmcnt(9) lgkmcnt(1)
	v_mul_f64 v[56:57], v[5:6], v[47:48]
	v_mul_f64 v[47:48], v[7:8], v[47:48]
	v_add_f64 v[21:22], v[21:22], v[54:55]
	v_add_f64 v[58:59], v[60:61], v[58:59]
	s_waitcnt vmcnt(8) lgkmcnt(0)
	v_mul_f64 v[54:55], v[13:14], v[35:36]
	v_mul_f64 v[35:36], v[15:16], v[35:36]
	v_fma_f64 v[56:57], v[7:8], v[45:46], v[56:57]
	v_fma_f64 v[60:61], v[5:6], v[45:46], -v[47:48]
	ds_load_b128 v[5:8], v49 offset:1200
	scratch_load_b128 v[45:48], off, off offset:336
	v_add_f64 v[21:22], v[21:22], v[31:32]
	v_add_f64 v[52:53], v[58:59], v[52:53]
	v_fma_f64 v[54:55], v[15:16], v[33:34], v[54:55]
	v_fma_f64 v[33:34], v[13:14], v[33:34], -v[35:36]
	scratch_load_b128 v[13:16], off, off offset:352
	v_add_f64 v[21:22], v[21:22], v[56:57]
	v_add_f64 v[35:36], v[52:53], v[60:61]
	s_waitcnt vmcnt(8)
	v_mul_f64 v[52:53], v[193:194], v[25:26]
	v_mul_f64 v[25:26], v[195:196], v[25:26]
	s_delay_alu instid0(VALU_DEP_4) | instskip(NEXT) | instid1(VALU_DEP_4)
	v_add_f64 v[21:22], v[21:22], v[54:55]
	v_add_f64 v[58:59], v[35:36], v[33:34]
	s_delay_alu instid0(VALU_DEP_4) | instskip(NEXT) | instid1(VALU_DEP_4)
	v_fma_f64 v[52:53], v[195:196], v[23:24], v[52:53]
	v_fma_f64 v[25:26], v[193:194], v[23:24], -v[25:26]
	ds_load_b128 v[193:196], v49 offset:1280
	s_waitcnt lgkmcnt(1)
	v_mul_f64 v[31:32], v[5:6], v[39:40]
	v_mul_f64 v[39:40], v[7:8], v[39:40]
	s_delay_alu instid0(VALU_DEP_2)
	v_fma_f64 v[56:57], v[7:8], v[37:38], v[31:32]
	scratch_load_b128 v[31:34], off, off offset:368
	v_fma_f64 v[39:40], v[5:6], v[37:38], -v[39:40]
	ds_load_b128 v[5:8], v49 offset:1232
	ds_load_b128 v[35:38], v49 offset:1248
	s_waitcnt vmcnt(8) lgkmcnt(1)
	v_mul_f64 v[54:55], v[5:6], v[29:30]
	v_mul_f64 v[29:30], v[7:8], v[29:30]
	v_add_f64 v[56:57], v[21:22], v[56:57]
	scratch_load_b128 v[21:24], off, off offset:384
	v_add_f64 v[39:40], v[58:59], v[39:40]
	s_waitcnt vmcnt(8) lgkmcnt(0)
	v_mul_f64 v[58:59], v[35:36], v[43:44]
	v_mul_f64 v[43:44], v[37:38], v[43:44]
	v_fma_f64 v[54:55], v[7:8], v[27:28], v[54:55]
	v_fma_f64 v[29:30], v[5:6], v[27:28], -v[29:30]
	ds_load_b128 v[5:8], v49 offset:1264
	v_add_f64 v[52:53], v[56:57], v[52:53]
	v_add_f64 v[39:40], v[39:40], v[25:26]
	v_fma_f64 v[58:59], v[37:38], v[41:42], v[58:59]
	v_fma_f64 v[41:42], v[35:36], v[41:42], -v[43:44]
	s_clause 0x1
	scratch_load_b128 v[25:28], off, off offset:400
	scratch_load_b128 v[35:38], off, off offset:416
	s_waitcnt vmcnt(9)
	v_mul_f64 v[43:44], v[193:194], v[191:192]
	v_add_f64 v[29:30], v[39:40], v[29:30]
	v_add_f64 v[39:40], v[52:53], v[54:55]
	v_mul_f64 v[52:53], v[195:196], v[191:192]
	s_delay_alu instid0(VALU_DEP_4) | instskip(NEXT) | instid1(VALU_DEP_4)
	v_fma_f64 v[43:44], v[195:196], v[189:190], v[43:44]
	v_add_f64 v[29:30], v[29:30], v[41:42]
	s_delay_alu instid0(VALU_DEP_4)
	v_add_f64 v[58:59], v[39:40], v[58:59]
	ds_load_b128 v[39:42], v49 offset:1312
	s_waitcnt vmcnt(8) lgkmcnt(1)
	v_mul_f64 v[56:57], v[5:6], v[19:20]
	v_mul_f64 v[19:20], v[7:8], v[19:20]
	v_fma_f64 v[52:53], v[193:194], v[189:190], -v[52:53]
	scratch_load_b128 v[189:192], off, off offset:448
	ds_load_b128 v[193:196], v49 offset:1344
	v_fma_f64 v[54:55], v[7:8], v[17:18], v[56:57]
	v_fma_f64 v[56:57], v[5:6], v[17:18], -v[19:20]
	ds_load_b128 v[5:8], v49 offset:1296
	scratch_load_b128 v[17:20], off, off offset:432
	s_waitcnt vmcnt(8) lgkmcnt(0)
	v_mul_f64 v[60:61], v[5:6], v[11:12]
	v_mul_f64 v[11:12], v[7:8], v[11:12]
	v_add_f64 v[54:55], v[58:59], v[54:55]
	v_add_f64 v[29:30], v[29:30], v[56:57]
	v_mul_f64 v[56:57], v[39:40], v[187:188]
	v_mul_f64 v[58:59], v[41:42], v[187:188]
	v_fma_f64 v[60:61], v[7:8], v[9:10], v[60:61]
	v_fma_f64 v[62:63], v[5:6], v[9:10], -v[11:12]
	ds_load_b128 v[5:8], v49 offset:1328
	scratch_load_b128 v[9:12], off, off offset:464
	v_add_f64 v[43:44], v[54:55], v[43:44]
	v_add_f64 v[29:30], v[29:30], v[52:53]
	v_fma_f64 v[54:55], v[41:42], v[185:186], v[56:57]
	v_fma_f64 v[56:57], v[39:40], v[185:186], -v[58:59]
	ds_load_b128 v[185:188], v49 offset:1376
	scratch_load_b128 v[39:42], off, off offset:480
	s_waitcnt vmcnt(9) lgkmcnt(1)
	v_mul_f64 v[52:53], v[5:6], v[47:48]
	v_mul_f64 v[47:48], v[7:8], v[47:48]
	s_waitcnt vmcnt(8)
	v_mul_f64 v[58:59], v[193:194], v[15:16]
	v_mul_f64 v[15:16], v[195:196], v[15:16]
	v_add_f64 v[43:44], v[43:44], v[60:61]
	v_add_f64 v[29:30], v[29:30], v[62:63]
	v_fma_f64 v[52:53], v[7:8], v[45:46], v[52:53]
	v_fma_f64 v[47:48], v[5:6], v[45:46], -v[47:48]
	ds_load_b128 v[5:8], v49 offset:1360
	v_fma_f64 v[58:59], v[195:196], v[13:14], v[58:59]
	v_fma_f64 v[60:61], v[193:194], v[13:14], -v[15:16]
	ds_load_b128 v[193:196], v49 offset:1408
	scratch_load_b128 v[13:16], off, off offset:512
	v_add_f64 v[54:55], v[43:44], v[54:55]
	v_add_f64 v[29:30], v[29:30], v[56:57]
	scratch_load_b128 v[43:46], off, off offset:496
	s_waitcnt vmcnt(9) lgkmcnt(1)
	v_mul_f64 v[56:57], v[5:6], v[33:34]
	v_mul_f64 v[33:34], v[7:8], v[33:34]
	v_add_f64 v[29:30], v[29:30], v[47:48]
	v_add_f64 v[47:48], v[54:55], v[52:53]
	s_waitcnt vmcnt(8)
	v_mul_f64 v[52:53], v[185:186], v[23:24]
	v_mul_f64 v[23:24], v[187:188], v[23:24]
	v_fma_f64 v[54:55], v[7:8], v[31:32], v[56:57]
	v_fma_f64 v[33:34], v[5:6], v[31:32], -v[33:34]
	ds_load_b128 v[5:8], v49 offset:1392
	v_add_f64 v[56:57], v[29:30], v[60:61]
	v_add_f64 v[47:48], v[47:48], v[58:59]
	scratch_load_b128 v[29:32], off, off offset:528
	v_fma_f64 v[52:53], v[187:188], v[21:22], v[52:53]
	v_fma_f64 v[60:61], v[185:186], v[21:22], -v[23:24]
	ds_load_b128 v[185:188], v49 offset:1440
	s_waitcnt vmcnt(8) lgkmcnt(1)
	v_mul_f64 v[58:59], v[5:6], v[27:28]
	v_mul_f64 v[27:28], v[7:8], v[27:28]
	scratch_load_b128 v[21:24], off, off offset:544
	v_add_f64 v[33:34], v[56:57], v[33:34]
	v_add_f64 v[47:48], v[47:48], v[54:55]
	s_waitcnt vmcnt(8)
	v_mul_f64 v[54:55], v[193:194], v[37:38]
	v_mul_f64 v[37:38], v[195:196], v[37:38]
	v_fma_f64 v[56:57], v[7:8], v[25:26], v[58:59]
	v_fma_f64 v[58:59], v[5:6], v[25:26], -v[27:28]
	scratch_load_b128 v[25:28], off, off offset:560
	ds_load_b128 v[5:8], v49 offset:1424
	v_add_f64 v[33:34], v[33:34], v[60:61]
	v_add_f64 v[47:48], v[47:48], v[52:53]
	v_fma_f64 v[54:55], v[195:196], v[35:36], v[54:55]
	v_fma_f64 v[37:38], v[193:194], v[35:36], -v[37:38]
	s_waitcnt vmcnt(8) lgkmcnt(1)
	v_mul_f64 v[60:61], v[187:188], v[191:192]
	ds_load_b128 v[195:198], v49 offset:1504
	v_add_f64 v[58:59], v[33:34], v[58:59]
	v_add_f64 v[47:48], v[47:48], v[56:57]
	v_mul_f64 v[56:57], v[185:186], v[191:192]
	ds_load_b128 v[191:194], v49 offset:1472
	s_waitcnt vmcnt(7) lgkmcnt(2)
	v_mul_f64 v[52:53], v[5:6], v[19:20]
	v_mul_f64 v[19:20], v[7:8], v[19:20]
	scratch_load_b128 v[33:36], off, off offset:576
	v_add_f64 v[37:38], v[58:59], v[37:38]
	v_add_f64 v[47:48], v[47:48], v[54:55]
	v_fma_f64 v[56:57], v[187:188], v[189:190], v[56:57]
	v_fma_f64 v[58:59], v[185:186], v[189:190], -v[60:61]
	v_fma_f64 v[52:53], v[7:8], v[17:18], v[52:53]
	v_fma_f64 v[62:63], v[5:6], v[17:18], -v[19:20]
	scratch_load_b128 v[17:20], off, off offset:592
	ds_load_b128 v[5:8], v49 offset:1456
	scratch_load_b128 v[185:188], off, off offset:608
	s_waitcnt vmcnt(9) lgkmcnt(0)
	v_mul_f64 v[54:55], v[5:6], v[11:12]
	v_mul_f64 v[11:12], v[7:8], v[11:12]
	v_add_f64 v[47:48], v[47:48], v[52:53]
	v_add_f64 v[37:38], v[37:38], v[62:63]
	s_waitcnt vmcnt(8)
	v_mul_f64 v[52:53], v[191:192], v[41:42]
	v_mul_f64 v[41:42], v[193:194], v[41:42]
	v_fma_f64 v[54:55], v[7:8], v[9:10], v[54:55]
	v_fma_f64 v[60:61], v[5:6], v[9:10], -v[11:12]
	scratch_load_b128 v[9:12], off, off offset:624
	ds_load_b128 v[5:8], v49 offset:1488
	v_add_f64 v[47:48], v[47:48], v[56:57]
	v_add_f64 v[37:38], v[37:38], v[58:59]
	v_fma_f64 v[52:53], v[193:194], v[39:40], v[52:53]
	v_fma_f64 v[41:42], v[191:192], v[39:40], -v[41:42]
	ds_load_b128 v[189:192], v49 offset:1568
	s_waitcnt vmcnt(7) lgkmcnt(1)
	v_mul_f64 v[56:57], v[5:6], v[45:46]
	v_mul_f64 v[45:46], v[7:8], v[45:46]
	v_add_f64 v[47:48], v[47:48], v[54:55]
	v_add_f64 v[58:59], v[37:38], v[60:61]
	v_mul_f64 v[54:55], v[195:196], v[15:16]
	v_mul_f64 v[15:16], v[197:198], v[15:16]
	scratch_load_b128 v[37:40], off, off offset:640
	v_fma_f64 v[56:57], v[7:8], v[43:44], v[56:57]
	v_fma_f64 v[60:61], v[5:6], v[43:44], -v[45:46]
	ds_load_b128 v[5:8], v49 offset:1520
	v_add_f64 v[52:53], v[47:48], v[52:53]
	ds_load_b128 v[45:48], v49 offset:1536
	v_add_f64 v[58:59], v[58:59], v[41:42]
	v_fma_f64 v[54:55], v[197:198], v[13:14], v[54:55]
	v_fma_f64 v[64:65], v[195:196], v[13:14], -v[15:16]
	s_clause 0x1
	scratch_load_b128 v[41:44], off, off offset:656
	scratch_load_b128 v[13:16], off, off offset:672
	s_waitcnt vmcnt(9) lgkmcnt(1)
	v_mul_f64 v[62:63], v[5:6], v[31:32]
	v_mul_f64 v[31:32], v[7:8], v[31:32]
	v_add_f64 v[52:53], v[52:53], v[56:57]
	s_waitcnt vmcnt(8) lgkmcnt(0)
	v_mul_f64 v[56:57], v[45:46], v[23:24]
	v_add_f64 v[58:59], v[58:59], v[60:61]
	v_mul_f64 v[23:24], v[47:48], v[23:24]
	v_fma_f64 v[60:61], v[7:8], v[29:30], v[62:63]
	v_fma_f64 v[62:63], v[5:6], v[29:30], -v[31:32]
	scratch_load_b128 v[29:32], off, off offset:688
	ds_load_b128 v[5:8], v49 offset:1552
	v_add_f64 v[52:53], v[52:53], v[54:55]
	v_fma_f64 v[47:48], v[47:48], v[21:22], v[56:57]
	v_add_f64 v[58:59], v[58:59], v[64:65]
	v_fma_f64 v[45:46], v[45:46], v[21:22], -v[23:24]
	scratch_load_b128 v[21:24], off, off offset:704
	v_add_f64 v[52:53], v[52:53], v[60:61]
	v_add_f64 v[56:57], v[58:59], v[62:63]
	s_waitcnt vmcnt(8)
	v_mul_f64 v[58:59], v[189:190], v[35:36]
	v_mul_f64 v[35:36], v[191:192], v[35:36]
	s_delay_alu instid0(VALU_DEP_4) | instskip(NEXT) | instid1(VALU_DEP_4)
	v_add_f64 v[52:53], v[52:53], v[47:48]
	v_add_f64 v[56:57], v[56:57], v[45:46]
	ds_load_b128 v[45:48], v49 offset:1600
	s_waitcnt lgkmcnt(1)
	v_mul_f64 v[54:55], v[5:6], v[27:28]
	v_mul_f64 v[27:28], v[7:8], v[27:28]
	v_fma_f64 v[58:59], v[191:192], v[33:34], v[58:59]
	v_fma_f64 v[64:65], v[189:190], v[33:34], -v[35:36]
	scratch_load_b128 v[33:36], off, off offset:736
	ds_load_b128 v[191:194], v49 offset:1664
	v_fma_f64 v[54:55], v[7:8], v[25:26], v[54:55]
	v_fma_f64 v[60:61], v[5:6], v[25:26], -v[27:28]
	ds_load_b128 v[5:8], v49 offset:1584
	scratch_load_b128 v[25:28], off, off offset:720
	v_add_f64 v[52:53], v[52:53], v[54:55]
	v_add_f64 v[56:57], v[56:57], v[60:61]
	s_waitcnt vmcnt(8) lgkmcnt(2)
	v_mul_f64 v[54:55], v[45:46], v[187:188]
	v_mul_f64 v[60:61], v[47:48], v[187:188]
	ds_load_b128 v[187:190], v49 offset:1632
	s_waitcnt lgkmcnt(1)
	v_mul_f64 v[62:63], v[5:6], v[19:20]
	v_mul_f64 v[19:20], v[7:8], v[19:20]
	v_add_f64 v[52:53], v[52:53], v[58:59]
	v_add_f64 v[56:57], v[56:57], v[64:65]
	v_fma_f64 v[54:55], v[47:48], v[185:186], v[54:55]
	v_fma_f64 v[60:61], v[45:46], v[185:186], -v[60:61]
	scratch_load_b128 v[45:48], off, off offset:768
	v_fma_f64 v[62:63], v[7:8], v[17:18], v[62:63]
	v_fma_f64 v[66:67], v[5:6], v[17:18], -v[19:20]
	ds_load_b128 v[5:8], v49 offset:1616
	scratch_load_b128 v[17:20], off, off offset:752
	s_waitcnt vmcnt(9) lgkmcnt(0)
	v_mul_f64 v[58:59], v[5:6], v[11:12]
	v_mul_f64 v[11:12], v[7:8], v[11:12]
	v_add_f64 v[52:53], v[52:53], v[62:63]
	v_add_f64 v[56:57], v[56:57], v[66:67]
	s_waitcnt vmcnt(8)
	v_mul_f64 v[62:63], v[187:188], v[39:40]
	v_mul_f64 v[39:40], v[189:190], v[39:40]
	v_fma_f64 v[58:59], v[7:8], v[9:10], v[58:59]
	v_fma_f64 v[64:65], v[5:6], v[9:10], -v[11:12]
	ds_load_b128 v[5:8], v49 offset:1648
	scratch_load_b128 v[9:12], off, off offset:784
	v_add_f64 v[52:53], v[52:53], v[54:55]
	v_add_f64 v[56:57], v[56:57], v[60:61]
	v_fma_f64 v[60:61], v[189:190], v[37:38], v[62:63]
	v_fma_f64 v[62:63], v[187:188], v[37:38], -v[39:40]
	ds_load_b128 v[185:188], v49 offset:1696
	scratch_load_b128 v[37:40], off, off offset:800
	s_waitcnt vmcnt(9) lgkmcnt(1)
	v_mul_f64 v[54:55], v[5:6], v[43:44]
	v_mul_f64 v[43:44], v[7:8], v[43:44]
	v_add_f64 v[52:53], v[52:53], v[58:59]
	v_add_f64 v[56:57], v[56:57], v[64:65]
	s_waitcnt vmcnt(8)
	v_mul_f64 v[58:59], v[191:192], v[15:16]
	v_mul_f64 v[15:16], v[193:194], v[15:16]
	v_fma_f64 v[54:55], v[7:8], v[41:42], v[54:55]
	v_fma_f64 v[64:65], v[5:6], v[41:42], -v[43:44]
	scratch_load_b128 v[41:44], off, off offset:816
	ds_load_b128 v[5:8], v49 offset:1680
	v_add_f64 v[52:53], v[52:53], v[60:61]
	v_add_f64 v[56:57], v[56:57], v[62:63]
	v_fma_f64 v[58:59], v[193:194], v[13:14], v[58:59]
	v_fma_f64 v[62:63], v[191:192], v[13:14], -v[15:16]
	ds_load_b128 v[189:192], v49 offset:1728
	s_waitcnt vmcnt(8) lgkmcnt(1)
	v_mul_f64 v[60:61], v[5:6], v[31:32]
	v_mul_f64 v[31:32], v[7:8], v[31:32]
	scratch_load_b128 v[13:16], off, off offset:832
	v_add_f64 v[52:53], v[52:53], v[54:55]
	v_add_f64 v[56:57], v[56:57], v[64:65]
	s_waitcnt vmcnt(8)
	v_mul_f64 v[54:55], v[185:186], v[23:24]
	v_mul_f64 v[23:24], v[187:188], v[23:24]
	v_fma_f64 v[60:61], v[7:8], v[29:30], v[60:61]
	v_fma_f64 v[64:65], v[5:6], v[29:30], -v[31:32]
	scratch_load_b128 v[29:32], off, off offset:848
	ds_load_b128 v[5:8], v49 offset:1712
	v_add_f64 v[52:53], v[52:53], v[58:59]
	v_add_f64 v[56:57], v[56:57], v[62:63]
	v_fma_f64 v[54:55], v[187:188], v[21:22], v[54:55]
	v_fma_f64 v[62:63], v[185:186], v[21:22], -v[23:24]
	ds_load_b128 v[185:188], v49 offset:1760
	scratch_load_b128 v[21:24], off, off offset:864
	s_waitcnt vmcnt(8) lgkmcnt(1)
	v_mul_f64 v[58:59], v[5:6], v[27:28]
	v_mul_f64 v[27:28], v[7:8], v[27:28]
	v_add_f64 v[52:53], v[52:53], v[60:61]
	v_add_f64 v[56:57], v[56:57], v[64:65]
	v_mul_f64 v[60:61], v[189:190], v[35:36]
	v_mul_f64 v[35:36], v[191:192], v[35:36]
	v_fma_f64 v[58:59], v[7:8], v[25:26], v[58:59]
	v_fma_f64 v[64:65], v[5:6], v[25:26], -v[27:28]
	scratch_load_b128 v[25:28], off, off offset:880
	ds_load_b128 v[5:8], v49 offset:1744
	v_add_f64 v[52:53], v[52:53], v[54:55]
	v_add_f64 v[56:57], v[56:57], v[62:63]
	v_fma_f64 v[60:61], v[191:192], v[33:34], v[60:61]
	v_fma_f64 v[62:63], v[189:190], v[33:34], -v[35:36]
	ds_load_b128 v[189:192], v49 offset:1792
	scratch_load_b128 v[33:36], off, off offset:896
	s_waitcnt vmcnt(8) lgkmcnt(1)
	v_mul_f64 v[54:55], v[5:6], v[19:20]
	v_mul_f64 v[19:20], v[7:8], v[19:20]
	v_add_f64 v[52:53], v[52:53], v[58:59]
	v_add_f64 v[56:57], v[56:57], v[64:65]
	v_mul_f64 v[58:59], v[185:186], v[47:48]
	v_mul_f64 v[47:48], v[187:188], v[47:48]
	v_fma_f64 v[54:55], v[7:8], v[17:18], v[54:55]
	v_fma_f64 v[64:65], v[5:6], v[17:18], -v[19:20]
	scratch_load_b128 v[17:20], off, off offset:912
	ds_load_b128 v[5:8], v49 offset:1776
	v_add_f64 v[52:53], v[52:53], v[60:61]
	v_add_f64 v[56:57], v[56:57], v[62:63]
	v_fma_f64 v[58:59], v[187:188], v[45:46], v[58:59]
	v_fma_f64 v[62:63], v[185:186], v[45:46], -v[47:48]
	ds_load_b128 v[185:188], v49 offset:1824
	s_waitcnt vmcnt(8) lgkmcnt(1)
	v_mul_f64 v[60:61], v[5:6], v[11:12]
	v_mul_f64 v[11:12], v[7:8], v[11:12]
	scratch_load_b128 v[45:48], off, off offset:928
	v_add_f64 v[52:53], v[52:53], v[54:55]
	v_add_f64 v[56:57], v[56:57], v[64:65]
	s_waitcnt vmcnt(8)
	v_mul_f64 v[54:55], v[189:190], v[39:40]
	v_mul_f64 v[39:40], v[191:192], v[39:40]
	v_fma_f64 v[60:61], v[7:8], v[9:10], v[60:61]
	v_fma_f64 v[64:65], v[5:6], v[9:10], -v[11:12]
	scratch_load_b128 v[9:12], off, off offset:944
	ds_load_b128 v[5:8], v49 offset:1808
	v_add_f64 v[52:53], v[52:53], v[58:59]
	v_add_f64 v[56:57], v[56:57], v[62:63]
	v_fma_f64 v[54:55], v[191:192], v[37:38], v[54:55]
	v_fma_f64 v[62:63], v[189:190], v[37:38], -v[39:40]
	ds_load_b128 v[189:192], v49 offset:1856
	s_waitcnt vmcnt(8) lgkmcnt(1)
	v_mul_f64 v[58:59], v[5:6], v[43:44]
	v_mul_f64 v[43:44], v[7:8], v[43:44]
	scratch_load_b128 v[37:40], off, off offset:960
	v_add_f64 v[52:53], v[52:53], v[60:61]
	v_add_f64 v[56:57], v[56:57], v[64:65]
	s_waitcnt vmcnt(8)
	v_mul_f64 v[60:61], v[185:186], v[15:16]
	v_mul_f64 v[15:16], v[187:188], v[15:16]
	v_fma_f64 v[58:59], v[7:8], v[41:42], v[58:59]
	v_fma_f64 v[64:65], v[5:6], v[41:42], -v[43:44]
	scratch_load_b128 v[41:44], off, off offset:976
	ds_load_b128 v[5:8], v49 offset:1840
	v_add_f64 v[52:53], v[52:53], v[54:55]
	v_add_f64 v[56:57], v[56:57], v[62:63]
	s_waitcnt vmcnt(8) lgkmcnt(0)
	v_mul_f64 v[54:55], v[5:6], v[31:32]
	v_mul_f64 v[31:32], v[7:8], v[31:32]
	v_fma_f64 v[60:61], v[187:188], v[13:14], v[60:61]
	v_fma_f64 v[13:14], v[185:186], v[13:14], -v[15:16]
	v_add_f64 v[52:53], v[52:53], v[58:59]
	v_add_f64 v[15:16], v[56:57], v[64:65]
	s_waitcnt vmcnt(7)
	v_mul_f64 v[56:57], v[189:190], v[23:24]
	v_mul_f64 v[23:24], v[191:192], v[23:24]
	v_fma_f64 v[54:55], v[7:8], v[29:30], v[54:55]
	v_fma_f64 v[29:30], v[5:6], v[29:30], -v[31:32]
	v_add_f64 v[52:53], v[52:53], v[60:61]
	v_add_f64 v[31:32], v[15:16], v[13:14]
	ds_load_b128 v[5:8], v49 offset:1872
	ds_load_b128 v[13:16], v49 offset:1888
	v_fma_f64 v[56:57], v[191:192], v[21:22], v[56:57]
	v_fma_f64 v[21:22], v[189:190], v[21:22], -v[23:24]
	s_waitcnt vmcnt(6) lgkmcnt(1)
	v_mul_f64 v[58:59], v[5:6], v[27:28]
	v_mul_f64 v[27:28], v[7:8], v[27:28]
	v_add_f64 v[23:24], v[31:32], v[29:30]
	v_add_f64 v[29:30], v[52:53], v[54:55]
	s_waitcnt vmcnt(5) lgkmcnt(0)
	v_mul_f64 v[31:32], v[13:14], v[35:36]
	v_mul_f64 v[35:36], v[15:16], v[35:36]
	v_fma_f64 v[52:53], v[7:8], v[25:26], v[58:59]
	v_fma_f64 v[25:26], v[5:6], v[25:26], -v[27:28]
	v_add_f64 v[27:28], v[23:24], v[21:22]
	v_add_f64 v[29:30], v[29:30], v[56:57]
	ds_load_b128 v[5:8], v49 offset:1904
	ds_load_b128 v[21:24], v49 offset:1920
	v_fma_f64 v[15:16], v[15:16], v[33:34], v[31:32]
	v_fma_f64 v[13:14], v[13:14], v[33:34], -v[35:36]
	s_waitcnt vmcnt(4) lgkmcnt(1)
	v_mul_f64 v[54:55], v[5:6], v[19:20]
	v_mul_f64 v[19:20], v[7:8], v[19:20]
	s_waitcnt vmcnt(3) lgkmcnt(0)
	v_mul_f64 v[31:32], v[23:24], v[47:48]
	v_add_f64 v[25:26], v[27:28], v[25:26]
	v_add_f64 v[27:28], v[29:30], v[52:53]
	v_mul_f64 v[29:30], v[21:22], v[47:48]
	v_fma_f64 v[33:34], v[7:8], v[17:18], v[54:55]
	v_fma_f64 v[17:18], v[5:6], v[17:18], -v[19:20]
	v_fma_f64 v[21:22], v[21:22], v[45:46], -v[31:32]
	v_add_f64 v[19:20], v[25:26], v[13:14]
	v_add_f64 v[25:26], v[27:28], v[15:16]
	ds_load_b128 v[5:8], v49 offset:1936
	ds_load_b128 v[13:16], v49 offset:1952
	v_fma_f64 v[23:24], v[23:24], v[45:46], v[29:30]
	s_waitcnt vmcnt(2) lgkmcnt(1)
	v_mul_f64 v[27:28], v[5:6], v[11:12]
	v_mul_f64 v[11:12], v[7:8], v[11:12]
	s_waitcnt vmcnt(1) lgkmcnt(0)
	v_mul_f64 v[29:30], v[15:16], v[39:40]
	v_add_f64 v[17:18], v[19:20], v[17:18]
	v_add_f64 v[19:20], v[25:26], v[33:34]
	v_mul_f64 v[25:26], v[13:14], v[39:40]
	v_fma_f64 v[27:28], v[7:8], v[9:10], v[27:28]
	v_fma_f64 v[9:10], v[5:6], v[9:10], -v[11:12]
	ds_load_b128 v[5:8], v49 offset:1968
	v_fma_f64 v[13:14], v[13:14], v[37:38], -v[29:30]
	v_add_f64 v[11:12], v[17:18], v[21:22]
	v_add_f64 v[17:18], v[19:20], v[23:24]
	v_fma_f64 v[15:16], v[15:16], v[37:38], v[25:26]
	s_waitcnt vmcnt(0) lgkmcnt(0)
	v_mul_f64 v[19:20], v[5:6], v[43:44]
	v_mul_f64 v[21:22], v[7:8], v[43:44]
	v_add_f64 v[9:10], v[11:12], v[9:10]
	v_add_f64 v[11:12], v[17:18], v[27:28]
	s_delay_alu instid0(VALU_DEP_4) | instskip(NEXT) | instid1(VALU_DEP_4)
	v_fma_f64 v[7:8], v[7:8], v[41:42], v[19:20]
	v_fma_f64 v[5:6], v[5:6], v[41:42], -v[21:22]
	s_delay_alu instid0(VALU_DEP_4) | instskip(NEXT) | instid1(VALU_DEP_4)
	v_add_f64 v[9:10], v[9:10], v[13:14]
	v_add_f64 v[11:12], v[11:12], v[15:16]
	s_delay_alu instid0(VALU_DEP_2) | instskip(NEXT) | instid1(VALU_DEP_2)
	v_add_f64 v[5:6], v[9:10], v[5:6]
	v_add_f64 v[7:8], v[11:12], v[7:8]
	s_delay_alu instid0(VALU_DEP_2) | instskip(NEXT) | instid1(VALU_DEP_2)
	v_add_f64 v[1:2], v[1:2], -v[5:6]
	v_add_f64 v[3:4], v[3:4], -v[7:8]
	scratch_store_b128 off, v[1:4], off
	s_cbranch_vccz .LBB125_521
; %bb.398:
	v_dual_mov_b32 v1, s8 :: v_dual_mov_b32 v2, s9
	s_load_b64 s[0:1], s[0:1], 0x4
	flat_load_b32 v1, v[1:2] offset:240
	v_bfe_u32 v2, v0, 10, 10
	v_bfe_u32 v0, v0, 20, 10
	s_waitcnt lgkmcnt(0)
	s_lshr_b32 s0, s0, 16
	s_delay_alu instid0(VALU_DEP_2) | instskip(SKIP_1) | instid1(SALU_CYCLE_1)
	v_mul_u32_u24_e32 v2, s1, v2
	s_mul_i32 s0, s0, s1
	v_mul_u32_u24_e32 v3, s0, v174
	s_mov_b32 s0, exec_lo
	s_delay_alu instid0(VALU_DEP_1) | instskip(NEXT) | instid1(VALU_DEP_1)
	v_add3_u32 v0, v3, v2, v0
	v_lshl_add_u32 v0, v0, 4, 0x7c8
	s_waitcnt vmcnt(0)
	v_cmpx_ne_u32_e32 61, v1
	s_cbranch_execz .LBB125_400
; %bb.399:
	scratch_load_b32 v10, off, off offset:992 ; 4-byte Folded Reload
	v_lshl_add_u32 v9, v1, 4, 0
	s_waitcnt vmcnt(0)
	s_clause 0x1
	scratch_load_b128 v[1:4], v10, off
	scratch_load_b128 v[5:8], v9, off offset:-16
	s_waitcnt vmcnt(1)
	ds_store_2addr_b64 v0, v[1:2], v[3:4] offset1:1
	s_waitcnt vmcnt(0)
	s_clause 0x1
	scratch_store_b128 v10, v[5:8], off
	scratch_store_b128 v9, v[1:4], off offset:-16
.LBB125_400:
	s_or_b32 exec_lo, exec_lo, s0
	v_dual_mov_b32 v1, s8 :: v_dual_mov_b32 v2, s9
	s_mov_b32 s0, exec_lo
	flat_load_b32 v1, v[1:2] offset:236
	s_waitcnt vmcnt(0) lgkmcnt(0)
	v_cmpx_ne_u32_e32 60, v1
	s_cbranch_execz .LBB125_402
; %bb.401:
	scratch_load_b32 v10, off, off offset:996 ; 4-byte Folded Reload
	v_lshl_add_u32 v9, v1, 4, 0
	s_waitcnt vmcnt(0)
	s_clause 0x1
	scratch_load_b128 v[1:4], v10, off
	scratch_load_b128 v[5:8], v9, off offset:-16
	s_waitcnt vmcnt(1)
	ds_store_2addr_b64 v0, v[1:2], v[3:4] offset1:1
	s_waitcnt vmcnt(0)
	s_clause 0x1
	scratch_store_b128 v10, v[5:8], off
	scratch_store_b128 v9, v[1:4], off offset:-16
.LBB125_402:
	s_or_b32 exec_lo, exec_lo, s0
	v_dual_mov_b32 v1, s8 :: v_dual_mov_b32 v2, s9
	s_mov_b32 s0, exec_lo
	flat_load_b32 v1, v[1:2] offset:232
	s_waitcnt vmcnt(0) lgkmcnt(0)
	;; [unrolled: 21-line block ×56, first 2 shown]
	v_cmpx_ne_u32_e32 5, v1
	s_cbranch_execz .LBB125_512
; %bb.511:
	v_add_nc_u32_e64 v10, 0, 64
	v_lshl_add_u32 v9, v1, 4, 0
	s_clause 0x1
	scratch_load_b128 v[1:4], v10, off
	scratch_load_b128 v[5:8], v9, off offset:-16
	s_waitcnt vmcnt(1)
	ds_store_2addr_b64 v0, v[1:2], v[3:4] offset1:1
	s_waitcnt vmcnt(0)
	s_clause 0x1
	scratch_store_b128 v10, v[5:8], off
	scratch_store_b128 v9, v[1:4], off offset:-16
.LBB125_512:
	s_or_b32 exec_lo, exec_lo, s0
	v_dual_mov_b32 v1, s8 :: v_dual_mov_b32 v2, s9
	s_mov_b32 s0, exec_lo
	flat_load_b32 v1, v[1:2] offset:12
	s_waitcnt vmcnt(0) lgkmcnt(0)
	v_cmpx_ne_u32_e32 4, v1
	s_cbranch_execz .LBB125_514
; %bb.513:
	v_add_nc_u32_e64 v10, 0, 48
	v_lshl_add_u32 v9, v1, 4, 0
	s_clause 0x1
	scratch_load_b128 v[1:4], v10, off
	scratch_load_b128 v[5:8], v9, off offset:-16
	s_waitcnt vmcnt(1)
	ds_store_2addr_b64 v0, v[1:2], v[3:4] offset1:1
	s_waitcnt vmcnt(0)
	s_clause 0x1
	scratch_store_b128 v10, v[5:8], off
	scratch_store_b128 v9, v[1:4], off offset:-16
.LBB125_514:
	s_or_b32 exec_lo, exec_lo, s0
	v_dual_mov_b32 v1, s8 :: v_dual_mov_b32 v2, s9
	s_mov_b32 s0, exec_lo
	flat_load_b32 v1, v[1:2] offset:8
	s_waitcnt vmcnt(0) lgkmcnt(0)
	v_cmpx_ne_u32_e32 3, v1
	s_cbranch_execz .LBB125_516
; %bb.515:
	v_lshl_add_u32 v9, v1, 4, 0
	s_clause 0x1
	scratch_load_b128 v[1:4], v205, off
	scratch_load_b128 v[5:8], v9, off offset:-16
	s_waitcnt vmcnt(1)
	ds_store_2addr_b64 v0, v[1:2], v[3:4] offset1:1
	s_waitcnt vmcnt(0)
	s_clause 0x1
	scratch_store_b128 v205, v[5:8], off
	scratch_store_b128 v9, v[1:4], off offset:-16
.LBB125_516:
	s_or_b32 exec_lo, exec_lo, s0
	v_dual_mov_b32 v1, s8 :: v_dual_mov_b32 v2, s9
	s_mov_b32 s0, exec_lo
	flat_load_b32 v1, v[1:2] offset:4
	s_waitcnt vmcnt(0) lgkmcnt(0)
	v_cmpx_ne_u32_e32 2, v1
	s_cbranch_execz .LBB125_518
; %bb.517:
	v_lshl_add_u32 v9, v1, 4, 0
	s_clause 0x1
	scratch_load_b128 v[1:4], v210, off
	scratch_load_b128 v[5:8], v9, off offset:-16
	s_waitcnt vmcnt(1)
	ds_store_2addr_b64 v0, v[1:2], v[3:4] offset1:1
	s_waitcnt vmcnt(0)
	s_clause 0x1
	scratch_store_b128 v210, v[5:8], off
	scratch_store_b128 v9, v[1:4], off offset:-16
.LBB125_518:
	s_or_b32 exec_lo, exec_lo, s0
	v_dual_mov_b32 v1, s8 :: v_dual_mov_b32 v2, s9
	s_mov_b32 s0, exec_lo
	flat_load_b32 v1, v[1:2]
	s_waitcnt vmcnt(0) lgkmcnt(0)
	v_cmpx_ne_u32_e32 1, v1
	s_cbranch_execz .LBB125_520
; %bb.519:
	v_lshl_add_u32 v9, v1, 4, 0
	scratch_load_b128 v[1:4], off, off
	scratch_load_b128 v[5:8], v9, off offset:-16
	s_waitcnt vmcnt(1)
	ds_store_2addr_b64 v0, v[1:2], v[3:4] offset1:1
	s_waitcnt vmcnt(0)
	scratch_store_b128 off, v[5:8], off
	scratch_store_b128 v9, v[1:4], off offset:-16
.LBB125_520:
	s_or_b32 exec_lo, exec_lo, s0
.LBB125_521:
	v_add_nc_u32_e64 v12, 0, 48
	v_add_nc_u32_e64 v16, 0, 64
	scratch_load_b128 v[0:3], off, off
	s_clause 0x3
	scratch_load_b128 v[4:7], v210, off
	scratch_load_b128 v[8:11], v205, off
	;; [unrolled: 1-line block ×4, first 2 shown]
	scratch_load_b32 v20, off, off offset:1212 ; 4-byte Folded Reload
	s_waitcnt vmcnt(0)
	scratch_load_b128 v[20:23], v20, off
	scratch_load_b32 v24, off, off offset:1208 ; 4-byte Folded Reload
	s_waitcnt vmcnt(0)
	scratch_load_b128 v[24:27], v24, off
	scratch_load_b32 v28, off, off offset:1204 ; 4-byte Folded Reload
	s_waitcnt vmcnt(0)
	scratch_load_b128 v[28:31], v28, off
	scratch_load_b32 v32, off, off offset:1200 ; 4-byte Folded Reload
	s_waitcnt vmcnt(0)
	scratch_load_b128 v[32:35], v32, off
	scratch_load_b32 v36, off, off offset:1196 ; 4-byte Folded Reload
	s_waitcnt vmcnt(0)
	scratch_load_b128 v[36:39], v36, off
	scratch_load_b32 v40, off, off offset:1188 ; 4-byte Folded Reload
	s_waitcnt vmcnt(0)
	scratch_load_b128 v[40:43], v40, off
	scratch_load_b32 v44, off, off offset:1184 ; 4-byte Folded Reload
	s_waitcnt vmcnt(0)
	scratch_load_b128 v[44:47], v44, off
	scratch_load_b32 v48, off, off offset:1180 ; 4-byte Folded Reload
	s_waitcnt vmcnt(0)
	scratch_load_b128 v[185:188], v48, off
	scratch_load_b32 v48, off, off offset:1172 ; 4-byte Folded Reload
	s_waitcnt vmcnt(0)
	scratch_load_b128 v[189:192], v48, off
	scratch_load_b32 v48, off, off offset:1164 ; 4-byte Folded Reload
	s_waitcnt vmcnt(0)
	scratch_load_b128 v[193:196], v48, off
	scratch_load_b32 v48, off, off offset:1160 ; 4-byte Folded Reload
	s_waitcnt vmcnt(0)
	scratch_load_b128 v[197:200], v48, off
	scratch_load_b32 v48, off, off offset:1156 ; 4-byte Folded Reload
	s_waitcnt vmcnt(0)
	scratch_load_b128 v[201:204], v48, off
	scratch_load_b32 v48, off, off offset:1148 ; 4-byte Folded Reload
	s_waitcnt vmcnt(0)
	scratch_load_b128 v[231:234], v48, off
	scratch_load_b32 v48, off, off offset:1140 ; 4-byte Folded Reload
	s_waitcnt vmcnt(0)
	scratch_load_b128 v[235:238], v48, off
	scratch_load_b32 v48, off, off offset:1136 ; 4-byte Folded Reload
	s_waitcnt vmcnt(0)
	scratch_load_b128 v[239:242], v48, off
	scratch_load_b32 v48, off, off offset:1132 ; 4-byte Folded Reload
	s_waitcnt vmcnt(0)
	scratch_load_b128 v[243:246], v48, off
	scratch_load_b32 v48, off, off offset:1124 ; 4-byte Folded Reload
	global_store_b128 v[50:51], v[0:3], off
	scratch_load_b32 v0, off, off offset:1116 ; 4-byte Folded Reload
	s_waitcnt vmcnt(1)
	scratch_load_b128 v[247:250], v48, off
	s_waitcnt vmcnt(1)
	scratch_load_b128 v[0:3], v0, off
	scratch_load_b32 v48, off, off offset:1112 ; 4-byte Folded Reload
	s_waitcnt vmcnt(0)
	scratch_load_b128 v[48:51], v48, off
	scratch_load_b64 v[52:53], off, off offset:1220 ; 8-byte Folded Reload
	s_waitcnt vmcnt(0)
	global_store_b128 v[52:53], v[4:7], off
	scratch_load_b32 v4, off, off offset:1100 ; 4-byte Folded Reload
	s_waitcnt vmcnt(0)
	scratch_load_b128 v[4:7], v4, off
	scratch_load_b32 v52, off, off offset:1096 ; 4-byte Folded Reload
	s_waitcnt vmcnt(0)
	scratch_load_b128 v[251:254], v52, off
	scratch_load_b64 v[52:53], off, off offset:1228 ; 8-byte Folded Reload
	s_waitcnt vmcnt(0)
	global_store_b128 v[52:53], v[8:11], off
	scratch_load_b32 v8, off, off offset:1084 ; 4-byte Folded Reload
	;; [unrolled: 9-line block ×19, first 2 shown]
	s_waitcnt vmcnt(0)
	scratch_load_b128 v[238:241], v88, off
	scratch_load_b32 v88, off, off offset:1216 ; 4-byte Folded Reload
	s_waitcnt vmcnt(0)
	scratch_load_b128 v[88:91], v88, off
	scratch_load_b64 v[92:93], off, off offset:1372 ; 8-byte Folded Reload
	s_waitcnt vmcnt(0)
	global_store_b128 v[92:93], v[243:246], off
	scratch_load_b64 v[92:93], off, off offset:1380 ; 8-byte Folded Reload
	s_waitcnt vmcnt(0)
	global_store_b128 v[92:93], v[247:250], off
	;; [unrolled: 3-line block ×12, first 2 shown]
	scratch_load_b64 v[0:1], off, off offset:1476 ; 8-byte Folded Reload
	s_waitcnt vmcnt(0)
	s_clause 0x1c
	global_store_b128 v[0:1], v[20:23], off
	global_store_b128 v[118:119], v[217:220], off
	;; [unrolled: 1-line block ×29, first 2 shown]
	scratch_load_b64 v[0:1], off, off offset:1428 ; 8-byte Folded Reload
	s_waitcnt vmcnt(0)
	global_store_b128 v[0:1], v[88:91], off
	s_endpgm
	.section	.rodata,"a",@progbits
	.p2align	6, 0x0
	.amdhsa_kernel _ZN9rocsolver6v33100L18getri_kernel_smallILi62E19rocblas_complex_numIdEPKPS3_EEvT1_iilPiilS8_bb
		.amdhsa_group_segment_fixed_size 3016
		.amdhsa_private_segment_fixed_size 1488
		.amdhsa_kernarg_size 60
		.amdhsa_user_sgpr_count 15
		.amdhsa_user_sgpr_dispatch_ptr 1
		.amdhsa_user_sgpr_queue_ptr 0
		.amdhsa_user_sgpr_kernarg_segment_ptr 1
		.amdhsa_user_sgpr_dispatch_id 0
		.amdhsa_user_sgpr_private_segment_size 0
		.amdhsa_wavefront_size32 1
		.amdhsa_uses_dynamic_stack 0
		.amdhsa_enable_private_segment 1
		.amdhsa_system_sgpr_workgroup_id_x 1
		.amdhsa_system_sgpr_workgroup_id_y 0
		.amdhsa_system_sgpr_workgroup_id_z 0
		.amdhsa_system_sgpr_workgroup_info 0
		.amdhsa_system_vgpr_workitem_id 2
		.amdhsa_next_free_vgpr 256
		.amdhsa_next_free_sgpr 68
		.amdhsa_reserve_vcc 1
		.amdhsa_float_round_mode_32 0
		.amdhsa_float_round_mode_16_64 0
		.amdhsa_float_denorm_mode_32 3
		.amdhsa_float_denorm_mode_16_64 3
		.amdhsa_dx10_clamp 1
		.amdhsa_ieee_mode 1
		.amdhsa_fp16_overflow 0
		.amdhsa_workgroup_processor_mode 1
		.amdhsa_memory_ordered 1
		.amdhsa_forward_progress 0
		.amdhsa_shared_vgpr_count 0
		.amdhsa_exception_fp_ieee_invalid_op 0
		.amdhsa_exception_fp_denorm_src 0
		.amdhsa_exception_fp_ieee_div_zero 0
		.amdhsa_exception_fp_ieee_overflow 0
		.amdhsa_exception_fp_ieee_underflow 0
		.amdhsa_exception_fp_ieee_inexact 0
		.amdhsa_exception_int_div_zero 0
	.end_amdhsa_kernel
	.section	.text._ZN9rocsolver6v33100L18getri_kernel_smallILi62E19rocblas_complex_numIdEPKPS3_EEvT1_iilPiilS8_bb,"axG",@progbits,_ZN9rocsolver6v33100L18getri_kernel_smallILi62E19rocblas_complex_numIdEPKPS3_EEvT1_iilPiilS8_bb,comdat
.Lfunc_end125:
	.size	_ZN9rocsolver6v33100L18getri_kernel_smallILi62E19rocblas_complex_numIdEPKPS3_EEvT1_iilPiilS8_bb, .Lfunc_end125-_ZN9rocsolver6v33100L18getri_kernel_smallILi62E19rocblas_complex_numIdEPKPS3_EEvT1_iilPiilS8_bb
                                        ; -- End function
	.section	.AMDGPU.csdata,"",@progbits
; Kernel info:
; codeLenInByte = 179684
; NumSgprs: 70
; NumVgprs: 256
; ScratchSize: 1488
; MemoryBound: 0
; FloatMode: 240
; IeeeMode: 1
; LDSByteSize: 3016 bytes/workgroup (compile time only)
; SGPRBlocks: 8
; VGPRBlocks: 31
; NumSGPRsForWavesPerEU: 70
; NumVGPRsForWavesPerEU: 256
; Occupancy: 5
; WaveLimiterHint : 1
; COMPUTE_PGM_RSRC2:SCRATCH_EN: 1
; COMPUTE_PGM_RSRC2:USER_SGPR: 15
; COMPUTE_PGM_RSRC2:TRAP_HANDLER: 0
; COMPUTE_PGM_RSRC2:TGID_X_EN: 1
; COMPUTE_PGM_RSRC2:TGID_Y_EN: 0
; COMPUTE_PGM_RSRC2:TGID_Z_EN: 0
; COMPUTE_PGM_RSRC2:TIDIG_COMP_CNT: 2
	.section	.text._ZN9rocsolver6v33100L18getri_kernel_smallILi63E19rocblas_complex_numIdEPKPS3_EEvT1_iilPiilS8_bb,"axG",@progbits,_ZN9rocsolver6v33100L18getri_kernel_smallILi63E19rocblas_complex_numIdEPKPS3_EEvT1_iilPiilS8_bb,comdat
	.globl	_ZN9rocsolver6v33100L18getri_kernel_smallILi63E19rocblas_complex_numIdEPKPS3_EEvT1_iilPiilS8_bb ; -- Begin function _ZN9rocsolver6v33100L18getri_kernel_smallILi63E19rocblas_complex_numIdEPKPS3_EEvT1_iilPiilS8_bb
	.p2align	8
	.type	_ZN9rocsolver6v33100L18getri_kernel_smallILi63E19rocblas_complex_numIdEPKPS3_EEvT1_iilPiilS8_bb,@function
_ZN9rocsolver6v33100L18getri_kernel_smallILi63E19rocblas_complex_numIdEPKPS3_EEvT1_iilPiilS8_bb: ; @_ZN9rocsolver6v33100L18getri_kernel_smallILi63E19rocblas_complex_numIdEPKPS3_EEvT1_iilPiilS8_bb
; %bb.0:
	v_and_b32_e32 v179, 0x3ff, v0
	s_mov_b32 s4, exec_lo
	s_delay_alu instid0(VALU_DEP_1)
	v_cmpx_gt_u32_e32 63, v179
	s_cbranch_execz .LBB126_278
; %bb.1:
	s_mov_b32 s10, s15
	s_clause 0x2
	s_load_b32 s15, s[2:3], 0x38
	s_load_b64 s[8:9], s[2:3], 0x0
	s_load_b128 s[4:7], s[2:3], 0x28
	s_waitcnt lgkmcnt(0)
	s_bitcmp1_b32 s15, 8
	s_cselect_b32 s14, -1, 0
	s_ashr_i32 s11, s10, 31
	s_delay_alu instid0(SALU_CYCLE_1) | instskip(NEXT) | instid1(SALU_CYCLE_1)
	s_lshl_b64 s[12:13], s[10:11], 3
	s_add_u32 s8, s8, s12
	s_addc_u32 s9, s9, s13
	s_load_b64 s[12:13], s[8:9], 0x0
	s_bfe_u32 s8, s15, 0x10008
	s_delay_alu instid0(SALU_CYCLE_1)
	s_cmp_eq_u32 s8, 0
                                        ; implicit-def: $sgpr8_sgpr9
	s_cbranch_scc1 .LBB126_3
; %bb.2:
	s_clause 0x1
	s_load_b32 s8, s[2:3], 0x20
	s_load_b64 s[16:17], s[2:3], 0x18
	s_mul_i32 s5, s10, s5
	s_mul_hi_u32 s9, s10, s4
	s_mul_i32 s18, s11, s4
	s_add_i32 s5, s9, s5
	s_mul_i32 s4, s10, s4
	s_add_i32 s5, s5, s18
	s_delay_alu instid0(SALU_CYCLE_1)
	s_lshl_b64 s[4:5], s[4:5], 2
	s_waitcnt lgkmcnt(0)
	s_ashr_i32 s9, s8, 31
	s_add_u32 s16, s16, s4
	s_addc_u32 s17, s17, s5
	s_lshl_b64 s[4:5], s[8:9], 2
	s_delay_alu instid0(SALU_CYCLE_1)
	s_add_u32 s8, s16, s4
	s_addc_u32 s9, s17, s5
.LBB126_3:
	s_load_b64 s[2:3], s[2:3], 0x8
	v_lshlrev_b32_e32 v239, 4, v179
	s_movk_i32 s18, 0xd0
	s_movk_i32 s19, 0xe0
	;; [unrolled: 1-line block ×18, first 2 shown]
	s_waitcnt lgkmcnt(0)
	v_add3_u32 v5, s3, s3, v179
	s_ashr_i32 s5, s2, 31
	s_mov_b32 s4, s2
	s_mov_b32 s16, s3
	s_lshl_b64 s[4:5], s[4:5], 4
	v_ashrrev_i32_e32 v6, 31, v5
	s_add_u32 s4, s12, s4
	s_addc_u32 s5, s13, s5
	v_add_nc_u32_e32 v7, s3, v5
	v_add_co_u32 v53, s2, s4, v239
	s_ashr_i32 s17, s3, 31
	v_add_co_ci_u32_e64 v54, null, s5, 0, s2
	v_lshlrev_b64 v[5:6], 4, v[5:6]
	s_lshl_b64 s[12:13], s[16:17], 4
	v_add_nc_u32_e32 v9, s3, v7
	v_add_co_u32 v14, vcc_lo, v53, s12
	v_ashrrev_i32_e32 v8, 31, v7
	v_add_co_ci_u32_e32 v15, vcc_lo, s13, v54, vcc_lo
	v_add_co_u32 v17, vcc_lo, s4, v5
	v_add_nc_u32_e32 v13, s3, v9
	v_add_co_ci_u32_e32 v18, vcc_lo, s5, v6, vcc_lo
	v_lshlrev_b64 v[11:12], 4, v[7:8]
	v_ashrrev_i32_e32 v10, 31, v9
	scratch_store_b64 off, v[14:15], off offset:1060 ; 8-byte Folded Spill
	s_clause 0x1
	global_load_b128 v[5:8], v[14:15], off
	global_load_b128 v[141:144], v[17:18], off
	v_ashrrev_i32_e32 v14, 31, v13
	v_add_nc_u32_e32 v15, s3, v13
	v_lshlrev_b64 v[9:10], 4, v[9:10]
	v_add_co_u32 v19, vcc_lo, s4, v11
	v_add_co_ci_u32_e32 v20, vcc_lo, s5, v12, vcc_lo
	v_lshlrev_b64 v[11:12], 4, v[13:14]
	v_ashrrev_i32_e32 v16, 31, v15
	v_add_nc_u32_e32 v13, s3, v15
	v_add_co_u32 v21, vcc_lo, s4, v9
	v_add_co_ci_u32_e32 v22, vcc_lo, s5, v10, vcc_lo
	s_delay_alu instid0(VALU_DEP_4) | instskip(NEXT) | instid1(VALU_DEP_4)
	v_lshlrev_b64 v[9:10], 4, v[15:16]
	v_ashrrev_i32_e32 v14, 31, v13
	v_add_nc_u32_e32 v15, s3, v13
	v_add_co_u32 v23, vcc_lo, s4, v11
	v_add_co_ci_u32_e32 v24, vcc_lo, s5, v12, vcc_lo
	s_delay_alu instid0(VALU_DEP_4) | instskip(NEXT) | instid1(VALU_DEP_4)
	;; [unrolled: 6-line block ×8, first 2 shown]
	v_lshlrev_b64 v[11:12], 4, v[13:14]
	v_ashrrev_i32_e32 v16, 31, v15
	v_add_nc_u32_e32 v13, s3, v15
	s_clause 0x2
	scratch_store_b64 off, v[17:18], off offset:1068
	scratch_store_b64 off, v[19:20], off offset:1076
	;; [unrolled: 1-line block ×3, first 2 shown]
	v_add_co_u32 v17, vcc_lo, s4, v9
	v_add_co_ci_u32_e32 v18, vcc_lo, s5, v10, vcc_lo
	v_lshlrev_b64 v[9:10], 4, v[15:16]
	v_ashrrev_i32_e32 v14, 31, v13
	v_add_nc_u32_e32 v15, s3, v13
	s_clause 0x1
	global_load_b128 v[145:148], v[19:20], off
	global_load_b128 v[184:187], v[17:18], off
	v_add_co_u32 v19, vcc_lo, s4, v11
	v_add_co_ci_u32_e32 v20, vcc_lo, s5, v12, vcc_lo
	v_lshlrev_b64 v[11:12], 4, v[13:14]
	v_ashrrev_i32_e32 v16, 31, v15
	v_add_nc_u32_e32 v13, s3, v15
	s_clause 0x1
	global_load_b128 v[149:152], v[21:22], off
	global_load_b128 v[153:156], v[23:24], off
	v_add_co_u32 v21, vcc_lo, s4, v9
	v_add_co_ci_u32_e32 v22, vcc_lo, s5, v10, vcc_lo
	v_lshlrev_b64 v[9:10], 4, v[15:16]
	v_ashrrev_i32_e32 v14, 31, v13
	v_add_nc_u32_e32 v15, s3, v13
	s_clause 0x3
	scratch_store_b64 off, v[23:24], off offset:1092
	scratch_store_b64 off, v[25:26], off offset:1100
	;; [unrolled: 1-line block ×4, first 2 shown]
	v_add_co_u32 v23, vcc_lo, s4, v11
	v_add_co_ci_u32_e32 v24, vcc_lo, s5, v12, vcc_lo
	v_lshlrev_b64 v[11:12], 4, v[13:14]
	v_ashrrev_i32_e32 v16, 31, v15
	v_add_nc_u32_e32 v13, s3, v15
	s_clause 0x1
	global_load_b128 v[157:160], v[25:26], off
	global_load_b128 v[161:164], v[27:28], off
	v_add_co_u32 v25, vcc_lo, s4, v9
	v_add_co_ci_u32_e32 v26, vcc_lo, s5, v10, vcc_lo
	v_lshlrev_b64 v[9:10], 4, v[15:16]
	v_ashrrev_i32_e32 v14, 31, v13
	v_add_nc_u32_e32 v15, s3, v13
	v_add_co_u32 v27, vcc_lo, s4, v11
	v_add_co_ci_u32_e32 v28, vcc_lo, s5, v12, vcc_lo
	s_delay_alu instid0(VALU_DEP_4) | instskip(NEXT) | instid1(VALU_DEP_4)
	v_lshlrev_b64 v[11:12], 4, v[13:14]
	v_ashrrev_i32_e32 v16, 31, v15
	v_add_nc_u32_e32 v13, s3, v15
	s_clause 0x2
	global_load_b128 v[1:4], v239, s[4:5]
	global_load_b128 v[165:168], v[29:30], off
	global_load_b128 v[169:172], v[31:32], off
	v_add_co_u32 v29, vcc_lo, s4, v9
	v_add_co_ci_u32_e32 v30, vcc_lo, s5, v10, vcc_lo
	v_lshlrev_b64 v[9:10], 4, v[15:16]
	v_ashrrev_i32_e32 v14, 31, v13
	v_add_nc_u32_e32 v15, s3, v13
	s_clause 0x3
	scratch_store_b64 off, v[31:32], off offset:1124
	scratch_store_b64 off, v[33:34], off offset:1132
	;; [unrolled: 1-line block ×4, first 2 shown]
	v_add_co_u32 v17, vcc_lo, s4, v11
	v_add_co_ci_u32_e32 v18, vcc_lo, s5, v12, vcc_lo
	v_lshlrev_b64 v[11:12], 4, v[13:14]
	v_ashrrev_i32_e32 v16, 31, v15
	v_add_nc_u32_e32 v13, s3, v15
	s_clause 0x3
	scratch_store_b64 off, v[19:20], off offset:1156
	scratch_store_b64 off, v[21:22], off offset:1164
	;; [unrolled: 1-line block ×4, first 2 shown]
	s_clause 0x1
	global_load_b128 v[188:191], v[19:20], off
	global_load_b128 v[212:215], v[17:18], off
	v_add_co_u32 v19, vcc_lo, s4, v9
	v_add_co_ci_u32_e32 v20, vcc_lo, s5, v10, vcc_lo
	v_lshlrev_b64 v[9:10], 4, v[15:16]
	v_ashrrev_i32_e32 v14, 31, v13
	v_add_nc_u32_e32 v15, s3, v13
	v_add_co_u32 v31, vcc_lo, s4, v11
	v_add_co_ci_u32_e32 v32, vcc_lo, s5, v12, vcc_lo
	s_delay_alu instid0(VALU_DEP_4) | instskip(NEXT) | instid1(VALU_DEP_4)
	v_lshlrev_b64 v[11:12], 4, v[13:14]
	v_ashrrev_i32_e32 v16, 31, v15
	v_add_nc_u32_e32 v13, s3, v15
	s_clause 0x1
	global_load_b128 v[192:195], v[21:22], off
	global_load_b128 v[196:199], v[23:24], off
	v_add_co_u32 v21, vcc_lo, s4, v9
	v_add_co_ci_u32_e32 v22, vcc_lo, s5, v10, vcc_lo
	v_lshlrev_b64 v[9:10], 4, v[15:16]
	v_ashrrev_i32_e32 v14, 31, v13
	v_add_nc_u32_e32 v15, s3, v13
	v_add_co_u32 v23, vcc_lo, s4, v11
	v_add_co_ci_u32_e32 v24, vcc_lo, s5, v12, vcc_lo
	s_delay_alu instid0(VALU_DEP_4) | instskip(NEXT) | instid1(VALU_DEP_4)
	v_lshlrev_b64 v[11:12], 4, v[13:14]
	v_ashrrev_i32_e32 v16, 31, v15
	v_add_nc_u32_e32 v13, s3, v15
	s_clause 0x3
	scratch_store_b64 off, v[27:28], off offset:1188
	scratch_store_b64 off, v[29:30], off offset:1196
	;; [unrolled: 1-line block ×4, first 2 shown]
	v_add_co_u32 v17, vcc_lo, s4, v9
	v_add_co_ci_u32_e32 v18, vcc_lo, s5, v10, vcc_lo
	v_lshlrev_b64 v[9:10], 4, v[15:16]
	v_ashrrev_i32_e32 v14, 31, v13
	v_add_co_u32 v15, vcc_lo, s4, v11
	v_add_co_ci_u32_e32 v16, vcc_lo, s5, v12, vcc_lo
	s_delay_alu instid0(VALU_DEP_3)
	v_lshlrev_b64 v[11:12], 4, v[13:14]
	v_add_co_u32 v9, vcc_lo, s4, v9
	v_add_co_ci_u32_e32 v10, vcc_lo, s5, v10, vcc_lo
	scratch_store_b64 off, v[15:16], off offset:1252 ; 8-byte Folded Spill
	v_add_co_u32 v11, vcc_lo, s4, v11
	v_add_co_ci_u32_e32 v12, vcc_lo, s5, v12, vcc_lo
	scratch_store_b64 off, v[9:10], off offset:1260 ; 8-byte Folded Spill
	global_load_b128 v[244:247], v[9:10], off
	v_add_nc_u32_e32 v9, s3, v13
	scratch_store_b64 off, v[11:12], off offset:1268 ; 8-byte Folded Spill
	s_clause 0x3
	global_load_b128 v[240:243], v[15:16], off
	global_load_b128 v[248:251], v[11:12], off
	;; [unrolled: 1-line block ×4, first 2 shown]
	v_ashrrev_i32_e32 v10, 31, v9
	v_add_nc_u32_e32 v11, s3, v9
	s_clause 0x3
	global_load_b128 v[200:203], v[25:26], off
	global_load_b128 v[204:207], v[27:28], off
	;; [unrolled: 1-line block ×4, first 2 shown]
	v_lshlrev_b64 v[9:10], 4, v[9:10]
	v_ashrrev_i32_e32 v12, 31, v11
	s_clause 0x3
	global_load_b128 v[216:219], v[19:20], off
	global_load_b128 v[224:227], v[21:22], off
	;; [unrolled: 1-line block ×4, first 2 shown]
	v_add_co_u32 v13, vcc_lo, s4, v9
	v_add_co_ci_u32_e32 v14, vcc_lo, s5, v10, vcc_lo
	v_lshlrev_b64 v[9:10], 4, v[11:12]
	v_add_nc_u32_e32 v11, s3, v11
	s_clause 0x3
	scratch_store_b64 off, v[31:32], off offset:1220
	scratch_store_b64 off, v[21:22], off offset:1228
	;; [unrolled: 1-line block ×4, first 2 shown]
	global_load_b128 v[41:44], v[13:14], off
	scratch_store_b64 off, v[13:14], off offset:1276 ; 8-byte Folded Spill
	v_add_co_u32 v13, vcc_lo, s4, v9
	v_add_nc_u32_e32 v9, s3, v11
	v_add_co_ci_u32_e32 v14, vcc_lo, s5, v10, vcc_lo
	v_ashrrev_i32_e32 v12, 31, v11
	s_movk_i32 s2, 0x50
	s_delay_alu instid0(VALU_DEP_3)
	v_ashrrev_i32_e32 v10, 31, v9
	global_load_b128 v[37:40], v[13:14], off
	scratch_store_b64 off, v[13:14], off offset:1284 ; 8-byte Folded Spill
	v_lshlrev_b64 v[11:12], 4, v[11:12]
	s_movk_i32 s12, 0x90
	v_lshlrev_b64 v[13:14], 4, v[9:10]
	v_add_nc_u32_e32 v9, s3, v9
	s_movk_i32 s13, 0xa0
	s_movk_i32 s16, 0xb0
	v_add_co_u32 v10, vcc_lo, s4, v11
	v_add_co_ci_u32_e32 v11, vcc_lo, s5, v12, vcc_lo
	v_add_co_u32 v12, vcc_lo, s4, v13
	v_add_co_ci_u32_e32 v13, vcc_lo, s5, v14, vcc_lo
	global_load_b128 v[29:32], v[10:11], off
	scratch_store_b64 off, v[10:11], off offset:1292 ; 8-byte Folded Spill
	s_movk_i32 s17, 0xc0
	global_load_b128 v[33:36], v[12:13], off
	v_ashrrev_i32_e32 v10, 31, v9
	v_add_nc_u32_e32 v11, s3, v9
	s_movk_i32 s37, 0x1f0
	s_movk_i32 s38, 0x200
	;; [unrolled: 1-line block ×3, first 2 shown]
	v_lshlrev_b64 v[9:10], 4, v[9:10]
	s_movk_i32 s40, 0x220
	s_movk_i32 s41, 0x230
	;; [unrolled: 1-line block ×5, first 2 shown]
	v_add_co_u32 v9, vcc_lo, s4, v9
	v_add_co_ci_u32_e32 v10, vcc_lo, s5, v10, vcc_lo
	scratch_store_b64 off, v[12:13], off offset:1300 ; 8-byte Folded Spill
	v_add_nc_u32_e32 v13, s3, v11
	v_ashrrev_i32_e32 v12, 31, v11
	s_movk_i32 s45, 0x270
	s_movk_i32 s46, 0x280
	;; [unrolled: 1-line block ×3, first 2 shown]
	v_add_nc_u32_e32 v15, s3, v13
	v_ashrrev_i32_e32 v14, 31, v13
	v_lshlrev_b64 v[11:12], 4, v[11:12]
	s_movk_i32 s48, 0x2a0
	s_movk_i32 s49, 0x2b0
	v_add_nc_u32_e32 v17, s3, v15
	v_ashrrev_i32_e32 v16, 31, v15
	v_lshlrev_b64 v[13:14], 4, v[13:14]
	v_add_co_u32 v19, vcc_lo, s4, v11
	s_delay_alu instid0(VALU_DEP_4)
	v_add_nc_u32_e32 v21, s3, v17
	v_ashrrev_i32_e32 v18, 31, v17
	v_lshlrev_b64 v[15:16], 4, v[15:16]
	v_add_co_ci_u32_e32 v20, vcc_lo, s5, v12, vcc_lo
	scratch_store_b64 off, v[9:10], off offset:1308 ; 8-byte Folded Spill
	v_add_nc_u32_e32 v25, s3, v21
	v_ashrrev_i32_e32 v22, 31, v21
	scratch_store_b64 off, v[19:20], off offset:1316 ; 8-byte Folded Spill
	v_add_co_u32 v13, vcc_lo, s4, v13
	v_add_nc_u32_e32 v45, s3, v25
	v_lshlrev_b64 v[23:24], 4, v[17:18]
	v_ashrrev_i32_e32 v26, 31, v25
	v_add_co_ci_u32_e32 v14, vcc_lo, s5, v14, vcc_lo
	s_delay_alu instid0(VALU_DEP_4)
	v_add_nc_u32_e32 v49, s3, v45
	v_add_co_u32 v27, vcc_lo, s4, v15
	v_lshlrev_b64 v[21:22], 4, v[21:22]
	v_ashrrev_i32_e32 v46, 31, v45
	v_add_co_ci_u32_e32 v28, vcc_lo, s5, v16, vcc_lo
	v_add_co_u32 v23, vcc_lo, s4, v23
	v_lshlrev_b64 v[47:48], 4, v[25:26]
	v_add_nc_u32_e32 v57, s3, v49
	v_add_co_ci_u32_e32 v24, vcc_lo, s5, v24, vcc_lo
	v_add_co_u32 v127, vcc_lo, s4, v21
	v_ashrrev_i32_e32 v50, 31, v49
	v_lshlrev_b64 v[55:56], 4, v[45:46]
	v_add_co_ci_u32_e32 v128, vcc_lo, s5, v22, vcc_lo
	v_add_co_u32 v129, vcc_lo, s4, v47
	v_ashrrev_i32_e32 v58, 31, v57
	v_add_nc_u32_e32 v61, s3, v57
	v_add_co_ci_u32_e32 v130, vcc_lo, s5, v48, vcc_lo
	v_lshlrev_b64 v[59:60], 4, v[49:50]
	v_add_co_u32 v131, vcc_lo, s4, v55
	v_add_co_ci_u32_e32 v132, vcc_lo, s5, v56, vcc_lo
	v_lshlrev_b64 v[55:56], 4, v[57:58]
	v_ashrrev_i32_e32 v62, 31, v61
	v_add_nc_u32_e32 v57, s3, v61
	v_add_co_u32 v133, vcc_lo, s4, v59
	v_add_co_ci_u32_e32 v134, vcc_lo, s5, v60, vcc_lo
	s_delay_alu instid0(VALU_DEP_4) | instskip(NEXT) | instid1(VALU_DEP_4)
	v_lshlrev_b64 v[59:60], 4, v[61:62]
	v_add_nc_u32_e32 v61, s3, v57
	v_add_co_u32 v135, vcc_lo, s4, v55
	v_add_co_ci_u32_e32 v136, vcc_lo, s5, v56, vcc_lo
	s_delay_alu instid0(VALU_DEP_3) | instskip(SKIP_3) | instid1(VALU_DEP_4)
	v_ashrrev_i32_e32 v62, 31, v61
	v_add_nc_u32_e32 v63, s3, v61
	v_add_co_u32 v137, vcc_lo, s4, v59
	v_add_co_ci_u32_e32 v138, vcc_lo, s5, v60, vcc_lo
	v_lshlrev_b64 v[59:60], 4, v[61:62]
	s_delay_alu instid0(VALU_DEP_4)
	v_add_nc_u32_e32 v61, s3, v63
	v_ashrrev_i32_e32 v58, 31, v57
	v_ashrrev_i32_e32 v64, 31, v63
	s_clause 0x2
	scratch_store_b64 off, v[13:14], off offset:1324
	scratch_store_b64 off, v[27:28], off offset:1332
	;; [unrolled: 1-line block ×3, first 2 shown]
	v_add_nc_u32_e32 v67, s3, v61
	v_lshlrev_b64 v[55:56], 4, v[57:58]
	v_ashrrev_i32_e32 v62, 31, v61
	v_lshlrev_b64 v[63:64], 4, v[63:64]
	s_clause 0x1
	global_load_b128 v[9:12], v[9:10], off
	global_load_b128 v[13:16], v[13:14], off
	v_add_nc_u32_e32 v71, s3, v67
	v_add_co_u32 v139, vcc_lo, s4, v55
	v_ashrrev_i32_e32 v68, 31, v67
	s_clause 0x4
	global_load_b128 v[17:20], v[19:20], off
	global_load_b128 v[21:24], v[23:24], off
	;; [unrolled: 1-line block ×5, first 2 shown]
	v_add_co_ci_u32_e32 v140, vcc_lo, s5, v56, vcc_lo
	v_add_nc_u32_e32 v89, s3, v71
	v_lshlrev_b64 v[69:70], 4, v[61:62]
	v_ashrrev_i32_e32 v72, 31, v71
	v_lshlrev_b64 v[67:68], 4, v[67:68]
	s_movk_i32 s50, 0x2c0
	v_ashrrev_i32_e32 v90, 31, v89
	v_add_nc_u32_e32 v93, s3, v89
	v_lshlrev_b64 v[91:92], 4, v[71:72]
	s_movk_i32 s51, 0x2d0
	s_movk_i32 s52, 0x2e0
	v_lshlrev_b64 v[89:90], 4, v[89:90]
	v_add_nc_u32_e32 v95, s3, v93
	v_ashrrev_i32_e32 v94, 31, v93
	s_movk_i32 s53, 0x2f0
	s_movk_i32 s54, 0x300
	s_movk_i32 s55, 0x310
	v_ashrrev_i32_e32 v96, 31, v95
	s_movk_i32 s56, 0x320
	s_movk_i32 s57, 0x330
	;; [unrolled: 1-line block ×13, first 2 shown]
	v_add_nc_u32_e64 v237, 0, 16
	v_add_nc_u32_e64 v78, s23, 0
	;; [unrolled: 1-line block ×6, first 2 shown]
	s_bitcmp0_b32 s15, 0
	s_waitcnt vmcnt(30)
	scratch_store_b128 off, v[1:4], off
	s_clause 0x1
	global_load_b128 v[1:4], v[131:132], off
	global_load_b128 v[252:255], v[133:134], off
	s_clause 0x2
	scratch_store_b128 off, v[5:8], off offset:16
	scratch_store_b128 off, v[141:144], off offset:32
	;; [unrolled: 1-line block ×3, first 2 shown]
	v_add_co_u32 v141, vcc_lo, s4, v59
	v_add_co_ci_u32_e32 v142, vcc_lo, s5, v60, vcc_lo
	v_add_co_u32 v143, vcc_lo, s4, v63
	v_add_co_ci_u32_e32 v144, vcc_lo, s5, v64, vcc_lo
	v_add_co_u32 v145, vcc_lo, s4, v69
	v_add_co_ci_u32_e32 v146, vcc_lo, s5, v70, vcc_lo
	v_add_co_u32 v147, vcc_lo, s4, v67
	v_add_co_ci_u32_e32 v148, vcc_lo, s5, v68, vcc_lo
	s_clause 0x1
	global_load_b128 v[5:8], v[135:136], off
	global_load_b128 v[55:58], v[137:138], off
	scratch_store_b128 off, v[149:152], off offset:64
	v_add_co_u32 v149, vcc_lo, s4, v91
	v_add_co_ci_u32_e32 v150, vcc_lo, s5, v92, vcc_lo
	v_add_co_u32 v151, vcc_lo, s4, v89
	v_add_nc_u32_e32 v89, s3, v95
	v_lshlrev_b64 v[91:92], 4, v[93:94]
	v_lshlrev_b64 v[93:94], 4, v[95:96]
	v_add_co_ci_u32_e32 v152, vcc_lo, s5, v90, vcc_lo
	s_delay_alu instid0(VALU_DEP_4)
	v_add_nc_u32_e32 v95, s3, v89
	v_ashrrev_i32_e32 v90, 31, v89
	s_clause 0x1
	scratch_store_b128 off, v[153:156], off offset:80
	scratch_store_b128 off, v[157:160], off offset:96
	v_add_co_u32 v153, vcc_lo, s4, v91
	v_ashrrev_i32_e32 v96, 31, v95
	v_add_nc_u32_e32 v91, s3, v95
	v_add_co_ci_u32_e32 v154, vcc_lo, s5, v92, vcc_lo
	v_lshlrev_b64 v[89:90], 4, v[89:90]
	v_add_co_u32 v155, vcc_lo, s4, v93
	v_add_co_ci_u32_e32 v156, vcc_lo, s5, v94, vcc_lo
	v_lshlrev_b64 v[93:94], 4, v[95:96]
	v_ashrrev_i32_e32 v92, 31, v91
	v_add_nc_u32_e32 v95, s3, v91
	v_add_co_u32 v157, vcc_lo, s4, v89
	v_add_co_ci_u32_e32 v158, vcc_lo, s5, v90, vcc_lo
	s_delay_alu instid0(VALU_DEP_4) | instskip(NEXT) | instid1(VALU_DEP_4)
	v_lshlrev_b64 v[89:90], 4, v[91:92]
	v_ashrrev_i32_e32 v96, 31, v95
	v_add_nc_u32_e32 v91, s3, v95
	v_add_co_u32 v159, vcc_lo, s4, v93
	v_add_co_ci_u32_e32 v160, vcc_lo, s5, v94, vcc_lo
	s_delay_alu instid0(VALU_DEP_4) | instskip(NEXT) | instid1(VALU_DEP_4)
	v_lshlrev_b64 v[93:94], 4, v[95:96]
	v_ashrrev_i32_e32 v92, 31, v91
	v_add_nc_u32_e32 v95, s3, v91
	s_clause 0x1
	global_load_b128 v[59:62], v[139:140], off
	global_load_b128 v[63:66], v[141:142], off
	scratch_store_b128 off, v[161:164], off offset:112
	v_add_co_u32 v161, vcc_lo, s4, v89
	v_add_co_ci_u32_e32 v162, vcc_lo, s5, v90, vcc_lo
	v_lshlrev_b64 v[89:90], 4, v[91:92]
	v_ashrrev_i32_e32 v96, 31, v95
	v_add_nc_u32_e32 v91, s3, v95
	v_add_co_u32 v163, vcc_lo, s4, v93
	v_add_co_ci_u32_e32 v164, vcc_lo, s5, v94, vcc_lo
	s_delay_alu instid0(VALU_DEP_4) | instskip(NEXT) | instid1(VALU_DEP_4)
	v_lshlrev_b64 v[93:94], 4, v[95:96]
	v_add_nc_u32_e32 v95, s3, v91
	v_ashrrev_i32_e32 v92, 31, v91
	s_waitcnt vmcnt(35)
	scratch_store_b128 off, v[165:168], off offset:128
	s_waitcnt vmcnt(34)
	scratch_store_b128 off, v[169:172], off offset:144
	v_add_co_u32 v165, vcc_lo, s4, v89
	v_ashrrev_i32_e32 v96, 31, v95
	v_add_co_ci_u32_e32 v166, vcc_lo, s5, v90, vcc_lo
	v_lshlrev_b64 v[89:90], 4, v[91:92]
	v_add_co_u32 v167, vcc_lo, s4, v93
	s_delay_alu instid0(VALU_DEP_4) | instskip(SKIP_1) | instid1(VALU_DEP_4)
	v_lshlrev_b64 v[91:92], 4, v[95:96]
	v_add_co_ci_u32_e32 v168, vcc_lo, s5, v94, vcc_lo
	v_add_co_u32 v169, vcc_lo, s4, v89
	s_clause 0x1
	global_load_b128 v[67:70], v[143:144], off
	global_load_b128 v[71:74], v[145:146], off
	s_waitcnt vmcnt(28)
	scratch_store_b128 off, v[173:176], off offset:160
	s_waitcnt vmcnt(27)
	s_clause 0x1
	scratch_store_b128 off, v[180:183], off offset:176
	scratch_store_b128 off, v[184:187], off offset:192
	v_add_nc_u32_e32 v89, s3, v95
	s_clause 0x1
	global_load_b128 v[180:183], v[147:148], off
	global_load_b128 v[184:187], v[149:150], off
	s_clause 0x2
	scratch_store_b128 off, v[188:191], off offset:208
	scratch_store_b128 off, v[192:195], off offset:224
	;; [unrolled: 1-line block ×3, first 2 shown]
	v_add_co_ci_u32_e32 v170, vcc_lo, s5, v90, vcc_lo
	s_clause 0x1
	global_load_b128 v[188:191], v[151:152], off
	global_load_b128 v[192:195], v[153:154], off
	s_waitcnt vmcnt(30)
	scratch_store_b128 off, v[200:203], off offset:256
	s_waitcnt vmcnt(29)
	scratch_store_b128 off, v[204:207], off offset:272
	;; [unrolled: 2-line block ×3, first 2 shown]
	v_add_co_u32 v171, vcc_lo, s4, v91
	s_clause 0x1
	global_load_b128 v[196:199], v[155:156], off
	global_load_b128 v[200:203], v[157:158], off
	scratch_store_b128 off, v[212:215], off offset:304
	s_waitcnt vmcnt(28)
	s_clause 0x1
	scratch_store_b128 off, v[216:219], off offset:320
	scratch_store_b128 off, v[220:223], off offset:336
	s_clause 0x1
	global_load_b128 v[204:207], v[159:160], off
	global_load_b128 v[208:211], v[161:162], off
	s_waitcnt vmcnt(29)
	scratch_store_b128 off, v[224:227], off offset:352
	s_waitcnt vmcnt(28)
	scratch_store_b128 off, v[228:231], off offset:368
	s_waitcnt vmcnt(27)
	s_clause 0x3
	scratch_store_b128 off, v[232:235], off offset:384
	scratch_store_b128 off, v[240:243], off offset:400
	;; [unrolled: 1-line block ×4, first 2 shown]
	v_add_co_ci_u32_e32 v172, vcc_lo, s5, v92, vcc_lo
	s_clause 0x4
	global_load_b128 v[245:248], v[163:164], off
	global_load_b128 v[240:243], v[165:166], off
	global_load_b128 v[212:215], v[167:168], off
	global_load_b128 v[216:219], v[169:170], off
	global_load_b128 v[220:223], v[171:172], off
	s_waitcnt vmcnt(31)
	scratch_store_b128 off, v[41:44], off offset:448
	v_add_nc_u32_e32 v41, s3, v89
	v_ashrrev_i32_e32 v90, 31, v89
	v_add_nc_u32_e64 v251, 0, 32
	s_waitcnt vmcnt(30)
	scratch_store_b128 off, v[37:40], off offset:464
	v_add_nc_u32_e32 v43, s3, v41
	v_ashrrev_i32_e32 v42, 31, v41
	v_lshlrev_b64 v[89:90], 4, v[89:90]
	s_movk_i32 s3, 0x60
	s_delay_alu instid0(VALU_DEP_3) | instskip(NEXT) | instid1(VALU_DEP_3)
	v_ashrrev_i32_e32 v44, 31, v43
	v_lshlrev_b64 v[37:38], 4, v[41:42]
	v_add_nc_u32_e64 v42, s60, 0
	s_delay_alu instid0(VALU_DEP_4) | instskip(NEXT) | instid1(VALU_DEP_4)
	v_add_co_u32 v173, vcc_lo, s4, v89
	v_lshlrev_b64 v[39:40], 4, v[43:44]
	v_add_co_ci_u32_e32 v174, vcc_lo, s5, v90, vcc_lo
	v_add_co_u32 v175, vcc_lo, s4, v37
	v_add_co_ci_u32_e32 v176, vcc_lo, s5, v38, vcc_lo
	s_delay_alu instid0(VALU_DEP_4)
	v_add_co_u32 v177, vcc_lo, s4, v39
	v_add_co_ci_u32_e32 v178, vcc_lo, s5, v40, vcc_lo
	global_load_b128 v[37:40], v[173:174], off
	s_waitcnt vmcnt(30)
	scratch_store_b128 off, v[29:32], off offset:480
	s_waitcnt vmcnt(29)
	scratch_store_b128 off, v[33:36], off offset:496
	s_clause 0x1
	global_load_b128 v[33:36], v[177:178], off
	global_load_b128 v[29:32], v[175:176], off
	s_movk_i32 s4, 0x70
	s_movk_i32 s5, 0x80
	v_add_nc_u32_e64 v44, s58, 0
	v_add_nc_u32_e64 v43, s59, 0
	;; [unrolled: 1-line block ×3, first 2 shown]
	s_waitcnt vmcnt(30)
	scratch_store_b128 off, v[9:12], off offset:512
	v_add_nc_u32_e64 v9, s2, 0
	s_waitcnt vmcnt(28)
	s_clause 0x1
	scratch_store_b128 off, v[17:20], off offset:528
	scratch_store_b32 off, v9, off offset:1056
	v_add_nc_u32_e64 v9, s3, 0
	s_mov_b32 s3, -1
	scratch_store_b32 off, v9, off offset:1052 ; 4-byte Folded Spill
	v_add_nc_u32_e64 v9, s4, 0
	scratch_store_b32 off, v9, off offset:1048 ; 4-byte Folded Spill
	v_add_nc_u32_e64 v9, s5, 0
	s_clause 0x1
	scratch_store_b32 off, v9, off offset:1044
	scratch_store_b128 off, v[13:16], off offset:544
	v_add_nc_u32_e64 v9, s12, 0
	scratch_store_b32 off, v9, off offset:1040 ; 4-byte Folded Spill
	v_add_nc_u32_e64 v9, s13, 0
	scratch_store_b32 off, v9, off offset:1036 ; 4-byte Folded Spill
	v_add_nc_u32_e64 v9, s16, 0
	scratch_store_b32 off, v9, off offset:1032 ; 4-byte Folded Spill
	v_add_nc_u32_e64 v9, s17, 0
	scratch_store_b32 off, v9, off offset:1028 ; 4-byte Folded Spill
	s_waitcnt vmcnt(26)
	scratch_store_b128 off, v[25:28], off offset:560
	v_add_nc_u32_e64 v9, s18, 0
	v_add_nc_u32_e64 v28, s62, 0
	;; [unrolled: 1-line block ×5, first 2 shown]
	scratch_store_b32 off, v9, off offset:1024 ; 4-byte Folded Spill
	v_add_nc_u32_e64 v9, s19, 0
	scratch_store_b32 off, v9, off offset:1020 ; 4-byte Folded Spill
	v_add_nc_u32_e64 v9, s20, 0
	;; [unrolled: 2-line block ×3, first 2 shown]
	s_clause 0x1
	scratch_store_b32 off, v9, off offset:1012
	scratch_store_b128 off, v[21:24], off offset:576
	v_add_nc_u32_e64 v9, s22, 0
	s_waitcnt vmcnt(25)
	scratch_store_b128 off, v[49:52], off offset:592
	v_add_nc_u32_e64 v50, s27, 0
	v_add_nc_u32_e64 v52, s51, 0
	;; [unrolled: 1-line block ×3, first 2 shown]
	scratch_store_b32 off, v9, off offset:1008 ; 4-byte Folded Spill
	s_waitcnt vmcnt(24)
	scratch_store_b128 off, v[45:48], off offset:608
	s_waitcnt vmcnt(23)
	scratch_store_b128 off, v[1:4], off offset:624
	;; [unrolled: 2-line block ×22, first 2 shown]
	v_add_nc_u32_e64 v57, s29, 0
	v_add_nc_u32_e64 v210, s30, 0
	;; [unrolled: 1-line block ×29, first 2 shown]
	s_waitcnt vmcnt(2)
	scratch_store_b128 off, v[37:40], off offset:960
	s_waitcnt vmcnt(0)
	s_clause 0x1
	scratch_store_b128 off, v[29:32], off offset:976
	scratch_store_b128 off, v[33:36], off offset:992
	s_cbranch_scc1 .LBB126_276
; %bb.4:
	v_cmp_eq_u32_e64 s2, 0, v179
	s_delay_alu instid0(VALU_DEP_1)
	s_and_saveexec_b32 s3, s2
	s_cbranch_execz .LBB126_6
; %bb.5:
	v_mov_b32_e32 v1, 0
	ds_store_b32 v1, v1 offset:2016
.LBB126_6:
	s_or_b32 exec_lo, exec_lo, s3
	s_waitcnt lgkmcnt(0)
	s_waitcnt_vscnt null, 0x0
	s_barrier
	buffer_gl0_inv
	scratch_load_b128 v[1:4], v239, off
	s_waitcnt vmcnt(0)
	v_cmp_eq_f64_e32 vcc_lo, 0, v[1:2]
	v_cmp_eq_f64_e64 s3, 0, v[3:4]
	s_delay_alu instid0(VALU_DEP_1) | instskip(NEXT) | instid1(SALU_CYCLE_1)
	s_and_b32 s3, vcc_lo, s3
	s_and_saveexec_b32 s4, s3
	s_cbranch_execz .LBB126_10
; %bb.7:
	v_mov_b32_e32 v1, 0
	s_mov_b32 s5, 0
	ds_load_b32 v2, v1 offset:2016
	s_waitcnt lgkmcnt(0)
	v_readfirstlane_b32 s3, v2
	v_add_nc_u32_e32 v2, 1, v179
	s_delay_alu instid0(VALU_DEP_2) | instskip(NEXT) | instid1(VALU_DEP_1)
	s_cmp_eq_u32 s3, 0
	v_cmp_gt_i32_e32 vcc_lo, s3, v2
	s_cselect_b32 s12, -1, 0
	s_delay_alu instid0(SALU_CYCLE_1) | instskip(NEXT) | instid1(SALU_CYCLE_1)
	s_or_b32 s12, s12, vcc_lo
	s_and_b32 exec_lo, exec_lo, s12
	s_cbranch_execz .LBB126_10
; %bb.8:
	v_mov_b32_e32 v3, s3
.LBB126_9:                              ; =>This Inner Loop Header: Depth=1
	ds_cmpstore_rtn_b32 v3, v1, v2, v3 offset:2016
	s_waitcnt lgkmcnt(0)
	v_cmp_ne_u32_e32 vcc_lo, 0, v3
	v_cmp_le_i32_e64 s3, v3, v2
	s_delay_alu instid0(VALU_DEP_1) | instskip(NEXT) | instid1(SALU_CYCLE_1)
	s_and_b32 s3, vcc_lo, s3
	s_and_b32 s3, exec_lo, s3
	s_delay_alu instid0(SALU_CYCLE_1) | instskip(NEXT) | instid1(SALU_CYCLE_1)
	s_or_b32 s5, s3, s5
	s_and_not1_b32 exec_lo, exec_lo, s5
	s_cbranch_execnz .LBB126_9
.LBB126_10:
	s_or_b32 exec_lo, exec_lo, s4
	v_mov_b32_e32 v1, 0
	s_barrier
	buffer_gl0_inv
	ds_load_b32 v2, v1 offset:2016
	s_and_saveexec_b32 s3, s2
	s_cbranch_execz .LBB126_12
; %bb.11:
	s_lshl_b64 s[4:5], s[10:11], 2
	s_delay_alu instid0(SALU_CYCLE_1)
	s_add_u32 s4, s6, s4
	s_addc_u32 s5, s7, s5
	s_waitcnt lgkmcnt(0)
	global_store_b32 v1, v2, s[4:5]
.LBB126_12:
	s_or_b32 exec_lo, exec_lo, s3
	s_waitcnt lgkmcnt(0)
	v_cmp_ne_u32_e32 vcc_lo, 0, v2
	s_mov_b32 s3, 0
	s_cbranch_vccnz .LBB126_276
; %bb.13:
	v_add_nc_u32_e32 v13, 0, v239
                                        ; implicit-def: $vgpr9_vgpr10
	scratch_load_b128 v[1:4], v13, off
	s_waitcnt vmcnt(0)
	v_cmp_gt_f64_e32 vcc_lo, 0, v[1:2]
	v_xor_b32_e32 v6, 0x80000000, v2
	v_xor_b32_e32 v7, 0x80000000, v4
	s_delay_alu instid0(VALU_DEP_2) | instskip(SKIP_1) | instid1(VALU_DEP_3)
	v_cndmask_b32_e32 v6, v2, v6, vcc_lo
	v_cmp_gt_f64_e32 vcc_lo, 0, v[3:4]
	v_dual_mov_b32 v5, v1 :: v_dual_cndmask_b32 v8, v4, v7
	v_mov_b32_e32 v7, v3
	s_delay_alu instid0(VALU_DEP_1) | instskip(SKIP_1) | instid1(SALU_CYCLE_1)
	v_cmp_ngt_f64_e32 vcc_lo, v[5:6], v[7:8]
                                        ; implicit-def: $vgpr5_vgpr6
	s_and_saveexec_b32 s3, vcc_lo
	s_xor_b32 s3, exec_lo, s3
	s_cbranch_execz .LBB126_15
; %bb.14:
	v_div_scale_f64 v[5:6], null, v[3:4], v[3:4], v[1:2]
	v_div_scale_f64 v[11:12], vcc_lo, v[1:2], v[3:4], v[1:2]
	s_delay_alu instid0(VALU_DEP_2) | instskip(SKIP_2) | instid1(VALU_DEP_1)
	v_rcp_f64_e32 v[7:8], v[5:6]
	s_waitcnt_depctr 0xfff
	v_fma_f64 v[9:10], -v[5:6], v[7:8], 1.0
	v_fma_f64 v[7:8], v[7:8], v[9:10], v[7:8]
	s_delay_alu instid0(VALU_DEP_1) | instskip(NEXT) | instid1(VALU_DEP_1)
	v_fma_f64 v[9:10], -v[5:6], v[7:8], 1.0
	v_fma_f64 v[7:8], v[7:8], v[9:10], v[7:8]
	s_delay_alu instid0(VALU_DEP_1) | instskip(NEXT) | instid1(VALU_DEP_1)
	v_mul_f64 v[9:10], v[11:12], v[7:8]
	v_fma_f64 v[5:6], -v[5:6], v[9:10], v[11:12]
	s_delay_alu instid0(VALU_DEP_1) | instskip(NEXT) | instid1(VALU_DEP_1)
	v_div_fmas_f64 v[5:6], v[5:6], v[7:8], v[9:10]
	v_div_fixup_f64 v[5:6], v[5:6], v[3:4], v[1:2]
	s_delay_alu instid0(VALU_DEP_1) | instskip(NEXT) | instid1(VALU_DEP_1)
	v_fma_f64 v[1:2], v[1:2], v[5:6], v[3:4]
	v_div_scale_f64 v[3:4], null, v[1:2], v[1:2], 1.0
	v_div_scale_f64 v[11:12], vcc_lo, 1.0, v[1:2], 1.0
	s_delay_alu instid0(VALU_DEP_2) | instskip(SKIP_2) | instid1(VALU_DEP_1)
	v_rcp_f64_e32 v[7:8], v[3:4]
	s_waitcnt_depctr 0xfff
	v_fma_f64 v[9:10], -v[3:4], v[7:8], 1.0
	v_fma_f64 v[7:8], v[7:8], v[9:10], v[7:8]
	s_delay_alu instid0(VALU_DEP_1) | instskip(NEXT) | instid1(VALU_DEP_1)
	v_fma_f64 v[9:10], -v[3:4], v[7:8], 1.0
	v_fma_f64 v[7:8], v[7:8], v[9:10], v[7:8]
	s_delay_alu instid0(VALU_DEP_1) | instskip(NEXT) | instid1(VALU_DEP_1)
	v_mul_f64 v[9:10], v[11:12], v[7:8]
	v_fma_f64 v[3:4], -v[3:4], v[9:10], v[11:12]
	s_delay_alu instid0(VALU_DEP_1) | instskip(NEXT) | instid1(VALU_DEP_1)
	v_div_fmas_f64 v[3:4], v[3:4], v[7:8], v[9:10]
	v_div_fixup_f64 v[7:8], v[3:4], v[1:2], 1.0
                                        ; implicit-def: $vgpr1_vgpr2
	s_delay_alu instid0(VALU_DEP_1) | instskip(SKIP_1) | instid1(VALU_DEP_2)
	v_mul_f64 v[5:6], v[5:6], v[7:8]
	v_xor_b32_e32 v8, 0x80000000, v8
	v_xor_b32_e32 v10, 0x80000000, v6
	s_delay_alu instid0(VALU_DEP_3)
	v_mov_b32_e32 v9, v5
.LBB126_15:
	s_and_not1_saveexec_b32 s3, s3
	s_cbranch_execz .LBB126_17
; %bb.16:
	v_div_scale_f64 v[5:6], null, v[1:2], v[1:2], v[3:4]
	v_div_scale_f64 v[11:12], vcc_lo, v[3:4], v[1:2], v[3:4]
	s_delay_alu instid0(VALU_DEP_2) | instskip(SKIP_2) | instid1(VALU_DEP_1)
	v_rcp_f64_e32 v[7:8], v[5:6]
	s_waitcnt_depctr 0xfff
	v_fma_f64 v[9:10], -v[5:6], v[7:8], 1.0
	v_fma_f64 v[7:8], v[7:8], v[9:10], v[7:8]
	s_delay_alu instid0(VALU_DEP_1) | instskip(NEXT) | instid1(VALU_DEP_1)
	v_fma_f64 v[9:10], -v[5:6], v[7:8], 1.0
	v_fma_f64 v[7:8], v[7:8], v[9:10], v[7:8]
	s_delay_alu instid0(VALU_DEP_1) | instskip(NEXT) | instid1(VALU_DEP_1)
	v_mul_f64 v[9:10], v[11:12], v[7:8]
	v_fma_f64 v[5:6], -v[5:6], v[9:10], v[11:12]
	s_delay_alu instid0(VALU_DEP_1) | instskip(NEXT) | instid1(VALU_DEP_1)
	v_div_fmas_f64 v[5:6], v[5:6], v[7:8], v[9:10]
	v_div_fixup_f64 v[7:8], v[5:6], v[1:2], v[3:4]
	s_delay_alu instid0(VALU_DEP_1) | instskip(NEXT) | instid1(VALU_DEP_1)
	v_fma_f64 v[1:2], v[3:4], v[7:8], v[1:2]
	v_div_scale_f64 v[3:4], null, v[1:2], v[1:2], 1.0
	s_delay_alu instid0(VALU_DEP_1) | instskip(SKIP_2) | instid1(VALU_DEP_1)
	v_rcp_f64_e32 v[5:6], v[3:4]
	s_waitcnt_depctr 0xfff
	v_fma_f64 v[9:10], -v[3:4], v[5:6], 1.0
	v_fma_f64 v[5:6], v[5:6], v[9:10], v[5:6]
	s_delay_alu instid0(VALU_DEP_1) | instskip(NEXT) | instid1(VALU_DEP_1)
	v_fma_f64 v[9:10], -v[3:4], v[5:6], 1.0
	v_fma_f64 v[5:6], v[5:6], v[9:10], v[5:6]
	v_div_scale_f64 v[9:10], vcc_lo, 1.0, v[1:2], 1.0
	s_delay_alu instid0(VALU_DEP_1) | instskip(NEXT) | instid1(VALU_DEP_1)
	v_mul_f64 v[11:12], v[9:10], v[5:6]
	v_fma_f64 v[3:4], -v[3:4], v[11:12], v[9:10]
	s_delay_alu instid0(VALU_DEP_1) | instskip(NEXT) | instid1(VALU_DEP_1)
	v_div_fmas_f64 v[3:4], v[3:4], v[5:6], v[11:12]
	v_div_fixup_f64 v[5:6], v[3:4], v[1:2], 1.0
	s_delay_alu instid0(VALU_DEP_1)
	v_mul_f64 v[7:8], v[7:8], -v[5:6]
	v_xor_b32_e32 v10, 0x80000000, v6
	v_mov_b32_e32 v9, v5
.LBB126_17:
	s_or_b32 exec_lo, exec_lo, s3
	scratch_store_b128 v13, v[5:8], off
	scratch_load_b128 v[1:4], v237, off
	v_xor_b32_e32 v12, 0x80000000, v8
	v_mov_b32_e32 v11, v7
	v_add_nc_u32_e32 v5, 0x3f0, v239
	ds_store_b128 v239, v[9:12]
	s_waitcnt vmcnt(0)
	ds_store_b128 v239, v[1:4] offset:1008
	s_waitcnt lgkmcnt(0)
	s_waitcnt_vscnt null, 0x0
	s_barrier
	buffer_gl0_inv
	s_and_saveexec_b32 s3, s2
	s_cbranch_execz .LBB126_19
; %bb.18:
	scratch_load_b128 v[1:4], v13, off
	ds_load_b128 v[6:9], v5
	v_mov_b32_e32 v10, 0
	ds_load_b128 v[14:17], v10 offset:16
	s_waitcnt vmcnt(0) lgkmcnt(1)
	v_mul_f64 v[10:11], v[6:7], v[3:4]
	v_mul_f64 v[3:4], v[8:9], v[3:4]
	s_delay_alu instid0(VALU_DEP_2) | instskip(NEXT) | instid1(VALU_DEP_2)
	v_fma_f64 v[8:9], v[8:9], v[1:2], v[10:11]
	v_fma_f64 v[1:2], v[6:7], v[1:2], -v[3:4]
	s_delay_alu instid0(VALU_DEP_2) | instskip(NEXT) | instid1(VALU_DEP_2)
	v_add_f64 v[3:4], v[8:9], 0
	v_add_f64 v[1:2], v[1:2], 0
	s_waitcnt lgkmcnt(0)
	s_delay_alu instid0(VALU_DEP_2) | instskip(NEXT) | instid1(VALU_DEP_2)
	v_mul_f64 v[6:7], v[3:4], v[16:17]
	v_mul_f64 v[8:9], v[1:2], v[16:17]
	s_delay_alu instid0(VALU_DEP_2) | instskip(NEXT) | instid1(VALU_DEP_2)
	v_fma_f64 v[1:2], v[1:2], v[14:15], -v[6:7]
	v_fma_f64 v[3:4], v[3:4], v[14:15], v[8:9]
	scratch_store_b128 off, v[1:4], off offset:16
.LBB126_19:
	s_or_b32 exec_lo, exec_lo, s3
	s_waitcnt_vscnt null, 0x0
	s_barrier
	buffer_gl0_inv
	scratch_load_b128 v[1:4], v251, off
	v_cmp_gt_u32_e32 vcc_lo, 2, v179
	s_waitcnt vmcnt(0)
	ds_store_b128 v5, v[1:4]
	s_waitcnt lgkmcnt(0)
	s_barrier
	buffer_gl0_inv
	s_and_saveexec_b32 s3, vcc_lo
	s_cbranch_execz .LBB126_23
; %bb.20:
	scratch_load_b128 v[1:4], v13, off
	ds_load_b128 v[6:9], v5
	s_waitcnt vmcnt(0) lgkmcnt(0)
	v_mul_f64 v[10:11], v[8:9], v[3:4]
	v_mul_f64 v[3:4], v[6:7], v[3:4]
	s_delay_alu instid0(VALU_DEP_2) | instskip(NEXT) | instid1(VALU_DEP_2)
	v_fma_f64 v[6:7], v[6:7], v[1:2], -v[10:11]
	v_fma_f64 v[3:4], v[8:9], v[1:2], v[3:4]
	s_delay_alu instid0(VALU_DEP_2) | instskip(NEXT) | instid1(VALU_DEP_2)
	v_add_f64 v[1:2], v[6:7], 0
	v_add_f64 v[3:4], v[3:4], 0
	s_and_saveexec_b32 s4, s2
	s_cbranch_execz .LBB126_22
; %bb.21:
	scratch_load_b128 v[6:9], off, off offset:16
	v_mov_b32_e32 v10, 0
	ds_load_b128 v[14:17], v10 offset:1024
	s_waitcnt vmcnt(0) lgkmcnt(0)
	v_mul_f64 v[10:11], v[14:15], v[8:9]
	v_mul_f64 v[8:9], v[16:17], v[8:9]
	s_delay_alu instid0(VALU_DEP_2) | instskip(NEXT) | instid1(VALU_DEP_2)
	v_fma_f64 v[10:11], v[16:17], v[6:7], v[10:11]
	v_fma_f64 v[6:7], v[14:15], v[6:7], -v[8:9]
	s_delay_alu instid0(VALU_DEP_2) | instskip(NEXT) | instid1(VALU_DEP_2)
	v_add_f64 v[3:4], v[3:4], v[10:11]
	v_add_f64 v[1:2], v[1:2], v[6:7]
.LBB126_22:
	s_or_b32 exec_lo, exec_lo, s4
	v_mov_b32_e32 v6, 0
	ds_load_b128 v[6:9], v6 offset:32
	s_waitcnt lgkmcnt(0)
	v_mul_f64 v[10:11], v[3:4], v[8:9]
	v_mul_f64 v[8:9], v[1:2], v[8:9]
	s_delay_alu instid0(VALU_DEP_2) | instskip(NEXT) | instid1(VALU_DEP_2)
	v_fma_f64 v[1:2], v[1:2], v[6:7], -v[10:11]
	v_fma_f64 v[3:4], v[3:4], v[6:7], v[8:9]
	scratch_store_b128 off, v[1:4], off offset:32
.LBB126_23:
	s_or_b32 exec_lo, exec_lo, s3
	v_add_nc_u32_e64 v1, 0, 48
	s_waitcnt_vscnt null, 0x0
	s_barrier
	buffer_gl0_inv
	v_add_nc_u32_e32 v6, -1, v179
	scratch_load_b128 v[1:4], v1, off
	s_mov_b32 s4, exec_lo
	s_waitcnt vmcnt(0)
	ds_store_b128 v5, v[1:4]
	s_waitcnt lgkmcnt(0)
	s_barrier
	buffer_gl0_inv
	v_cmpx_gt_u32_e32 3, v179
	s_cbranch_execz .LBB126_27
; %bb.24:
	v_dual_mov_b32 v1, 0 :: v_dual_add_nc_u32 v8, 0x3f0, v239
	v_dual_mov_b32 v2, 0 :: v_dual_add_nc_u32 v7, -1, v179
	v_or_b32_e32 v9, 8, v13
	s_mov_b32 s5, 0
	s_delay_alu instid0(VALU_DEP_2)
	v_dual_mov_b32 v4, v2 :: v_dual_mov_b32 v3, v1
	.p2align	6
.LBB126_25:                             ; =>This Inner Loop Header: Depth=1
	scratch_load_b128 v[14:17], v9, off offset:-8
	ds_load_b128 v[18:21], v8
	v_add_nc_u32_e32 v7, 1, v7
	v_add_nc_u32_e32 v8, 16, v8
	;; [unrolled: 1-line block ×3, first 2 shown]
	s_delay_alu instid0(VALU_DEP_3) | instskip(NEXT) | instid1(VALU_DEP_1)
	v_cmp_lt_u32_e64 s3, 1, v7
	s_or_b32 s5, s3, s5
	s_waitcnt vmcnt(0) lgkmcnt(0)
	v_mul_f64 v[10:11], v[20:21], v[16:17]
	v_mul_f64 v[16:17], v[18:19], v[16:17]
	s_delay_alu instid0(VALU_DEP_2) | instskip(NEXT) | instid1(VALU_DEP_2)
	v_fma_f64 v[10:11], v[18:19], v[14:15], -v[10:11]
	v_fma_f64 v[14:15], v[20:21], v[14:15], v[16:17]
	s_delay_alu instid0(VALU_DEP_2) | instskip(NEXT) | instid1(VALU_DEP_2)
	v_add_f64 v[3:4], v[3:4], v[10:11]
	v_add_f64 v[1:2], v[1:2], v[14:15]
	s_and_not1_b32 exec_lo, exec_lo, s5
	s_cbranch_execnz .LBB126_25
; %bb.26:
	s_or_b32 exec_lo, exec_lo, s5
	v_mov_b32_e32 v7, 0
	ds_load_b128 v[7:10], v7 offset:48
	s_waitcnt lgkmcnt(0)
	v_mul_f64 v[11:12], v[1:2], v[9:10]
	v_mul_f64 v[14:15], v[3:4], v[9:10]
	s_delay_alu instid0(VALU_DEP_2) | instskip(NEXT) | instid1(VALU_DEP_2)
	v_fma_f64 v[9:10], v[3:4], v[7:8], -v[11:12]
	v_fma_f64 v[11:12], v[1:2], v[7:8], v[14:15]
	scratch_store_b128 off, v[9:12], off offset:48
.LBB126_27:
	s_or_b32 exec_lo, exec_lo, s4
	v_add_nc_u32_e64 v1, 0, 64
	s_waitcnt_vscnt null, 0x0
	s_barrier
	buffer_gl0_inv
	v_cmp_gt_u32_e64 s3, 4, v179
	scratch_load_b128 v[1:4], v1, off
	s_waitcnt vmcnt(0)
	ds_store_b128 v5, v[1:4]
	s_waitcnt lgkmcnt(0)
	s_barrier
	buffer_gl0_inv
	s_and_saveexec_b32 s5, s3
	s_cbranch_execz .LBB126_31
; %bb.28:
	v_dual_mov_b32 v1, 0 :: v_dual_add_nc_u32 v8, 0x3f0, v239
	v_dual_mov_b32 v2, 0 :: v_dual_add_nc_u32 v7, -1, v179
	v_or_b32_e32 v9, 8, v13
	s_mov_b32 s12, 0
	s_delay_alu instid0(VALU_DEP_2)
	v_dual_mov_b32 v4, v2 :: v_dual_mov_b32 v3, v1
	.p2align	6
.LBB126_29:                             ; =>This Inner Loop Header: Depth=1
	scratch_load_b128 v[14:17], v9, off offset:-8
	ds_load_b128 v[18:21], v8
	v_add_nc_u32_e32 v7, 1, v7
	v_add_nc_u32_e32 v8, 16, v8
	;; [unrolled: 1-line block ×3, first 2 shown]
	s_delay_alu instid0(VALU_DEP_3) | instskip(NEXT) | instid1(VALU_DEP_1)
	v_cmp_lt_u32_e64 s4, 2, v7
	s_or_b32 s12, s4, s12
	s_waitcnt vmcnt(0) lgkmcnt(0)
	v_mul_f64 v[10:11], v[20:21], v[16:17]
	v_mul_f64 v[16:17], v[18:19], v[16:17]
	s_delay_alu instid0(VALU_DEP_2) | instskip(NEXT) | instid1(VALU_DEP_2)
	v_fma_f64 v[10:11], v[18:19], v[14:15], -v[10:11]
	v_fma_f64 v[14:15], v[20:21], v[14:15], v[16:17]
	s_delay_alu instid0(VALU_DEP_2) | instskip(NEXT) | instid1(VALU_DEP_2)
	v_add_f64 v[3:4], v[3:4], v[10:11]
	v_add_f64 v[1:2], v[1:2], v[14:15]
	s_and_not1_b32 exec_lo, exec_lo, s12
	s_cbranch_execnz .LBB126_29
; %bb.30:
	s_or_b32 exec_lo, exec_lo, s12
	v_mov_b32_e32 v7, 0
	ds_load_b128 v[7:10], v7 offset:64
	s_waitcnt lgkmcnt(0)
	v_mul_f64 v[11:12], v[1:2], v[9:10]
	v_mul_f64 v[14:15], v[3:4], v[9:10]
	s_delay_alu instid0(VALU_DEP_2) | instskip(NEXT) | instid1(VALU_DEP_2)
	v_fma_f64 v[9:10], v[3:4], v[7:8], -v[11:12]
	v_fma_f64 v[11:12], v[1:2], v[7:8], v[14:15]
	scratch_store_b128 off, v[9:12], off offset:64
.LBB126_31:
	s_or_b32 exec_lo, exec_lo, s5
	s_waitcnt_vscnt null, 0x0
	s_barrier
	buffer_gl0_inv
	scratch_load_b32 v1, off, off offset:1056 ; 4-byte Folded Reload
	s_mov_b32 s5, exec_lo
	s_waitcnt vmcnt(0)
	scratch_load_b128 v[1:4], v1, off
	s_waitcnt vmcnt(0)
	ds_store_b128 v5, v[1:4]
	s_waitcnt lgkmcnt(0)
	s_barrier
	buffer_gl0_inv
	v_cmpx_gt_u32_e32 5, v179
	s_cbranch_execz .LBB126_35
; %bb.32:
	v_dual_mov_b32 v1, 0 :: v_dual_add_nc_u32 v8, 0x3f0, v239
	v_dual_mov_b32 v2, 0 :: v_dual_add_nc_u32 v7, -1, v179
	v_or_b32_e32 v9, 8, v13
	s_mov_b32 s12, 0
	s_delay_alu instid0(VALU_DEP_2)
	v_dual_mov_b32 v4, v2 :: v_dual_mov_b32 v3, v1
	.p2align	6
.LBB126_33:                             ; =>This Inner Loop Header: Depth=1
	scratch_load_b128 v[14:17], v9, off offset:-8
	ds_load_b128 v[18:21], v8
	v_add_nc_u32_e32 v7, 1, v7
	v_add_nc_u32_e32 v8, 16, v8
	;; [unrolled: 1-line block ×3, first 2 shown]
	s_delay_alu instid0(VALU_DEP_3) | instskip(NEXT) | instid1(VALU_DEP_1)
	v_cmp_lt_u32_e64 s4, 3, v7
	s_or_b32 s12, s4, s12
	s_waitcnt vmcnt(0) lgkmcnt(0)
	v_mul_f64 v[10:11], v[20:21], v[16:17]
	v_mul_f64 v[16:17], v[18:19], v[16:17]
	s_delay_alu instid0(VALU_DEP_2) | instskip(NEXT) | instid1(VALU_DEP_2)
	v_fma_f64 v[10:11], v[18:19], v[14:15], -v[10:11]
	v_fma_f64 v[14:15], v[20:21], v[14:15], v[16:17]
	s_delay_alu instid0(VALU_DEP_2) | instskip(NEXT) | instid1(VALU_DEP_2)
	v_add_f64 v[3:4], v[3:4], v[10:11]
	v_add_f64 v[1:2], v[1:2], v[14:15]
	s_and_not1_b32 exec_lo, exec_lo, s12
	s_cbranch_execnz .LBB126_33
; %bb.34:
	s_or_b32 exec_lo, exec_lo, s12
	v_mov_b32_e32 v7, 0
	ds_load_b128 v[7:10], v7 offset:80
	s_waitcnt lgkmcnt(0)
	v_mul_f64 v[11:12], v[1:2], v[9:10]
	v_mul_f64 v[14:15], v[3:4], v[9:10]
	s_delay_alu instid0(VALU_DEP_2) | instskip(NEXT) | instid1(VALU_DEP_2)
	v_fma_f64 v[9:10], v[3:4], v[7:8], -v[11:12]
	v_fma_f64 v[11:12], v[1:2], v[7:8], v[14:15]
	scratch_store_b128 off, v[9:12], off offset:80
.LBB126_35:
	s_or_b32 exec_lo, exec_lo, s5
	s_waitcnt_vscnt null, 0x0
	s_barrier
	buffer_gl0_inv
	scratch_load_b32 v1, off, off offset:1052 ; 4-byte Folded Reload
	v_cmp_gt_u32_e64 s4, 6, v179
	s_waitcnt vmcnt(0)
	scratch_load_b128 v[1:4], v1, off
	s_waitcnt vmcnt(0)
	ds_store_b128 v5, v[1:4]
	s_waitcnt lgkmcnt(0)
	s_barrier
	buffer_gl0_inv
	s_and_saveexec_b32 s12, s4
	s_cbranch_execz .LBB126_39
; %bb.36:
	v_dual_mov_b32 v1, 0 :: v_dual_add_nc_u32 v8, 0x3f0, v239
	v_dual_mov_b32 v2, 0 :: v_dual_add_nc_u32 v7, -1, v179
	v_or_b32_e32 v9, 8, v13
	s_mov_b32 s13, 0
	s_delay_alu instid0(VALU_DEP_2)
	v_dual_mov_b32 v4, v2 :: v_dual_mov_b32 v3, v1
	.p2align	6
.LBB126_37:                             ; =>This Inner Loop Header: Depth=1
	scratch_load_b128 v[14:17], v9, off offset:-8
	ds_load_b128 v[18:21], v8
	v_add_nc_u32_e32 v7, 1, v7
	v_add_nc_u32_e32 v8, 16, v8
	;; [unrolled: 1-line block ×3, first 2 shown]
	s_delay_alu instid0(VALU_DEP_3) | instskip(NEXT) | instid1(VALU_DEP_1)
	v_cmp_lt_u32_e64 s5, 4, v7
	s_or_b32 s13, s5, s13
	s_waitcnt vmcnt(0) lgkmcnt(0)
	v_mul_f64 v[10:11], v[20:21], v[16:17]
	v_mul_f64 v[16:17], v[18:19], v[16:17]
	s_delay_alu instid0(VALU_DEP_2) | instskip(NEXT) | instid1(VALU_DEP_2)
	v_fma_f64 v[10:11], v[18:19], v[14:15], -v[10:11]
	v_fma_f64 v[14:15], v[20:21], v[14:15], v[16:17]
	s_delay_alu instid0(VALU_DEP_2) | instskip(NEXT) | instid1(VALU_DEP_2)
	v_add_f64 v[3:4], v[3:4], v[10:11]
	v_add_f64 v[1:2], v[1:2], v[14:15]
	s_and_not1_b32 exec_lo, exec_lo, s13
	s_cbranch_execnz .LBB126_37
; %bb.38:
	s_or_b32 exec_lo, exec_lo, s13
	v_mov_b32_e32 v7, 0
	ds_load_b128 v[7:10], v7 offset:96
	s_waitcnt lgkmcnt(0)
	v_mul_f64 v[11:12], v[1:2], v[9:10]
	v_mul_f64 v[14:15], v[3:4], v[9:10]
	s_delay_alu instid0(VALU_DEP_2) | instskip(NEXT) | instid1(VALU_DEP_2)
	v_fma_f64 v[9:10], v[3:4], v[7:8], -v[11:12]
	v_fma_f64 v[11:12], v[1:2], v[7:8], v[14:15]
	scratch_store_b128 off, v[9:12], off offset:96
.LBB126_39:
	s_or_b32 exec_lo, exec_lo, s12
	s_waitcnt_vscnt null, 0x0
	s_barrier
	buffer_gl0_inv
	scratch_load_b32 v1, off, off offset:1048 ; 4-byte Folded Reload
	s_mov_b32 s12, exec_lo
	s_waitcnt vmcnt(0)
	scratch_load_b128 v[1:4], v1, off
	s_waitcnt vmcnt(0)
	ds_store_b128 v5, v[1:4]
	s_waitcnt lgkmcnt(0)
	s_barrier
	buffer_gl0_inv
	v_cmpx_gt_u32_e32 7, v179
	s_cbranch_execz .LBB126_43
; %bb.40:
	v_dual_mov_b32 v1, 0 :: v_dual_add_nc_u32 v8, 0x3f0, v239
	v_dual_mov_b32 v2, 0 :: v_dual_add_nc_u32 v7, -1, v179
	v_or_b32_e32 v9, 8, v13
	s_mov_b32 s13, 0
	s_delay_alu instid0(VALU_DEP_2)
	v_dual_mov_b32 v4, v2 :: v_dual_mov_b32 v3, v1
	.p2align	6
.LBB126_41:                             ; =>This Inner Loop Header: Depth=1
	scratch_load_b128 v[14:17], v9, off offset:-8
	ds_load_b128 v[18:21], v8
	v_add_nc_u32_e32 v7, 1, v7
	v_add_nc_u32_e32 v8, 16, v8
	;; [unrolled: 1-line block ×3, first 2 shown]
	s_delay_alu instid0(VALU_DEP_3) | instskip(NEXT) | instid1(VALU_DEP_1)
	v_cmp_lt_u32_e64 s5, 5, v7
	s_or_b32 s13, s5, s13
	s_waitcnt vmcnt(0) lgkmcnt(0)
	v_mul_f64 v[10:11], v[20:21], v[16:17]
	v_mul_f64 v[16:17], v[18:19], v[16:17]
	s_delay_alu instid0(VALU_DEP_2) | instskip(NEXT) | instid1(VALU_DEP_2)
	v_fma_f64 v[10:11], v[18:19], v[14:15], -v[10:11]
	v_fma_f64 v[14:15], v[20:21], v[14:15], v[16:17]
	s_delay_alu instid0(VALU_DEP_2) | instskip(NEXT) | instid1(VALU_DEP_2)
	v_add_f64 v[3:4], v[3:4], v[10:11]
	v_add_f64 v[1:2], v[1:2], v[14:15]
	s_and_not1_b32 exec_lo, exec_lo, s13
	s_cbranch_execnz .LBB126_41
; %bb.42:
	s_or_b32 exec_lo, exec_lo, s13
	v_mov_b32_e32 v7, 0
	ds_load_b128 v[7:10], v7 offset:112
	s_waitcnt lgkmcnt(0)
	v_mul_f64 v[11:12], v[1:2], v[9:10]
	v_mul_f64 v[14:15], v[3:4], v[9:10]
	s_delay_alu instid0(VALU_DEP_2) | instskip(NEXT) | instid1(VALU_DEP_2)
	v_fma_f64 v[9:10], v[3:4], v[7:8], -v[11:12]
	v_fma_f64 v[11:12], v[1:2], v[7:8], v[14:15]
	scratch_store_b128 off, v[9:12], off offset:112
.LBB126_43:
	s_or_b32 exec_lo, exec_lo, s12
	s_waitcnt_vscnt null, 0x0
	s_barrier
	buffer_gl0_inv
	scratch_load_b32 v1, off, off offset:1044 ; 4-byte Folded Reload
	s_mov_b32 s12, exec_lo
	s_waitcnt vmcnt(0)
	scratch_load_b128 v[1:4], v1, off
	s_waitcnt vmcnt(0)
	ds_store_b128 v5, v[1:4]
	s_waitcnt lgkmcnt(0)
	s_barrier
	buffer_gl0_inv
	v_cmpx_gt_u32_e32 8, v179
	s_cbranch_execz .LBB126_59
; %bb.44:
	scratch_load_b128 v[1:4], v13, off
	ds_load_b128 v[7:10], v5
	s_mov_b32 s13, exec_lo
	s_waitcnt vmcnt(0) lgkmcnt(0)
	v_mul_f64 v[11:12], v[9:10], v[3:4]
	v_mul_f64 v[3:4], v[7:8], v[3:4]
	s_delay_alu instid0(VALU_DEP_2) | instskip(NEXT) | instid1(VALU_DEP_2)
	v_fma_f64 v[7:8], v[7:8], v[1:2], -v[11:12]
	v_fma_f64 v[1:2], v[9:10], v[1:2], v[3:4]
	s_delay_alu instid0(VALU_DEP_2) | instskip(NEXT) | instid1(VALU_DEP_2)
	v_add_f64 v[3:4], v[7:8], 0
	v_add_f64 v[1:2], v[1:2], 0
	v_cmpx_ne_u32_e32 7, v179
	s_cbranch_execz .LBB126_58
; %bb.45:
	scratch_load_b128 v[7:10], v13, off offset:16
	ds_load_b128 v[14:17], v5 offset:16
	s_waitcnt vmcnt(0) lgkmcnt(0)
	v_mul_f64 v[11:12], v[16:17], v[9:10]
	v_mul_f64 v[9:10], v[14:15], v[9:10]
	s_delay_alu instid0(VALU_DEP_2) | instskip(NEXT) | instid1(VALU_DEP_2)
	v_fma_f64 v[11:12], v[14:15], v[7:8], -v[11:12]
	v_fma_f64 v[7:8], v[16:17], v[7:8], v[9:10]
	s_delay_alu instid0(VALU_DEP_2) | instskip(NEXT) | instid1(VALU_DEP_2)
	v_add_f64 v[3:4], v[3:4], v[11:12]
	v_add_f64 v[1:2], v[1:2], v[7:8]
	s_and_saveexec_b32 s5, s4
	s_cbranch_execz .LBB126_57
; %bb.46:
	scratch_load_b128 v[7:10], v13, off offset:32
	ds_load_b128 v[14:17], v5 offset:32
	s_mov_b32 s15, exec_lo
	s_waitcnt vmcnt(0) lgkmcnt(0)
	v_mul_f64 v[11:12], v[16:17], v[9:10]
	v_mul_f64 v[9:10], v[14:15], v[9:10]
	s_delay_alu instid0(VALU_DEP_2) | instskip(NEXT) | instid1(VALU_DEP_2)
	v_fma_f64 v[11:12], v[14:15], v[7:8], -v[11:12]
	v_fma_f64 v[7:8], v[16:17], v[7:8], v[9:10]
	s_delay_alu instid0(VALU_DEP_2) | instskip(NEXT) | instid1(VALU_DEP_2)
	v_add_f64 v[3:4], v[3:4], v[11:12]
	v_add_f64 v[1:2], v[1:2], v[7:8]
	v_cmpx_ne_u32_e32 5, v179
	s_cbranch_execz .LBB126_56
; %bb.47:
	scratch_load_b128 v[7:10], v13, off offset:48
	ds_load_b128 v[14:17], v5 offset:48
	s_waitcnt vmcnt(0) lgkmcnt(0)
	v_mul_f64 v[11:12], v[16:17], v[9:10]
	v_mul_f64 v[9:10], v[14:15], v[9:10]
	s_delay_alu instid0(VALU_DEP_2) | instskip(NEXT) | instid1(VALU_DEP_2)
	v_fma_f64 v[11:12], v[14:15], v[7:8], -v[11:12]
	v_fma_f64 v[7:8], v[16:17], v[7:8], v[9:10]
	s_delay_alu instid0(VALU_DEP_2) | instskip(NEXT) | instid1(VALU_DEP_2)
	v_add_f64 v[3:4], v[3:4], v[11:12]
	v_add_f64 v[1:2], v[1:2], v[7:8]
	s_and_saveexec_b32 s4, s3
	s_cbranch_execz .LBB126_55
; %bb.48:
	scratch_load_b128 v[7:10], v13, off offset:64
	ds_load_b128 v[14:17], v5 offset:64
	s_mov_b32 s16, exec_lo
	s_waitcnt vmcnt(0) lgkmcnt(0)
	v_mul_f64 v[11:12], v[16:17], v[9:10]
	v_mul_f64 v[9:10], v[14:15], v[9:10]
	s_delay_alu instid0(VALU_DEP_2) | instskip(NEXT) | instid1(VALU_DEP_2)
	v_fma_f64 v[11:12], v[14:15], v[7:8], -v[11:12]
	v_fma_f64 v[7:8], v[16:17], v[7:8], v[9:10]
	s_delay_alu instid0(VALU_DEP_2) | instskip(NEXT) | instid1(VALU_DEP_2)
	v_add_f64 v[3:4], v[3:4], v[11:12]
	v_add_f64 v[1:2], v[1:2], v[7:8]
	v_cmpx_ne_u32_e32 3, v179
	s_cbranch_execz .LBB126_54
; %bb.49:
	scratch_load_b128 v[7:10], v13, off offset:80
	ds_load_b128 v[14:17], v5 offset:80
	s_waitcnt vmcnt(0) lgkmcnt(0)
	v_mul_f64 v[11:12], v[16:17], v[9:10]
	v_mul_f64 v[9:10], v[14:15], v[9:10]
	s_delay_alu instid0(VALU_DEP_2) | instskip(NEXT) | instid1(VALU_DEP_2)
	v_fma_f64 v[11:12], v[14:15], v[7:8], -v[11:12]
	v_fma_f64 v[7:8], v[16:17], v[7:8], v[9:10]
	s_delay_alu instid0(VALU_DEP_2) | instskip(NEXT) | instid1(VALU_DEP_2)
	v_add_f64 v[3:4], v[3:4], v[11:12]
	v_add_f64 v[1:2], v[1:2], v[7:8]
	s_and_saveexec_b32 s3, vcc_lo
	s_cbranch_execz .LBB126_53
; %bb.50:
	scratch_load_b128 v[7:10], v13, off offset:96
	ds_load_b128 v[14:17], v5 offset:96
	s_waitcnt vmcnt(0) lgkmcnt(0)
	v_mul_f64 v[11:12], v[16:17], v[9:10]
	v_mul_f64 v[9:10], v[14:15], v[9:10]
	s_delay_alu instid0(VALU_DEP_2) | instskip(NEXT) | instid1(VALU_DEP_2)
	v_fma_f64 v[11:12], v[14:15], v[7:8], -v[11:12]
	v_fma_f64 v[7:8], v[16:17], v[7:8], v[9:10]
	s_delay_alu instid0(VALU_DEP_2) | instskip(NEXT) | instid1(VALU_DEP_2)
	v_add_f64 v[3:4], v[3:4], v[11:12]
	v_add_f64 v[1:2], v[1:2], v[7:8]
	s_and_saveexec_b32 s17, s2
	s_cbranch_execz .LBB126_52
; %bb.51:
	scratch_load_b128 v[7:10], v13, off offset:112
	ds_load_b128 v[14:17], v5 offset:112
	s_waitcnt vmcnt(0) lgkmcnt(0)
	v_mul_f64 v[11:12], v[16:17], v[9:10]
	v_mul_f64 v[9:10], v[14:15], v[9:10]
	s_delay_alu instid0(VALU_DEP_2) | instskip(NEXT) | instid1(VALU_DEP_2)
	v_fma_f64 v[11:12], v[14:15], v[7:8], -v[11:12]
	v_fma_f64 v[7:8], v[16:17], v[7:8], v[9:10]
	s_delay_alu instid0(VALU_DEP_2) | instskip(NEXT) | instid1(VALU_DEP_2)
	v_add_f64 v[3:4], v[3:4], v[11:12]
	v_add_f64 v[1:2], v[1:2], v[7:8]
.LBB126_52:
	s_or_b32 exec_lo, exec_lo, s17
.LBB126_53:
	s_delay_alu instid0(SALU_CYCLE_1)
	s_or_b32 exec_lo, exec_lo, s3
.LBB126_54:
	s_delay_alu instid0(SALU_CYCLE_1)
	s_or_b32 exec_lo, exec_lo, s16
.LBB126_55:
	s_delay_alu instid0(SALU_CYCLE_1)
	s_or_b32 exec_lo, exec_lo, s4
.LBB126_56:
	s_delay_alu instid0(SALU_CYCLE_1)
	s_or_b32 exec_lo, exec_lo, s15
.LBB126_57:
	s_delay_alu instid0(SALU_CYCLE_1)
	s_or_b32 exec_lo, exec_lo, s5
.LBB126_58:
	s_delay_alu instid0(SALU_CYCLE_1)
	s_or_b32 exec_lo, exec_lo, s13
	v_mov_b32_e32 v7, 0
	ds_load_b128 v[7:10], v7 offset:128
	s_waitcnt lgkmcnt(0)
	v_mul_f64 v[11:12], v[1:2], v[9:10]
	v_mul_f64 v[14:15], v[3:4], v[9:10]
	s_delay_alu instid0(VALU_DEP_2) | instskip(NEXT) | instid1(VALU_DEP_2)
	v_fma_f64 v[9:10], v[3:4], v[7:8], -v[11:12]
	v_fma_f64 v[11:12], v[1:2], v[7:8], v[14:15]
	scratch_store_b128 off, v[9:12], off offset:128
.LBB126_59:
	s_or_b32 exec_lo, exec_lo, s12
	s_waitcnt_vscnt null, 0x0
	s_barrier
	buffer_gl0_inv
	scratch_load_b32 v1, off, off offset:1040 ; 4-byte Folded Reload
	s_mov_b32 s2, exec_lo
	s_waitcnt vmcnt(0)
	scratch_load_b128 v[1:4], v1, off
	s_waitcnt vmcnt(0)
	ds_store_b128 v5, v[1:4]
	s_waitcnt lgkmcnt(0)
	s_barrier
	buffer_gl0_inv
	v_cmpx_gt_u32_e32 9, v179
	s_cbranch_execz .LBB126_63
; %bb.60:
	v_dual_mov_b32 v1, 0 :: v_dual_add_nc_u32 v8, 0x3f0, v239
	v_dual_mov_b32 v2, 0 :: v_dual_add_nc_u32 v7, -1, v179
	v_or_b32_e32 v9, 8, v13
	s_mov_b32 s3, 0
	s_delay_alu instid0(VALU_DEP_2)
	v_dual_mov_b32 v4, v2 :: v_dual_mov_b32 v3, v1
	.p2align	6
.LBB126_61:                             ; =>This Inner Loop Header: Depth=1
	scratch_load_b128 v[14:17], v9, off offset:-8
	ds_load_b128 v[18:21], v8
	v_add_nc_u32_e32 v7, 1, v7
	v_add_nc_u32_e32 v8, 16, v8
	;; [unrolled: 1-line block ×3, first 2 shown]
	s_delay_alu instid0(VALU_DEP_3) | instskip(SKIP_4) | instid1(VALU_DEP_2)
	v_cmp_lt_u32_e32 vcc_lo, 7, v7
	s_or_b32 s3, vcc_lo, s3
	s_waitcnt vmcnt(0) lgkmcnt(0)
	v_mul_f64 v[10:11], v[20:21], v[16:17]
	v_mul_f64 v[16:17], v[18:19], v[16:17]
	v_fma_f64 v[10:11], v[18:19], v[14:15], -v[10:11]
	s_delay_alu instid0(VALU_DEP_2) | instskip(NEXT) | instid1(VALU_DEP_2)
	v_fma_f64 v[14:15], v[20:21], v[14:15], v[16:17]
	v_add_f64 v[3:4], v[3:4], v[10:11]
	s_delay_alu instid0(VALU_DEP_2)
	v_add_f64 v[1:2], v[1:2], v[14:15]
	s_and_not1_b32 exec_lo, exec_lo, s3
	s_cbranch_execnz .LBB126_61
; %bb.62:
	s_or_b32 exec_lo, exec_lo, s3
	v_mov_b32_e32 v7, 0
	ds_load_b128 v[7:10], v7 offset:144
	s_waitcnt lgkmcnt(0)
	v_mul_f64 v[11:12], v[1:2], v[9:10]
	v_mul_f64 v[14:15], v[3:4], v[9:10]
	s_delay_alu instid0(VALU_DEP_2) | instskip(NEXT) | instid1(VALU_DEP_2)
	v_fma_f64 v[9:10], v[3:4], v[7:8], -v[11:12]
	v_fma_f64 v[11:12], v[1:2], v[7:8], v[14:15]
	scratch_store_b128 off, v[9:12], off offset:144
.LBB126_63:
	s_or_b32 exec_lo, exec_lo, s2
	s_waitcnt_vscnt null, 0x0
	s_barrier
	buffer_gl0_inv
	scratch_load_b32 v1, off, off offset:1036 ; 4-byte Folded Reload
	s_mov_b32 s2, exec_lo
	s_waitcnt vmcnt(0)
	scratch_load_b128 v[1:4], v1, off
	s_waitcnt vmcnt(0)
	ds_store_b128 v5, v[1:4]
	s_waitcnt lgkmcnt(0)
	s_barrier
	buffer_gl0_inv
	v_cmpx_gt_u32_e32 10, v179
	s_cbranch_execz .LBB126_67
; %bb.64:
	v_dual_mov_b32 v1, 0 :: v_dual_add_nc_u32 v8, 0x3f0, v239
	v_dual_mov_b32 v2, 0 :: v_dual_add_nc_u32 v7, -1, v179
	v_or_b32_e32 v9, 8, v13
	s_mov_b32 s3, 0
	s_delay_alu instid0(VALU_DEP_2)
	v_dual_mov_b32 v4, v2 :: v_dual_mov_b32 v3, v1
	.p2align	6
.LBB126_65:                             ; =>This Inner Loop Header: Depth=1
	scratch_load_b128 v[14:17], v9, off offset:-8
	ds_load_b128 v[18:21], v8
	v_add_nc_u32_e32 v7, 1, v7
	v_add_nc_u32_e32 v8, 16, v8
	;; [unrolled: 1-line block ×3, first 2 shown]
	s_delay_alu instid0(VALU_DEP_3) | instskip(SKIP_4) | instid1(VALU_DEP_2)
	v_cmp_lt_u32_e32 vcc_lo, 8, v7
	s_or_b32 s3, vcc_lo, s3
	s_waitcnt vmcnt(0) lgkmcnt(0)
	v_mul_f64 v[10:11], v[20:21], v[16:17]
	v_mul_f64 v[16:17], v[18:19], v[16:17]
	v_fma_f64 v[10:11], v[18:19], v[14:15], -v[10:11]
	s_delay_alu instid0(VALU_DEP_2) | instskip(NEXT) | instid1(VALU_DEP_2)
	v_fma_f64 v[14:15], v[20:21], v[14:15], v[16:17]
	v_add_f64 v[3:4], v[3:4], v[10:11]
	s_delay_alu instid0(VALU_DEP_2)
	v_add_f64 v[1:2], v[1:2], v[14:15]
	s_and_not1_b32 exec_lo, exec_lo, s3
	s_cbranch_execnz .LBB126_65
; %bb.66:
	s_or_b32 exec_lo, exec_lo, s3
	v_mov_b32_e32 v7, 0
	ds_load_b128 v[7:10], v7 offset:160
	s_waitcnt lgkmcnt(0)
	v_mul_f64 v[11:12], v[1:2], v[9:10]
	v_mul_f64 v[14:15], v[3:4], v[9:10]
	s_delay_alu instid0(VALU_DEP_2) | instskip(NEXT) | instid1(VALU_DEP_2)
	v_fma_f64 v[9:10], v[3:4], v[7:8], -v[11:12]
	v_fma_f64 v[11:12], v[1:2], v[7:8], v[14:15]
	scratch_store_b128 off, v[9:12], off offset:160
.LBB126_67:
	s_or_b32 exec_lo, exec_lo, s2
	s_waitcnt_vscnt null, 0x0
	s_barrier
	buffer_gl0_inv
	scratch_load_b32 v1, off, off offset:1032 ; 4-byte Folded Reload
	s_mov_b32 s2, exec_lo
	s_waitcnt vmcnt(0)
	scratch_load_b128 v[1:4], v1, off
	s_waitcnt vmcnt(0)
	ds_store_b128 v5, v[1:4]
	s_waitcnt lgkmcnt(0)
	s_barrier
	buffer_gl0_inv
	v_cmpx_gt_u32_e32 11, v179
	s_cbranch_execz .LBB126_71
; %bb.68:
	v_dual_mov_b32 v1, 0 :: v_dual_add_nc_u32 v8, 0x3f0, v239
	v_dual_mov_b32 v2, 0 :: v_dual_add_nc_u32 v7, -1, v179
	v_or_b32_e32 v9, 8, v13
	s_mov_b32 s3, 0
	s_delay_alu instid0(VALU_DEP_2)
	v_dual_mov_b32 v4, v2 :: v_dual_mov_b32 v3, v1
	.p2align	6
.LBB126_69:                             ; =>This Inner Loop Header: Depth=1
	scratch_load_b128 v[14:17], v9, off offset:-8
	ds_load_b128 v[18:21], v8
	v_add_nc_u32_e32 v7, 1, v7
	v_add_nc_u32_e32 v8, 16, v8
	;; [unrolled: 1-line block ×3, first 2 shown]
	s_delay_alu instid0(VALU_DEP_3) | instskip(SKIP_4) | instid1(VALU_DEP_2)
	v_cmp_lt_u32_e32 vcc_lo, 9, v7
	s_or_b32 s3, vcc_lo, s3
	s_waitcnt vmcnt(0) lgkmcnt(0)
	v_mul_f64 v[10:11], v[20:21], v[16:17]
	v_mul_f64 v[16:17], v[18:19], v[16:17]
	v_fma_f64 v[10:11], v[18:19], v[14:15], -v[10:11]
	s_delay_alu instid0(VALU_DEP_2) | instskip(NEXT) | instid1(VALU_DEP_2)
	v_fma_f64 v[14:15], v[20:21], v[14:15], v[16:17]
	v_add_f64 v[3:4], v[3:4], v[10:11]
	s_delay_alu instid0(VALU_DEP_2)
	v_add_f64 v[1:2], v[1:2], v[14:15]
	s_and_not1_b32 exec_lo, exec_lo, s3
	s_cbranch_execnz .LBB126_69
; %bb.70:
	s_or_b32 exec_lo, exec_lo, s3
	v_mov_b32_e32 v7, 0
	ds_load_b128 v[7:10], v7 offset:176
	s_waitcnt lgkmcnt(0)
	v_mul_f64 v[11:12], v[1:2], v[9:10]
	v_mul_f64 v[14:15], v[3:4], v[9:10]
	s_delay_alu instid0(VALU_DEP_2) | instskip(NEXT) | instid1(VALU_DEP_2)
	v_fma_f64 v[9:10], v[3:4], v[7:8], -v[11:12]
	v_fma_f64 v[11:12], v[1:2], v[7:8], v[14:15]
	scratch_store_b128 off, v[9:12], off offset:176
.LBB126_71:
	s_or_b32 exec_lo, exec_lo, s2
	s_waitcnt_vscnt null, 0x0
	s_barrier
	buffer_gl0_inv
	scratch_load_b32 v1, off, off offset:1028 ; 4-byte Folded Reload
	s_mov_b32 s2, exec_lo
	s_waitcnt vmcnt(0)
	scratch_load_b128 v[1:4], v1, off
	s_waitcnt vmcnt(0)
	ds_store_b128 v5, v[1:4]
	s_waitcnt lgkmcnt(0)
	s_barrier
	buffer_gl0_inv
	v_cmpx_gt_u32_e32 12, v179
	s_cbranch_execz .LBB126_75
; %bb.72:
	v_dual_mov_b32 v1, 0 :: v_dual_add_nc_u32 v8, 0x3f0, v239
	v_dual_mov_b32 v2, 0 :: v_dual_add_nc_u32 v7, -1, v179
	v_or_b32_e32 v9, 8, v13
	s_mov_b32 s3, 0
	s_delay_alu instid0(VALU_DEP_2)
	v_dual_mov_b32 v4, v2 :: v_dual_mov_b32 v3, v1
	.p2align	6
.LBB126_73:                             ; =>This Inner Loop Header: Depth=1
	scratch_load_b128 v[14:17], v9, off offset:-8
	ds_load_b128 v[18:21], v8
	v_add_nc_u32_e32 v7, 1, v7
	v_add_nc_u32_e32 v8, 16, v8
	;; [unrolled: 1-line block ×3, first 2 shown]
	s_delay_alu instid0(VALU_DEP_3) | instskip(SKIP_4) | instid1(VALU_DEP_2)
	v_cmp_lt_u32_e32 vcc_lo, 10, v7
	s_or_b32 s3, vcc_lo, s3
	s_waitcnt vmcnt(0) lgkmcnt(0)
	v_mul_f64 v[10:11], v[20:21], v[16:17]
	v_mul_f64 v[16:17], v[18:19], v[16:17]
	v_fma_f64 v[10:11], v[18:19], v[14:15], -v[10:11]
	s_delay_alu instid0(VALU_DEP_2) | instskip(NEXT) | instid1(VALU_DEP_2)
	v_fma_f64 v[14:15], v[20:21], v[14:15], v[16:17]
	v_add_f64 v[3:4], v[3:4], v[10:11]
	s_delay_alu instid0(VALU_DEP_2)
	v_add_f64 v[1:2], v[1:2], v[14:15]
	s_and_not1_b32 exec_lo, exec_lo, s3
	s_cbranch_execnz .LBB126_73
; %bb.74:
	s_or_b32 exec_lo, exec_lo, s3
	v_mov_b32_e32 v7, 0
	ds_load_b128 v[7:10], v7 offset:192
	s_waitcnt lgkmcnt(0)
	v_mul_f64 v[11:12], v[1:2], v[9:10]
	v_mul_f64 v[14:15], v[3:4], v[9:10]
	s_delay_alu instid0(VALU_DEP_2) | instskip(NEXT) | instid1(VALU_DEP_2)
	v_fma_f64 v[9:10], v[3:4], v[7:8], -v[11:12]
	v_fma_f64 v[11:12], v[1:2], v[7:8], v[14:15]
	scratch_store_b128 off, v[9:12], off offset:192
.LBB126_75:
	s_or_b32 exec_lo, exec_lo, s2
	s_waitcnt_vscnt null, 0x0
	s_barrier
	buffer_gl0_inv
	scratch_load_b32 v1, off, off offset:1024 ; 4-byte Folded Reload
	s_mov_b32 s2, exec_lo
	s_waitcnt vmcnt(0)
	scratch_load_b128 v[1:4], v1, off
	s_waitcnt vmcnt(0)
	ds_store_b128 v5, v[1:4]
	s_waitcnt lgkmcnt(0)
	s_barrier
	buffer_gl0_inv
	v_cmpx_gt_u32_e32 13, v179
	s_cbranch_execz .LBB126_79
; %bb.76:
	v_dual_mov_b32 v1, 0 :: v_dual_add_nc_u32 v8, 0x3f0, v239
	v_dual_mov_b32 v2, 0 :: v_dual_add_nc_u32 v7, -1, v179
	v_or_b32_e32 v9, 8, v13
	s_mov_b32 s3, 0
	s_delay_alu instid0(VALU_DEP_2)
	v_dual_mov_b32 v4, v2 :: v_dual_mov_b32 v3, v1
	.p2align	6
.LBB126_77:                             ; =>This Inner Loop Header: Depth=1
	scratch_load_b128 v[14:17], v9, off offset:-8
	ds_load_b128 v[18:21], v8
	v_add_nc_u32_e32 v7, 1, v7
	v_add_nc_u32_e32 v8, 16, v8
	;; [unrolled: 1-line block ×3, first 2 shown]
	s_delay_alu instid0(VALU_DEP_3) | instskip(SKIP_4) | instid1(VALU_DEP_2)
	v_cmp_lt_u32_e32 vcc_lo, 11, v7
	s_or_b32 s3, vcc_lo, s3
	s_waitcnt vmcnt(0) lgkmcnt(0)
	v_mul_f64 v[10:11], v[20:21], v[16:17]
	v_mul_f64 v[16:17], v[18:19], v[16:17]
	v_fma_f64 v[10:11], v[18:19], v[14:15], -v[10:11]
	s_delay_alu instid0(VALU_DEP_2) | instskip(NEXT) | instid1(VALU_DEP_2)
	v_fma_f64 v[14:15], v[20:21], v[14:15], v[16:17]
	v_add_f64 v[3:4], v[3:4], v[10:11]
	s_delay_alu instid0(VALU_DEP_2)
	v_add_f64 v[1:2], v[1:2], v[14:15]
	s_and_not1_b32 exec_lo, exec_lo, s3
	s_cbranch_execnz .LBB126_77
; %bb.78:
	s_or_b32 exec_lo, exec_lo, s3
	v_mov_b32_e32 v7, 0
	ds_load_b128 v[7:10], v7 offset:208
	s_waitcnt lgkmcnt(0)
	v_mul_f64 v[11:12], v[1:2], v[9:10]
	v_mul_f64 v[14:15], v[3:4], v[9:10]
	s_delay_alu instid0(VALU_DEP_2) | instskip(NEXT) | instid1(VALU_DEP_2)
	v_fma_f64 v[9:10], v[3:4], v[7:8], -v[11:12]
	v_fma_f64 v[11:12], v[1:2], v[7:8], v[14:15]
	scratch_store_b128 off, v[9:12], off offset:208
.LBB126_79:
	s_or_b32 exec_lo, exec_lo, s2
	s_waitcnt_vscnt null, 0x0
	s_barrier
	buffer_gl0_inv
	scratch_load_b32 v1, off, off offset:1020 ; 4-byte Folded Reload
	s_mov_b32 s2, exec_lo
	s_waitcnt vmcnt(0)
	scratch_load_b128 v[1:4], v1, off
	s_waitcnt vmcnt(0)
	ds_store_b128 v5, v[1:4]
	s_waitcnt lgkmcnt(0)
	s_barrier
	buffer_gl0_inv
	v_cmpx_gt_u32_e32 14, v179
	s_cbranch_execz .LBB126_83
; %bb.80:
	v_dual_mov_b32 v1, 0 :: v_dual_add_nc_u32 v8, 0x3f0, v239
	v_dual_mov_b32 v2, 0 :: v_dual_add_nc_u32 v7, -1, v179
	v_or_b32_e32 v9, 8, v13
	s_mov_b32 s3, 0
	s_delay_alu instid0(VALU_DEP_2)
	v_dual_mov_b32 v4, v2 :: v_dual_mov_b32 v3, v1
	.p2align	6
.LBB126_81:                             ; =>This Inner Loop Header: Depth=1
	scratch_load_b128 v[14:17], v9, off offset:-8
	ds_load_b128 v[18:21], v8
	v_add_nc_u32_e32 v7, 1, v7
	v_add_nc_u32_e32 v8, 16, v8
	;; [unrolled: 1-line block ×3, first 2 shown]
	s_delay_alu instid0(VALU_DEP_3) | instskip(SKIP_4) | instid1(VALU_DEP_2)
	v_cmp_lt_u32_e32 vcc_lo, 12, v7
	s_or_b32 s3, vcc_lo, s3
	s_waitcnt vmcnt(0) lgkmcnt(0)
	v_mul_f64 v[10:11], v[20:21], v[16:17]
	v_mul_f64 v[16:17], v[18:19], v[16:17]
	v_fma_f64 v[10:11], v[18:19], v[14:15], -v[10:11]
	s_delay_alu instid0(VALU_DEP_2) | instskip(NEXT) | instid1(VALU_DEP_2)
	v_fma_f64 v[14:15], v[20:21], v[14:15], v[16:17]
	v_add_f64 v[3:4], v[3:4], v[10:11]
	s_delay_alu instid0(VALU_DEP_2)
	v_add_f64 v[1:2], v[1:2], v[14:15]
	s_and_not1_b32 exec_lo, exec_lo, s3
	s_cbranch_execnz .LBB126_81
; %bb.82:
	s_or_b32 exec_lo, exec_lo, s3
	v_mov_b32_e32 v7, 0
	ds_load_b128 v[7:10], v7 offset:224
	s_waitcnt lgkmcnt(0)
	v_mul_f64 v[11:12], v[1:2], v[9:10]
	v_mul_f64 v[14:15], v[3:4], v[9:10]
	s_delay_alu instid0(VALU_DEP_2) | instskip(NEXT) | instid1(VALU_DEP_2)
	v_fma_f64 v[9:10], v[3:4], v[7:8], -v[11:12]
	v_fma_f64 v[11:12], v[1:2], v[7:8], v[14:15]
	scratch_store_b128 off, v[9:12], off offset:224
.LBB126_83:
	s_or_b32 exec_lo, exec_lo, s2
	s_waitcnt_vscnt null, 0x0
	s_barrier
	buffer_gl0_inv
	scratch_load_b32 v1, off, off offset:1016 ; 4-byte Folded Reload
	s_mov_b32 s2, exec_lo
	s_waitcnt vmcnt(0)
	scratch_load_b128 v[1:4], v1, off
	s_waitcnt vmcnt(0)
	ds_store_b128 v5, v[1:4]
	s_waitcnt lgkmcnt(0)
	s_barrier
	buffer_gl0_inv
	v_cmpx_gt_u32_e32 15, v179
	s_cbranch_execz .LBB126_87
; %bb.84:
	v_dual_mov_b32 v1, 0 :: v_dual_add_nc_u32 v8, 0x3f0, v239
	v_dual_mov_b32 v2, 0 :: v_dual_add_nc_u32 v7, -1, v179
	v_or_b32_e32 v9, 8, v13
	s_mov_b32 s3, 0
	s_delay_alu instid0(VALU_DEP_2)
	v_dual_mov_b32 v4, v2 :: v_dual_mov_b32 v3, v1
	.p2align	6
.LBB126_85:                             ; =>This Inner Loop Header: Depth=1
	scratch_load_b128 v[14:17], v9, off offset:-8
	ds_load_b128 v[18:21], v8
	v_add_nc_u32_e32 v7, 1, v7
	v_add_nc_u32_e32 v8, 16, v8
	;; [unrolled: 1-line block ×3, first 2 shown]
	s_delay_alu instid0(VALU_DEP_3) | instskip(SKIP_4) | instid1(VALU_DEP_2)
	v_cmp_lt_u32_e32 vcc_lo, 13, v7
	s_or_b32 s3, vcc_lo, s3
	s_waitcnt vmcnt(0) lgkmcnt(0)
	v_mul_f64 v[10:11], v[20:21], v[16:17]
	v_mul_f64 v[16:17], v[18:19], v[16:17]
	v_fma_f64 v[10:11], v[18:19], v[14:15], -v[10:11]
	s_delay_alu instid0(VALU_DEP_2) | instskip(NEXT) | instid1(VALU_DEP_2)
	v_fma_f64 v[14:15], v[20:21], v[14:15], v[16:17]
	v_add_f64 v[3:4], v[3:4], v[10:11]
	s_delay_alu instid0(VALU_DEP_2)
	v_add_f64 v[1:2], v[1:2], v[14:15]
	s_and_not1_b32 exec_lo, exec_lo, s3
	s_cbranch_execnz .LBB126_85
; %bb.86:
	s_or_b32 exec_lo, exec_lo, s3
	v_mov_b32_e32 v7, 0
	ds_load_b128 v[7:10], v7 offset:240
	s_waitcnt lgkmcnt(0)
	v_mul_f64 v[11:12], v[1:2], v[9:10]
	v_mul_f64 v[14:15], v[3:4], v[9:10]
	s_delay_alu instid0(VALU_DEP_2) | instskip(NEXT) | instid1(VALU_DEP_2)
	v_fma_f64 v[9:10], v[3:4], v[7:8], -v[11:12]
	v_fma_f64 v[11:12], v[1:2], v[7:8], v[14:15]
	scratch_store_b128 off, v[9:12], off offset:240
.LBB126_87:
	s_or_b32 exec_lo, exec_lo, s2
	s_waitcnt_vscnt null, 0x0
	s_barrier
	buffer_gl0_inv
	scratch_load_b32 v1, off, off offset:1012 ; 4-byte Folded Reload
	s_mov_b32 s2, exec_lo
	s_waitcnt vmcnt(0)
	scratch_load_b128 v[1:4], v1, off
	s_waitcnt vmcnt(0)
	ds_store_b128 v5, v[1:4]
	s_waitcnt lgkmcnt(0)
	s_barrier
	buffer_gl0_inv
	v_cmpx_gt_u32_e32 16, v179
	s_cbranch_execz .LBB126_91
; %bb.88:
	v_dual_mov_b32 v1, 0 :: v_dual_add_nc_u32 v8, 0x3f0, v239
	v_dual_mov_b32 v2, 0 :: v_dual_add_nc_u32 v7, -1, v179
	v_or_b32_e32 v9, 8, v13
	s_mov_b32 s3, 0
	s_delay_alu instid0(VALU_DEP_2)
	v_dual_mov_b32 v4, v2 :: v_dual_mov_b32 v3, v1
	.p2align	6
.LBB126_89:                             ; =>This Inner Loop Header: Depth=1
	scratch_load_b128 v[14:17], v9, off offset:-8
	ds_load_b128 v[18:21], v8
	v_add_nc_u32_e32 v7, 1, v7
	v_add_nc_u32_e32 v8, 16, v8
	;; [unrolled: 1-line block ×3, first 2 shown]
	s_delay_alu instid0(VALU_DEP_3) | instskip(SKIP_4) | instid1(VALU_DEP_2)
	v_cmp_lt_u32_e32 vcc_lo, 14, v7
	s_or_b32 s3, vcc_lo, s3
	s_waitcnt vmcnt(0) lgkmcnt(0)
	v_mul_f64 v[10:11], v[20:21], v[16:17]
	v_mul_f64 v[16:17], v[18:19], v[16:17]
	v_fma_f64 v[10:11], v[18:19], v[14:15], -v[10:11]
	s_delay_alu instid0(VALU_DEP_2) | instskip(NEXT) | instid1(VALU_DEP_2)
	v_fma_f64 v[14:15], v[20:21], v[14:15], v[16:17]
	v_add_f64 v[3:4], v[3:4], v[10:11]
	s_delay_alu instid0(VALU_DEP_2)
	v_add_f64 v[1:2], v[1:2], v[14:15]
	s_and_not1_b32 exec_lo, exec_lo, s3
	s_cbranch_execnz .LBB126_89
; %bb.90:
	s_or_b32 exec_lo, exec_lo, s3
	v_mov_b32_e32 v7, 0
	ds_load_b128 v[7:10], v7 offset:256
	s_waitcnt lgkmcnt(0)
	v_mul_f64 v[11:12], v[1:2], v[9:10]
	v_mul_f64 v[14:15], v[3:4], v[9:10]
	s_delay_alu instid0(VALU_DEP_2) | instskip(NEXT) | instid1(VALU_DEP_2)
	v_fma_f64 v[9:10], v[3:4], v[7:8], -v[11:12]
	v_fma_f64 v[11:12], v[1:2], v[7:8], v[14:15]
	scratch_store_b128 off, v[9:12], off offset:256
.LBB126_91:
	s_or_b32 exec_lo, exec_lo, s2
	s_waitcnt_vscnt null, 0x0
	s_barrier
	buffer_gl0_inv
	scratch_load_b32 v1, off, off offset:1008 ; 4-byte Folded Reload
	s_mov_b32 s2, exec_lo
	s_waitcnt vmcnt(0)
	scratch_load_b128 v[1:4], v1, off
	s_waitcnt vmcnt(0)
	ds_store_b128 v5, v[1:4]
	s_waitcnt lgkmcnt(0)
	s_barrier
	buffer_gl0_inv
	v_cmpx_gt_u32_e32 17, v179
	s_cbranch_execz .LBB126_95
; %bb.92:
	v_dual_mov_b32 v1, 0 :: v_dual_add_nc_u32 v8, 0x3f0, v239
	v_dual_mov_b32 v2, 0 :: v_dual_add_nc_u32 v7, -1, v179
	v_or_b32_e32 v9, 8, v13
	s_mov_b32 s3, 0
	s_delay_alu instid0(VALU_DEP_2)
	v_dual_mov_b32 v4, v2 :: v_dual_mov_b32 v3, v1
	.p2align	6
.LBB126_93:                             ; =>This Inner Loop Header: Depth=1
	scratch_load_b128 v[14:17], v9, off offset:-8
	ds_load_b128 v[18:21], v8
	v_add_nc_u32_e32 v7, 1, v7
	v_add_nc_u32_e32 v8, 16, v8
	;; [unrolled: 1-line block ×3, first 2 shown]
	s_delay_alu instid0(VALU_DEP_3) | instskip(SKIP_4) | instid1(VALU_DEP_2)
	v_cmp_lt_u32_e32 vcc_lo, 15, v7
	s_or_b32 s3, vcc_lo, s3
	s_waitcnt vmcnt(0) lgkmcnt(0)
	v_mul_f64 v[10:11], v[20:21], v[16:17]
	v_mul_f64 v[16:17], v[18:19], v[16:17]
	v_fma_f64 v[10:11], v[18:19], v[14:15], -v[10:11]
	s_delay_alu instid0(VALU_DEP_2) | instskip(NEXT) | instid1(VALU_DEP_2)
	v_fma_f64 v[14:15], v[20:21], v[14:15], v[16:17]
	v_add_f64 v[3:4], v[3:4], v[10:11]
	s_delay_alu instid0(VALU_DEP_2)
	v_add_f64 v[1:2], v[1:2], v[14:15]
	s_and_not1_b32 exec_lo, exec_lo, s3
	s_cbranch_execnz .LBB126_93
; %bb.94:
	s_or_b32 exec_lo, exec_lo, s3
	v_mov_b32_e32 v7, 0
	ds_load_b128 v[7:10], v7 offset:272
	s_waitcnt lgkmcnt(0)
	v_mul_f64 v[11:12], v[1:2], v[9:10]
	v_mul_f64 v[14:15], v[3:4], v[9:10]
	s_delay_alu instid0(VALU_DEP_2) | instskip(NEXT) | instid1(VALU_DEP_2)
	v_fma_f64 v[9:10], v[3:4], v[7:8], -v[11:12]
	v_fma_f64 v[11:12], v[1:2], v[7:8], v[14:15]
	scratch_store_b128 off, v[9:12], off offset:272
.LBB126_95:
	s_or_b32 exec_lo, exec_lo, s2
	s_waitcnt_vscnt null, 0x0
	s_barrier
	buffer_gl0_inv
	scratch_load_b128 v[1:4], v78, off
	s_mov_b32 s2, exec_lo
	s_waitcnt vmcnt(0)
	ds_store_b128 v5, v[1:4]
	s_waitcnt lgkmcnt(0)
	s_barrier
	buffer_gl0_inv
	v_cmpx_gt_u32_e32 18, v179
	s_cbranch_execz .LBB126_99
; %bb.96:
	v_dual_mov_b32 v1, 0 :: v_dual_add_nc_u32 v8, 0x3f0, v239
	v_dual_mov_b32 v2, 0 :: v_dual_add_nc_u32 v7, -1, v179
	v_or_b32_e32 v9, 8, v13
	s_mov_b32 s3, 0
	s_delay_alu instid0(VALU_DEP_2)
	v_dual_mov_b32 v4, v2 :: v_dual_mov_b32 v3, v1
	.p2align	6
.LBB126_97:                             ; =>This Inner Loop Header: Depth=1
	scratch_load_b128 v[14:17], v9, off offset:-8
	ds_load_b128 v[18:21], v8
	v_add_nc_u32_e32 v7, 1, v7
	v_add_nc_u32_e32 v8, 16, v8
	;; [unrolled: 1-line block ×3, first 2 shown]
	s_delay_alu instid0(VALU_DEP_3) | instskip(SKIP_4) | instid1(VALU_DEP_2)
	v_cmp_lt_u32_e32 vcc_lo, 16, v7
	s_or_b32 s3, vcc_lo, s3
	s_waitcnt vmcnt(0) lgkmcnt(0)
	v_mul_f64 v[10:11], v[20:21], v[16:17]
	v_mul_f64 v[16:17], v[18:19], v[16:17]
	v_fma_f64 v[10:11], v[18:19], v[14:15], -v[10:11]
	s_delay_alu instid0(VALU_DEP_2) | instskip(NEXT) | instid1(VALU_DEP_2)
	v_fma_f64 v[14:15], v[20:21], v[14:15], v[16:17]
	v_add_f64 v[3:4], v[3:4], v[10:11]
	s_delay_alu instid0(VALU_DEP_2)
	v_add_f64 v[1:2], v[1:2], v[14:15]
	s_and_not1_b32 exec_lo, exec_lo, s3
	s_cbranch_execnz .LBB126_97
; %bb.98:
	s_or_b32 exec_lo, exec_lo, s3
	v_mov_b32_e32 v7, 0
	ds_load_b128 v[7:10], v7 offset:288
	s_waitcnt lgkmcnt(0)
	v_mul_f64 v[11:12], v[1:2], v[9:10]
	v_mul_f64 v[14:15], v[3:4], v[9:10]
	s_delay_alu instid0(VALU_DEP_2) | instskip(NEXT) | instid1(VALU_DEP_2)
	v_fma_f64 v[9:10], v[3:4], v[7:8], -v[11:12]
	v_fma_f64 v[11:12], v[1:2], v[7:8], v[14:15]
	scratch_store_b128 off, v[9:12], off offset:288
.LBB126_99:
	s_or_b32 exec_lo, exec_lo, s2
	s_waitcnt_vscnt null, 0x0
	s_barrier
	buffer_gl0_inv
	scratch_load_b128 v[1:4], v77, off
	s_mov_b32 s2, exec_lo
	s_waitcnt vmcnt(0)
	ds_store_b128 v5, v[1:4]
	s_waitcnt lgkmcnt(0)
	s_barrier
	buffer_gl0_inv
	v_cmpx_gt_u32_e32 19, v179
	s_cbranch_execz .LBB126_103
; %bb.100:
	v_dual_mov_b32 v1, 0 :: v_dual_add_nc_u32 v8, 0x3f0, v239
	v_dual_mov_b32 v2, 0 :: v_dual_add_nc_u32 v7, -1, v179
	v_or_b32_e32 v9, 8, v13
	s_mov_b32 s3, 0
	s_delay_alu instid0(VALU_DEP_2)
	v_dual_mov_b32 v4, v2 :: v_dual_mov_b32 v3, v1
	.p2align	6
.LBB126_101:                            ; =>This Inner Loop Header: Depth=1
	scratch_load_b128 v[14:17], v9, off offset:-8
	ds_load_b128 v[18:21], v8
	v_add_nc_u32_e32 v7, 1, v7
	v_add_nc_u32_e32 v8, 16, v8
	;; [unrolled: 1-line block ×3, first 2 shown]
	s_delay_alu instid0(VALU_DEP_3) | instskip(SKIP_4) | instid1(VALU_DEP_2)
	v_cmp_lt_u32_e32 vcc_lo, 17, v7
	s_or_b32 s3, vcc_lo, s3
	s_waitcnt vmcnt(0) lgkmcnt(0)
	v_mul_f64 v[10:11], v[20:21], v[16:17]
	v_mul_f64 v[16:17], v[18:19], v[16:17]
	v_fma_f64 v[10:11], v[18:19], v[14:15], -v[10:11]
	s_delay_alu instid0(VALU_DEP_2) | instskip(NEXT) | instid1(VALU_DEP_2)
	v_fma_f64 v[14:15], v[20:21], v[14:15], v[16:17]
	v_add_f64 v[3:4], v[3:4], v[10:11]
	s_delay_alu instid0(VALU_DEP_2)
	v_add_f64 v[1:2], v[1:2], v[14:15]
	s_and_not1_b32 exec_lo, exec_lo, s3
	s_cbranch_execnz .LBB126_101
; %bb.102:
	s_or_b32 exec_lo, exec_lo, s3
	v_mov_b32_e32 v7, 0
	ds_load_b128 v[7:10], v7 offset:304
	s_waitcnt lgkmcnt(0)
	v_mul_f64 v[11:12], v[1:2], v[9:10]
	v_mul_f64 v[14:15], v[3:4], v[9:10]
	s_delay_alu instid0(VALU_DEP_2) | instskip(NEXT) | instid1(VALU_DEP_2)
	v_fma_f64 v[9:10], v[3:4], v[7:8], -v[11:12]
	v_fma_f64 v[11:12], v[1:2], v[7:8], v[14:15]
	scratch_store_b128 off, v[9:12], off offset:304
.LBB126_103:
	s_or_b32 exec_lo, exec_lo, s2
	s_waitcnt_vscnt null, 0x0
	s_barrier
	buffer_gl0_inv
	scratch_load_b128 v[1:4], v76, off
	s_mov_b32 s2, exec_lo
	s_waitcnt vmcnt(0)
	ds_store_b128 v5, v[1:4]
	s_waitcnt lgkmcnt(0)
	s_barrier
	buffer_gl0_inv
	v_cmpx_gt_u32_e32 20, v179
	s_cbranch_execz .LBB126_107
; %bb.104:
	v_dual_mov_b32 v1, 0 :: v_dual_add_nc_u32 v8, 0x3f0, v239
	v_dual_mov_b32 v2, 0 :: v_dual_add_nc_u32 v7, -1, v179
	v_or_b32_e32 v9, 8, v13
	s_mov_b32 s3, 0
	s_delay_alu instid0(VALU_DEP_2)
	v_dual_mov_b32 v4, v2 :: v_dual_mov_b32 v3, v1
	.p2align	6
.LBB126_105:                            ; =>This Inner Loop Header: Depth=1
	scratch_load_b128 v[14:17], v9, off offset:-8
	ds_load_b128 v[18:21], v8
	v_add_nc_u32_e32 v7, 1, v7
	v_add_nc_u32_e32 v8, 16, v8
	;; [unrolled: 1-line block ×3, first 2 shown]
	s_delay_alu instid0(VALU_DEP_3) | instskip(SKIP_4) | instid1(VALU_DEP_2)
	v_cmp_lt_u32_e32 vcc_lo, 18, v7
	s_or_b32 s3, vcc_lo, s3
	s_waitcnt vmcnt(0) lgkmcnt(0)
	v_mul_f64 v[10:11], v[20:21], v[16:17]
	v_mul_f64 v[16:17], v[18:19], v[16:17]
	v_fma_f64 v[10:11], v[18:19], v[14:15], -v[10:11]
	s_delay_alu instid0(VALU_DEP_2) | instskip(NEXT) | instid1(VALU_DEP_2)
	v_fma_f64 v[14:15], v[20:21], v[14:15], v[16:17]
	v_add_f64 v[3:4], v[3:4], v[10:11]
	s_delay_alu instid0(VALU_DEP_2)
	v_add_f64 v[1:2], v[1:2], v[14:15]
	s_and_not1_b32 exec_lo, exec_lo, s3
	s_cbranch_execnz .LBB126_105
; %bb.106:
	s_or_b32 exec_lo, exec_lo, s3
	v_mov_b32_e32 v7, 0
	ds_load_b128 v[7:10], v7 offset:320
	s_waitcnt lgkmcnt(0)
	v_mul_f64 v[11:12], v[1:2], v[9:10]
	v_mul_f64 v[14:15], v[3:4], v[9:10]
	s_delay_alu instid0(VALU_DEP_2) | instskip(NEXT) | instid1(VALU_DEP_2)
	v_fma_f64 v[9:10], v[3:4], v[7:8], -v[11:12]
	v_fma_f64 v[11:12], v[1:2], v[7:8], v[14:15]
	scratch_store_b128 off, v[9:12], off offset:320
.LBB126_107:
	s_or_b32 exec_lo, exec_lo, s2
	s_waitcnt_vscnt null, 0x0
	s_barrier
	buffer_gl0_inv
	scratch_load_b128 v[1:4], v75, off
	s_mov_b32 s2, exec_lo
	s_waitcnt vmcnt(0)
	ds_store_b128 v5, v[1:4]
	s_waitcnt lgkmcnt(0)
	s_barrier
	buffer_gl0_inv
	v_cmpx_gt_u32_e32 21, v179
	s_cbranch_execz .LBB126_111
; %bb.108:
	v_dual_mov_b32 v1, 0 :: v_dual_add_nc_u32 v8, 0x3f0, v239
	v_dual_mov_b32 v2, 0 :: v_dual_add_nc_u32 v7, -1, v179
	v_or_b32_e32 v9, 8, v13
	s_mov_b32 s3, 0
	s_delay_alu instid0(VALU_DEP_2)
	v_dual_mov_b32 v4, v2 :: v_dual_mov_b32 v3, v1
	.p2align	6
.LBB126_109:                            ; =>This Inner Loop Header: Depth=1
	scratch_load_b128 v[14:17], v9, off offset:-8
	ds_load_b128 v[18:21], v8
	v_add_nc_u32_e32 v7, 1, v7
	v_add_nc_u32_e32 v8, 16, v8
	;; [unrolled: 1-line block ×3, first 2 shown]
	s_delay_alu instid0(VALU_DEP_3) | instskip(SKIP_4) | instid1(VALU_DEP_2)
	v_cmp_lt_u32_e32 vcc_lo, 19, v7
	s_or_b32 s3, vcc_lo, s3
	s_waitcnt vmcnt(0) lgkmcnt(0)
	v_mul_f64 v[10:11], v[20:21], v[16:17]
	v_mul_f64 v[16:17], v[18:19], v[16:17]
	v_fma_f64 v[10:11], v[18:19], v[14:15], -v[10:11]
	s_delay_alu instid0(VALU_DEP_2) | instskip(NEXT) | instid1(VALU_DEP_2)
	v_fma_f64 v[14:15], v[20:21], v[14:15], v[16:17]
	v_add_f64 v[3:4], v[3:4], v[10:11]
	s_delay_alu instid0(VALU_DEP_2)
	v_add_f64 v[1:2], v[1:2], v[14:15]
	s_and_not1_b32 exec_lo, exec_lo, s3
	s_cbranch_execnz .LBB126_109
; %bb.110:
	s_or_b32 exec_lo, exec_lo, s3
	v_mov_b32_e32 v7, 0
	ds_load_b128 v[7:10], v7 offset:336
	s_waitcnt lgkmcnt(0)
	v_mul_f64 v[11:12], v[1:2], v[9:10]
	v_mul_f64 v[14:15], v[3:4], v[9:10]
	s_delay_alu instid0(VALU_DEP_2) | instskip(NEXT) | instid1(VALU_DEP_2)
	v_fma_f64 v[9:10], v[3:4], v[7:8], -v[11:12]
	v_fma_f64 v[11:12], v[1:2], v[7:8], v[14:15]
	scratch_store_b128 off, v[9:12], off offset:336
.LBB126_111:
	s_or_b32 exec_lo, exec_lo, s2
	s_waitcnt_vscnt null, 0x0
	s_barrier
	buffer_gl0_inv
	scratch_load_b128 v[1:4], v50, off
	s_mov_b32 s2, exec_lo
	s_waitcnt vmcnt(0)
	ds_store_b128 v5, v[1:4]
	s_waitcnt lgkmcnt(0)
	s_barrier
	buffer_gl0_inv
	v_cmpx_gt_u32_e32 22, v179
	s_cbranch_execz .LBB126_115
; %bb.112:
	v_dual_mov_b32 v1, 0 :: v_dual_add_nc_u32 v8, 0x3f0, v239
	v_dual_mov_b32 v2, 0 :: v_dual_add_nc_u32 v7, -1, v179
	v_or_b32_e32 v9, 8, v13
	s_mov_b32 s3, 0
	s_delay_alu instid0(VALU_DEP_2)
	v_dual_mov_b32 v4, v2 :: v_dual_mov_b32 v3, v1
	.p2align	6
.LBB126_113:                            ; =>This Inner Loop Header: Depth=1
	scratch_load_b128 v[14:17], v9, off offset:-8
	ds_load_b128 v[18:21], v8
	v_add_nc_u32_e32 v7, 1, v7
	v_add_nc_u32_e32 v8, 16, v8
	;; [unrolled: 1-line block ×3, first 2 shown]
	s_delay_alu instid0(VALU_DEP_3) | instskip(SKIP_4) | instid1(VALU_DEP_2)
	v_cmp_lt_u32_e32 vcc_lo, 20, v7
	s_or_b32 s3, vcc_lo, s3
	s_waitcnt vmcnt(0) lgkmcnt(0)
	v_mul_f64 v[10:11], v[20:21], v[16:17]
	v_mul_f64 v[16:17], v[18:19], v[16:17]
	v_fma_f64 v[10:11], v[18:19], v[14:15], -v[10:11]
	s_delay_alu instid0(VALU_DEP_2) | instskip(NEXT) | instid1(VALU_DEP_2)
	v_fma_f64 v[14:15], v[20:21], v[14:15], v[16:17]
	v_add_f64 v[3:4], v[3:4], v[10:11]
	s_delay_alu instid0(VALU_DEP_2)
	v_add_f64 v[1:2], v[1:2], v[14:15]
	s_and_not1_b32 exec_lo, exec_lo, s3
	s_cbranch_execnz .LBB126_113
; %bb.114:
	s_or_b32 exec_lo, exec_lo, s3
	v_mov_b32_e32 v7, 0
	ds_load_b128 v[7:10], v7 offset:352
	s_waitcnt lgkmcnt(0)
	v_mul_f64 v[11:12], v[1:2], v[9:10]
	v_mul_f64 v[14:15], v[3:4], v[9:10]
	s_delay_alu instid0(VALU_DEP_2) | instskip(NEXT) | instid1(VALU_DEP_2)
	v_fma_f64 v[9:10], v[3:4], v[7:8], -v[11:12]
	v_fma_f64 v[11:12], v[1:2], v[7:8], v[14:15]
	scratch_store_b128 off, v[9:12], off offset:352
.LBB126_115:
	s_or_b32 exec_lo, exec_lo, s2
	s_waitcnt_vscnt null, 0x0
	s_barrier
	buffer_gl0_inv
	scratch_load_b128 v[1:4], v88, off
	s_mov_b32 s2, exec_lo
	s_waitcnt vmcnt(0)
	ds_store_b128 v5, v[1:4]
	s_waitcnt lgkmcnt(0)
	s_barrier
	buffer_gl0_inv
	v_cmpx_gt_u32_e32 23, v179
	s_cbranch_execz .LBB126_119
; %bb.116:
	v_dual_mov_b32 v1, 0 :: v_dual_add_nc_u32 v8, 0x3f0, v239
	v_dual_mov_b32 v2, 0 :: v_dual_add_nc_u32 v7, -1, v179
	v_or_b32_e32 v9, 8, v13
	s_mov_b32 s3, 0
	s_delay_alu instid0(VALU_DEP_2)
	v_dual_mov_b32 v4, v2 :: v_dual_mov_b32 v3, v1
	.p2align	6
.LBB126_117:                            ; =>This Inner Loop Header: Depth=1
	scratch_load_b128 v[14:17], v9, off offset:-8
	ds_load_b128 v[18:21], v8
	v_add_nc_u32_e32 v7, 1, v7
	v_add_nc_u32_e32 v8, 16, v8
	v_add_nc_u32_e32 v9, 16, v9
	s_delay_alu instid0(VALU_DEP_3) | instskip(SKIP_4) | instid1(VALU_DEP_2)
	v_cmp_lt_u32_e32 vcc_lo, 21, v7
	s_or_b32 s3, vcc_lo, s3
	s_waitcnt vmcnt(0) lgkmcnt(0)
	v_mul_f64 v[10:11], v[20:21], v[16:17]
	v_mul_f64 v[16:17], v[18:19], v[16:17]
	v_fma_f64 v[10:11], v[18:19], v[14:15], -v[10:11]
	s_delay_alu instid0(VALU_DEP_2) | instskip(NEXT) | instid1(VALU_DEP_2)
	v_fma_f64 v[14:15], v[20:21], v[14:15], v[16:17]
	v_add_f64 v[3:4], v[3:4], v[10:11]
	s_delay_alu instid0(VALU_DEP_2)
	v_add_f64 v[1:2], v[1:2], v[14:15]
	s_and_not1_b32 exec_lo, exec_lo, s3
	s_cbranch_execnz .LBB126_117
; %bb.118:
	s_or_b32 exec_lo, exec_lo, s3
	v_mov_b32_e32 v7, 0
	ds_load_b128 v[7:10], v7 offset:368
	s_waitcnt lgkmcnt(0)
	v_mul_f64 v[11:12], v[1:2], v[9:10]
	v_mul_f64 v[14:15], v[3:4], v[9:10]
	s_delay_alu instid0(VALU_DEP_2) | instskip(NEXT) | instid1(VALU_DEP_2)
	v_fma_f64 v[9:10], v[3:4], v[7:8], -v[11:12]
	v_fma_f64 v[11:12], v[1:2], v[7:8], v[14:15]
	scratch_store_b128 off, v[9:12], off offset:368
.LBB126_119:
	s_or_b32 exec_lo, exec_lo, s2
	s_waitcnt_vscnt null, 0x0
	s_barrier
	buffer_gl0_inv
	scratch_load_b128 v[1:4], v57, off
	s_mov_b32 s2, exec_lo
	s_waitcnt vmcnt(0)
	ds_store_b128 v5, v[1:4]
	s_waitcnt lgkmcnt(0)
	s_barrier
	buffer_gl0_inv
	v_cmpx_gt_u32_e32 24, v179
	s_cbranch_execz .LBB126_123
; %bb.120:
	v_dual_mov_b32 v1, 0 :: v_dual_add_nc_u32 v8, 0x3f0, v239
	v_dual_mov_b32 v2, 0 :: v_dual_add_nc_u32 v7, -1, v179
	v_or_b32_e32 v9, 8, v13
	s_mov_b32 s3, 0
	s_delay_alu instid0(VALU_DEP_2)
	v_dual_mov_b32 v4, v2 :: v_dual_mov_b32 v3, v1
	.p2align	6
.LBB126_121:                            ; =>This Inner Loop Header: Depth=1
	scratch_load_b128 v[14:17], v9, off offset:-8
	ds_load_b128 v[18:21], v8
	v_add_nc_u32_e32 v7, 1, v7
	v_add_nc_u32_e32 v8, 16, v8
	;; [unrolled: 1-line block ×3, first 2 shown]
	s_delay_alu instid0(VALU_DEP_3) | instskip(SKIP_4) | instid1(VALU_DEP_2)
	v_cmp_lt_u32_e32 vcc_lo, 22, v7
	s_or_b32 s3, vcc_lo, s3
	s_waitcnt vmcnt(0) lgkmcnt(0)
	v_mul_f64 v[10:11], v[20:21], v[16:17]
	v_mul_f64 v[16:17], v[18:19], v[16:17]
	v_fma_f64 v[10:11], v[18:19], v[14:15], -v[10:11]
	s_delay_alu instid0(VALU_DEP_2) | instskip(NEXT) | instid1(VALU_DEP_2)
	v_fma_f64 v[14:15], v[20:21], v[14:15], v[16:17]
	v_add_f64 v[3:4], v[3:4], v[10:11]
	s_delay_alu instid0(VALU_DEP_2)
	v_add_f64 v[1:2], v[1:2], v[14:15]
	s_and_not1_b32 exec_lo, exec_lo, s3
	s_cbranch_execnz .LBB126_121
; %bb.122:
	s_or_b32 exec_lo, exec_lo, s3
	v_mov_b32_e32 v7, 0
	ds_load_b128 v[7:10], v7 offset:384
	s_waitcnt lgkmcnt(0)
	v_mul_f64 v[11:12], v[1:2], v[9:10]
	v_mul_f64 v[14:15], v[3:4], v[9:10]
	s_delay_alu instid0(VALU_DEP_2) | instskip(NEXT) | instid1(VALU_DEP_2)
	v_fma_f64 v[9:10], v[3:4], v[7:8], -v[11:12]
	v_fma_f64 v[11:12], v[1:2], v[7:8], v[14:15]
	scratch_store_b128 off, v[9:12], off offset:384
.LBB126_123:
	s_or_b32 exec_lo, exec_lo, s2
	s_waitcnt_vscnt null, 0x0
	s_barrier
	buffer_gl0_inv
	scratch_load_b128 v[1:4], v210, off
	s_mov_b32 s2, exec_lo
	s_waitcnt vmcnt(0)
	ds_store_b128 v5, v[1:4]
	s_waitcnt lgkmcnt(0)
	s_barrier
	buffer_gl0_inv
	v_cmpx_gt_u32_e32 25, v179
	s_cbranch_execz .LBB126_127
; %bb.124:
	v_dual_mov_b32 v1, 0 :: v_dual_add_nc_u32 v8, 0x3f0, v239
	v_dual_mov_b32 v2, 0 :: v_dual_add_nc_u32 v7, -1, v179
	v_or_b32_e32 v9, 8, v13
	s_mov_b32 s3, 0
	s_delay_alu instid0(VALU_DEP_2)
	v_dual_mov_b32 v4, v2 :: v_dual_mov_b32 v3, v1
	.p2align	6
.LBB126_125:                            ; =>This Inner Loop Header: Depth=1
	scratch_load_b128 v[14:17], v9, off offset:-8
	ds_load_b128 v[18:21], v8
	v_add_nc_u32_e32 v7, 1, v7
	v_add_nc_u32_e32 v8, 16, v8
	v_add_nc_u32_e32 v9, 16, v9
	s_delay_alu instid0(VALU_DEP_3) | instskip(SKIP_4) | instid1(VALU_DEP_2)
	v_cmp_lt_u32_e32 vcc_lo, 23, v7
	s_or_b32 s3, vcc_lo, s3
	s_waitcnt vmcnt(0) lgkmcnt(0)
	v_mul_f64 v[10:11], v[20:21], v[16:17]
	v_mul_f64 v[16:17], v[18:19], v[16:17]
	v_fma_f64 v[10:11], v[18:19], v[14:15], -v[10:11]
	s_delay_alu instid0(VALU_DEP_2) | instskip(NEXT) | instid1(VALU_DEP_2)
	v_fma_f64 v[14:15], v[20:21], v[14:15], v[16:17]
	v_add_f64 v[3:4], v[3:4], v[10:11]
	s_delay_alu instid0(VALU_DEP_2)
	v_add_f64 v[1:2], v[1:2], v[14:15]
	s_and_not1_b32 exec_lo, exec_lo, s3
	s_cbranch_execnz .LBB126_125
; %bb.126:
	s_or_b32 exec_lo, exec_lo, s3
	v_mov_b32_e32 v7, 0
	ds_load_b128 v[7:10], v7 offset:400
	s_waitcnt lgkmcnt(0)
	v_mul_f64 v[11:12], v[1:2], v[9:10]
	v_mul_f64 v[14:15], v[3:4], v[9:10]
	s_delay_alu instid0(VALU_DEP_2) | instskip(NEXT) | instid1(VALU_DEP_2)
	v_fma_f64 v[9:10], v[3:4], v[7:8], -v[11:12]
	v_fma_f64 v[11:12], v[1:2], v[7:8], v[14:15]
	scratch_store_b128 off, v[9:12], off offset:400
.LBB126_127:
	s_or_b32 exec_lo, exec_lo, s2
	s_waitcnt_vscnt null, 0x0
	s_barrier
	buffer_gl0_inv
	scratch_load_b128 v[1:4], v74, off
	s_mov_b32 s2, exec_lo
	s_waitcnt vmcnt(0)
	ds_store_b128 v5, v[1:4]
	s_waitcnt lgkmcnt(0)
	s_barrier
	buffer_gl0_inv
	v_cmpx_gt_u32_e32 26, v179
	s_cbranch_execz .LBB126_131
; %bb.128:
	v_dual_mov_b32 v1, 0 :: v_dual_add_nc_u32 v8, 0x3f0, v239
	v_dual_mov_b32 v2, 0 :: v_dual_add_nc_u32 v7, -1, v179
	v_or_b32_e32 v9, 8, v13
	s_mov_b32 s3, 0
	s_delay_alu instid0(VALU_DEP_2)
	v_dual_mov_b32 v4, v2 :: v_dual_mov_b32 v3, v1
	.p2align	6
.LBB126_129:                            ; =>This Inner Loop Header: Depth=1
	scratch_load_b128 v[14:17], v9, off offset:-8
	ds_load_b128 v[18:21], v8
	v_add_nc_u32_e32 v7, 1, v7
	v_add_nc_u32_e32 v8, 16, v8
	;; [unrolled: 1-line block ×3, first 2 shown]
	s_delay_alu instid0(VALU_DEP_3) | instskip(SKIP_4) | instid1(VALU_DEP_2)
	v_cmp_lt_u32_e32 vcc_lo, 24, v7
	s_or_b32 s3, vcc_lo, s3
	s_waitcnt vmcnt(0) lgkmcnt(0)
	v_mul_f64 v[10:11], v[20:21], v[16:17]
	v_mul_f64 v[16:17], v[18:19], v[16:17]
	v_fma_f64 v[10:11], v[18:19], v[14:15], -v[10:11]
	s_delay_alu instid0(VALU_DEP_2) | instskip(NEXT) | instid1(VALU_DEP_2)
	v_fma_f64 v[14:15], v[20:21], v[14:15], v[16:17]
	v_add_f64 v[3:4], v[3:4], v[10:11]
	s_delay_alu instid0(VALU_DEP_2)
	v_add_f64 v[1:2], v[1:2], v[14:15]
	s_and_not1_b32 exec_lo, exec_lo, s3
	s_cbranch_execnz .LBB126_129
; %bb.130:
	s_or_b32 exec_lo, exec_lo, s3
	v_mov_b32_e32 v7, 0
	ds_load_b128 v[7:10], v7 offset:416
	s_waitcnt lgkmcnt(0)
	v_mul_f64 v[11:12], v[1:2], v[9:10]
	v_mul_f64 v[14:15], v[3:4], v[9:10]
	s_delay_alu instid0(VALU_DEP_2) | instskip(NEXT) | instid1(VALU_DEP_2)
	v_fma_f64 v[9:10], v[3:4], v[7:8], -v[11:12]
	v_fma_f64 v[11:12], v[1:2], v[7:8], v[14:15]
	scratch_store_b128 off, v[9:12], off offset:416
.LBB126_131:
	s_or_b32 exec_lo, exec_lo, s2
	s_waitcnt_vscnt null, 0x0
	s_barrier
	buffer_gl0_inv
	scratch_load_b128 v[1:4], v73, off
	s_mov_b32 s2, exec_lo
	s_waitcnt vmcnt(0)
	ds_store_b128 v5, v[1:4]
	s_waitcnt lgkmcnt(0)
	s_barrier
	buffer_gl0_inv
	v_cmpx_gt_u32_e32 27, v179
	s_cbranch_execz .LBB126_135
; %bb.132:
	v_dual_mov_b32 v1, 0 :: v_dual_add_nc_u32 v8, 0x3f0, v239
	v_dual_mov_b32 v2, 0 :: v_dual_add_nc_u32 v7, -1, v179
	v_or_b32_e32 v9, 8, v13
	s_mov_b32 s3, 0
	s_delay_alu instid0(VALU_DEP_2)
	v_dual_mov_b32 v4, v2 :: v_dual_mov_b32 v3, v1
	.p2align	6
.LBB126_133:                            ; =>This Inner Loop Header: Depth=1
	scratch_load_b128 v[14:17], v9, off offset:-8
	ds_load_b128 v[18:21], v8
	v_add_nc_u32_e32 v7, 1, v7
	v_add_nc_u32_e32 v8, 16, v8
	;; [unrolled: 1-line block ×3, first 2 shown]
	s_delay_alu instid0(VALU_DEP_3) | instskip(SKIP_4) | instid1(VALU_DEP_2)
	v_cmp_lt_u32_e32 vcc_lo, 25, v7
	s_or_b32 s3, vcc_lo, s3
	s_waitcnt vmcnt(0) lgkmcnt(0)
	v_mul_f64 v[10:11], v[20:21], v[16:17]
	v_mul_f64 v[16:17], v[18:19], v[16:17]
	v_fma_f64 v[10:11], v[18:19], v[14:15], -v[10:11]
	s_delay_alu instid0(VALU_DEP_2) | instskip(NEXT) | instid1(VALU_DEP_2)
	v_fma_f64 v[14:15], v[20:21], v[14:15], v[16:17]
	v_add_f64 v[3:4], v[3:4], v[10:11]
	s_delay_alu instid0(VALU_DEP_2)
	v_add_f64 v[1:2], v[1:2], v[14:15]
	s_and_not1_b32 exec_lo, exec_lo, s3
	s_cbranch_execnz .LBB126_133
; %bb.134:
	s_or_b32 exec_lo, exec_lo, s3
	v_mov_b32_e32 v7, 0
	ds_load_b128 v[7:10], v7 offset:432
	s_waitcnt lgkmcnt(0)
	v_mul_f64 v[11:12], v[1:2], v[9:10]
	v_mul_f64 v[14:15], v[3:4], v[9:10]
	s_delay_alu instid0(VALU_DEP_2) | instskip(NEXT) | instid1(VALU_DEP_2)
	v_fma_f64 v[9:10], v[3:4], v[7:8], -v[11:12]
	v_fma_f64 v[11:12], v[1:2], v[7:8], v[14:15]
	scratch_store_b128 off, v[9:12], off offset:432
.LBB126_135:
	s_or_b32 exec_lo, exec_lo, s2
	s_waitcnt_vscnt null, 0x0
	s_barrier
	buffer_gl0_inv
	scratch_load_b128 v[1:4], v72, off
	s_mov_b32 s2, exec_lo
	s_waitcnt vmcnt(0)
	ds_store_b128 v5, v[1:4]
	s_waitcnt lgkmcnt(0)
	s_barrier
	buffer_gl0_inv
	v_cmpx_gt_u32_e32 28, v179
	s_cbranch_execz .LBB126_139
; %bb.136:
	v_dual_mov_b32 v1, 0 :: v_dual_add_nc_u32 v8, 0x3f0, v239
	v_dual_mov_b32 v2, 0 :: v_dual_add_nc_u32 v7, -1, v179
	v_or_b32_e32 v9, 8, v13
	s_mov_b32 s3, 0
	s_delay_alu instid0(VALU_DEP_2)
	v_dual_mov_b32 v4, v2 :: v_dual_mov_b32 v3, v1
	.p2align	6
.LBB126_137:                            ; =>This Inner Loop Header: Depth=1
	scratch_load_b128 v[14:17], v9, off offset:-8
	ds_load_b128 v[18:21], v8
	v_add_nc_u32_e32 v7, 1, v7
	v_add_nc_u32_e32 v8, 16, v8
	;; [unrolled: 1-line block ×3, first 2 shown]
	s_delay_alu instid0(VALU_DEP_3) | instskip(SKIP_4) | instid1(VALU_DEP_2)
	v_cmp_lt_u32_e32 vcc_lo, 26, v7
	s_or_b32 s3, vcc_lo, s3
	s_waitcnt vmcnt(0) lgkmcnt(0)
	v_mul_f64 v[10:11], v[20:21], v[16:17]
	v_mul_f64 v[16:17], v[18:19], v[16:17]
	v_fma_f64 v[10:11], v[18:19], v[14:15], -v[10:11]
	s_delay_alu instid0(VALU_DEP_2) | instskip(NEXT) | instid1(VALU_DEP_2)
	v_fma_f64 v[14:15], v[20:21], v[14:15], v[16:17]
	v_add_f64 v[3:4], v[3:4], v[10:11]
	s_delay_alu instid0(VALU_DEP_2)
	v_add_f64 v[1:2], v[1:2], v[14:15]
	s_and_not1_b32 exec_lo, exec_lo, s3
	s_cbranch_execnz .LBB126_137
; %bb.138:
	s_or_b32 exec_lo, exec_lo, s3
	v_mov_b32_e32 v7, 0
	ds_load_b128 v[7:10], v7 offset:448
	s_waitcnt lgkmcnt(0)
	v_mul_f64 v[11:12], v[1:2], v[9:10]
	v_mul_f64 v[14:15], v[3:4], v[9:10]
	s_delay_alu instid0(VALU_DEP_2) | instskip(NEXT) | instid1(VALU_DEP_2)
	v_fma_f64 v[9:10], v[3:4], v[7:8], -v[11:12]
	v_fma_f64 v[11:12], v[1:2], v[7:8], v[14:15]
	scratch_store_b128 off, v[9:12], off offset:448
.LBB126_139:
	s_or_b32 exec_lo, exec_lo, s2
	s_waitcnt_vscnt null, 0x0
	s_barrier
	buffer_gl0_inv
	scratch_load_b128 v[1:4], v71, off
	s_mov_b32 s2, exec_lo
	s_waitcnt vmcnt(0)
	ds_store_b128 v5, v[1:4]
	s_waitcnt lgkmcnt(0)
	s_barrier
	buffer_gl0_inv
	v_cmpx_gt_u32_e32 29, v179
	s_cbranch_execz .LBB126_143
; %bb.140:
	v_dual_mov_b32 v1, 0 :: v_dual_add_nc_u32 v8, 0x3f0, v239
	v_dual_mov_b32 v2, 0 :: v_dual_add_nc_u32 v7, -1, v179
	v_or_b32_e32 v9, 8, v13
	s_mov_b32 s3, 0
	s_delay_alu instid0(VALU_DEP_2)
	v_dual_mov_b32 v4, v2 :: v_dual_mov_b32 v3, v1
	.p2align	6
.LBB126_141:                            ; =>This Inner Loop Header: Depth=1
	scratch_load_b128 v[14:17], v9, off offset:-8
	ds_load_b128 v[18:21], v8
	v_add_nc_u32_e32 v7, 1, v7
	v_add_nc_u32_e32 v8, 16, v8
	;; [unrolled: 1-line block ×3, first 2 shown]
	s_delay_alu instid0(VALU_DEP_3) | instskip(SKIP_4) | instid1(VALU_DEP_2)
	v_cmp_lt_u32_e32 vcc_lo, 27, v7
	s_or_b32 s3, vcc_lo, s3
	s_waitcnt vmcnt(0) lgkmcnt(0)
	v_mul_f64 v[10:11], v[20:21], v[16:17]
	v_mul_f64 v[16:17], v[18:19], v[16:17]
	v_fma_f64 v[10:11], v[18:19], v[14:15], -v[10:11]
	s_delay_alu instid0(VALU_DEP_2) | instskip(NEXT) | instid1(VALU_DEP_2)
	v_fma_f64 v[14:15], v[20:21], v[14:15], v[16:17]
	v_add_f64 v[3:4], v[3:4], v[10:11]
	s_delay_alu instid0(VALU_DEP_2)
	v_add_f64 v[1:2], v[1:2], v[14:15]
	s_and_not1_b32 exec_lo, exec_lo, s3
	s_cbranch_execnz .LBB126_141
; %bb.142:
	s_or_b32 exec_lo, exec_lo, s3
	v_mov_b32_e32 v7, 0
	ds_load_b128 v[7:10], v7 offset:464
	s_waitcnt lgkmcnt(0)
	v_mul_f64 v[11:12], v[1:2], v[9:10]
	v_mul_f64 v[14:15], v[3:4], v[9:10]
	s_delay_alu instid0(VALU_DEP_2) | instskip(NEXT) | instid1(VALU_DEP_2)
	v_fma_f64 v[9:10], v[3:4], v[7:8], -v[11:12]
	v_fma_f64 v[11:12], v[1:2], v[7:8], v[14:15]
	scratch_store_b128 off, v[9:12], off offset:464
.LBB126_143:
	s_or_b32 exec_lo, exec_lo, s2
	s_waitcnt_vscnt null, 0x0
	s_barrier
	buffer_gl0_inv
	scratch_load_b128 v[1:4], v70, off
	s_mov_b32 s2, exec_lo
	s_waitcnt vmcnt(0)
	ds_store_b128 v5, v[1:4]
	s_waitcnt lgkmcnt(0)
	s_barrier
	buffer_gl0_inv
	v_cmpx_gt_u32_e32 30, v179
	s_cbranch_execz .LBB126_147
; %bb.144:
	v_dual_mov_b32 v1, 0 :: v_dual_add_nc_u32 v8, 0x3f0, v239
	v_dual_mov_b32 v2, 0 :: v_dual_add_nc_u32 v7, -1, v179
	v_or_b32_e32 v9, 8, v13
	s_mov_b32 s3, 0
	s_delay_alu instid0(VALU_DEP_2)
	v_dual_mov_b32 v4, v2 :: v_dual_mov_b32 v3, v1
	.p2align	6
.LBB126_145:                            ; =>This Inner Loop Header: Depth=1
	scratch_load_b128 v[14:17], v9, off offset:-8
	ds_load_b128 v[18:21], v8
	v_add_nc_u32_e32 v7, 1, v7
	v_add_nc_u32_e32 v8, 16, v8
	;; [unrolled: 1-line block ×3, first 2 shown]
	s_delay_alu instid0(VALU_DEP_3) | instskip(SKIP_4) | instid1(VALU_DEP_2)
	v_cmp_lt_u32_e32 vcc_lo, 28, v7
	s_or_b32 s3, vcc_lo, s3
	s_waitcnt vmcnt(0) lgkmcnt(0)
	v_mul_f64 v[10:11], v[20:21], v[16:17]
	v_mul_f64 v[16:17], v[18:19], v[16:17]
	v_fma_f64 v[10:11], v[18:19], v[14:15], -v[10:11]
	s_delay_alu instid0(VALU_DEP_2) | instskip(NEXT) | instid1(VALU_DEP_2)
	v_fma_f64 v[14:15], v[20:21], v[14:15], v[16:17]
	v_add_f64 v[3:4], v[3:4], v[10:11]
	s_delay_alu instid0(VALU_DEP_2)
	v_add_f64 v[1:2], v[1:2], v[14:15]
	s_and_not1_b32 exec_lo, exec_lo, s3
	s_cbranch_execnz .LBB126_145
; %bb.146:
	s_or_b32 exec_lo, exec_lo, s3
	v_mov_b32_e32 v7, 0
	ds_load_b128 v[7:10], v7 offset:480
	s_waitcnt lgkmcnt(0)
	v_mul_f64 v[11:12], v[1:2], v[9:10]
	v_mul_f64 v[14:15], v[3:4], v[9:10]
	s_delay_alu instid0(VALU_DEP_2) | instskip(NEXT) | instid1(VALU_DEP_2)
	v_fma_f64 v[9:10], v[3:4], v[7:8], -v[11:12]
	v_fma_f64 v[11:12], v[1:2], v[7:8], v[14:15]
	scratch_store_b128 off, v[9:12], off offset:480
.LBB126_147:
	s_or_b32 exec_lo, exec_lo, s2
	s_waitcnt_vscnt null, 0x0
	s_barrier
	buffer_gl0_inv
	scratch_load_b128 v[1:4], v69, off
	s_mov_b32 s2, exec_lo
	s_waitcnt vmcnt(0)
	ds_store_b128 v5, v[1:4]
	s_waitcnt lgkmcnt(0)
	s_barrier
	buffer_gl0_inv
	v_cmpx_gt_u32_e32 31, v179
	s_cbranch_execz .LBB126_151
; %bb.148:
	v_dual_mov_b32 v1, 0 :: v_dual_add_nc_u32 v8, 0x3f0, v239
	v_dual_mov_b32 v2, 0 :: v_dual_add_nc_u32 v7, -1, v179
	v_or_b32_e32 v9, 8, v13
	s_mov_b32 s3, 0
	s_delay_alu instid0(VALU_DEP_2)
	v_dual_mov_b32 v4, v2 :: v_dual_mov_b32 v3, v1
	.p2align	6
.LBB126_149:                            ; =>This Inner Loop Header: Depth=1
	scratch_load_b128 v[14:17], v9, off offset:-8
	ds_load_b128 v[18:21], v8
	v_add_nc_u32_e32 v7, 1, v7
	v_add_nc_u32_e32 v8, 16, v8
	;; [unrolled: 1-line block ×3, first 2 shown]
	s_delay_alu instid0(VALU_DEP_3) | instskip(SKIP_4) | instid1(VALU_DEP_2)
	v_cmp_lt_u32_e32 vcc_lo, 29, v7
	s_or_b32 s3, vcc_lo, s3
	s_waitcnt vmcnt(0) lgkmcnt(0)
	v_mul_f64 v[10:11], v[20:21], v[16:17]
	v_mul_f64 v[16:17], v[18:19], v[16:17]
	v_fma_f64 v[10:11], v[18:19], v[14:15], -v[10:11]
	s_delay_alu instid0(VALU_DEP_2) | instskip(NEXT) | instid1(VALU_DEP_2)
	v_fma_f64 v[14:15], v[20:21], v[14:15], v[16:17]
	v_add_f64 v[3:4], v[3:4], v[10:11]
	s_delay_alu instid0(VALU_DEP_2)
	v_add_f64 v[1:2], v[1:2], v[14:15]
	s_and_not1_b32 exec_lo, exec_lo, s3
	s_cbranch_execnz .LBB126_149
; %bb.150:
	s_or_b32 exec_lo, exec_lo, s3
	v_mov_b32_e32 v7, 0
	ds_load_b128 v[7:10], v7 offset:496
	s_waitcnt lgkmcnt(0)
	v_mul_f64 v[11:12], v[1:2], v[9:10]
	v_mul_f64 v[14:15], v[3:4], v[9:10]
	s_delay_alu instid0(VALU_DEP_2) | instskip(NEXT) | instid1(VALU_DEP_2)
	v_fma_f64 v[9:10], v[3:4], v[7:8], -v[11:12]
	v_fma_f64 v[11:12], v[1:2], v[7:8], v[14:15]
	scratch_store_b128 off, v[9:12], off offset:496
.LBB126_151:
	s_or_b32 exec_lo, exec_lo, s2
	s_waitcnt_vscnt null, 0x0
	s_barrier
	buffer_gl0_inv
	scratch_load_b128 v[1:4], v68, off
	s_mov_b32 s2, exec_lo
	s_waitcnt vmcnt(0)
	ds_store_b128 v5, v[1:4]
	s_waitcnt lgkmcnt(0)
	s_barrier
	buffer_gl0_inv
	v_cmpx_gt_u32_e32 32, v179
	s_cbranch_execz .LBB126_155
; %bb.152:
	v_dual_mov_b32 v1, 0 :: v_dual_add_nc_u32 v8, 0x3f0, v239
	v_dual_mov_b32 v2, 0 :: v_dual_add_nc_u32 v7, -1, v179
	v_or_b32_e32 v9, 8, v13
	s_mov_b32 s3, 0
	s_delay_alu instid0(VALU_DEP_2)
	v_dual_mov_b32 v4, v2 :: v_dual_mov_b32 v3, v1
	.p2align	6
.LBB126_153:                            ; =>This Inner Loop Header: Depth=1
	scratch_load_b128 v[14:17], v9, off offset:-8
	ds_load_b128 v[18:21], v8
	v_add_nc_u32_e32 v7, 1, v7
	v_add_nc_u32_e32 v8, 16, v8
	;; [unrolled: 1-line block ×3, first 2 shown]
	s_delay_alu instid0(VALU_DEP_3) | instskip(SKIP_4) | instid1(VALU_DEP_2)
	v_cmp_lt_u32_e32 vcc_lo, 30, v7
	s_or_b32 s3, vcc_lo, s3
	s_waitcnt vmcnt(0) lgkmcnt(0)
	v_mul_f64 v[10:11], v[20:21], v[16:17]
	v_mul_f64 v[16:17], v[18:19], v[16:17]
	v_fma_f64 v[10:11], v[18:19], v[14:15], -v[10:11]
	s_delay_alu instid0(VALU_DEP_2) | instskip(NEXT) | instid1(VALU_DEP_2)
	v_fma_f64 v[14:15], v[20:21], v[14:15], v[16:17]
	v_add_f64 v[3:4], v[3:4], v[10:11]
	s_delay_alu instid0(VALU_DEP_2)
	v_add_f64 v[1:2], v[1:2], v[14:15]
	s_and_not1_b32 exec_lo, exec_lo, s3
	s_cbranch_execnz .LBB126_153
; %bb.154:
	s_or_b32 exec_lo, exec_lo, s3
	v_mov_b32_e32 v7, 0
	ds_load_b128 v[7:10], v7 offset:512
	s_waitcnt lgkmcnt(0)
	v_mul_f64 v[11:12], v[1:2], v[9:10]
	v_mul_f64 v[14:15], v[3:4], v[9:10]
	s_delay_alu instid0(VALU_DEP_2) | instskip(NEXT) | instid1(VALU_DEP_2)
	v_fma_f64 v[9:10], v[3:4], v[7:8], -v[11:12]
	v_fma_f64 v[11:12], v[1:2], v[7:8], v[14:15]
	scratch_store_b128 off, v[9:12], off offset:512
.LBB126_155:
	s_or_b32 exec_lo, exec_lo, s2
	s_waitcnt_vscnt null, 0x0
	s_barrier
	buffer_gl0_inv
	scratch_load_b128 v[1:4], v67, off
	s_mov_b32 s2, exec_lo
	s_waitcnt vmcnt(0)
	ds_store_b128 v5, v[1:4]
	s_waitcnt lgkmcnt(0)
	s_barrier
	buffer_gl0_inv
	v_cmpx_gt_u32_e32 33, v179
	s_cbranch_execz .LBB126_159
; %bb.156:
	v_dual_mov_b32 v1, 0 :: v_dual_add_nc_u32 v8, 0x3f0, v239
	v_dual_mov_b32 v2, 0 :: v_dual_add_nc_u32 v7, -1, v179
	v_or_b32_e32 v9, 8, v13
	s_mov_b32 s3, 0
	s_delay_alu instid0(VALU_DEP_2)
	v_dual_mov_b32 v4, v2 :: v_dual_mov_b32 v3, v1
	.p2align	6
.LBB126_157:                            ; =>This Inner Loop Header: Depth=1
	scratch_load_b128 v[14:17], v9, off offset:-8
	ds_load_b128 v[18:21], v8
	v_add_nc_u32_e32 v7, 1, v7
	v_add_nc_u32_e32 v8, 16, v8
	v_add_nc_u32_e32 v9, 16, v9
	s_delay_alu instid0(VALU_DEP_3) | instskip(SKIP_4) | instid1(VALU_DEP_2)
	v_cmp_lt_u32_e32 vcc_lo, 31, v7
	s_or_b32 s3, vcc_lo, s3
	s_waitcnt vmcnt(0) lgkmcnt(0)
	v_mul_f64 v[10:11], v[20:21], v[16:17]
	v_mul_f64 v[16:17], v[18:19], v[16:17]
	v_fma_f64 v[10:11], v[18:19], v[14:15], -v[10:11]
	s_delay_alu instid0(VALU_DEP_2) | instskip(NEXT) | instid1(VALU_DEP_2)
	v_fma_f64 v[14:15], v[20:21], v[14:15], v[16:17]
	v_add_f64 v[3:4], v[3:4], v[10:11]
	s_delay_alu instid0(VALU_DEP_2)
	v_add_f64 v[1:2], v[1:2], v[14:15]
	s_and_not1_b32 exec_lo, exec_lo, s3
	s_cbranch_execnz .LBB126_157
; %bb.158:
	s_or_b32 exec_lo, exec_lo, s3
	v_mov_b32_e32 v7, 0
	ds_load_b128 v[7:10], v7 offset:528
	s_waitcnt lgkmcnt(0)
	v_mul_f64 v[11:12], v[1:2], v[9:10]
	v_mul_f64 v[14:15], v[3:4], v[9:10]
	s_delay_alu instid0(VALU_DEP_2) | instskip(NEXT) | instid1(VALU_DEP_2)
	v_fma_f64 v[9:10], v[3:4], v[7:8], -v[11:12]
	v_fma_f64 v[11:12], v[1:2], v[7:8], v[14:15]
	scratch_store_b128 off, v[9:12], off offset:528
.LBB126_159:
	s_or_b32 exec_lo, exec_lo, s2
	s_waitcnt_vscnt null, 0x0
	s_barrier
	buffer_gl0_inv
	scratch_load_b128 v[1:4], v66, off
	s_mov_b32 s2, exec_lo
	s_waitcnt vmcnt(0)
	ds_store_b128 v5, v[1:4]
	s_waitcnt lgkmcnt(0)
	s_barrier
	buffer_gl0_inv
	v_cmpx_gt_u32_e32 34, v179
	s_cbranch_execz .LBB126_163
; %bb.160:
	v_dual_mov_b32 v1, 0 :: v_dual_add_nc_u32 v8, 0x3f0, v239
	v_dual_mov_b32 v2, 0 :: v_dual_add_nc_u32 v7, -1, v179
	v_or_b32_e32 v9, 8, v13
	s_mov_b32 s3, 0
	s_delay_alu instid0(VALU_DEP_2)
	v_dual_mov_b32 v4, v2 :: v_dual_mov_b32 v3, v1
	.p2align	6
.LBB126_161:                            ; =>This Inner Loop Header: Depth=1
	scratch_load_b128 v[14:17], v9, off offset:-8
	ds_load_b128 v[18:21], v8
	v_add_nc_u32_e32 v7, 1, v7
	v_add_nc_u32_e32 v8, 16, v8
	;; [unrolled: 1-line block ×3, first 2 shown]
	s_delay_alu instid0(VALU_DEP_3) | instskip(SKIP_4) | instid1(VALU_DEP_2)
	v_cmp_lt_u32_e32 vcc_lo, 32, v7
	s_or_b32 s3, vcc_lo, s3
	s_waitcnt vmcnt(0) lgkmcnt(0)
	v_mul_f64 v[10:11], v[20:21], v[16:17]
	v_mul_f64 v[16:17], v[18:19], v[16:17]
	v_fma_f64 v[10:11], v[18:19], v[14:15], -v[10:11]
	s_delay_alu instid0(VALU_DEP_2) | instskip(NEXT) | instid1(VALU_DEP_2)
	v_fma_f64 v[14:15], v[20:21], v[14:15], v[16:17]
	v_add_f64 v[3:4], v[3:4], v[10:11]
	s_delay_alu instid0(VALU_DEP_2)
	v_add_f64 v[1:2], v[1:2], v[14:15]
	s_and_not1_b32 exec_lo, exec_lo, s3
	s_cbranch_execnz .LBB126_161
; %bb.162:
	s_or_b32 exec_lo, exec_lo, s3
	v_mov_b32_e32 v7, 0
	ds_load_b128 v[7:10], v7 offset:544
	s_waitcnt lgkmcnt(0)
	v_mul_f64 v[11:12], v[1:2], v[9:10]
	v_mul_f64 v[14:15], v[3:4], v[9:10]
	s_delay_alu instid0(VALU_DEP_2) | instskip(NEXT) | instid1(VALU_DEP_2)
	v_fma_f64 v[9:10], v[3:4], v[7:8], -v[11:12]
	v_fma_f64 v[11:12], v[1:2], v[7:8], v[14:15]
	scratch_store_b128 off, v[9:12], off offset:544
.LBB126_163:
	s_or_b32 exec_lo, exec_lo, s2
	s_waitcnt_vscnt null, 0x0
	s_barrier
	buffer_gl0_inv
	scratch_load_b128 v[1:4], v65, off
	s_mov_b32 s2, exec_lo
	s_waitcnt vmcnt(0)
	ds_store_b128 v5, v[1:4]
	s_waitcnt lgkmcnt(0)
	s_barrier
	buffer_gl0_inv
	v_cmpx_gt_u32_e32 35, v179
	s_cbranch_execz .LBB126_167
; %bb.164:
	v_dual_mov_b32 v1, 0 :: v_dual_add_nc_u32 v8, 0x3f0, v239
	v_dual_mov_b32 v2, 0 :: v_dual_add_nc_u32 v7, -1, v179
	v_or_b32_e32 v9, 8, v13
	s_mov_b32 s3, 0
	s_delay_alu instid0(VALU_DEP_2)
	v_dual_mov_b32 v4, v2 :: v_dual_mov_b32 v3, v1
	.p2align	6
.LBB126_165:                            ; =>This Inner Loop Header: Depth=1
	scratch_load_b128 v[14:17], v9, off offset:-8
	ds_load_b128 v[18:21], v8
	v_add_nc_u32_e32 v7, 1, v7
	v_add_nc_u32_e32 v8, 16, v8
	v_add_nc_u32_e32 v9, 16, v9
	s_delay_alu instid0(VALU_DEP_3) | instskip(SKIP_4) | instid1(VALU_DEP_2)
	v_cmp_lt_u32_e32 vcc_lo, 33, v7
	s_or_b32 s3, vcc_lo, s3
	s_waitcnt vmcnt(0) lgkmcnt(0)
	v_mul_f64 v[10:11], v[20:21], v[16:17]
	v_mul_f64 v[16:17], v[18:19], v[16:17]
	v_fma_f64 v[10:11], v[18:19], v[14:15], -v[10:11]
	s_delay_alu instid0(VALU_DEP_2) | instskip(NEXT) | instid1(VALU_DEP_2)
	v_fma_f64 v[14:15], v[20:21], v[14:15], v[16:17]
	v_add_f64 v[3:4], v[3:4], v[10:11]
	s_delay_alu instid0(VALU_DEP_2)
	v_add_f64 v[1:2], v[1:2], v[14:15]
	s_and_not1_b32 exec_lo, exec_lo, s3
	s_cbranch_execnz .LBB126_165
; %bb.166:
	s_or_b32 exec_lo, exec_lo, s3
	v_mov_b32_e32 v7, 0
	ds_load_b128 v[7:10], v7 offset:560
	s_waitcnt lgkmcnt(0)
	v_mul_f64 v[11:12], v[1:2], v[9:10]
	v_mul_f64 v[14:15], v[3:4], v[9:10]
	s_delay_alu instid0(VALU_DEP_2) | instskip(NEXT) | instid1(VALU_DEP_2)
	v_fma_f64 v[9:10], v[3:4], v[7:8], -v[11:12]
	v_fma_f64 v[11:12], v[1:2], v[7:8], v[14:15]
	scratch_store_b128 off, v[9:12], off offset:560
.LBB126_167:
	s_or_b32 exec_lo, exec_lo, s2
	s_waitcnt_vscnt null, 0x0
	s_barrier
	buffer_gl0_inv
	scratch_load_b128 v[1:4], v64, off
	s_mov_b32 s2, exec_lo
	s_waitcnt vmcnt(0)
	ds_store_b128 v5, v[1:4]
	s_waitcnt lgkmcnt(0)
	s_barrier
	buffer_gl0_inv
	v_cmpx_gt_u32_e32 36, v179
	s_cbranch_execz .LBB126_171
; %bb.168:
	v_dual_mov_b32 v1, 0 :: v_dual_add_nc_u32 v8, 0x3f0, v239
	v_dual_mov_b32 v2, 0 :: v_dual_add_nc_u32 v7, -1, v179
	v_or_b32_e32 v9, 8, v13
	s_mov_b32 s3, 0
	s_delay_alu instid0(VALU_DEP_2)
	v_dual_mov_b32 v4, v2 :: v_dual_mov_b32 v3, v1
	.p2align	6
.LBB126_169:                            ; =>This Inner Loop Header: Depth=1
	scratch_load_b128 v[14:17], v9, off offset:-8
	ds_load_b128 v[18:21], v8
	v_add_nc_u32_e32 v7, 1, v7
	v_add_nc_u32_e32 v8, 16, v8
	v_add_nc_u32_e32 v9, 16, v9
	s_delay_alu instid0(VALU_DEP_3) | instskip(SKIP_4) | instid1(VALU_DEP_2)
	v_cmp_lt_u32_e32 vcc_lo, 34, v7
	s_or_b32 s3, vcc_lo, s3
	s_waitcnt vmcnt(0) lgkmcnt(0)
	v_mul_f64 v[10:11], v[20:21], v[16:17]
	v_mul_f64 v[16:17], v[18:19], v[16:17]
	v_fma_f64 v[10:11], v[18:19], v[14:15], -v[10:11]
	s_delay_alu instid0(VALU_DEP_2) | instskip(NEXT) | instid1(VALU_DEP_2)
	v_fma_f64 v[14:15], v[20:21], v[14:15], v[16:17]
	v_add_f64 v[3:4], v[3:4], v[10:11]
	s_delay_alu instid0(VALU_DEP_2)
	v_add_f64 v[1:2], v[1:2], v[14:15]
	s_and_not1_b32 exec_lo, exec_lo, s3
	s_cbranch_execnz .LBB126_169
; %bb.170:
	s_or_b32 exec_lo, exec_lo, s3
	v_mov_b32_e32 v7, 0
	ds_load_b128 v[7:10], v7 offset:576
	s_waitcnt lgkmcnt(0)
	v_mul_f64 v[11:12], v[1:2], v[9:10]
	v_mul_f64 v[14:15], v[3:4], v[9:10]
	s_delay_alu instid0(VALU_DEP_2) | instskip(NEXT) | instid1(VALU_DEP_2)
	v_fma_f64 v[9:10], v[3:4], v[7:8], -v[11:12]
	v_fma_f64 v[11:12], v[1:2], v[7:8], v[14:15]
	scratch_store_b128 off, v[9:12], off offset:576
.LBB126_171:
	s_or_b32 exec_lo, exec_lo, s2
	s_waitcnt_vscnt null, 0x0
	s_barrier
	buffer_gl0_inv
	scratch_load_b128 v[1:4], v63, off
	s_mov_b32 s2, exec_lo
	s_waitcnt vmcnt(0)
	ds_store_b128 v5, v[1:4]
	s_waitcnt lgkmcnt(0)
	s_barrier
	buffer_gl0_inv
	v_cmpx_gt_u32_e32 37, v179
	s_cbranch_execz .LBB126_175
; %bb.172:
	v_dual_mov_b32 v1, 0 :: v_dual_add_nc_u32 v8, 0x3f0, v239
	v_dual_mov_b32 v2, 0 :: v_dual_add_nc_u32 v7, -1, v179
	v_or_b32_e32 v9, 8, v13
	s_mov_b32 s3, 0
	s_delay_alu instid0(VALU_DEP_2)
	v_dual_mov_b32 v4, v2 :: v_dual_mov_b32 v3, v1
	.p2align	6
.LBB126_173:                            ; =>This Inner Loop Header: Depth=1
	scratch_load_b128 v[14:17], v9, off offset:-8
	ds_load_b128 v[18:21], v8
	v_add_nc_u32_e32 v7, 1, v7
	v_add_nc_u32_e32 v8, 16, v8
	;; [unrolled: 1-line block ×3, first 2 shown]
	s_delay_alu instid0(VALU_DEP_3) | instskip(SKIP_4) | instid1(VALU_DEP_2)
	v_cmp_lt_u32_e32 vcc_lo, 35, v7
	s_or_b32 s3, vcc_lo, s3
	s_waitcnt vmcnt(0) lgkmcnt(0)
	v_mul_f64 v[10:11], v[20:21], v[16:17]
	v_mul_f64 v[16:17], v[18:19], v[16:17]
	v_fma_f64 v[10:11], v[18:19], v[14:15], -v[10:11]
	s_delay_alu instid0(VALU_DEP_2) | instskip(NEXT) | instid1(VALU_DEP_2)
	v_fma_f64 v[14:15], v[20:21], v[14:15], v[16:17]
	v_add_f64 v[3:4], v[3:4], v[10:11]
	s_delay_alu instid0(VALU_DEP_2)
	v_add_f64 v[1:2], v[1:2], v[14:15]
	s_and_not1_b32 exec_lo, exec_lo, s3
	s_cbranch_execnz .LBB126_173
; %bb.174:
	s_or_b32 exec_lo, exec_lo, s3
	v_mov_b32_e32 v7, 0
	ds_load_b128 v[7:10], v7 offset:592
	s_waitcnt lgkmcnt(0)
	v_mul_f64 v[11:12], v[1:2], v[9:10]
	v_mul_f64 v[14:15], v[3:4], v[9:10]
	s_delay_alu instid0(VALU_DEP_2) | instskip(NEXT) | instid1(VALU_DEP_2)
	v_fma_f64 v[9:10], v[3:4], v[7:8], -v[11:12]
	v_fma_f64 v[11:12], v[1:2], v[7:8], v[14:15]
	scratch_store_b128 off, v[9:12], off offset:592
.LBB126_175:
	s_or_b32 exec_lo, exec_lo, s2
	s_waitcnt_vscnt null, 0x0
	s_barrier
	buffer_gl0_inv
	scratch_load_b128 v[1:4], v62, off
	s_mov_b32 s2, exec_lo
	s_waitcnt vmcnt(0)
	ds_store_b128 v5, v[1:4]
	s_waitcnt lgkmcnt(0)
	s_barrier
	buffer_gl0_inv
	v_cmpx_gt_u32_e32 38, v179
	s_cbranch_execz .LBB126_179
; %bb.176:
	v_dual_mov_b32 v1, 0 :: v_dual_add_nc_u32 v8, 0x3f0, v239
	v_dual_mov_b32 v2, 0 :: v_dual_add_nc_u32 v7, -1, v179
	v_or_b32_e32 v9, 8, v13
	s_mov_b32 s3, 0
	s_delay_alu instid0(VALU_DEP_2)
	v_dual_mov_b32 v4, v2 :: v_dual_mov_b32 v3, v1
	.p2align	6
.LBB126_177:                            ; =>This Inner Loop Header: Depth=1
	scratch_load_b128 v[14:17], v9, off offset:-8
	ds_load_b128 v[18:21], v8
	v_add_nc_u32_e32 v7, 1, v7
	v_add_nc_u32_e32 v8, 16, v8
	;; [unrolled: 1-line block ×3, first 2 shown]
	s_delay_alu instid0(VALU_DEP_3) | instskip(SKIP_4) | instid1(VALU_DEP_2)
	v_cmp_lt_u32_e32 vcc_lo, 36, v7
	s_or_b32 s3, vcc_lo, s3
	s_waitcnt vmcnt(0) lgkmcnt(0)
	v_mul_f64 v[10:11], v[20:21], v[16:17]
	v_mul_f64 v[16:17], v[18:19], v[16:17]
	v_fma_f64 v[10:11], v[18:19], v[14:15], -v[10:11]
	s_delay_alu instid0(VALU_DEP_2) | instskip(NEXT) | instid1(VALU_DEP_2)
	v_fma_f64 v[14:15], v[20:21], v[14:15], v[16:17]
	v_add_f64 v[3:4], v[3:4], v[10:11]
	s_delay_alu instid0(VALU_DEP_2)
	v_add_f64 v[1:2], v[1:2], v[14:15]
	s_and_not1_b32 exec_lo, exec_lo, s3
	s_cbranch_execnz .LBB126_177
; %bb.178:
	s_or_b32 exec_lo, exec_lo, s3
	v_mov_b32_e32 v7, 0
	ds_load_b128 v[7:10], v7 offset:608
	s_waitcnt lgkmcnt(0)
	v_mul_f64 v[11:12], v[1:2], v[9:10]
	v_mul_f64 v[14:15], v[3:4], v[9:10]
	s_delay_alu instid0(VALU_DEP_2) | instskip(NEXT) | instid1(VALU_DEP_2)
	v_fma_f64 v[9:10], v[3:4], v[7:8], -v[11:12]
	v_fma_f64 v[11:12], v[1:2], v[7:8], v[14:15]
	scratch_store_b128 off, v[9:12], off offset:608
.LBB126_179:
	s_or_b32 exec_lo, exec_lo, s2
	s_waitcnt_vscnt null, 0x0
	s_barrier
	buffer_gl0_inv
	scratch_load_b128 v[1:4], v61, off
	s_mov_b32 s2, exec_lo
	s_waitcnt vmcnt(0)
	ds_store_b128 v5, v[1:4]
	s_waitcnt lgkmcnt(0)
	s_barrier
	buffer_gl0_inv
	v_cmpx_gt_u32_e32 39, v179
	s_cbranch_execz .LBB126_183
; %bb.180:
	v_dual_mov_b32 v1, 0 :: v_dual_add_nc_u32 v8, 0x3f0, v239
	v_dual_mov_b32 v2, 0 :: v_dual_add_nc_u32 v7, -1, v179
	v_or_b32_e32 v9, 8, v13
	s_mov_b32 s3, 0
	s_delay_alu instid0(VALU_DEP_2)
	v_dual_mov_b32 v4, v2 :: v_dual_mov_b32 v3, v1
	.p2align	6
.LBB126_181:                            ; =>This Inner Loop Header: Depth=1
	scratch_load_b128 v[14:17], v9, off offset:-8
	ds_load_b128 v[18:21], v8
	v_add_nc_u32_e32 v7, 1, v7
	v_add_nc_u32_e32 v8, 16, v8
	;; [unrolled: 1-line block ×3, first 2 shown]
	s_delay_alu instid0(VALU_DEP_3) | instskip(SKIP_4) | instid1(VALU_DEP_2)
	v_cmp_lt_u32_e32 vcc_lo, 37, v7
	s_or_b32 s3, vcc_lo, s3
	s_waitcnt vmcnt(0) lgkmcnt(0)
	v_mul_f64 v[10:11], v[20:21], v[16:17]
	v_mul_f64 v[16:17], v[18:19], v[16:17]
	v_fma_f64 v[10:11], v[18:19], v[14:15], -v[10:11]
	s_delay_alu instid0(VALU_DEP_2) | instskip(NEXT) | instid1(VALU_DEP_2)
	v_fma_f64 v[14:15], v[20:21], v[14:15], v[16:17]
	v_add_f64 v[3:4], v[3:4], v[10:11]
	s_delay_alu instid0(VALU_DEP_2)
	v_add_f64 v[1:2], v[1:2], v[14:15]
	s_and_not1_b32 exec_lo, exec_lo, s3
	s_cbranch_execnz .LBB126_181
; %bb.182:
	s_or_b32 exec_lo, exec_lo, s3
	v_mov_b32_e32 v7, 0
	ds_load_b128 v[7:10], v7 offset:624
	s_waitcnt lgkmcnt(0)
	v_mul_f64 v[11:12], v[1:2], v[9:10]
	v_mul_f64 v[14:15], v[3:4], v[9:10]
	s_delay_alu instid0(VALU_DEP_2) | instskip(NEXT) | instid1(VALU_DEP_2)
	v_fma_f64 v[9:10], v[3:4], v[7:8], -v[11:12]
	v_fma_f64 v[11:12], v[1:2], v[7:8], v[14:15]
	scratch_store_b128 off, v[9:12], off offset:624
.LBB126_183:
	s_or_b32 exec_lo, exec_lo, s2
	s_waitcnt_vscnt null, 0x0
	s_barrier
	buffer_gl0_inv
	scratch_load_b128 v[1:4], v60, off
	s_mov_b32 s2, exec_lo
	s_waitcnt vmcnt(0)
	ds_store_b128 v5, v[1:4]
	s_waitcnt lgkmcnt(0)
	s_barrier
	buffer_gl0_inv
	v_cmpx_gt_u32_e32 40, v179
	s_cbranch_execz .LBB126_187
; %bb.184:
	v_dual_mov_b32 v1, 0 :: v_dual_add_nc_u32 v8, 0x3f0, v239
	v_dual_mov_b32 v2, 0 :: v_dual_add_nc_u32 v7, -1, v179
	v_or_b32_e32 v9, 8, v13
	s_mov_b32 s3, 0
	s_delay_alu instid0(VALU_DEP_2)
	v_dual_mov_b32 v4, v2 :: v_dual_mov_b32 v3, v1
	.p2align	6
.LBB126_185:                            ; =>This Inner Loop Header: Depth=1
	scratch_load_b128 v[14:17], v9, off offset:-8
	ds_load_b128 v[18:21], v8
	v_add_nc_u32_e32 v7, 1, v7
	v_add_nc_u32_e32 v8, 16, v8
	;; [unrolled: 1-line block ×3, first 2 shown]
	s_delay_alu instid0(VALU_DEP_3) | instskip(SKIP_4) | instid1(VALU_DEP_2)
	v_cmp_lt_u32_e32 vcc_lo, 38, v7
	s_or_b32 s3, vcc_lo, s3
	s_waitcnt vmcnt(0) lgkmcnt(0)
	v_mul_f64 v[10:11], v[20:21], v[16:17]
	v_mul_f64 v[16:17], v[18:19], v[16:17]
	v_fma_f64 v[10:11], v[18:19], v[14:15], -v[10:11]
	s_delay_alu instid0(VALU_DEP_2) | instskip(NEXT) | instid1(VALU_DEP_2)
	v_fma_f64 v[14:15], v[20:21], v[14:15], v[16:17]
	v_add_f64 v[3:4], v[3:4], v[10:11]
	s_delay_alu instid0(VALU_DEP_2)
	v_add_f64 v[1:2], v[1:2], v[14:15]
	s_and_not1_b32 exec_lo, exec_lo, s3
	s_cbranch_execnz .LBB126_185
; %bb.186:
	s_or_b32 exec_lo, exec_lo, s3
	v_mov_b32_e32 v7, 0
	ds_load_b128 v[7:10], v7 offset:640
	s_waitcnt lgkmcnt(0)
	v_mul_f64 v[11:12], v[1:2], v[9:10]
	v_mul_f64 v[14:15], v[3:4], v[9:10]
	s_delay_alu instid0(VALU_DEP_2) | instskip(NEXT) | instid1(VALU_DEP_2)
	v_fma_f64 v[9:10], v[3:4], v[7:8], -v[11:12]
	v_fma_f64 v[11:12], v[1:2], v[7:8], v[14:15]
	scratch_store_b128 off, v[9:12], off offset:640
.LBB126_187:
	s_or_b32 exec_lo, exec_lo, s2
	s_waitcnt_vscnt null, 0x0
	s_barrier
	buffer_gl0_inv
	scratch_load_b128 v[1:4], v59, off
	s_mov_b32 s2, exec_lo
	s_waitcnt vmcnt(0)
	ds_store_b128 v5, v[1:4]
	s_waitcnt lgkmcnt(0)
	s_barrier
	buffer_gl0_inv
	v_cmpx_gt_u32_e32 41, v179
	s_cbranch_execz .LBB126_191
; %bb.188:
	v_dual_mov_b32 v1, 0 :: v_dual_add_nc_u32 v8, 0x3f0, v239
	v_dual_mov_b32 v2, 0 :: v_dual_add_nc_u32 v7, -1, v179
	v_or_b32_e32 v9, 8, v13
	s_mov_b32 s3, 0
	s_delay_alu instid0(VALU_DEP_2)
	v_dual_mov_b32 v4, v2 :: v_dual_mov_b32 v3, v1
	.p2align	6
.LBB126_189:                            ; =>This Inner Loop Header: Depth=1
	scratch_load_b128 v[14:17], v9, off offset:-8
	ds_load_b128 v[18:21], v8
	v_add_nc_u32_e32 v7, 1, v7
	v_add_nc_u32_e32 v8, 16, v8
	;; [unrolled: 1-line block ×3, first 2 shown]
	s_delay_alu instid0(VALU_DEP_3) | instskip(SKIP_4) | instid1(VALU_DEP_2)
	v_cmp_lt_u32_e32 vcc_lo, 39, v7
	s_or_b32 s3, vcc_lo, s3
	s_waitcnt vmcnt(0) lgkmcnt(0)
	v_mul_f64 v[10:11], v[20:21], v[16:17]
	v_mul_f64 v[16:17], v[18:19], v[16:17]
	v_fma_f64 v[10:11], v[18:19], v[14:15], -v[10:11]
	s_delay_alu instid0(VALU_DEP_2) | instskip(NEXT) | instid1(VALU_DEP_2)
	v_fma_f64 v[14:15], v[20:21], v[14:15], v[16:17]
	v_add_f64 v[3:4], v[3:4], v[10:11]
	s_delay_alu instid0(VALU_DEP_2)
	v_add_f64 v[1:2], v[1:2], v[14:15]
	s_and_not1_b32 exec_lo, exec_lo, s3
	s_cbranch_execnz .LBB126_189
; %bb.190:
	s_or_b32 exec_lo, exec_lo, s3
	v_mov_b32_e32 v7, 0
	ds_load_b128 v[7:10], v7 offset:656
	s_waitcnt lgkmcnt(0)
	v_mul_f64 v[11:12], v[1:2], v[9:10]
	v_mul_f64 v[14:15], v[3:4], v[9:10]
	s_delay_alu instid0(VALU_DEP_2) | instskip(NEXT) | instid1(VALU_DEP_2)
	v_fma_f64 v[9:10], v[3:4], v[7:8], -v[11:12]
	v_fma_f64 v[11:12], v[1:2], v[7:8], v[14:15]
	scratch_store_b128 off, v[9:12], off offset:656
.LBB126_191:
	s_or_b32 exec_lo, exec_lo, s2
	s_waitcnt_vscnt null, 0x0
	s_barrier
	buffer_gl0_inv
	scratch_load_b128 v[1:4], v58, off
	s_mov_b32 s2, exec_lo
	s_waitcnt vmcnt(0)
	ds_store_b128 v5, v[1:4]
	s_waitcnt lgkmcnt(0)
	s_barrier
	buffer_gl0_inv
	v_cmpx_gt_u32_e32 42, v179
	s_cbranch_execz .LBB126_195
; %bb.192:
	v_dual_mov_b32 v1, 0 :: v_dual_add_nc_u32 v8, 0x3f0, v239
	v_dual_mov_b32 v2, 0 :: v_dual_add_nc_u32 v7, -1, v179
	v_or_b32_e32 v9, 8, v13
	s_mov_b32 s3, 0
	s_delay_alu instid0(VALU_DEP_2)
	v_dual_mov_b32 v4, v2 :: v_dual_mov_b32 v3, v1
	.p2align	6
.LBB126_193:                            ; =>This Inner Loop Header: Depth=1
	scratch_load_b128 v[14:17], v9, off offset:-8
	ds_load_b128 v[18:21], v8
	v_add_nc_u32_e32 v7, 1, v7
	v_add_nc_u32_e32 v8, 16, v8
	;; [unrolled: 1-line block ×3, first 2 shown]
	s_delay_alu instid0(VALU_DEP_3) | instskip(SKIP_4) | instid1(VALU_DEP_2)
	v_cmp_lt_u32_e32 vcc_lo, 40, v7
	s_or_b32 s3, vcc_lo, s3
	s_waitcnt vmcnt(0) lgkmcnt(0)
	v_mul_f64 v[10:11], v[20:21], v[16:17]
	v_mul_f64 v[16:17], v[18:19], v[16:17]
	v_fma_f64 v[10:11], v[18:19], v[14:15], -v[10:11]
	s_delay_alu instid0(VALU_DEP_2) | instskip(NEXT) | instid1(VALU_DEP_2)
	v_fma_f64 v[14:15], v[20:21], v[14:15], v[16:17]
	v_add_f64 v[3:4], v[3:4], v[10:11]
	s_delay_alu instid0(VALU_DEP_2)
	v_add_f64 v[1:2], v[1:2], v[14:15]
	s_and_not1_b32 exec_lo, exec_lo, s3
	s_cbranch_execnz .LBB126_193
; %bb.194:
	s_or_b32 exec_lo, exec_lo, s3
	v_mov_b32_e32 v7, 0
	ds_load_b128 v[7:10], v7 offset:672
	s_waitcnt lgkmcnt(0)
	v_mul_f64 v[11:12], v[1:2], v[9:10]
	v_mul_f64 v[14:15], v[3:4], v[9:10]
	s_delay_alu instid0(VALU_DEP_2) | instskip(NEXT) | instid1(VALU_DEP_2)
	v_fma_f64 v[9:10], v[3:4], v[7:8], -v[11:12]
	v_fma_f64 v[11:12], v[1:2], v[7:8], v[14:15]
	scratch_store_b128 off, v[9:12], off offset:672
.LBB126_195:
	s_or_b32 exec_lo, exec_lo, s2
	s_waitcnt_vscnt null, 0x0
	s_barrier
	buffer_gl0_inv
	scratch_load_b128 v[1:4], v56, off
	s_mov_b32 s2, exec_lo
	s_waitcnt vmcnt(0)
	ds_store_b128 v5, v[1:4]
	s_waitcnt lgkmcnt(0)
	s_barrier
	buffer_gl0_inv
	v_cmpx_gt_u32_e32 43, v179
	s_cbranch_execz .LBB126_199
; %bb.196:
	v_dual_mov_b32 v1, 0 :: v_dual_add_nc_u32 v8, 0x3f0, v239
	v_dual_mov_b32 v2, 0 :: v_dual_add_nc_u32 v7, -1, v179
	v_or_b32_e32 v9, 8, v13
	s_mov_b32 s3, 0
	s_delay_alu instid0(VALU_DEP_2)
	v_dual_mov_b32 v4, v2 :: v_dual_mov_b32 v3, v1
	.p2align	6
.LBB126_197:                            ; =>This Inner Loop Header: Depth=1
	scratch_load_b128 v[14:17], v9, off offset:-8
	ds_load_b128 v[18:21], v8
	v_add_nc_u32_e32 v7, 1, v7
	v_add_nc_u32_e32 v8, 16, v8
	;; [unrolled: 1-line block ×3, first 2 shown]
	s_delay_alu instid0(VALU_DEP_3) | instskip(SKIP_4) | instid1(VALU_DEP_2)
	v_cmp_lt_u32_e32 vcc_lo, 41, v7
	s_or_b32 s3, vcc_lo, s3
	s_waitcnt vmcnt(0) lgkmcnt(0)
	v_mul_f64 v[10:11], v[20:21], v[16:17]
	v_mul_f64 v[16:17], v[18:19], v[16:17]
	v_fma_f64 v[10:11], v[18:19], v[14:15], -v[10:11]
	s_delay_alu instid0(VALU_DEP_2) | instskip(NEXT) | instid1(VALU_DEP_2)
	v_fma_f64 v[14:15], v[20:21], v[14:15], v[16:17]
	v_add_f64 v[3:4], v[3:4], v[10:11]
	s_delay_alu instid0(VALU_DEP_2)
	v_add_f64 v[1:2], v[1:2], v[14:15]
	s_and_not1_b32 exec_lo, exec_lo, s3
	s_cbranch_execnz .LBB126_197
; %bb.198:
	s_or_b32 exec_lo, exec_lo, s3
	v_mov_b32_e32 v7, 0
	ds_load_b128 v[7:10], v7 offset:688
	s_waitcnt lgkmcnt(0)
	v_mul_f64 v[11:12], v[1:2], v[9:10]
	v_mul_f64 v[14:15], v[3:4], v[9:10]
	s_delay_alu instid0(VALU_DEP_2) | instskip(NEXT) | instid1(VALU_DEP_2)
	v_fma_f64 v[9:10], v[3:4], v[7:8], -v[11:12]
	v_fma_f64 v[11:12], v[1:2], v[7:8], v[14:15]
	scratch_store_b128 off, v[9:12], off offset:688
.LBB126_199:
	s_or_b32 exec_lo, exec_lo, s2
	s_waitcnt_vscnt null, 0x0
	s_barrier
	buffer_gl0_inv
	scratch_load_b128 v[1:4], v55, off
	s_mov_b32 s2, exec_lo
	s_waitcnt vmcnt(0)
	ds_store_b128 v5, v[1:4]
	s_waitcnt lgkmcnt(0)
	s_barrier
	buffer_gl0_inv
	v_cmpx_gt_u32_e32 44, v179
	s_cbranch_execz .LBB126_203
; %bb.200:
	v_dual_mov_b32 v1, 0 :: v_dual_add_nc_u32 v8, 0x3f0, v239
	v_dual_mov_b32 v2, 0 :: v_dual_add_nc_u32 v7, -1, v179
	v_or_b32_e32 v9, 8, v13
	s_mov_b32 s3, 0
	s_delay_alu instid0(VALU_DEP_2)
	v_dual_mov_b32 v4, v2 :: v_dual_mov_b32 v3, v1
	.p2align	6
.LBB126_201:                            ; =>This Inner Loop Header: Depth=1
	scratch_load_b128 v[14:17], v9, off offset:-8
	ds_load_b128 v[18:21], v8
	v_add_nc_u32_e32 v7, 1, v7
	v_add_nc_u32_e32 v8, 16, v8
	;; [unrolled: 1-line block ×3, first 2 shown]
	s_delay_alu instid0(VALU_DEP_3) | instskip(SKIP_4) | instid1(VALU_DEP_2)
	v_cmp_lt_u32_e32 vcc_lo, 42, v7
	s_or_b32 s3, vcc_lo, s3
	s_waitcnt vmcnt(0) lgkmcnt(0)
	v_mul_f64 v[10:11], v[20:21], v[16:17]
	v_mul_f64 v[16:17], v[18:19], v[16:17]
	v_fma_f64 v[10:11], v[18:19], v[14:15], -v[10:11]
	s_delay_alu instid0(VALU_DEP_2) | instskip(NEXT) | instid1(VALU_DEP_2)
	v_fma_f64 v[14:15], v[20:21], v[14:15], v[16:17]
	v_add_f64 v[3:4], v[3:4], v[10:11]
	s_delay_alu instid0(VALU_DEP_2)
	v_add_f64 v[1:2], v[1:2], v[14:15]
	s_and_not1_b32 exec_lo, exec_lo, s3
	s_cbranch_execnz .LBB126_201
; %bb.202:
	s_or_b32 exec_lo, exec_lo, s3
	v_mov_b32_e32 v7, 0
	ds_load_b128 v[7:10], v7 offset:704
	s_waitcnt lgkmcnt(0)
	v_mul_f64 v[11:12], v[1:2], v[9:10]
	v_mul_f64 v[14:15], v[3:4], v[9:10]
	s_delay_alu instid0(VALU_DEP_2) | instskip(NEXT) | instid1(VALU_DEP_2)
	v_fma_f64 v[9:10], v[3:4], v[7:8], -v[11:12]
	v_fma_f64 v[11:12], v[1:2], v[7:8], v[14:15]
	scratch_store_b128 off, v[9:12], off offset:704
.LBB126_203:
	s_or_b32 exec_lo, exec_lo, s2
	s_waitcnt_vscnt null, 0x0
	s_barrier
	buffer_gl0_inv
	scratch_load_b128 v[1:4], v52, off
	s_mov_b32 s2, exec_lo
	s_waitcnt vmcnt(0)
	ds_store_b128 v5, v[1:4]
	s_waitcnt lgkmcnt(0)
	s_barrier
	buffer_gl0_inv
	v_cmpx_gt_u32_e32 45, v179
	s_cbranch_execz .LBB126_207
; %bb.204:
	v_dual_mov_b32 v1, 0 :: v_dual_add_nc_u32 v8, 0x3f0, v239
	v_dual_mov_b32 v2, 0 :: v_dual_add_nc_u32 v7, -1, v179
	v_or_b32_e32 v9, 8, v13
	s_mov_b32 s3, 0
	s_delay_alu instid0(VALU_DEP_2)
	v_dual_mov_b32 v4, v2 :: v_dual_mov_b32 v3, v1
	.p2align	6
.LBB126_205:                            ; =>This Inner Loop Header: Depth=1
	scratch_load_b128 v[14:17], v9, off offset:-8
	ds_load_b128 v[18:21], v8
	v_add_nc_u32_e32 v7, 1, v7
	v_add_nc_u32_e32 v8, 16, v8
	;; [unrolled: 1-line block ×3, first 2 shown]
	s_delay_alu instid0(VALU_DEP_3) | instskip(SKIP_4) | instid1(VALU_DEP_2)
	v_cmp_lt_u32_e32 vcc_lo, 43, v7
	s_or_b32 s3, vcc_lo, s3
	s_waitcnt vmcnt(0) lgkmcnt(0)
	v_mul_f64 v[10:11], v[20:21], v[16:17]
	v_mul_f64 v[16:17], v[18:19], v[16:17]
	v_fma_f64 v[10:11], v[18:19], v[14:15], -v[10:11]
	s_delay_alu instid0(VALU_DEP_2) | instskip(NEXT) | instid1(VALU_DEP_2)
	v_fma_f64 v[14:15], v[20:21], v[14:15], v[16:17]
	v_add_f64 v[3:4], v[3:4], v[10:11]
	s_delay_alu instid0(VALU_DEP_2)
	v_add_f64 v[1:2], v[1:2], v[14:15]
	s_and_not1_b32 exec_lo, exec_lo, s3
	s_cbranch_execnz .LBB126_205
; %bb.206:
	s_or_b32 exec_lo, exec_lo, s3
	v_mov_b32_e32 v7, 0
	ds_load_b128 v[7:10], v7 offset:720
	s_waitcnt lgkmcnt(0)
	v_mul_f64 v[11:12], v[1:2], v[9:10]
	v_mul_f64 v[14:15], v[3:4], v[9:10]
	s_delay_alu instid0(VALU_DEP_2) | instskip(NEXT) | instid1(VALU_DEP_2)
	v_fma_f64 v[9:10], v[3:4], v[7:8], -v[11:12]
	v_fma_f64 v[11:12], v[1:2], v[7:8], v[14:15]
	scratch_store_b128 off, v[9:12], off offset:720
.LBB126_207:
	s_or_b32 exec_lo, exec_lo, s2
	s_waitcnt_vscnt null, 0x0
	s_barrier
	buffer_gl0_inv
	scratch_load_b128 v[1:4], v51, off
	s_mov_b32 s2, exec_lo
	s_waitcnt vmcnt(0)
	ds_store_b128 v5, v[1:4]
	s_waitcnt lgkmcnt(0)
	s_barrier
	buffer_gl0_inv
	v_cmpx_gt_u32_e32 46, v179
	s_cbranch_execz .LBB126_211
; %bb.208:
	v_dual_mov_b32 v1, 0 :: v_dual_add_nc_u32 v8, 0x3f0, v239
	v_dual_mov_b32 v2, 0 :: v_dual_add_nc_u32 v7, -1, v179
	v_or_b32_e32 v9, 8, v13
	s_mov_b32 s3, 0
	s_delay_alu instid0(VALU_DEP_2)
	v_dual_mov_b32 v4, v2 :: v_dual_mov_b32 v3, v1
	.p2align	6
.LBB126_209:                            ; =>This Inner Loop Header: Depth=1
	scratch_load_b128 v[14:17], v9, off offset:-8
	ds_load_b128 v[18:21], v8
	v_add_nc_u32_e32 v7, 1, v7
	v_add_nc_u32_e32 v8, 16, v8
	;; [unrolled: 1-line block ×3, first 2 shown]
	s_delay_alu instid0(VALU_DEP_3) | instskip(SKIP_4) | instid1(VALU_DEP_2)
	v_cmp_lt_u32_e32 vcc_lo, 44, v7
	s_or_b32 s3, vcc_lo, s3
	s_waitcnt vmcnt(0) lgkmcnt(0)
	v_mul_f64 v[10:11], v[20:21], v[16:17]
	v_mul_f64 v[16:17], v[18:19], v[16:17]
	v_fma_f64 v[10:11], v[18:19], v[14:15], -v[10:11]
	s_delay_alu instid0(VALU_DEP_2) | instskip(NEXT) | instid1(VALU_DEP_2)
	v_fma_f64 v[14:15], v[20:21], v[14:15], v[16:17]
	v_add_f64 v[3:4], v[3:4], v[10:11]
	s_delay_alu instid0(VALU_DEP_2)
	v_add_f64 v[1:2], v[1:2], v[14:15]
	s_and_not1_b32 exec_lo, exec_lo, s3
	s_cbranch_execnz .LBB126_209
; %bb.210:
	s_or_b32 exec_lo, exec_lo, s3
	v_mov_b32_e32 v7, 0
	ds_load_b128 v[7:10], v7 offset:736
	s_waitcnt lgkmcnt(0)
	v_mul_f64 v[11:12], v[1:2], v[9:10]
	v_mul_f64 v[14:15], v[3:4], v[9:10]
	s_delay_alu instid0(VALU_DEP_2) | instskip(NEXT) | instid1(VALU_DEP_2)
	v_fma_f64 v[9:10], v[3:4], v[7:8], -v[11:12]
	v_fma_f64 v[11:12], v[1:2], v[7:8], v[14:15]
	scratch_store_b128 off, v[9:12], off offset:736
.LBB126_211:
	s_or_b32 exec_lo, exec_lo, s2
	s_waitcnt_vscnt null, 0x0
	s_barrier
	buffer_gl0_inv
	scratch_load_b128 v[1:4], v49, off
	s_mov_b32 s2, exec_lo
	s_waitcnt vmcnt(0)
	ds_store_b128 v5, v[1:4]
	s_waitcnt lgkmcnt(0)
	s_barrier
	buffer_gl0_inv
	v_cmpx_gt_u32_e32 47, v179
	s_cbranch_execz .LBB126_215
; %bb.212:
	v_dual_mov_b32 v1, 0 :: v_dual_add_nc_u32 v8, 0x3f0, v239
	v_dual_mov_b32 v2, 0 :: v_dual_add_nc_u32 v7, -1, v179
	v_or_b32_e32 v9, 8, v13
	s_mov_b32 s3, 0
	s_delay_alu instid0(VALU_DEP_2)
	v_dual_mov_b32 v4, v2 :: v_dual_mov_b32 v3, v1
	.p2align	6
.LBB126_213:                            ; =>This Inner Loop Header: Depth=1
	scratch_load_b128 v[14:17], v9, off offset:-8
	ds_load_b128 v[18:21], v8
	v_add_nc_u32_e32 v7, 1, v7
	v_add_nc_u32_e32 v8, 16, v8
	;; [unrolled: 1-line block ×3, first 2 shown]
	s_delay_alu instid0(VALU_DEP_3) | instskip(SKIP_4) | instid1(VALU_DEP_2)
	v_cmp_lt_u32_e32 vcc_lo, 45, v7
	s_or_b32 s3, vcc_lo, s3
	s_waitcnt vmcnt(0) lgkmcnt(0)
	v_mul_f64 v[10:11], v[20:21], v[16:17]
	v_mul_f64 v[16:17], v[18:19], v[16:17]
	v_fma_f64 v[10:11], v[18:19], v[14:15], -v[10:11]
	s_delay_alu instid0(VALU_DEP_2) | instskip(NEXT) | instid1(VALU_DEP_2)
	v_fma_f64 v[14:15], v[20:21], v[14:15], v[16:17]
	v_add_f64 v[3:4], v[3:4], v[10:11]
	s_delay_alu instid0(VALU_DEP_2)
	v_add_f64 v[1:2], v[1:2], v[14:15]
	s_and_not1_b32 exec_lo, exec_lo, s3
	s_cbranch_execnz .LBB126_213
; %bb.214:
	s_or_b32 exec_lo, exec_lo, s3
	v_mov_b32_e32 v7, 0
	ds_load_b128 v[7:10], v7 offset:752
	s_waitcnt lgkmcnt(0)
	v_mul_f64 v[11:12], v[1:2], v[9:10]
	v_mul_f64 v[14:15], v[3:4], v[9:10]
	s_delay_alu instid0(VALU_DEP_2) | instskip(NEXT) | instid1(VALU_DEP_2)
	v_fma_f64 v[9:10], v[3:4], v[7:8], -v[11:12]
	v_fma_f64 v[11:12], v[1:2], v[7:8], v[14:15]
	scratch_store_b128 off, v[9:12], off offset:752
.LBB126_215:
	s_or_b32 exec_lo, exec_lo, s2
	s_waitcnt_vscnt null, 0x0
	s_barrier
	buffer_gl0_inv
	scratch_load_b128 v[1:4], v48, off
	s_mov_b32 s2, exec_lo
	s_waitcnt vmcnt(0)
	ds_store_b128 v5, v[1:4]
	s_waitcnt lgkmcnt(0)
	s_barrier
	buffer_gl0_inv
	v_cmpx_gt_u32_e32 48, v179
	s_cbranch_execz .LBB126_219
; %bb.216:
	v_dual_mov_b32 v1, 0 :: v_dual_add_nc_u32 v8, 0x3f0, v239
	v_dual_mov_b32 v2, 0 :: v_dual_add_nc_u32 v7, -1, v179
	v_or_b32_e32 v9, 8, v13
	s_mov_b32 s3, 0
	s_delay_alu instid0(VALU_DEP_2)
	v_dual_mov_b32 v4, v2 :: v_dual_mov_b32 v3, v1
	.p2align	6
.LBB126_217:                            ; =>This Inner Loop Header: Depth=1
	scratch_load_b128 v[14:17], v9, off offset:-8
	ds_load_b128 v[18:21], v8
	v_add_nc_u32_e32 v7, 1, v7
	v_add_nc_u32_e32 v8, 16, v8
	;; [unrolled: 1-line block ×3, first 2 shown]
	s_delay_alu instid0(VALU_DEP_3) | instskip(SKIP_4) | instid1(VALU_DEP_2)
	v_cmp_lt_u32_e32 vcc_lo, 46, v7
	s_or_b32 s3, vcc_lo, s3
	s_waitcnt vmcnt(0) lgkmcnt(0)
	v_mul_f64 v[10:11], v[20:21], v[16:17]
	v_mul_f64 v[16:17], v[18:19], v[16:17]
	v_fma_f64 v[10:11], v[18:19], v[14:15], -v[10:11]
	s_delay_alu instid0(VALU_DEP_2) | instskip(NEXT) | instid1(VALU_DEP_2)
	v_fma_f64 v[14:15], v[20:21], v[14:15], v[16:17]
	v_add_f64 v[3:4], v[3:4], v[10:11]
	s_delay_alu instid0(VALU_DEP_2)
	v_add_f64 v[1:2], v[1:2], v[14:15]
	s_and_not1_b32 exec_lo, exec_lo, s3
	s_cbranch_execnz .LBB126_217
; %bb.218:
	s_or_b32 exec_lo, exec_lo, s3
	v_mov_b32_e32 v7, 0
	ds_load_b128 v[7:10], v7 offset:768
	s_waitcnt lgkmcnt(0)
	v_mul_f64 v[11:12], v[1:2], v[9:10]
	v_mul_f64 v[14:15], v[3:4], v[9:10]
	s_delay_alu instid0(VALU_DEP_2) | instskip(NEXT) | instid1(VALU_DEP_2)
	v_fma_f64 v[9:10], v[3:4], v[7:8], -v[11:12]
	v_fma_f64 v[11:12], v[1:2], v[7:8], v[14:15]
	scratch_store_b128 off, v[9:12], off offset:768
.LBB126_219:
	s_or_b32 exec_lo, exec_lo, s2
	s_waitcnt_vscnt null, 0x0
	s_barrier
	buffer_gl0_inv
	scratch_load_b128 v[1:4], v47, off
	s_mov_b32 s2, exec_lo
	s_waitcnt vmcnt(0)
	ds_store_b128 v5, v[1:4]
	s_waitcnt lgkmcnt(0)
	s_barrier
	buffer_gl0_inv
	v_cmpx_gt_u32_e32 49, v179
	s_cbranch_execz .LBB126_223
; %bb.220:
	v_dual_mov_b32 v1, 0 :: v_dual_add_nc_u32 v8, 0x3f0, v239
	v_dual_mov_b32 v2, 0 :: v_dual_add_nc_u32 v7, -1, v179
	v_or_b32_e32 v9, 8, v13
	s_mov_b32 s3, 0
	s_delay_alu instid0(VALU_DEP_2)
	v_dual_mov_b32 v4, v2 :: v_dual_mov_b32 v3, v1
	.p2align	6
.LBB126_221:                            ; =>This Inner Loop Header: Depth=1
	scratch_load_b128 v[14:17], v9, off offset:-8
	ds_load_b128 v[18:21], v8
	v_add_nc_u32_e32 v7, 1, v7
	v_add_nc_u32_e32 v8, 16, v8
	;; [unrolled: 1-line block ×3, first 2 shown]
	s_delay_alu instid0(VALU_DEP_3) | instskip(SKIP_4) | instid1(VALU_DEP_2)
	v_cmp_lt_u32_e32 vcc_lo, 47, v7
	s_or_b32 s3, vcc_lo, s3
	s_waitcnt vmcnt(0) lgkmcnt(0)
	v_mul_f64 v[10:11], v[20:21], v[16:17]
	v_mul_f64 v[16:17], v[18:19], v[16:17]
	v_fma_f64 v[10:11], v[18:19], v[14:15], -v[10:11]
	s_delay_alu instid0(VALU_DEP_2) | instskip(NEXT) | instid1(VALU_DEP_2)
	v_fma_f64 v[14:15], v[20:21], v[14:15], v[16:17]
	v_add_f64 v[3:4], v[3:4], v[10:11]
	s_delay_alu instid0(VALU_DEP_2)
	v_add_f64 v[1:2], v[1:2], v[14:15]
	s_and_not1_b32 exec_lo, exec_lo, s3
	s_cbranch_execnz .LBB126_221
; %bb.222:
	s_or_b32 exec_lo, exec_lo, s3
	v_mov_b32_e32 v7, 0
	ds_load_b128 v[7:10], v7 offset:784
	s_waitcnt lgkmcnt(0)
	v_mul_f64 v[11:12], v[1:2], v[9:10]
	v_mul_f64 v[14:15], v[3:4], v[9:10]
	s_delay_alu instid0(VALU_DEP_2) | instskip(NEXT) | instid1(VALU_DEP_2)
	v_fma_f64 v[9:10], v[3:4], v[7:8], -v[11:12]
	v_fma_f64 v[11:12], v[1:2], v[7:8], v[14:15]
	scratch_store_b128 off, v[9:12], off offset:784
.LBB126_223:
	s_or_b32 exec_lo, exec_lo, s2
	s_waitcnt_vscnt null, 0x0
	s_barrier
	buffer_gl0_inv
	scratch_load_b128 v[1:4], v46, off
	s_mov_b32 s2, exec_lo
	s_waitcnt vmcnt(0)
	ds_store_b128 v5, v[1:4]
	s_waitcnt lgkmcnt(0)
	s_barrier
	buffer_gl0_inv
	v_cmpx_gt_u32_e32 50, v179
	s_cbranch_execz .LBB126_227
; %bb.224:
	v_dual_mov_b32 v1, 0 :: v_dual_add_nc_u32 v8, 0x3f0, v239
	v_dual_mov_b32 v2, 0 :: v_dual_add_nc_u32 v7, -1, v179
	v_or_b32_e32 v9, 8, v13
	s_mov_b32 s3, 0
	s_delay_alu instid0(VALU_DEP_2)
	v_dual_mov_b32 v4, v2 :: v_dual_mov_b32 v3, v1
	.p2align	6
.LBB126_225:                            ; =>This Inner Loop Header: Depth=1
	scratch_load_b128 v[14:17], v9, off offset:-8
	ds_load_b128 v[18:21], v8
	v_add_nc_u32_e32 v7, 1, v7
	v_add_nc_u32_e32 v8, 16, v8
	;; [unrolled: 1-line block ×3, first 2 shown]
	s_delay_alu instid0(VALU_DEP_3) | instskip(SKIP_4) | instid1(VALU_DEP_2)
	v_cmp_lt_u32_e32 vcc_lo, 48, v7
	s_or_b32 s3, vcc_lo, s3
	s_waitcnt vmcnt(0) lgkmcnt(0)
	v_mul_f64 v[10:11], v[20:21], v[16:17]
	v_mul_f64 v[16:17], v[18:19], v[16:17]
	v_fma_f64 v[10:11], v[18:19], v[14:15], -v[10:11]
	s_delay_alu instid0(VALU_DEP_2) | instskip(NEXT) | instid1(VALU_DEP_2)
	v_fma_f64 v[14:15], v[20:21], v[14:15], v[16:17]
	v_add_f64 v[3:4], v[3:4], v[10:11]
	s_delay_alu instid0(VALU_DEP_2)
	v_add_f64 v[1:2], v[1:2], v[14:15]
	s_and_not1_b32 exec_lo, exec_lo, s3
	s_cbranch_execnz .LBB126_225
; %bb.226:
	s_or_b32 exec_lo, exec_lo, s3
	v_mov_b32_e32 v7, 0
	ds_load_b128 v[7:10], v7 offset:800
	s_waitcnt lgkmcnt(0)
	v_mul_f64 v[11:12], v[1:2], v[9:10]
	v_mul_f64 v[14:15], v[3:4], v[9:10]
	s_delay_alu instid0(VALU_DEP_2) | instskip(NEXT) | instid1(VALU_DEP_2)
	v_fma_f64 v[9:10], v[3:4], v[7:8], -v[11:12]
	v_fma_f64 v[11:12], v[1:2], v[7:8], v[14:15]
	scratch_store_b128 off, v[9:12], off offset:800
.LBB126_227:
	s_or_b32 exec_lo, exec_lo, s2
	s_waitcnt_vscnt null, 0x0
	s_barrier
	buffer_gl0_inv
	scratch_load_b128 v[1:4], v45, off
	s_mov_b32 s2, exec_lo
	s_waitcnt vmcnt(0)
	ds_store_b128 v5, v[1:4]
	s_waitcnt lgkmcnt(0)
	s_barrier
	buffer_gl0_inv
	v_cmpx_gt_u32_e32 51, v179
	s_cbranch_execz .LBB126_231
; %bb.228:
	v_dual_mov_b32 v1, 0 :: v_dual_add_nc_u32 v8, 0x3f0, v239
	v_dual_mov_b32 v2, 0 :: v_dual_add_nc_u32 v7, -1, v179
	v_or_b32_e32 v9, 8, v13
	s_mov_b32 s3, 0
	s_delay_alu instid0(VALU_DEP_2)
	v_dual_mov_b32 v4, v2 :: v_dual_mov_b32 v3, v1
	.p2align	6
.LBB126_229:                            ; =>This Inner Loop Header: Depth=1
	scratch_load_b128 v[14:17], v9, off offset:-8
	ds_load_b128 v[18:21], v8
	v_add_nc_u32_e32 v7, 1, v7
	v_add_nc_u32_e32 v8, 16, v8
	;; [unrolled: 1-line block ×3, first 2 shown]
	s_delay_alu instid0(VALU_DEP_3) | instskip(SKIP_4) | instid1(VALU_DEP_2)
	v_cmp_lt_u32_e32 vcc_lo, 49, v7
	s_or_b32 s3, vcc_lo, s3
	s_waitcnt vmcnt(0) lgkmcnt(0)
	v_mul_f64 v[10:11], v[20:21], v[16:17]
	v_mul_f64 v[16:17], v[18:19], v[16:17]
	v_fma_f64 v[10:11], v[18:19], v[14:15], -v[10:11]
	s_delay_alu instid0(VALU_DEP_2) | instskip(NEXT) | instid1(VALU_DEP_2)
	v_fma_f64 v[14:15], v[20:21], v[14:15], v[16:17]
	v_add_f64 v[3:4], v[3:4], v[10:11]
	s_delay_alu instid0(VALU_DEP_2)
	v_add_f64 v[1:2], v[1:2], v[14:15]
	s_and_not1_b32 exec_lo, exec_lo, s3
	s_cbranch_execnz .LBB126_229
; %bb.230:
	s_or_b32 exec_lo, exec_lo, s3
	v_mov_b32_e32 v7, 0
	ds_load_b128 v[7:10], v7 offset:816
	s_waitcnt lgkmcnt(0)
	v_mul_f64 v[11:12], v[1:2], v[9:10]
	v_mul_f64 v[14:15], v[3:4], v[9:10]
	s_delay_alu instid0(VALU_DEP_2) | instskip(NEXT) | instid1(VALU_DEP_2)
	v_fma_f64 v[9:10], v[3:4], v[7:8], -v[11:12]
	v_fma_f64 v[11:12], v[1:2], v[7:8], v[14:15]
	scratch_store_b128 off, v[9:12], off offset:816
.LBB126_231:
	s_or_b32 exec_lo, exec_lo, s2
	s_waitcnt_vscnt null, 0x0
	s_barrier
	buffer_gl0_inv
	scratch_load_b128 v[1:4], v44, off
	s_mov_b32 s2, exec_lo
	s_waitcnt vmcnt(0)
	ds_store_b128 v5, v[1:4]
	s_waitcnt lgkmcnt(0)
	s_barrier
	buffer_gl0_inv
	v_cmpx_gt_u32_e32 52, v179
	s_cbranch_execz .LBB126_235
; %bb.232:
	v_dual_mov_b32 v1, 0 :: v_dual_add_nc_u32 v8, 0x3f0, v239
	v_dual_mov_b32 v2, 0 :: v_dual_add_nc_u32 v7, -1, v179
	v_or_b32_e32 v9, 8, v13
	s_mov_b32 s3, 0
	s_delay_alu instid0(VALU_DEP_2)
	v_dual_mov_b32 v4, v2 :: v_dual_mov_b32 v3, v1
	.p2align	6
.LBB126_233:                            ; =>This Inner Loop Header: Depth=1
	scratch_load_b128 v[14:17], v9, off offset:-8
	ds_load_b128 v[18:21], v8
	v_add_nc_u32_e32 v7, 1, v7
	v_add_nc_u32_e32 v8, 16, v8
	;; [unrolled: 1-line block ×3, first 2 shown]
	s_delay_alu instid0(VALU_DEP_3) | instskip(SKIP_4) | instid1(VALU_DEP_2)
	v_cmp_lt_u32_e32 vcc_lo, 50, v7
	s_or_b32 s3, vcc_lo, s3
	s_waitcnt vmcnt(0) lgkmcnt(0)
	v_mul_f64 v[10:11], v[20:21], v[16:17]
	v_mul_f64 v[16:17], v[18:19], v[16:17]
	v_fma_f64 v[10:11], v[18:19], v[14:15], -v[10:11]
	s_delay_alu instid0(VALU_DEP_2) | instskip(NEXT) | instid1(VALU_DEP_2)
	v_fma_f64 v[14:15], v[20:21], v[14:15], v[16:17]
	v_add_f64 v[3:4], v[3:4], v[10:11]
	s_delay_alu instid0(VALU_DEP_2)
	v_add_f64 v[1:2], v[1:2], v[14:15]
	s_and_not1_b32 exec_lo, exec_lo, s3
	s_cbranch_execnz .LBB126_233
; %bb.234:
	s_or_b32 exec_lo, exec_lo, s3
	v_mov_b32_e32 v7, 0
	ds_load_b128 v[7:10], v7 offset:832
	s_waitcnt lgkmcnt(0)
	v_mul_f64 v[11:12], v[1:2], v[9:10]
	v_mul_f64 v[14:15], v[3:4], v[9:10]
	s_delay_alu instid0(VALU_DEP_2) | instskip(NEXT) | instid1(VALU_DEP_2)
	v_fma_f64 v[9:10], v[3:4], v[7:8], -v[11:12]
	v_fma_f64 v[11:12], v[1:2], v[7:8], v[14:15]
	scratch_store_b128 off, v[9:12], off offset:832
.LBB126_235:
	s_or_b32 exec_lo, exec_lo, s2
	s_waitcnt_vscnt null, 0x0
	s_barrier
	buffer_gl0_inv
	scratch_load_b128 v[1:4], v43, off
	s_mov_b32 s2, exec_lo
	s_waitcnt vmcnt(0)
	ds_store_b128 v5, v[1:4]
	s_waitcnt lgkmcnt(0)
	s_barrier
	buffer_gl0_inv
	v_cmpx_gt_u32_e32 53, v179
	s_cbranch_execz .LBB126_239
; %bb.236:
	v_dual_mov_b32 v1, 0 :: v_dual_add_nc_u32 v8, 0x3f0, v239
	v_dual_mov_b32 v2, 0 :: v_dual_add_nc_u32 v7, -1, v179
	v_or_b32_e32 v9, 8, v13
	s_mov_b32 s3, 0
	s_delay_alu instid0(VALU_DEP_2)
	v_dual_mov_b32 v4, v2 :: v_dual_mov_b32 v3, v1
	.p2align	6
.LBB126_237:                            ; =>This Inner Loop Header: Depth=1
	scratch_load_b128 v[14:17], v9, off offset:-8
	ds_load_b128 v[18:21], v8
	v_add_nc_u32_e32 v7, 1, v7
	v_add_nc_u32_e32 v8, 16, v8
	;; [unrolled: 1-line block ×3, first 2 shown]
	s_delay_alu instid0(VALU_DEP_3) | instskip(SKIP_4) | instid1(VALU_DEP_2)
	v_cmp_lt_u32_e32 vcc_lo, 51, v7
	s_or_b32 s3, vcc_lo, s3
	s_waitcnt vmcnt(0) lgkmcnt(0)
	v_mul_f64 v[10:11], v[20:21], v[16:17]
	v_mul_f64 v[16:17], v[18:19], v[16:17]
	v_fma_f64 v[10:11], v[18:19], v[14:15], -v[10:11]
	s_delay_alu instid0(VALU_DEP_2) | instskip(NEXT) | instid1(VALU_DEP_2)
	v_fma_f64 v[14:15], v[20:21], v[14:15], v[16:17]
	v_add_f64 v[3:4], v[3:4], v[10:11]
	s_delay_alu instid0(VALU_DEP_2)
	v_add_f64 v[1:2], v[1:2], v[14:15]
	s_and_not1_b32 exec_lo, exec_lo, s3
	s_cbranch_execnz .LBB126_237
; %bb.238:
	s_or_b32 exec_lo, exec_lo, s3
	v_mov_b32_e32 v7, 0
	ds_load_b128 v[7:10], v7 offset:848
	s_waitcnt lgkmcnt(0)
	v_mul_f64 v[11:12], v[1:2], v[9:10]
	v_mul_f64 v[14:15], v[3:4], v[9:10]
	s_delay_alu instid0(VALU_DEP_2) | instskip(NEXT) | instid1(VALU_DEP_2)
	v_fma_f64 v[9:10], v[3:4], v[7:8], -v[11:12]
	v_fma_f64 v[11:12], v[1:2], v[7:8], v[14:15]
	scratch_store_b128 off, v[9:12], off offset:848
.LBB126_239:
	s_or_b32 exec_lo, exec_lo, s2
	s_waitcnt_vscnt null, 0x0
	s_barrier
	buffer_gl0_inv
	scratch_load_b128 v[1:4], v42, off
	s_mov_b32 s2, exec_lo
	s_waitcnt vmcnt(0)
	ds_store_b128 v5, v[1:4]
	s_waitcnt lgkmcnt(0)
	s_barrier
	buffer_gl0_inv
	v_cmpx_gt_u32_e32 54, v179
	s_cbranch_execz .LBB126_243
; %bb.240:
	v_dual_mov_b32 v1, 0 :: v_dual_add_nc_u32 v8, 0x3f0, v239
	v_dual_mov_b32 v2, 0 :: v_dual_add_nc_u32 v7, -1, v179
	v_or_b32_e32 v9, 8, v13
	s_mov_b32 s3, 0
	s_delay_alu instid0(VALU_DEP_2)
	v_dual_mov_b32 v4, v2 :: v_dual_mov_b32 v3, v1
	.p2align	6
.LBB126_241:                            ; =>This Inner Loop Header: Depth=1
	scratch_load_b128 v[14:17], v9, off offset:-8
	ds_load_b128 v[18:21], v8
	v_add_nc_u32_e32 v7, 1, v7
	v_add_nc_u32_e32 v8, 16, v8
	;; [unrolled: 1-line block ×3, first 2 shown]
	s_delay_alu instid0(VALU_DEP_3) | instskip(SKIP_4) | instid1(VALU_DEP_2)
	v_cmp_lt_u32_e32 vcc_lo, 52, v7
	s_or_b32 s3, vcc_lo, s3
	s_waitcnt vmcnt(0) lgkmcnt(0)
	v_mul_f64 v[10:11], v[20:21], v[16:17]
	v_mul_f64 v[16:17], v[18:19], v[16:17]
	v_fma_f64 v[10:11], v[18:19], v[14:15], -v[10:11]
	s_delay_alu instid0(VALU_DEP_2) | instskip(NEXT) | instid1(VALU_DEP_2)
	v_fma_f64 v[14:15], v[20:21], v[14:15], v[16:17]
	v_add_f64 v[3:4], v[3:4], v[10:11]
	s_delay_alu instid0(VALU_DEP_2)
	v_add_f64 v[1:2], v[1:2], v[14:15]
	s_and_not1_b32 exec_lo, exec_lo, s3
	s_cbranch_execnz .LBB126_241
; %bb.242:
	s_or_b32 exec_lo, exec_lo, s3
	v_mov_b32_e32 v7, 0
	ds_load_b128 v[7:10], v7 offset:864
	s_waitcnt lgkmcnt(0)
	v_mul_f64 v[11:12], v[1:2], v[9:10]
	v_mul_f64 v[14:15], v[3:4], v[9:10]
	s_delay_alu instid0(VALU_DEP_2) | instskip(NEXT) | instid1(VALU_DEP_2)
	v_fma_f64 v[9:10], v[3:4], v[7:8], -v[11:12]
	v_fma_f64 v[11:12], v[1:2], v[7:8], v[14:15]
	scratch_store_b128 off, v[9:12], off offset:864
.LBB126_243:
	s_or_b32 exec_lo, exec_lo, s2
	s_waitcnt_vscnt null, 0x0
	s_barrier
	buffer_gl0_inv
	scratch_load_b128 v[1:4], v41, off
	s_mov_b32 s2, exec_lo
	s_waitcnt vmcnt(0)
	ds_store_b128 v5, v[1:4]
	s_waitcnt lgkmcnt(0)
	s_barrier
	buffer_gl0_inv
	v_cmpx_gt_u32_e32 55, v179
	s_cbranch_execz .LBB126_247
; %bb.244:
	v_dual_mov_b32 v1, 0 :: v_dual_add_nc_u32 v8, 0x3f0, v239
	v_dual_mov_b32 v2, 0 :: v_dual_add_nc_u32 v7, -1, v179
	v_or_b32_e32 v9, 8, v13
	s_mov_b32 s3, 0
	s_delay_alu instid0(VALU_DEP_2)
	v_dual_mov_b32 v4, v2 :: v_dual_mov_b32 v3, v1
	.p2align	6
.LBB126_245:                            ; =>This Inner Loop Header: Depth=1
	scratch_load_b128 v[14:17], v9, off offset:-8
	ds_load_b128 v[18:21], v8
	v_add_nc_u32_e32 v7, 1, v7
	v_add_nc_u32_e32 v8, 16, v8
	;; [unrolled: 1-line block ×3, first 2 shown]
	s_delay_alu instid0(VALU_DEP_3) | instskip(SKIP_4) | instid1(VALU_DEP_2)
	v_cmp_lt_u32_e32 vcc_lo, 53, v7
	s_or_b32 s3, vcc_lo, s3
	s_waitcnt vmcnt(0) lgkmcnt(0)
	v_mul_f64 v[10:11], v[20:21], v[16:17]
	v_mul_f64 v[16:17], v[18:19], v[16:17]
	v_fma_f64 v[10:11], v[18:19], v[14:15], -v[10:11]
	s_delay_alu instid0(VALU_DEP_2) | instskip(NEXT) | instid1(VALU_DEP_2)
	v_fma_f64 v[14:15], v[20:21], v[14:15], v[16:17]
	v_add_f64 v[3:4], v[3:4], v[10:11]
	s_delay_alu instid0(VALU_DEP_2)
	v_add_f64 v[1:2], v[1:2], v[14:15]
	s_and_not1_b32 exec_lo, exec_lo, s3
	s_cbranch_execnz .LBB126_245
; %bb.246:
	s_or_b32 exec_lo, exec_lo, s3
	v_mov_b32_e32 v7, 0
	ds_load_b128 v[7:10], v7 offset:880
	s_waitcnt lgkmcnt(0)
	v_mul_f64 v[11:12], v[1:2], v[9:10]
	v_mul_f64 v[14:15], v[3:4], v[9:10]
	s_delay_alu instid0(VALU_DEP_2) | instskip(NEXT) | instid1(VALU_DEP_2)
	v_fma_f64 v[9:10], v[3:4], v[7:8], -v[11:12]
	v_fma_f64 v[11:12], v[1:2], v[7:8], v[14:15]
	scratch_store_b128 off, v[9:12], off offset:880
.LBB126_247:
	s_or_b32 exec_lo, exec_lo, s2
	s_waitcnt_vscnt null, 0x0
	s_barrier
	buffer_gl0_inv
	scratch_load_b128 v[1:4], v28, off
	s_mov_b32 s2, exec_lo
	s_waitcnt vmcnt(0)
	ds_store_b128 v5, v[1:4]
	s_waitcnt lgkmcnt(0)
	s_barrier
	buffer_gl0_inv
	v_cmpx_gt_u32_e32 56, v179
	s_cbranch_execz .LBB126_251
; %bb.248:
	v_dual_mov_b32 v1, 0 :: v_dual_add_nc_u32 v8, 0x3f0, v239
	v_dual_mov_b32 v2, 0 :: v_dual_add_nc_u32 v7, -1, v179
	v_or_b32_e32 v9, 8, v13
	s_mov_b32 s3, 0
	s_delay_alu instid0(VALU_DEP_2)
	v_dual_mov_b32 v4, v2 :: v_dual_mov_b32 v3, v1
	.p2align	6
.LBB126_249:                            ; =>This Inner Loop Header: Depth=1
	scratch_load_b128 v[14:17], v9, off offset:-8
	ds_load_b128 v[18:21], v8
	v_add_nc_u32_e32 v7, 1, v7
	v_add_nc_u32_e32 v8, 16, v8
	;; [unrolled: 1-line block ×3, first 2 shown]
	s_delay_alu instid0(VALU_DEP_3) | instskip(SKIP_4) | instid1(VALU_DEP_2)
	v_cmp_lt_u32_e32 vcc_lo, 54, v7
	s_or_b32 s3, vcc_lo, s3
	s_waitcnt vmcnt(0) lgkmcnt(0)
	v_mul_f64 v[10:11], v[20:21], v[16:17]
	v_mul_f64 v[16:17], v[18:19], v[16:17]
	v_fma_f64 v[10:11], v[18:19], v[14:15], -v[10:11]
	s_delay_alu instid0(VALU_DEP_2) | instskip(NEXT) | instid1(VALU_DEP_2)
	v_fma_f64 v[14:15], v[20:21], v[14:15], v[16:17]
	v_add_f64 v[3:4], v[3:4], v[10:11]
	s_delay_alu instid0(VALU_DEP_2)
	v_add_f64 v[1:2], v[1:2], v[14:15]
	s_and_not1_b32 exec_lo, exec_lo, s3
	s_cbranch_execnz .LBB126_249
; %bb.250:
	s_or_b32 exec_lo, exec_lo, s3
	v_mov_b32_e32 v7, 0
	ds_load_b128 v[7:10], v7 offset:896
	s_waitcnt lgkmcnt(0)
	v_mul_f64 v[11:12], v[1:2], v[9:10]
	v_mul_f64 v[14:15], v[3:4], v[9:10]
	s_delay_alu instid0(VALU_DEP_2) | instskip(NEXT) | instid1(VALU_DEP_2)
	v_fma_f64 v[9:10], v[3:4], v[7:8], -v[11:12]
	v_fma_f64 v[11:12], v[1:2], v[7:8], v[14:15]
	scratch_store_b128 off, v[9:12], off offset:896
.LBB126_251:
	s_or_b32 exec_lo, exec_lo, s2
	s_waitcnt_vscnt null, 0x0
	s_barrier
	buffer_gl0_inv
	scratch_load_b128 v[1:4], v27, off
	s_mov_b32 s2, exec_lo
	s_waitcnt vmcnt(0)
	ds_store_b128 v5, v[1:4]
	s_waitcnt lgkmcnt(0)
	s_barrier
	buffer_gl0_inv
	v_cmpx_gt_u32_e32 57, v179
	s_cbranch_execz .LBB126_255
; %bb.252:
	v_dual_mov_b32 v1, 0 :: v_dual_add_nc_u32 v8, 0x3f0, v239
	v_dual_mov_b32 v2, 0 :: v_dual_add_nc_u32 v7, -1, v179
	v_or_b32_e32 v9, 8, v13
	s_mov_b32 s3, 0
	s_delay_alu instid0(VALU_DEP_2)
	v_dual_mov_b32 v4, v2 :: v_dual_mov_b32 v3, v1
	.p2align	6
.LBB126_253:                            ; =>This Inner Loop Header: Depth=1
	scratch_load_b128 v[14:17], v9, off offset:-8
	ds_load_b128 v[18:21], v8
	v_add_nc_u32_e32 v7, 1, v7
	v_add_nc_u32_e32 v8, 16, v8
	;; [unrolled: 1-line block ×3, first 2 shown]
	s_delay_alu instid0(VALU_DEP_3) | instskip(SKIP_4) | instid1(VALU_DEP_2)
	v_cmp_lt_u32_e32 vcc_lo, 55, v7
	s_or_b32 s3, vcc_lo, s3
	s_waitcnt vmcnt(0) lgkmcnt(0)
	v_mul_f64 v[10:11], v[20:21], v[16:17]
	v_mul_f64 v[16:17], v[18:19], v[16:17]
	v_fma_f64 v[10:11], v[18:19], v[14:15], -v[10:11]
	s_delay_alu instid0(VALU_DEP_2) | instskip(NEXT) | instid1(VALU_DEP_2)
	v_fma_f64 v[14:15], v[20:21], v[14:15], v[16:17]
	v_add_f64 v[3:4], v[3:4], v[10:11]
	s_delay_alu instid0(VALU_DEP_2)
	v_add_f64 v[1:2], v[1:2], v[14:15]
	s_and_not1_b32 exec_lo, exec_lo, s3
	s_cbranch_execnz .LBB126_253
; %bb.254:
	s_or_b32 exec_lo, exec_lo, s3
	v_mov_b32_e32 v7, 0
	ds_load_b128 v[7:10], v7 offset:912
	s_waitcnt lgkmcnt(0)
	v_mul_f64 v[11:12], v[1:2], v[9:10]
	v_mul_f64 v[14:15], v[3:4], v[9:10]
	s_delay_alu instid0(VALU_DEP_2) | instskip(NEXT) | instid1(VALU_DEP_2)
	v_fma_f64 v[9:10], v[3:4], v[7:8], -v[11:12]
	v_fma_f64 v[11:12], v[1:2], v[7:8], v[14:15]
	scratch_store_b128 off, v[9:12], off offset:912
.LBB126_255:
	s_or_b32 exec_lo, exec_lo, s2
	s_waitcnt_vscnt null, 0x0
	s_barrier
	buffer_gl0_inv
	scratch_load_b128 v[1:4], v26, off
	s_mov_b32 s2, exec_lo
	s_waitcnt vmcnt(0)
	ds_store_b128 v5, v[1:4]
	s_waitcnt lgkmcnt(0)
	s_barrier
	buffer_gl0_inv
	v_cmpx_gt_u32_e32 58, v179
	s_cbranch_execz .LBB126_259
; %bb.256:
	v_dual_mov_b32 v1, 0 :: v_dual_add_nc_u32 v8, 0x3f0, v239
	v_dual_mov_b32 v2, 0 :: v_dual_add_nc_u32 v7, -1, v179
	v_or_b32_e32 v9, 8, v13
	s_mov_b32 s3, 0
	s_delay_alu instid0(VALU_DEP_2)
	v_dual_mov_b32 v4, v2 :: v_dual_mov_b32 v3, v1
	.p2align	6
.LBB126_257:                            ; =>This Inner Loop Header: Depth=1
	scratch_load_b128 v[14:17], v9, off offset:-8
	ds_load_b128 v[18:21], v8
	v_add_nc_u32_e32 v7, 1, v7
	v_add_nc_u32_e32 v8, 16, v8
	v_add_nc_u32_e32 v9, 16, v9
	s_delay_alu instid0(VALU_DEP_3) | instskip(SKIP_4) | instid1(VALU_DEP_2)
	v_cmp_lt_u32_e32 vcc_lo, 56, v7
	s_or_b32 s3, vcc_lo, s3
	s_waitcnt vmcnt(0) lgkmcnt(0)
	v_mul_f64 v[10:11], v[20:21], v[16:17]
	v_mul_f64 v[16:17], v[18:19], v[16:17]
	v_fma_f64 v[10:11], v[18:19], v[14:15], -v[10:11]
	s_delay_alu instid0(VALU_DEP_2) | instskip(NEXT) | instid1(VALU_DEP_2)
	v_fma_f64 v[14:15], v[20:21], v[14:15], v[16:17]
	v_add_f64 v[3:4], v[3:4], v[10:11]
	s_delay_alu instid0(VALU_DEP_2)
	v_add_f64 v[1:2], v[1:2], v[14:15]
	s_and_not1_b32 exec_lo, exec_lo, s3
	s_cbranch_execnz .LBB126_257
; %bb.258:
	s_or_b32 exec_lo, exec_lo, s3
	v_mov_b32_e32 v7, 0
	ds_load_b128 v[7:10], v7 offset:928
	s_waitcnt lgkmcnt(0)
	v_mul_f64 v[11:12], v[1:2], v[9:10]
	v_mul_f64 v[14:15], v[3:4], v[9:10]
	s_delay_alu instid0(VALU_DEP_2) | instskip(NEXT) | instid1(VALU_DEP_2)
	v_fma_f64 v[9:10], v[3:4], v[7:8], -v[11:12]
	v_fma_f64 v[11:12], v[1:2], v[7:8], v[14:15]
	scratch_store_b128 off, v[9:12], off offset:928
.LBB126_259:
	s_or_b32 exec_lo, exec_lo, s2
	s_waitcnt_vscnt null, 0x0
	s_barrier
	buffer_gl0_inv
	scratch_load_b128 v[1:4], v25, off
	s_mov_b32 s2, exec_lo
	s_waitcnt vmcnt(0)
	ds_store_b128 v5, v[1:4]
	s_waitcnt lgkmcnt(0)
	s_barrier
	buffer_gl0_inv
	v_cmpx_gt_u32_e32 59, v179
	s_cbranch_execz .LBB126_263
; %bb.260:
	v_dual_mov_b32 v1, 0 :: v_dual_add_nc_u32 v8, 0x3f0, v239
	v_dual_mov_b32 v2, 0 :: v_dual_add_nc_u32 v7, -1, v179
	v_or_b32_e32 v9, 8, v13
	s_mov_b32 s3, 0
	s_delay_alu instid0(VALU_DEP_2)
	v_dual_mov_b32 v4, v2 :: v_dual_mov_b32 v3, v1
	.p2align	6
.LBB126_261:                            ; =>This Inner Loop Header: Depth=1
	scratch_load_b128 v[14:17], v9, off offset:-8
	ds_load_b128 v[18:21], v8
	v_add_nc_u32_e32 v7, 1, v7
	v_add_nc_u32_e32 v8, 16, v8
	;; [unrolled: 1-line block ×3, first 2 shown]
	s_delay_alu instid0(VALU_DEP_3) | instskip(SKIP_4) | instid1(VALU_DEP_2)
	v_cmp_lt_u32_e32 vcc_lo, 57, v7
	s_or_b32 s3, vcc_lo, s3
	s_waitcnt vmcnt(0) lgkmcnt(0)
	v_mul_f64 v[10:11], v[20:21], v[16:17]
	v_mul_f64 v[16:17], v[18:19], v[16:17]
	v_fma_f64 v[10:11], v[18:19], v[14:15], -v[10:11]
	s_delay_alu instid0(VALU_DEP_2) | instskip(NEXT) | instid1(VALU_DEP_2)
	v_fma_f64 v[14:15], v[20:21], v[14:15], v[16:17]
	v_add_f64 v[3:4], v[3:4], v[10:11]
	s_delay_alu instid0(VALU_DEP_2)
	v_add_f64 v[1:2], v[1:2], v[14:15]
	s_and_not1_b32 exec_lo, exec_lo, s3
	s_cbranch_execnz .LBB126_261
; %bb.262:
	s_or_b32 exec_lo, exec_lo, s3
	v_mov_b32_e32 v7, 0
	ds_load_b128 v[7:10], v7 offset:944
	s_waitcnt lgkmcnt(0)
	v_mul_f64 v[11:12], v[1:2], v[9:10]
	v_mul_f64 v[14:15], v[3:4], v[9:10]
	s_delay_alu instid0(VALU_DEP_2) | instskip(NEXT) | instid1(VALU_DEP_2)
	v_fma_f64 v[9:10], v[3:4], v[7:8], -v[11:12]
	v_fma_f64 v[11:12], v[1:2], v[7:8], v[14:15]
	scratch_store_b128 off, v[9:12], off offset:944
.LBB126_263:
	s_or_b32 exec_lo, exec_lo, s2
	s_waitcnt_vscnt null, 0x0
	s_barrier
	buffer_gl0_inv
	scratch_load_b128 v[1:4], v24, off
	s_mov_b32 s2, exec_lo
	s_waitcnt vmcnt(0)
	ds_store_b128 v5, v[1:4]
	s_waitcnt lgkmcnt(0)
	s_barrier
	buffer_gl0_inv
	v_cmpx_gt_u32_e32 60, v179
	s_cbranch_execz .LBB126_267
; %bb.264:
	v_dual_mov_b32 v1, 0 :: v_dual_add_nc_u32 v8, 0x3f0, v239
	v_dual_mov_b32 v2, 0 :: v_dual_add_nc_u32 v7, -1, v179
	v_or_b32_e32 v9, 8, v13
	s_mov_b32 s3, 0
	s_delay_alu instid0(VALU_DEP_2)
	v_dual_mov_b32 v4, v2 :: v_dual_mov_b32 v3, v1
	.p2align	6
.LBB126_265:                            ; =>This Inner Loop Header: Depth=1
	scratch_load_b128 v[14:17], v9, off offset:-8
	ds_load_b128 v[18:21], v8
	v_add_nc_u32_e32 v7, 1, v7
	v_add_nc_u32_e32 v8, 16, v8
	;; [unrolled: 1-line block ×3, first 2 shown]
	s_delay_alu instid0(VALU_DEP_3) | instskip(SKIP_4) | instid1(VALU_DEP_2)
	v_cmp_lt_u32_e32 vcc_lo, 58, v7
	s_or_b32 s3, vcc_lo, s3
	s_waitcnt vmcnt(0) lgkmcnt(0)
	v_mul_f64 v[10:11], v[20:21], v[16:17]
	v_mul_f64 v[16:17], v[18:19], v[16:17]
	v_fma_f64 v[10:11], v[18:19], v[14:15], -v[10:11]
	s_delay_alu instid0(VALU_DEP_2) | instskip(NEXT) | instid1(VALU_DEP_2)
	v_fma_f64 v[14:15], v[20:21], v[14:15], v[16:17]
	v_add_f64 v[3:4], v[3:4], v[10:11]
	s_delay_alu instid0(VALU_DEP_2)
	v_add_f64 v[1:2], v[1:2], v[14:15]
	s_and_not1_b32 exec_lo, exec_lo, s3
	s_cbranch_execnz .LBB126_265
; %bb.266:
	s_or_b32 exec_lo, exec_lo, s3
	v_mov_b32_e32 v7, 0
	ds_load_b128 v[7:10], v7 offset:960
	s_waitcnt lgkmcnt(0)
	v_mul_f64 v[11:12], v[1:2], v[9:10]
	v_mul_f64 v[14:15], v[3:4], v[9:10]
	s_delay_alu instid0(VALU_DEP_2) | instskip(NEXT) | instid1(VALU_DEP_2)
	v_fma_f64 v[9:10], v[3:4], v[7:8], -v[11:12]
	v_fma_f64 v[11:12], v[1:2], v[7:8], v[14:15]
	scratch_store_b128 off, v[9:12], off offset:960
.LBB126_267:
	s_or_b32 exec_lo, exec_lo, s2
	s_waitcnt_vscnt null, 0x0
	s_barrier
	buffer_gl0_inv
	scratch_load_b128 v[1:4], v23, off
	s_mov_b32 s2, exec_lo
	s_waitcnt vmcnt(0)
	ds_store_b128 v5, v[1:4]
	s_waitcnt lgkmcnt(0)
	s_barrier
	buffer_gl0_inv
	v_cmpx_gt_u32_e32 61, v179
	s_cbranch_execz .LBB126_271
; %bb.268:
	v_dual_mov_b32 v1, 0 :: v_dual_add_nc_u32 v8, 0x3f0, v239
	v_dual_mov_b32 v2, 0 :: v_dual_add_nc_u32 v7, -1, v179
	v_or_b32_e32 v9, 8, v13
	s_mov_b32 s3, 0
	s_delay_alu instid0(VALU_DEP_2)
	v_dual_mov_b32 v4, v2 :: v_dual_mov_b32 v3, v1
	.p2align	6
.LBB126_269:                            ; =>This Inner Loop Header: Depth=1
	scratch_load_b128 v[14:17], v9, off offset:-8
	ds_load_b128 v[18:21], v8
	v_add_nc_u32_e32 v7, 1, v7
	v_add_nc_u32_e32 v8, 16, v8
	;; [unrolled: 1-line block ×3, first 2 shown]
	s_delay_alu instid0(VALU_DEP_3) | instskip(SKIP_4) | instid1(VALU_DEP_2)
	v_cmp_lt_u32_e32 vcc_lo, 59, v7
	s_or_b32 s3, vcc_lo, s3
	s_waitcnt vmcnt(0) lgkmcnt(0)
	v_mul_f64 v[10:11], v[20:21], v[16:17]
	v_mul_f64 v[16:17], v[18:19], v[16:17]
	v_fma_f64 v[10:11], v[18:19], v[14:15], -v[10:11]
	s_delay_alu instid0(VALU_DEP_2) | instskip(NEXT) | instid1(VALU_DEP_2)
	v_fma_f64 v[14:15], v[20:21], v[14:15], v[16:17]
	v_add_f64 v[3:4], v[3:4], v[10:11]
	s_delay_alu instid0(VALU_DEP_2)
	v_add_f64 v[1:2], v[1:2], v[14:15]
	s_and_not1_b32 exec_lo, exec_lo, s3
	s_cbranch_execnz .LBB126_269
; %bb.270:
	s_or_b32 exec_lo, exec_lo, s3
	v_mov_b32_e32 v7, 0
	ds_load_b128 v[7:10], v7 offset:976
	s_waitcnt lgkmcnt(0)
	v_mul_f64 v[11:12], v[1:2], v[9:10]
	v_mul_f64 v[14:15], v[3:4], v[9:10]
	s_delay_alu instid0(VALU_DEP_2) | instskip(NEXT) | instid1(VALU_DEP_2)
	v_fma_f64 v[9:10], v[3:4], v[7:8], -v[11:12]
	v_fma_f64 v[11:12], v[1:2], v[7:8], v[14:15]
	scratch_store_b128 off, v[9:12], off offset:976
.LBB126_271:
	s_or_b32 exec_lo, exec_lo, s2
	s_waitcnt_vscnt null, 0x0
	s_barrier
	buffer_gl0_inv
	scratch_load_b128 v[1:4], v22, off
	s_mov_b32 s2, exec_lo
	s_waitcnt vmcnt(0)
	ds_store_b128 v5, v[1:4]
	s_waitcnt lgkmcnt(0)
	s_barrier
	buffer_gl0_inv
	v_cmpx_ne_u32_e32 62, v179
	s_cbranch_execz .LBB126_275
; %bb.272:
	v_mov_b32_e32 v1, 0
	v_mov_b32_e32 v2, 0
	v_or_b32_e32 v7, 8, v13
	s_mov_b32 s3, 0
	s_delay_alu instid0(VALU_DEP_2)
	v_dual_mov_b32 v4, v2 :: v_dual_mov_b32 v3, v1
	.p2align	6
.LBB126_273:                            ; =>This Inner Loop Header: Depth=1
	scratch_load_b128 v[8:11], v7, off offset:-8
	ds_load_b128 v[12:15], v5
	v_add_nc_u32_e32 v6, 1, v6
	v_add_nc_u32_e32 v5, 16, v5
	;; [unrolled: 1-line block ×3, first 2 shown]
	s_delay_alu instid0(VALU_DEP_3) | instskip(SKIP_4) | instid1(VALU_DEP_2)
	v_cmp_lt_u32_e32 vcc_lo, 60, v6
	s_or_b32 s3, vcc_lo, s3
	s_waitcnt vmcnt(0) lgkmcnt(0)
	v_mul_f64 v[16:17], v[14:15], v[10:11]
	v_mul_f64 v[10:11], v[12:13], v[10:11]
	v_fma_f64 v[12:13], v[12:13], v[8:9], -v[16:17]
	s_delay_alu instid0(VALU_DEP_2) | instskip(NEXT) | instid1(VALU_DEP_2)
	v_fma_f64 v[8:9], v[14:15], v[8:9], v[10:11]
	v_add_f64 v[3:4], v[3:4], v[12:13]
	s_delay_alu instid0(VALU_DEP_2)
	v_add_f64 v[1:2], v[1:2], v[8:9]
	s_and_not1_b32 exec_lo, exec_lo, s3
	s_cbranch_execnz .LBB126_273
; %bb.274:
	s_or_b32 exec_lo, exec_lo, s3
	v_mov_b32_e32 v5, 0
	ds_load_b128 v[5:8], v5 offset:992
	s_waitcnt lgkmcnt(0)
	v_mul_f64 v[9:10], v[1:2], v[7:8]
	v_mul_f64 v[7:8], v[3:4], v[7:8]
	s_delay_alu instid0(VALU_DEP_2) | instskip(NEXT) | instid1(VALU_DEP_2)
	v_fma_f64 v[3:4], v[3:4], v[5:6], -v[9:10]
	v_fma_f64 v[5:6], v[1:2], v[5:6], v[7:8]
	scratch_store_b128 off, v[3:6], off offset:992
.LBB126_275:
	s_or_b32 exec_lo, exec_lo, s2
	s_mov_b32 s3, -1
	s_waitcnt_vscnt null, 0x0
	s_barrier
	buffer_gl0_inv
.LBB126_276:
	s_and_b32 vcc_lo, exec_lo, s3
	s_cbranch_vccz .LBB126_278
; %bb.277:
	s_lshl_b64 s[2:3], s[10:11], 2
	v_mov_b32_e32 v1, 0
	s_add_u32 s2, s6, s2
	s_addc_u32 s3, s7, s3
	global_load_b32 v1, v1, s[2:3]
	s_waitcnt vmcnt(0)
	v_cmp_ne_u32_e32 vcc_lo, 0, v1
	s_cbranch_vccz .LBB126_279
.LBB126_278:
	s_endpgm
.LBB126_279:
	v_lshl_add_u32 v244, v179, 4, 0x3f0
	s_mov_b32 s2, exec_lo
	s_clause 0x1f
	scratch_store_b32 off, v74, off offset:1504
	scratch_store_b32 off, v73, off offset:1500
	;; [unrolled: 1-line block ×32, first 2 shown]
	s_clause 0x8
	scratch_store_b32 off, v42, off offset:1376
	scratch_store_b32 off, v41, off offset:1372
	;; [unrolled: 1-line block ×9, first 2 shown]
	v_cmpx_eq_u32_e32 62, v179
	s_cbranch_execz .LBB126_281
; %bb.280:
	scratch_load_b32 v1, off, off offset:1348 ; 4-byte Folded Reload
	v_mov_b32_e32 v5, 0
	s_delay_alu instid0(VALU_DEP_1)
	v_mov_b32_e32 v6, v5
	v_mov_b32_e32 v7, v5
	;; [unrolled: 1-line block ×3, first 2 shown]
	s_waitcnt vmcnt(0)
	scratch_load_b128 v[1:4], v1, off
	scratch_store_b128 off, v[5:8], off offset:976
	s_waitcnt vmcnt(0)
	ds_store_b128 v244, v[1:4]
.LBB126_281:
	s_or_b32 exec_lo, exec_lo, s2
	s_waitcnt lgkmcnt(0)
	s_waitcnt_vscnt null, 0x0
	s_barrier
	buffer_gl0_inv
	s_clause 0x1
	scratch_load_b128 v[2:5], off, off offset:992
	scratch_load_b128 v[6:9], off, off offset:976
	v_mov_b32_e32 v1, 0
	s_mov_b32 s2, exec_lo
	ds_load_b128 v[10:13], v1 offset:2000
	s_waitcnt vmcnt(1) lgkmcnt(0)
	v_mul_f64 v[14:15], v[12:13], v[4:5]
	v_mul_f64 v[4:5], v[10:11], v[4:5]
	s_delay_alu instid0(VALU_DEP_2) | instskip(NEXT) | instid1(VALU_DEP_2)
	v_fma_f64 v[10:11], v[10:11], v[2:3], -v[14:15]
	v_fma_f64 v[2:3], v[12:13], v[2:3], v[4:5]
	s_delay_alu instid0(VALU_DEP_2) | instskip(NEXT) | instid1(VALU_DEP_2)
	v_add_f64 v[4:5], v[10:11], 0
	v_add_f64 v[10:11], v[2:3], 0
	s_waitcnt vmcnt(0)
	s_delay_alu instid0(VALU_DEP_2) | instskip(NEXT) | instid1(VALU_DEP_2)
	v_add_f64 v[2:3], v[6:7], -v[4:5]
	v_add_f64 v[4:5], v[8:9], -v[10:11]
	scratch_store_b128 off, v[2:5], off offset:976
	v_cmpx_lt_u32_e32 60, v179
	s_cbranch_execz .LBB126_283
; %bb.282:
	scratch_load_b32 v2, off, off offset:1352 ; 4-byte Folded Reload
	v_mov_b32_e32 v3, v1
	v_mov_b32_e32 v4, v1
	s_waitcnt vmcnt(0)
	scratch_load_b128 v[5:8], v2, off
	v_mov_b32_e32 v2, v1
	scratch_store_b128 off, v[1:4], off offset:960
	s_waitcnt vmcnt(0)
	ds_store_b128 v244, v[5:8]
.LBB126_283:
	s_or_b32 exec_lo, exec_lo, s2
	s_waitcnt lgkmcnt(0)
	s_waitcnt_vscnt null, 0x0
	s_barrier
	buffer_gl0_inv
	s_clause 0x2
	scratch_load_b128 v[2:5], off, off offset:976
	scratch_load_b128 v[6:9], off, off offset:992
	;; [unrolled: 1-line block ×3, first 2 shown]
	ds_load_b128 v[14:17], v1 offset:1984
	ds_load_b128 v[18:21], v1 offset:2000
	s_mov_b32 s2, exec_lo
	s_waitcnt vmcnt(2) lgkmcnt(1)
	v_mul_f64 v[22:23], v[16:17], v[4:5]
	v_mul_f64 v[4:5], v[14:15], v[4:5]
	s_waitcnt vmcnt(1) lgkmcnt(0)
	v_mul_f64 v[24:25], v[18:19], v[8:9]
	v_mul_f64 v[8:9], v[20:21], v[8:9]
	s_delay_alu instid0(VALU_DEP_4) | instskip(NEXT) | instid1(VALU_DEP_4)
	v_fma_f64 v[14:15], v[14:15], v[2:3], -v[22:23]
	v_fma_f64 v[1:2], v[16:17], v[2:3], v[4:5]
	s_delay_alu instid0(VALU_DEP_4) | instskip(NEXT) | instid1(VALU_DEP_4)
	v_fma_f64 v[3:4], v[20:21], v[6:7], v[24:25]
	v_fma_f64 v[5:6], v[18:19], v[6:7], -v[8:9]
	s_delay_alu instid0(VALU_DEP_4) | instskip(NEXT) | instid1(VALU_DEP_4)
	v_add_f64 v[7:8], v[14:15], 0
	v_add_f64 v[1:2], v[1:2], 0
	s_delay_alu instid0(VALU_DEP_2) | instskip(NEXT) | instid1(VALU_DEP_2)
	v_add_f64 v[5:6], v[7:8], v[5:6]
	v_add_f64 v[3:4], v[1:2], v[3:4]
	s_waitcnt vmcnt(0)
	s_delay_alu instid0(VALU_DEP_2) | instskip(NEXT) | instid1(VALU_DEP_2)
	v_add_f64 v[1:2], v[10:11], -v[5:6]
	v_add_f64 v[3:4], v[12:13], -v[3:4]
	scratch_store_b128 off, v[1:4], off offset:960
	v_cmpx_lt_u32_e32 59, v179
	s_cbranch_execz .LBB126_285
; %bb.284:
	scratch_load_b32 v1, off, off offset:1356 ; 4-byte Folded Reload
	v_mov_b32_e32 v5, 0
	s_delay_alu instid0(VALU_DEP_1)
	v_mov_b32_e32 v6, v5
	v_mov_b32_e32 v7, v5
	;; [unrolled: 1-line block ×3, first 2 shown]
	s_waitcnt vmcnt(0)
	scratch_load_b128 v[1:4], v1, off
	scratch_store_b128 off, v[5:8], off offset:944
	s_waitcnt vmcnt(0)
	ds_store_b128 v244, v[1:4]
.LBB126_285:
	s_or_b32 exec_lo, exec_lo, s2
	s_waitcnt lgkmcnt(0)
	s_waitcnt_vscnt null, 0x0
	s_barrier
	buffer_gl0_inv
	s_clause 0x3
	scratch_load_b128 v[2:5], off, off offset:960
	scratch_load_b128 v[6:9], off, off offset:976
	;; [unrolled: 1-line block ×4, first 2 shown]
	v_mov_b32_e32 v1, 0
	ds_load_b128 v[18:21], v1 offset:1968
	ds_load_b128 v[22:25], v1 offset:1984
	s_mov_b32 s2, exec_lo
	s_waitcnt vmcnt(3) lgkmcnt(1)
	v_mul_f64 v[26:27], v[20:21], v[4:5]
	v_mul_f64 v[4:5], v[18:19], v[4:5]
	s_waitcnt vmcnt(2) lgkmcnt(0)
	v_mul_f64 v[28:29], v[22:23], v[8:9]
	v_mul_f64 v[8:9], v[24:25], v[8:9]
	s_delay_alu instid0(VALU_DEP_4) | instskip(NEXT) | instid1(VALU_DEP_4)
	v_fma_f64 v[18:19], v[18:19], v[2:3], -v[26:27]
	v_fma_f64 v[20:21], v[20:21], v[2:3], v[4:5]
	ds_load_b128 v[2:5], v1 offset:2000
	v_fma_f64 v[24:25], v[24:25], v[6:7], v[28:29]
	v_fma_f64 v[6:7], v[22:23], v[6:7], -v[8:9]
	s_waitcnt vmcnt(1) lgkmcnt(0)
	v_mul_f64 v[26:27], v[2:3], v[12:13]
	v_mul_f64 v[12:13], v[4:5], v[12:13]
	v_add_f64 v[8:9], v[18:19], 0
	v_add_f64 v[18:19], v[20:21], 0
	s_delay_alu instid0(VALU_DEP_4) | instskip(NEXT) | instid1(VALU_DEP_4)
	v_fma_f64 v[4:5], v[4:5], v[10:11], v[26:27]
	v_fma_f64 v[2:3], v[2:3], v[10:11], -v[12:13]
	s_delay_alu instid0(VALU_DEP_4) | instskip(NEXT) | instid1(VALU_DEP_4)
	v_add_f64 v[6:7], v[8:9], v[6:7]
	v_add_f64 v[8:9], v[18:19], v[24:25]
	s_delay_alu instid0(VALU_DEP_2) | instskip(NEXT) | instid1(VALU_DEP_2)
	v_add_f64 v[2:3], v[6:7], v[2:3]
	v_add_f64 v[4:5], v[8:9], v[4:5]
	s_waitcnt vmcnt(0)
	s_delay_alu instid0(VALU_DEP_2) | instskip(NEXT) | instid1(VALU_DEP_2)
	v_add_f64 v[2:3], v[14:15], -v[2:3]
	v_add_f64 v[4:5], v[16:17], -v[4:5]
	scratch_store_b128 off, v[2:5], off offset:944
	v_cmpx_lt_u32_e32 58, v179
	s_cbranch_execz .LBB126_287
; %bb.286:
	scratch_load_b32 v2, off, off offset:1360 ; 4-byte Folded Reload
	v_mov_b32_e32 v3, v1
	v_mov_b32_e32 v4, v1
	s_waitcnt vmcnt(0)
	scratch_load_b128 v[5:8], v2, off
	v_mov_b32_e32 v2, v1
	scratch_store_b128 off, v[1:4], off offset:928
	s_waitcnt vmcnt(0)
	ds_store_b128 v244, v[5:8]
.LBB126_287:
	s_or_b32 exec_lo, exec_lo, s2
	s_waitcnt lgkmcnt(0)
	s_waitcnt_vscnt null, 0x0
	s_barrier
	buffer_gl0_inv
	s_clause 0x4
	scratch_load_b128 v[2:5], off, off offset:944
	scratch_load_b128 v[6:9], off, off offset:960
	;; [unrolled: 1-line block ×5, first 2 shown]
	ds_load_b128 v[22:25], v1 offset:1952
	ds_load_b128 v[26:29], v1 offset:1968
	s_mov_b32 s2, exec_lo
	s_waitcnt vmcnt(4) lgkmcnt(1)
	v_mul_f64 v[30:31], v[24:25], v[4:5]
	v_mul_f64 v[4:5], v[22:23], v[4:5]
	s_waitcnt vmcnt(3) lgkmcnt(0)
	v_mul_f64 v[32:33], v[26:27], v[8:9]
	v_mul_f64 v[8:9], v[28:29], v[8:9]
	s_delay_alu instid0(VALU_DEP_4) | instskip(NEXT) | instid1(VALU_DEP_4)
	v_fma_f64 v[30:31], v[22:23], v[2:3], -v[30:31]
	v_fma_f64 v[34:35], v[24:25], v[2:3], v[4:5]
	ds_load_b128 v[2:5], v1 offset:1984
	ds_load_b128 v[22:25], v1 offset:2000
	v_fma_f64 v[28:29], v[28:29], v[6:7], v[32:33]
	v_fma_f64 v[6:7], v[26:27], v[6:7], -v[8:9]
	s_waitcnt vmcnt(2) lgkmcnt(1)
	v_mul_f64 v[36:37], v[2:3], v[12:13]
	v_mul_f64 v[12:13], v[4:5], v[12:13]
	v_add_f64 v[8:9], v[30:31], 0
	v_add_f64 v[26:27], v[34:35], 0
	s_waitcnt vmcnt(1) lgkmcnt(0)
	v_mul_f64 v[30:31], v[22:23], v[16:17]
	v_mul_f64 v[16:17], v[24:25], v[16:17]
	v_fma_f64 v[4:5], v[4:5], v[10:11], v[36:37]
	v_fma_f64 v[1:2], v[2:3], v[10:11], -v[12:13]
	v_add_f64 v[6:7], v[8:9], v[6:7]
	v_add_f64 v[8:9], v[26:27], v[28:29]
	v_fma_f64 v[10:11], v[24:25], v[14:15], v[30:31]
	v_fma_f64 v[12:13], v[22:23], v[14:15], -v[16:17]
	s_delay_alu instid0(VALU_DEP_4) | instskip(NEXT) | instid1(VALU_DEP_4)
	v_add_f64 v[1:2], v[6:7], v[1:2]
	v_add_f64 v[3:4], v[8:9], v[4:5]
	s_delay_alu instid0(VALU_DEP_2) | instskip(NEXT) | instid1(VALU_DEP_2)
	v_add_f64 v[1:2], v[1:2], v[12:13]
	v_add_f64 v[3:4], v[3:4], v[10:11]
	s_waitcnt vmcnt(0)
	s_delay_alu instid0(VALU_DEP_2) | instskip(NEXT) | instid1(VALU_DEP_2)
	v_add_f64 v[1:2], v[18:19], -v[1:2]
	v_add_f64 v[3:4], v[20:21], -v[3:4]
	scratch_store_b128 off, v[1:4], off offset:928
	v_cmpx_lt_u32_e32 57, v179
	s_cbranch_execz .LBB126_289
; %bb.288:
	scratch_load_b32 v1, off, off offset:1364 ; 4-byte Folded Reload
	v_mov_b32_e32 v5, 0
	s_delay_alu instid0(VALU_DEP_1)
	v_mov_b32_e32 v6, v5
	v_mov_b32_e32 v7, v5
	v_mov_b32_e32 v8, v5
	s_waitcnt vmcnt(0)
	scratch_load_b128 v[1:4], v1, off
	scratch_store_b128 off, v[5:8], off offset:912
	s_waitcnt vmcnt(0)
	ds_store_b128 v244, v[1:4]
.LBB126_289:
	s_or_b32 exec_lo, exec_lo, s2
	s_waitcnt lgkmcnt(0)
	s_waitcnt_vscnt null, 0x0
	s_barrier
	buffer_gl0_inv
	s_clause 0x5
	scratch_load_b128 v[2:5], off, off offset:928
	scratch_load_b128 v[6:9], off, off offset:944
	;; [unrolled: 1-line block ×6, first 2 shown]
	v_mov_b32_e32 v1, 0
	ds_load_b128 v[26:29], v1 offset:1936
	ds_load_b128 v[30:33], v1 offset:1952
	s_mov_b32 s2, exec_lo
	s_waitcnt vmcnt(5) lgkmcnt(1)
	v_mul_f64 v[34:35], v[28:29], v[4:5]
	v_mul_f64 v[4:5], v[26:27], v[4:5]
	s_waitcnt vmcnt(4) lgkmcnt(0)
	v_mul_f64 v[36:37], v[30:31], v[8:9]
	v_mul_f64 v[8:9], v[32:33], v[8:9]
	s_delay_alu instid0(VALU_DEP_4) | instskip(NEXT) | instid1(VALU_DEP_4)
	v_fma_f64 v[34:35], v[26:27], v[2:3], -v[34:35]
	v_fma_f64 v[38:39], v[28:29], v[2:3], v[4:5]
	ds_load_b128 v[2:5], v1 offset:1968
	ds_load_b128 v[26:29], v1 offset:1984
	v_fma_f64 v[32:33], v[32:33], v[6:7], v[36:37]
	v_fma_f64 v[6:7], v[30:31], v[6:7], -v[8:9]
	s_waitcnt vmcnt(3) lgkmcnt(1)
	v_mul_f64 v[40:41], v[2:3], v[12:13]
	v_mul_f64 v[12:13], v[4:5], v[12:13]
	v_add_f64 v[8:9], v[34:35], 0
	v_add_f64 v[30:31], v[38:39], 0
	s_waitcnt vmcnt(2) lgkmcnt(0)
	v_mul_f64 v[34:35], v[26:27], v[16:17]
	v_mul_f64 v[16:17], v[28:29], v[16:17]
	v_fma_f64 v[36:37], v[4:5], v[10:11], v[40:41]
	v_fma_f64 v[10:11], v[2:3], v[10:11], -v[12:13]
	ds_load_b128 v[2:5], v1 offset:2000
	v_add_f64 v[6:7], v[8:9], v[6:7]
	v_add_f64 v[8:9], v[30:31], v[32:33]
	v_fma_f64 v[28:29], v[28:29], v[14:15], v[34:35]
	v_fma_f64 v[14:15], v[26:27], v[14:15], -v[16:17]
	s_waitcnt vmcnt(1) lgkmcnt(0)
	v_mul_f64 v[12:13], v[2:3], v[20:21]
	v_mul_f64 v[20:21], v[4:5], v[20:21]
	v_add_f64 v[6:7], v[6:7], v[10:11]
	v_add_f64 v[8:9], v[8:9], v[36:37]
	s_delay_alu instid0(VALU_DEP_4) | instskip(NEXT) | instid1(VALU_DEP_4)
	v_fma_f64 v[4:5], v[4:5], v[18:19], v[12:13]
	v_fma_f64 v[2:3], v[2:3], v[18:19], -v[20:21]
	s_delay_alu instid0(VALU_DEP_4) | instskip(NEXT) | instid1(VALU_DEP_4)
	v_add_f64 v[6:7], v[6:7], v[14:15]
	v_add_f64 v[8:9], v[8:9], v[28:29]
	s_delay_alu instid0(VALU_DEP_2) | instskip(NEXT) | instid1(VALU_DEP_2)
	v_add_f64 v[2:3], v[6:7], v[2:3]
	v_add_f64 v[4:5], v[8:9], v[4:5]
	s_waitcnt vmcnt(0)
	s_delay_alu instid0(VALU_DEP_2) | instskip(NEXT) | instid1(VALU_DEP_2)
	v_add_f64 v[2:3], v[22:23], -v[2:3]
	v_add_f64 v[4:5], v[24:25], -v[4:5]
	scratch_store_b128 off, v[2:5], off offset:912
	v_cmpx_lt_u32_e32 56, v179
	s_cbranch_execz .LBB126_291
; %bb.290:
	scratch_load_b32 v2, off, off offset:1368 ; 4-byte Folded Reload
	v_mov_b32_e32 v3, v1
	v_mov_b32_e32 v4, v1
	s_waitcnt vmcnt(0)
	scratch_load_b128 v[5:8], v2, off
	v_mov_b32_e32 v2, v1
	scratch_store_b128 off, v[1:4], off offset:896
	s_waitcnt vmcnt(0)
	ds_store_b128 v244, v[5:8]
.LBB126_291:
	s_or_b32 exec_lo, exec_lo, s2
	s_waitcnt lgkmcnt(0)
	s_waitcnt_vscnt null, 0x0
	s_barrier
	buffer_gl0_inv
	s_clause 0x5
	scratch_load_b128 v[2:5], off, off offset:912
	scratch_load_b128 v[6:9], off, off offset:928
	;; [unrolled: 1-line block ×6, first 2 shown]
	ds_load_b128 v[26:29], v1 offset:1920
	ds_load_b128 v[34:37], v1 offset:1936
	scratch_load_b128 v[30:33], off, off offset:896
	s_mov_b32 s2, exec_lo
	s_waitcnt vmcnt(6) lgkmcnt(1)
	v_mul_f64 v[38:39], v[28:29], v[4:5]
	v_mul_f64 v[4:5], v[26:27], v[4:5]
	s_waitcnt vmcnt(5) lgkmcnt(0)
	v_mul_f64 v[40:41], v[34:35], v[8:9]
	v_mul_f64 v[8:9], v[36:37], v[8:9]
	s_delay_alu instid0(VALU_DEP_4) | instskip(NEXT) | instid1(VALU_DEP_4)
	v_fma_f64 v[38:39], v[26:27], v[2:3], -v[38:39]
	v_fma_f64 v[42:43], v[28:29], v[2:3], v[4:5]
	ds_load_b128 v[2:5], v1 offset:1952
	ds_load_b128 v[26:29], v1 offset:1968
	v_fma_f64 v[36:37], v[36:37], v[6:7], v[40:41]
	v_fma_f64 v[6:7], v[34:35], v[6:7], -v[8:9]
	s_waitcnt vmcnt(4) lgkmcnt(1)
	v_mul_f64 v[44:45], v[2:3], v[12:13]
	v_mul_f64 v[12:13], v[4:5], v[12:13]
	v_add_f64 v[8:9], v[38:39], 0
	v_add_f64 v[34:35], v[42:43], 0
	s_waitcnt vmcnt(3) lgkmcnt(0)
	v_mul_f64 v[38:39], v[26:27], v[16:17]
	v_mul_f64 v[16:17], v[28:29], v[16:17]
	v_fma_f64 v[40:41], v[4:5], v[10:11], v[44:45]
	v_fma_f64 v[10:11], v[2:3], v[10:11], -v[12:13]
	v_add_f64 v[12:13], v[8:9], v[6:7]
	v_add_f64 v[34:35], v[34:35], v[36:37]
	ds_load_b128 v[2:5], v1 offset:1984
	ds_load_b128 v[6:9], v1 offset:2000
	v_fma_f64 v[28:29], v[28:29], v[14:15], v[38:39]
	v_fma_f64 v[14:15], v[26:27], v[14:15], -v[16:17]
	s_waitcnt vmcnt(2) lgkmcnt(1)
	v_mul_f64 v[36:37], v[2:3], v[20:21]
	v_mul_f64 v[20:21], v[4:5], v[20:21]
	s_waitcnt vmcnt(1) lgkmcnt(0)
	v_mul_f64 v[16:17], v[6:7], v[24:25]
	v_mul_f64 v[24:25], v[8:9], v[24:25]
	v_add_f64 v[10:11], v[12:13], v[10:11]
	v_add_f64 v[12:13], v[34:35], v[40:41]
	v_fma_f64 v[4:5], v[4:5], v[18:19], v[36:37]
	v_fma_f64 v[1:2], v[2:3], v[18:19], -v[20:21]
	v_fma_f64 v[8:9], v[8:9], v[22:23], v[16:17]
	v_fma_f64 v[6:7], v[6:7], v[22:23], -v[24:25]
	v_add_f64 v[10:11], v[10:11], v[14:15]
	v_add_f64 v[12:13], v[12:13], v[28:29]
	s_delay_alu instid0(VALU_DEP_2) | instskip(NEXT) | instid1(VALU_DEP_2)
	v_add_f64 v[1:2], v[10:11], v[1:2]
	v_add_f64 v[3:4], v[12:13], v[4:5]
	s_delay_alu instid0(VALU_DEP_2) | instskip(NEXT) | instid1(VALU_DEP_2)
	v_add_f64 v[1:2], v[1:2], v[6:7]
	v_add_f64 v[3:4], v[3:4], v[8:9]
	s_waitcnt vmcnt(0)
	s_delay_alu instid0(VALU_DEP_2) | instskip(NEXT) | instid1(VALU_DEP_2)
	v_add_f64 v[1:2], v[30:31], -v[1:2]
	v_add_f64 v[3:4], v[32:33], -v[3:4]
	scratch_store_b128 off, v[1:4], off offset:896
	v_cmpx_lt_u32_e32 55, v179
	s_cbranch_execz .LBB126_293
; %bb.292:
	scratch_load_b32 v1, off, off offset:1372 ; 4-byte Folded Reload
	v_mov_b32_e32 v5, 0
	s_delay_alu instid0(VALU_DEP_1)
	v_mov_b32_e32 v6, v5
	v_mov_b32_e32 v7, v5
	;; [unrolled: 1-line block ×3, first 2 shown]
	s_waitcnt vmcnt(0)
	scratch_load_b128 v[1:4], v1, off
	scratch_store_b128 off, v[5:8], off offset:880
	s_waitcnt vmcnt(0)
	ds_store_b128 v244, v[1:4]
.LBB126_293:
	s_or_b32 exec_lo, exec_lo, s2
	s_waitcnt lgkmcnt(0)
	s_waitcnt_vscnt null, 0x0
	s_barrier
	buffer_gl0_inv
	s_clause 0x6
	scratch_load_b128 v[2:5], off, off offset:896
	scratch_load_b128 v[6:9], off, off offset:912
	;; [unrolled: 1-line block ×7, first 2 shown]
	v_mov_b32_e32 v1, 0
	scratch_load_b128 v[38:41], off, off offset:880
	s_mov_b32 s2, exec_lo
	ds_load_b128 v[30:33], v1 offset:1904
	ds_load_b128 v[34:37], v1 offset:1920
	s_waitcnt vmcnt(7) lgkmcnt(1)
	v_mul_f64 v[42:43], v[32:33], v[4:5]
	v_mul_f64 v[4:5], v[30:31], v[4:5]
	s_waitcnt vmcnt(6) lgkmcnt(0)
	v_mul_f64 v[44:45], v[34:35], v[8:9]
	v_mul_f64 v[8:9], v[36:37], v[8:9]
	s_delay_alu instid0(VALU_DEP_4) | instskip(NEXT) | instid1(VALU_DEP_4)
	v_fma_f64 v[30:31], v[30:31], v[2:3], -v[42:43]
	v_fma_f64 v[32:33], v[32:33], v[2:3], v[4:5]
	ds_load_b128 v[2:5], v1 offset:1936
	v_fma_f64 v[36:37], v[36:37], v[6:7], v[44:45]
	v_fma_f64 v[34:35], v[34:35], v[6:7], -v[8:9]
	ds_load_b128 v[6:9], v1 offset:1952
	s_waitcnt vmcnt(5) lgkmcnt(1)
	v_mul_f64 v[42:43], v[2:3], v[12:13]
	v_mul_f64 v[12:13], v[4:5], v[12:13]
	s_waitcnt vmcnt(4) lgkmcnt(0)
	v_mul_f64 v[44:45], v[6:7], v[16:17]
	v_mul_f64 v[16:17], v[8:9], v[16:17]
	v_add_f64 v[30:31], v[30:31], 0
	v_add_f64 v[32:33], v[32:33], 0
	v_fma_f64 v[42:43], v[4:5], v[10:11], v[42:43]
	v_fma_f64 v[10:11], v[2:3], v[10:11], -v[12:13]
	ds_load_b128 v[2:5], v1 offset:1968
	v_add_f64 v[12:13], v[30:31], v[34:35]
	v_add_f64 v[30:31], v[32:33], v[36:37]
	v_fma_f64 v[34:35], v[8:9], v[14:15], v[44:45]
	v_fma_f64 v[14:15], v[6:7], v[14:15], -v[16:17]
	ds_load_b128 v[6:9], v1 offset:1984
	s_waitcnt vmcnt(3) lgkmcnt(1)
	v_mul_f64 v[32:33], v[2:3], v[20:21]
	v_mul_f64 v[20:21], v[4:5], v[20:21]
	s_waitcnt vmcnt(2) lgkmcnt(0)
	v_mul_f64 v[16:17], v[6:7], v[24:25]
	v_mul_f64 v[24:25], v[8:9], v[24:25]
	v_add_f64 v[10:11], v[12:13], v[10:11]
	v_add_f64 v[12:13], v[30:31], v[42:43]
	v_fma_f64 v[30:31], v[4:5], v[18:19], v[32:33]
	v_fma_f64 v[18:19], v[2:3], v[18:19], -v[20:21]
	ds_load_b128 v[2:5], v1 offset:2000
	v_fma_f64 v[8:9], v[8:9], v[22:23], v[16:17]
	v_fma_f64 v[6:7], v[6:7], v[22:23], -v[24:25]
	s_waitcnt vmcnt(1) lgkmcnt(0)
	v_mul_f64 v[20:21], v[4:5], v[28:29]
	v_add_f64 v[10:11], v[10:11], v[14:15]
	v_add_f64 v[12:13], v[12:13], v[34:35]
	v_mul_f64 v[14:15], v[2:3], v[28:29]
	s_delay_alu instid0(VALU_DEP_4) | instskip(NEXT) | instid1(VALU_DEP_4)
	v_fma_f64 v[2:3], v[2:3], v[26:27], -v[20:21]
	v_add_f64 v[10:11], v[10:11], v[18:19]
	s_delay_alu instid0(VALU_DEP_4) | instskip(NEXT) | instid1(VALU_DEP_4)
	v_add_f64 v[12:13], v[12:13], v[30:31]
	v_fma_f64 v[4:5], v[4:5], v[26:27], v[14:15]
	s_delay_alu instid0(VALU_DEP_3) | instskip(NEXT) | instid1(VALU_DEP_3)
	v_add_f64 v[6:7], v[10:11], v[6:7]
	v_add_f64 v[8:9], v[12:13], v[8:9]
	s_delay_alu instid0(VALU_DEP_2) | instskip(NEXT) | instid1(VALU_DEP_2)
	v_add_f64 v[2:3], v[6:7], v[2:3]
	v_add_f64 v[4:5], v[8:9], v[4:5]
	s_waitcnt vmcnt(0)
	s_delay_alu instid0(VALU_DEP_2) | instskip(NEXT) | instid1(VALU_DEP_2)
	v_add_f64 v[2:3], v[38:39], -v[2:3]
	v_add_f64 v[4:5], v[40:41], -v[4:5]
	scratch_store_b128 off, v[2:5], off offset:880
	v_cmpx_lt_u32_e32 54, v179
	s_cbranch_execz .LBB126_295
; %bb.294:
	scratch_load_b32 v2, off, off offset:1376 ; 4-byte Folded Reload
	v_mov_b32_e32 v3, v1
	v_mov_b32_e32 v4, v1
	s_waitcnt vmcnt(0)
	scratch_load_b128 v[5:8], v2, off
	v_mov_b32_e32 v2, v1
	scratch_store_b128 off, v[1:4], off offset:864
	s_waitcnt vmcnt(0)
	ds_store_b128 v244, v[5:8]
.LBB126_295:
	s_or_b32 exec_lo, exec_lo, s2
	s_waitcnt lgkmcnt(0)
	s_waitcnt_vscnt null, 0x0
	s_barrier
	buffer_gl0_inv
	s_clause 0x7
	scratch_load_b128 v[2:5], off, off offset:880
	scratch_load_b128 v[6:9], off, off offset:896
	;; [unrolled: 1-line block ×8, first 2 shown]
	ds_load_b128 v[34:37], v1 offset:1888
	ds_load_b128 v[38:41], v1 offset:1904
	s_mov_b32 s2, exec_lo
	s_waitcnt vmcnt(7) lgkmcnt(1)
	v_mul_f64 v[42:43], v[36:37], v[4:5]
	v_mul_f64 v[4:5], v[34:35], v[4:5]
	s_waitcnt vmcnt(6) lgkmcnt(0)
	v_mul_f64 v[44:45], v[38:39], v[8:9]
	v_mul_f64 v[8:9], v[40:41], v[8:9]
	s_delay_alu instid0(VALU_DEP_4) | instskip(NEXT) | instid1(VALU_DEP_4)
	v_fma_f64 v[42:43], v[34:35], v[2:3], -v[42:43]
	v_fma_f64 v[46:47], v[36:37], v[2:3], v[4:5]
	ds_load_b128 v[2:5], v1 offset:1920
	scratch_load_b128 v[34:37], off, off offset:864
	v_fma_f64 v[40:41], v[40:41], v[6:7], v[44:45]
	v_fma_f64 v[38:39], v[38:39], v[6:7], -v[8:9]
	ds_load_b128 v[6:9], v1 offset:1936
	s_waitcnt vmcnt(6) lgkmcnt(1)
	v_mul_f64 v[48:49], v[2:3], v[12:13]
	v_mul_f64 v[12:13], v[4:5], v[12:13]
	v_add_f64 v[42:43], v[42:43], 0
	v_add_f64 v[44:45], v[46:47], 0
	s_waitcnt vmcnt(5) lgkmcnt(0)
	v_mul_f64 v[46:47], v[6:7], v[16:17]
	v_mul_f64 v[16:17], v[8:9], v[16:17]
	v_fma_f64 v[48:49], v[4:5], v[10:11], v[48:49]
	v_fma_f64 v[10:11], v[2:3], v[10:11], -v[12:13]
	ds_load_b128 v[2:5], v1 offset:1952
	v_add_f64 v[12:13], v[42:43], v[38:39]
	v_add_f64 v[38:39], v[44:45], v[40:41]
	v_fma_f64 v[42:43], v[8:9], v[14:15], v[46:47]
	v_fma_f64 v[14:15], v[6:7], v[14:15], -v[16:17]
	ds_load_b128 v[6:9], v1 offset:1968
	s_waitcnt vmcnt(4) lgkmcnt(1)
	v_mul_f64 v[40:41], v[2:3], v[20:21]
	v_mul_f64 v[20:21], v[4:5], v[20:21]
	s_waitcnt vmcnt(3) lgkmcnt(0)
	v_mul_f64 v[16:17], v[6:7], v[24:25]
	v_mul_f64 v[24:25], v[8:9], v[24:25]
	v_add_f64 v[10:11], v[12:13], v[10:11]
	v_add_f64 v[12:13], v[38:39], v[48:49]
	v_fma_f64 v[38:39], v[4:5], v[18:19], v[40:41]
	v_fma_f64 v[18:19], v[2:3], v[18:19], -v[20:21]
	ds_load_b128 v[2:5], v1 offset:1984
	v_fma_f64 v[16:17], v[8:9], v[22:23], v[16:17]
	v_fma_f64 v[22:23], v[6:7], v[22:23], -v[24:25]
	ds_load_b128 v[6:9], v1 offset:2000
	s_waitcnt vmcnt(2) lgkmcnt(1)
	v_mul_f64 v[20:21], v[4:5], v[28:29]
	v_add_f64 v[10:11], v[10:11], v[14:15]
	v_add_f64 v[12:13], v[12:13], v[42:43]
	v_mul_f64 v[14:15], v[2:3], v[28:29]
	s_waitcnt vmcnt(1) lgkmcnt(0)
	v_mul_f64 v[24:25], v[8:9], v[32:33]
	v_fma_f64 v[1:2], v[2:3], v[26:27], -v[20:21]
	v_add_f64 v[10:11], v[10:11], v[18:19]
	v_add_f64 v[12:13], v[12:13], v[38:39]
	v_mul_f64 v[18:19], v[6:7], v[32:33]
	v_fma_f64 v[4:5], v[4:5], v[26:27], v[14:15]
	v_fma_f64 v[6:7], v[6:7], v[30:31], -v[24:25]
	v_add_f64 v[10:11], v[10:11], v[22:23]
	v_add_f64 v[12:13], v[12:13], v[16:17]
	v_fma_f64 v[8:9], v[8:9], v[30:31], v[18:19]
	s_delay_alu instid0(VALU_DEP_3) | instskip(NEXT) | instid1(VALU_DEP_3)
	v_add_f64 v[1:2], v[10:11], v[1:2]
	v_add_f64 v[3:4], v[12:13], v[4:5]
	s_delay_alu instid0(VALU_DEP_2) | instskip(NEXT) | instid1(VALU_DEP_2)
	v_add_f64 v[1:2], v[1:2], v[6:7]
	v_add_f64 v[3:4], v[3:4], v[8:9]
	s_waitcnt vmcnt(0)
	s_delay_alu instid0(VALU_DEP_2) | instskip(NEXT) | instid1(VALU_DEP_2)
	v_add_f64 v[1:2], v[34:35], -v[1:2]
	v_add_f64 v[3:4], v[36:37], -v[3:4]
	scratch_store_b128 off, v[1:4], off offset:864
	v_cmpx_lt_u32_e32 53, v179
	s_cbranch_execz .LBB126_297
; %bb.296:
	scratch_load_b32 v1, off, off offset:1380 ; 4-byte Folded Reload
	v_mov_b32_e32 v5, 0
	s_delay_alu instid0(VALU_DEP_1)
	v_mov_b32_e32 v6, v5
	v_mov_b32_e32 v7, v5
	;; [unrolled: 1-line block ×3, first 2 shown]
	s_waitcnt vmcnt(0)
	scratch_load_b128 v[1:4], v1, off
	scratch_store_b128 off, v[5:8], off offset:848
	s_waitcnt vmcnt(0)
	ds_store_b128 v244, v[1:4]
.LBB126_297:
	s_or_b32 exec_lo, exec_lo, s2
	s_waitcnt lgkmcnt(0)
	s_waitcnt_vscnt null, 0x0
	s_barrier
	buffer_gl0_inv
	s_clause 0x7
	scratch_load_b128 v[2:5], off, off offset:864
	scratch_load_b128 v[6:9], off, off offset:880
	;; [unrolled: 1-line block ×8, first 2 shown]
	v_mov_b32_e32 v1, 0
	s_mov_b32 s2, exec_lo
	ds_load_b128 v[34:37], v1 offset:1872
	s_clause 0x1
	scratch_load_b128 v[38:41], off, off offset:992
	scratch_load_b128 v[42:45], off, off offset:848
	ds_load_b128 v[46:49], v1 offset:1888
	s_waitcnt vmcnt(9) lgkmcnt(1)
	v_mul_f64 v[58:59], v[36:37], v[4:5]
	v_mul_f64 v[4:5], v[34:35], v[4:5]
	s_waitcnt vmcnt(8) lgkmcnt(0)
	v_mul_f64 v[60:61], v[46:47], v[8:9]
	v_mul_f64 v[8:9], v[48:49], v[8:9]
	s_delay_alu instid0(VALU_DEP_4) | instskip(NEXT) | instid1(VALU_DEP_4)
	v_fma_f64 v[58:59], v[34:35], v[2:3], -v[58:59]
	v_fma_f64 v[62:63], v[36:37], v[2:3], v[4:5]
	ds_load_b128 v[2:5], v1 offset:1904
	ds_load_b128 v[34:37], v1 offset:1920
	v_fma_f64 v[48:49], v[48:49], v[6:7], v[60:61]
	v_fma_f64 v[6:7], v[46:47], v[6:7], -v[8:9]
	s_waitcnt vmcnt(7) lgkmcnt(1)
	v_mul_f64 v[64:65], v[2:3], v[12:13]
	v_mul_f64 v[12:13], v[4:5], v[12:13]
	v_add_f64 v[8:9], v[58:59], 0
	v_add_f64 v[46:47], v[62:63], 0
	s_waitcnt vmcnt(6) lgkmcnt(0)
	v_mul_f64 v[58:59], v[34:35], v[16:17]
	v_mul_f64 v[16:17], v[36:37], v[16:17]
	v_fma_f64 v[60:61], v[4:5], v[10:11], v[64:65]
	v_fma_f64 v[10:11], v[2:3], v[10:11], -v[12:13]
	v_add_f64 v[12:13], v[8:9], v[6:7]
	v_add_f64 v[46:47], v[46:47], v[48:49]
	ds_load_b128 v[2:5], v1 offset:1936
	ds_load_b128 v[6:9], v1 offset:1952
	v_fma_f64 v[36:37], v[36:37], v[14:15], v[58:59]
	v_fma_f64 v[14:15], v[34:35], v[14:15], -v[16:17]
	s_waitcnt vmcnt(5) lgkmcnt(1)
	v_mul_f64 v[48:49], v[2:3], v[20:21]
	v_mul_f64 v[20:21], v[4:5], v[20:21]
	s_waitcnt vmcnt(4) lgkmcnt(0)
	v_mul_f64 v[16:17], v[6:7], v[24:25]
	v_mul_f64 v[24:25], v[8:9], v[24:25]
	v_add_f64 v[10:11], v[12:13], v[10:11]
	v_add_f64 v[12:13], v[46:47], v[60:61]
	v_fma_f64 v[34:35], v[4:5], v[18:19], v[48:49]
	v_fma_f64 v[18:19], v[2:3], v[18:19], -v[20:21]
	v_fma_f64 v[8:9], v[8:9], v[22:23], v[16:17]
	v_fma_f64 v[6:7], v[6:7], v[22:23], -v[24:25]
	v_add_f64 v[14:15], v[10:11], v[14:15]
	v_add_f64 v[20:21], v[12:13], v[36:37]
	ds_load_b128 v[2:5], v1 offset:1968
	ds_load_b128 v[10:13], v1 offset:1984
	s_waitcnt vmcnt(3) lgkmcnt(1)
	v_mul_f64 v[36:37], v[2:3], v[28:29]
	v_mul_f64 v[28:29], v[4:5], v[28:29]
	v_add_f64 v[14:15], v[14:15], v[18:19]
	v_add_f64 v[16:17], v[20:21], v[34:35]
	s_waitcnt vmcnt(2) lgkmcnt(0)
	v_mul_f64 v[18:19], v[10:11], v[32:33]
	v_mul_f64 v[20:21], v[12:13], v[32:33]
	v_fma_f64 v[22:23], v[4:5], v[26:27], v[36:37]
	v_fma_f64 v[24:25], v[2:3], v[26:27], -v[28:29]
	ds_load_b128 v[2:5], v1 offset:2000
	v_add_f64 v[6:7], v[14:15], v[6:7]
	v_add_f64 v[8:9], v[16:17], v[8:9]
	v_fma_f64 v[12:13], v[12:13], v[30:31], v[18:19]
	v_fma_f64 v[10:11], v[10:11], v[30:31], -v[20:21]
	s_waitcnt vmcnt(1) lgkmcnt(0)
	v_mul_f64 v[14:15], v[2:3], v[40:41]
	v_mul_f64 v[16:17], v[4:5], v[40:41]
	v_add_f64 v[6:7], v[6:7], v[24:25]
	v_add_f64 v[8:9], v[8:9], v[22:23]
	s_delay_alu instid0(VALU_DEP_4) | instskip(NEXT) | instid1(VALU_DEP_4)
	v_fma_f64 v[4:5], v[4:5], v[38:39], v[14:15]
	v_fma_f64 v[2:3], v[2:3], v[38:39], -v[16:17]
	s_delay_alu instid0(VALU_DEP_4) | instskip(NEXT) | instid1(VALU_DEP_4)
	v_add_f64 v[6:7], v[6:7], v[10:11]
	v_add_f64 v[8:9], v[8:9], v[12:13]
	s_delay_alu instid0(VALU_DEP_2) | instskip(NEXT) | instid1(VALU_DEP_2)
	v_add_f64 v[2:3], v[6:7], v[2:3]
	v_add_f64 v[4:5], v[8:9], v[4:5]
	s_waitcnt vmcnt(0)
	s_delay_alu instid0(VALU_DEP_2) | instskip(NEXT) | instid1(VALU_DEP_2)
	v_add_f64 v[2:3], v[42:43], -v[2:3]
	v_add_f64 v[4:5], v[44:45], -v[4:5]
	scratch_store_b128 off, v[2:5], off offset:848
	v_cmpx_lt_u32_e32 52, v179
	s_cbranch_execz .LBB126_299
; %bb.298:
	scratch_load_b32 v2, off, off offset:1384 ; 4-byte Folded Reload
	v_mov_b32_e32 v3, v1
	v_mov_b32_e32 v4, v1
	s_waitcnt vmcnt(0)
	scratch_load_b128 v[5:8], v2, off
	v_mov_b32_e32 v2, v1
	scratch_store_b128 off, v[1:4], off offset:832
	s_waitcnt vmcnt(0)
	ds_store_b128 v244, v[5:8]
.LBB126_299:
	s_or_b32 exec_lo, exec_lo, s2
	s_waitcnt lgkmcnt(0)
	s_waitcnt_vscnt null, 0x0
	s_barrier
	buffer_gl0_inv
	s_clause 0x8
	scratch_load_b128 v[2:5], off, off offset:848
	scratch_load_b128 v[6:9], off, off offset:864
	;; [unrolled: 1-line block ×9, first 2 shown]
	ds_load_b128 v[38:41], v1 offset:1856
	ds_load_b128 v[42:45], v1 offset:1872
	s_clause 0x1
	scratch_load_b128 v[46:49], off, off offset:832
	scratch_load_b128 v[58:61], off, off offset:992
	s_mov_b32 s2, exec_lo
	s_waitcnt vmcnt(10) lgkmcnt(1)
	v_mul_f64 v[62:63], v[40:41], v[4:5]
	v_mul_f64 v[4:5], v[38:39], v[4:5]
	s_waitcnt vmcnt(9) lgkmcnt(0)
	v_mul_f64 v[64:65], v[42:43], v[8:9]
	v_mul_f64 v[8:9], v[44:45], v[8:9]
	s_delay_alu instid0(VALU_DEP_4) | instskip(NEXT) | instid1(VALU_DEP_4)
	v_fma_f64 v[62:63], v[38:39], v[2:3], -v[62:63]
	v_fma_f64 v[66:67], v[40:41], v[2:3], v[4:5]
	ds_load_b128 v[2:5], v1 offset:1888
	ds_load_b128 v[38:41], v1 offset:1904
	v_fma_f64 v[44:45], v[44:45], v[6:7], v[64:65]
	v_fma_f64 v[6:7], v[42:43], v[6:7], -v[8:9]
	s_waitcnt vmcnt(8) lgkmcnt(1)
	v_mul_f64 v[68:69], v[2:3], v[12:13]
	v_mul_f64 v[12:13], v[4:5], v[12:13]
	v_add_f64 v[8:9], v[62:63], 0
	v_add_f64 v[42:43], v[66:67], 0
	s_waitcnt vmcnt(7) lgkmcnt(0)
	v_mul_f64 v[62:63], v[38:39], v[16:17]
	v_mul_f64 v[16:17], v[40:41], v[16:17]
	v_fma_f64 v[64:65], v[4:5], v[10:11], v[68:69]
	v_fma_f64 v[10:11], v[2:3], v[10:11], -v[12:13]
	v_add_f64 v[12:13], v[8:9], v[6:7]
	v_add_f64 v[42:43], v[42:43], v[44:45]
	ds_load_b128 v[2:5], v1 offset:1920
	ds_load_b128 v[6:9], v1 offset:1936
	v_fma_f64 v[40:41], v[40:41], v[14:15], v[62:63]
	v_fma_f64 v[14:15], v[38:39], v[14:15], -v[16:17]
	s_waitcnt vmcnt(6) lgkmcnt(1)
	v_mul_f64 v[44:45], v[2:3], v[20:21]
	v_mul_f64 v[20:21], v[4:5], v[20:21]
	s_waitcnt vmcnt(5) lgkmcnt(0)
	v_mul_f64 v[16:17], v[6:7], v[24:25]
	v_mul_f64 v[24:25], v[8:9], v[24:25]
	v_add_f64 v[10:11], v[12:13], v[10:11]
	v_add_f64 v[12:13], v[42:43], v[64:65]
	v_fma_f64 v[38:39], v[4:5], v[18:19], v[44:45]
	v_fma_f64 v[18:19], v[2:3], v[18:19], -v[20:21]
	v_fma_f64 v[8:9], v[8:9], v[22:23], v[16:17]
	v_fma_f64 v[6:7], v[6:7], v[22:23], -v[24:25]
	v_add_f64 v[14:15], v[10:11], v[14:15]
	v_add_f64 v[20:21], v[12:13], v[40:41]
	ds_load_b128 v[2:5], v1 offset:1952
	ds_load_b128 v[10:13], v1 offset:1968
	s_waitcnt vmcnt(4) lgkmcnt(1)
	v_mul_f64 v[40:41], v[2:3], v[28:29]
	v_mul_f64 v[28:29], v[4:5], v[28:29]
	v_add_f64 v[14:15], v[14:15], v[18:19]
	v_add_f64 v[16:17], v[20:21], v[38:39]
	s_waitcnt vmcnt(3) lgkmcnt(0)
	v_mul_f64 v[18:19], v[10:11], v[32:33]
	v_mul_f64 v[20:21], v[12:13], v[32:33]
	v_fma_f64 v[22:23], v[4:5], v[26:27], v[40:41]
	v_fma_f64 v[24:25], v[2:3], v[26:27], -v[28:29]
	v_add_f64 v[14:15], v[14:15], v[6:7]
	v_add_f64 v[16:17], v[16:17], v[8:9]
	ds_load_b128 v[2:5], v1 offset:1984
	ds_load_b128 v[6:9], v1 offset:2000
	v_fma_f64 v[12:13], v[12:13], v[30:31], v[18:19]
	v_fma_f64 v[10:11], v[10:11], v[30:31], -v[20:21]
	s_waitcnt vmcnt(2) lgkmcnt(1)
	v_mul_f64 v[26:27], v[2:3], v[36:37]
	v_mul_f64 v[28:29], v[4:5], v[36:37]
	s_waitcnt vmcnt(0) lgkmcnt(0)
	v_mul_f64 v[18:19], v[6:7], v[60:61]
	v_mul_f64 v[20:21], v[8:9], v[60:61]
	v_add_f64 v[14:15], v[14:15], v[24:25]
	v_add_f64 v[16:17], v[16:17], v[22:23]
	v_fma_f64 v[4:5], v[4:5], v[34:35], v[26:27]
	v_fma_f64 v[1:2], v[2:3], v[34:35], -v[28:29]
	v_fma_f64 v[8:9], v[8:9], v[58:59], v[18:19]
	v_fma_f64 v[6:7], v[6:7], v[58:59], -v[20:21]
	v_add_f64 v[10:11], v[14:15], v[10:11]
	v_add_f64 v[12:13], v[16:17], v[12:13]
	s_delay_alu instid0(VALU_DEP_2) | instskip(NEXT) | instid1(VALU_DEP_2)
	v_add_f64 v[1:2], v[10:11], v[1:2]
	v_add_f64 v[3:4], v[12:13], v[4:5]
	s_delay_alu instid0(VALU_DEP_2) | instskip(NEXT) | instid1(VALU_DEP_2)
	;; [unrolled: 3-line block ×3, first 2 shown]
	v_add_f64 v[1:2], v[46:47], -v[1:2]
	v_add_f64 v[3:4], v[48:49], -v[3:4]
	scratch_store_b128 off, v[1:4], off offset:832
	v_cmpx_lt_u32_e32 51, v179
	s_cbranch_execz .LBB126_301
; %bb.300:
	scratch_load_b32 v1, off, off offset:1388 ; 4-byte Folded Reload
	v_mov_b32_e32 v5, 0
	s_delay_alu instid0(VALU_DEP_1)
	v_mov_b32_e32 v6, v5
	v_mov_b32_e32 v7, v5
	;; [unrolled: 1-line block ×3, first 2 shown]
	s_waitcnt vmcnt(0)
	scratch_load_b128 v[1:4], v1, off
	scratch_store_b128 off, v[5:8], off offset:816
	s_waitcnt vmcnt(0)
	ds_store_b128 v244, v[1:4]
.LBB126_301:
	s_or_b32 exec_lo, exec_lo, s2
	s_waitcnt lgkmcnt(0)
	s_waitcnt_vscnt null, 0x0
	s_barrier
	buffer_gl0_inv
	s_clause 0x4
	scratch_load_b128 v[2:5], off, off offset:832
	scratch_load_b128 v[6:9], off, off offset:848
	;; [unrolled: 1-line block ×5, first 2 shown]
	v_mov_b32_e32 v1, 0
	scratch_load_b128 v[26:29], off, off offset:816
	s_mov_b32 s2, exec_lo
	ds_load_b128 v[22:25], v1 offset:1840
	ds_load_b128 v[30:33], v1 offset:1856
	s_waitcnt vmcnt(5) lgkmcnt(1)
	v_mul_f64 v[34:35], v[24:25], v[4:5]
	v_mul_f64 v[4:5], v[22:23], v[4:5]
	s_waitcnt vmcnt(4) lgkmcnt(0)
	v_mul_f64 v[36:37], v[30:31], v[8:9]
	v_mul_f64 v[8:9], v[32:33], v[8:9]
	s_delay_alu instid0(VALU_DEP_4) | instskip(NEXT) | instid1(VALU_DEP_4)
	v_fma_f64 v[22:23], v[22:23], v[2:3], -v[34:35]
	v_fma_f64 v[24:25], v[24:25], v[2:3], v[4:5]
	ds_load_b128 v[2:5], v1 offset:1872
	v_fma_f64 v[32:33], v[32:33], v[6:7], v[36:37]
	v_fma_f64 v[30:31], v[30:31], v[6:7], -v[8:9]
	ds_load_b128 v[6:9], v1 offset:1888
	s_waitcnt vmcnt(3) lgkmcnt(1)
	v_mul_f64 v[34:35], v[2:3], v[12:13]
	v_mul_f64 v[12:13], v[4:5], v[12:13]
	s_waitcnt vmcnt(2) lgkmcnt(0)
	v_mul_f64 v[36:37], v[6:7], v[16:17]
	s_delay_alu instid0(VALU_DEP_3) | instskip(NEXT) | instid1(VALU_DEP_3)
	v_fma_f64 v[34:35], v[4:5], v[10:11], v[34:35]
	v_fma_f64 v[38:39], v[2:3], v[10:11], -v[12:13]
	v_mul_f64 v[10:11], v[8:9], v[16:17]
	ds_load_b128 v[2:5], v1 offset:1904
	v_fma_f64 v[36:37], v[8:9], v[14:15], v[36:37]
	v_fma_f64 v[14:15], v[6:7], v[14:15], -v[10:11]
	ds_load_b128 v[6:9], v1 offset:1920
	s_waitcnt vmcnt(1) lgkmcnt(1)
	v_mul_f64 v[10:11], v[2:3], v[20:21]
	v_mul_f64 v[12:13], v[4:5], v[20:21]
	s_delay_alu instid0(VALU_DEP_2) | instskip(NEXT) | instid1(VALU_DEP_2)
	v_fma_f64 v[40:41], v[4:5], v[18:19], v[10:11]
	v_fma_f64 v[18:19], v[2:3], v[18:19], -v[12:13]
	s_clause 0x1
	scratch_load_b128 v[2:5], off, off offset:912
	scratch_load_b128 v[10:13], off, off offset:928
	s_waitcnt vmcnt(1) lgkmcnt(0)
	v_mul_f64 v[16:17], v[6:7], v[4:5]
	v_mul_f64 v[4:5], v[8:9], v[4:5]
	s_delay_alu instid0(VALU_DEP_2) | instskip(NEXT) | instid1(VALU_DEP_2)
	v_fma_f64 v[42:43], v[8:9], v[2:3], v[16:17]
	v_fma_f64 v[44:45], v[6:7], v[2:3], -v[4:5]
	ds_load_b128 v[2:5], v1 offset:1936
	ds_load_b128 v[6:9], v1 offset:1952
	s_waitcnt vmcnt(0) lgkmcnt(1)
	v_mul_f64 v[16:17], v[2:3], v[12:13]
	s_delay_alu instid0(VALU_DEP_1) | instskip(SKIP_2) | instid1(VALU_DEP_2)
	v_fma_f64 v[46:47], v[4:5], v[10:11], v[16:17]
	v_mul_f64 v[4:5], v[4:5], v[12:13]
	v_add_f64 v[12:13], v[24:25], 0
	v_fma_f64 v[48:49], v[2:3], v[10:11], -v[4:5]
	v_add_f64 v[2:3], v[22:23], 0
	s_delay_alu instid0(VALU_DEP_3) | instskip(NEXT) | instid1(VALU_DEP_2)
	v_add_f64 v[16:17], v[12:13], v[32:33]
	v_add_f64 v[10:11], v[2:3], v[30:31]
	scratch_load_b128 v[2:5], off, off offset:944
	v_add_f64 v[22:23], v[16:17], v[34:35]
	v_add_f64 v[20:21], v[10:11], v[38:39]
	scratch_load_b128 v[10:13], off, off offset:960
	;; [unrolled: 3-line block ×4, first 2 shown]
	v_add_f64 v[22:23], v[22:23], v[42:43]
	v_add_f64 v[24:25], v[24:25], v[44:45]
	s_delay_alu instid0(VALU_DEP_2) | instskip(NEXT) | instid1(VALU_DEP_2)
	v_add_f64 v[22:23], v[22:23], v[46:47]
	v_add_f64 v[24:25], v[24:25], v[48:49]
	s_waitcnt vmcnt(3) lgkmcnt(0)
	v_mul_f64 v[30:31], v[6:7], v[4:5]
	v_mul_f64 v[4:5], v[8:9], v[4:5]
	s_delay_alu instid0(VALU_DEP_2) | instskip(NEXT) | instid1(VALU_DEP_2)
	v_fma_f64 v[30:31], v[8:9], v[2:3], v[30:31]
	v_fma_f64 v[32:33], v[6:7], v[2:3], -v[4:5]
	ds_load_b128 v[2:5], v1 offset:1968
	ds_load_b128 v[6:9], v1 offset:1984
	s_waitcnt vmcnt(2) lgkmcnt(1)
	v_mul_f64 v[34:35], v[2:3], v[12:13]
	v_mul_f64 v[12:13], v[4:5], v[12:13]
	s_waitcnt vmcnt(1) lgkmcnt(0)
	v_mul_f64 v[36:37], v[6:7], v[16:17]
	v_add_f64 v[22:23], v[22:23], v[30:31]
	s_delay_alu instid0(VALU_DEP_4) | instskip(NEXT) | instid1(VALU_DEP_4)
	v_fma_f64 v[34:35], v[4:5], v[10:11], v[34:35]
	v_fma_f64 v[10:11], v[2:3], v[10:11], -v[12:13]
	v_mul_f64 v[12:13], v[8:9], v[16:17]
	v_add_f64 v[16:17], v[24:25], v[32:33]
	ds_load_b128 v[2:5], v1 offset:2000
	v_fma_f64 v[8:9], v[8:9], v[14:15], v[36:37]
	s_waitcnt vmcnt(0) lgkmcnt(0)
	v_mul_f64 v[24:25], v[2:3], v[20:21]
	v_mul_f64 v[20:21], v[4:5], v[20:21]
	v_fma_f64 v[6:7], v[6:7], v[14:15], -v[12:13]
	v_add_f64 v[10:11], v[16:17], v[10:11]
	v_add_f64 v[12:13], v[22:23], v[34:35]
	v_fma_f64 v[4:5], v[4:5], v[18:19], v[24:25]
	v_fma_f64 v[2:3], v[2:3], v[18:19], -v[20:21]
	s_delay_alu instid0(VALU_DEP_4) | instskip(NEXT) | instid1(VALU_DEP_4)
	v_add_f64 v[6:7], v[10:11], v[6:7]
	v_add_f64 v[8:9], v[12:13], v[8:9]
	s_delay_alu instid0(VALU_DEP_2) | instskip(NEXT) | instid1(VALU_DEP_2)
	v_add_f64 v[2:3], v[6:7], v[2:3]
	v_add_f64 v[4:5], v[8:9], v[4:5]
	s_delay_alu instid0(VALU_DEP_2) | instskip(NEXT) | instid1(VALU_DEP_2)
	v_add_f64 v[2:3], v[26:27], -v[2:3]
	v_add_f64 v[4:5], v[28:29], -v[4:5]
	scratch_store_b128 off, v[2:5], off offset:816
	v_cmpx_lt_u32_e32 50, v179
	s_cbranch_execz .LBB126_303
; %bb.302:
	scratch_load_b32 v2, off, off offset:1392 ; 4-byte Folded Reload
	v_mov_b32_e32 v3, v1
	v_mov_b32_e32 v4, v1
	s_waitcnt vmcnt(0)
	scratch_load_b128 v[5:8], v2, off
	v_mov_b32_e32 v2, v1
	scratch_store_b128 off, v[1:4], off offset:800
	s_waitcnt vmcnt(0)
	ds_store_b128 v244, v[5:8]
.LBB126_303:
	s_or_b32 exec_lo, exec_lo, s2
	s_waitcnt lgkmcnt(0)
	s_waitcnt_vscnt null, 0x0
	s_barrier
	buffer_gl0_inv
	s_clause 0x4
	scratch_load_b128 v[2:5], off, off offset:816
	scratch_load_b128 v[6:9], off, off offset:832
	;; [unrolled: 1-line block ×5, first 2 shown]
	ds_load_b128 v[22:25], v1 offset:1824
	ds_load_b128 v[26:29], v1 offset:1840
	scratch_load_b128 v[30:33], off, off offset:800
	s_mov_b32 s2, exec_lo
	s_waitcnt vmcnt(5) lgkmcnt(1)
	v_mul_f64 v[34:35], v[24:25], v[4:5]
	v_mul_f64 v[4:5], v[22:23], v[4:5]
	s_waitcnt vmcnt(4) lgkmcnt(0)
	v_mul_f64 v[36:37], v[26:27], v[8:9]
	v_mul_f64 v[8:9], v[28:29], v[8:9]
	s_delay_alu instid0(VALU_DEP_4) | instskip(NEXT) | instid1(VALU_DEP_4)
	v_fma_f64 v[22:23], v[22:23], v[2:3], -v[34:35]
	v_fma_f64 v[24:25], v[24:25], v[2:3], v[4:5]
	ds_load_b128 v[2:5], v1 offset:1856
	v_fma_f64 v[28:29], v[28:29], v[6:7], v[36:37]
	v_fma_f64 v[26:27], v[26:27], v[6:7], -v[8:9]
	ds_load_b128 v[6:9], v1 offset:1872
	s_waitcnt vmcnt(3) lgkmcnt(1)
	v_mul_f64 v[34:35], v[2:3], v[12:13]
	v_mul_f64 v[12:13], v[4:5], v[12:13]
	s_waitcnt vmcnt(2) lgkmcnt(0)
	v_mul_f64 v[36:37], v[6:7], v[16:17]
	s_delay_alu instid0(VALU_DEP_3) | instskip(NEXT) | instid1(VALU_DEP_3)
	v_fma_f64 v[34:35], v[4:5], v[10:11], v[34:35]
	v_fma_f64 v[38:39], v[2:3], v[10:11], -v[12:13]
	v_mul_f64 v[10:11], v[8:9], v[16:17]
	ds_load_b128 v[2:5], v1 offset:1888
	v_fma_f64 v[16:17], v[8:9], v[14:15], v[36:37]
	v_fma_f64 v[14:15], v[6:7], v[14:15], -v[10:11]
	ds_load_b128 v[6:9], v1 offset:1904
	s_waitcnt vmcnt(1) lgkmcnt(1)
	v_mul_f64 v[10:11], v[2:3], v[20:21]
	v_mul_f64 v[12:13], v[4:5], v[20:21]
	s_delay_alu instid0(VALU_DEP_2) | instskip(NEXT) | instid1(VALU_DEP_2)
	v_fma_f64 v[20:21], v[4:5], v[18:19], v[10:11]
	v_fma_f64 v[18:19], v[2:3], v[18:19], -v[12:13]
	s_clause 0x1
	scratch_load_b128 v[2:5], off, off offset:896
	scratch_load_b128 v[10:13], off, off offset:912
	s_waitcnt vmcnt(1) lgkmcnt(0)
	v_mul_f64 v[36:37], v[6:7], v[4:5]
	v_mul_f64 v[4:5], v[8:9], v[4:5]
	s_delay_alu instid0(VALU_DEP_2) | instskip(NEXT) | instid1(VALU_DEP_2)
	v_fma_f64 v[36:37], v[8:9], v[2:3], v[36:37]
	v_fma_f64 v[40:41], v[6:7], v[2:3], -v[4:5]
	ds_load_b128 v[2:5], v1 offset:1920
	ds_load_b128 v[6:9], v1 offset:1936
	s_waitcnt vmcnt(0) lgkmcnt(1)
	v_mul_f64 v[42:43], v[2:3], v[12:13]
	s_delay_alu instid0(VALU_DEP_1) | instskip(SKIP_1) | instid1(VALU_DEP_1)
	v_fma_f64 v[42:43], v[4:5], v[10:11], v[42:43]
	v_mul_f64 v[4:5], v[4:5], v[12:13]
	v_fma_f64 v[44:45], v[2:3], v[10:11], -v[4:5]
	s_clause 0x1
	scratch_load_b128 v[2:5], off, off offset:928
	scratch_load_b128 v[10:13], off, off offset:944
	s_waitcnt vmcnt(1) lgkmcnt(0)
	v_mul_f64 v[46:47], v[6:7], v[4:5]
	v_mul_f64 v[4:5], v[8:9], v[4:5]
	s_delay_alu instid0(VALU_DEP_2) | instskip(NEXT) | instid1(VALU_DEP_2)
	v_fma_f64 v[46:47], v[8:9], v[2:3], v[46:47]
	v_fma_f64 v[48:49], v[6:7], v[2:3], -v[4:5]
	ds_load_b128 v[2:5], v1 offset:1952
	ds_load_b128 v[6:9], v1 offset:1968
	s_waitcnt vmcnt(0) lgkmcnt(1)
	v_mul_f64 v[58:59], v[2:3], v[12:13]
	s_delay_alu instid0(VALU_DEP_1) | instskip(SKIP_1) | instid1(VALU_DEP_1)
	v_fma_f64 v[58:59], v[4:5], v[10:11], v[58:59]
	v_mul_f64 v[4:5], v[4:5], v[12:13]
	v_fma_f64 v[60:61], v[2:3], v[10:11], -v[4:5]
	v_add_f64 v[2:3], v[22:23], 0
	v_add_f64 v[4:5], v[24:25], 0
	s_delay_alu instid0(VALU_DEP_2) | instskip(NEXT) | instid1(VALU_DEP_2)
	v_add_f64 v[2:3], v[2:3], v[26:27]
	v_add_f64 v[4:5], v[4:5], v[28:29]
	s_delay_alu instid0(VALU_DEP_2) | instskip(NEXT) | instid1(VALU_DEP_2)
	v_add_f64 v[2:3], v[2:3], v[38:39]
	v_add_f64 v[10:11], v[4:5], v[34:35]
	s_delay_alu instid0(VALU_DEP_2)
	v_add_f64 v[12:13], v[2:3], v[14:15]
	scratch_load_b128 v[2:5], off, off offset:960
	v_add_f64 v[14:15], v[10:11], v[16:17]
	v_add_f64 v[16:17], v[12:13], v[18:19]
	scratch_load_b128 v[10:13], off, off offset:976
	v_add_f64 v[18:19], v[14:15], v[20:21]
	v_add_f64 v[20:21], v[16:17], v[40:41]
	scratch_load_b128 v[14:17], off, off offset:992
	v_add_f64 v[18:19], v[18:19], v[36:37]
	v_add_f64 v[20:21], v[20:21], v[44:45]
	s_delay_alu instid0(VALU_DEP_2) | instskip(NEXT) | instid1(VALU_DEP_2)
	v_add_f64 v[18:19], v[18:19], v[42:43]
	v_add_f64 v[28:29], v[20:21], v[48:49]
	s_delay_alu instid0(VALU_DEP_2)
	v_add_f64 v[34:35], v[18:19], v[46:47]
	ds_load_b128 v[18:21], v1 offset:1984
	ds_load_b128 v[22:25], v1 offset:2000
	s_waitcnt vmcnt(2) lgkmcnt(2)
	v_mul_f64 v[26:27], v[6:7], v[4:5]
	v_mul_f64 v[4:5], v[8:9], v[4:5]
	s_waitcnt vmcnt(1) lgkmcnt(1)
	v_mul_f64 v[36:37], v[18:19], v[12:13]
	s_delay_alu instid0(VALU_DEP_3) | instskip(NEXT) | instid1(VALU_DEP_3)
	v_fma_f64 v[8:9], v[8:9], v[2:3], v[26:27]
	v_fma_f64 v[1:2], v[6:7], v[2:3], -v[4:5]
	v_mul_f64 v[3:4], v[20:21], v[12:13]
	v_add_f64 v[5:6], v[28:29], v[60:61]
	v_add_f64 v[12:13], v[34:35], v[58:59]
	s_waitcnt vmcnt(0) lgkmcnt(0)
	v_mul_f64 v[26:27], v[22:23], v[16:17]
	v_mul_f64 v[16:17], v[24:25], v[16:17]
	v_fma_f64 v[20:21], v[20:21], v[10:11], v[36:37]
	v_fma_f64 v[3:4], v[18:19], v[10:11], -v[3:4]
	v_add_f64 v[1:2], v[5:6], v[1:2]
	v_add_f64 v[5:6], v[12:13], v[8:9]
	v_fma_f64 v[7:8], v[24:25], v[14:15], v[26:27]
	v_fma_f64 v[9:10], v[22:23], v[14:15], -v[16:17]
	s_delay_alu instid0(VALU_DEP_4) | instskip(NEXT) | instid1(VALU_DEP_4)
	v_add_f64 v[1:2], v[1:2], v[3:4]
	v_add_f64 v[3:4], v[5:6], v[20:21]
	s_delay_alu instid0(VALU_DEP_2) | instskip(NEXT) | instid1(VALU_DEP_2)
	v_add_f64 v[1:2], v[1:2], v[9:10]
	v_add_f64 v[3:4], v[3:4], v[7:8]
	s_delay_alu instid0(VALU_DEP_2) | instskip(NEXT) | instid1(VALU_DEP_2)
	v_add_f64 v[1:2], v[30:31], -v[1:2]
	v_add_f64 v[3:4], v[32:33], -v[3:4]
	scratch_store_b128 off, v[1:4], off offset:800
	v_cmpx_lt_u32_e32 49, v179
	s_cbranch_execz .LBB126_305
; %bb.304:
	scratch_load_b32 v1, off, off offset:1396 ; 4-byte Folded Reload
	v_mov_b32_e32 v5, 0
	s_delay_alu instid0(VALU_DEP_1)
	v_mov_b32_e32 v6, v5
	v_mov_b32_e32 v7, v5
	;; [unrolled: 1-line block ×3, first 2 shown]
	s_waitcnt vmcnt(0)
	scratch_load_b128 v[1:4], v1, off
	scratch_store_b128 off, v[5:8], off offset:784
	s_waitcnt vmcnt(0)
	ds_store_b128 v244, v[1:4]
.LBB126_305:
	s_or_b32 exec_lo, exec_lo, s2
	s_waitcnt lgkmcnt(0)
	s_waitcnt_vscnt null, 0x0
	s_barrier
	buffer_gl0_inv
	s_clause 0x4
	scratch_load_b128 v[2:5], off, off offset:800
	scratch_load_b128 v[6:9], off, off offset:816
	scratch_load_b128 v[10:13], off, off offset:832
	scratch_load_b128 v[14:17], off, off offset:848
	scratch_load_b128 v[18:21], off, off offset:864
	v_mov_b32_e32 v1, 0
	scratch_load_b128 v[26:29], off, off offset:784
	s_mov_b32 s2, exec_lo
	ds_load_b128 v[22:25], v1 offset:1808
	ds_load_b128 v[30:33], v1 offset:1824
	s_waitcnt vmcnt(5) lgkmcnt(1)
	v_mul_f64 v[34:35], v[24:25], v[4:5]
	v_mul_f64 v[4:5], v[22:23], v[4:5]
	s_waitcnt vmcnt(4) lgkmcnt(0)
	v_mul_f64 v[36:37], v[30:31], v[8:9]
	v_mul_f64 v[8:9], v[32:33], v[8:9]
	s_delay_alu instid0(VALU_DEP_4) | instskip(NEXT) | instid1(VALU_DEP_4)
	v_fma_f64 v[22:23], v[22:23], v[2:3], -v[34:35]
	v_fma_f64 v[24:25], v[24:25], v[2:3], v[4:5]
	ds_load_b128 v[2:5], v1 offset:1840
	v_fma_f64 v[32:33], v[32:33], v[6:7], v[36:37]
	v_fma_f64 v[30:31], v[30:31], v[6:7], -v[8:9]
	ds_load_b128 v[6:9], v1 offset:1856
	s_waitcnt vmcnt(3) lgkmcnt(1)
	v_mul_f64 v[34:35], v[2:3], v[12:13]
	v_mul_f64 v[12:13], v[4:5], v[12:13]
	s_waitcnt vmcnt(2) lgkmcnt(0)
	v_mul_f64 v[36:37], v[6:7], v[16:17]
	s_delay_alu instid0(VALU_DEP_3) | instskip(NEXT) | instid1(VALU_DEP_3)
	v_fma_f64 v[34:35], v[4:5], v[10:11], v[34:35]
	v_fma_f64 v[38:39], v[2:3], v[10:11], -v[12:13]
	v_mul_f64 v[10:11], v[8:9], v[16:17]
	ds_load_b128 v[2:5], v1 offset:1872
	v_fma_f64 v[16:17], v[8:9], v[14:15], v[36:37]
	v_fma_f64 v[14:15], v[6:7], v[14:15], -v[10:11]
	ds_load_b128 v[6:9], v1 offset:1888
	s_waitcnt vmcnt(1) lgkmcnt(1)
	v_mul_f64 v[10:11], v[2:3], v[20:21]
	v_mul_f64 v[12:13], v[4:5], v[20:21]
	s_delay_alu instid0(VALU_DEP_2) | instskip(NEXT) | instid1(VALU_DEP_2)
	v_fma_f64 v[20:21], v[4:5], v[18:19], v[10:11]
	v_fma_f64 v[18:19], v[2:3], v[18:19], -v[12:13]
	s_clause 0x1
	scratch_load_b128 v[2:5], off, off offset:880
	scratch_load_b128 v[10:13], off, off offset:896
	s_waitcnt vmcnt(1) lgkmcnt(0)
	v_mul_f64 v[36:37], v[6:7], v[4:5]
	v_mul_f64 v[4:5], v[8:9], v[4:5]
	s_delay_alu instid0(VALU_DEP_2) | instskip(NEXT) | instid1(VALU_DEP_2)
	v_fma_f64 v[36:37], v[8:9], v[2:3], v[36:37]
	v_fma_f64 v[40:41], v[6:7], v[2:3], -v[4:5]
	ds_load_b128 v[2:5], v1 offset:1904
	ds_load_b128 v[6:9], v1 offset:1920
	s_waitcnt vmcnt(0) lgkmcnt(1)
	v_mul_f64 v[42:43], v[2:3], v[12:13]
	s_delay_alu instid0(VALU_DEP_1) | instskip(SKIP_1) | instid1(VALU_DEP_1)
	v_fma_f64 v[42:43], v[4:5], v[10:11], v[42:43]
	v_mul_f64 v[4:5], v[4:5], v[12:13]
	v_fma_f64 v[44:45], v[2:3], v[10:11], -v[4:5]
	s_clause 0x1
	scratch_load_b128 v[2:5], off, off offset:912
	scratch_load_b128 v[10:13], off, off offset:928
	s_waitcnt vmcnt(1) lgkmcnt(0)
	v_mul_f64 v[46:47], v[6:7], v[4:5]
	v_mul_f64 v[4:5], v[8:9], v[4:5]
	s_delay_alu instid0(VALU_DEP_2) | instskip(NEXT) | instid1(VALU_DEP_2)
	v_fma_f64 v[46:47], v[8:9], v[2:3], v[46:47]
	v_fma_f64 v[48:49], v[6:7], v[2:3], -v[4:5]
	ds_load_b128 v[2:5], v1 offset:1936
	ds_load_b128 v[6:9], v1 offset:1952
	s_waitcnt vmcnt(0) lgkmcnt(1)
	v_mul_f64 v[58:59], v[2:3], v[12:13]
	s_delay_alu instid0(VALU_DEP_1) | instskip(SKIP_1) | instid1(VALU_DEP_1)
	v_fma_f64 v[58:59], v[4:5], v[10:11], v[58:59]
	v_mul_f64 v[4:5], v[4:5], v[12:13]
	v_fma_f64 v[60:61], v[2:3], v[10:11], -v[4:5]
	v_add_f64 v[2:3], v[22:23], 0
	v_add_f64 v[4:5], v[24:25], 0
	s_delay_alu instid0(VALU_DEP_2) | instskip(NEXT) | instid1(VALU_DEP_2)
	v_add_f64 v[2:3], v[2:3], v[30:31]
	v_add_f64 v[4:5], v[4:5], v[32:33]
	s_delay_alu instid0(VALU_DEP_2) | instskip(NEXT) | instid1(VALU_DEP_2)
	v_add_f64 v[2:3], v[2:3], v[38:39]
	v_add_f64 v[10:11], v[4:5], v[34:35]
	s_delay_alu instid0(VALU_DEP_2)
	v_add_f64 v[12:13], v[2:3], v[14:15]
	scratch_load_b128 v[2:5], off, off offset:944
	v_add_f64 v[14:15], v[10:11], v[16:17]
	v_add_f64 v[16:17], v[12:13], v[18:19]
	scratch_load_b128 v[10:13], off, off offset:960
	v_add_f64 v[18:19], v[14:15], v[20:21]
	;; [unrolled: 3-line block ×4, first 2 shown]
	v_add_f64 v[24:25], v[24:25], v[48:49]
	s_delay_alu instid0(VALU_DEP_2) | instskip(NEXT) | instid1(VALU_DEP_2)
	v_add_f64 v[22:23], v[22:23], v[46:47]
	v_add_f64 v[24:25], v[24:25], v[60:61]
	s_delay_alu instid0(VALU_DEP_2) | instskip(SKIP_3) | instid1(VALU_DEP_2)
	v_add_f64 v[22:23], v[22:23], v[58:59]
	s_waitcnt vmcnt(3) lgkmcnt(0)
	v_mul_f64 v[30:31], v[6:7], v[4:5]
	v_mul_f64 v[4:5], v[8:9], v[4:5]
	v_fma_f64 v[30:31], v[8:9], v[2:3], v[30:31]
	s_delay_alu instid0(VALU_DEP_2)
	v_fma_f64 v[32:33], v[6:7], v[2:3], -v[4:5]
	ds_load_b128 v[2:5], v1 offset:1968
	ds_load_b128 v[6:9], v1 offset:1984
	s_waitcnt vmcnt(2) lgkmcnt(1)
	v_mul_f64 v[34:35], v[2:3], v[12:13]
	v_mul_f64 v[12:13], v[4:5], v[12:13]
	s_waitcnt vmcnt(1) lgkmcnt(0)
	v_mul_f64 v[36:37], v[6:7], v[16:17]
	v_add_f64 v[22:23], v[22:23], v[30:31]
	s_delay_alu instid0(VALU_DEP_4) | instskip(NEXT) | instid1(VALU_DEP_4)
	v_fma_f64 v[34:35], v[4:5], v[10:11], v[34:35]
	v_fma_f64 v[10:11], v[2:3], v[10:11], -v[12:13]
	v_mul_f64 v[12:13], v[8:9], v[16:17]
	v_add_f64 v[16:17], v[24:25], v[32:33]
	ds_load_b128 v[2:5], v1 offset:2000
	v_fma_f64 v[8:9], v[8:9], v[14:15], v[36:37]
	s_waitcnt vmcnt(0) lgkmcnt(0)
	v_mul_f64 v[24:25], v[2:3], v[20:21]
	v_mul_f64 v[20:21], v[4:5], v[20:21]
	v_fma_f64 v[6:7], v[6:7], v[14:15], -v[12:13]
	v_add_f64 v[10:11], v[16:17], v[10:11]
	v_add_f64 v[12:13], v[22:23], v[34:35]
	v_fma_f64 v[4:5], v[4:5], v[18:19], v[24:25]
	v_fma_f64 v[2:3], v[2:3], v[18:19], -v[20:21]
	s_delay_alu instid0(VALU_DEP_4) | instskip(NEXT) | instid1(VALU_DEP_4)
	v_add_f64 v[6:7], v[10:11], v[6:7]
	v_add_f64 v[8:9], v[12:13], v[8:9]
	s_delay_alu instid0(VALU_DEP_2) | instskip(NEXT) | instid1(VALU_DEP_2)
	v_add_f64 v[2:3], v[6:7], v[2:3]
	v_add_f64 v[4:5], v[8:9], v[4:5]
	s_delay_alu instid0(VALU_DEP_2) | instskip(NEXT) | instid1(VALU_DEP_2)
	v_add_f64 v[2:3], v[26:27], -v[2:3]
	v_add_f64 v[4:5], v[28:29], -v[4:5]
	scratch_store_b128 off, v[2:5], off offset:784
	v_cmpx_lt_u32_e32 48, v179
	s_cbranch_execz .LBB126_307
; %bb.306:
	scratch_load_b32 v2, off, off offset:1400 ; 4-byte Folded Reload
	v_mov_b32_e32 v3, v1
	v_mov_b32_e32 v4, v1
	s_waitcnt vmcnt(0)
	scratch_load_b128 v[5:8], v2, off
	v_mov_b32_e32 v2, v1
	scratch_store_b128 off, v[1:4], off offset:768
	s_waitcnt vmcnt(0)
	ds_store_b128 v244, v[5:8]
.LBB126_307:
	s_or_b32 exec_lo, exec_lo, s2
	s_waitcnt lgkmcnt(0)
	s_waitcnt_vscnt null, 0x0
	s_barrier
	buffer_gl0_inv
	s_clause 0x4
	scratch_load_b128 v[2:5], off, off offset:784
	scratch_load_b128 v[6:9], off, off offset:800
	;; [unrolled: 1-line block ×5, first 2 shown]
	ds_load_b128 v[22:25], v1 offset:1792
	ds_load_b128 v[26:29], v1 offset:1808
	scratch_load_b128 v[30:33], off, off offset:768
	s_mov_b32 s2, exec_lo
	s_waitcnt vmcnt(5) lgkmcnt(1)
	v_mul_f64 v[34:35], v[24:25], v[4:5]
	v_mul_f64 v[4:5], v[22:23], v[4:5]
	s_waitcnt vmcnt(4) lgkmcnt(0)
	v_mul_f64 v[36:37], v[26:27], v[8:9]
	v_mul_f64 v[8:9], v[28:29], v[8:9]
	s_delay_alu instid0(VALU_DEP_4) | instskip(NEXT) | instid1(VALU_DEP_4)
	v_fma_f64 v[22:23], v[22:23], v[2:3], -v[34:35]
	v_fma_f64 v[24:25], v[24:25], v[2:3], v[4:5]
	ds_load_b128 v[2:5], v1 offset:1824
	v_fma_f64 v[28:29], v[28:29], v[6:7], v[36:37]
	v_fma_f64 v[26:27], v[26:27], v[6:7], -v[8:9]
	ds_load_b128 v[6:9], v1 offset:1840
	s_waitcnt vmcnt(3) lgkmcnt(1)
	v_mul_f64 v[34:35], v[2:3], v[12:13]
	v_mul_f64 v[12:13], v[4:5], v[12:13]
	s_waitcnt vmcnt(2) lgkmcnt(0)
	v_mul_f64 v[36:37], v[6:7], v[16:17]
	s_delay_alu instid0(VALU_DEP_3) | instskip(NEXT) | instid1(VALU_DEP_3)
	v_fma_f64 v[34:35], v[4:5], v[10:11], v[34:35]
	v_fma_f64 v[38:39], v[2:3], v[10:11], -v[12:13]
	v_mul_f64 v[10:11], v[8:9], v[16:17]
	ds_load_b128 v[2:5], v1 offset:1856
	v_fma_f64 v[16:17], v[8:9], v[14:15], v[36:37]
	v_fma_f64 v[14:15], v[6:7], v[14:15], -v[10:11]
	ds_load_b128 v[6:9], v1 offset:1872
	s_waitcnt vmcnt(1) lgkmcnt(1)
	v_mul_f64 v[10:11], v[2:3], v[20:21]
	v_mul_f64 v[12:13], v[4:5], v[20:21]
	s_delay_alu instid0(VALU_DEP_2) | instskip(NEXT) | instid1(VALU_DEP_2)
	v_fma_f64 v[20:21], v[4:5], v[18:19], v[10:11]
	v_fma_f64 v[18:19], v[2:3], v[18:19], -v[12:13]
	s_clause 0x1
	scratch_load_b128 v[2:5], off, off offset:864
	scratch_load_b128 v[10:13], off, off offset:880
	s_waitcnt vmcnt(1) lgkmcnt(0)
	v_mul_f64 v[36:37], v[6:7], v[4:5]
	v_mul_f64 v[4:5], v[8:9], v[4:5]
	s_delay_alu instid0(VALU_DEP_2) | instskip(NEXT) | instid1(VALU_DEP_2)
	v_fma_f64 v[36:37], v[8:9], v[2:3], v[36:37]
	v_fma_f64 v[40:41], v[6:7], v[2:3], -v[4:5]
	ds_load_b128 v[2:5], v1 offset:1888
	ds_load_b128 v[6:9], v1 offset:1904
	s_waitcnt vmcnt(0) lgkmcnt(1)
	v_mul_f64 v[42:43], v[2:3], v[12:13]
	s_delay_alu instid0(VALU_DEP_1) | instskip(SKIP_1) | instid1(VALU_DEP_1)
	v_fma_f64 v[42:43], v[4:5], v[10:11], v[42:43]
	v_mul_f64 v[4:5], v[4:5], v[12:13]
	v_fma_f64 v[44:45], v[2:3], v[10:11], -v[4:5]
	s_clause 0x1
	scratch_load_b128 v[2:5], off, off offset:896
	scratch_load_b128 v[10:13], off, off offset:912
	s_waitcnt vmcnt(1) lgkmcnt(0)
	v_mul_f64 v[46:47], v[6:7], v[4:5]
	v_mul_f64 v[4:5], v[8:9], v[4:5]
	s_delay_alu instid0(VALU_DEP_2) | instskip(NEXT) | instid1(VALU_DEP_2)
	v_fma_f64 v[46:47], v[8:9], v[2:3], v[46:47]
	v_fma_f64 v[48:49], v[6:7], v[2:3], -v[4:5]
	ds_load_b128 v[2:5], v1 offset:1920
	ds_load_b128 v[6:9], v1 offset:1936
	s_waitcnt vmcnt(0) lgkmcnt(1)
	v_mul_f64 v[58:59], v[2:3], v[12:13]
	s_delay_alu instid0(VALU_DEP_1) | instskip(SKIP_1) | instid1(VALU_DEP_1)
	v_fma_f64 v[58:59], v[4:5], v[10:11], v[58:59]
	v_mul_f64 v[4:5], v[4:5], v[12:13]
	;; [unrolled: 17-line block ×3, first 2 shown]
	v_fma_f64 v[68:69], v[2:3], v[10:11], -v[4:5]
	v_add_f64 v[2:3], v[22:23], 0
	v_add_f64 v[4:5], v[24:25], 0
	s_delay_alu instid0(VALU_DEP_2) | instskip(NEXT) | instid1(VALU_DEP_2)
	v_add_f64 v[2:3], v[2:3], v[26:27]
	v_add_f64 v[4:5], v[4:5], v[28:29]
	s_delay_alu instid0(VALU_DEP_2) | instskip(NEXT) | instid1(VALU_DEP_2)
	;; [unrolled: 3-line block ×4, first 2 shown]
	v_add_f64 v[2:3], v[2:3], v[18:19]
	v_add_f64 v[10:11], v[4:5], v[20:21]
	s_delay_alu instid0(VALU_DEP_2)
	v_add_f64 v[12:13], v[2:3], v[40:41]
	scratch_load_b128 v[2:5], off, off offset:960
	v_add_f64 v[14:15], v[10:11], v[36:37]
	v_add_f64 v[16:17], v[12:13], v[44:45]
	scratch_load_b128 v[10:13], off, off offset:976
	v_add_f64 v[18:19], v[14:15], v[42:43]
	;; [unrolled: 3-line block ×3, first 2 shown]
	v_add_f64 v[20:21], v[20:21], v[60:61]
	s_delay_alu instid0(VALU_DEP_2) | instskip(NEXT) | instid1(VALU_DEP_2)
	v_add_f64 v[18:19], v[18:19], v[58:59]
	v_add_f64 v[28:29], v[20:21], v[64:65]
	s_delay_alu instid0(VALU_DEP_2)
	v_add_f64 v[34:35], v[18:19], v[62:63]
	ds_load_b128 v[18:21], v1 offset:1984
	ds_load_b128 v[22:25], v1 offset:2000
	s_waitcnt vmcnt(2) lgkmcnt(2)
	v_mul_f64 v[26:27], v[6:7], v[4:5]
	v_mul_f64 v[4:5], v[8:9], v[4:5]
	s_waitcnt vmcnt(1) lgkmcnt(1)
	v_mul_f64 v[36:37], v[18:19], v[12:13]
	s_delay_alu instid0(VALU_DEP_3) | instskip(NEXT) | instid1(VALU_DEP_3)
	v_fma_f64 v[8:9], v[8:9], v[2:3], v[26:27]
	v_fma_f64 v[1:2], v[6:7], v[2:3], -v[4:5]
	v_mul_f64 v[3:4], v[20:21], v[12:13]
	v_add_f64 v[5:6], v[28:29], v[68:69]
	v_add_f64 v[12:13], v[34:35], v[66:67]
	s_waitcnt vmcnt(0) lgkmcnt(0)
	v_mul_f64 v[26:27], v[22:23], v[16:17]
	v_mul_f64 v[16:17], v[24:25], v[16:17]
	v_fma_f64 v[20:21], v[20:21], v[10:11], v[36:37]
	v_fma_f64 v[3:4], v[18:19], v[10:11], -v[3:4]
	v_add_f64 v[1:2], v[5:6], v[1:2]
	v_add_f64 v[5:6], v[12:13], v[8:9]
	v_fma_f64 v[7:8], v[24:25], v[14:15], v[26:27]
	v_fma_f64 v[9:10], v[22:23], v[14:15], -v[16:17]
	s_delay_alu instid0(VALU_DEP_4) | instskip(NEXT) | instid1(VALU_DEP_4)
	v_add_f64 v[1:2], v[1:2], v[3:4]
	v_add_f64 v[3:4], v[5:6], v[20:21]
	s_delay_alu instid0(VALU_DEP_2) | instskip(NEXT) | instid1(VALU_DEP_2)
	v_add_f64 v[1:2], v[1:2], v[9:10]
	v_add_f64 v[3:4], v[3:4], v[7:8]
	s_delay_alu instid0(VALU_DEP_2) | instskip(NEXT) | instid1(VALU_DEP_2)
	v_add_f64 v[1:2], v[30:31], -v[1:2]
	v_add_f64 v[3:4], v[32:33], -v[3:4]
	scratch_store_b128 off, v[1:4], off offset:768
	v_cmpx_lt_u32_e32 47, v179
	s_cbranch_execz .LBB126_309
; %bb.308:
	scratch_load_b32 v1, off, off offset:1404 ; 4-byte Folded Reload
	v_mov_b32_e32 v5, 0
	s_delay_alu instid0(VALU_DEP_1)
	v_mov_b32_e32 v6, v5
	v_mov_b32_e32 v7, v5
	;; [unrolled: 1-line block ×3, first 2 shown]
	s_waitcnt vmcnt(0)
	scratch_load_b128 v[1:4], v1, off
	scratch_store_b128 off, v[5:8], off offset:752
	s_waitcnt vmcnt(0)
	ds_store_b128 v244, v[1:4]
.LBB126_309:
	s_or_b32 exec_lo, exec_lo, s2
	s_waitcnt lgkmcnt(0)
	s_waitcnt_vscnt null, 0x0
	s_barrier
	buffer_gl0_inv
	s_clause 0x4
	scratch_load_b128 v[2:5], off, off offset:768
	scratch_load_b128 v[6:9], off, off offset:784
	;; [unrolled: 1-line block ×5, first 2 shown]
	v_mov_b32_e32 v1, 0
	scratch_load_b128 v[26:29], off, off offset:752
	s_mov_b32 s2, exec_lo
	ds_load_b128 v[22:25], v1 offset:1776
	ds_load_b128 v[30:33], v1 offset:1792
	s_waitcnt vmcnt(5) lgkmcnt(1)
	v_mul_f64 v[34:35], v[24:25], v[4:5]
	v_mul_f64 v[4:5], v[22:23], v[4:5]
	s_waitcnt vmcnt(4) lgkmcnt(0)
	v_mul_f64 v[36:37], v[30:31], v[8:9]
	v_mul_f64 v[8:9], v[32:33], v[8:9]
	s_delay_alu instid0(VALU_DEP_4) | instskip(NEXT) | instid1(VALU_DEP_4)
	v_fma_f64 v[22:23], v[22:23], v[2:3], -v[34:35]
	v_fma_f64 v[24:25], v[24:25], v[2:3], v[4:5]
	ds_load_b128 v[2:5], v1 offset:1808
	v_fma_f64 v[32:33], v[32:33], v[6:7], v[36:37]
	v_fma_f64 v[30:31], v[30:31], v[6:7], -v[8:9]
	ds_load_b128 v[6:9], v1 offset:1824
	s_waitcnt vmcnt(3) lgkmcnt(1)
	v_mul_f64 v[34:35], v[2:3], v[12:13]
	v_mul_f64 v[12:13], v[4:5], v[12:13]
	s_waitcnt vmcnt(2) lgkmcnt(0)
	v_mul_f64 v[36:37], v[6:7], v[16:17]
	s_delay_alu instid0(VALU_DEP_3) | instskip(NEXT) | instid1(VALU_DEP_3)
	v_fma_f64 v[34:35], v[4:5], v[10:11], v[34:35]
	v_fma_f64 v[38:39], v[2:3], v[10:11], -v[12:13]
	v_mul_f64 v[10:11], v[8:9], v[16:17]
	ds_load_b128 v[2:5], v1 offset:1840
	v_fma_f64 v[16:17], v[8:9], v[14:15], v[36:37]
	v_fma_f64 v[14:15], v[6:7], v[14:15], -v[10:11]
	ds_load_b128 v[6:9], v1 offset:1856
	s_waitcnt vmcnt(1) lgkmcnt(1)
	v_mul_f64 v[10:11], v[2:3], v[20:21]
	v_mul_f64 v[12:13], v[4:5], v[20:21]
	s_delay_alu instid0(VALU_DEP_2) | instskip(NEXT) | instid1(VALU_DEP_2)
	v_fma_f64 v[20:21], v[4:5], v[18:19], v[10:11]
	v_fma_f64 v[18:19], v[2:3], v[18:19], -v[12:13]
	s_clause 0x1
	scratch_load_b128 v[2:5], off, off offset:848
	scratch_load_b128 v[10:13], off, off offset:864
	s_waitcnt vmcnt(1) lgkmcnt(0)
	v_mul_f64 v[36:37], v[6:7], v[4:5]
	v_mul_f64 v[4:5], v[8:9], v[4:5]
	s_delay_alu instid0(VALU_DEP_2) | instskip(NEXT) | instid1(VALU_DEP_2)
	v_fma_f64 v[36:37], v[8:9], v[2:3], v[36:37]
	v_fma_f64 v[40:41], v[6:7], v[2:3], -v[4:5]
	ds_load_b128 v[2:5], v1 offset:1872
	ds_load_b128 v[6:9], v1 offset:1888
	s_waitcnt vmcnt(0) lgkmcnt(1)
	v_mul_f64 v[42:43], v[2:3], v[12:13]
	s_delay_alu instid0(VALU_DEP_1) | instskip(SKIP_1) | instid1(VALU_DEP_1)
	v_fma_f64 v[42:43], v[4:5], v[10:11], v[42:43]
	v_mul_f64 v[4:5], v[4:5], v[12:13]
	v_fma_f64 v[44:45], v[2:3], v[10:11], -v[4:5]
	s_clause 0x1
	scratch_load_b128 v[2:5], off, off offset:880
	scratch_load_b128 v[10:13], off, off offset:896
	s_waitcnt vmcnt(1) lgkmcnt(0)
	v_mul_f64 v[46:47], v[6:7], v[4:5]
	v_mul_f64 v[4:5], v[8:9], v[4:5]
	s_delay_alu instid0(VALU_DEP_2) | instskip(NEXT) | instid1(VALU_DEP_2)
	v_fma_f64 v[46:47], v[8:9], v[2:3], v[46:47]
	v_fma_f64 v[48:49], v[6:7], v[2:3], -v[4:5]
	ds_load_b128 v[2:5], v1 offset:1904
	ds_load_b128 v[6:9], v1 offset:1920
	s_waitcnt vmcnt(0) lgkmcnt(1)
	v_mul_f64 v[58:59], v[2:3], v[12:13]
	s_delay_alu instid0(VALU_DEP_1) | instskip(SKIP_1) | instid1(VALU_DEP_1)
	v_fma_f64 v[58:59], v[4:5], v[10:11], v[58:59]
	v_mul_f64 v[4:5], v[4:5], v[12:13]
	;; [unrolled: 17-line block ×3, first 2 shown]
	v_fma_f64 v[68:69], v[2:3], v[10:11], -v[4:5]
	v_add_f64 v[2:3], v[22:23], 0
	v_add_f64 v[4:5], v[24:25], 0
	s_delay_alu instid0(VALU_DEP_2) | instskip(NEXT) | instid1(VALU_DEP_2)
	v_add_f64 v[2:3], v[2:3], v[30:31]
	v_add_f64 v[4:5], v[4:5], v[32:33]
	s_delay_alu instid0(VALU_DEP_2) | instskip(NEXT) | instid1(VALU_DEP_2)
	;; [unrolled: 3-line block ×4, first 2 shown]
	v_add_f64 v[2:3], v[2:3], v[18:19]
	v_add_f64 v[10:11], v[4:5], v[20:21]
	s_delay_alu instid0(VALU_DEP_2)
	v_add_f64 v[12:13], v[2:3], v[40:41]
	scratch_load_b128 v[2:5], off, off offset:944
	v_add_f64 v[14:15], v[10:11], v[36:37]
	v_add_f64 v[16:17], v[12:13], v[44:45]
	scratch_load_b128 v[10:13], off, off offset:960
	v_add_f64 v[18:19], v[14:15], v[42:43]
	;; [unrolled: 3-line block ×4, first 2 shown]
	v_add_f64 v[24:25], v[24:25], v[64:65]
	s_delay_alu instid0(VALU_DEP_2) | instskip(NEXT) | instid1(VALU_DEP_2)
	v_add_f64 v[22:23], v[22:23], v[62:63]
	v_add_f64 v[24:25], v[24:25], v[68:69]
	s_delay_alu instid0(VALU_DEP_2) | instskip(SKIP_3) | instid1(VALU_DEP_2)
	v_add_f64 v[22:23], v[22:23], v[66:67]
	s_waitcnt vmcnt(3) lgkmcnt(0)
	v_mul_f64 v[30:31], v[6:7], v[4:5]
	v_mul_f64 v[4:5], v[8:9], v[4:5]
	v_fma_f64 v[30:31], v[8:9], v[2:3], v[30:31]
	s_delay_alu instid0(VALU_DEP_2)
	v_fma_f64 v[32:33], v[6:7], v[2:3], -v[4:5]
	ds_load_b128 v[2:5], v1 offset:1968
	ds_load_b128 v[6:9], v1 offset:1984
	s_waitcnt vmcnt(2) lgkmcnt(1)
	v_mul_f64 v[34:35], v[2:3], v[12:13]
	v_mul_f64 v[12:13], v[4:5], v[12:13]
	s_waitcnt vmcnt(1) lgkmcnt(0)
	v_mul_f64 v[36:37], v[6:7], v[16:17]
	v_add_f64 v[22:23], v[22:23], v[30:31]
	s_delay_alu instid0(VALU_DEP_4) | instskip(NEXT) | instid1(VALU_DEP_4)
	v_fma_f64 v[34:35], v[4:5], v[10:11], v[34:35]
	v_fma_f64 v[10:11], v[2:3], v[10:11], -v[12:13]
	v_mul_f64 v[12:13], v[8:9], v[16:17]
	v_add_f64 v[16:17], v[24:25], v[32:33]
	ds_load_b128 v[2:5], v1 offset:2000
	v_fma_f64 v[8:9], v[8:9], v[14:15], v[36:37]
	s_waitcnt vmcnt(0) lgkmcnt(0)
	v_mul_f64 v[24:25], v[2:3], v[20:21]
	v_mul_f64 v[20:21], v[4:5], v[20:21]
	v_fma_f64 v[6:7], v[6:7], v[14:15], -v[12:13]
	v_add_f64 v[10:11], v[16:17], v[10:11]
	v_add_f64 v[12:13], v[22:23], v[34:35]
	v_fma_f64 v[4:5], v[4:5], v[18:19], v[24:25]
	v_fma_f64 v[2:3], v[2:3], v[18:19], -v[20:21]
	s_delay_alu instid0(VALU_DEP_4) | instskip(NEXT) | instid1(VALU_DEP_4)
	v_add_f64 v[6:7], v[10:11], v[6:7]
	v_add_f64 v[8:9], v[12:13], v[8:9]
	s_delay_alu instid0(VALU_DEP_2) | instskip(NEXT) | instid1(VALU_DEP_2)
	v_add_f64 v[2:3], v[6:7], v[2:3]
	v_add_f64 v[4:5], v[8:9], v[4:5]
	s_delay_alu instid0(VALU_DEP_2) | instskip(NEXT) | instid1(VALU_DEP_2)
	v_add_f64 v[2:3], v[26:27], -v[2:3]
	v_add_f64 v[4:5], v[28:29], -v[4:5]
	scratch_store_b128 off, v[2:5], off offset:752
	v_cmpx_lt_u32_e32 46, v179
	s_cbranch_execz .LBB126_311
; %bb.310:
	scratch_load_b32 v2, off, off offset:1408 ; 4-byte Folded Reload
	v_mov_b32_e32 v3, v1
	v_mov_b32_e32 v4, v1
	s_waitcnt vmcnt(0)
	scratch_load_b128 v[5:8], v2, off
	v_mov_b32_e32 v2, v1
	scratch_store_b128 off, v[1:4], off offset:736
	s_waitcnt vmcnt(0)
	ds_store_b128 v244, v[5:8]
.LBB126_311:
	s_or_b32 exec_lo, exec_lo, s2
	s_waitcnt lgkmcnt(0)
	s_waitcnt_vscnt null, 0x0
	s_barrier
	buffer_gl0_inv
	s_clause 0x4
	scratch_load_b128 v[2:5], off, off offset:752
	scratch_load_b128 v[6:9], off, off offset:768
	;; [unrolled: 1-line block ×5, first 2 shown]
	ds_load_b128 v[22:25], v1 offset:1760
	ds_load_b128 v[26:29], v1 offset:1776
	scratch_load_b128 v[30:33], off, off offset:736
	s_mov_b32 s2, exec_lo
	s_waitcnt vmcnt(5) lgkmcnt(1)
	v_mul_f64 v[34:35], v[24:25], v[4:5]
	v_mul_f64 v[4:5], v[22:23], v[4:5]
	s_waitcnt vmcnt(4) lgkmcnt(0)
	v_mul_f64 v[36:37], v[26:27], v[8:9]
	v_mul_f64 v[8:9], v[28:29], v[8:9]
	s_delay_alu instid0(VALU_DEP_4) | instskip(NEXT) | instid1(VALU_DEP_4)
	v_fma_f64 v[22:23], v[22:23], v[2:3], -v[34:35]
	v_fma_f64 v[24:25], v[24:25], v[2:3], v[4:5]
	ds_load_b128 v[2:5], v1 offset:1792
	v_fma_f64 v[28:29], v[28:29], v[6:7], v[36:37]
	v_fma_f64 v[26:27], v[26:27], v[6:7], -v[8:9]
	ds_load_b128 v[6:9], v1 offset:1808
	s_waitcnt vmcnt(3) lgkmcnt(1)
	v_mul_f64 v[34:35], v[2:3], v[12:13]
	v_mul_f64 v[12:13], v[4:5], v[12:13]
	s_waitcnt vmcnt(2) lgkmcnt(0)
	v_mul_f64 v[36:37], v[6:7], v[16:17]
	s_delay_alu instid0(VALU_DEP_3) | instskip(NEXT) | instid1(VALU_DEP_3)
	v_fma_f64 v[34:35], v[4:5], v[10:11], v[34:35]
	v_fma_f64 v[38:39], v[2:3], v[10:11], -v[12:13]
	v_mul_f64 v[10:11], v[8:9], v[16:17]
	ds_load_b128 v[2:5], v1 offset:1824
	v_fma_f64 v[16:17], v[8:9], v[14:15], v[36:37]
	v_fma_f64 v[14:15], v[6:7], v[14:15], -v[10:11]
	ds_load_b128 v[6:9], v1 offset:1840
	s_waitcnt vmcnt(1) lgkmcnt(1)
	v_mul_f64 v[10:11], v[2:3], v[20:21]
	v_mul_f64 v[12:13], v[4:5], v[20:21]
	s_delay_alu instid0(VALU_DEP_2) | instskip(NEXT) | instid1(VALU_DEP_2)
	v_fma_f64 v[20:21], v[4:5], v[18:19], v[10:11]
	v_fma_f64 v[18:19], v[2:3], v[18:19], -v[12:13]
	s_clause 0x1
	scratch_load_b128 v[2:5], off, off offset:832
	scratch_load_b128 v[10:13], off, off offset:848
	s_waitcnt vmcnt(1) lgkmcnt(0)
	v_mul_f64 v[36:37], v[6:7], v[4:5]
	v_mul_f64 v[4:5], v[8:9], v[4:5]
	s_delay_alu instid0(VALU_DEP_2) | instskip(NEXT) | instid1(VALU_DEP_2)
	v_fma_f64 v[36:37], v[8:9], v[2:3], v[36:37]
	v_fma_f64 v[40:41], v[6:7], v[2:3], -v[4:5]
	ds_load_b128 v[2:5], v1 offset:1856
	ds_load_b128 v[6:9], v1 offset:1872
	s_waitcnt vmcnt(0) lgkmcnt(1)
	v_mul_f64 v[42:43], v[2:3], v[12:13]
	s_delay_alu instid0(VALU_DEP_1) | instskip(SKIP_1) | instid1(VALU_DEP_1)
	v_fma_f64 v[42:43], v[4:5], v[10:11], v[42:43]
	v_mul_f64 v[4:5], v[4:5], v[12:13]
	v_fma_f64 v[44:45], v[2:3], v[10:11], -v[4:5]
	s_clause 0x1
	scratch_load_b128 v[2:5], off, off offset:864
	scratch_load_b128 v[10:13], off, off offset:880
	s_waitcnt vmcnt(1) lgkmcnt(0)
	v_mul_f64 v[46:47], v[6:7], v[4:5]
	v_mul_f64 v[4:5], v[8:9], v[4:5]
	s_delay_alu instid0(VALU_DEP_2) | instskip(NEXT) | instid1(VALU_DEP_2)
	v_fma_f64 v[46:47], v[8:9], v[2:3], v[46:47]
	v_fma_f64 v[48:49], v[6:7], v[2:3], -v[4:5]
	ds_load_b128 v[2:5], v1 offset:1888
	ds_load_b128 v[6:9], v1 offset:1904
	s_waitcnt vmcnt(0) lgkmcnt(1)
	v_mul_f64 v[58:59], v[2:3], v[12:13]
	s_delay_alu instid0(VALU_DEP_1) | instskip(SKIP_1) | instid1(VALU_DEP_1)
	v_fma_f64 v[58:59], v[4:5], v[10:11], v[58:59]
	v_mul_f64 v[4:5], v[4:5], v[12:13]
	;; [unrolled: 17-line block ×4, first 2 shown]
	v_fma_f64 v[91:92], v[2:3], v[10:11], -v[4:5]
	v_add_f64 v[2:3], v[22:23], 0
	v_add_f64 v[4:5], v[24:25], 0
	s_delay_alu instid0(VALU_DEP_2) | instskip(NEXT) | instid1(VALU_DEP_2)
	v_add_f64 v[2:3], v[2:3], v[26:27]
	v_add_f64 v[4:5], v[4:5], v[28:29]
	s_delay_alu instid0(VALU_DEP_2) | instskip(NEXT) | instid1(VALU_DEP_2)
	;; [unrolled: 3-line block ×6, first 2 shown]
	v_add_f64 v[2:3], v[2:3], v[44:45]
	v_add_f64 v[10:11], v[4:5], v[42:43]
	s_delay_alu instid0(VALU_DEP_2)
	v_add_f64 v[12:13], v[2:3], v[48:49]
	scratch_load_b128 v[2:5], off, off offset:960
	v_add_f64 v[14:15], v[10:11], v[46:47]
	v_add_f64 v[16:17], v[12:13], v[60:61]
	scratch_load_b128 v[10:13], off, off offset:976
	v_add_f64 v[18:19], v[14:15], v[58:59]
	;; [unrolled: 3-line block ×3, first 2 shown]
	v_add_f64 v[20:21], v[20:21], v[68:69]
	s_delay_alu instid0(VALU_DEP_2) | instskip(NEXT) | instid1(VALU_DEP_2)
	v_add_f64 v[18:19], v[18:19], v[66:67]
	v_add_f64 v[28:29], v[20:21], v[72:73]
	s_delay_alu instid0(VALU_DEP_2)
	v_add_f64 v[34:35], v[18:19], v[70:71]
	ds_load_b128 v[18:21], v1 offset:1984
	ds_load_b128 v[22:25], v1 offset:2000
	s_waitcnt vmcnt(2) lgkmcnt(2)
	v_mul_f64 v[26:27], v[6:7], v[4:5]
	v_mul_f64 v[4:5], v[8:9], v[4:5]
	s_waitcnt vmcnt(1) lgkmcnt(1)
	v_mul_f64 v[36:37], v[18:19], v[12:13]
	s_delay_alu instid0(VALU_DEP_3) | instskip(NEXT) | instid1(VALU_DEP_3)
	v_fma_f64 v[8:9], v[8:9], v[2:3], v[26:27]
	v_fma_f64 v[1:2], v[6:7], v[2:3], -v[4:5]
	v_mul_f64 v[3:4], v[20:21], v[12:13]
	v_add_f64 v[5:6], v[28:29], v[91:92]
	v_add_f64 v[12:13], v[34:35], v[89:90]
	s_waitcnt vmcnt(0) lgkmcnt(0)
	v_mul_f64 v[26:27], v[22:23], v[16:17]
	v_mul_f64 v[16:17], v[24:25], v[16:17]
	v_fma_f64 v[20:21], v[20:21], v[10:11], v[36:37]
	v_fma_f64 v[3:4], v[18:19], v[10:11], -v[3:4]
	v_add_f64 v[1:2], v[5:6], v[1:2]
	v_add_f64 v[5:6], v[12:13], v[8:9]
	v_fma_f64 v[7:8], v[24:25], v[14:15], v[26:27]
	v_fma_f64 v[9:10], v[22:23], v[14:15], -v[16:17]
	s_delay_alu instid0(VALU_DEP_4) | instskip(NEXT) | instid1(VALU_DEP_4)
	v_add_f64 v[1:2], v[1:2], v[3:4]
	v_add_f64 v[3:4], v[5:6], v[20:21]
	s_delay_alu instid0(VALU_DEP_2) | instskip(NEXT) | instid1(VALU_DEP_2)
	v_add_f64 v[1:2], v[1:2], v[9:10]
	v_add_f64 v[3:4], v[3:4], v[7:8]
	s_delay_alu instid0(VALU_DEP_2) | instskip(NEXT) | instid1(VALU_DEP_2)
	v_add_f64 v[1:2], v[30:31], -v[1:2]
	v_add_f64 v[3:4], v[32:33], -v[3:4]
	scratch_store_b128 off, v[1:4], off offset:736
	v_cmpx_lt_u32_e32 45, v179
	s_cbranch_execz .LBB126_313
; %bb.312:
	scratch_load_b32 v1, off, off offset:1412 ; 4-byte Folded Reload
	v_mov_b32_e32 v5, 0
	s_delay_alu instid0(VALU_DEP_1)
	v_mov_b32_e32 v6, v5
	v_mov_b32_e32 v7, v5
	;; [unrolled: 1-line block ×3, first 2 shown]
	s_waitcnt vmcnt(0)
	scratch_load_b128 v[1:4], v1, off
	scratch_store_b128 off, v[5:8], off offset:720
	s_waitcnt vmcnt(0)
	ds_store_b128 v244, v[1:4]
.LBB126_313:
	s_or_b32 exec_lo, exec_lo, s2
	s_waitcnt lgkmcnt(0)
	s_waitcnt_vscnt null, 0x0
	s_barrier
	buffer_gl0_inv
	s_clause 0x4
	scratch_load_b128 v[2:5], off, off offset:736
	scratch_load_b128 v[6:9], off, off offset:752
	;; [unrolled: 1-line block ×5, first 2 shown]
	v_mov_b32_e32 v1, 0
	scratch_load_b128 v[26:29], off, off offset:720
	s_mov_b32 s2, exec_lo
	ds_load_b128 v[22:25], v1 offset:1744
	ds_load_b128 v[30:33], v1 offset:1760
	s_waitcnt vmcnt(5) lgkmcnt(1)
	v_mul_f64 v[34:35], v[24:25], v[4:5]
	v_mul_f64 v[4:5], v[22:23], v[4:5]
	s_waitcnt vmcnt(4) lgkmcnt(0)
	v_mul_f64 v[36:37], v[30:31], v[8:9]
	v_mul_f64 v[8:9], v[32:33], v[8:9]
	s_delay_alu instid0(VALU_DEP_4) | instskip(NEXT) | instid1(VALU_DEP_4)
	v_fma_f64 v[22:23], v[22:23], v[2:3], -v[34:35]
	v_fma_f64 v[24:25], v[24:25], v[2:3], v[4:5]
	ds_load_b128 v[2:5], v1 offset:1776
	v_fma_f64 v[32:33], v[32:33], v[6:7], v[36:37]
	v_fma_f64 v[30:31], v[30:31], v[6:7], -v[8:9]
	ds_load_b128 v[6:9], v1 offset:1792
	s_waitcnt vmcnt(3) lgkmcnt(1)
	v_mul_f64 v[34:35], v[2:3], v[12:13]
	v_mul_f64 v[12:13], v[4:5], v[12:13]
	s_waitcnt vmcnt(2) lgkmcnt(0)
	v_mul_f64 v[36:37], v[6:7], v[16:17]
	s_delay_alu instid0(VALU_DEP_3) | instskip(NEXT) | instid1(VALU_DEP_3)
	v_fma_f64 v[34:35], v[4:5], v[10:11], v[34:35]
	v_fma_f64 v[38:39], v[2:3], v[10:11], -v[12:13]
	v_mul_f64 v[10:11], v[8:9], v[16:17]
	ds_load_b128 v[2:5], v1 offset:1808
	v_fma_f64 v[16:17], v[8:9], v[14:15], v[36:37]
	v_fma_f64 v[14:15], v[6:7], v[14:15], -v[10:11]
	ds_load_b128 v[6:9], v1 offset:1824
	s_waitcnt vmcnt(1) lgkmcnt(1)
	v_mul_f64 v[10:11], v[2:3], v[20:21]
	v_mul_f64 v[12:13], v[4:5], v[20:21]
	s_delay_alu instid0(VALU_DEP_2) | instskip(NEXT) | instid1(VALU_DEP_2)
	v_fma_f64 v[20:21], v[4:5], v[18:19], v[10:11]
	v_fma_f64 v[18:19], v[2:3], v[18:19], -v[12:13]
	s_clause 0x1
	scratch_load_b128 v[2:5], off, off offset:816
	scratch_load_b128 v[10:13], off, off offset:832
	s_waitcnt vmcnt(1) lgkmcnt(0)
	v_mul_f64 v[36:37], v[6:7], v[4:5]
	v_mul_f64 v[4:5], v[8:9], v[4:5]
	s_delay_alu instid0(VALU_DEP_2) | instskip(NEXT) | instid1(VALU_DEP_2)
	v_fma_f64 v[36:37], v[8:9], v[2:3], v[36:37]
	v_fma_f64 v[40:41], v[6:7], v[2:3], -v[4:5]
	ds_load_b128 v[2:5], v1 offset:1840
	ds_load_b128 v[6:9], v1 offset:1856
	s_waitcnt vmcnt(0) lgkmcnt(1)
	v_mul_f64 v[42:43], v[2:3], v[12:13]
	s_delay_alu instid0(VALU_DEP_1) | instskip(SKIP_1) | instid1(VALU_DEP_1)
	v_fma_f64 v[42:43], v[4:5], v[10:11], v[42:43]
	v_mul_f64 v[4:5], v[4:5], v[12:13]
	v_fma_f64 v[44:45], v[2:3], v[10:11], -v[4:5]
	s_clause 0x1
	scratch_load_b128 v[2:5], off, off offset:848
	scratch_load_b128 v[10:13], off, off offset:864
	s_waitcnt vmcnt(1) lgkmcnt(0)
	v_mul_f64 v[46:47], v[6:7], v[4:5]
	v_mul_f64 v[4:5], v[8:9], v[4:5]
	s_delay_alu instid0(VALU_DEP_2) | instskip(NEXT) | instid1(VALU_DEP_2)
	v_fma_f64 v[46:47], v[8:9], v[2:3], v[46:47]
	v_fma_f64 v[48:49], v[6:7], v[2:3], -v[4:5]
	ds_load_b128 v[2:5], v1 offset:1872
	ds_load_b128 v[6:9], v1 offset:1888
	s_waitcnt vmcnt(0) lgkmcnt(1)
	v_mul_f64 v[58:59], v[2:3], v[12:13]
	s_delay_alu instid0(VALU_DEP_1) | instskip(SKIP_1) | instid1(VALU_DEP_1)
	v_fma_f64 v[58:59], v[4:5], v[10:11], v[58:59]
	v_mul_f64 v[4:5], v[4:5], v[12:13]
	;; [unrolled: 17-line block ×4, first 2 shown]
	v_fma_f64 v[91:92], v[2:3], v[10:11], -v[4:5]
	v_add_f64 v[2:3], v[22:23], 0
	v_add_f64 v[4:5], v[24:25], 0
	s_delay_alu instid0(VALU_DEP_2) | instskip(NEXT) | instid1(VALU_DEP_2)
	v_add_f64 v[2:3], v[2:3], v[30:31]
	v_add_f64 v[4:5], v[4:5], v[32:33]
	s_delay_alu instid0(VALU_DEP_2) | instskip(NEXT) | instid1(VALU_DEP_2)
	;; [unrolled: 3-line block ×6, first 2 shown]
	v_add_f64 v[2:3], v[2:3], v[44:45]
	v_add_f64 v[10:11], v[4:5], v[42:43]
	s_delay_alu instid0(VALU_DEP_2)
	v_add_f64 v[12:13], v[2:3], v[48:49]
	scratch_load_b128 v[2:5], off, off offset:944
	v_add_f64 v[14:15], v[10:11], v[46:47]
	v_add_f64 v[16:17], v[12:13], v[60:61]
	scratch_load_b128 v[10:13], off, off offset:960
	v_add_f64 v[18:19], v[14:15], v[58:59]
	;; [unrolled: 3-line block ×4, first 2 shown]
	v_add_f64 v[24:25], v[24:25], v[72:73]
	s_delay_alu instid0(VALU_DEP_2) | instskip(NEXT) | instid1(VALU_DEP_2)
	v_add_f64 v[22:23], v[22:23], v[70:71]
	v_add_f64 v[24:25], v[24:25], v[91:92]
	s_delay_alu instid0(VALU_DEP_2) | instskip(SKIP_3) | instid1(VALU_DEP_2)
	v_add_f64 v[22:23], v[22:23], v[89:90]
	s_waitcnt vmcnt(3) lgkmcnt(0)
	v_mul_f64 v[30:31], v[6:7], v[4:5]
	v_mul_f64 v[4:5], v[8:9], v[4:5]
	v_fma_f64 v[30:31], v[8:9], v[2:3], v[30:31]
	s_delay_alu instid0(VALU_DEP_2)
	v_fma_f64 v[32:33], v[6:7], v[2:3], -v[4:5]
	ds_load_b128 v[2:5], v1 offset:1968
	ds_load_b128 v[6:9], v1 offset:1984
	s_waitcnt vmcnt(2) lgkmcnt(1)
	v_mul_f64 v[34:35], v[2:3], v[12:13]
	v_mul_f64 v[12:13], v[4:5], v[12:13]
	s_waitcnt vmcnt(1) lgkmcnt(0)
	v_mul_f64 v[36:37], v[6:7], v[16:17]
	v_add_f64 v[22:23], v[22:23], v[30:31]
	s_delay_alu instid0(VALU_DEP_4) | instskip(NEXT) | instid1(VALU_DEP_4)
	v_fma_f64 v[34:35], v[4:5], v[10:11], v[34:35]
	v_fma_f64 v[10:11], v[2:3], v[10:11], -v[12:13]
	v_mul_f64 v[12:13], v[8:9], v[16:17]
	v_add_f64 v[16:17], v[24:25], v[32:33]
	ds_load_b128 v[2:5], v1 offset:2000
	v_fma_f64 v[8:9], v[8:9], v[14:15], v[36:37]
	s_waitcnt vmcnt(0) lgkmcnt(0)
	v_mul_f64 v[24:25], v[2:3], v[20:21]
	v_mul_f64 v[20:21], v[4:5], v[20:21]
	v_fma_f64 v[6:7], v[6:7], v[14:15], -v[12:13]
	v_add_f64 v[10:11], v[16:17], v[10:11]
	v_add_f64 v[12:13], v[22:23], v[34:35]
	v_fma_f64 v[4:5], v[4:5], v[18:19], v[24:25]
	v_fma_f64 v[2:3], v[2:3], v[18:19], -v[20:21]
	s_delay_alu instid0(VALU_DEP_4) | instskip(NEXT) | instid1(VALU_DEP_4)
	v_add_f64 v[6:7], v[10:11], v[6:7]
	v_add_f64 v[8:9], v[12:13], v[8:9]
	s_delay_alu instid0(VALU_DEP_2) | instskip(NEXT) | instid1(VALU_DEP_2)
	v_add_f64 v[2:3], v[6:7], v[2:3]
	v_add_f64 v[4:5], v[8:9], v[4:5]
	s_delay_alu instid0(VALU_DEP_2) | instskip(NEXT) | instid1(VALU_DEP_2)
	v_add_f64 v[2:3], v[26:27], -v[2:3]
	v_add_f64 v[4:5], v[28:29], -v[4:5]
	scratch_store_b128 off, v[2:5], off offset:720
	v_cmpx_lt_u32_e32 44, v179
	s_cbranch_execz .LBB126_315
; %bb.314:
	scratch_load_b32 v2, off, off offset:1416 ; 4-byte Folded Reload
	v_mov_b32_e32 v3, v1
	v_mov_b32_e32 v4, v1
	s_waitcnt vmcnt(0)
	scratch_load_b128 v[5:8], v2, off
	v_mov_b32_e32 v2, v1
	scratch_store_b128 off, v[1:4], off offset:704
	s_waitcnt vmcnt(0)
	ds_store_b128 v244, v[5:8]
.LBB126_315:
	s_or_b32 exec_lo, exec_lo, s2
	s_waitcnt lgkmcnt(0)
	s_waitcnt_vscnt null, 0x0
	s_barrier
	buffer_gl0_inv
	s_clause 0x4
	scratch_load_b128 v[2:5], off, off offset:720
	scratch_load_b128 v[6:9], off, off offset:736
	;; [unrolled: 1-line block ×5, first 2 shown]
	ds_load_b128 v[22:25], v1 offset:1728
	ds_load_b128 v[26:29], v1 offset:1744
	scratch_load_b128 v[30:33], off, off offset:704
	s_mov_b32 s2, exec_lo
	s_waitcnt vmcnt(5) lgkmcnt(1)
	v_mul_f64 v[34:35], v[24:25], v[4:5]
	v_mul_f64 v[4:5], v[22:23], v[4:5]
	s_waitcnt vmcnt(4) lgkmcnt(0)
	v_mul_f64 v[36:37], v[26:27], v[8:9]
	v_mul_f64 v[8:9], v[28:29], v[8:9]
	s_delay_alu instid0(VALU_DEP_4) | instskip(NEXT) | instid1(VALU_DEP_4)
	v_fma_f64 v[22:23], v[22:23], v[2:3], -v[34:35]
	v_fma_f64 v[24:25], v[24:25], v[2:3], v[4:5]
	ds_load_b128 v[2:5], v1 offset:1760
	v_fma_f64 v[28:29], v[28:29], v[6:7], v[36:37]
	v_fma_f64 v[26:27], v[26:27], v[6:7], -v[8:9]
	ds_load_b128 v[6:9], v1 offset:1776
	s_waitcnt vmcnt(3) lgkmcnt(1)
	v_mul_f64 v[34:35], v[2:3], v[12:13]
	v_mul_f64 v[12:13], v[4:5], v[12:13]
	s_waitcnt vmcnt(2) lgkmcnt(0)
	v_mul_f64 v[36:37], v[6:7], v[16:17]
	s_delay_alu instid0(VALU_DEP_3) | instskip(NEXT) | instid1(VALU_DEP_3)
	v_fma_f64 v[34:35], v[4:5], v[10:11], v[34:35]
	v_fma_f64 v[38:39], v[2:3], v[10:11], -v[12:13]
	v_mul_f64 v[10:11], v[8:9], v[16:17]
	ds_load_b128 v[2:5], v1 offset:1792
	v_fma_f64 v[16:17], v[8:9], v[14:15], v[36:37]
	v_fma_f64 v[14:15], v[6:7], v[14:15], -v[10:11]
	ds_load_b128 v[6:9], v1 offset:1808
	s_waitcnt vmcnt(1) lgkmcnt(1)
	v_mul_f64 v[10:11], v[2:3], v[20:21]
	v_mul_f64 v[12:13], v[4:5], v[20:21]
	s_delay_alu instid0(VALU_DEP_2) | instskip(NEXT) | instid1(VALU_DEP_2)
	v_fma_f64 v[20:21], v[4:5], v[18:19], v[10:11]
	v_fma_f64 v[18:19], v[2:3], v[18:19], -v[12:13]
	s_clause 0x1
	scratch_load_b128 v[2:5], off, off offset:800
	scratch_load_b128 v[10:13], off, off offset:816
	s_waitcnt vmcnt(1) lgkmcnt(0)
	v_mul_f64 v[36:37], v[6:7], v[4:5]
	v_mul_f64 v[4:5], v[8:9], v[4:5]
	s_delay_alu instid0(VALU_DEP_2) | instskip(NEXT) | instid1(VALU_DEP_2)
	v_fma_f64 v[36:37], v[8:9], v[2:3], v[36:37]
	v_fma_f64 v[40:41], v[6:7], v[2:3], -v[4:5]
	ds_load_b128 v[2:5], v1 offset:1824
	ds_load_b128 v[6:9], v1 offset:1840
	s_waitcnt vmcnt(0) lgkmcnt(1)
	v_mul_f64 v[42:43], v[2:3], v[12:13]
	s_delay_alu instid0(VALU_DEP_1) | instskip(SKIP_1) | instid1(VALU_DEP_1)
	v_fma_f64 v[42:43], v[4:5], v[10:11], v[42:43]
	v_mul_f64 v[4:5], v[4:5], v[12:13]
	v_fma_f64 v[44:45], v[2:3], v[10:11], -v[4:5]
	s_clause 0x1
	scratch_load_b128 v[2:5], off, off offset:832
	scratch_load_b128 v[10:13], off, off offset:848
	s_waitcnt vmcnt(1) lgkmcnt(0)
	v_mul_f64 v[46:47], v[6:7], v[4:5]
	v_mul_f64 v[4:5], v[8:9], v[4:5]
	s_delay_alu instid0(VALU_DEP_2) | instskip(NEXT) | instid1(VALU_DEP_2)
	v_fma_f64 v[46:47], v[8:9], v[2:3], v[46:47]
	v_fma_f64 v[48:49], v[6:7], v[2:3], -v[4:5]
	ds_load_b128 v[2:5], v1 offset:1856
	ds_load_b128 v[6:9], v1 offset:1872
	s_waitcnt vmcnt(0) lgkmcnt(1)
	v_mul_f64 v[58:59], v[2:3], v[12:13]
	s_delay_alu instid0(VALU_DEP_1) | instskip(SKIP_1) | instid1(VALU_DEP_1)
	v_fma_f64 v[58:59], v[4:5], v[10:11], v[58:59]
	v_mul_f64 v[4:5], v[4:5], v[12:13]
	;; [unrolled: 17-line block ×5, first 2 shown]
	v_fma_f64 v[99:100], v[2:3], v[10:11], -v[4:5]
	v_add_f64 v[2:3], v[22:23], 0
	v_add_f64 v[4:5], v[24:25], 0
	s_delay_alu instid0(VALU_DEP_2) | instskip(NEXT) | instid1(VALU_DEP_2)
	v_add_f64 v[2:3], v[2:3], v[26:27]
	v_add_f64 v[4:5], v[4:5], v[28:29]
	s_delay_alu instid0(VALU_DEP_2) | instskip(NEXT) | instid1(VALU_DEP_2)
	;; [unrolled: 3-line block ×8, first 2 shown]
	v_add_f64 v[2:3], v[2:3], v[60:61]
	v_add_f64 v[10:11], v[4:5], v[58:59]
	s_delay_alu instid0(VALU_DEP_2)
	v_add_f64 v[12:13], v[2:3], v[64:65]
	scratch_load_b128 v[2:5], off, off offset:960
	v_add_f64 v[14:15], v[10:11], v[62:63]
	v_add_f64 v[16:17], v[12:13], v[68:69]
	scratch_load_b128 v[10:13], off, off offset:976
	v_add_f64 v[18:19], v[14:15], v[66:67]
	;; [unrolled: 3-line block ×3, first 2 shown]
	v_add_f64 v[20:21], v[20:21], v[91:92]
	s_delay_alu instid0(VALU_DEP_2) | instskip(NEXT) | instid1(VALU_DEP_2)
	v_add_f64 v[18:19], v[18:19], v[89:90]
	v_add_f64 v[28:29], v[20:21], v[95:96]
	s_delay_alu instid0(VALU_DEP_2)
	v_add_f64 v[34:35], v[18:19], v[93:94]
	ds_load_b128 v[18:21], v1 offset:1984
	ds_load_b128 v[22:25], v1 offset:2000
	s_waitcnt vmcnt(2) lgkmcnt(2)
	v_mul_f64 v[26:27], v[6:7], v[4:5]
	v_mul_f64 v[4:5], v[8:9], v[4:5]
	s_waitcnt vmcnt(1) lgkmcnt(1)
	v_mul_f64 v[36:37], v[18:19], v[12:13]
	s_delay_alu instid0(VALU_DEP_3) | instskip(NEXT) | instid1(VALU_DEP_3)
	v_fma_f64 v[8:9], v[8:9], v[2:3], v[26:27]
	v_fma_f64 v[1:2], v[6:7], v[2:3], -v[4:5]
	v_mul_f64 v[3:4], v[20:21], v[12:13]
	v_add_f64 v[5:6], v[28:29], v[99:100]
	v_add_f64 v[12:13], v[34:35], v[97:98]
	s_waitcnt vmcnt(0) lgkmcnt(0)
	v_mul_f64 v[26:27], v[22:23], v[16:17]
	v_mul_f64 v[16:17], v[24:25], v[16:17]
	v_fma_f64 v[20:21], v[20:21], v[10:11], v[36:37]
	v_fma_f64 v[3:4], v[18:19], v[10:11], -v[3:4]
	v_add_f64 v[1:2], v[5:6], v[1:2]
	v_add_f64 v[5:6], v[12:13], v[8:9]
	v_fma_f64 v[7:8], v[24:25], v[14:15], v[26:27]
	v_fma_f64 v[9:10], v[22:23], v[14:15], -v[16:17]
	s_delay_alu instid0(VALU_DEP_4) | instskip(NEXT) | instid1(VALU_DEP_4)
	v_add_f64 v[1:2], v[1:2], v[3:4]
	v_add_f64 v[3:4], v[5:6], v[20:21]
	s_delay_alu instid0(VALU_DEP_2) | instskip(NEXT) | instid1(VALU_DEP_2)
	v_add_f64 v[1:2], v[1:2], v[9:10]
	v_add_f64 v[3:4], v[3:4], v[7:8]
	s_delay_alu instid0(VALU_DEP_2) | instskip(NEXT) | instid1(VALU_DEP_2)
	v_add_f64 v[1:2], v[30:31], -v[1:2]
	v_add_f64 v[3:4], v[32:33], -v[3:4]
	scratch_store_b128 off, v[1:4], off offset:704
	v_cmpx_lt_u32_e32 43, v179
	s_cbranch_execz .LBB126_317
; %bb.316:
	scratch_load_b32 v1, off, off offset:1420 ; 4-byte Folded Reload
	v_mov_b32_e32 v5, 0
	s_delay_alu instid0(VALU_DEP_1)
	v_mov_b32_e32 v6, v5
	v_mov_b32_e32 v7, v5
	;; [unrolled: 1-line block ×3, first 2 shown]
	s_waitcnt vmcnt(0)
	scratch_load_b128 v[1:4], v1, off
	scratch_store_b128 off, v[5:8], off offset:688
	s_waitcnt vmcnt(0)
	ds_store_b128 v244, v[1:4]
.LBB126_317:
	s_or_b32 exec_lo, exec_lo, s2
	s_waitcnt lgkmcnt(0)
	s_waitcnt_vscnt null, 0x0
	s_barrier
	buffer_gl0_inv
	s_clause 0x4
	scratch_load_b128 v[2:5], off, off offset:704
	scratch_load_b128 v[6:9], off, off offset:720
	;; [unrolled: 1-line block ×5, first 2 shown]
	v_mov_b32_e32 v1, 0
	scratch_load_b128 v[26:29], off, off offset:688
	s_mov_b32 s2, exec_lo
	ds_load_b128 v[22:25], v1 offset:1712
	ds_load_b128 v[30:33], v1 offset:1728
	s_waitcnt vmcnt(5) lgkmcnt(1)
	v_mul_f64 v[34:35], v[24:25], v[4:5]
	v_mul_f64 v[4:5], v[22:23], v[4:5]
	s_waitcnt vmcnt(4) lgkmcnt(0)
	v_mul_f64 v[36:37], v[30:31], v[8:9]
	v_mul_f64 v[8:9], v[32:33], v[8:9]
	s_delay_alu instid0(VALU_DEP_4) | instskip(NEXT) | instid1(VALU_DEP_4)
	v_fma_f64 v[22:23], v[22:23], v[2:3], -v[34:35]
	v_fma_f64 v[24:25], v[24:25], v[2:3], v[4:5]
	ds_load_b128 v[2:5], v1 offset:1744
	v_fma_f64 v[32:33], v[32:33], v[6:7], v[36:37]
	v_fma_f64 v[30:31], v[30:31], v[6:7], -v[8:9]
	ds_load_b128 v[6:9], v1 offset:1760
	s_waitcnt vmcnt(3) lgkmcnt(1)
	v_mul_f64 v[34:35], v[2:3], v[12:13]
	v_mul_f64 v[12:13], v[4:5], v[12:13]
	s_waitcnt vmcnt(2) lgkmcnt(0)
	v_mul_f64 v[36:37], v[6:7], v[16:17]
	s_delay_alu instid0(VALU_DEP_3) | instskip(NEXT) | instid1(VALU_DEP_3)
	v_fma_f64 v[34:35], v[4:5], v[10:11], v[34:35]
	v_fma_f64 v[38:39], v[2:3], v[10:11], -v[12:13]
	v_mul_f64 v[10:11], v[8:9], v[16:17]
	ds_load_b128 v[2:5], v1 offset:1776
	v_fma_f64 v[16:17], v[8:9], v[14:15], v[36:37]
	v_fma_f64 v[14:15], v[6:7], v[14:15], -v[10:11]
	ds_load_b128 v[6:9], v1 offset:1792
	s_waitcnt vmcnt(1) lgkmcnt(1)
	v_mul_f64 v[10:11], v[2:3], v[20:21]
	v_mul_f64 v[12:13], v[4:5], v[20:21]
	s_delay_alu instid0(VALU_DEP_2) | instskip(NEXT) | instid1(VALU_DEP_2)
	v_fma_f64 v[20:21], v[4:5], v[18:19], v[10:11]
	v_fma_f64 v[18:19], v[2:3], v[18:19], -v[12:13]
	s_clause 0x1
	scratch_load_b128 v[2:5], off, off offset:784
	scratch_load_b128 v[10:13], off, off offset:800
	s_waitcnt vmcnt(1) lgkmcnt(0)
	v_mul_f64 v[36:37], v[6:7], v[4:5]
	v_mul_f64 v[4:5], v[8:9], v[4:5]
	s_delay_alu instid0(VALU_DEP_2) | instskip(NEXT) | instid1(VALU_DEP_2)
	v_fma_f64 v[36:37], v[8:9], v[2:3], v[36:37]
	v_fma_f64 v[40:41], v[6:7], v[2:3], -v[4:5]
	ds_load_b128 v[2:5], v1 offset:1808
	ds_load_b128 v[6:9], v1 offset:1824
	s_waitcnt vmcnt(0) lgkmcnt(1)
	v_mul_f64 v[42:43], v[2:3], v[12:13]
	s_delay_alu instid0(VALU_DEP_1) | instskip(SKIP_1) | instid1(VALU_DEP_1)
	v_fma_f64 v[42:43], v[4:5], v[10:11], v[42:43]
	v_mul_f64 v[4:5], v[4:5], v[12:13]
	v_fma_f64 v[44:45], v[2:3], v[10:11], -v[4:5]
	s_clause 0x1
	scratch_load_b128 v[2:5], off, off offset:816
	scratch_load_b128 v[10:13], off, off offset:832
	s_waitcnt vmcnt(1) lgkmcnt(0)
	v_mul_f64 v[46:47], v[6:7], v[4:5]
	v_mul_f64 v[4:5], v[8:9], v[4:5]
	s_delay_alu instid0(VALU_DEP_2) | instskip(NEXT) | instid1(VALU_DEP_2)
	v_fma_f64 v[46:47], v[8:9], v[2:3], v[46:47]
	v_fma_f64 v[48:49], v[6:7], v[2:3], -v[4:5]
	ds_load_b128 v[2:5], v1 offset:1840
	ds_load_b128 v[6:9], v1 offset:1856
	s_waitcnt vmcnt(0) lgkmcnt(1)
	v_mul_f64 v[58:59], v[2:3], v[12:13]
	s_delay_alu instid0(VALU_DEP_1) | instskip(SKIP_1) | instid1(VALU_DEP_1)
	v_fma_f64 v[58:59], v[4:5], v[10:11], v[58:59]
	v_mul_f64 v[4:5], v[4:5], v[12:13]
	;; [unrolled: 17-line block ×5, first 2 shown]
	v_fma_f64 v[99:100], v[2:3], v[10:11], -v[4:5]
	v_add_f64 v[2:3], v[22:23], 0
	v_add_f64 v[4:5], v[24:25], 0
	s_delay_alu instid0(VALU_DEP_2) | instskip(NEXT) | instid1(VALU_DEP_2)
	v_add_f64 v[2:3], v[2:3], v[30:31]
	v_add_f64 v[4:5], v[4:5], v[32:33]
	s_delay_alu instid0(VALU_DEP_2) | instskip(NEXT) | instid1(VALU_DEP_2)
	;; [unrolled: 3-line block ×8, first 2 shown]
	v_add_f64 v[2:3], v[2:3], v[60:61]
	v_add_f64 v[10:11], v[4:5], v[58:59]
	s_delay_alu instid0(VALU_DEP_2)
	v_add_f64 v[12:13], v[2:3], v[64:65]
	scratch_load_b128 v[2:5], off, off offset:944
	v_add_f64 v[14:15], v[10:11], v[62:63]
	v_add_f64 v[16:17], v[12:13], v[68:69]
	scratch_load_b128 v[10:13], off, off offset:960
	v_add_f64 v[18:19], v[14:15], v[66:67]
	;; [unrolled: 3-line block ×4, first 2 shown]
	v_add_f64 v[24:25], v[24:25], v[95:96]
	s_delay_alu instid0(VALU_DEP_2) | instskip(NEXT) | instid1(VALU_DEP_2)
	v_add_f64 v[22:23], v[22:23], v[93:94]
	v_add_f64 v[24:25], v[24:25], v[99:100]
	s_delay_alu instid0(VALU_DEP_2) | instskip(SKIP_3) | instid1(VALU_DEP_2)
	v_add_f64 v[22:23], v[22:23], v[97:98]
	s_waitcnt vmcnt(3) lgkmcnt(0)
	v_mul_f64 v[30:31], v[6:7], v[4:5]
	v_mul_f64 v[4:5], v[8:9], v[4:5]
	v_fma_f64 v[30:31], v[8:9], v[2:3], v[30:31]
	s_delay_alu instid0(VALU_DEP_2)
	v_fma_f64 v[32:33], v[6:7], v[2:3], -v[4:5]
	ds_load_b128 v[2:5], v1 offset:1968
	ds_load_b128 v[6:9], v1 offset:1984
	s_waitcnt vmcnt(2) lgkmcnt(1)
	v_mul_f64 v[34:35], v[2:3], v[12:13]
	v_mul_f64 v[12:13], v[4:5], v[12:13]
	s_waitcnt vmcnt(1) lgkmcnt(0)
	v_mul_f64 v[36:37], v[6:7], v[16:17]
	v_add_f64 v[22:23], v[22:23], v[30:31]
	s_delay_alu instid0(VALU_DEP_4) | instskip(NEXT) | instid1(VALU_DEP_4)
	v_fma_f64 v[34:35], v[4:5], v[10:11], v[34:35]
	v_fma_f64 v[10:11], v[2:3], v[10:11], -v[12:13]
	v_mul_f64 v[12:13], v[8:9], v[16:17]
	v_add_f64 v[16:17], v[24:25], v[32:33]
	ds_load_b128 v[2:5], v1 offset:2000
	v_fma_f64 v[8:9], v[8:9], v[14:15], v[36:37]
	s_waitcnt vmcnt(0) lgkmcnt(0)
	v_mul_f64 v[24:25], v[2:3], v[20:21]
	v_mul_f64 v[20:21], v[4:5], v[20:21]
	v_fma_f64 v[6:7], v[6:7], v[14:15], -v[12:13]
	v_add_f64 v[10:11], v[16:17], v[10:11]
	v_add_f64 v[12:13], v[22:23], v[34:35]
	v_fma_f64 v[4:5], v[4:5], v[18:19], v[24:25]
	v_fma_f64 v[2:3], v[2:3], v[18:19], -v[20:21]
	s_delay_alu instid0(VALU_DEP_4) | instskip(NEXT) | instid1(VALU_DEP_4)
	v_add_f64 v[6:7], v[10:11], v[6:7]
	v_add_f64 v[8:9], v[12:13], v[8:9]
	s_delay_alu instid0(VALU_DEP_2) | instskip(NEXT) | instid1(VALU_DEP_2)
	v_add_f64 v[2:3], v[6:7], v[2:3]
	v_add_f64 v[4:5], v[8:9], v[4:5]
	s_delay_alu instid0(VALU_DEP_2) | instskip(NEXT) | instid1(VALU_DEP_2)
	v_add_f64 v[2:3], v[26:27], -v[2:3]
	v_add_f64 v[4:5], v[28:29], -v[4:5]
	scratch_store_b128 off, v[2:5], off offset:688
	v_cmpx_lt_u32_e32 42, v179
	s_cbranch_execz .LBB126_319
; %bb.318:
	scratch_load_b32 v2, off, off offset:1424 ; 4-byte Folded Reload
	v_mov_b32_e32 v3, v1
	v_mov_b32_e32 v4, v1
	s_waitcnt vmcnt(0)
	scratch_load_b128 v[5:8], v2, off
	v_mov_b32_e32 v2, v1
	scratch_store_b128 off, v[1:4], off offset:672
	s_waitcnt vmcnt(0)
	ds_store_b128 v244, v[5:8]
.LBB126_319:
	s_or_b32 exec_lo, exec_lo, s2
	s_waitcnt lgkmcnt(0)
	s_waitcnt_vscnt null, 0x0
	s_barrier
	buffer_gl0_inv
	s_clause 0x4
	scratch_load_b128 v[2:5], off, off offset:688
	scratch_load_b128 v[6:9], off, off offset:704
	;; [unrolled: 1-line block ×5, first 2 shown]
	ds_load_b128 v[22:25], v1 offset:1696
	ds_load_b128 v[26:29], v1 offset:1712
	scratch_load_b128 v[30:33], off, off offset:672
	s_mov_b32 s2, exec_lo
	s_waitcnt vmcnt(5) lgkmcnt(1)
	v_mul_f64 v[34:35], v[24:25], v[4:5]
	v_mul_f64 v[4:5], v[22:23], v[4:5]
	s_waitcnt vmcnt(4) lgkmcnt(0)
	v_mul_f64 v[36:37], v[26:27], v[8:9]
	v_mul_f64 v[8:9], v[28:29], v[8:9]
	s_delay_alu instid0(VALU_DEP_4) | instskip(NEXT) | instid1(VALU_DEP_4)
	v_fma_f64 v[22:23], v[22:23], v[2:3], -v[34:35]
	v_fma_f64 v[24:25], v[24:25], v[2:3], v[4:5]
	ds_load_b128 v[2:5], v1 offset:1728
	v_fma_f64 v[28:29], v[28:29], v[6:7], v[36:37]
	v_fma_f64 v[26:27], v[26:27], v[6:7], -v[8:9]
	ds_load_b128 v[6:9], v1 offset:1744
	s_waitcnt vmcnt(3) lgkmcnt(1)
	v_mul_f64 v[34:35], v[2:3], v[12:13]
	v_mul_f64 v[12:13], v[4:5], v[12:13]
	s_waitcnt vmcnt(2) lgkmcnt(0)
	v_mul_f64 v[36:37], v[6:7], v[16:17]
	s_delay_alu instid0(VALU_DEP_3) | instskip(NEXT) | instid1(VALU_DEP_3)
	v_fma_f64 v[34:35], v[4:5], v[10:11], v[34:35]
	v_fma_f64 v[38:39], v[2:3], v[10:11], -v[12:13]
	v_mul_f64 v[10:11], v[8:9], v[16:17]
	ds_load_b128 v[2:5], v1 offset:1760
	v_fma_f64 v[16:17], v[8:9], v[14:15], v[36:37]
	v_fma_f64 v[14:15], v[6:7], v[14:15], -v[10:11]
	ds_load_b128 v[6:9], v1 offset:1776
	s_waitcnt vmcnt(1) lgkmcnt(1)
	v_mul_f64 v[10:11], v[2:3], v[20:21]
	v_mul_f64 v[12:13], v[4:5], v[20:21]
	s_delay_alu instid0(VALU_DEP_2) | instskip(NEXT) | instid1(VALU_DEP_2)
	v_fma_f64 v[20:21], v[4:5], v[18:19], v[10:11]
	v_fma_f64 v[18:19], v[2:3], v[18:19], -v[12:13]
	s_clause 0x1
	scratch_load_b128 v[2:5], off, off offset:768
	scratch_load_b128 v[10:13], off, off offset:784
	s_waitcnt vmcnt(1) lgkmcnt(0)
	v_mul_f64 v[36:37], v[6:7], v[4:5]
	v_mul_f64 v[4:5], v[8:9], v[4:5]
	s_delay_alu instid0(VALU_DEP_2) | instskip(NEXT) | instid1(VALU_DEP_2)
	v_fma_f64 v[36:37], v[8:9], v[2:3], v[36:37]
	v_fma_f64 v[40:41], v[6:7], v[2:3], -v[4:5]
	ds_load_b128 v[2:5], v1 offset:1792
	ds_load_b128 v[6:9], v1 offset:1808
	s_waitcnt vmcnt(0) lgkmcnt(1)
	v_mul_f64 v[42:43], v[2:3], v[12:13]
	s_delay_alu instid0(VALU_DEP_1) | instskip(SKIP_1) | instid1(VALU_DEP_1)
	v_fma_f64 v[42:43], v[4:5], v[10:11], v[42:43]
	v_mul_f64 v[4:5], v[4:5], v[12:13]
	v_fma_f64 v[44:45], v[2:3], v[10:11], -v[4:5]
	s_clause 0x1
	scratch_load_b128 v[2:5], off, off offset:800
	scratch_load_b128 v[10:13], off, off offset:816
	s_waitcnt vmcnt(1) lgkmcnt(0)
	v_mul_f64 v[46:47], v[6:7], v[4:5]
	v_mul_f64 v[4:5], v[8:9], v[4:5]
	s_delay_alu instid0(VALU_DEP_2) | instskip(NEXT) | instid1(VALU_DEP_2)
	v_fma_f64 v[46:47], v[8:9], v[2:3], v[46:47]
	v_fma_f64 v[48:49], v[6:7], v[2:3], -v[4:5]
	ds_load_b128 v[2:5], v1 offset:1824
	ds_load_b128 v[6:9], v1 offset:1840
	s_waitcnt vmcnt(0) lgkmcnt(1)
	v_mul_f64 v[58:59], v[2:3], v[12:13]
	s_delay_alu instid0(VALU_DEP_1) | instskip(SKIP_1) | instid1(VALU_DEP_1)
	v_fma_f64 v[58:59], v[4:5], v[10:11], v[58:59]
	v_mul_f64 v[4:5], v[4:5], v[12:13]
	;; [unrolled: 17-line block ×6, first 2 shown]
	v_fma_f64 v[184:185], v[2:3], v[10:11], -v[4:5]
	v_add_f64 v[2:3], v[22:23], 0
	v_add_f64 v[4:5], v[24:25], 0
	s_delay_alu instid0(VALU_DEP_2) | instskip(NEXT) | instid1(VALU_DEP_2)
	v_add_f64 v[2:3], v[2:3], v[26:27]
	v_add_f64 v[4:5], v[4:5], v[28:29]
	s_delay_alu instid0(VALU_DEP_2) | instskip(NEXT) | instid1(VALU_DEP_2)
	;; [unrolled: 3-line block ×10, first 2 shown]
	v_add_f64 v[2:3], v[2:3], v[68:69]
	v_add_f64 v[10:11], v[4:5], v[66:67]
	s_delay_alu instid0(VALU_DEP_2)
	v_add_f64 v[12:13], v[2:3], v[72:73]
	scratch_load_b128 v[2:5], off, off offset:960
	v_add_f64 v[14:15], v[10:11], v[70:71]
	v_add_f64 v[16:17], v[12:13], v[91:92]
	scratch_load_b128 v[10:13], off, off offset:976
	v_add_f64 v[18:19], v[14:15], v[89:90]
	;; [unrolled: 3-line block ×3, first 2 shown]
	v_add_f64 v[20:21], v[20:21], v[99:100]
	s_delay_alu instid0(VALU_DEP_2) | instskip(NEXT) | instid1(VALU_DEP_2)
	v_add_f64 v[18:19], v[18:19], v[97:98]
	v_add_f64 v[28:29], v[20:21], v[180:181]
	s_delay_alu instid0(VALU_DEP_2)
	v_add_f64 v[34:35], v[18:19], v[101:102]
	ds_load_b128 v[18:21], v1 offset:1984
	ds_load_b128 v[22:25], v1 offset:2000
	s_waitcnt vmcnt(2) lgkmcnt(2)
	v_mul_f64 v[26:27], v[6:7], v[4:5]
	v_mul_f64 v[4:5], v[8:9], v[4:5]
	s_waitcnt vmcnt(1) lgkmcnt(1)
	v_mul_f64 v[36:37], v[18:19], v[12:13]
	s_delay_alu instid0(VALU_DEP_3) | instskip(NEXT) | instid1(VALU_DEP_3)
	v_fma_f64 v[8:9], v[8:9], v[2:3], v[26:27]
	v_fma_f64 v[1:2], v[6:7], v[2:3], -v[4:5]
	v_mul_f64 v[3:4], v[20:21], v[12:13]
	v_add_f64 v[5:6], v[28:29], v[184:185]
	v_add_f64 v[12:13], v[34:35], v[182:183]
	s_waitcnt vmcnt(0) lgkmcnt(0)
	v_mul_f64 v[26:27], v[22:23], v[16:17]
	v_mul_f64 v[16:17], v[24:25], v[16:17]
	v_fma_f64 v[20:21], v[20:21], v[10:11], v[36:37]
	v_fma_f64 v[3:4], v[18:19], v[10:11], -v[3:4]
	v_add_f64 v[1:2], v[5:6], v[1:2]
	v_add_f64 v[5:6], v[12:13], v[8:9]
	v_fma_f64 v[7:8], v[24:25], v[14:15], v[26:27]
	v_fma_f64 v[9:10], v[22:23], v[14:15], -v[16:17]
	s_delay_alu instid0(VALU_DEP_4) | instskip(NEXT) | instid1(VALU_DEP_4)
	v_add_f64 v[1:2], v[1:2], v[3:4]
	v_add_f64 v[3:4], v[5:6], v[20:21]
	s_delay_alu instid0(VALU_DEP_2) | instskip(NEXT) | instid1(VALU_DEP_2)
	v_add_f64 v[1:2], v[1:2], v[9:10]
	v_add_f64 v[3:4], v[3:4], v[7:8]
	s_delay_alu instid0(VALU_DEP_2) | instskip(NEXT) | instid1(VALU_DEP_2)
	v_add_f64 v[1:2], v[30:31], -v[1:2]
	v_add_f64 v[3:4], v[32:33], -v[3:4]
	scratch_store_b128 off, v[1:4], off offset:672
	v_cmpx_lt_u32_e32 41, v179
	s_cbranch_execz .LBB126_321
; %bb.320:
	scratch_load_b32 v1, off, off offset:1428 ; 4-byte Folded Reload
	v_mov_b32_e32 v5, 0
	s_delay_alu instid0(VALU_DEP_1)
	v_mov_b32_e32 v6, v5
	v_mov_b32_e32 v7, v5
	;; [unrolled: 1-line block ×3, first 2 shown]
	s_waitcnt vmcnt(0)
	scratch_load_b128 v[1:4], v1, off
	scratch_store_b128 off, v[5:8], off offset:656
	s_waitcnt vmcnt(0)
	ds_store_b128 v244, v[1:4]
.LBB126_321:
	s_or_b32 exec_lo, exec_lo, s2
	s_waitcnt lgkmcnt(0)
	s_waitcnt_vscnt null, 0x0
	s_barrier
	buffer_gl0_inv
	s_clause 0x4
	scratch_load_b128 v[2:5], off, off offset:672
	scratch_load_b128 v[6:9], off, off offset:688
	;; [unrolled: 1-line block ×5, first 2 shown]
	v_mov_b32_e32 v1, 0
	scratch_load_b128 v[26:29], off, off offset:656
	s_mov_b32 s2, exec_lo
	ds_load_b128 v[22:25], v1 offset:1680
	ds_load_b128 v[30:33], v1 offset:1696
	s_waitcnt vmcnt(5) lgkmcnt(1)
	v_mul_f64 v[34:35], v[24:25], v[4:5]
	v_mul_f64 v[4:5], v[22:23], v[4:5]
	s_waitcnt vmcnt(4) lgkmcnt(0)
	v_mul_f64 v[36:37], v[30:31], v[8:9]
	v_mul_f64 v[8:9], v[32:33], v[8:9]
	s_delay_alu instid0(VALU_DEP_4) | instskip(NEXT) | instid1(VALU_DEP_4)
	v_fma_f64 v[22:23], v[22:23], v[2:3], -v[34:35]
	v_fma_f64 v[24:25], v[24:25], v[2:3], v[4:5]
	ds_load_b128 v[2:5], v1 offset:1712
	v_fma_f64 v[32:33], v[32:33], v[6:7], v[36:37]
	v_fma_f64 v[30:31], v[30:31], v[6:7], -v[8:9]
	ds_load_b128 v[6:9], v1 offset:1728
	s_waitcnt vmcnt(3) lgkmcnt(1)
	v_mul_f64 v[34:35], v[2:3], v[12:13]
	v_mul_f64 v[12:13], v[4:5], v[12:13]
	s_waitcnt vmcnt(2) lgkmcnt(0)
	v_mul_f64 v[36:37], v[6:7], v[16:17]
	s_delay_alu instid0(VALU_DEP_3) | instskip(NEXT) | instid1(VALU_DEP_3)
	v_fma_f64 v[34:35], v[4:5], v[10:11], v[34:35]
	v_fma_f64 v[38:39], v[2:3], v[10:11], -v[12:13]
	v_mul_f64 v[10:11], v[8:9], v[16:17]
	ds_load_b128 v[2:5], v1 offset:1744
	v_fma_f64 v[16:17], v[8:9], v[14:15], v[36:37]
	v_fma_f64 v[14:15], v[6:7], v[14:15], -v[10:11]
	ds_load_b128 v[6:9], v1 offset:1760
	s_waitcnt vmcnt(1) lgkmcnt(1)
	v_mul_f64 v[10:11], v[2:3], v[20:21]
	v_mul_f64 v[12:13], v[4:5], v[20:21]
	s_delay_alu instid0(VALU_DEP_2) | instskip(NEXT) | instid1(VALU_DEP_2)
	v_fma_f64 v[20:21], v[4:5], v[18:19], v[10:11]
	v_fma_f64 v[18:19], v[2:3], v[18:19], -v[12:13]
	s_clause 0x1
	scratch_load_b128 v[2:5], off, off offset:752
	scratch_load_b128 v[10:13], off, off offset:768
	s_waitcnt vmcnt(1) lgkmcnt(0)
	v_mul_f64 v[36:37], v[6:7], v[4:5]
	v_mul_f64 v[4:5], v[8:9], v[4:5]
	s_delay_alu instid0(VALU_DEP_2) | instskip(NEXT) | instid1(VALU_DEP_2)
	v_fma_f64 v[36:37], v[8:9], v[2:3], v[36:37]
	v_fma_f64 v[40:41], v[6:7], v[2:3], -v[4:5]
	ds_load_b128 v[2:5], v1 offset:1776
	ds_load_b128 v[6:9], v1 offset:1792
	s_waitcnt vmcnt(0) lgkmcnt(1)
	v_mul_f64 v[42:43], v[2:3], v[12:13]
	s_delay_alu instid0(VALU_DEP_1) | instskip(SKIP_1) | instid1(VALU_DEP_1)
	v_fma_f64 v[42:43], v[4:5], v[10:11], v[42:43]
	v_mul_f64 v[4:5], v[4:5], v[12:13]
	v_fma_f64 v[44:45], v[2:3], v[10:11], -v[4:5]
	s_clause 0x1
	scratch_load_b128 v[2:5], off, off offset:784
	scratch_load_b128 v[10:13], off, off offset:800
	s_waitcnt vmcnt(1) lgkmcnt(0)
	v_mul_f64 v[46:47], v[6:7], v[4:5]
	v_mul_f64 v[4:5], v[8:9], v[4:5]
	s_delay_alu instid0(VALU_DEP_2) | instskip(NEXT) | instid1(VALU_DEP_2)
	v_fma_f64 v[46:47], v[8:9], v[2:3], v[46:47]
	v_fma_f64 v[48:49], v[6:7], v[2:3], -v[4:5]
	ds_load_b128 v[2:5], v1 offset:1808
	ds_load_b128 v[6:9], v1 offset:1824
	s_waitcnt vmcnt(0) lgkmcnt(1)
	v_mul_f64 v[58:59], v[2:3], v[12:13]
	s_delay_alu instid0(VALU_DEP_1) | instskip(SKIP_1) | instid1(VALU_DEP_1)
	v_fma_f64 v[58:59], v[4:5], v[10:11], v[58:59]
	v_mul_f64 v[4:5], v[4:5], v[12:13]
	;; [unrolled: 17-line block ×6, first 2 shown]
	v_fma_f64 v[184:185], v[2:3], v[10:11], -v[4:5]
	v_add_f64 v[2:3], v[22:23], 0
	v_add_f64 v[4:5], v[24:25], 0
	s_delay_alu instid0(VALU_DEP_2) | instskip(NEXT) | instid1(VALU_DEP_2)
	v_add_f64 v[2:3], v[2:3], v[30:31]
	v_add_f64 v[4:5], v[4:5], v[32:33]
	s_delay_alu instid0(VALU_DEP_2) | instskip(NEXT) | instid1(VALU_DEP_2)
	;; [unrolled: 3-line block ×10, first 2 shown]
	v_add_f64 v[2:3], v[2:3], v[68:69]
	v_add_f64 v[10:11], v[4:5], v[66:67]
	s_delay_alu instid0(VALU_DEP_2)
	v_add_f64 v[12:13], v[2:3], v[72:73]
	scratch_load_b128 v[2:5], off, off offset:944
	v_add_f64 v[14:15], v[10:11], v[70:71]
	v_add_f64 v[16:17], v[12:13], v[91:92]
	scratch_load_b128 v[10:13], off, off offset:960
	v_add_f64 v[18:19], v[14:15], v[89:90]
	v_add_f64 v[20:21], v[16:17], v[95:96]
	scratch_load_b128 v[14:17], off, off offset:976
	v_add_f64 v[22:23], v[18:19], v[93:94]
	v_add_f64 v[24:25], v[20:21], v[99:100]
	scratch_load_b128 v[18:21], off, off offset:992
	v_add_f64 v[22:23], v[22:23], v[97:98]
	v_add_f64 v[24:25], v[24:25], v[180:181]
	s_delay_alu instid0(VALU_DEP_2) | instskip(NEXT) | instid1(VALU_DEP_2)
	v_add_f64 v[22:23], v[22:23], v[101:102]
	v_add_f64 v[24:25], v[24:25], v[184:185]
	s_delay_alu instid0(VALU_DEP_2) | instskip(SKIP_3) | instid1(VALU_DEP_2)
	v_add_f64 v[22:23], v[22:23], v[182:183]
	s_waitcnt vmcnt(3) lgkmcnt(0)
	v_mul_f64 v[30:31], v[6:7], v[4:5]
	v_mul_f64 v[4:5], v[8:9], v[4:5]
	v_fma_f64 v[30:31], v[8:9], v[2:3], v[30:31]
	s_delay_alu instid0(VALU_DEP_2)
	v_fma_f64 v[32:33], v[6:7], v[2:3], -v[4:5]
	ds_load_b128 v[2:5], v1 offset:1968
	ds_load_b128 v[6:9], v1 offset:1984
	s_waitcnt vmcnt(2) lgkmcnt(1)
	v_mul_f64 v[34:35], v[2:3], v[12:13]
	v_mul_f64 v[12:13], v[4:5], v[12:13]
	s_waitcnt vmcnt(1) lgkmcnt(0)
	v_mul_f64 v[36:37], v[6:7], v[16:17]
	v_add_f64 v[22:23], v[22:23], v[30:31]
	s_delay_alu instid0(VALU_DEP_4) | instskip(NEXT) | instid1(VALU_DEP_4)
	v_fma_f64 v[34:35], v[4:5], v[10:11], v[34:35]
	v_fma_f64 v[10:11], v[2:3], v[10:11], -v[12:13]
	v_mul_f64 v[12:13], v[8:9], v[16:17]
	v_add_f64 v[16:17], v[24:25], v[32:33]
	ds_load_b128 v[2:5], v1 offset:2000
	v_fma_f64 v[8:9], v[8:9], v[14:15], v[36:37]
	s_waitcnt vmcnt(0) lgkmcnt(0)
	v_mul_f64 v[24:25], v[2:3], v[20:21]
	v_mul_f64 v[20:21], v[4:5], v[20:21]
	v_fma_f64 v[6:7], v[6:7], v[14:15], -v[12:13]
	v_add_f64 v[10:11], v[16:17], v[10:11]
	v_add_f64 v[12:13], v[22:23], v[34:35]
	v_fma_f64 v[4:5], v[4:5], v[18:19], v[24:25]
	v_fma_f64 v[2:3], v[2:3], v[18:19], -v[20:21]
	s_delay_alu instid0(VALU_DEP_4) | instskip(NEXT) | instid1(VALU_DEP_4)
	v_add_f64 v[6:7], v[10:11], v[6:7]
	v_add_f64 v[8:9], v[12:13], v[8:9]
	s_delay_alu instid0(VALU_DEP_2) | instskip(NEXT) | instid1(VALU_DEP_2)
	v_add_f64 v[2:3], v[6:7], v[2:3]
	v_add_f64 v[4:5], v[8:9], v[4:5]
	s_delay_alu instid0(VALU_DEP_2) | instskip(NEXT) | instid1(VALU_DEP_2)
	v_add_f64 v[2:3], v[26:27], -v[2:3]
	v_add_f64 v[4:5], v[28:29], -v[4:5]
	scratch_store_b128 off, v[2:5], off offset:656
	v_cmpx_lt_u32_e32 40, v179
	s_cbranch_execz .LBB126_323
; %bb.322:
	scratch_load_b32 v2, off, off offset:1432 ; 4-byte Folded Reload
	v_mov_b32_e32 v3, v1
	v_mov_b32_e32 v4, v1
	s_waitcnt vmcnt(0)
	scratch_load_b128 v[5:8], v2, off
	v_mov_b32_e32 v2, v1
	scratch_store_b128 off, v[1:4], off offset:640
	s_waitcnt vmcnt(0)
	ds_store_b128 v244, v[5:8]
.LBB126_323:
	s_or_b32 exec_lo, exec_lo, s2
	s_waitcnt lgkmcnt(0)
	s_waitcnt_vscnt null, 0x0
	s_barrier
	buffer_gl0_inv
	s_clause 0x4
	scratch_load_b128 v[2:5], off, off offset:656
	scratch_load_b128 v[6:9], off, off offset:672
	;; [unrolled: 1-line block ×5, first 2 shown]
	ds_load_b128 v[22:25], v1 offset:1664
	ds_load_b128 v[26:29], v1 offset:1680
	scratch_load_b128 v[30:33], off, off offset:640
	s_mov_b32 s2, exec_lo
	s_waitcnt vmcnt(5) lgkmcnt(1)
	v_mul_f64 v[34:35], v[24:25], v[4:5]
	v_mul_f64 v[4:5], v[22:23], v[4:5]
	s_waitcnt vmcnt(4) lgkmcnt(0)
	v_mul_f64 v[36:37], v[26:27], v[8:9]
	v_mul_f64 v[8:9], v[28:29], v[8:9]
	s_delay_alu instid0(VALU_DEP_4) | instskip(NEXT) | instid1(VALU_DEP_4)
	v_fma_f64 v[22:23], v[22:23], v[2:3], -v[34:35]
	v_fma_f64 v[24:25], v[24:25], v[2:3], v[4:5]
	ds_load_b128 v[2:5], v1 offset:1696
	v_fma_f64 v[28:29], v[28:29], v[6:7], v[36:37]
	v_fma_f64 v[26:27], v[26:27], v[6:7], -v[8:9]
	ds_load_b128 v[6:9], v1 offset:1712
	s_waitcnt vmcnt(3) lgkmcnt(1)
	v_mul_f64 v[34:35], v[2:3], v[12:13]
	v_mul_f64 v[12:13], v[4:5], v[12:13]
	s_waitcnt vmcnt(2) lgkmcnt(0)
	v_mul_f64 v[36:37], v[6:7], v[16:17]
	s_delay_alu instid0(VALU_DEP_3) | instskip(NEXT) | instid1(VALU_DEP_3)
	v_fma_f64 v[34:35], v[4:5], v[10:11], v[34:35]
	v_fma_f64 v[38:39], v[2:3], v[10:11], -v[12:13]
	v_mul_f64 v[10:11], v[8:9], v[16:17]
	ds_load_b128 v[2:5], v1 offset:1728
	v_fma_f64 v[16:17], v[8:9], v[14:15], v[36:37]
	v_fma_f64 v[14:15], v[6:7], v[14:15], -v[10:11]
	ds_load_b128 v[6:9], v1 offset:1744
	s_waitcnt vmcnt(1) lgkmcnt(1)
	v_mul_f64 v[10:11], v[2:3], v[20:21]
	v_mul_f64 v[12:13], v[4:5], v[20:21]
	s_delay_alu instid0(VALU_DEP_2) | instskip(NEXT) | instid1(VALU_DEP_2)
	v_fma_f64 v[20:21], v[4:5], v[18:19], v[10:11]
	v_fma_f64 v[18:19], v[2:3], v[18:19], -v[12:13]
	s_clause 0x1
	scratch_load_b128 v[2:5], off, off offset:736
	scratch_load_b128 v[10:13], off, off offset:752
	s_waitcnt vmcnt(1) lgkmcnt(0)
	v_mul_f64 v[36:37], v[6:7], v[4:5]
	v_mul_f64 v[4:5], v[8:9], v[4:5]
	s_delay_alu instid0(VALU_DEP_2) | instskip(NEXT) | instid1(VALU_DEP_2)
	v_fma_f64 v[36:37], v[8:9], v[2:3], v[36:37]
	v_fma_f64 v[40:41], v[6:7], v[2:3], -v[4:5]
	ds_load_b128 v[2:5], v1 offset:1760
	ds_load_b128 v[6:9], v1 offset:1776
	s_waitcnt vmcnt(0) lgkmcnt(1)
	v_mul_f64 v[42:43], v[2:3], v[12:13]
	s_delay_alu instid0(VALU_DEP_1) | instskip(SKIP_1) | instid1(VALU_DEP_1)
	v_fma_f64 v[42:43], v[4:5], v[10:11], v[42:43]
	v_mul_f64 v[4:5], v[4:5], v[12:13]
	v_fma_f64 v[44:45], v[2:3], v[10:11], -v[4:5]
	s_clause 0x1
	scratch_load_b128 v[2:5], off, off offset:768
	scratch_load_b128 v[10:13], off, off offset:784
	s_waitcnt vmcnt(1) lgkmcnt(0)
	v_mul_f64 v[46:47], v[6:7], v[4:5]
	v_mul_f64 v[4:5], v[8:9], v[4:5]
	s_delay_alu instid0(VALU_DEP_2) | instskip(NEXT) | instid1(VALU_DEP_2)
	v_fma_f64 v[46:47], v[8:9], v[2:3], v[46:47]
	v_fma_f64 v[48:49], v[6:7], v[2:3], -v[4:5]
	ds_load_b128 v[2:5], v1 offset:1792
	ds_load_b128 v[6:9], v1 offset:1808
	s_waitcnt vmcnt(0) lgkmcnt(1)
	v_mul_f64 v[58:59], v[2:3], v[12:13]
	s_delay_alu instid0(VALU_DEP_1) | instskip(SKIP_1) | instid1(VALU_DEP_1)
	v_fma_f64 v[58:59], v[4:5], v[10:11], v[58:59]
	v_mul_f64 v[4:5], v[4:5], v[12:13]
	;; [unrolled: 17-line block ×7, first 2 shown]
	v_fma_f64 v[240:241], v[2:3], v[10:11], -v[4:5]
	v_add_f64 v[2:3], v[22:23], 0
	v_add_f64 v[4:5], v[24:25], 0
	s_delay_alu instid0(VALU_DEP_2) | instskip(NEXT) | instid1(VALU_DEP_2)
	v_add_f64 v[2:3], v[2:3], v[26:27]
	v_add_f64 v[4:5], v[4:5], v[28:29]
	s_delay_alu instid0(VALU_DEP_2) | instskip(NEXT) | instid1(VALU_DEP_2)
	v_add_f64 v[2:3], v[2:3], v[38:39]
	v_add_f64 v[4:5], v[4:5], v[34:35]
	s_delay_alu instid0(VALU_DEP_2) | instskip(NEXT) | instid1(VALU_DEP_2)
	v_add_f64 v[2:3], v[2:3], v[14:15]
	v_add_f64 v[4:5], v[4:5], v[16:17]
	s_delay_alu instid0(VALU_DEP_2) | instskip(NEXT) | instid1(VALU_DEP_2)
	v_add_f64 v[2:3], v[2:3], v[18:19]
	v_add_f64 v[4:5], v[4:5], v[20:21]
	s_delay_alu instid0(VALU_DEP_2) | instskip(NEXT) | instid1(VALU_DEP_2)
	v_add_f64 v[2:3], v[2:3], v[40:41]
	v_add_f64 v[4:5], v[4:5], v[36:37]
	s_delay_alu instid0(VALU_DEP_2) | instskip(NEXT) | instid1(VALU_DEP_2)
	v_add_f64 v[2:3], v[2:3], v[44:45]
	v_add_f64 v[4:5], v[4:5], v[42:43]
	s_delay_alu instid0(VALU_DEP_2) | instskip(NEXT) | instid1(VALU_DEP_2)
	v_add_f64 v[2:3], v[2:3], v[48:49]
	v_add_f64 v[4:5], v[4:5], v[46:47]
	s_delay_alu instid0(VALU_DEP_2) | instskip(NEXT) | instid1(VALU_DEP_2)
	v_add_f64 v[2:3], v[2:3], v[60:61]
	v_add_f64 v[4:5], v[4:5], v[58:59]
	s_delay_alu instid0(VALU_DEP_2) | instskip(NEXT) | instid1(VALU_DEP_2)
	v_add_f64 v[2:3], v[2:3], v[64:65]
	v_add_f64 v[4:5], v[4:5], v[62:63]
	s_delay_alu instid0(VALU_DEP_2) | instskip(NEXT) | instid1(VALU_DEP_2)
	v_add_f64 v[2:3], v[2:3], v[68:69]
	v_add_f64 v[4:5], v[4:5], v[66:67]
	s_delay_alu instid0(VALU_DEP_2) | instskip(NEXT) | instid1(VALU_DEP_2)
	v_add_f64 v[2:3], v[2:3], v[72:73]
	v_add_f64 v[4:5], v[4:5], v[70:71]
	s_delay_alu instid0(VALU_DEP_2) | instskip(NEXT) | instid1(VALU_DEP_2)
	v_add_f64 v[2:3], v[2:3], v[91:92]
	v_add_f64 v[10:11], v[4:5], v[89:90]
	s_delay_alu instid0(VALU_DEP_2)
	v_add_f64 v[12:13], v[2:3], v[95:96]
	scratch_load_b128 v[2:5], off, off offset:960
	v_add_f64 v[14:15], v[10:11], v[93:94]
	v_add_f64 v[16:17], v[12:13], v[99:100]
	scratch_load_b128 v[10:13], off, off offset:976
	v_add_f64 v[18:19], v[14:15], v[97:98]
	;; [unrolled: 3-line block ×3, first 2 shown]
	v_add_f64 v[20:21], v[20:21], v[184:185]
	s_delay_alu instid0(VALU_DEP_2) | instskip(NEXT) | instid1(VALU_DEP_2)
	v_add_f64 v[18:19], v[18:19], v[182:183]
	v_add_f64 v[28:29], v[20:21], v[211:212]
	s_delay_alu instid0(VALU_DEP_2)
	v_add_f64 v[34:35], v[18:19], v[206:207]
	ds_load_b128 v[18:21], v1 offset:1984
	ds_load_b128 v[22:25], v1 offset:2000
	s_waitcnt vmcnt(2) lgkmcnt(2)
	v_mul_f64 v[26:27], v[6:7], v[4:5]
	v_mul_f64 v[4:5], v[8:9], v[4:5]
	s_waitcnt vmcnt(1) lgkmcnt(1)
	v_mul_f64 v[36:37], v[18:19], v[12:13]
	s_delay_alu instid0(VALU_DEP_3) | instskip(NEXT) | instid1(VALU_DEP_3)
	v_fma_f64 v[8:9], v[8:9], v[2:3], v[26:27]
	v_fma_f64 v[1:2], v[6:7], v[2:3], -v[4:5]
	v_mul_f64 v[3:4], v[20:21], v[12:13]
	v_add_f64 v[5:6], v[28:29], v[240:241]
	v_add_f64 v[12:13], v[34:35], v[217:218]
	s_waitcnt vmcnt(0) lgkmcnt(0)
	v_mul_f64 v[26:27], v[22:23], v[16:17]
	v_mul_f64 v[16:17], v[24:25], v[16:17]
	v_fma_f64 v[20:21], v[20:21], v[10:11], v[36:37]
	v_fma_f64 v[3:4], v[18:19], v[10:11], -v[3:4]
	v_add_f64 v[1:2], v[5:6], v[1:2]
	v_add_f64 v[5:6], v[12:13], v[8:9]
	v_fma_f64 v[7:8], v[24:25], v[14:15], v[26:27]
	v_fma_f64 v[9:10], v[22:23], v[14:15], -v[16:17]
	s_delay_alu instid0(VALU_DEP_4) | instskip(NEXT) | instid1(VALU_DEP_4)
	v_add_f64 v[1:2], v[1:2], v[3:4]
	v_add_f64 v[3:4], v[5:6], v[20:21]
	s_delay_alu instid0(VALU_DEP_2) | instskip(NEXT) | instid1(VALU_DEP_2)
	v_add_f64 v[1:2], v[1:2], v[9:10]
	v_add_f64 v[3:4], v[3:4], v[7:8]
	s_delay_alu instid0(VALU_DEP_2) | instskip(NEXT) | instid1(VALU_DEP_2)
	v_add_f64 v[1:2], v[30:31], -v[1:2]
	v_add_f64 v[3:4], v[32:33], -v[3:4]
	scratch_store_b128 off, v[1:4], off offset:640
	v_cmpx_lt_u32_e32 39, v179
	s_cbranch_execz .LBB126_325
; %bb.324:
	scratch_load_b32 v1, off, off offset:1436 ; 4-byte Folded Reload
	v_mov_b32_e32 v5, 0
	s_delay_alu instid0(VALU_DEP_1)
	v_mov_b32_e32 v6, v5
	v_mov_b32_e32 v7, v5
	;; [unrolled: 1-line block ×3, first 2 shown]
	s_waitcnt vmcnt(0)
	scratch_load_b128 v[1:4], v1, off
	scratch_store_b128 off, v[5:8], off offset:624
	s_waitcnt vmcnt(0)
	ds_store_b128 v244, v[1:4]
.LBB126_325:
	s_or_b32 exec_lo, exec_lo, s2
	s_waitcnt lgkmcnt(0)
	s_waitcnt_vscnt null, 0x0
	s_barrier
	buffer_gl0_inv
	s_clause 0x4
	scratch_load_b128 v[2:5], off, off offset:640
	scratch_load_b128 v[6:9], off, off offset:656
	;; [unrolled: 1-line block ×5, first 2 shown]
	v_mov_b32_e32 v1, 0
	scratch_load_b128 v[26:29], off, off offset:624
	s_mov_b32 s2, exec_lo
	ds_load_b128 v[22:25], v1 offset:1648
	ds_load_b128 v[30:33], v1 offset:1664
	s_waitcnt vmcnt(5) lgkmcnt(1)
	v_mul_f64 v[34:35], v[24:25], v[4:5]
	v_mul_f64 v[4:5], v[22:23], v[4:5]
	s_waitcnt vmcnt(4) lgkmcnt(0)
	v_mul_f64 v[36:37], v[30:31], v[8:9]
	v_mul_f64 v[8:9], v[32:33], v[8:9]
	s_delay_alu instid0(VALU_DEP_4) | instskip(NEXT) | instid1(VALU_DEP_4)
	v_fma_f64 v[22:23], v[22:23], v[2:3], -v[34:35]
	v_fma_f64 v[24:25], v[24:25], v[2:3], v[4:5]
	ds_load_b128 v[2:5], v1 offset:1680
	v_fma_f64 v[32:33], v[32:33], v[6:7], v[36:37]
	v_fma_f64 v[30:31], v[30:31], v[6:7], -v[8:9]
	ds_load_b128 v[6:9], v1 offset:1696
	s_waitcnt vmcnt(3) lgkmcnt(1)
	v_mul_f64 v[34:35], v[2:3], v[12:13]
	v_mul_f64 v[12:13], v[4:5], v[12:13]
	s_waitcnt vmcnt(2) lgkmcnt(0)
	v_mul_f64 v[36:37], v[6:7], v[16:17]
	s_delay_alu instid0(VALU_DEP_3) | instskip(NEXT) | instid1(VALU_DEP_3)
	v_fma_f64 v[34:35], v[4:5], v[10:11], v[34:35]
	v_fma_f64 v[38:39], v[2:3], v[10:11], -v[12:13]
	v_mul_f64 v[10:11], v[8:9], v[16:17]
	ds_load_b128 v[2:5], v1 offset:1712
	v_fma_f64 v[16:17], v[8:9], v[14:15], v[36:37]
	v_fma_f64 v[14:15], v[6:7], v[14:15], -v[10:11]
	ds_load_b128 v[6:9], v1 offset:1728
	s_waitcnt vmcnt(1) lgkmcnt(1)
	v_mul_f64 v[10:11], v[2:3], v[20:21]
	v_mul_f64 v[12:13], v[4:5], v[20:21]
	s_delay_alu instid0(VALU_DEP_2) | instskip(NEXT) | instid1(VALU_DEP_2)
	v_fma_f64 v[20:21], v[4:5], v[18:19], v[10:11]
	v_fma_f64 v[18:19], v[2:3], v[18:19], -v[12:13]
	s_clause 0x1
	scratch_load_b128 v[2:5], off, off offset:720
	scratch_load_b128 v[10:13], off, off offset:736
	s_waitcnt vmcnt(1) lgkmcnt(0)
	v_mul_f64 v[36:37], v[6:7], v[4:5]
	v_mul_f64 v[4:5], v[8:9], v[4:5]
	s_delay_alu instid0(VALU_DEP_2) | instskip(NEXT) | instid1(VALU_DEP_2)
	v_fma_f64 v[36:37], v[8:9], v[2:3], v[36:37]
	v_fma_f64 v[40:41], v[6:7], v[2:3], -v[4:5]
	ds_load_b128 v[2:5], v1 offset:1744
	ds_load_b128 v[6:9], v1 offset:1760
	s_waitcnt vmcnt(0) lgkmcnt(1)
	v_mul_f64 v[42:43], v[2:3], v[12:13]
	s_delay_alu instid0(VALU_DEP_1) | instskip(SKIP_1) | instid1(VALU_DEP_1)
	v_fma_f64 v[42:43], v[4:5], v[10:11], v[42:43]
	v_mul_f64 v[4:5], v[4:5], v[12:13]
	v_fma_f64 v[44:45], v[2:3], v[10:11], -v[4:5]
	s_clause 0x1
	scratch_load_b128 v[2:5], off, off offset:752
	scratch_load_b128 v[10:13], off, off offset:768
	s_waitcnt vmcnt(1) lgkmcnt(0)
	v_mul_f64 v[46:47], v[6:7], v[4:5]
	v_mul_f64 v[4:5], v[8:9], v[4:5]
	s_delay_alu instid0(VALU_DEP_2) | instskip(NEXT) | instid1(VALU_DEP_2)
	v_fma_f64 v[46:47], v[8:9], v[2:3], v[46:47]
	v_fma_f64 v[48:49], v[6:7], v[2:3], -v[4:5]
	ds_load_b128 v[2:5], v1 offset:1776
	ds_load_b128 v[6:9], v1 offset:1792
	s_waitcnt vmcnt(0) lgkmcnt(1)
	v_mul_f64 v[58:59], v[2:3], v[12:13]
	s_delay_alu instid0(VALU_DEP_1) | instskip(SKIP_1) | instid1(VALU_DEP_1)
	v_fma_f64 v[58:59], v[4:5], v[10:11], v[58:59]
	v_mul_f64 v[4:5], v[4:5], v[12:13]
	;; [unrolled: 17-line block ×7, first 2 shown]
	v_fma_f64 v[240:241], v[2:3], v[10:11], -v[4:5]
	v_add_f64 v[2:3], v[22:23], 0
	v_add_f64 v[4:5], v[24:25], 0
	s_delay_alu instid0(VALU_DEP_2) | instskip(NEXT) | instid1(VALU_DEP_2)
	v_add_f64 v[2:3], v[2:3], v[30:31]
	v_add_f64 v[4:5], v[4:5], v[32:33]
	s_delay_alu instid0(VALU_DEP_2) | instskip(NEXT) | instid1(VALU_DEP_2)
	;; [unrolled: 3-line block ×12, first 2 shown]
	v_add_f64 v[2:3], v[2:3], v[91:92]
	v_add_f64 v[10:11], v[4:5], v[89:90]
	s_delay_alu instid0(VALU_DEP_2)
	v_add_f64 v[12:13], v[2:3], v[95:96]
	scratch_load_b128 v[2:5], off, off offset:944
	v_add_f64 v[14:15], v[10:11], v[93:94]
	v_add_f64 v[16:17], v[12:13], v[99:100]
	scratch_load_b128 v[10:13], off, off offset:960
	v_add_f64 v[18:19], v[14:15], v[97:98]
	;; [unrolled: 3-line block ×4, first 2 shown]
	v_add_f64 v[24:25], v[24:25], v[211:212]
	s_delay_alu instid0(VALU_DEP_2) | instskip(NEXT) | instid1(VALU_DEP_2)
	v_add_f64 v[22:23], v[22:23], v[206:207]
	v_add_f64 v[24:25], v[24:25], v[240:241]
	s_delay_alu instid0(VALU_DEP_2) | instskip(SKIP_3) | instid1(VALU_DEP_2)
	v_add_f64 v[22:23], v[22:23], v[217:218]
	s_waitcnt vmcnt(3) lgkmcnt(0)
	v_mul_f64 v[30:31], v[6:7], v[4:5]
	v_mul_f64 v[4:5], v[8:9], v[4:5]
	v_fma_f64 v[30:31], v[8:9], v[2:3], v[30:31]
	s_delay_alu instid0(VALU_DEP_2)
	v_fma_f64 v[32:33], v[6:7], v[2:3], -v[4:5]
	ds_load_b128 v[2:5], v1 offset:1968
	ds_load_b128 v[6:9], v1 offset:1984
	s_waitcnt vmcnt(2) lgkmcnt(1)
	v_mul_f64 v[34:35], v[2:3], v[12:13]
	v_mul_f64 v[12:13], v[4:5], v[12:13]
	s_waitcnt vmcnt(1) lgkmcnt(0)
	v_mul_f64 v[36:37], v[6:7], v[16:17]
	v_add_f64 v[22:23], v[22:23], v[30:31]
	s_delay_alu instid0(VALU_DEP_4) | instskip(NEXT) | instid1(VALU_DEP_4)
	v_fma_f64 v[34:35], v[4:5], v[10:11], v[34:35]
	v_fma_f64 v[10:11], v[2:3], v[10:11], -v[12:13]
	v_mul_f64 v[12:13], v[8:9], v[16:17]
	v_add_f64 v[16:17], v[24:25], v[32:33]
	ds_load_b128 v[2:5], v1 offset:2000
	v_fma_f64 v[8:9], v[8:9], v[14:15], v[36:37]
	s_waitcnt vmcnt(0) lgkmcnt(0)
	v_mul_f64 v[24:25], v[2:3], v[20:21]
	v_mul_f64 v[20:21], v[4:5], v[20:21]
	v_fma_f64 v[6:7], v[6:7], v[14:15], -v[12:13]
	v_add_f64 v[10:11], v[16:17], v[10:11]
	v_add_f64 v[12:13], v[22:23], v[34:35]
	v_fma_f64 v[4:5], v[4:5], v[18:19], v[24:25]
	v_fma_f64 v[2:3], v[2:3], v[18:19], -v[20:21]
	s_delay_alu instid0(VALU_DEP_4) | instskip(NEXT) | instid1(VALU_DEP_4)
	v_add_f64 v[6:7], v[10:11], v[6:7]
	v_add_f64 v[8:9], v[12:13], v[8:9]
	s_delay_alu instid0(VALU_DEP_2) | instskip(NEXT) | instid1(VALU_DEP_2)
	v_add_f64 v[2:3], v[6:7], v[2:3]
	v_add_f64 v[4:5], v[8:9], v[4:5]
	s_delay_alu instid0(VALU_DEP_2) | instskip(NEXT) | instid1(VALU_DEP_2)
	v_add_f64 v[2:3], v[26:27], -v[2:3]
	v_add_f64 v[4:5], v[28:29], -v[4:5]
	scratch_store_b128 off, v[2:5], off offset:624
	v_cmpx_lt_u32_e32 38, v179
	s_cbranch_execz .LBB126_327
; %bb.326:
	scratch_load_b32 v2, off, off offset:1440 ; 4-byte Folded Reload
	v_mov_b32_e32 v3, v1
	v_mov_b32_e32 v4, v1
	s_waitcnt vmcnt(0)
	scratch_load_b128 v[5:8], v2, off
	v_mov_b32_e32 v2, v1
	scratch_store_b128 off, v[1:4], off offset:608
	s_waitcnt vmcnt(0)
	ds_store_b128 v244, v[5:8]
.LBB126_327:
	s_or_b32 exec_lo, exec_lo, s2
	s_waitcnt lgkmcnt(0)
	s_waitcnt_vscnt null, 0x0
	s_barrier
	buffer_gl0_inv
	s_clause 0x4
	scratch_load_b128 v[2:5], off, off offset:624
	scratch_load_b128 v[6:9], off, off offset:640
	;; [unrolled: 1-line block ×5, first 2 shown]
	ds_load_b128 v[22:25], v1 offset:1632
	ds_load_b128 v[26:29], v1 offset:1648
	scratch_load_b128 v[30:33], off, off offset:608
	s_mov_b32 s2, exec_lo
	s_waitcnt vmcnt(5) lgkmcnt(1)
	v_mul_f64 v[34:35], v[24:25], v[4:5]
	v_mul_f64 v[4:5], v[22:23], v[4:5]
	s_waitcnt vmcnt(4) lgkmcnt(0)
	v_mul_f64 v[36:37], v[26:27], v[8:9]
	v_mul_f64 v[8:9], v[28:29], v[8:9]
	s_delay_alu instid0(VALU_DEP_4) | instskip(NEXT) | instid1(VALU_DEP_4)
	v_fma_f64 v[22:23], v[22:23], v[2:3], -v[34:35]
	v_fma_f64 v[24:25], v[24:25], v[2:3], v[4:5]
	ds_load_b128 v[2:5], v1 offset:1664
	v_fma_f64 v[28:29], v[28:29], v[6:7], v[36:37]
	v_fma_f64 v[26:27], v[26:27], v[6:7], -v[8:9]
	ds_load_b128 v[6:9], v1 offset:1680
	s_waitcnt vmcnt(3) lgkmcnt(1)
	v_mul_f64 v[34:35], v[2:3], v[12:13]
	v_mul_f64 v[12:13], v[4:5], v[12:13]
	s_waitcnt vmcnt(2) lgkmcnt(0)
	v_mul_f64 v[36:37], v[6:7], v[16:17]
	s_delay_alu instid0(VALU_DEP_3) | instskip(NEXT) | instid1(VALU_DEP_3)
	v_fma_f64 v[34:35], v[4:5], v[10:11], v[34:35]
	v_fma_f64 v[38:39], v[2:3], v[10:11], -v[12:13]
	v_mul_f64 v[10:11], v[8:9], v[16:17]
	ds_load_b128 v[2:5], v1 offset:1696
	v_fma_f64 v[16:17], v[8:9], v[14:15], v[36:37]
	v_fma_f64 v[14:15], v[6:7], v[14:15], -v[10:11]
	ds_load_b128 v[6:9], v1 offset:1712
	s_waitcnt vmcnt(1) lgkmcnt(1)
	v_mul_f64 v[10:11], v[2:3], v[20:21]
	v_mul_f64 v[12:13], v[4:5], v[20:21]
	s_delay_alu instid0(VALU_DEP_2) | instskip(NEXT) | instid1(VALU_DEP_2)
	v_fma_f64 v[20:21], v[4:5], v[18:19], v[10:11]
	v_fma_f64 v[18:19], v[2:3], v[18:19], -v[12:13]
	s_clause 0x1
	scratch_load_b128 v[2:5], off, off offset:704
	scratch_load_b128 v[10:13], off, off offset:720
	s_waitcnt vmcnt(1) lgkmcnt(0)
	v_mul_f64 v[36:37], v[6:7], v[4:5]
	v_mul_f64 v[4:5], v[8:9], v[4:5]
	s_delay_alu instid0(VALU_DEP_2) | instskip(NEXT) | instid1(VALU_DEP_2)
	v_fma_f64 v[36:37], v[8:9], v[2:3], v[36:37]
	v_fma_f64 v[40:41], v[6:7], v[2:3], -v[4:5]
	ds_load_b128 v[2:5], v1 offset:1728
	ds_load_b128 v[6:9], v1 offset:1744
	s_waitcnt vmcnt(0) lgkmcnt(1)
	v_mul_f64 v[42:43], v[2:3], v[12:13]
	s_delay_alu instid0(VALU_DEP_1) | instskip(SKIP_1) | instid1(VALU_DEP_1)
	v_fma_f64 v[42:43], v[4:5], v[10:11], v[42:43]
	v_mul_f64 v[4:5], v[4:5], v[12:13]
	v_fma_f64 v[44:45], v[2:3], v[10:11], -v[4:5]
	s_clause 0x1
	scratch_load_b128 v[2:5], off, off offset:736
	scratch_load_b128 v[10:13], off, off offset:752
	s_waitcnt vmcnt(1) lgkmcnt(0)
	v_mul_f64 v[46:47], v[6:7], v[4:5]
	v_mul_f64 v[4:5], v[8:9], v[4:5]
	s_delay_alu instid0(VALU_DEP_2) | instskip(NEXT) | instid1(VALU_DEP_2)
	v_fma_f64 v[46:47], v[8:9], v[2:3], v[46:47]
	v_fma_f64 v[48:49], v[6:7], v[2:3], -v[4:5]
	ds_load_b128 v[2:5], v1 offset:1760
	ds_load_b128 v[6:9], v1 offset:1776
	s_waitcnt vmcnt(0) lgkmcnt(1)
	v_mul_f64 v[58:59], v[2:3], v[12:13]
	s_delay_alu instid0(VALU_DEP_1) | instskip(SKIP_1) | instid1(VALU_DEP_1)
	v_fma_f64 v[58:59], v[4:5], v[10:11], v[58:59]
	v_mul_f64 v[4:5], v[4:5], v[12:13]
	;; [unrolled: 17-line block ×8, first 2 shown]
	v_fma_f64 v[252:253], v[2:3], v[10:11], -v[4:5]
	v_add_f64 v[2:3], v[22:23], 0
	v_add_f64 v[4:5], v[24:25], 0
	s_delay_alu instid0(VALU_DEP_2) | instskip(NEXT) | instid1(VALU_DEP_2)
	v_add_f64 v[2:3], v[2:3], v[26:27]
	v_add_f64 v[4:5], v[4:5], v[28:29]
	s_delay_alu instid0(VALU_DEP_2) | instskip(NEXT) | instid1(VALU_DEP_2)
	;; [unrolled: 3-line block ×14, first 2 shown]
	v_add_f64 v[2:3], v[2:3], v[99:100]
	v_add_f64 v[10:11], v[4:5], v[97:98]
	s_delay_alu instid0(VALU_DEP_2)
	v_add_f64 v[12:13], v[2:3], v[180:181]
	scratch_load_b128 v[2:5], off, off offset:960
	v_add_f64 v[14:15], v[10:11], v[101:102]
	v_add_f64 v[16:17], v[12:13], v[184:185]
	scratch_load_b128 v[10:13], off, off offset:976
	v_add_f64 v[18:19], v[14:15], v[182:183]
	;; [unrolled: 3-line block ×3, first 2 shown]
	v_add_f64 v[20:21], v[20:21], v[240:241]
	s_delay_alu instid0(VALU_DEP_2) | instskip(NEXT) | instid1(VALU_DEP_2)
	v_add_f64 v[18:19], v[18:19], v[217:218]
	v_add_f64 v[28:29], v[20:21], v[245:246]
	s_delay_alu instid0(VALU_DEP_2)
	v_add_f64 v[34:35], v[18:19], v[242:243]
	ds_load_b128 v[18:21], v1 offset:1984
	ds_load_b128 v[22:25], v1 offset:2000
	s_waitcnt vmcnt(2) lgkmcnt(2)
	v_mul_f64 v[26:27], v[6:7], v[4:5]
	v_mul_f64 v[4:5], v[8:9], v[4:5]
	s_waitcnt vmcnt(1) lgkmcnt(1)
	v_mul_f64 v[36:37], v[18:19], v[12:13]
	s_delay_alu instid0(VALU_DEP_3) | instskip(NEXT) | instid1(VALU_DEP_3)
	v_fma_f64 v[8:9], v[8:9], v[2:3], v[26:27]
	v_fma_f64 v[1:2], v[6:7], v[2:3], -v[4:5]
	v_mul_f64 v[3:4], v[20:21], v[12:13]
	v_add_f64 v[5:6], v[28:29], v[252:253]
	v_add_f64 v[12:13], v[34:35], v[247:248]
	s_waitcnt vmcnt(0) lgkmcnt(0)
	v_mul_f64 v[26:27], v[22:23], v[16:17]
	v_mul_f64 v[16:17], v[24:25], v[16:17]
	v_fma_f64 v[20:21], v[20:21], v[10:11], v[36:37]
	v_fma_f64 v[3:4], v[18:19], v[10:11], -v[3:4]
	v_add_f64 v[1:2], v[5:6], v[1:2]
	v_add_f64 v[5:6], v[12:13], v[8:9]
	v_fma_f64 v[7:8], v[24:25], v[14:15], v[26:27]
	v_fma_f64 v[9:10], v[22:23], v[14:15], -v[16:17]
	s_delay_alu instid0(VALU_DEP_4) | instskip(NEXT) | instid1(VALU_DEP_4)
	v_add_f64 v[1:2], v[1:2], v[3:4]
	v_add_f64 v[3:4], v[5:6], v[20:21]
	s_delay_alu instid0(VALU_DEP_2) | instskip(NEXT) | instid1(VALU_DEP_2)
	v_add_f64 v[1:2], v[1:2], v[9:10]
	v_add_f64 v[3:4], v[3:4], v[7:8]
	s_delay_alu instid0(VALU_DEP_2) | instskip(NEXT) | instid1(VALU_DEP_2)
	v_add_f64 v[1:2], v[30:31], -v[1:2]
	v_add_f64 v[3:4], v[32:33], -v[3:4]
	scratch_store_b128 off, v[1:4], off offset:608
	v_cmpx_lt_u32_e32 37, v179
	s_cbranch_execz .LBB126_329
; %bb.328:
	scratch_load_b32 v1, off, off offset:1444 ; 4-byte Folded Reload
	v_mov_b32_e32 v5, 0
	s_delay_alu instid0(VALU_DEP_1)
	v_mov_b32_e32 v6, v5
	v_mov_b32_e32 v7, v5
	;; [unrolled: 1-line block ×3, first 2 shown]
	s_waitcnt vmcnt(0)
	scratch_load_b128 v[1:4], v1, off
	scratch_store_b128 off, v[5:8], off offset:592
	s_waitcnt vmcnt(0)
	ds_store_b128 v244, v[1:4]
.LBB126_329:
	s_or_b32 exec_lo, exec_lo, s2
	s_waitcnt lgkmcnt(0)
	s_waitcnt_vscnt null, 0x0
	s_barrier
	buffer_gl0_inv
	s_clause 0x4
	scratch_load_b128 v[2:5], off, off offset:608
	scratch_load_b128 v[6:9], off, off offset:624
	;; [unrolled: 1-line block ×5, first 2 shown]
	v_mov_b32_e32 v1, 0
	scratch_load_b128 v[26:29], off, off offset:592
	s_mov_b32 s2, exec_lo
	ds_load_b128 v[22:25], v1 offset:1616
	ds_load_b128 v[30:33], v1 offset:1632
	s_waitcnt vmcnt(5) lgkmcnt(1)
	v_mul_f64 v[34:35], v[24:25], v[4:5]
	v_mul_f64 v[4:5], v[22:23], v[4:5]
	s_waitcnt vmcnt(4) lgkmcnt(0)
	v_mul_f64 v[36:37], v[30:31], v[8:9]
	v_mul_f64 v[8:9], v[32:33], v[8:9]
	s_delay_alu instid0(VALU_DEP_4) | instskip(NEXT) | instid1(VALU_DEP_4)
	v_fma_f64 v[22:23], v[22:23], v[2:3], -v[34:35]
	v_fma_f64 v[24:25], v[24:25], v[2:3], v[4:5]
	ds_load_b128 v[2:5], v1 offset:1648
	v_fma_f64 v[32:33], v[32:33], v[6:7], v[36:37]
	v_fma_f64 v[30:31], v[30:31], v[6:7], -v[8:9]
	ds_load_b128 v[6:9], v1 offset:1664
	s_waitcnt vmcnt(3) lgkmcnt(1)
	v_mul_f64 v[34:35], v[2:3], v[12:13]
	v_mul_f64 v[12:13], v[4:5], v[12:13]
	s_waitcnt vmcnt(2) lgkmcnt(0)
	v_mul_f64 v[36:37], v[6:7], v[16:17]
	s_delay_alu instid0(VALU_DEP_3) | instskip(NEXT) | instid1(VALU_DEP_3)
	v_fma_f64 v[34:35], v[4:5], v[10:11], v[34:35]
	v_fma_f64 v[38:39], v[2:3], v[10:11], -v[12:13]
	v_mul_f64 v[10:11], v[8:9], v[16:17]
	ds_load_b128 v[2:5], v1 offset:1680
	v_fma_f64 v[16:17], v[8:9], v[14:15], v[36:37]
	v_fma_f64 v[14:15], v[6:7], v[14:15], -v[10:11]
	ds_load_b128 v[6:9], v1 offset:1696
	s_waitcnt vmcnt(1) lgkmcnt(1)
	v_mul_f64 v[10:11], v[2:3], v[20:21]
	v_mul_f64 v[12:13], v[4:5], v[20:21]
	s_delay_alu instid0(VALU_DEP_2) | instskip(NEXT) | instid1(VALU_DEP_2)
	v_fma_f64 v[20:21], v[4:5], v[18:19], v[10:11]
	v_fma_f64 v[18:19], v[2:3], v[18:19], -v[12:13]
	s_clause 0x1
	scratch_load_b128 v[2:5], off, off offset:688
	scratch_load_b128 v[10:13], off, off offset:704
	s_waitcnt vmcnt(1) lgkmcnt(0)
	v_mul_f64 v[36:37], v[6:7], v[4:5]
	v_mul_f64 v[4:5], v[8:9], v[4:5]
	s_delay_alu instid0(VALU_DEP_2) | instskip(NEXT) | instid1(VALU_DEP_2)
	v_fma_f64 v[36:37], v[8:9], v[2:3], v[36:37]
	v_fma_f64 v[40:41], v[6:7], v[2:3], -v[4:5]
	ds_load_b128 v[2:5], v1 offset:1712
	ds_load_b128 v[6:9], v1 offset:1728
	s_waitcnt vmcnt(0) lgkmcnt(1)
	v_mul_f64 v[42:43], v[2:3], v[12:13]
	s_delay_alu instid0(VALU_DEP_1) | instskip(SKIP_1) | instid1(VALU_DEP_1)
	v_fma_f64 v[42:43], v[4:5], v[10:11], v[42:43]
	v_mul_f64 v[4:5], v[4:5], v[12:13]
	v_fma_f64 v[44:45], v[2:3], v[10:11], -v[4:5]
	s_clause 0x1
	scratch_load_b128 v[2:5], off, off offset:720
	scratch_load_b128 v[10:13], off, off offset:736
	s_waitcnt vmcnt(1) lgkmcnt(0)
	v_mul_f64 v[46:47], v[6:7], v[4:5]
	v_mul_f64 v[4:5], v[8:9], v[4:5]
	s_delay_alu instid0(VALU_DEP_2) | instskip(NEXT) | instid1(VALU_DEP_2)
	v_fma_f64 v[46:47], v[8:9], v[2:3], v[46:47]
	v_fma_f64 v[48:49], v[6:7], v[2:3], -v[4:5]
	ds_load_b128 v[2:5], v1 offset:1744
	ds_load_b128 v[6:9], v1 offset:1760
	s_waitcnt vmcnt(0) lgkmcnt(1)
	v_mul_f64 v[58:59], v[2:3], v[12:13]
	s_delay_alu instid0(VALU_DEP_1) | instskip(SKIP_1) | instid1(VALU_DEP_1)
	v_fma_f64 v[58:59], v[4:5], v[10:11], v[58:59]
	v_mul_f64 v[4:5], v[4:5], v[12:13]
	;; [unrolled: 17-line block ×8, first 2 shown]
	v_fma_f64 v[252:253], v[2:3], v[10:11], -v[4:5]
	v_add_f64 v[2:3], v[22:23], 0
	v_add_f64 v[4:5], v[24:25], 0
	s_delay_alu instid0(VALU_DEP_2) | instskip(NEXT) | instid1(VALU_DEP_2)
	v_add_f64 v[2:3], v[2:3], v[30:31]
	v_add_f64 v[4:5], v[4:5], v[32:33]
	s_delay_alu instid0(VALU_DEP_2) | instskip(NEXT) | instid1(VALU_DEP_2)
	;; [unrolled: 3-line block ×14, first 2 shown]
	v_add_f64 v[2:3], v[2:3], v[99:100]
	v_add_f64 v[10:11], v[4:5], v[97:98]
	s_delay_alu instid0(VALU_DEP_2)
	v_add_f64 v[12:13], v[2:3], v[180:181]
	scratch_load_b128 v[2:5], off, off offset:944
	v_add_f64 v[14:15], v[10:11], v[101:102]
	v_add_f64 v[16:17], v[12:13], v[184:185]
	scratch_load_b128 v[10:13], off, off offset:960
	v_add_f64 v[18:19], v[14:15], v[182:183]
	;; [unrolled: 3-line block ×4, first 2 shown]
	v_add_f64 v[24:25], v[24:25], v[245:246]
	s_delay_alu instid0(VALU_DEP_2) | instskip(NEXT) | instid1(VALU_DEP_2)
	v_add_f64 v[22:23], v[22:23], v[242:243]
	v_add_f64 v[24:25], v[24:25], v[252:253]
	s_delay_alu instid0(VALU_DEP_2) | instskip(SKIP_3) | instid1(VALU_DEP_2)
	v_add_f64 v[22:23], v[22:23], v[247:248]
	s_waitcnt vmcnt(3) lgkmcnt(0)
	v_mul_f64 v[30:31], v[6:7], v[4:5]
	v_mul_f64 v[4:5], v[8:9], v[4:5]
	v_fma_f64 v[30:31], v[8:9], v[2:3], v[30:31]
	s_delay_alu instid0(VALU_DEP_2)
	v_fma_f64 v[32:33], v[6:7], v[2:3], -v[4:5]
	ds_load_b128 v[2:5], v1 offset:1968
	ds_load_b128 v[6:9], v1 offset:1984
	s_waitcnt vmcnt(2) lgkmcnt(1)
	v_mul_f64 v[34:35], v[2:3], v[12:13]
	v_mul_f64 v[12:13], v[4:5], v[12:13]
	s_waitcnt vmcnt(1) lgkmcnt(0)
	v_mul_f64 v[36:37], v[6:7], v[16:17]
	v_add_f64 v[22:23], v[22:23], v[30:31]
	s_delay_alu instid0(VALU_DEP_4) | instskip(NEXT) | instid1(VALU_DEP_4)
	v_fma_f64 v[34:35], v[4:5], v[10:11], v[34:35]
	v_fma_f64 v[10:11], v[2:3], v[10:11], -v[12:13]
	v_mul_f64 v[12:13], v[8:9], v[16:17]
	v_add_f64 v[16:17], v[24:25], v[32:33]
	ds_load_b128 v[2:5], v1 offset:2000
	v_fma_f64 v[8:9], v[8:9], v[14:15], v[36:37]
	s_waitcnt vmcnt(0) lgkmcnt(0)
	v_mul_f64 v[24:25], v[2:3], v[20:21]
	v_mul_f64 v[20:21], v[4:5], v[20:21]
	v_fma_f64 v[6:7], v[6:7], v[14:15], -v[12:13]
	v_add_f64 v[10:11], v[16:17], v[10:11]
	v_add_f64 v[12:13], v[22:23], v[34:35]
	v_fma_f64 v[4:5], v[4:5], v[18:19], v[24:25]
	v_fma_f64 v[2:3], v[2:3], v[18:19], -v[20:21]
	s_delay_alu instid0(VALU_DEP_4) | instskip(NEXT) | instid1(VALU_DEP_4)
	v_add_f64 v[6:7], v[10:11], v[6:7]
	v_add_f64 v[8:9], v[12:13], v[8:9]
	s_delay_alu instid0(VALU_DEP_2) | instskip(NEXT) | instid1(VALU_DEP_2)
	v_add_f64 v[2:3], v[6:7], v[2:3]
	v_add_f64 v[4:5], v[8:9], v[4:5]
	s_delay_alu instid0(VALU_DEP_2) | instskip(NEXT) | instid1(VALU_DEP_2)
	v_add_f64 v[2:3], v[26:27], -v[2:3]
	v_add_f64 v[4:5], v[28:29], -v[4:5]
	scratch_store_b128 off, v[2:5], off offset:592
	v_cmpx_lt_u32_e32 36, v179
	s_cbranch_execz .LBB126_331
; %bb.330:
	scratch_load_b32 v2, off, off offset:1448 ; 4-byte Folded Reload
	v_mov_b32_e32 v3, v1
	v_mov_b32_e32 v4, v1
	s_waitcnt vmcnt(0)
	scratch_load_b128 v[5:8], v2, off
	v_mov_b32_e32 v2, v1
	scratch_store_b128 off, v[1:4], off offset:576
	s_waitcnt vmcnt(0)
	ds_store_b128 v244, v[5:8]
.LBB126_331:
	s_or_b32 exec_lo, exec_lo, s2
	s_waitcnt lgkmcnt(0)
	s_waitcnt_vscnt null, 0x0
	s_barrier
	buffer_gl0_inv
	s_clause 0x4
	scratch_load_b128 v[2:5], off, off offset:592
	scratch_load_b128 v[6:9], off, off offset:608
	;; [unrolled: 1-line block ×5, first 2 shown]
	ds_load_b128 v[22:25], v1 offset:1600
	ds_load_b128 v[26:29], v1 offset:1616
	scratch_load_b128 v[30:33], off, off offset:576
	s_mov_b32 s2, exec_lo
	s_waitcnt vmcnt(5) lgkmcnt(1)
	v_mul_f64 v[34:35], v[24:25], v[4:5]
	v_mul_f64 v[4:5], v[22:23], v[4:5]
	s_waitcnt vmcnt(4) lgkmcnt(0)
	v_mul_f64 v[36:37], v[26:27], v[8:9]
	v_mul_f64 v[8:9], v[28:29], v[8:9]
	s_delay_alu instid0(VALU_DEP_4) | instskip(NEXT) | instid1(VALU_DEP_4)
	v_fma_f64 v[22:23], v[22:23], v[2:3], -v[34:35]
	v_fma_f64 v[24:25], v[24:25], v[2:3], v[4:5]
	ds_load_b128 v[2:5], v1 offset:1632
	v_fma_f64 v[28:29], v[28:29], v[6:7], v[36:37]
	v_fma_f64 v[26:27], v[26:27], v[6:7], -v[8:9]
	ds_load_b128 v[6:9], v1 offset:1648
	s_waitcnt vmcnt(3) lgkmcnt(1)
	v_mul_f64 v[34:35], v[2:3], v[12:13]
	v_mul_f64 v[12:13], v[4:5], v[12:13]
	s_waitcnt vmcnt(2) lgkmcnt(0)
	v_mul_f64 v[36:37], v[6:7], v[16:17]
	s_delay_alu instid0(VALU_DEP_3) | instskip(NEXT) | instid1(VALU_DEP_3)
	v_fma_f64 v[34:35], v[4:5], v[10:11], v[34:35]
	v_fma_f64 v[38:39], v[2:3], v[10:11], -v[12:13]
	v_mul_f64 v[10:11], v[8:9], v[16:17]
	ds_load_b128 v[2:5], v1 offset:1664
	v_fma_f64 v[16:17], v[8:9], v[14:15], v[36:37]
	v_fma_f64 v[14:15], v[6:7], v[14:15], -v[10:11]
	ds_load_b128 v[6:9], v1 offset:1680
	s_waitcnt vmcnt(1) lgkmcnt(1)
	v_mul_f64 v[10:11], v[2:3], v[20:21]
	v_mul_f64 v[12:13], v[4:5], v[20:21]
	s_delay_alu instid0(VALU_DEP_2) | instskip(NEXT) | instid1(VALU_DEP_2)
	v_fma_f64 v[20:21], v[4:5], v[18:19], v[10:11]
	v_fma_f64 v[18:19], v[2:3], v[18:19], -v[12:13]
	s_clause 0x1
	scratch_load_b128 v[2:5], off, off offset:672
	scratch_load_b128 v[10:13], off, off offset:688
	s_waitcnt vmcnt(1) lgkmcnt(0)
	v_mul_f64 v[36:37], v[6:7], v[4:5]
	v_mul_f64 v[4:5], v[8:9], v[4:5]
	s_delay_alu instid0(VALU_DEP_2) | instskip(NEXT) | instid1(VALU_DEP_2)
	v_fma_f64 v[36:37], v[8:9], v[2:3], v[36:37]
	v_fma_f64 v[40:41], v[6:7], v[2:3], -v[4:5]
	ds_load_b128 v[2:5], v1 offset:1696
	ds_load_b128 v[6:9], v1 offset:1712
	s_waitcnt vmcnt(0) lgkmcnt(1)
	v_mul_f64 v[42:43], v[2:3], v[12:13]
	s_delay_alu instid0(VALU_DEP_1) | instskip(SKIP_1) | instid1(VALU_DEP_1)
	v_fma_f64 v[42:43], v[4:5], v[10:11], v[42:43]
	v_mul_f64 v[4:5], v[4:5], v[12:13]
	v_fma_f64 v[44:45], v[2:3], v[10:11], -v[4:5]
	s_clause 0x1
	scratch_load_b128 v[2:5], off, off offset:704
	scratch_load_b128 v[10:13], off, off offset:720
	s_waitcnt vmcnt(1) lgkmcnt(0)
	v_mul_f64 v[46:47], v[6:7], v[4:5]
	v_mul_f64 v[4:5], v[8:9], v[4:5]
	s_delay_alu instid0(VALU_DEP_2) | instskip(NEXT) | instid1(VALU_DEP_2)
	v_fma_f64 v[46:47], v[8:9], v[2:3], v[46:47]
	v_fma_f64 v[48:49], v[6:7], v[2:3], -v[4:5]
	ds_load_b128 v[2:5], v1 offset:1728
	ds_load_b128 v[6:9], v1 offset:1744
	s_waitcnt vmcnt(0) lgkmcnt(1)
	v_mul_f64 v[58:59], v[2:3], v[12:13]
	s_delay_alu instid0(VALU_DEP_1) | instskip(SKIP_1) | instid1(VALU_DEP_1)
	v_fma_f64 v[58:59], v[4:5], v[10:11], v[58:59]
	v_mul_f64 v[4:5], v[4:5], v[12:13]
	;; [unrolled: 17-line block ×9, first 2 shown]
	v_fma_f64 v[188:189], v[2:3], v[10:11], -v[4:5]
	v_add_f64 v[2:3], v[22:23], 0
	v_add_f64 v[4:5], v[24:25], 0
	s_delay_alu instid0(VALU_DEP_2) | instskip(NEXT) | instid1(VALU_DEP_2)
	v_add_f64 v[2:3], v[2:3], v[26:27]
	v_add_f64 v[4:5], v[4:5], v[28:29]
	s_delay_alu instid0(VALU_DEP_2) | instskip(NEXT) | instid1(VALU_DEP_2)
	;; [unrolled: 3-line block ×16, first 2 shown]
	v_add_f64 v[2:3], v[2:3], v[184:185]
	v_add_f64 v[10:11], v[4:5], v[182:183]
	s_delay_alu instid0(VALU_DEP_2)
	v_add_f64 v[12:13], v[2:3], v[211:212]
	scratch_load_b128 v[2:5], off, off offset:960
	v_add_f64 v[14:15], v[10:11], v[206:207]
	v_add_f64 v[16:17], v[12:13], v[240:241]
	scratch_load_b128 v[10:13], off, off offset:976
	v_add_f64 v[18:19], v[14:15], v[217:218]
	;; [unrolled: 3-line block ×3, first 2 shown]
	v_add_f64 v[20:21], v[20:21], v[252:253]
	s_delay_alu instid0(VALU_DEP_2) | instskip(NEXT) | instid1(VALU_DEP_2)
	v_add_f64 v[18:19], v[18:19], v[247:248]
	v_add_f64 v[28:29], v[20:21], v[51:52]
	s_delay_alu instid0(VALU_DEP_2)
	v_add_f64 v[34:35], v[18:19], v[254:255]
	ds_load_b128 v[18:21], v1 offset:1984
	ds_load_b128 v[22:25], v1 offset:2000
	s_waitcnt vmcnt(2) lgkmcnt(2)
	v_mul_f64 v[26:27], v[6:7], v[4:5]
	v_mul_f64 v[4:5], v[8:9], v[4:5]
	s_waitcnt vmcnt(1) lgkmcnt(1)
	v_mul_f64 v[36:37], v[18:19], v[12:13]
	s_delay_alu instid0(VALU_DEP_3) | instskip(NEXT) | instid1(VALU_DEP_3)
	v_fma_f64 v[8:9], v[8:9], v[2:3], v[26:27]
	v_fma_f64 v[1:2], v[6:7], v[2:3], -v[4:5]
	v_mul_f64 v[3:4], v[20:21], v[12:13]
	v_add_f64 v[5:6], v[28:29], v[188:189]
	v_add_f64 v[12:13], v[34:35], v[186:187]
	s_waitcnt vmcnt(0) lgkmcnt(0)
	v_mul_f64 v[26:27], v[22:23], v[16:17]
	v_mul_f64 v[16:17], v[24:25], v[16:17]
	v_fma_f64 v[20:21], v[20:21], v[10:11], v[36:37]
	v_fma_f64 v[3:4], v[18:19], v[10:11], -v[3:4]
	v_add_f64 v[1:2], v[5:6], v[1:2]
	v_add_f64 v[5:6], v[12:13], v[8:9]
	v_fma_f64 v[7:8], v[24:25], v[14:15], v[26:27]
	v_fma_f64 v[9:10], v[22:23], v[14:15], -v[16:17]
	s_delay_alu instid0(VALU_DEP_4) | instskip(NEXT) | instid1(VALU_DEP_4)
	v_add_f64 v[1:2], v[1:2], v[3:4]
	v_add_f64 v[3:4], v[5:6], v[20:21]
	s_delay_alu instid0(VALU_DEP_2) | instskip(NEXT) | instid1(VALU_DEP_2)
	v_add_f64 v[1:2], v[1:2], v[9:10]
	v_add_f64 v[3:4], v[3:4], v[7:8]
	s_delay_alu instid0(VALU_DEP_2) | instskip(NEXT) | instid1(VALU_DEP_2)
	v_add_f64 v[1:2], v[30:31], -v[1:2]
	v_add_f64 v[3:4], v[32:33], -v[3:4]
	scratch_store_b128 off, v[1:4], off offset:576
	v_cmpx_lt_u32_e32 35, v179
	s_cbranch_execz .LBB126_333
; %bb.332:
	scratch_load_b32 v1, off, off offset:1456 ; 4-byte Folded Reload
	v_mov_b32_e32 v5, 0
	s_delay_alu instid0(VALU_DEP_1)
	v_mov_b32_e32 v6, v5
	v_mov_b32_e32 v7, v5
	v_mov_b32_e32 v8, v5
	s_waitcnt vmcnt(0)
	scratch_load_b128 v[1:4], v1, off
	scratch_store_b128 off, v[5:8], off offset:560
	s_waitcnt vmcnt(0)
	ds_store_b128 v244, v[1:4]
.LBB126_333:
	s_or_b32 exec_lo, exec_lo, s2
	s_waitcnt lgkmcnt(0)
	s_waitcnt_vscnt null, 0x0
	s_barrier
	buffer_gl0_inv
	s_clause 0x4
	scratch_load_b128 v[2:5], off, off offset:576
	scratch_load_b128 v[6:9], off, off offset:592
	;; [unrolled: 1-line block ×5, first 2 shown]
	v_mov_b32_e32 v1, 0
	scratch_load_b128 v[26:29], off, off offset:560
	s_mov_b32 s2, exec_lo
	ds_load_b128 v[22:25], v1 offset:1584
	ds_load_b128 v[30:33], v1 offset:1600
	s_waitcnt vmcnt(5) lgkmcnt(1)
	v_mul_f64 v[34:35], v[24:25], v[4:5]
	v_mul_f64 v[4:5], v[22:23], v[4:5]
	s_waitcnt vmcnt(4) lgkmcnt(0)
	v_mul_f64 v[36:37], v[30:31], v[8:9]
	v_mul_f64 v[8:9], v[32:33], v[8:9]
	s_delay_alu instid0(VALU_DEP_4) | instskip(NEXT) | instid1(VALU_DEP_4)
	v_fma_f64 v[22:23], v[22:23], v[2:3], -v[34:35]
	v_fma_f64 v[24:25], v[24:25], v[2:3], v[4:5]
	ds_load_b128 v[2:5], v1 offset:1616
	v_fma_f64 v[32:33], v[32:33], v[6:7], v[36:37]
	v_fma_f64 v[30:31], v[30:31], v[6:7], -v[8:9]
	ds_load_b128 v[6:9], v1 offset:1632
	s_waitcnt vmcnt(3) lgkmcnt(1)
	v_mul_f64 v[34:35], v[2:3], v[12:13]
	v_mul_f64 v[12:13], v[4:5], v[12:13]
	s_waitcnt vmcnt(2) lgkmcnt(0)
	v_mul_f64 v[36:37], v[6:7], v[16:17]
	s_delay_alu instid0(VALU_DEP_3) | instskip(NEXT) | instid1(VALU_DEP_3)
	v_fma_f64 v[34:35], v[4:5], v[10:11], v[34:35]
	v_fma_f64 v[38:39], v[2:3], v[10:11], -v[12:13]
	v_mul_f64 v[10:11], v[8:9], v[16:17]
	ds_load_b128 v[2:5], v1 offset:1648
	v_fma_f64 v[16:17], v[8:9], v[14:15], v[36:37]
	v_fma_f64 v[14:15], v[6:7], v[14:15], -v[10:11]
	ds_load_b128 v[6:9], v1 offset:1664
	s_waitcnt vmcnt(1) lgkmcnt(1)
	v_mul_f64 v[10:11], v[2:3], v[20:21]
	v_mul_f64 v[12:13], v[4:5], v[20:21]
	s_delay_alu instid0(VALU_DEP_2) | instskip(NEXT) | instid1(VALU_DEP_2)
	v_fma_f64 v[20:21], v[4:5], v[18:19], v[10:11]
	v_fma_f64 v[18:19], v[2:3], v[18:19], -v[12:13]
	s_clause 0x1
	scratch_load_b128 v[2:5], off, off offset:656
	scratch_load_b128 v[10:13], off, off offset:672
	s_waitcnt vmcnt(1) lgkmcnt(0)
	v_mul_f64 v[36:37], v[6:7], v[4:5]
	v_mul_f64 v[4:5], v[8:9], v[4:5]
	s_delay_alu instid0(VALU_DEP_2) | instskip(NEXT) | instid1(VALU_DEP_2)
	v_fma_f64 v[36:37], v[8:9], v[2:3], v[36:37]
	v_fma_f64 v[40:41], v[6:7], v[2:3], -v[4:5]
	ds_load_b128 v[2:5], v1 offset:1680
	ds_load_b128 v[6:9], v1 offset:1696
	s_waitcnt vmcnt(0) lgkmcnt(1)
	v_mul_f64 v[42:43], v[2:3], v[12:13]
	s_delay_alu instid0(VALU_DEP_1) | instskip(SKIP_1) | instid1(VALU_DEP_1)
	v_fma_f64 v[42:43], v[4:5], v[10:11], v[42:43]
	v_mul_f64 v[4:5], v[4:5], v[12:13]
	v_fma_f64 v[44:45], v[2:3], v[10:11], -v[4:5]
	s_clause 0x1
	scratch_load_b128 v[2:5], off, off offset:688
	scratch_load_b128 v[10:13], off, off offset:704
	s_waitcnt vmcnt(1) lgkmcnt(0)
	v_mul_f64 v[46:47], v[6:7], v[4:5]
	v_mul_f64 v[4:5], v[8:9], v[4:5]
	s_delay_alu instid0(VALU_DEP_2) | instskip(NEXT) | instid1(VALU_DEP_2)
	v_fma_f64 v[46:47], v[8:9], v[2:3], v[46:47]
	v_fma_f64 v[48:49], v[6:7], v[2:3], -v[4:5]
	ds_load_b128 v[2:5], v1 offset:1712
	ds_load_b128 v[6:9], v1 offset:1728
	s_waitcnt vmcnt(0) lgkmcnt(1)
	v_mul_f64 v[51:52], v[2:3], v[12:13]
	s_delay_alu instid0(VALU_DEP_1) | instskip(SKIP_1) | instid1(VALU_DEP_1)
	v_fma_f64 v[51:52], v[4:5], v[10:11], v[51:52]
	v_mul_f64 v[4:5], v[4:5], v[12:13]
	;; [unrolled: 17-line block ×9, first 2 shown]
	v_fma_f64 v[254:255], v[2:3], v[10:11], -v[4:5]
	v_add_f64 v[2:3], v[22:23], 0
	v_add_f64 v[4:5], v[24:25], 0
	s_delay_alu instid0(VALU_DEP_2) | instskip(NEXT) | instid1(VALU_DEP_2)
	v_add_f64 v[2:3], v[2:3], v[30:31]
	v_add_f64 v[4:5], v[4:5], v[32:33]
	s_delay_alu instid0(VALU_DEP_2) | instskip(NEXT) | instid1(VALU_DEP_2)
	;; [unrolled: 3-line block ×16, first 2 shown]
	v_add_f64 v[2:3], v[2:3], v[182:183]
	v_add_f64 v[10:11], v[4:5], v[180:181]
	s_delay_alu instid0(VALU_DEP_2)
	v_add_f64 v[12:13], v[2:3], v[186:187]
	scratch_load_b128 v[2:5], off, off offset:944
	v_add_f64 v[14:15], v[10:11], v[184:185]
	v_add_f64 v[16:17], v[12:13], v[206:207]
	scratch_load_b128 v[10:13], off, off offset:960
	v_add_f64 v[18:19], v[14:15], v[188:189]
	;; [unrolled: 3-line block ×4, first 2 shown]
	v_add_f64 v[24:25], v[24:25], v[247:248]
	s_delay_alu instid0(VALU_DEP_2) | instskip(NEXT) | instid1(VALU_DEP_2)
	v_add_f64 v[22:23], v[22:23], v[245:246]
	v_add_f64 v[24:25], v[24:25], v[254:255]
	s_delay_alu instid0(VALU_DEP_2) | instskip(SKIP_3) | instid1(VALU_DEP_2)
	v_add_f64 v[22:23], v[22:23], v[252:253]
	s_waitcnt vmcnt(3) lgkmcnt(0)
	v_mul_f64 v[30:31], v[6:7], v[4:5]
	v_mul_f64 v[4:5], v[8:9], v[4:5]
	v_fma_f64 v[30:31], v[8:9], v[2:3], v[30:31]
	s_delay_alu instid0(VALU_DEP_2)
	v_fma_f64 v[32:33], v[6:7], v[2:3], -v[4:5]
	ds_load_b128 v[2:5], v1 offset:1968
	ds_load_b128 v[6:9], v1 offset:1984
	s_waitcnt vmcnt(2) lgkmcnt(1)
	v_mul_f64 v[34:35], v[2:3], v[12:13]
	v_mul_f64 v[12:13], v[4:5], v[12:13]
	s_waitcnt vmcnt(1) lgkmcnt(0)
	v_mul_f64 v[36:37], v[6:7], v[16:17]
	v_add_f64 v[22:23], v[22:23], v[30:31]
	s_delay_alu instid0(VALU_DEP_4) | instskip(NEXT) | instid1(VALU_DEP_4)
	v_fma_f64 v[34:35], v[4:5], v[10:11], v[34:35]
	v_fma_f64 v[10:11], v[2:3], v[10:11], -v[12:13]
	v_mul_f64 v[12:13], v[8:9], v[16:17]
	v_add_f64 v[16:17], v[24:25], v[32:33]
	ds_load_b128 v[2:5], v1 offset:2000
	v_fma_f64 v[8:9], v[8:9], v[14:15], v[36:37]
	s_waitcnt vmcnt(0) lgkmcnt(0)
	v_mul_f64 v[24:25], v[2:3], v[20:21]
	v_mul_f64 v[20:21], v[4:5], v[20:21]
	v_fma_f64 v[6:7], v[6:7], v[14:15], -v[12:13]
	v_add_f64 v[10:11], v[16:17], v[10:11]
	v_add_f64 v[12:13], v[22:23], v[34:35]
	v_fma_f64 v[4:5], v[4:5], v[18:19], v[24:25]
	v_fma_f64 v[2:3], v[2:3], v[18:19], -v[20:21]
	s_delay_alu instid0(VALU_DEP_4) | instskip(NEXT) | instid1(VALU_DEP_4)
	v_add_f64 v[6:7], v[10:11], v[6:7]
	v_add_f64 v[8:9], v[12:13], v[8:9]
	s_delay_alu instid0(VALU_DEP_2) | instskip(NEXT) | instid1(VALU_DEP_2)
	v_add_f64 v[2:3], v[6:7], v[2:3]
	v_add_f64 v[4:5], v[8:9], v[4:5]
	s_delay_alu instid0(VALU_DEP_2) | instskip(NEXT) | instid1(VALU_DEP_2)
	v_add_f64 v[2:3], v[26:27], -v[2:3]
	v_add_f64 v[4:5], v[28:29], -v[4:5]
	scratch_store_b128 off, v[2:5], off offset:560
	v_cmpx_lt_u32_e32 34, v179
	s_cbranch_execz .LBB126_335
; %bb.334:
	scratch_load_b32 v2, off, off offset:1468 ; 4-byte Folded Reload
	v_mov_b32_e32 v3, v1
	v_mov_b32_e32 v4, v1
	s_waitcnt vmcnt(0)
	scratch_load_b128 v[5:8], v2, off
	v_mov_b32_e32 v2, v1
	scratch_store_b128 off, v[1:4], off offset:544
	s_waitcnt vmcnt(0)
	ds_store_b128 v244, v[5:8]
.LBB126_335:
	s_or_b32 exec_lo, exec_lo, s2
	s_waitcnt lgkmcnt(0)
	s_waitcnt_vscnt null, 0x0
	s_barrier
	buffer_gl0_inv
	s_clause 0x4
	scratch_load_b128 v[2:5], off, off offset:560
	scratch_load_b128 v[6:9], off, off offset:576
	;; [unrolled: 1-line block ×5, first 2 shown]
	ds_load_b128 v[22:25], v1 offset:1568
	ds_load_b128 v[26:29], v1 offset:1584
	scratch_load_b128 v[30:33], off, off offset:544
	s_mov_b32 s2, exec_lo
	s_waitcnt vmcnt(5) lgkmcnt(1)
	v_mul_f64 v[34:35], v[24:25], v[4:5]
	v_mul_f64 v[4:5], v[22:23], v[4:5]
	s_waitcnt vmcnt(4) lgkmcnt(0)
	v_mul_f64 v[36:37], v[26:27], v[8:9]
	v_mul_f64 v[8:9], v[28:29], v[8:9]
	s_delay_alu instid0(VALU_DEP_4) | instskip(NEXT) | instid1(VALU_DEP_4)
	v_fma_f64 v[22:23], v[22:23], v[2:3], -v[34:35]
	v_fma_f64 v[24:25], v[24:25], v[2:3], v[4:5]
	ds_load_b128 v[2:5], v1 offset:1600
	v_fma_f64 v[28:29], v[28:29], v[6:7], v[36:37]
	v_fma_f64 v[26:27], v[26:27], v[6:7], -v[8:9]
	ds_load_b128 v[6:9], v1 offset:1616
	s_waitcnt vmcnt(3) lgkmcnt(1)
	v_mul_f64 v[34:35], v[2:3], v[12:13]
	v_mul_f64 v[12:13], v[4:5], v[12:13]
	s_waitcnt vmcnt(2) lgkmcnt(0)
	v_mul_f64 v[36:37], v[6:7], v[16:17]
	s_delay_alu instid0(VALU_DEP_3) | instskip(NEXT) | instid1(VALU_DEP_3)
	v_fma_f64 v[34:35], v[4:5], v[10:11], v[34:35]
	v_fma_f64 v[38:39], v[2:3], v[10:11], -v[12:13]
	v_mul_f64 v[10:11], v[8:9], v[16:17]
	ds_load_b128 v[2:5], v1 offset:1632
	v_fma_f64 v[16:17], v[8:9], v[14:15], v[36:37]
	v_fma_f64 v[14:15], v[6:7], v[14:15], -v[10:11]
	ds_load_b128 v[6:9], v1 offset:1648
	s_waitcnt vmcnt(1) lgkmcnt(1)
	v_mul_f64 v[10:11], v[2:3], v[20:21]
	v_mul_f64 v[12:13], v[4:5], v[20:21]
	s_delay_alu instid0(VALU_DEP_2) | instskip(NEXT) | instid1(VALU_DEP_2)
	v_fma_f64 v[20:21], v[4:5], v[18:19], v[10:11]
	v_fma_f64 v[18:19], v[2:3], v[18:19], -v[12:13]
	s_clause 0x1
	scratch_load_b128 v[2:5], off, off offset:640
	scratch_load_b128 v[10:13], off, off offset:656
	s_waitcnt vmcnt(1) lgkmcnt(0)
	v_mul_f64 v[36:37], v[6:7], v[4:5]
	v_mul_f64 v[4:5], v[8:9], v[4:5]
	s_delay_alu instid0(VALU_DEP_2) | instskip(NEXT) | instid1(VALU_DEP_2)
	v_fma_f64 v[36:37], v[8:9], v[2:3], v[36:37]
	v_fma_f64 v[40:41], v[6:7], v[2:3], -v[4:5]
	ds_load_b128 v[2:5], v1 offset:1664
	ds_load_b128 v[6:9], v1 offset:1680
	s_waitcnt vmcnt(0) lgkmcnt(1)
	v_mul_f64 v[42:43], v[2:3], v[12:13]
	s_delay_alu instid0(VALU_DEP_1) | instskip(SKIP_1) | instid1(VALU_DEP_1)
	v_fma_f64 v[42:43], v[4:5], v[10:11], v[42:43]
	v_mul_f64 v[4:5], v[4:5], v[12:13]
	v_fma_f64 v[44:45], v[2:3], v[10:11], -v[4:5]
	s_clause 0x1
	scratch_load_b128 v[2:5], off, off offset:672
	scratch_load_b128 v[10:13], off, off offset:688
	s_waitcnt vmcnt(1) lgkmcnt(0)
	v_mul_f64 v[46:47], v[6:7], v[4:5]
	v_mul_f64 v[4:5], v[8:9], v[4:5]
	s_delay_alu instid0(VALU_DEP_2) | instskip(NEXT) | instid1(VALU_DEP_2)
	v_fma_f64 v[46:47], v[8:9], v[2:3], v[46:47]
	v_fma_f64 v[48:49], v[6:7], v[2:3], -v[4:5]
	ds_load_b128 v[2:5], v1 offset:1696
	ds_load_b128 v[6:9], v1 offset:1712
	s_waitcnt vmcnt(0) lgkmcnt(1)
	v_mul_f64 v[51:52], v[2:3], v[12:13]
	s_delay_alu instid0(VALU_DEP_1) | instskip(SKIP_1) | instid1(VALU_DEP_1)
	v_fma_f64 v[51:52], v[4:5], v[10:11], v[51:52]
	v_mul_f64 v[4:5], v[4:5], v[12:13]
	;; [unrolled: 17-line block ×10, first 2 shown]
	v_fma_f64 v[196:197], v[2:3], v[10:11], -v[4:5]
	v_add_f64 v[2:3], v[22:23], 0
	v_add_f64 v[4:5], v[24:25], 0
	s_delay_alu instid0(VALU_DEP_2) | instskip(NEXT) | instid1(VALU_DEP_2)
	v_add_f64 v[2:3], v[2:3], v[26:27]
	v_add_f64 v[4:5], v[4:5], v[28:29]
	s_delay_alu instid0(VALU_DEP_2) | instskip(NEXT) | instid1(VALU_DEP_2)
	;; [unrolled: 3-line block ×18, first 2 shown]
	v_add_f64 v[2:3], v[2:3], v[206:207]
	v_add_f64 v[10:11], v[4:5], v[188:189]
	s_delay_alu instid0(VALU_DEP_2)
	v_add_f64 v[12:13], v[2:3], v[217:218]
	scratch_load_b128 v[2:5], off, off offset:960
	v_add_f64 v[14:15], v[10:11], v[211:212]
	v_add_f64 v[16:17], v[12:13], v[242:243]
	scratch_load_b128 v[10:13], off, off offset:976
	v_add_f64 v[18:19], v[14:15], v[240:241]
	v_add_f64 v[20:21], v[16:17], v[247:248]
	scratch_load_b128 v[14:17], off, off offset:992
	v_add_f64 v[18:19], v[18:19], v[245:246]
	v_add_f64 v[20:21], v[20:21], v[254:255]
	s_delay_alu instid0(VALU_DEP_2) | instskip(NEXT) | instid1(VALU_DEP_2)
	v_add_f64 v[18:19], v[18:19], v[252:253]
	v_add_f64 v[28:29], v[20:21], v[192:193]
	s_delay_alu instid0(VALU_DEP_2)
	v_add_f64 v[34:35], v[18:19], v[190:191]
	ds_load_b128 v[18:21], v1 offset:1984
	ds_load_b128 v[22:25], v1 offset:2000
	s_waitcnt vmcnt(2) lgkmcnt(2)
	v_mul_f64 v[26:27], v[6:7], v[4:5]
	v_mul_f64 v[4:5], v[8:9], v[4:5]
	s_waitcnt vmcnt(1) lgkmcnt(1)
	v_mul_f64 v[36:37], v[18:19], v[12:13]
	s_delay_alu instid0(VALU_DEP_3) | instskip(NEXT) | instid1(VALU_DEP_3)
	v_fma_f64 v[8:9], v[8:9], v[2:3], v[26:27]
	v_fma_f64 v[1:2], v[6:7], v[2:3], -v[4:5]
	v_mul_f64 v[3:4], v[20:21], v[12:13]
	v_add_f64 v[5:6], v[28:29], v[196:197]
	v_add_f64 v[12:13], v[34:35], v[194:195]
	s_waitcnt vmcnt(0) lgkmcnt(0)
	v_mul_f64 v[26:27], v[22:23], v[16:17]
	v_mul_f64 v[16:17], v[24:25], v[16:17]
	v_fma_f64 v[20:21], v[20:21], v[10:11], v[36:37]
	v_fma_f64 v[3:4], v[18:19], v[10:11], -v[3:4]
	v_add_f64 v[1:2], v[5:6], v[1:2]
	v_add_f64 v[5:6], v[12:13], v[8:9]
	v_fma_f64 v[7:8], v[24:25], v[14:15], v[26:27]
	v_fma_f64 v[9:10], v[22:23], v[14:15], -v[16:17]
	s_delay_alu instid0(VALU_DEP_4) | instskip(NEXT) | instid1(VALU_DEP_4)
	v_add_f64 v[1:2], v[1:2], v[3:4]
	v_add_f64 v[3:4], v[5:6], v[20:21]
	s_delay_alu instid0(VALU_DEP_2) | instskip(NEXT) | instid1(VALU_DEP_2)
	v_add_f64 v[1:2], v[1:2], v[9:10]
	v_add_f64 v[3:4], v[3:4], v[7:8]
	s_delay_alu instid0(VALU_DEP_2) | instskip(NEXT) | instid1(VALU_DEP_2)
	v_add_f64 v[1:2], v[30:31], -v[1:2]
	v_add_f64 v[3:4], v[32:33], -v[3:4]
	scratch_store_b128 off, v[1:4], off offset:544
	v_cmpx_lt_u32_e32 33, v179
	s_cbranch_execz .LBB126_337
; %bb.336:
	scratch_load_b32 v1, off, off offset:1476 ; 4-byte Folded Reload
	v_mov_b32_e32 v5, 0
	s_delay_alu instid0(VALU_DEP_1)
	v_mov_b32_e32 v6, v5
	v_mov_b32_e32 v7, v5
	;; [unrolled: 1-line block ×3, first 2 shown]
	s_waitcnt vmcnt(0)
	scratch_load_b128 v[1:4], v1, off
	scratch_store_b128 off, v[5:8], off offset:528
	s_waitcnt vmcnt(0)
	ds_store_b128 v244, v[1:4]
.LBB126_337:
	s_or_b32 exec_lo, exec_lo, s2
	s_waitcnt lgkmcnt(0)
	s_waitcnt_vscnt null, 0x0
	s_barrier
	buffer_gl0_inv
	s_clause 0x4
	scratch_load_b128 v[2:5], off, off offset:544
	scratch_load_b128 v[6:9], off, off offset:560
	;; [unrolled: 1-line block ×5, first 2 shown]
	v_mov_b32_e32 v1, 0
	scratch_load_b128 v[26:29], off, off offset:528
	s_mov_b32 s2, exec_lo
	ds_load_b128 v[22:25], v1 offset:1552
	ds_load_b128 v[30:33], v1 offset:1568
	s_waitcnt vmcnt(5) lgkmcnt(1)
	v_mul_f64 v[34:35], v[24:25], v[4:5]
	v_mul_f64 v[4:5], v[22:23], v[4:5]
	s_waitcnt vmcnt(4) lgkmcnt(0)
	v_mul_f64 v[36:37], v[30:31], v[8:9]
	v_mul_f64 v[8:9], v[32:33], v[8:9]
	s_delay_alu instid0(VALU_DEP_4) | instskip(NEXT) | instid1(VALU_DEP_4)
	v_fma_f64 v[22:23], v[22:23], v[2:3], -v[34:35]
	v_fma_f64 v[24:25], v[24:25], v[2:3], v[4:5]
	ds_load_b128 v[2:5], v1 offset:1584
	v_fma_f64 v[32:33], v[32:33], v[6:7], v[36:37]
	v_fma_f64 v[30:31], v[30:31], v[6:7], -v[8:9]
	ds_load_b128 v[6:9], v1 offset:1600
	s_waitcnt vmcnt(3) lgkmcnt(1)
	v_mul_f64 v[34:35], v[2:3], v[12:13]
	v_mul_f64 v[12:13], v[4:5], v[12:13]
	s_waitcnt vmcnt(2) lgkmcnt(0)
	v_mul_f64 v[36:37], v[6:7], v[16:17]
	s_delay_alu instid0(VALU_DEP_3) | instskip(NEXT) | instid1(VALU_DEP_3)
	v_fma_f64 v[34:35], v[4:5], v[10:11], v[34:35]
	v_fma_f64 v[38:39], v[2:3], v[10:11], -v[12:13]
	v_mul_f64 v[10:11], v[8:9], v[16:17]
	ds_load_b128 v[2:5], v1 offset:1616
	v_fma_f64 v[16:17], v[8:9], v[14:15], v[36:37]
	v_fma_f64 v[14:15], v[6:7], v[14:15], -v[10:11]
	ds_load_b128 v[6:9], v1 offset:1632
	s_waitcnt vmcnt(1) lgkmcnt(1)
	v_mul_f64 v[10:11], v[2:3], v[20:21]
	v_mul_f64 v[12:13], v[4:5], v[20:21]
	s_delay_alu instid0(VALU_DEP_2) | instskip(NEXT) | instid1(VALU_DEP_2)
	v_fma_f64 v[20:21], v[4:5], v[18:19], v[10:11]
	v_fma_f64 v[18:19], v[2:3], v[18:19], -v[12:13]
	s_clause 0x1
	scratch_load_b128 v[2:5], off, off offset:624
	scratch_load_b128 v[10:13], off, off offset:640
	s_waitcnt vmcnt(1) lgkmcnt(0)
	v_mul_f64 v[36:37], v[6:7], v[4:5]
	v_mul_f64 v[4:5], v[8:9], v[4:5]
	s_delay_alu instid0(VALU_DEP_2) | instskip(NEXT) | instid1(VALU_DEP_2)
	v_fma_f64 v[36:37], v[8:9], v[2:3], v[36:37]
	v_fma_f64 v[40:41], v[6:7], v[2:3], -v[4:5]
	ds_load_b128 v[2:5], v1 offset:1648
	ds_load_b128 v[6:9], v1 offset:1664
	s_waitcnt vmcnt(0) lgkmcnt(1)
	v_mul_f64 v[42:43], v[2:3], v[12:13]
	s_delay_alu instid0(VALU_DEP_1) | instskip(SKIP_1) | instid1(VALU_DEP_1)
	v_fma_f64 v[42:43], v[4:5], v[10:11], v[42:43]
	v_mul_f64 v[4:5], v[4:5], v[12:13]
	v_fma_f64 v[44:45], v[2:3], v[10:11], -v[4:5]
	s_clause 0x1
	scratch_load_b128 v[2:5], off, off offset:656
	scratch_load_b128 v[10:13], off, off offset:672
	s_waitcnt vmcnt(1) lgkmcnt(0)
	v_mul_f64 v[46:47], v[6:7], v[4:5]
	v_mul_f64 v[4:5], v[8:9], v[4:5]
	s_delay_alu instid0(VALU_DEP_2) | instskip(NEXT) | instid1(VALU_DEP_2)
	v_fma_f64 v[46:47], v[8:9], v[2:3], v[46:47]
	v_fma_f64 v[48:49], v[6:7], v[2:3], -v[4:5]
	ds_load_b128 v[2:5], v1 offset:1680
	ds_load_b128 v[6:9], v1 offset:1696
	s_waitcnt vmcnt(0) lgkmcnt(1)
	v_mul_f64 v[51:52], v[2:3], v[12:13]
	s_delay_alu instid0(VALU_DEP_1) | instskip(SKIP_1) | instid1(VALU_DEP_1)
	v_fma_f64 v[51:52], v[4:5], v[10:11], v[51:52]
	v_mul_f64 v[4:5], v[4:5], v[12:13]
	;; [unrolled: 17-line block ×10, first 2 shown]
	v_fma_f64 v[254:255], v[2:3], v[10:11], -v[4:5]
	v_add_f64 v[2:3], v[22:23], 0
	v_add_f64 v[4:5], v[24:25], 0
	s_delay_alu instid0(VALU_DEP_2) | instskip(NEXT) | instid1(VALU_DEP_2)
	v_add_f64 v[2:3], v[2:3], v[30:31]
	v_add_f64 v[4:5], v[4:5], v[32:33]
	s_delay_alu instid0(VALU_DEP_2) | instskip(NEXT) | instid1(VALU_DEP_2)
	;; [unrolled: 3-line block ×18, first 2 shown]
	v_add_f64 v[2:3], v[2:3], v[190:191]
	v_add_f64 v[10:11], v[4:5], v[188:189]
	s_delay_alu instid0(VALU_DEP_2)
	v_add_f64 v[12:13], v[2:3], v[194:195]
	scratch_load_b128 v[2:5], off, off offset:944
	v_add_f64 v[14:15], v[10:11], v[192:193]
	v_add_f64 v[16:17], v[12:13], v[206:207]
	scratch_load_b128 v[10:13], off, off offset:960
	v_add_f64 v[18:19], v[14:15], v[196:197]
	;; [unrolled: 3-line block ×4, first 2 shown]
	v_add_f64 v[24:25], v[24:25], v[247:248]
	s_delay_alu instid0(VALU_DEP_2) | instskip(NEXT) | instid1(VALU_DEP_2)
	v_add_f64 v[22:23], v[22:23], v[245:246]
	v_add_f64 v[24:25], v[24:25], v[254:255]
	s_delay_alu instid0(VALU_DEP_2) | instskip(SKIP_3) | instid1(VALU_DEP_2)
	v_add_f64 v[22:23], v[22:23], v[252:253]
	s_waitcnt vmcnt(3) lgkmcnt(0)
	v_mul_f64 v[30:31], v[6:7], v[4:5]
	v_mul_f64 v[4:5], v[8:9], v[4:5]
	v_fma_f64 v[30:31], v[8:9], v[2:3], v[30:31]
	s_delay_alu instid0(VALU_DEP_2)
	v_fma_f64 v[32:33], v[6:7], v[2:3], -v[4:5]
	ds_load_b128 v[2:5], v1 offset:1968
	ds_load_b128 v[6:9], v1 offset:1984
	s_waitcnt vmcnt(2) lgkmcnt(1)
	v_mul_f64 v[34:35], v[2:3], v[12:13]
	v_mul_f64 v[12:13], v[4:5], v[12:13]
	s_waitcnt vmcnt(1) lgkmcnt(0)
	v_mul_f64 v[36:37], v[6:7], v[16:17]
	v_add_f64 v[22:23], v[22:23], v[30:31]
	s_delay_alu instid0(VALU_DEP_4) | instskip(NEXT) | instid1(VALU_DEP_4)
	v_fma_f64 v[34:35], v[4:5], v[10:11], v[34:35]
	v_fma_f64 v[10:11], v[2:3], v[10:11], -v[12:13]
	v_mul_f64 v[12:13], v[8:9], v[16:17]
	v_add_f64 v[16:17], v[24:25], v[32:33]
	ds_load_b128 v[2:5], v1 offset:2000
	v_fma_f64 v[8:9], v[8:9], v[14:15], v[36:37]
	s_waitcnt vmcnt(0) lgkmcnt(0)
	v_mul_f64 v[24:25], v[2:3], v[20:21]
	v_mul_f64 v[20:21], v[4:5], v[20:21]
	v_fma_f64 v[6:7], v[6:7], v[14:15], -v[12:13]
	v_add_f64 v[10:11], v[16:17], v[10:11]
	v_add_f64 v[12:13], v[22:23], v[34:35]
	v_fma_f64 v[4:5], v[4:5], v[18:19], v[24:25]
	v_fma_f64 v[2:3], v[2:3], v[18:19], -v[20:21]
	s_delay_alu instid0(VALU_DEP_4) | instskip(NEXT) | instid1(VALU_DEP_4)
	v_add_f64 v[6:7], v[10:11], v[6:7]
	v_add_f64 v[8:9], v[12:13], v[8:9]
	s_delay_alu instid0(VALU_DEP_2) | instskip(NEXT) | instid1(VALU_DEP_2)
	v_add_f64 v[2:3], v[6:7], v[2:3]
	v_add_f64 v[4:5], v[8:9], v[4:5]
	s_delay_alu instid0(VALU_DEP_2) | instskip(NEXT) | instid1(VALU_DEP_2)
	v_add_f64 v[2:3], v[26:27], -v[2:3]
	v_add_f64 v[4:5], v[28:29], -v[4:5]
	scratch_store_b128 off, v[2:5], off offset:528
	v_cmpx_lt_u32_e32 32, v179
	s_cbranch_execz .LBB126_339
; %bb.338:
	scratch_load_b32 v2, off, off offset:1480 ; 4-byte Folded Reload
	v_mov_b32_e32 v3, v1
	v_mov_b32_e32 v4, v1
	s_waitcnt vmcnt(0)
	scratch_load_b128 v[5:8], v2, off
	v_mov_b32_e32 v2, v1
	scratch_store_b128 off, v[1:4], off offset:512
	s_waitcnt vmcnt(0)
	ds_store_b128 v244, v[5:8]
.LBB126_339:
	s_or_b32 exec_lo, exec_lo, s2
	s_waitcnt lgkmcnt(0)
	s_waitcnt_vscnt null, 0x0
	s_barrier
	buffer_gl0_inv
	s_clause 0x4
	scratch_load_b128 v[2:5], off, off offset:528
	scratch_load_b128 v[6:9], off, off offset:544
	;; [unrolled: 1-line block ×5, first 2 shown]
	ds_load_b128 v[22:25], v1 offset:1536
	ds_load_b128 v[26:29], v1 offset:1552
	scratch_load_b128 v[30:33], off, off offset:512
	s_mov_b32 s2, exec_lo
	s_waitcnt vmcnt(5) lgkmcnt(1)
	v_mul_f64 v[34:35], v[24:25], v[4:5]
	v_mul_f64 v[4:5], v[22:23], v[4:5]
	s_waitcnt vmcnt(4) lgkmcnt(0)
	v_mul_f64 v[36:37], v[26:27], v[8:9]
	v_mul_f64 v[8:9], v[28:29], v[8:9]
	s_delay_alu instid0(VALU_DEP_4) | instskip(NEXT) | instid1(VALU_DEP_4)
	v_fma_f64 v[22:23], v[22:23], v[2:3], -v[34:35]
	v_fma_f64 v[24:25], v[24:25], v[2:3], v[4:5]
	ds_load_b128 v[2:5], v1 offset:1568
	v_fma_f64 v[28:29], v[28:29], v[6:7], v[36:37]
	v_fma_f64 v[26:27], v[26:27], v[6:7], -v[8:9]
	ds_load_b128 v[6:9], v1 offset:1584
	s_waitcnt vmcnt(3) lgkmcnt(1)
	v_mul_f64 v[34:35], v[2:3], v[12:13]
	v_mul_f64 v[12:13], v[4:5], v[12:13]
	s_waitcnt vmcnt(2) lgkmcnt(0)
	v_mul_f64 v[36:37], v[6:7], v[16:17]
	s_delay_alu instid0(VALU_DEP_3) | instskip(NEXT) | instid1(VALU_DEP_3)
	v_fma_f64 v[34:35], v[4:5], v[10:11], v[34:35]
	v_fma_f64 v[38:39], v[2:3], v[10:11], -v[12:13]
	v_mul_f64 v[10:11], v[8:9], v[16:17]
	ds_load_b128 v[2:5], v1 offset:1600
	v_fma_f64 v[16:17], v[8:9], v[14:15], v[36:37]
	v_fma_f64 v[14:15], v[6:7], v[14:15], -v[10:11]
	ds_load_b128 v[6:9], v1 offset:1616
	s_waitcnt vmcnt(1) lgkmcnt(1)
	v_mul_f64 v[10:11], v[2:3], v[20:21]
	v_mul_f64 v[12:13], v[4:5], v[20:21]
	s_delay_alu instid0(VALU_DEP_2) | instskip(NEXT) | instid1(VALU_DEP_2)
	v_fma_f64 v[20:21], v[4:5], v[18:19], v[10:11]
	v_fma_f64 v[18:19], v[2:3], v[18:19], -v[12:13]
	s_clause 0x1
	scratch_load_b128 v[2:5], off, off offset:608
	scratch_load_b128 v[10:13], off, off offset:624
	s_waitcnt vmcnt(1) lgkmcnt(0)
	v_mul_f64 v[36:37], v[6:7], v[4:5]
	v_mul_f64 v[4:5], v[8:9], v[4:5]
	s_delay_alu instid0(VALU_DEP_2) | instskip(NEXT) | instid1(VALU_DEP_2)
	v_fma_f64 v[36:37], v[8:9], v[2:3], v[36:37]
	v_fma_f64 v[40:41], v[6:7], v[2:3], -v[4:5]
	ds_load_b128 v[2:5], v1 offset:1632
	ds_load_b128 v[6:9], v1 offset:1648
	s_waitcnt vmcnt(0) lgkmcnt(1)
	v_mul_f64 v[42:43], v[2:3], v[12:13]
	s_delay_alu instid0(VALU_DEP_1) | instskip(SKIP_1) | instid1(VALU_DEP_1)
	v_fma_f64 v[42:43], v[4:5], v[10:11], v[42:43]
	v_mul_f64 v[4:5], v[4:5], v[12:13]
	v_fma_f64 v[44:45], v[2:3], v[10:11], -v[4:5]
	s_clause 0x1
	scratch_load_b128 v[2:5], off, off offset:640
	scratch_load_b128 v[10:13], off, off offset:656
	s_waitcnt vmcnt(1) lgkmcnt(0)
	v_mul_f64 v[46:47], v[6:7], v[4:5]
	v_mul_f64 v[4:5], v[8:9], v[4:5]
	s_delay_alu instid0(VALU_DEP_2) | instskip(NEXT) | instid1(VALU_DEP_2)
	v_fma_f64 v[46:47], v[8:9], v[2:3], v[46:47]
	v_fma_f64 v[48:49], v[6:7], v[2:3], -v[4:5]
	ds_load_b128 v[2:5], v1 offset:1664
	ds_load_b128 v[6:9], v1 offset:1680
	s_waitcnt vmcnt(0) lgkmcnt(1)
	v_mul_f64 v[51:52], v[2:3], v[12:13]
	s_delay_alu instid0(VALU_DEP_1) | instskip(SKIP_1) | instid1(VALU_DEP_1)
	v_fma_f64 v[51:52], v[4:5], v[10:11], v[51:52]
	v_mul_f64 v[4:5], v[4:5], v[12:13]
	;; [unrolled: 17-line block ×11, first 2 shown]
	v_fma_f64 v[204:205], v[2:3], v[10:11], -v[4:5]
	v_add_f64 v[2:3], v[22:23], 0
	v_add_f64 v[4:5], v[24:25], 0
	s_delay_alu instid0(VALU_DEP_2) | instskip(NEXT) | instid1(VALU_DEP_2)
	v_add_f64 v[2:3], v[2:3], v[26:27]
	v_add_f64 v[4:5], v[4:5], v[28:29]
	s_delay_alu instid0(VALU_DEP_2) | instskip(NEXT) | instid1(VALU_DEP_2)
	;; [unrolled: 3-line block ×20, first 2 shown]
	v_add_f64 v[2:3], v[2:3], v[206:207]
	v_add_f64 v[10:11], v[4:5], v[196:197]
	s_delay_alu instid0(VALU_DEP_2)
	v_add_f64 v[12:13], v[2:3], v[217:218]
	scratch_load_b128 v[2:5], off, off offset:960
	v_add_f64 v[14:15], v[10:11], v[211:212]
	v_add_f64 v[16:17], v[12:13], v[242:243]
	scratch_load_b128 v[10:13], off, off offset:976
	v_add_f64 v[18:19], v[14:15], v[240:241]
	;; [unrolled: 3-line block ×3, first 2 shown]
	v_add_f64 v[20:21], v[20:21], v[254:255]
	s_delay_alu instid0(VALU_DEP_2) | instskip(NEXT) | instid1(VALU_DEP_2)
	v_add_f64 v[18:19], v[18:19], v[252:253]
	v_add_f64 v[28:29], v[20:21], v[200:201]
	s_delay_alu instid0(VALU_DEP_2)
	v_add_f64 v[34:35], v[18:19], v[198:199]
	ds_load_b128 v[18:21], v1 offset:1984
	ds_load_b128 v[22:25], v1 offset:2000
	s_waitcnt vmcnt(2) lgkmcnt(2)
	v_mul_f64 v[26:27], v[6:7], v[4:5]
	v_mul_f64 v[4:5], v[8:9], v[4:5]
	s_waitcnt vmcnt(1) lgkmcnt(1)
	v_mul_f64 v[36:37], v[18:19], v[12:13]
	s_delay_alu instid0(VALU_DEP_3) | instskip(NEXT) | instid1(VALU_DEP_3)
	v_fma_f64 v[8:9], v[8:9], v[2:3], v[26:27]
	v_fma_f64 v[1:2], v[6:7], v[2:3], -v[4:5]
	v_mul_f64 v[3:4], v[20:21], v[12:13]
	v_add_f64 v[5:6], v[28:29], v[204:205]
	v_add_f64 v[12:13], v[34:35], v[202:203]
	s_waitcnt vmcnt(0) lgkmcnt(0)
	v_mul_f64 v[26:27], v[22:23], v[16:17]
	v_mul_f64 v[16:17], v[24:25], v[16:17]
	v_fma_f64 v[20:21], v[20:21], v[10:11], v[36:37]
	v_fma_f64 v[3:4], v[18:19], v[10:11], -v[3:4]
	v_add_f64 v[1:2], v[5:6], v[1:2]
	v_add_f64 v[5:6], v[12:13], v[8:9]
	v_fma_f64 v[7:8], v[24:25], v[14:15], v[26:27]
	v_fma_f64 v[9:10], v[22:23], v[14:15], -v[16:17]
	s_delay_alu instid0(VALU_DEP_4) | instskip(NEXT) | instid1(VALU_DEP_4)
	v_add_f64 v[1:2], v[1:2], v[3:4]
	v_add_f64 v[3:4], v[5:6], v[20:21]
	s_delay_alu instid0(VALU_DEP_2) | instskip(NEXT) | instid1(VALU_DEP_2)
	v_add_f64 v[1:2], v[1:2], v[9:10]
	v_add_f64 v[3:4], v[3:4], v[7:8]
	s_delay_alu instid0(VALU_DEP_2) | instskip(NEXT) | instid1(VALU_DEP_2)
	v_add_f64 v[1:2], v[30:31], -v[1:2]
	v_add_f64 v[3:4], v[32:33], -v[3:4]
	scratch_store_b128 off, v[1:4], off offset:512
	v_cmpx_lt_u32_e32 31, v179
	s_cbranch_execz .LBB126_341
; %bb.340:
	scratch_load_b32 v1, off, off offset:1484 ; 4-byte Folded Reload
	v_mov_b32_e32 v5, 0
	s_delay_alu instid0(VALU_DEP_1)
	v_mov_b32_e32 v6, v5
	v_mov_b32_e32 v7, v5
	;; [unrolled: 1-line block ×3, first 2 shown]
	s_waitcnt vmcnt(0)
	scratch_load_b128 v[1:4], v1, off
	scratch_store_b128 off, v[5:8], off offset:496
	s_waitcnt vmcnt(0)
	ds_store_b128 v244, v[1:4]
.LBB126_341:
	s_or_b32 exec_lo, exec_lo, s2
	s_waitcnt lgkmcnt(0)
	s_waitcnt_vscnt null, 0x0
	s_barrier
	buffer_gl0_inv
	s_clause 0x4
	scratch_load_b128 v[2:5], off, off offset:512
	scratch_load_b128 v[6:9], off, off offset:528
	;; [unrolled: 1-line block ×5, first 2 shown]
	v_mov_b32_e32 v1, 0
	scratch_load_b128 v[26:29], off, off offset:496
	s_mov_b32 s2, exec_lo
	ds_load_b128 v[22:25], v1 offset:1520
	ds_load_b128 v[30:33], v1 offset:1536
	s_waitcnt vmcnt(5) lgkmcnt(1)
	v_mul_f64 v[34:35], v[24:25], v[4:5]
	v_mul_f64 v[4:5], v[22:23], v[4:5]
	s_waitcnt vmcnt(4) lgkmcnt(0)
	v_mul_f64 v[36:37], v[30:31], v[8:9]
	v_mul_f64 v[8:9], v[32:33], v[8:9]
	s_delay_alu instid0(VALU_DEP_4) | instskip(NEXT) | instid1(VALU_DEP_4)
	v_fma_f64 v[22:23], v[22:23], v[2:3], -v[34:35]
	v_fma_f64 v[24:25], v[24:25], v[2:3], v[4:5]
	ds_load_b128 v[2:5], v1 offset:1552
	v_fma_f64 v[32:33], v[32:33], v[6:7], v[36:37]
	v_fma_f64 v[30:31], v[30:31], v[6:7], -v[8:9]
	ds_load_b128 v[6:9], v1 offset:1568
	s_waitcnt vmcnt(3) lgkmcnt(1)
	v_mul_f64 v[34:35], v[2:3], v[12:13]
	v_mul_f64 v[12:13], v[4:5], v[12:13]
	s_waitcnt vmcnt(2) lgkmcnt(0)
	v_mul_f64 v[36:37], v[6:7], v[16:17]
	s_delay_alu instid0(VALU_DEP_3) | instskip(NEXT) | instid1(VALU_DEP_3)
	v_fma_f64 v[34:35], v[4:5], v[10:11], v[34:35]
	v_fma_f64 v[38:39], v[2:3], v[10:11], -v[12:13]
	v_mul_f64 v[10:11], v[8:9], v[16:17]
	ds_load_b128 v[2:5], v1 offset:1584
	v_fma_f64 v[16:17], v[8:9], v[14:15], v[36:37]
	v_fma_f64 v[14:15], v[6:7], v[14:15], -v[10:11]
	ds_load_b128 v[6:9], v1 offset:1600
	s_waitcnt vmcnt(1) lgkmcnt(1)
	v_mul_f64 v[10:11], v[2:3], v[20:21]
	v_mul_f64 v[12:13], v[4:5], v[20:21]
	s_delay_alu instid0(VALU_DEP_2) | instskip(NEXT) | instid1(VALU_DEP_2)
	v_fma_f64 v[20:21], v[4:5], v[18:19], v[10:11]
	v_fma_f64 v[18:19], v[2:3], v[18:19], -v[12:13]
	s_clause 0x1
	scratch_load_b128 v[2:5], off, off offset:592
	scratch_load_b128 v[10:13], off, off offset:608
	s_waitcnt vmcnt(1) lgkmcnt(0)
	v_mul_f64 v[36:37], v[6:7], v[4:5]
	v_mul_f64 v[4:5], v[8:9], v[4:5]
	s_delay_alu instid0(VALU_DEP_2) | instskip(NEXT) | instid1(VALU_DEP_2)
	v_fma_f64 v[36:37], v[8:9], v[2:3], v[36:37]
	v_fma_f64 v[40:41], v[6:7], v[2:3], -v[4:5]
	ds_load_b128 v[2:5], v1 offset:1616
	ds_load_b128 v[6:9], v1 offset:1632
	s_waitcnt vmcnt(0) lgkmcnt(1)
	v_mul_f64 v[42:43], v[2:3], v[12:13]
	s_delay_alu instid0(VALU_DEP_1) | instskip(SKIP_1) | instid1(VALU_DEP_1)
	v_fma_f64 v[42:43], v[4:5], v[10:11], v[42:43]
	v_mul_f64 v[4:5], v[4:5], v[12:13]
	v_fma_f64 v[44:45], v[2:3], v[10:11], -v[4:5]
	s_clause 0x1
	scratch_load_b128 v[2:5], off, off offset:624
	scratch_load_b128 v[10:13], off, off offset:640
	s_waitcnt vmcnt(1) lgkmcnt(0)
	v_mul_f64 v[46:47], v[6:7], v[4:5]
	v_mul_f64 v[4:5], v[8:9], v[4:5]
	s_delay_alu instid0(VALU_DEP_2) | instskip(NEXT) | instid1(VALU_DEP_2)
	v_fma_f64 v[46:47], v[8:9], v[2:3], v[46:47]
	v_fma_f64 v[48:49], v[6:7], v[2:3], -v[4:5]
	ds_load_b128 v[2:5], v1 offset:1648
	ds_load_b128 v[6:9], v1 offset:1664
	s_waitcnt vmcnt(0) lgkmcnt(1)
	v_mul_f64 v[51:52], v[2:3], v[12:13]
	s_delay_alu instid0(VALU_DEP_1) | instskip(SKIP_1) | instid1(VALU_DEP_1)
	v_fma_f64 v[51:52], v[4:5], v[10:11], v[51:52]
	v_mul_f64 v[4:5], v[4:5], v[12:13]
	;; [unrolled: 17-line block ×11, first 2 shown]
	v_fma_f64 v[254:255], v[2:3], v[10:11], -v[4:5]
	v_add_f64 v[2:3], v[22:23], 0
	v_add_f64 v[4:5], v[24:25], 0
	s_delay_alu instid0(VALU_DEP_2) | instskip(NEXT) | instid1(VALU_DEP_2)
	v_add_f64 v[2:3], v[2:3], v[30:31]
	v_add_f64 v[4:5], v[4:5], v[32:33]
	s_delay_alu instid0(VALU_DEP_2) | instskip(NEXT) | instid1(VALU_DEP_2)
	;; [unrolled: 3-line block ×20, first 2 shown]
	v_add_f64 v[2:3], v[2:3], v[198:199]
	v_add_f64 v[10:11], v[4:5], v[196:197]
	s_delay_alu instid0(VALU_DEP_2)
	v_add_f64 v[12:13], v[2:3], v[202:203]
	scratch_load_b128 v[2:5], off, off offset:944
	v_add_f64 v[14:15], v[10:11], v[200:201]
	v_add_f64 v[16:17], v[12:13], v[206:207]
	scratch_load_b128 v[10:13], off, off offset:960
	v_add_f64 v[18:19], v[14:15], v[204:205]
	;; [unrolled: 3-line block ×4, first 2 shown]
	v_add_f64 v[24:25], v[24:25], v[247:248]
	s_delay_alu instid0(VALU_DEP_2) | instskip(NEXT) | instid1(VALU_DEP_2)
	v_add_f64 v[22:23], v[22:23], v[245:246]
	v_add_f64 v[24:25], v[24:25], v[254:255]
	s_delay_alu instid0(VALU_DEP_2) | instskip(SKIP_3) | instid1(VALU_DEP_2)
	v_add_f64 v[22:23], v[22:23], v[252:253]
	s_waitcnt vmcnt(3) lgkmcnt(0)
	v_mul_f64 v[30:31], v[6:7], v[4:5]
	v_mul_f64 v[4:5], v[8:9], v[4:5]
	v_fma_f64 v[30:31], v[8:9], v[2:3], v[30:31]
	s_delay_alu instid0(VALU_DEP_2)
	v_fma_f64 v[32:33], v[6:7], v[2:3], -v[4:5]
	ds_load_b128 v[2:5], v1 offset:1968
	ds_load_b128 v[6:9], v1 offset:1984
	s_waitcnt vmcnt(2) lgkmcnt(1)
	v_mul_f64 v[34:35], v[2:3], v[12:13]
	v_mul_f64 v[12:13], v[4:5], v[12:13]
	s_waitcnt vmcnt(1) lgkmcnt(0)
	v_mul_f64 v[36:37], v[6:7], v[16:17]
	v_add_f64 v[22:23], v[22:23], v[30:31]
	s_delay_alu instid0(VALU_DEP_4) | instskip(NEXT) | instid1(VALU_DEP_4)
	v_fma_f64 v[34:35], v[4:5], v[10:11], v[34:35]
	v_fma_f64 v[10:11], v[2:3], v[10:11], -v[12:13]
	v_mul_f64 v[12:13], v[8:9], v[16:17]
	v_add_f64 v[16:17], v[24:25], v[32:33]
	ds_load_b128 v[2:5], v1 offset:2000
	v_fma_f64 v[8:9], v[8:9], v[14:15], v[36:37]
	s_waitcnt vmcnt(0) lgkmcnt(0)
	v_mul_f64 v[24:25], v[2:3], v[20:21]
	v_mul_f64 v[20:21], v[4:5], v[20:21]
	v_fma_f64 v[6:7], v[6:7], v[14:15], -v[12:13]
	v_add_f64 v[10:11], v[16:17], v[10:11]
	v_add_f64 v[12:13], v[22:23], v[34:35]
	v_fma_f64 v[4:5], v[4:5], v[18:19], v[24:25]
	v_fma_f64 v[2:3], v[2:3], v[18:19], -v[20:21]
	s_delay_alu instid0(VALU_DEP_4) | instskip(NEXT) | instid1(VALU_DEP_4)
	v_add_f64 v[6:7], v[10:11], v[6:7]
	v_add_f64 v[8:9], v[12:13], v[8:9]
	s_delay_alu instid0(VALU_DEP_2) | instskip(NEXT) | instid1(VALU_DEP_2)
	v_add_f64 v[2:3], v[6:7], v[2:3]
	v_add_f64 v[4:5], v[8:9], v[4:5]
	s_delay_alu instid0(VALU_DEP_2) | instskip(NEXT) | instid1(VALU_DEP_2)
	v_add_f64 v[2:3], v[26:27], -v[2:3]
	v_add_f64 v[4:5], v[28:29], -v[4:5]
	scratch_store_b128 off, v[2:5], off offset:496
	v_cmpx_lt_u32_e32 30, v179
	s_cbranch_execz .LBB126_343
; %bb.342:
	scratch_load_b32 v2, off, off offset:1488 ; 4-byte Folded Reload
	v_mov_b32_e32 v3, v1
	v_mov_b32_e32 v4, v1
	s_waitcnt vmcnt(0)
	scratch_load_b128 v[5:8], v2, off
	v_mov_b32_e32 v2, v1
	scratch_store_b128 off, v[1:4], off offset:480
	s_waitcnt vmcnt(0)
	ds_store_b128 v244, v[5:8]
.LBB126_343:
	s_or_b32 exec_lo, exec_lo, s2
	s_waitcnt lgkmcnt(0)
	s_waitcnt_vscnt null, 0x0
	s_barrier
	buffer_gl0_inv
	s_clause 0x4
	scratch_load_b128 v[2:5], off, off offset:496
	scratch_load_b128 v[6:9], off, off offset:512
	;; [unrolled: 1-line block ×5, first 2 shown]
	ds_load_b128 v[22:25], v1 offset:1504
	ds_load_b128 v[26:29], v1 offset:1520
	scratch_load_b128 v[30:33], off, off offset:480
	s_mov_b32 s2, exec_lo
	s_waitcnt vmcnt(5) lgkmcnt(1)
	v_mul_f64 v[34:35], v[24:25], v[4:5]
	v_mul_f64 v[4:5], v[22:23], v[4:5]
	s_waitcnt vmcnt(4) lgkmcnt(0)
	v_mul_f64 v[36:37], v[26:27], v[8:9]
	v_mul_f64 v[8:9], v[28:29], v[8:9]
	s_delay_alu instid0(VALU_DEP_4) | instskip(NEXT) | instid1(VALU_DEP_4)
	v_fma_f64 v[22:23], v[22:23], v[2:3], -v[34:35]
	v_fma_f64 v[24:25], v[24:25], v[2:3], v[4:5]
	ds_load_b128 v[2:5], v1 offset:1536
	v_fma_f64 v[28:29], v[28:29], v[6:7], v[36:37]
	v_fma_f64 v[26:27], v[26:27], v[6:7], -v[8:9]
	ds_load_b128 v[6:9], v1 offset:1552
	s_waitcnt vmcnt(3) lgkmcnt(1)
	v_mul_f64 v[34:35], v[2:3], v[12:13]
	v_mul_f64 v[12:13], v[4:5], v[12:13]
	s_waitcnt vmcnt(2) lgkmcnt(0)
	v_mul_f64 v[36:37], v[6:7], v[16:17]
	s_delay_alu instid0(VALU_DEP_3) | instskip(NEXT) | instid1(VALU_DEP_3)
	v_fma_f64 v[34:35], v[4:5], v[10:11], v[34:35]
	v_fma_f64 v[38:39], v[2:3], v[10:11], -v[12:13]
	v_mul_f64 v[10:11], v[8:9], v[16:17]
	ds_load_b128 v[2:5], v1 offset:1568
	v_fma_f64 v[16:17], v[8:9], v[14:15], v[36:37]
	v_fma_f64 v[14:15], v[6:7], v[14:15], -v[10:11]
	ds_load_b128 v[6:9], v1 offset:1584
	s_waitcnt vmcnt(1) lgkmcnt(1)
	v_mul_f64 v[10:11], v[2:3], v[20:21]
	v_mul_f64 v[12:13], v[4:5], v[20:21]
	s_delay_alu instid0(VALU_DEP_2) | instskip(NEXT) | instid1(VALU_DEP_2)
	v_fma_f64 v[20:21], v[4:5], v[18:19], v[10:11]
	v_fma_f64 v[18:19], v[2:3], v[18:19], -v[12:13]
	s_clause 0x1
	scratch_load_b128 v[2:5], off, off offset:576
	scratch_load_b128 v[10:13], off, off offset:592
	s_waitcnt vmcnt(1) lgkmcnt(0)
	v_mul_f64 v[36:37], v[6:7], v[4:5]
	v_mul_f64 v[4:5], v[8:9], v[4:5]
	s_delay_alu instid0(VALU_DEP_2) | instskip(NEXT) | instid1(VALU_DEP_2)
	v_fma_f64 v[36:37], v[8:9], v[2:3], v[36:37]
	v_fma_f64 v[40:41], v[6:7], v[2:3], -v[4:5]
	ds_load_b128 v[2:5], v1 offset:1600
	ds_load_b128 v[6:9], v1 offset:1616
	s_waitcnt vmcnt(0) lgkmcnt(1)
	v_mul_f64 v[42:43], v[2:3], v[12:13]
	s_delay_alu instid0(VALU_DEP_1) | instskip(SKIP_1) | instid1(VALU_DEP_1)
	v_fma_f64 v[42:43], v[4:5], v[10:11], v[42:43]
	v_mul_f64 v[4:5], v[4:5], v[12:13]
	v_fma_f64 v[44:45], v[2:3], v[10:11], -v[4:5]
	s_clause 0x1
	scratch_load_b128 v[2:5], off, off offset:608
	scratch_load_b128 v[10:13], off, off offset:624
	s_waitcnt vmcnt(1) lgkmcnt(0)
	v_mul_f64 v[46:47], v[6:7], v[4:5]
	v_mul_f64 v[4:5], v[8:9], v[4:5]
	s_delay_alu instid0(VALU_DEP_2) | instskip(NEXT) | instid1(VALU_DEP_2)
	v_fma_f64 v[46:47], v[8:9], v[2:3], v[46:47]
	v_fma_f64 v[48:49], v[6:7], v[2:3], -v[4:5]
	ds_load_b128 v[2:5], v1 offset:1632
	ds_load_b128 v[6:9], v1 offset:1648
	s_waitcnt vmcnt(0) lgkmcnt(1)
	v_mul_f64 v[51:52], v[2:3], v[12:13]
	s_delay_alu instid0(VALU_DEP_1) | instskip(SKIP_1) | instid1(VALU_DEP_1)
	v_fma_f64 v[51:52], v[4:5], v[10:11], v[51:52]
	v_mul_f64 v[4:5], v[4:5], v[12:13]
	;; [unrolled: 17-line block ×12, first 2 shown]
	v_fma_f64 v[249:250], v[2:3], v[10:11], -v[4:5]
	v_add_f64 v[2:3], v[22:23], 0
	v_add_f64 v[4:5], v[24:25], 0
	s_delay_alu instid0(VALU_DEP_2) | instskip(NEXT) | instid1(VALU_DEP_2)
	v_add_f64 v[2:3], v[2:3], v[26:27]
	v_add_f64 v[4:5], v[4:5], v[28:29]
	s_delay_alu instid0(VALU_DEP_2) | instskip(NEXT) | instid1(VALU_DEP_2)
	;; [unrolled: 3-line block ×22, first 2 shown]
	v_add_f64 v[2:3], v[2:3], v[206:207]
	v_add_f64 v[10:11], v[4:5], v[204:205]
	s_delay_alu instid0(VALU_DEP_2)
	v_add_f64 v[12:13], v[2:3], v[217:218]
	scratch_load_b128 v[2:5], off, off offset:960
	v_add_f64 v[14:15], v[10:11], v[211:212]
	v_add_f64 v[16:17], v[12:13], v[242:243]
	scratch_load_b128 v[10:13], off, off offset:976
	v_add_f64 v[18:19], v[14:15], v[240:241]
	v_add_f64 v[20:21], v[16:17], v[247:248]
	scratch_load_b128 v[14:17], off, off offset:992
	v_add_f64 v[18:19], v[18:19], v[245:246]
	v_add_f64 v[20:21], v[20:21], v[254:255]
	s_delay_alu instid0(VALU_DEP_2) | instskip(NEXT) | instid1(VALU_DEP_2)
	v_add_f64 v[18:19], v[18:19], v[252:253]
	v_add_f64 v[28:29], v[20:21], v[213:214]
	s_delay_alu instid0(VALU_DEP_2)
	v_add_f64 v[34:35], v[18:19], v[208:209]
	ds_load_b128 v[18:21], v1 offset:1984
	ds_load_b128 v[22:25], v1 offset:2000
	s_waitcnt vmcnt(2) lgkmcnt(2)
	v_mul_f64 v[26:27], v[6:7], v[4:5]
	v_mul_f64 v[4:5], v[8:9], v[4:5]
	s_waitcnt vmcnt(1) lgkmcnt(1)
	v_mul_f64 v[36:37], v[18:19], v[12:13]
	s_delay_alu instid0(VALU_DEP_3) | instskip(NEXT) | instid1(VALU_DEP_3)
	v_fma_f64 v[8:9], v[8:9], v[2:3], v[26:27]
	v_fma_f64 v[1:2], v[6:7], v[2:3], -v[4:5]
	v_mul_f64 v[3:4], v[20:21], v[12:13]
	v_add_f64 v[5:6], v[28:29], v[249:250]
	v_add_f64 v[12:13], v[34:35], v[215:216]
	s_waitcnt vmcnt(0) lgkmcnt(0)
	v_mul_f64 v[26:27], v[22:23], v[16:17]
	v_mul_f64 v[16:17], v[24:25], v[16:17]
	v_fma_f64 v[20:21], v[20:21], v[10:11], v[36:37]
	v_fma_f64 v[3:4], v[18:19], v[10:11], -v[3:4]
	v_add_f64 v[1:2], v[5:6], v[1:2]
	v_add_f64 v[5:6], v[12:13], v[8:9]
	v_fma_f64 v[7:8], v[24:25], v[14:15], v[26:27]
	v_fma_f64 v[9:10], v[22:23], v[14:15], -v[16:17]
	s_delay_alu instid0(VALU_DEP_4) | instskip(NEXT) | instid1(VALU_DEP_4)
	v_add_f64 v[1:2], v[1:2], v[3:4]
	v_add_f64 v[3:4], v[5:6], v[20:21]
	s_delay_alu instid0(VALU_DEP_2) | instskip(NEXT) | instid1(VALU_DEP_2)
	v_add_f64 v[1:2], v[1:2], v[9:10]
	v_add_f64 v[3:4], v[3:4], v[7:8]
	s_delay_alu instid0(VALU_DEP_2) | instskip(NEXT) | instid1(VALU_DEP_2)
	v_add_f64 v[1:2], v[30:31], -v[1:2]
	v_add_f64 v[3:4], v[32:33], -v[3:4]
	scratch_store_b128 off, v[1:4], off offset:480
	v_cmpx_lt_u32_e32 29, v179
	s_cbranch_execz .LBB126_345
; %bb.344:
	scratch_load_b32 v1, off, off offset:1492 ; 4-byte Folded Reload
	v_mov_b32_e32 v5, 0
	s_delay_alu instid0(VALU_DEP_1)
	v_mov_b32_e32 v6, v5
	v_mov_b32_e32 v7, v5
	;; [unrolled: 1-line block ×3, first 2 shown]
	s_waitcnt vmcnt(0)
	scratch_load_b128 v[1:4], v1, off
	scratch_store_b128 off, v[5:8], off offset:464
	s_waitcnt vmcnt(0)
	ds_store_b128 v244, v[1:4]
.LBB126_345:
	s_or_b32 exec_lo, exec_lo, s2
	s_waitcnt lgkmcnt(0)
	s_waitcnt_vscnt null, 0x0
	s_barrier
	buffer_gl0_inv
	s_clause 0x4
	scratch_load_b128 v[2:5], off, off offset:480
	scratch_load_b128 v[6:9], off, off offset:496
	;; [unrolled: 1-line block ×5, first 2 shown]
	v_mov_b32_e32 v1, 0
	scratch_load_b128 v[26:29], off, off offset:464
	s_mov_b32 s2, exec_lo
	ds_load_b128 v[22:25], v1 offset:1488
	ds_load_b128 v[30:33], v1 offset:1504
	s_waitcnt vmcnt(5) lgkmcnt(1)
	v_mul_f64 v[34:35], v[24:25], v[4:5]
	v_mul_f64 v[4:5], v[22:23], v[4:5]
	s_waitcnt vmcnt(4) lgkmcnt(0)
	v_mul_f64 v[36:37], v[30:31], v[8:9]
	v_mul_f64 v[8:9], v[32:33], v[8:9]
	s_delay_alu instid0(VALU_DEP_4) | instskip(NEXT) | instid1(VALU_DEP_4)
	v_fma_f64 v[22:23], v[22:23], v[2:3], -v[34:35]
	v_fma_f64 v[24:25], v[24:25], v[2:3], v[4:5]
	ds_load_b128 v[2:5], v1 offset:1520
	v_fma_f64 v[32:33], v[32:33], v[6:7], v[36:37]
	v_fma_f64 v[30:31], v[30:31], v[6:7], -v[8:9]
	ds_load_b128 v[6:9], v1 offset:1536
	s_waitcnt vmcnt(3) lgkmcnt(1)
	v_mul_f64 v[34:35], v[2:3], v[12:13]
	v_mul_f64 v[12:13], v[4:5], v[12:13]
	s_waitcnt vmcnt(2) lgkmcnt(0)
	v_mul_f64 v[36:37], v[6:7], v[16:17]
	s_delay_alu instid0(VALU_DEP_3) | instskip(NEXT) | instid1(VALU_DEP_3)
	v_fma_f64 v[34:35], v[4:5], v[10:11], v[34:35]
	v_fma_f64 v[38:39], v[2:3], v[10:11], -v[12:13]
	v_mul_f64 v[10:11], v[8:9], v[16:17]
	ds_load_b128 v[2:5], v1 offset:1552
	v_fma_f64 v[16:17], v[8:9], v[14:15], v[36:37]
	v_fma_f64 v[14:15], v[6:7], v[14:15], -v[10:11]
	ds_load_b128 v[6:9], v1 offset:1568
	s_waitcnt vmcnt(1) lgkmcnt(1)
	v_mul_f64 v[10:11], v[2:3], v[20:21]
	v_mul_f64 v[12:13], v[4:5], v[20:21]
	s_delay_alu instid0(VALU_DEP_2) | instskip(NEXT) | instid1(VALU_DEP_2)
	v_fma_f64 v[20:21], v[4:5], v[18:19], v[10:11]
	v_fma_f64 v[18:19], v[2:3], v[18:19], -v[12:13]
	s_clause 0x1
	scratch_load_b128 v[2:5], off, off offset:560
	scratch_load_b128 v[10:13], off, off offset:576
	s_waitcnt vmcnt(1) lgkmcnt(0)
	v_mul_f64 v[36:37], v[6:7], v[4:5]
	v_mul_f64 v[4:5], v[8:9], v[4:5]
	s_delay_alu instid0(VALU_DEP_2) | instskip(NEXT) | instid1(VALU_DEP_2)
	v_fma_f64 v[36:37], v[8:9], v[2:3], v[36:37]
	v_fma_f64 v[40:41], v[6:7], v[2:3], -v[4:5]
	ds_load_b128 v[2:5], v1 offset:1584
	ds_load_b128 v[6:9], v1 offset:1600
	s_waitcnt vmcnt(0) lgkmcnt(1)
	v_mul_f64 v[42:43], v[2:3], v[12:13]
	s_delay_alu instid0(VALU_DEP_1) | instskip(SKIP_1) | instid1(VALU_DEP_1)
	v_fma_f64 v[42:43], v[4:5], v[10:11], v[42:43]
	v_mul_f64 v[4:5], v[4:5], v[12:13]
	v_fma_f64 v[44:45], v[2:3], v[10:11], -v[4:5]
	s_clause 0x1
	scratch_load_b128 v[2:5], off, off offset:592
	scratch_load_b128 v[10:13], off, off offset:608
	s_waitcnt vmcnt(1) lgkmcnt(0)
	v_mul_f64 v[46:47], v[6:7], v[4:5]
	v_mul_f64 v[4:5], v[8:9], v[4:5]
	s_delay_alu instid0(VALU_DEP_2) | instskip(NEXT) | instid1(VALU_DEP_2)
	v_fma_f64 v[46:47], v[8:9], v[2:3], v[46:47]
	v_fma_f64 v[48:49], v[6:7], v[2:3], -v[4:5]
	ds_load_b128 v[2:5], v1 offset:1616
	ds_load_b128 v[6:9], v1 offset:1632
	s_waitcnt vmcnt(0) lgkmcnt(1)
	v_mul_f64 v[51:52], v[2:3], v[12:13]
	s_delay_alu instid0(VALU_DEP_1) | instskip(SKIP_1) | instid1(VALU_DEP_1)
	v_fma_f64 v[51:52], v[4:5], v[10:11], v[51:52]
	v_mul_f64 v[4:5], v[4:5], v[12:13]
	;; [unrolled: 17-line block ×12, first 2 shown]
	v_fma_f64 v[254:255], v[2:3], v[10:11], -v[4:5]
	v_add_f64 v[2:3], v[22:23], 0
	v_add_f64 v[4:5], v[24:25], 0
	s_delay_alu instid0(VALU_DEP_2) | instskip(NEXT) | instid1(VALU_DEP_2)
	v_add_f64 v[2:3], v[2:3], v[30:31]
	v_add_f64 v[4:5], v[4:5], v[32:33]
	s_delay_alu instid0(VALU_DEP_2) | instskip(NEXT) | instid1(VALU_DEP_2)
	;; [unrolled: 3-line block ×22, first 2 shown]
	v_add_f64 v[2:3], v[2:3], v[206:207]
	v_add_f64 v[10:11], v[4:5], v[204:205]
	s_delay_alu instid0(VALU_DEP_2)
	v_add_f64 v[12:13], v[2:3], v[211:212]
	scratch_load_b128 v[2:5], off, off offset:944
	v_add_f64 v[14:15], v[10:11], v[208:209]
	v_add_f64 v[16:17], v[12:13], v[215:216]
	scratch_load_b128 v[10:13], off, off offset:960
	v_add_f64 v[18:19], v[14:15], v[213:214]
	;; [unrolled: 3-line block ×4, first 2 shown]
	v_add_f64 v[24:25], v[24:25], v[249:250]
	s_delay_alu instid0(VALU_DEP_2) | instskip(NEXT) | instid1(VALU_DEP_2)
	v_add_f64 v[22:23], v[22:23], v[247:248]
	v_add_f64 v[24:25], v[24:25], v[254:255]
	s_delay_alu instid0(VALU_DEP_2) | instskip(SKIP_3) | instid1(VALU_DEP_2)
	v_add_f64 v[22:23], v[22:23], v[252:253]
	s_waitcnt vmcnt(3) lgkmcnt(0)
	v_mul_f64 v[30:31], v[6:7], v[4:5]
	v_mul_f64 v[4:5], v[8:9], v[4:5]
	v_fma_f64 v[30:31], v[8:9], v[2:3], v[30:31]
	s_delay_alu instid0(VALU_DEP_2)
	v_fma_f64 v[32:33], v[6:7], v[2:3], -v[4:5]
	ds_load_b128 v[2:5], v1 offset:1968
	ds_load_b128 v[6:9], v1 offset:1984
	s_waitcnt vmcnt(2) lgkmcnt(1)
	v_mul_f64 v[34:35], v[2:3], v[12:13]
	v_mul_f64 v[12:13], v[4:5], v[12:13]
	s_waitcnt vmcnt(1) lgkmcnt(0)
	v_mul_f64 v[36:37], v[6:7], v[16:17]
	v_add_f64 v[22:23], v[22:23], v[30:31]
	s_delay_alu instid0(VALU_DEP_4) | instskip(NEXT) | instid1(VALU_DEP_4)
	v_fma_f64 v[34:35], v[4:5], v[10:11], v[34:35]
	v_fma_f64 v[10:11], v[2:3], v[10:11], -v[12:13]
	v_mul_f64 v[12:13], v[8:9], v[16:17]
	v_add_f64 v[16:17], v[24:25], v[32:33]
	ds_load_b128 v[2:5], v1 offset:2000
	v_fma_f64 v[8:9], v[8:9], v[14:15], v[36:37]
	s_waitcnt vmcnt(0) lgkmcnt(0)
	v_mul_f64 v[24:25], v[2:3], v[20:21]
	v_mul_f64 v[20:21], v[4:5], v[20:21]
	v_fma_f64 v[6:7], v[6:7], v[14:15], -v[12:13]
	v_add_f64 v[10:11], v[16:17], v[10:11]
	v_add_f64 v[12:13], v[22:23], v[34:35]
	v_fma_f64 v[4:5], v[4:5], v[18:19], v[24:25]
	v_fma_f64 v[2:3], v[2:3], v[18:19], -v[20:21]
	s_delay_alu instid0(VALU_DEP_4) | instskip(NEXT) | instid1(VALU_DEP_4)
	v_add_f64 v[6:7], v[10:11], v[6:7]
	v_add_f64 v[8:9], v[12:13], v[8:9]
	s_delay_alu instid0(VALU_DEP_2) | instskip(NEXT) | instid1(VALU_DEP_2)
	v_add_f64 v[2:3], v[6:7], v[2:3]
	v_add_f64 v[4:5], v[8:9], v[4:5]
	s_delay_alu instid0(VALU_DEP_2) | instskip(NEXT) | instid1(VALU_DEP_2)
	v_add_f64 v[2:3], v[26:27], -v[2:3]
	v_add_f64 v[4:5], v[28:29], -v[4:5]
	scratch_store_b128 off, v[2:5], off offset:464
	v_cmpx_lt_u32_e32 28, v179
	s_cbranch_execz .LBB126_347
; %bb.346:
	scratch_load_b32 v2, off, off offset:1496 ; 4-byte Folded Reload
	v_mov_b32_e32 v3, v1
	v_mov_b32_e32 v4, v1
	s_waitcnt vmcnt(0)
	scratch_load_b128 v[5:8], v2, off
	v_mov_b32_e32 v2, v1
	scratch_store_b128 off, v[1:4], off offset:448
	s_waitcnt vmcnt(0)
	ds_store_b128 v244, v[5:8]
.LBB126_347:
	s_or_b32 exec_lo, exec_lo, s2
	s_waitcnt lgkmcnt(0)
	s_waitcnt_vscnt null, 0x0
	s_barrier
	buffer_gl0_inv
	s_clause 0x4
	scratch_load_b128 v[2:5], off, off offset:464
	scratch_load_b128 v[6:9], off, off offset:480
	;; [unrolled: 1-line block ×5, first 2 shown]
	ds_load_b128 v[22:25], v1 offset:1472
	ds_load_b128 v[26:29], v1 offset:1488
	scratch_load_b128 v[30:33], off, off offset:448
	s_mov_b32 s2, exec_lo
	s_waitcnt vmcnt(5) lgkmcnt(1)
	v_mul_f64 v[34:35], v[24:25], v[4:5]
	v_mul_f64 v[4:5], v[22:23], v[4:5]
	s_waitcnt vmcnt(4) lgkmcnt(0)
	v_mul_f64 v[36:37], v[26:27], v[8:9]
	v_mul_f64 v[8:9], v[28:29], v[8:9]
	s_delay_alu instid0(VALU_DEP_4) | instskip(NEXT) | instid1(VALU_DEP_4)
	v_fma_f64 v[22:23], v[22:23], v[2:3], -v[34:35]
	v_fma_f64 v[24:25], v[24:25], v[2:3], v[4:5]
	ds_load_b128 v[2:5], v1 offset:1504
	v_fma_f64 v[28:29], v[28:29], v[6:7], v[36:37]
	v_fma_f64 v[26:27], v[26:27], v[6:7], -v[8:9]
	ds_load_b128 v[6:9], v1 offset:1520
	s_waitcnt vmcnt(3) lgkmcnt(1)
	v_mul_f64 v[34:35], v[2:3], v[12:13]
	v_mul_f64 v[12:13], v[4:5], v[12:13]
	s_waitcnt vmcnt(2) lgkmcnt(0)
	v_mul_f64 v[36:37], v[6:7], v[16:17]
	s_delay_alu instid0(VALU_DEP_3) | instskip(NEXT) | instid1(VALU_DEP_3)
	v_fma_f64 v[34:35], v[4:5], v[10:11], v[34:35]
	v_fma_f64 v[38:39], v[2:3], v[10:11], -v[12:13]
	v_mul_f64 v[10:11], v[8:9], v[16:17]
	ds_load_b128 v[2:5], v1 offset:1536
	v_fma_f64 v[16:17], v[8:9], v[14:15], v[36:37]
	v_fma_f64 v[14:15], v[6:7], v[14:15], -v[10:11]
	ds_load_b128 v[6:9], v1 offset:1552
	s_waitcnt vmcnt(1) lgkmcnt(1)
	v_mul_f64 v[10:11], v[2:3], v[20:21]
	v_mul_f64 v[12:13], v[4:5], v[20:21]
	s_delay_alu instid0(VALU_DEP_2) | instskip(NEXT) | instid1(VALU_DEP_2)
	v_fma_f64 v[20:21], v[4:5], v[18:19], v[10:11]
	v_fma_f64 v[18:19], v[2:3], v[18:19], -v[12:13]
	s_clause 0x1
	scratch_load_b128 v[2:5], off, off offset:544
	scratch_load_b128 v[10:13], off, off offset:560
	s_waitcnt vmcnt(1) lgkmcnt(0)
	v_mul_f64 v[36:37], v[6:7], v[4:5]
	v_mul_f64 v[4:5], v[8:9], v[4:5]
	s_delay_alu instid0(VALU_DEP_2) | instskip(NEXT) | instid1(VALU_DEP_2)
	v_fma_f64 v[36:37], v[8:9], v[2:3], v[36:37]
	v_fma_f64 v[40:41], v[6:7], v[2:3], -v[4:5]
	ds_load_b128 v[2:5], v1 offset:1568
	ds_load_b128 v[6:9], v1 offset:1584
	s_waitcnt vmcnt(0) lgkmcnt(1)
	v_mul_f64 v[42:43], v[2:3], v[12:13]
	s_delay_alu instid0(VALU_DEP_1) | instskip(SKIP_1) | instid1(VALU_DEP_1)
	v_fma_f64 v[42:43], v[4:5], v[10:11], v[42:43]
	v_mul_f64 v[4:5], v[4:5], v[12:13]
	v_fma_f64 v[44:45], v[2:3], v[10:11], -v[4:5]
	s_clause 0x1
	scratch_load_b128 v[2:5], off, off offset:576
	scratch_load_b128 v[10:13], off, off offset:592
	s_waitcnt vmcnt(1) lgkmcnt(0)
	v_mul_f64 v[46:47], v[6:7], v[4:5]
	v_mul_f64 v[4:5], v[8:9], v[4:5]
	s_delay_alu instid0(VALU_DEP_2) | instskip(NEXT) | instid1(VALU_DEP_2)
	v_fma_f64 v[46:47], v[8:9], v[2:3], v[46:47]
	v_fma_f64 v[48:49], v[6:7], v[2:3], -v[4:5]
	ds_load_b128 v[2:5], v1 offset:1600
	ds_load_b128 v[6:9], v1 offset:1616
	s_waitcnt vmcnt(0) lgkmcnt(1)
	v_mul_f64 v[51:52], v[2:3], v[12:13]
	s_delay_alu instid0(VALU_DEP_1) | instskip(SKIP_1) | instid1(VALU_DEP_1)
	v_fma_f64 v[51:52], v[4:5], v[10:11], v[51:52]
	v_mul_f64 v[4:5], v[4:5], v[12:13]
	;; [unrolled: 17-line block ×13, first 2 shown]
	v_fma_f64 v[225:226], v[2:3], v[10:11], -v[4:5]
	v_add_f64 v[2:3], v[22:23], 0
	v_add_f64 v[4:5], v[24:25], 0
	s_delay_alu instid0(VALU_DEP_2) | instskip(NEXT) | instid1(VALU_DEP_2)
	v_add_f64 v[2:3], v[2:3], v[26:27]
	v_add_f64 v[4:5], v[4:5], v[28:29]
	s_delay_alu instid0(VALU_DEP_2) | instskip(NEXT) | instid1(VALU_DEP_2)
	;; [unrolled: 3-line block ×24, first 2 shown]
	v_add_f64 v[2:3], v[2:3], v[215:216]
	v_add_f64 v[10:11], v[4:5], v[213:214]
	s_delay_alu instid0(VALU_DEP_2)
	v_add_f64 v[12:13], v[2:3], v[240:241]
	scratch_load_b128 v[2:5], off, off offset:960
	v_add_f64 v[14:15], v[10:11], v[217:218]
	v_add_f64 v[16:17], v[12:13], v[245:246]
	scratch_load_b128 v[10:13], off, off offset:976
	v_add_f64 v[18:19], v[14:15], v[242:243]
	;; [unrolled: 3-line block ×3, first 2 shown]
	v_add_f64 v[20:21], v[20:21], v[254:255]
	s_delay_alu instid0(VALU_DEP_2) | instskip(NEXT) | instid1(VALU_DEP_2)
	v_add_f64 v[18:19], v[18:19], v[252:253]
	v_add_f64 v[28:29], v[20:21], v[221:222]
	s_delay_alu instid0(VALU_DEP_2)
	v_add_f64 v[34:35], v[18:19], v[219:220]
	ds_load_b128 v[18:21], v1 offset:1984
	ds_load_b128 v[22:25], v1 offset:2000
	s_waitcnt vmcnt(2) lgkmcnt(2)
	v_mul_f64 v[26:27], v[6:7], v[4:5]
	v_mul_f64 v[4:5], v[8:9], v[4:5]
	s_waitcnt vmcnt(1) lgkmcnt(1)
	v_mul_f64 v[36:37], v[18:19], v[12:13]
	s_delay_alu instid0(VALU_DEP_3) | instskip(NEXT) | instid1(VALU_DEP_3)
	v_fma_f64 v[8:9], v[8:9], v[2:3], v[26:27]
	v_fma_f64 v[1:2], v[6:7], v[2:3], -v[4:5]
	v_mul_f64 v[3:4], v[20:21], v[12:13]
	v_add_f64 v[5:6], v[28:29], v[225:226]
	v_add_f64 v[12:13], v[34:35], v[223:224]
	s_waitcnt vmcnt(0) lgkmcnt(0)
	v_mul_f64 v[26:27], v[22:23], v[16:17]
	v_mul_f64 v[16:17], v[24:25], v[16:17]
	v_fma_f64 v[20:21], v[20:21], v[10:11], v[36:37]
	v_fma_f64 v[3:4], v[18:19], v[10:11], -v[3:4]
	v_add_f64 v[1:2], v[5:6], v[1:2]
	v_add_f64 v[5:6], v[12:13], v[8:9]
	v_fma_f64 v[7:8], v[24:25], v[14:15], v[26:27]
	v_fma_f64 v[9:10], v[22:23], v[14:15], -v[16:17]
	s_delay_alu instid0(VALU_DEP_4) | instskip(NEXT) | instid1(VALU_DEP_4)
	v_add_f64 v[1:2], v[1:2], v[3:4]
	v_add_f64 v[3:4], v[5:6], v[20:21]
	s_delay_alu instid0(VALU_DEP_2) | instskip(NEXT) | instid1(VALU_DEP_2)
	v_add_f64 v[1:2], v[1:2], v[9:10]
	v_add_f64 v[3:4], v[3:4], v[7:8]
	s_delay_alu instid0(VALU_DEP_2) | instskip(NEXT) | instid1(VALU_DEP_2)
	v_add_f64 v[1:2], v[30:31], -v[1:2]
	v_add_f64 v[3:4], v[32:33], -v[3:4]
	scratch_store_b128 off, v[1:4], off offset:448
	v_cmpx_lt_u32_e32 27, v179
	s_cbranch_execz .LBB126_349
; %bb.348:
	scratch_load_b32 v1, off, off offset:1500 ; 4-byte Folded Reload
	v_mov_b32_e32 v5, 0
	s_delay_alu instid0(VALU_DEP_1)
	v_mov_b32_e32 v6, v5
	v_mov_b32_e32 v7, v5
	;; [unrolled: 1-line block ×3, first 2 shown]
	s_waitcnt vmcnt(0)
	scratch_load_b128 v[1:4], v1, off
	scratch_store_b128 off, v[5:8], off offset:432
	s_waitcnt vmcnt(0)
	ds_store_b128 v244, v[1:4]
.LBB126_349:
	s_or_b32 exec_lo, exec_lo, s2
	s_waitcnt lgkmcnt(0)
	s_waitcnt_vscnt null, 0x0
	s_barrier
	buffer_gl0_inv
	s_clause 0x4
	scratch_load_b128 v[2:5], off, off offset:448
	scratch_load_b128 v[6:9], off, off offset:464
	;; [unrolled: 1-line block ×5, first 2 shown]
	v_mov_b32_e32 v1, 0
	scratch_load_b128 v[26:29], off, off offset:432
	s_mov_b32 s2, exec_lo
	ds_load_b128 v[22:25], v1 offset:1456
	ds_load_b128 v[30:33], v1 offset:1472
	s_waitcnt vmcnt(5) lgkmcnt(1)
	v_mul_f64 v[34:35], v[24:25], v[4:5]
	v_mul_f64 v[4:5], v[22:23], v[4:5]
	s_waitcnt vmcnt(4) lgkmcnt(0)
	v_mul_f64 v[36:37], v[30:31], v[8:9]
	v_mul_f64 v[8:9], v[32:33], v[8:9]
	s_delay_alu instid0(VALU_DEP_4) | instskip(NEXT) | instid1(VALU_DEP_4)
	v_fma_f64 v[22:23], v[22:23], v[2:3], -v[34:35]
	v_fma_f64 v[24:25], v[24:25], v[2:3], v[4:5]
	ds_load_b128 v[2:5], v1 offset:1488
	v_fma_f64 v[32:33], v[32:33], v[6:7], v[36:37]
	v_fma_f64 v[30:31], v[30:31], v[6:7], -v[8:9]
	ds_load_b128 v[6:9], v1 offset:1504
	s_waitcnt vmcnt(3) lgkmcnt(1)
	v_mul_f64 v[34:35], v[2:3], v[12:13]
	v_mul_f64 v[12:13], v[4:5], v[12:13]
	s_waitcnt vmcnt(2) lgkmcnt(0)
	v_mul_f64 v[36:37], v[6:7], v[16:17]
	s_delay_alu instid0(VALU_DEP_3) | instskip(NEXT) | instid1(VALU_DEP_3)
	v_fma_f64 v[34:35], v[4:5], v[10:11], v[34:35]
	v_fma_f64 v[38:39], v[2:3], v[10:11], -v[12:13]
	v_mul_f64 v[10:11], v[8:9], v[16:17]
	ds_load_b128 v[2:5], v1 offset:1520
	v_fma_f64 v[16:17], v[8:9], v[14:15], v[36:37]
	v_fma_f64 v[14:15], v[6:7], v[14:15], -v[10:11]
	ds_load_b128 v[6:9], v1 offset:1536
	s_waitcnt vmcnt(1) lgkmcnt(1)
	v_mul_f64 v[10:11], v[2:3], v[20:21]
	v_mul_f64 v[12:13], v[4:5], v[20:21]
	s_delay_alu instid0(VALU_DEP_2) | instskip(NEXT) | instid1(VALU_DEP_2)
	v_fma_f64 v[20:21], v[4:5], v[18:19], v[10:11]
	v_fma_f64 v[18:19], v[2:3], v[18:19], -v[12:13]
	s_clause 0x1
	scratch_load_b128 v[2:5], off, off offset:528
	scratch_load_b128 v[10:13], off, off offset:544
	s_waitcnt vmcnt(1) lgkmcnt(0)
	v_mul_f64 v[36:37], v[6:7], v[4:5]
	v_mul_f64 v[4:5], v[8:9], v[4:5]
	s_delay_alu instid0(VALU_DEP_2) | instskip(NEXT) | instid1(VALU_DEP_2)
	v_fma_f64 v[36:37], v[8:9], v[2:3], v[36:37]
	v_fma_f64 v[40:41], v[6:7], v[2:3], -v[4:5]
	ds_load_b128 v[2:5], v1 offset:1552
	ds_load_b128 v[6:9], v1 offset:1568
	s_waitcnt vmcnt(0) lgkmcnt(1)
	v_mul_f64 v[42:43], v[2:3], v[12:13]
	s_delay_alu instid0(VALU_DEP_1) | instskip(SKIP_1) | instid1(VALU_DEP_1)
	v_fma_f64 v[42:43], v[4:5], v[10:11], v[42:43]
	v_mul_f64 v[4:5], v[4:5], v[12:13]
	v_fma_f64 v[44:45], v[2:3], v[10:11], -v[4:5]
	s_clause 0x1
	scratch_load_b128 v[2:5], off, off offset:560
	scratch_load_b128 v[10:13], off, off offset:576
	s_waitcnt vmcnt(1) lgkmcnt(0)
	v_mul_f64 v[46:47], v[6:7], v[4:5]
	v_mul_f64 v[4:5], v[8:9], v[4:5]
	s_delay_alu instid0(VALU_DEP_2) | instskip(NEXT) | instid1(VALU_DEP_2)
	v_fma_f64 v[46:47], v[8:9], v[2:3], v[46:47]
	v_fma_f64 v[48:49], v[6:7], v[2:3], -v[4:5]
	ds_load_b128 v[2:5], v1 offset:1584
	ds_load_b128 v[6:9], v1 offset:1600
	s_waitcnt vmcnt(0) lgkmcnt(1)
	v_mul_f64 v[51:52], v[2:3], v[12:13]
	s_delay_alu instid0(VALU_DEP_1) | instskip(SKIP_1) | instid1(VALU_DEP_1)
	v_fma_f64 v[51:52], v[4:5], v[10:11], v[51:52]
	v_mul_f64 v[4:5], v[4:5], v[12:13]
	;; [unrolled: 17-line block ×13, first 2 shown]
	v_fma_f64 v[254:255], v[2:3], v[10:11], -v[4:5]
	v_add_f64 v[2:3], v[22:23], 0
	v_add_f64 v[4:5], v[24:25], 0
	s_delay_alu instid0(VALU_DEP_2) | instskip(NEXT) | instid1(VALU_DEP_2)
	v_add_f64 v[2:3], v[2:3], v[30:31]
	v_add_f64 v[4:5], v[4:5], v[32:33]
	s_delay_alu instid0(VALU_DEP_2) | instskip(NEXT) | instid1(VALU_DEP_2)
	;; [unrolled: 3-line block ×24, first 2 shown]
	v_add_f64 v[2:3], v[2:3], v[215:216]
	v_add_f64 v[10:11], v[4:5], v[213:214]
	s_delay_alu instid0(VALU_DEP_2)
	v_add_f64 v[12:13], v[2:3], v[219:220]
	scratch_load_b128 v[2:5], off, off offset:944
	v_add_f64 v[14:15], v[10:11], v[217:218]
	v_add_f64 v[16:17], v[12:13], v[223:224]
	scratch_load_b128 v[10:13], off, off offset:960
	v_add_f64 v[18:19], v[14:15], v[221:222]
	;; [unrolled: 3-line block ×4, first 2 shown]
	v_add_f64 v[24:25], v[24:25], v[249:250]
	s_delay_alu instid0(VALU_DEP_2) | instskip(NEXT) | instid1(VALU_DEP_2)
	v_add_f64 v[22:23], v[22:23], v[247:248]
	v_add_f64 v[24:25], v[24:25], v[254:255]
	s_delay_alu instid0(VALU_DEP_2) | instskip(SKIP_3) | instid1(VALU_DEP_2)
	v_add_f64 v[22:23], v[22:23], v[252:253]
	s_waitcnt vmcnt(3) lgkmcnt(0)
	v_mul_f64 v[30:31], v[6:7], v[4:5]
	v_mul_f64 v[4:5], v[8:9], v[4:5]
	v_fma_f64 v[30:31], v[8:9], v[2:3], v[30:31]
	s_delay_alu instid0(VALU_DEP_2)
	v_fma_f64 v[32:33], v[6:7], v[2:3], -v[4:5]
	ds_load_b128 v[2:5], v1 offset:1968
	ds_load_b128 v[6:9], v1 offset:1984
	s_waitcnt vmcnt(2) lgkmcnt(1)
	v_mul_f64 v[34:35], v[2:3], v[12:13]
	v_mul_f64 v[12:13], v[4:5], v[12:13]
	s_waitcnt vmcnt(1) lgkmcnt(0)
	v_mul_f64 v[36:37], v[6:7], v[16:17]
	v_add_f64 v[22:23], v[22:23], v[30:31]
	s_delay_alu instid0(VALU_DEP_4) | instskip(NEXT) | instid1(VALU_DEP_4)
	v_fma_f64 v[34:35], v[4:5], v[10:11], v[34:35]
	v_fma_f64 v[10:11], v[2:3], v[10:11], -v[12:13]
	v_mul_f64 v[12:13], v[8:9], v[16:17]
	v_add_f64 v[16:17], v[24:25], v[32:33]
	ds_load_b128 v[2:5], v1 offset:2000
	v_fma_f64 v[8:9], v[8:9], v[14:15], v[36:37]
	s_waitcnt vmcnt(0) lgkmcnt(0)
	v_mul_f64 v[24:25], v[2:3], v[20:21]
	v_mul_f64 v[20:21], v[4:5], v[20:21]
	v_fma_f64 v[6:7], v[6:7], v[14:15], -v[12:13]
	v_add_f64 v[10:11], v[16:17], v[10:11]
	v_add_f64 v[12:13], v[22:23], v[34:35]
	v_fma_f64 v[4:5], v[4:5], v[18:19], v[24:25]
	v_fma_f64 v[2:3], v[2:3], v[18:19], -v[20:21]
	s_delay_alu instid0(VALU_DEP_4) | instskip(NEXT) | instid1(VALU_DEP_4)
	v_add_f64 v[6:7], v[10:11], v[6:7]
	v_add_f64 v[8:9], v[12:13], v[8:9]
	s_delay_alu instid0(VALU_DEP_2) | instskip(NEXT) | instid1(VALU_DEP_2)
	v_add_f64 v[2:3], v[6:7], v[2:3]
	v_add_f64 v[4:5], v[8:9], v[4:5]
	s_delay_alu instid0(VALU_DEP_2) | instskip(NEXT) | instid1(VALU_DEP_2)
	v_add_f64 v[2:3], v[26:27], -v[2:3]
	v_add_f64 v[4:5], v[28:29], -v[4:5]
	scratch_store_b128 off, v[2:5], off offset:432
	v_cmpx_lt_u32_e32 26, v179
	s_cbranch_execz .LBB126_351
; %bb.350:
	scratch_load_b32 v2, off, off offset:1504 ; 4-byte Folded Reload
	v_mov_b32_e32 v3, v1
	v_mov_b32_e32 v4, v1
	s_waitcnt vmcnt(0)
	scratch_load_b128 v[5:8], v2, off
	v_mov_b32_e32 v2, v1
	scratch_store_b128 off, v[1:4], off offset:416
	s_waitcnt vmcnt(0)
	ds_store_b128 v244, v[5:8]
.LBB126_351:
	s_or_b32 exec_lo, exec_lo, s2
	s_waitcnt lgkmcnt(0)
	s_waitcnt_vscnt null, 0x0
	s_barrier
	buffer_gl0_inv
	s_clause 0x4
	scratch_load_b128 v[2:5], off, off offset:432
	scratch_load_b128 v[6:9], off, off offset:448
	;; [unrolled: 1-line block ×5, first 2 shown]
	ds_load_b128 v[22:25], v1 offset:1440
	ds_load_b128 v[26:29], v1 offset:1456
	scratch_load_b128 v[30:33], off, off offset:416
	s_mov_b32 s2, exec_lo
	s_waitcnt vmcnt(5) lgkmcnt(1)
	v_mul_f64 v[34:35], v[24:25], v[4:5]
	v_mul_f64 v[4:5], v[22:23], v[4:5]
	s_waitcnt vmcnt(4) lgkmcnt(0)
	v_mul_f64 v[36:37], v[26:27], v[8:9]
	v_mul_f64 v[8:9], v[28:29], v[8:9]
	s_delay_alu instid0(VALU_DEP_4) | instskip(NEXT) | instid1(VALU_DEP_4)
	v_fma_f64 v[22:23], v[22:23], v[2:3], -v[34:35]
	v_fma_f64 v[24:25], v[24:25], v[2:3], v[4:5]
	ds_load_b128 v[2:5], v1 offset:1472
	v_fma_f64 v[28:29], v[28:29], v[6:7], v[36:37]
	v_fma_f64 v[26:27], v[26:27], v[6:7], -v[8:9]
	ds_load_b128 v[6:9], v1 offset:1488
	s_waitcnt vmcnt(3) lgkmcnt(1)
	v_mul_f64 v[34:35], v[2:3], v[12:13]
	v_mul_f64 v[12:13], v[4:5], v[12:13]
	s_waitcnt vmcnt(2) lgkmcnt(0)
	v_mul_f64 v[36:37], v[6:7], v[16:17]
	s_delay_alu instid0(VALU_DEP_3) | instskip(NEXT) | instid1(VALU_DEP_3)
	v_fma_f64 v[34:35], v[4:5], v[10:11], v[34:35]
	v_fma_f64 v[38:39], v[2:3], v[10:11], -v[12:13]
	v_mul_f64 v[10:11], v[8:9], v[16:17]
	ds_load_b128 v[2:5], v1 offset:1504
	v_fma_f64 v[16:17], v[8:9], v[14:15], v[36:37]
	v_fma_f64 v[14:15], v[6:7], v[14:15], -v[10:11]
	ds_load_b128 v[6:9], v1 offset:1520
	s_waitcnt vmcnt(1) lgkmcnt(1)
	v_mul_f64 v[10:11], v[2:3], v[20:21]
	v_mul_f64 v[12:13], v[4:5], v[20:21]
	s_delay_alu instid0(VALU_DEP_2) | instskip(NEXT) | instid1(VALU_DEP_2)
	v_fma_f64 v[20:21], v[4:5], v[18:19], v[10:11]
	v_fma_f64 v[18:19], v[2:3], v[18:19], -v[12:13]
	s_clause 0x1
	scratch_load_b128 v[2:5], off, off offset:512
	scratch_load_b128 v[10:13], off, off offset:528
	s_waitcnt vmcnt(1) lgkmcnt(0)
	v_mul_f64 v[36:37], v[6:7], v[4:5]
	v_mul_f64 v[4:5], v[8:9], v[4:5]
	s_delay_alu instid0(VALU_DEP_2) | instskip(NEXT) | instid1(VALU_DEP_2)
	v_fma_f64 v[36:37], v[8:9], v[2:3], v[36:37]
	v_fma_f64 v[40:41], v[6:7], v[2:3], -v[4:5]
	ds_load_b128 v[2:5], v1 offset:1536
	ds_load_b128 v[6:9], v1 offset:1552
	s_waitcnt vmcnt(0) lgkmcnt(1)
	v_mul_f64 v[42:43], v[2:3], v[12:13]
	s_delay_alu instid0(VALU_DEP_1) | instskip(SKIP_1) | instid1(VALU_DEP_1)
	v_fma_f64 v[42:43], v[4:5], v[10:11], v[42:43]
	v_mul_f64 v[4:5], v[4:5], v[12:13]
	v_fma_f64 v[44:45], v[2:3], v[10:11], -v[4:5]
	s_clause 0x1
	scratch_load_b128 v[2:5], off, off offset:544
	scratch_load_b128 v[10:13], off, off offset:560
	s_waitcnt vmcnt(1) lgkmcnt(0)
	v_mul_f64 v[46:47], v[6:7], v[4:5]
	v_mul_f64 v[4:5], v[8:9], v[4:5]
	s_delay_alu instid0(VALU_DEP_2) | instskip(NEXT) | instid1(VALU_DEP_2)
	v_fma_f64 v[46:47], v[8:9], v[2:3], v[46:47]
	v_fma_f64 v[48:49], v[6:7], v[2:3], -v[4:5]
	ds_load_b128 v[2:5], v1 offset:1568
	ds_load_b128 v[6:9], v1 offset:1584
	s_waitcnt vmcnt(0) lgkmcnt(1)
	v_mul_f64 v[51:52], v[2:3], v[12:13]
	s_delay_alu instid0(VALU_DEP_1) | instskip(SKIP_1) | instid1(VALU_DEP_1)
	v_fma_f64 v[51:52], v[4:5], v[10:11], v[51:52]
	v_mul_f64 v[4:5], v[4:5], v[12:13]
	;; [unrolled: 17-line block ×14, first 2 shown]
	v_fma_f64 v[233:234], v[2:3], v[10:11], -v[4:5]
	v_add_f64 v[2:3], v[22:23], 0
	v_add_f64 v[4:5], v[24:25], 0
	s_delay_alu instid0(VALU_DEP_2) | instskip(NEXT) | instid1(VALU_DEP_2)
	v_add_f64 v[2:3], v[2:3], v[26:27]
	v_add_f64 v[4:5], v[4:5], v[28:29]
	s_delay_alu instid0(VALU_DEP_2) | instskip(NEXT) | instid1(VALU_DEP_2)
	;; [unrolled: 3-line block ×26, first 2 shown]
	v_add_f64 v[2:3], v[2:3], v[223:224]
	v_add_f64 v[10:11], v[4:5], v[221:222]
	s_delay_alu instid0(VALU_DEP_2)
	v_add_f64 v[12:13], v[2:3], v[240:241]
	scratch_load_b128 v[2:5], off, off offset:960
	v_add_f64 v[14:15], v[10:11], v[225:226]
	v_add_f64 v[16:17], v[12:13], v[245:246]
	scratch_load_b128 v[10:13], off, off offset:976
	v_add_f64 v[18:19], v[14:15], v[242:243]
	;; [unrolled: 3-line block ×3, first 2 shown]
	v_add_f64 v[20:21], v[20:21], v[254:255]
	s_delay_alu instid0(VALU_DEP_2) | instskip(NEXT) | instid1(VALU_DEP_2)
	v_add_f64 v[18:19], v[18:19], v[252:253]
	v_add_f64 v[28:29], v[20:21], v[229:230]
	s_delay_alu instid0(VALU_DEP_2)
	v_add_f64 v[34:35], v[18:19], v[227:228]
	ds_load_b128 v[18:21], v1 offset:1984
	ds_load_b128 v[22:25], v1 offset:2000
	s_waitcnt vmcnt(2) lgkmcnt(2)
	v_mul_f64 v[26:27], v[6:7], v[4:5]
	v_mul_f64 v[4:5], v[8:9], v[4:5]
	s_waitcnt vmcnt(1) lgkmcnt(1)
	v_mul_f64 v[36:37], v[18:19], v[12:13]
	s_delay_alu instid0(VALU_DEP_3) | instskip(NEXT) | instid1(VALU_DEP_3)
	v_fma_f64 v[8:9], v[8:9], v[2:3], v[26:27]
	v_fma_f64 v[1:2], v[6:7], v[2:3], -v[4:5]
	v_mul_f64 v[3:4], v[20:21], v[12:13]
	v_add_f64 v[5:6], v[28:29], v[233:234]
	v_add_f64 v[12:13], v[34:35], v[231:232]
	s_waitcnt vmcnt(0) lgkmcnt(0)
	v_mul_f64 v[26:27], v[22:23], v[16:17]
	v_mul_f64 v[16:17], v[24:25], v[16:17]
	v_fma_f64 v[20:21], v[20:21], v[10:11], v[36:37]
	v_fma_f64 v[3:4], v[18:19], v[10:11], -v[3:4]
	v_add_f64 v[1:2], v[5:6], v[1:2]
	v_add_f64 v[5:6], v[12:13], v[8:9]
	v_fma_f64 v[7:8], v[24:25], v[14:15], v[26:27]
	v_fma_f64 v[9:10], v[22:23], v[14:15], -v[16:17]
	s_delay_alu instid0(VALU_DEP_4) | instskip(NEXT) | instid1(VALU_DEP_4)
	v_add_f64 v[1:2], v[1:2], v[3:4]
	v_add_f64 v[3:4], v[5:6], v[20:21]
	s_delay_alu instid0(VALU_DEP_2) | instskip(NEXT) | instid1(VALU_DEP_2)
	v_add_f64 v[1:2], v[1:2], v[9:10]
	v_add_f64 v[3:4], v[3:4], v[7:8]
	s_delay_alu instid0(VALU_DEP_2) | instskip(NEXT) | instid1(VALU_DEP_2)
	v_add_f64 v[1:2], v[30:31], -v[1:2]
	v_add_f64 v[3:4], v[32:33], -v[3:4]
	scratch_store_b128 off, v[1:4], off offset:416
	v_cmpx_lt_u32_e32 25, v179
	s_cbranch_execz .LBB126_353
; %bb.352:
	scratch_load_b128 v[1:4], v210, off
	v_mov_b32_e32 v5, 0
	s_delay_alu instid0(VALU_DEP_1)
	v_mov_b32_e32 v6, v5
	v_mov_b32_e32 v7, v5
	;; [unrolled: 1-line block ×3, first 2 shown]
	scratch_store_b128 off, v[5:8], off offset:400
	s_waitcnt vmcnt(0)
	ds_store_b128 v244, v[1:4]
.LBB126_353:
	s_or_b32 exec_lo, exec_lo, s2
	s_waitcnt lgkmcnt(0)
	s_waitcnt_vscnt null, 0x0
	s_barrier
	buffer_gl0_inv
	s_clause 0x4
	scratch_load_b128 v[2:5], off, off offset:416
	scratch_load_b128 v[6:9], off, off offset:432
	scratch_load_b128 v[10:13], off, off offset:448
	scratch_load_b128 v[14:17], off, off offset:464
	scratch_load_b128 v[18:21], off, off offset:480
	v_mov_b32_e32 v1, 0
	scratch_load_b128 v[26:29], off, off offset:400
	s_mov_b32 s2, exec_lo
	ds_load_b128 v[22:25], v1 offset:1424
	ds_load_b128 v[30:33], v1 offset:1440
	s_waitcnt vmcnt(5) lgkmcnt(1)
	v_mul_f64 v[34:35], v[24:25], v[4:5]
	v_mul_f64 v[4:5], v[22:23], v[4:5]
	s_waitcnt vmcnt(4) lgkmcnt(0)
	v_mul_f64 v[36:37], v[30:31], v[8:9]
	v_mul_f64 v[8:9], v[32:33], v[8:9]
	s_delay_alu instid0(VALU_DEP_4) | instskip(NEXT) | instid1(VALU_DEP_4)
	v_fma_f64 v[22:23], v[22:23], v[2:3], -v[34:35]
	v_fma_f64 v[24:25], v[24:25], v[2:3], v[4:5]
	ds_load_b128 v[2:5], v1 offset:1456
	v_fma_f64 v[32:33], v[32:33], v[6:7], v[36:37]
	v_fma_f64 v[30:31], v[30:31], v[6:7], -v[8:9]
	ds_load_b128 v[6:9], v1 offset:1472
	s_waitcnt vmcnt(3) lgkmcnt(1)
	v_mul_f64 v[34:35], v[2:3], v[12:13]
	v_mul_f64 v[12:13], v[4:5], v[12:13]
	s_waitcnt vmcnt(2) lgkmcnt(0)
	v_mul_f64 v[36:37], v[6:7], v[16:17]
	s_delay_alu instid0(VALU_DEP_3) | instskip(NEXT) | instid1(VALU_DEP_3)
	v_fma_f64 v[34:35], v[4:5], v[10:11], v[34:35]
	v_fma_f64 v[38:39], v[2:3], v[10:11], -v[12:13]
	v_mul_f64 v[10:11], v[8:9], v[16:17]
	ds_load_b128 v[2:5], v1 offset:1488
	v_fma_f64 v[16:17], v[8:9], v[14:15], v[36:37]
	v_fma_f64 v[14:15], v[6:7], v[14:15], -v[10:11]
	ds_load_b128 v[6:9], v1 offset:1504
	s_waitcnt vmcnt(1) lgkmcnt(1)
	v_mul_f64 v[10:11], v[2:3], v[20:21]
	v_mul_f64 v[12:13], v[4:5], v[20:21]
	s_delay_alu instid0(VALU_DEP_2) | instskip(NEXT) | instid1(VALU_DEP_2)
	v_fma_f64 v[20:21], v[4:5], v[18:19], v[10:11]
	v_fma_f64 v[18:19], v[2:3], v[18:19], -v[12:13]
	s_clause 0x1
	scratch_load_b128 v[2:5], off, off offset:496
	scratch_load_b128 v[10:13], off, off offset:512
	s_waitcnt vmcnt(1) lgkmcnt(0)
	v_mul_f64 v[36:37], v[6:7], v[4:5]
	v_mul_f64 v[4:5], v[8:9], v[4:5]
	s_delay_alu instid0(VALU_DEP_2) | instskip(NEXT) | instid1(VALU_DEP_2)
	v_fma_f64 v[36:37], v[8:9], v[2:3], v[36:37]
	v_fma_f64 v[40:41], v[6:7], v[2:3], -v[4:5]
	ds_load_b128 v[2:5], v1 offset:1520
	ds_load_b128 v[6:9], v1 offset:1536
	s_waitcnt vmcnt(0) lgkmcnt(1)
	v_mul_f64 v[42:43], v[2:3], v[12:13]
	s_delay_alu instid0(VALU_DEP_1) | instskip(SKIP_1) | instid1(VALU_DEP_1)
	v_fma_f64 v[42:43], v[4:5], v[10:11], v[42:43]
	v_mul_f64 v[4:5], v[4:5], v[12:13]
	v_fma_f64 v[44:45], v[2:3], v[10:11], -v[4:5]
	s_clause 0x1
	scratch_load_b128 v[2:5], off, off offset:528
	scratch_load_b128 v[10:13], off, off offset:544
	s_waitcnt vmcnt(1) lgkmcnt(0)
	v_mul_f64 v[46:47], v[6:7], v[4:5]
	v_mul_f64 v[4:5], v[8:9], v[4:5]
	s_delay_alu instid0(VALU_DEP_2) | instskip(NEXT) | instid1(VALU_DEP_2)
	v_fma_f64 v[46:47], v[8:9], v[2:3], v[46:47]
	v_fma_f64 v[48:49], v[6:7], v[2:3], -v[4:5]
	ds_load_b128 v[2:5], v1 offset:1552
	ds_load_b128 v[6:9], v1 offset:1568
	s_waitcnt vmcnt(0) lgkmcnt(1)
	v_mul_f64 v[51:52], v[2:3], v[12:13]
	s_delay_alu instid0(VALU_DEP_1) | instskip(SKIP_1) | instid1(VALU_DEP_1)
	v_fma_f64 v[51:52], v[4:5], v[10:11], v[51:52]
	v_mul_f64 v[4:5], v[4:5], v[12:13]
	;; [unrolled: 17-line block ×14, first 2 shown]
	v_fma_f64 v[254:255], v[2:3], v[10:11], -v[4:5]
	v_add_f64 v[2:3], v[22:23], 0
	v_add_f64 v[4:5], v[24:25], 0
	s_delay_alu instid0(VALU_DEP_2) | instskip(NEXT) | instid1(VALU_DEP_2)
	v_add_f64 v[2:3], v[2:3], v[30:31]
	v_add_f64 v[4:5], v[4:5], v[32:33]
	s_delay_alu instid0(VALU_DEP_2) | instskip(NEXT) | instid1(VALU_DEP_2)
	;; [unrolled: 3-line block ×26, first 2 shown]
	v_add_f64 v[2:3], v[2:3], v[223:224]
	v_add_f64 v[10:11], v[4:5], v[221:222]
	s_delay_alu instid0(VALU_DEP_2)
	v_add_f64 v[12:13], v[2:3], v[227:228]
	scratch_load_b128 v[2:5], off, off offset:944
	v_add_f64 v[14:15], v[10:11], v[225:226]
	v_add_f64 v[16:17], v[12:13], v[231:232]
	scratch_load_b128 v[10:13], off, off offset:960
	v_add_f64 v[18:19], v[14:15], v[229:230]
	;; [unrolled: 3-line block ×4, first 2 shown]
	v_add_f64 v[24:25], v[24:25], v[249:250]
	s_delay_alu instid0(VALU_DEP_2) | instskip(NEXT) | instid1(VALU_DEP_2)
	v_add_f64 v[22:23], v[22:23], v[247:248]
	v_add_f64 v[24:25], v[24:25], v[254:255]
	s_delay_alu instid0(VALU_DEP_2) | instskip(SKIP_3) | instid1(VALU_DEP_2)
	v_add_f64 v[22:23], v[22:23], v[252:253]
	s_waitcnt vmcnt(3) lgkmcnt(0)
	v_mul_f64 v[30:31], v[6:7], v[4:5]
	v_mul_f64 v[4:5], v[8:9], v[4:5]
	v_fma_f64 v[30:31], v[8:9], v[2:3], v[30:31]
	s_delay_alu instid0(VALU_DEP_2)
	v_fma_f64 v[32:33], v[6:7], v[2:3], -v[4:5]
	ds_load_b128 v[2:5], v1 offset:1968
	ds_load_b128 v[6:9], v1 offset:1984
	s_waitcnt vmcnt(2) lgkmcnt(1)
	v_mul_f64 v[34:35], v[2:3], v[12:13]
	v_mul_f64 v[12:13], v[4:5], v[12:13]
	s_waitcnt vmcnt(1) lgkmcnt(0)
	v_mul_f64 v[36:37], v[6:7], v[16:17]
	v_add_f64 v[22:23], v[22:23], v[30:31]
	s_delay_alu instid0(VALU_DEP_4) | instskip(NEXT) | instid1(VALU_DEP_4)
	v_fma_f64 v[34:35], v[4:5], v[10:11], v[34:35]
	v_fma_f64 v[10:11], v[2:3], v[10:11], -v[12:13]
	v_mul_f64 v[12:13], v[8:9], v[16:17]
	v_add_f64 v[16:17], v[24:25], v[32:33]
	ds_load_b128 v[2:5], v1 offset:2000
	v_fma_f64 v[8:9], v[8:9], v[14:15], v[36:37]
	s_waitcnt vmcnt(0) lgkmcnt(0)
	v_mul_f64 v[24:25], v[2:3], v[20:21]
	v_mul_f64 v[20:21], v[4:5], v[20:21]
	v_fma_f64 v[6:7], v[6:7], v[14:15], -v[12:13]
	v_add_f64 v[10:11], v[16:17], v[10:11]
	v_add_f64 v[12:13], v[22:23], v[34:35]
	v_fma_f64 v[4:5], v[4:5], v[18:19], v[24:25]
	v_fma_f64 v[2:3], v[2:3], v[18:19], -v[20:21]
	s_delay_alu instid0(VALU_DEP_4) | instskip(NEXT) | instid1(VALU_DEP_4)
	v_add_f64 v[6:7], v[10:11], v[6:7]
	v_add_f64 v[8:9], v[12:13], v[8:9]
	s_delay_alu instid0(VALU_DEP_2) | instskip(NEXT) | instid1(VALU_DEP_2)
	v_add_f64 v[2:3], v[6:7], v[2:3]
	v_add_f64 v[4:5], v[8:9], v[4:5]
	s_delay_alu instid0(VALU_DEP_2) | instskip(NEXT) | instid1(VALU_DEP_2)
	v_add_f64 v[2:3], v[26:27], -v[2:3]
	v_add_f64 v[4:5], v[28:29], -v[4:5]
	scratch_store_b128 off, v[2:5], off offset:400
	v_cmpx_lt_u32_e32 24, v179
	s_cbranch_execz .LBB126_355
; %bb.354:
	scratch_load_b128 v[5:8], v57, off
	v_mov_b32_e32 v2, v1
	v_mov_b32_e32 v3, v1
	;; [unrolled: 1-line block ×3, first 2 shown]
	scratch_store_b128 off, v[1:4], off offset:384
	s_waitcnt vmcnt(0)
	ds_store_b128 v244, v[5:8]
.LBB126_355:
	s_or_b32 exec_lo, exec_lo, s2
	s_waitcnt lgkmcnt(0)
	s_waitcnt_vscnt null, 0x0
	s_barrier
	buffer_gl0_inv
	s_clause 0x4
	scratch_load_b128 v[2:5], off, off offset:400
	scratch_load_b128 v[6:9], off, off offset:416
	;; [unrolled: 1-line block ×5, first 2 shown]
	ds_load_b128 v[22:25], v1 offset:1408
	ds_load_b128 v[26:29], v1 offset:1424
	scratch_load_b128 v[30:33], off, off offset:384
	s_mov_b32 s2, exec_lo
	s_waitcnt vmcnt(5) lgkmcnt(1)
	v_mul_f64 v[34:35], v[24:25], v[4:5]
	v_mul_f64 v[4:5], v[22:23], v[4:5]
	s_waitcnt vmcnt(4) lgkmcnt(0)
	v_mul_f64 v[36:37], v[26:27], v[8:9]
	v_mul_f64 v[8:9], v[28:29], v[8:9]
	s_delay_alu instid0(VALU_DEP_4) | instskip(NEXT) | instid1(VALU_DEP_4)
	v_fma_f64 v[22:23], v[22:23], v[2:3], -v[34:35]
	v_fma_f64 v[24:25], v[24:25], v[2:3], v[4:5]
	ds_load_b128 v[2:5], v1 offset:1440
	v_fma_f64 v[28:29], v[28:29], v[6:7], v[36:37]
	v_fma_f64 v[26:27], v[26:27], v[6:7], -v[8:9]
	ds_load_b128 v[6:9], v1 offset:1456
	s_waitcnt vmcnt(3) lgkmcnt(1)
	v_mul_f64 v[34:35], v[2:3], v[12:13]
	v_mul_f64 v[12:13], v[4:5], v[12:13]
	s_waitcnt vmcnt(2) lgkmcnt(0)
	v_mul_f64 v[36:37], v[6:7], v[16:17]
	s_delay_alu instid0(VALU_DEP_3) | instskip(NEXT) | instid1(VALU_DEP_3)
	v_fma_f64 v[34:35], v[4:5], v[10:11], v[34:35]
	v_fma_f64 v[38:39], v[2:3], v[10:11], -v[12:13]
	v_mul_f64 v[10:11], v[8:9], v[16:17]
	ds_load_b128 v[2:5], v1 offset:1472
	v_fma_f64 v[16:17], v[8:9], v[14:15], v[36:37]
	v_fma_f64 v[14:15], v[6:7], v[14:15], -v[10:11]
	ds_load_b128 v[6:9], v1 offset:1488
	s_waitcnt vmcnt(1) lgkmcnt(1)
	v_mul_f64 v[10:11], v[2:3], v[20:21]
	v_mul_f64 v[12:13], v[4:5], v[20:21]
	s_delay_alu instid0(VALU_DEP_2) | instskip(NEXT) | instid1(VALU_DEP_2)
	v_fma_f64 v[20:21], v[4:5], v[18:19], v[10:11]
	v_fma_f64 v[18:19], v[2:3], v[18:19], -v[12:13]
	s_clause 0x1
	scratch_load_b128 v[2:5], off, off offset:480
	scratch_load_b128 v[10:13], off, off offset:496
	s_waitcnt vmcnt(1) lgkmcnt(0)
	v_mul_f64 v[36:37], v[6:7], v[4:5]
	v_mul_f64 v[4:5], v[8:9], v[4:5]
	s_delay_alu instid0(VALU_DEP_2) | instskip(NEXT) | instid1(VALU_DEP_2)
	v_fma_f64 v[36:37], v[8:9], v[2:3], v[36:37]
	v_fma_f64 v[40:41], v[6:7], v[2:3], -v[4:5]
	ds_load_b128 v[2:5], v1 offset:1504
	ds_load_b128 v[6:9], v1 offset:1520
	s_waitcnt vmcnt(0) lgkmcnt(1)
	v_mul_f64 v[42:43], v[2:3], v[12:13]
	s_delay_alu instid0(VALU_DEP_1) | instskip(SKIP_1) | instid1(VALU_DEP_1)
	v_fma_f64 v[42:43], v[4:5], v[10:11], v[42:43]
	v_mul_f64 v[4:5], v[4:5], v[12:13]
	v_fma_f64 v[44:45], v[2:3], v[10:11], -v[4:5]
	s_clause 0x1
	scratch_load_b128 v[2:5], off, off offset:512
	scratch_load_b128 v[10:13], off, off offset:528
	s_waitcnt vmcnt(1) lgkmcnt(0)
	v_mul_f64 v[46:47], v[6:7], v[4:5]
	v_mul_f64 v[4:5], v[8:9], v[4:5]
	s_delay_alu instid0(VALU_DEP_2) | instskip(NEXT) | instid1(VALU_DEP_2)
	v_fma_f64 v[46:47], v[8:9], v[2:3], v[46:47]
	v_fma_f64 v[48:49], v[6:7], v[2:3], -v[4:5]
	ds_load_b128 v[2:5], v1 offset:1536
	ds_load_b128 v[6:9], v1 offset:1552
	s_waitcnt vmcnt(0) lgkmcnt(1)
	v_mul_f64 v[51:52], v[2:3], v[12:13]
	s_delay_alu instid0(VALU_DEP_1) | instskip(SKIP_1) | instid1(VALU_DEP_1)
	v_fma_f64 v[51:52], v[4:5], v[10:11], v[51:52]
	v_mul_f64 v[4:5], v[4:5], v[12:13]
	;; [unrolled: 17-line block ×15, first 2 shown]
	v_fma_f64 v[74:75], v[2:3], v[10:11], -v[4:5]
	v_add_f64 v[2:3], v[22:23], 0
	v_add_f64 v[4:5], v[24:25], 0
	s_delay_alu instid0(VALU_DEP_2) | instskip(NEXT) | instid1(VALU_DEP_2)
	v_add_f64 v[2:3], v[2:3], v[26:27]
	v_add_f64 v[4:5], v[4:5], v[28:29]
	s_delay_alu instid0(VALU_DEP_2) | instskip(NEXT) | instid1(VALU_DEP_2)
	;; [unrolled: 3-line block ×28, first 2 shown]
	v_add_f64 v[2:3], v[2:3], v[231:232]
	v_add_f64 v[10:11], v[4:5], v[229:230]
	s_delay_alu instid0(VALU_DEP_2)
	v_add_f64 v[12:13], v[2:3], v[240:241]
	scratch_load_b128 v[2:5], off, off offset:960
	v_add_f64 v[14:15], v[10:11], v[233:234]
	v_add_f64 v[16:17], v[12:13], v[245:246]
	scratch_load_b128 v[10:13], off, off offset:976
	v_add_f64 v[18:19], v[14:15], v[242:243]
	v_add_f64 v[20:21], v[16:17], v[249:250]
	scratch_load_b128 v[14:17], off, off offset:992
	v_add_f64 v[18:19], v[18:19], v[247:248]
	v_add_f64 v[20:21], v[20:21], v[254:255]
	s_delay_alu instid0(VALU_DEP_2) | instskip(NEXT) | instid1(VALU_DEP_2)
	v_add_f64 v[18:19], v[18:19], v[252:253]
	v_add_f64 v[28:29], v[20:21], v[238:239]
	s_delay_alu instid0(VALU_DEP_2)
	v_add_f64 v[34:35], v[18:19], v[55:56]
	ds_load_b128 v[18:21], v1 offset:1984
	ds_load_b128 v[22:25], v1 offset:2000
	s_waitcnt vmcnt(2) lgkmcnt(2)
	v_mul_f64 v[26:27], v[6:7], v[4:5]
	v_mul_f64 v[4:5], v[8:9], v[4:5]
	s_waitcnt vmcnt(1) lgkmcnt(1)
	v_mul_f64 v[36:37], v[18:19], v[12:13]
	s_delay_alu instid0(VALU_DEP_3) | instskip(NEXT) | instid1(VALU_DEP_3)
	v_fma_f64 v[8:9], v[8:9], v[2:3], v[26:27]
	v_fma_f64 v[1:2], v[6:7], v[2:3], -v[4:5]
	v_mul_f64 v[3:4], v[20:21], v[12:13]
	v_add_f64 v[5:6], v[28:29], v[74:75]
	v_add_f64 v[12:13], v[34:35], v[235:236]
	s_waitcnt vmcnt(0) lgkmcnt(0)
	v_mul_f64 v[26:27], v[22:23], v[16:17]
	v_mul_f64 v[16:17], v[24:25], v[16:17]
	v_fma_f64 v[20:21], v[20:21], v[10:11], v[36:37]
	v_fma_f64 v[3:4], v[18:19], v[10:11], -v[3:4]
	v_add_f64 v[1:2], v[5:6], v[1:2]
	v_add_f64 v[5:6], v[12:13], v[8:9]
	v_fma_f64 v[7:8], v[24:25], v[14:15], v[26:27]
	v_fma_f64 v[9:10], v[22:23], v[14:15], -v[16:17]
	s_delay_alu instid0(VALU_DEP_4) | instskip(NEXT) | instid1(VALU_DEP_4)
	v_add_f64 v[1:2], v[1:2], v[3:4]
	v_add_f64 v[3:4], v[5:6], v[20:21]
	s_delay_alu instid0(VALU_DEP_2) | instskip(NEXT) | instid1(VALU_DEP_2)
	v_add_f64 v[1:2], v[1:2], v[9:10]
	v_add_f64 v[3:4], v[3:4], v[7:8]
	s_delay_alu instid0(VALU_DEP_2) | instskip(NEXT) | instid1(VALU_DEP_2)
	v_add_f64 v[1:2], v[30:31], -v[1:2]
	v_add_f64 v[3:4], v[32:33], -v[3:4]
	scratch_store_b128 off, v[1:4], off offset:384
	v_cmpx_lt_u32_e32 23, v179
	s_cbranch_execz .LBB126_357
; %bb.356:
	scratch_load_b128 v[1:4], v88, off
	v_mov_b32_e32 v5, 0
	s_delay_alu instid0(VALU_DEP_1)
	v_mov_b32_e32 v6, v5
	v_mov_b32_e32 v7, v5
	;; [unrolled: 1-line block ×3, first 2 shown]
	scratch_store_b128 off, v[5:8], off offset:368
	s_waitcnt vmcnt(0)
	ds_store_b128 v244, v[1:4]
.LBB126_357:
	s_or_b32 exec_lo, exec_lo, s2
	s_waitcnt lgkmcnt(0)
	s_waitcnt_vscnt null, 0x0
	s_barrier
	buffer_gl0_inv
	s_clause 0x4
	scratch_load_b128 v[2:5], off, off offset:384
	scratch_load_b128 v[6:9], off, off offset:400
	;; [unrolled: 1-line block ×5, first 2 shown]
	v_mov_b32_e32 v1, 0
	scratch_load_b128 v[26:29], off, off offset:368
	s_mov_b32 s2, exec_lo
	ds_load_b128 v[22:25], v1 offset:1392
	ds_load_b128 v[30:33], v1 offset:1408
	s_waitcnt vmcnt(5) lgkmcnt(1)
	v_mul_f64 v[34:35], v[24:25], v[4:5]
	v_mul_f64 v[4:5], v[22:23], v[4:5]
	s_waitcnt vmcnt(4) lgkmcnt(0)
	v_mul_f64 v[36:37], v[30:31], v[8:9]
	v_mul_f64 v[8:9], v[32:33], v[8:9]
	s_delay_alu instid0(VALU_DEP_4) | instskip(NEXT) | instid1(VALU_DEP_4)
	v_fma_f64 v[22:23], v[22:23], v[2:3], -v[34:35]
	v_fma_f64 v[24:25], v[24:25], v[2:3], v[4:5]
	ds_load_b128 v[2:5], v1 offset:1424
	v_fma_f64 v[32:33], v[32:33], v[6:7], v[36:37]
	v_fma_f64 v[30:31], v[30:31], v[6:7], -v[8:9]
	ds_load_b128 v[6:9], v1 offset:1440
	s_waitcnt vmcnt(3) lgkmcnt(1)
	v_mul_f64 v[34:35], v[2:3], v[12:13]
	v_mul_f64 v[12:13], v[4:5], v[12:13]
	s_waitcnt vmcnt(2) lgkmcnt(0)
	v_mul_f64 v[36:37], v[6:7], v[16:17]
	s_delay_alu instid0(VALU_DEP_3) | instskip(NEXT) | instid1(VALU_DEP_3)
	v_fma_f64 v[34:35], v[4:5], v[10:11], v[34:35]
	v_fma_f64 v[38:39], v[2:3], v[10:11], -v[12:13]
	v_mul_f64 v[10:11], v[8:9], v[16:17]
	ds_load_b128 v[2:5], v1 offset:1456
	v_fma_f64 v[16:17], v[8:9], v[14:15], v[36:37]
	v_fma_f64 v[14:15], v[6:7], v[14:15], -v[10:11]
	ds_load_b128 v[6:9], v1 offset:1472
	s_waitcnt vmcnt(1) lgkmcnt(1)
	v_mul_f64 v[10:11], v[2:3], v[20:21]
	v_mul_f64 v[12:13], v[4:5], v[20:21]
	s_delay_alu instid0(VALU_DEP_2) | instskip(NEXT) | instid1(VALU_DEP_2)
	v_fma_f64 v[20:21], v[4:5], v[18:19], v[10:11]
	v_fma_f64 v[18:19], v[2:3], v[18:19], -v[12:13]
	s_clause 0x1
	scratch_load_b128 v[2:5], off, off offset:464
	scratch_load_b128 v[10:13], off, off offset:480
	s_waitcnt vmcnt(1) lgkmcnt(0)
	v_mul_f64 v[36:37], v[6:7], v[4:5]
	v_mul_f64 v[4:5], v[8:9], v[4:5]
	s_delay_alu instid0(VALU_DEP_2) | instskip(NEXT) | instid1(VALU_DEP_2)
	v_fma_f64 v[36:37], v[8:9], v[2:3], v[36:37]
	v_fma_f64 v[40:41], v[6:7], v[2:3], -v[4:5]
	ds_load_b128 v[2:5], v1 offset:1488
	ds_load_b128 v[6:9], v1 offset:1504
	s_waitcnt vmcnt(0) lgkmcnt(1)
	v_mul_f64 v[42:43], v[2:3], v[12:13]
	s_delay_alu instid0(VALU_DEP_1) | instskip(SKIP_1) | instid1(VALU_DEP_1)
	v_fma_f64 v[42:43], v[4:5], v[10:11], v[42:43]
	v_mul_f64 v[4:5], v[4:5], v[12:13]
	v_fma_f64 v[44:45], v[2:3], v[10:11], -v[4:5]
	s_clause 0x1
	scratch_load_b128 v[2:5], off, off offset:496
	scratch_load_b128 v[10:13], off, off offset:512
	s_waitcnt vmcnt(1) lgkmcnt(0)
	v_mul_f64 v[46:47], v[6:7], v[4:5]
	v_mul_f64 v[4:5], v[8:9], v[4:5]
	s_delay_alu instid0(VALU_DEP_2) | instskip(NEXT) | instid1(VALU_DEP_2)
	v_fma_f64 v[46:47], v[8:9], v[2:3], v[46:47]
	v_fma_f64 v[48:49], v[6:7], v[2:3], -v[4:5]
	ds_load_b128 v[2:5], v1 offset:1520
	ds_load_b128 v[6:9], v1 offset:1536
	s_waitcnt vmcnt(0) lgkmcnt(1)
	v_mul_f64 v[51:52], v[2:3], v[12:13]
	s_delay_alu instid0(VALU_DEP_1) | instskip(SKIP_1) | instid1(VALU_DEP_1)
	v_fma_f64 v[51:52], v[4:5], v[10:11], v[51:52]
	v_mul_f64 v[4:5], v[4:5], v[12:13]
	;; [unrolled: 17-line block ×15, first 2 shown]
	v_fma_f64 v[254:255], v[2:3], v[10:11], -v[4:5]
	v_add_f64 v[2:3], v[22:23], 0
	v_add_f64 v[4:5], v[24:25], 0
	s_delay_alu instid0(VALU_DEP_2) | instskip(NEXT) | instid1(VALU_DEP_2)
	v_add_f64 v[2:3], v[2:3], v[30:31]
	v_add_f64 v[4:5], v[4:5], v[32:33]
	s_delay_alu instid0(VALU_DEP_2) | instskip(NEXT) | instid1(VALU_DEP_2)
	;; [unrolled: 3-line block ×28, first 2 shown]
	v_add_f64 v[2:3], v[2:3], v[227:228]
	v_add_f64 v[10:11], v[4:5], v[225:226]
	s_delay_alu instid0(VALU_DEP_2)
	v_add_f64 v[12:13], v[2:3], v[231:232]
	scratch_load_b128 v[2:5], off, off offset:944
	v_add_f64 v[14:15], v[10:11], v[229:230]
	v_add_f64 v[16:17], v[12:13], v[235:236]
	scratch_load_b128 v[10:13], off, off offset:960
	v_add_f64 v[18:19], v[14:15], v[233:234]
	;; [unrolled: 3-line block ×4, first 2 shown]
	v_add_f64 v[24:25], v[24:25], v[249:250]
	s_delay_alu instid0(VALU_DEP_2) | instskip(NEXT) | instid1(VALU_DEP_2)
	v_add_f64 v[22:23], v[22:23], v[247:248]
	v_add_f64 v[24:25], v[24:25], v[254:255]
	s_delay_alu instid0(VALU_DEP_2) | instskip(SKIP_3) | instid1(VALU_DEP_2)
	v_add_f64 v[22:23], v[22:23], v[252:253]
	s_waitcnt vmcnt(3) lgkmcnt(0)
	v_mul_f64 v[30:31], v[6:7], v[4:5]
	v_mul_f64 v[4:5], v[8:9], v[4:5]
	v_fma_f64 v[30:31], v[8:9], v[2:3], v[30:31]
	s_delay_alu instid0(VALU_DEP_2)
	v_fma_f64 v[32:33], v[6:7], v[2:3], -v[4:5]
	ds_load_b128 v[2:5], v1 offset:1968
	ds_load_b128 v[6:9], v1 offset:1984
	s_waitcnt vmcnt(2) lgkmcnt(1)
	v_mul_f64 v[34:35], v[2:3], v[12:13]
	v_mul_f64 v[12:13], v[4:5], v[12:13]
	s_waitcnt vmcnt(1) lgkmcnt(0)
	v_mul_f64 v[36:37], v[6:7], v[16:17]
	v_add_f64 v[22:23], v[22:23], v[30:31]
	s_delay_alu instid0(VALU_DEP_4) | instskip(NEXT) | instid1(VALU_DEP_4)
	v_fma_f64 v[34:35], v[4:5], v[10:11], v[34:35]
	v_fma_f64 v[10:11], v[2:3], v[10:11], -v[12:13]
	v_mul_f64 v[12:13], v[8:9], v[16:17]
	v_add_f64 v[16:17], v[24:25], v[32:33]
	ds_load_b128 v[2:5], v1 offset:2000
	v_fma_f64 v[8:9], v[8:9], v[14:15], v[36:37]
	s_waitcnt vmcnt(0) lgkmcnt(0)
	v_mul_f64 v[24:25], v[2:3], v[20:21]
	v_mul_f64 v[20:21], v[4:5], v[20:21]
	v_fma_f64 v[6:7], v[6:7], v[14:15], -v[12:13]
	v_add_f64 v[10:11], v[16:17], v[10:11]
	v_add_f64 v[12:13], v[22:23], v[34:35]
	v_fma_f64 v[4:5], v[4:5], v[18:19], v[24:25]
	v_fma_f64 v[2:3], v[2:3], v[18:19], -v[20:21]
	s_delay_alu instid0(VALU_DEP_4) | instskip(NEXT) | instid1(VALU_DEP_4)
	v_add_f64 v[6:7], v[10:11], v[6:7]
	v_add_f64 v[8:9], v[12:13], v[8:9]
	s_delay_alu instid0(VALU_DEP_2) | instskip(NEXT) | instid1(VALU_DEP_2)
	v_add_f64 v[2:3], v[6:7], v[2:3]
	v_add_f64 v[4:5], v[8:9], v[4:5]
	s_delay_alu instid0(VALU_DEP_2) | instskip(NEXT) | instid1(VALU_DEP_2)
	v_add_f64 v[2:3], v[26:27], -v[2:3]
	v_add_f64 v[4:5], v[28:29], -v[4:5]
	scratch_store_b128 off, v[2:5], off offset:368
	v_cmpx_lt_u32_e32 22, v179
	s_cbranch_execz .LBB126_359
; %bb.358:
	scratch_load_b128 v[5:8], v50, off
	v_mov_b32_e32 v2, v1
	v_mov_b32_e32 v3, v1
	;; [unrolled: 1-line block ×3, first 2 shown]
	scratch_store_b128 off, v[1:4], off offset:352
	s_waitcnt vmcnt(0)
	ds_store_b128 v244, v[5:8]
.LBB126_359:
	s_or_b32 exec_lo, exec_lo, s2
	s_waitcnt lgkmcnt(0)
	s_waitcnt_vscnt null, 0x0
	s_barrier
	buffer_gl0_inv
	s_clause 0x4
	scratch_load_b128 v[2:5], off, off offset:368
	scratch_load_b128 v[6:9], off, off offset:384
	;; [unrolled: 1-line block ×5, first 2 shown]
	ds_load_b128 v[22:25], v1 offset:1376
	ds_load_b128 v[26:29], v1 offset:1392
	scratch_load_b128 v[30:33], off, off offset:352
	s_mov_b32 s2, exec_lo
	s_waitcnt vmcnt(5) lgkmcnt(1)
	v_mul_f64 v[34:35], v[24:25], v[4:5]
	v_mul_f64 v[4:5], v[22:23], v[4:5]
	s_waitcnt vmcnt(4) lgkmcnt(0)
	v_mul_f64 v[36:37], v[26:27], v[8:9]
	v_mul_f64 v[8:9], v[28:29], v[8:9]
	s_delay_alu instid0(VALU_DEP_4) | instskip(NEXT) | instid1(VALU_DEP_4)
	v_fma_f64 v[22:23], v[22:23], v[2:3], -v[34:35]
	v_fma_f64 v[24:25], v[24:25], v[2:3], v[4:5]
	ds_load_b128 v[2:5], v1 offset:1408
	v_fma_f64 v[28:29], v[28:29], v[6:7], v[36:37]
	v_fma_f64 v[26:27], v[26:27], v[6:7], -v[8:9]
	ds_load_b128 v[6:9], v1 offset:1424
	s_waitcnt vmcnt(3) lgkmcnt(1)
	v_mul_f64 v[34:35], v[2:3], v[12:13]
	v_mul_f64 v[12:13], v[4:5], v[12:13]
	s_waitcnt vmcnt(2) lgkmcnt(0)
	v_mul_f64 v[36:37], v[6:7], v[16:17]
	s_delay_alu instid0(VALU_DEP_3) | instskip(NEXT) | instid1(VALU_DEP_3)
	v_fma_f64 v[34:35], v[4:5], v[10:11], v[34:35]
	v_fma_f64 v[38:39], v[2:3], v[10:11], -v[12:13]
	v_mul_f64 v[10:11], v[8:9], v[16:17]
	ds_load_b128 v[2:5], v1 offset:1440
	v_fma_f64 v[16:17], v[8:9], v[14:15], v[36:37]
	v_fma_f64 v[14:15], v[6:7], v[14:15], -v[10:11]
	ds_load_b128 v[6:9], v1 offset:1456
	s_waitcnt vmcnt(1) lgkmcnt(1)
	v_mul_f64 v[10:11], v[2:3], v[20:21]
	v_mul_f64 v[12:13], v[4:5], v[20:21]
	s_delay_alu instid0(VALU_DEP_2) | instskip(NEXT) | instid1(VALU_DEP_2)
	v_fma_f64 v[20:21], v[4:5], v[18:19], v[10:11]
	v_fma_f64 v[18:19], v[2:3], v[18:19], -v[12:13]
	s_clause 0x1
	scratch_load_b128 v[2:5], off, off offset:448
	scratch_load_b128 v[10:13], off, off offset:464
	s_waitcnt vmcnt(1) lgkmcnt(0)
	v_mul_f64 v[36:37], v[6:7], v[4:5]
	v_mul_f64 v[4:5], v[8:9], v[4:5]
	s_delay_alu instid0(VALU_DEP_2) | instskip(NEXT) | instid1(VALU_DEP_2)
	v_fma_f64 v[36:37], v[8:9], v[2:3], v[36:37]
	v_fma_f64 v[40:41], v[6:7], v[2:3], -v[4:5]
	ds_load_b128 v[2:5], v1 offset:1472
	ds_load_b128 v[6:9], v1 offset:1488
	s_waitcnt vmcnt(0) lgkmcnt(1)
	v_mul_f64 v[42:43], v[2:3], v[12:13]
	s_delay_alu instid0(VALU_DEP_1) | instskip(SKIP_1) | instid1(VALU_DEP_1)
	v_fma_f64 v[42:43], v[4:5], v[10:11], v[42:43]
	v_mul_f64 v[4:5], v[4:5], v[12:13]
	v_fma_f64 v[44:45], v[2:3], v[10:11], -v[4:5]
	s_clause 0x1
	scratch_load_b128 v[2:5], off, off offset:480
	scratch_load_b128 v[10:13], off, off offset:496
	s_waitcnt vmcnt(1) lgkmcnt(0)
	v_mul_f64 v[46:47], v[6:7], v[4:5]
	v_mul_f64 v[4:5], v[8:9], v[4:5]
	s_delay_alu instid0(VALU_DEP_2) | instskip(NEXT) | instid1(VALU_DEP_2)
	v_fma_f64 v[46:47], v[8:9], v[2:3], v[46:47]
	v_fma_f64 v[48:49], v[6:7], v[2:3], -v[4:5]
	ds_load_b128 v[2:5], v1 offset:1504
	ds_load_b128 v[6:9], v1 offset:1520
	s_waitcnt vmcnt(0) lgkmcnt(1)
	v_mul_f64 v[51:52], v[2:3], v[12:13]
	s_delay_alu instid0(VALU_DEP_1) | instskip(SKIP_1) | instid1(VALU_DEP_1)
	v_fma_f64 v[51:52], v[4:5], v[10:11], v[51:52]
	v_mul_f64 v[4:5], v[4:5], v[12:13]
	;; [unrolled: 17-line block ×16, first 2 shown]
	v_fma_f64 v[82:83], v[2:3], v[10:11], -v[4:5]
	v_add_f64 v[2:3], v[22:23], 0
	v_add_f64 v[4:5], v[24:25], 0
	s_delay_alu instid0(VALU_DEP_2) | instskip(NEXT) | instid1(VALU_DEP_2)
	v_add_f64 v[2:3], v[2:3], v[26:27]
	v_add_f64 v[4:5], v[4:5], v[28:29]
	s_delay_alu instid0(VALU_DEP_2) | instskip(NEXT) | instid1(VALU_DEP_2)
	;; [unrolled: 3-line block ×30, first 2 shown]
	v_add_f64 v[2:3], v[2:3], v[235:236]
	v_add_f64 v[10:11], v[4:5], v[233:234]
	s_delay_alu instid0(VALU_DEP_2)
	v_add_f64 v[12:13], v[2:3], v[240:241]
	scratch_load_b128 v[2:5], off, off offset:960
	v_add_f64 v[14:15], v[10:11], v[238:239]
	v_add_f64 v[16:17], v[12:13], v[245:246]
	scratch_load_b128 v[10:13], off, off offset:976
	v_add_f64 v[18:19], v[14:15], v[242:243]
	;; [unrolled: 3-line block ×3, first 2 shown]
	v_add_f64 v[20:21], v[20:21], v[254:255]
	s_delay_alu instid0(VALU_DEP_2) | instskip(NEXT) | instid1(VALU_DEP_2)
	v_add_f64 v[18:19], v[18:19], v[252:253]
	v_add_f64 v[28:29], v[20:21], v[78:79]
	s_delay_alu instid0(VALU_DEP_2)
	v_add_f64 v[34:35], v[18:19], v[76:77]
	ds_load_b128 v[18:21], v1 offset:1984
	ds_load_b128 v[22:25], v1 offset:2000
	s_waitcnt vmcnt(2) lgkmcnt(2)
	v_mul_f64 v[26:27], v[6:7], v[4:5]
	v_mul_f64 v[4:5], v[8:9], v[4:5]
	s_waitcnt vmcnt(1) lgkmcnt(1)
	v_mul_f64 v[36:37], v[18:19], v[12:13]
	s_delay_alu instid0(VALU_DEP_3) | instskip(NEXT) | instid1(VALU_DEP_3)
	v_fma_f64 v[8:9], v[8:9], v[2:3], v[26:27]
	v_fma_f64 v[1:2], v[6:7], v[2:3], -v[4:5]
	v_mul_f64 v[3:4], v[20:21], v[12:13]
	v_add_f64 v[5:6], v[28:29], v[82:83]
	v_add_f64 v[12:13], v[34:35], v[80:81]
	s_waitcnt vmcnt(0) lgkmcnt(0)
	v_mul_f64 v[26:27], v[22:23], v[16:17]
	v_mul_f64 v[16:17], v[24:25], v[16:17]
	v_fma_f64 v[20:21], v[20:21], v[10:11], v[36:37]
	v_fma_f64 v[3:4], v[18:19], v[10:11], -v[3:4]
	v_add_f64 v[1:2], v[5:6], v[1:2]
	v_add_f64 v[5:6], v[12:13], v[8:9]
	v_fma_f64 v[7:8], v[24:25], v[14:15], v[26:27]
	v_fma_f64 v[9:10], v[22:23], v[14:15], -v[16:17]
	s_delay_alu instid0(VALU_DEP_4) | instskip(NEXT) | instid1(VALU_DEP_4)
	v_add_f64 v[1:2], v[1:2], v[3:4]
	v_add_f64 v[3:4], v[5:6], v[20:21]
	s_delay_alu instid0(VALU_DEP_2) | instskip(NEXT) | instid1(VALU_DEP_2)
	v_add_f64 v[1:2], v[1:2], v[9:10]
	v_add_f64 v[3:4], v[3:4], v[7:8]
	s_delay_alu instid0(VALU_DEP_2) | instskip(NEXT) | instid1(VALU_DEP_2)
	v_add_f64 v[1:2], v[30:31], -v[1:2]
	v_add_f64 v[3:4], v[32:33], -v[3:4]
	scratch_store_b128 off, v[1:4], off offset:352
	v_cmpx_lt_u32_e32 21, v179
	s_cbranch_execz .LBB126_361
; %bb.360:
	scratch_load_b32 v1, off, off offset:1452 ; 4-byte Folded Reload
	v_mov_b32_e32 v5, 0
	s_delay_alu instid0(VALU_DEP_1)
	v_mov_b32_e32 v6, v5
	v_mov_b32_e32 v7, v5
	;; [unrolled: 1-line block ×3, first 2 shown]
	s_waitcnt vmcnt(0)
	scratch_load_b128 v[1:4], v1, off
	scratch_store_b128 off, v[5:8], off offset:336
	s_waitcnt vmcnt(0)
	ds_store_b128 v244, v[1:4]
.LBB126_361:
	s_or_b32 exec_lo, exec_lo, s2
	s_waitcnt lgkmcnt(0)
	s_waitcnt_vscnt null, 0x0
	s_barrier
	buffer_gl0_inv
	s_clause 0x4
	scratch_load_b128 v[2:5], off, off offset:352
	scratch_load_b128 v[6:9], off, off offset:368
	;; [unrolled: 1-line block ×5, first 2 shown]
	v_mov_b32_e32 v1, 0
	scratch_load_b128 v[26:29], off, off offset:336
	s_mov_b32 s2, exec_lo
	ds_load_b128 v[22:25], v1 offset:1360
	ds_load_b128 v[30:33], v1 offset:1376
	s_waitcnt vmcnt(5) lgkmcnt(1)
	v_mul_f64 v[34:35], v[24:25], v[4:5]
	v_mul_f64 v[4:5], v[22:23], v[4:5]
	s_waitcnt vmcnt(4) lgkmcnt(0)
	v_mul_f64 v[36:37], v[30:31], v[8:9]
	v_mul_f64 v[8:9], v[32:33], v[8:9]
	s_delay_alu instid0(VALU_DEP_4) | instskip(NEXT) | instid1(VALU_DEP_4)
	v_fma_f64 v[22:23], v[22:23], v[2:3], -v[34:35]
	v_fma_f64 v[24:25], v[24:25], v[2:3], v[4:5]
	ds_load_b128 v[2:5], v1 offset:1392
	v_fma_f64 v[32:33], v[32:33], v[6:7], v[36:37]
	v_fma_f64 v[30:31], v[30:31], v[6:7], -v[8:9]
	ds_load_b128 v[6:9], v1 offset:1408
	s_waitcnt vmcnt(3) lgkmcnt(1)
	v_mul_f64 v[34:35], v[2:3], v[12:13]
	v_mul_f64 v[12:13], v[4:5], v[12:13]
	s_waitcnt vmcnt(2) lgkmcnt(0)
	v_mul_f64 v[36:37], v[6:7], v[16:17]
	s_delay_alu instid0(VALU_DEP_3) | instskip(NEXT) | instid1(VALU_DEP_3)
	v_fma_f64 v[34:35], v[4:5], v[10:11], v[34:35]
	v_fma_f64 v[38:39], v[2:3], v[10:11], -v[12:13]
	v_mul_f64 v[10:11], v[8:9], v[16:17]
	ds_load_b128 v[2:5], v1 offset:1424
	v_fma_f64 v[16:17], v[8:9], v[14:15], v[36:37]
	v_fma_f64 v[14:15], v[6:7], v[14:15], -v[10:11]
	ds_load_b128 v[6:9], v1 offset:1440
	s_waitcnt vmcnt(1) lgkmcnt(1)
	v_mul_f64 v[10:11], v[2:3], v[20:21]
	v_mul_f64 v[12:13], v[4:5], v[20:21]
	s_delay_alu instid0(VALU_DEP_2) | instskip(NEXT) | instid1(VALU_DEP_2)
	v_fma_f64 v[20:21], v[4:5], v[18:19], v[10:11]
	v_fma_f64 v[18:19], v[2:3], v[18:19], -v[12:13]
	s_clause 0x1
	scratch_load_b128 v[2:5], off, off offset:432
	scratch_load_b128 v[10:13], off, off offset:448
	s_waitcnt vmcnt(1) lgkmcnt(0)
	v_mul_f64 v[36:37], v[6:7], v[4:5]
	v_mul_f64 v[4:5], v[8:9], v[4:5]
	s_delay_alu instid0(VALU_DEP_2) | instskip(NEXT) | instid1(VALU_DEP_2)
	v_fma_f64 v[36:37], v[8:9], v[2:3], v[36:37]
	v_fma_f64 v[40:41], v[6:7], v[2:3], -v[4:5]
	ds_load_b128 v[2:5], v1 offset:1456
	ds_load_b128 v[6:9], v1 offset:1472
	s_waitcnt vmcnt(0) lgkmcnt(1)
	v_mul_f64 v[42:43], v[2:3], v[12:13]
	s_delay_alu instid0(VALU_DEP_1) | instskip(SKIP_1) | instid1(VALU_DEP_1)
	v_fma_f64 v[42:43], v[4:5], v[10:11], v[42:43]
	v_mul_f64 v[4:5], v[4:5], v[12:13]
	v_fma_f64 v[44:45], v[2:3], v[10:11], -v[4:5]
	s_clause 0x1
	scratch_load_b128 v[2:5], off, off offset:464
	scratch_load_b128 v[10:13], off, off offset:480
	s_waitcnt vmcnt(1) lgkmcnt(0)
	v_mul_f64 v[46:47], v[6:7], v[4:5]
	v_mul_f64 v[4:5], v[8:9], v[4:5]
	s_delay_alu instid0(VALU_DEP_2) | instskip(NEXT) | instid1(VALU_DEP_2)
	v_fma_f64 v[46:47], v[8:9], v[2:3], v[46:47]
	v_fma_f64 v[48:49], v[6:7], v[2:3], -v[4:5]
	ds_load_b128 v[2:5], v1 offset:1488
	ds_load_b128 v[6:9], v1 offset:1504
	s_waitcnt vmcnt(0) lgkmcnt(1)
	v_mul_f64 v[51:52], v[2:3], v[12:13]
	s_delay_alu instid0(VALU_DEP_1) | instskip(SKIP_1) | instid1(VALU_DEP_1)
	v_fma_f64 v[51:52], v[4:5], v[10:11], v[51:52]
	v_mul_f64 v[4:5], v[4:5], v[12:13]
	;; [unrolled: 17-line block ×16, first 2 shown]
	v_fma_f64 v[254:255], v[2:3], v[10:11], -v[4:5]
	v_add_f64 v[2:3], v[22:23], 0
	v_add_f64 v[4:5], v[24:25], 0
	s_delay_alu instid0(VALU_DEP_2) | instskip(NEXT) | instid1(VALU_DEP_2)
	v_add_f64 v[2:3], v[2:3], v[30:31]
	v_add_f64 v[4:5], v[4:5], v[32:33]
	s_delay_alu instid0(VALU_DEP_2) | instskip(NEXT) | instid1(VALU_DEP_2)
	;; [unrolled: 3-line block ×30, first 2 shown]
	v_add_f64 v[2:3], v[2:3], v[227:228]
	v_add_f64 v[10:11], v[4:5], v[225:226]
	s_delay_alu instid0(VALU_DEP_2)
	v_add_f64 v[12:13], v[2:3], v[231:232]
	scratch_load_b128 v[2:5], off, off offset:944
	v_add_f64 v[14:15], v[10:11], v[229:230]
	v_add_f64 v[16:17], v[12:13], v[235:236]
	scratch_load_b128 v[10:13], off, off offset:960
	v_add_f64 v[18:19], v[14:15], v[233:234]
	;; [unrolled: 3-line block ×4, first 2 shown]
	v_add_f64 v[24:25], v[24:25], v[249:250]
	s_delay_alu instid0(VALU_DEP_2) | instskip(NEXT) | instid1(VALU_DEP_2)
	v_add_f64 v[22:23], v[22:23], v[247:248]
	v_add_f64 v[24:25], v[24:25], v[254:255]
	s_delay_alu instid0(VALU_DEP_2) | instskip(SKIP_3) | instid1(VALU_DEP_2)
	v_add_f64 v[22:23], v[22:23], v[252:253]
	s_waitcnt vmcnt(3) lgkmcnt(0)
	v_mul_f64 v[30:31], v[6:7], v[4:5]
	v_mul_f64 v[4:5], v[8:9], v[4:5]
	v_fma_f64 v[30:31], v[8:9], v[2:3], v[30:31]
	s_delay_alu instid0(VALU_DEP_2)
	v_fma_f64 v[32:33], v[6:7], v[2:3], -v[4:5]
	ds_load_b128 v[2:5], v1 offset:1968
	ds_load_b128 v[6:9], v1 offset:1984
	s_waitcnt vmcnt(2) lgkmcnt(1)
	v_mul_f64 v[34:35], v[2:3], v[12:13]
	v_mul_f64 v[12:13], v[4:5], v[12:13]
	s_waitcnt vmcnt(1) lgkmcnt(0)
	v_mul_f64 v[36:37], v[6:7], v[16:17]
	v_add_f64 v[22:23], v[22:23], v[30:31]
	s_delay_alu instid0(VALU_DEP_4) | instskip(NEXT) | instid1(VALU_DEP_4)
	v_fma_f64 v[34:35], v[4:5], v[10:11], v[34:35]
	v_fma_f64 v[10:11], v[2:3], v[10:11], -v[12:13]
	v_mul_f64 v[12:13], v[8:9], v[16:17]
	v_add_f64 v[16:17], v[24:25], v[32:33]
	ds_load_b128 v[2:5], v1 offset:2000
	v_fma_f64 v[8:9], v[8:9], v[14:15], v[36:37]
	s_waitcnt vmcnt(0) lgkmcnt(0)
	v_mul_f64 v[24:25], v[2:3], v[20:21]
	v_mul_f64 v[20:21], v[4:5], v[20:21]
	v_fma_f64 v[6:7], v[6:7], v[14:15], -v[12:13]
	v_add_f64 v[10:11], v[16:17], v[10:11]
	v_add_f64 v[12:13], v[22:23], v[34:35]
	v_fma_f64 v[4:5], v[4:5], v[18:19], v[24:25]
	v_fma_f64 v[2:3], v[2:3], v[18:19], -v[20:21]
	s_delay_alu instid0(VALU_DEP_4) | instskip(NEXT) | instid1(VALU_DEP_4)
	v_add_f64 v[6:7], v[10:11], v[6:7]
	v_add_f64 v[8:9], v[12:13], v[8:9]
	s_delay_alu instid0(VALU_DEP_2) | instskip(NEXT) | instid1(VALU_DEP_2)
	v_add_f64 v[2:3], v[6:7], v[2:3]
	v_add_f64 v[4:5], v[8:9], v[4:5]
	s_delay_alu instid0(VALU_DEP_2) | instskip(NEXT) | instid1(VALU_DEP_2)
	v_add_f64 v[2:3], v[26:27], -v[2:3]
	v_add_f64 v[4:5], v[28:29], -v[4:5]
	scratch_store_b128 off, v[2:5], off offset:336
	v_cmpx_lt_u32_e32 20, v179
	s_cbranch_execz .LBB126_363
; %bb.362:
	scratch_load_b32 v2, off, off offset:1460 ; 4-byte Folded Reload
	v_mov_b32_e32 v3, v1
	v_mov_b32_e32 v4, v1
	s_waitcnt vmcnt(0)
	scratch_load_b128 v[5:8], v2, off
	v_mov_b32_e32 v2, v1
	scratch_store_b128 off, v[1:4], off offset:320
	s_waitcnt vmcnt(0)
	ds_store_b128 v244, v[5:8]
.LBB126_363:
	s_or_b32 exec_lo, exec_lo, s2
	s_waitcnt lgkmcnt(0)
	s_waitcnt_vscnt null, 0x0
	s_barrier
	buffer_gl0_inv
	s_clause 0x4
	scratch_load_b128 v[2:5], off, off offset:336
	scratch_load_b128 v[6:9], off, off offset:352
	;; [unrolled: 1-line block ×5, first 2 shown]
	ds_load_b128 v[22:25], v1 offset:1344
	ds_load_b128 v[26:29], v1 offset:1360
	scratch_load_b128 v[30:33], off, off offset:320
	s_mov_b32 s2, exec_lo
	s_waitcnt vmcnt(5) lgkmcnt(1)
	v_mul_f64 v[34:35], v[24:25], v[4:5]
	v_mul_f64 v[4:5], v[22:23], v[4:5]
	s_waitcnt vmcnt(4) lgkmcnt(0)
	v_mul_f64 v[36:37], v[26:27], v[8:9]
	v_mul_f64 v[8:9], v[28:29], v[8:9]
	s_delay_alu instid0(VALU_DEP_4) | instskip(NEXT) | instid1(VALU_DEP_4)
	v_fma_f64 v[22:23], v[22:23], v[2:3], -v[34:35]
	v_fma_f64 v[24:25], v[24:25], v[2:3], v[4:5]
	ds_load_b128 v[2:5], v1 offset:1376
	v_fma_f64 v[28:29], v[28:29], v[6:7], v[36:37]
	v_fma_f64 v[26:27], v[26:27], v[6:7], -v[8:9]
	ds_load_b128 v[6:9], v1 offset:1392
	s_waitcnt vmcnt(3) lgkmcnt(1)
	v_mul_f64 v[34:35], v[2:3], v[12:13]
	v_mul_f64 v[12:13], v[4:5], v[12:13]
	s_waitcnt vmcnt(2) lgkmcnt(0)
	v_mul_f64 v[36:37], v[6:7], v[16:17]
	s_delay_alu instid0(VALU_DEP_3) | instskip(NEXT) | instid1(VALU_DEP_3)
	v_fma_f64 v[34:35], v[4:5], v[10:11], v[34:35]
	v_fma_f64 v[38:39], v[2:3], v[10:11], -v[12:13]
	v_mul_f64 v[10:11], v[8:9], v[16:17]
	ds_load_b128 v[2:5], v1 offset:1408
	v_fma_f64 v[16:17], v[8:9], v[14:15], v[36:37]
	v_fma_f64 v[14:15], v[6:7], v[14:15], -v[10:11]
	ds_load_b128 v[6:9], v1 offset:1424
	s_waitcnt vmcnt(1) lgkmcnt(1)
	v_mul_f64 v[10:11], v[2:3], v[20:21]
	v_mul_f64 v[12:13], v[4:5], v[20:21]
	s_delay_alu instid0(VALU_DEP_2) | instskip(NEXT) | instid1(VALU_DEP_2)
	v_fma_f64 v[20:21], v[4:5], v[18:19], v[10:11]
	v_fma_f64 v[18:19], v[2:3], v[18:19], -v[12:13]
	s_clause 0x1
	scratch_load_b128 v[2:5], off, off offset:416
	scratch_load_b128 v[10:13], off, off offset:432
	s_waitcnt vmcnt(1) lgkmcnt(0)
	v_mul_f64 v[36:37], v[6:7], v[4:5]
	v_mul_f64 v[4:5], v[8:9], v[4:5]
	s_delay_alu instid0(VALU_DEP_2) | instskip(NEXT) | instid1(VALU_DEP_2)
	v_fma_f64 v[36:37], v[8:9], v[2:3], v[36:37]
	v_fma_f64 v[40:41], v[6:7], v[2:3], -v[4:5]
	ds_load_b128 v[2:5], v1 offset:1440
	ds_load_b128 v[6:9], v1 offset:1456
	s_waitcnt vmcnt(0) lgkmcnt(1)
	v_mul_f64 v[42:43], v[2:3], v[12:13]
	s_delay_alu instid0(VALU_DEP_1) | instskip(SKIP_1) | instid1(VALU_DEP_1)
	v_fma_f64 v[42:43], v[4:5], v[10:11], v[42:43]
	v_mul_f64 v[4:5], v[4:5], v[12:13]
	v_fma_f64 v[44:45], v[2:3], v[10:11], -v[4:5]
	s_clause 0x1
	scratch_load_b128 v[2:5], off, off offset:448
	scratch_load_b128 v[10:13], off, off offset:464
	s_waitcnt vmcnt(1) lgkmcnt(0)
	v_mul_f64 v[46:47], v[6:7], v[4:5]
	v_mul_f64 v[4:5], v[8:9], v[4:5]
	s_delay_alu instid0(VALU_DEP_2) | instskip(NEXT) | instid1(VALU_DEP_2)
	v_fma_f64 v[46:47], v[8:9], v[2:3], v[46:47]
	v_fma_f64 v[48:49], v[6:7], v[2:3], -v[4:5]
	ds_load_b128 v[2:5], v1 offset:1472
	ds_load_b128 v[6:9], v1 offset:1488
	s_waitcnt vmcnt(0) lgkmcnt(1)
	v_mul_f64 v[51:52], v[2:3], v[12:13]
	s_delay_alu instid0(VALU_DEP_1) | instskip(SKIP_1) | instid1(VALU_DEP_1)
	v_fma_f64 v[51:52], v[4:5], v[10:11], v[51:52]
	v_mul_f64 v[4:5], v[4:5], v[12:13]
	;; [unrolled: 17-line block ×17, first 2 shown]
	v_fma_f64 v[105:106], v[2:3], v[10:11], -v[4:5]
	v_add_f64 v[2:3], v[22:23], 0
	v_add_f64 v[4:5], v[24:25], 0
	s_delay_alu instid0(VALU_DEP_2) | instskip(NEXT) | instid1(VALU_DEP_2)
	v_add_f64 v[2:3], v[2:3], v[26:27]
	v_add_f64 v[4:5], v[4:5], v[28:29]
	s_delay_alu instid0(VALU_DEP_2) | instskip(NEXT) | instid1(VALU_DEP_2)
	;; [unrolled: 3-line block ×32, first 2 shown]
	v_add_f64 v[2:3], v[2:3], v[235:236]
	v_add_f64 v[10:11], v[4:5], v[233:234]
	s_delay_alu instid0(VALU_DEP_2)
	v_add_f64 v[12:13], v[2:3], v[240:241]
	scratch_load_b128 v[2:5], off, off offset:960
	v_add_f64 v[14:15], v[10:11], v[238:239]
	v_add_f64 v[16:17], v[12:13], v[245:246]
	scratch_load_b128 v[10:13], off, off offset:976
	v_add_f64 v[18:19], v[14:15], v[242:243]
	;; [unrolled: 3-line block ×3, first 2 shown]
	v_add_f64 v[20:21], v[20:21], v[254:255]
	s_delay_alu instid0(VALU_DEP_2) | instskip(NEXT) | instid1(VALU_DEP_2)
	v_add_f64 v[18:19], v[18:19], v[252:253]
	v_add_f64 v[28:29], v[20:21], v[86:87]
	s_delay_alu instid0(VALU_DEP_2)
	v_add_f64 v[34:35], v[18:19], v[84:85]
	ds_load_b128 v[18:21], v1 offset:1984
	ds_load_b128 v[22:25], v1 offset:2000
	s_waitcnt vmcnt(2) lgkmcnt(2)
	v_mul_f64 v[26:27], v[6:7], v[4:5]
	v_mul_f64 v[4:5], v[8:9], v[4:5]
	s_waitcnt vmcnt(1) lgkmcnt(1)
	v_mul_f64 v[36:37], v[18:19], v[12:13]
	s_delay_alu instid0(VALU_DEP_3) | instskip(NEXT) | instid1(VALU_DEP_3)
	v_fma_f64 v[8:9], v[8:9], v[2:3], v[26:27]
	v_fma_f64 v[1:2], v[6:7], v[2:3], -v[4:5]
	v_mul_f64 v[3:4], v[20:21], v[12:13]
	v_add_f64 v[5:6], v[28:29], v[105:106]
	v_add_f64 v[12:13], v[34:35], v[103:104]
	s_waitcnt vmcnt(0) lgkmcnt(0)
	v_mul_f64 v[26:27], v[22:23], v[16:17]
	v_mul_f64 v[16:17], v[24:25], v[16:17]
	v_fma_f64 v[20:21], v[20:21], v[10:11], v[36:37]
	v_fma_f64 v[3:4], v[18:19], v[10:11], -v[3:4]
	v_add_f64 v[1:2], v[5:6], v[1:2]
	v_add_f64 v[5:6], v[12:13], v[8:9]
	v_fma_f64 v[7:8], v[24:25], v[14:15], v[26:27]
	v_fma_f64 v[9:10], v[22:23], v[14:15], -v[16:17]
	s_delay_alu instid0(VALU_DEP_4) | instskip(NEXT) | instid1(VALU_DEP_4)
	v_add_f64 v[1:2], v[1:2], v[3:4]
	v_add_f64 v[3:4], v[5:6], v[20:21]
	s_delay_alu instid0(VALU_DEP_2) | instskip(NEXT) | instid1(VALU_DEP_2)
	v_add_f64 v[1:2], v[1:2], v[9:10]
	v_add_f64 v[3:4], v[3:4], v[7:8]
	s_delay_alu instid0(VALU_DEP_2) | instskip(NEXT) | instid1(VALU_DEP_2)
	v_add_f64 v[1:2], v[30:31], -v[1:2]
	v_add_f64 v[3:4], v[32:33], -v[3:4]
	scratch_store_b128 off, v[1:4], off offset:320
	v_cmpx_lt_u32_e32 19, v179
	s_cbranch_execz .LBB126_365
; %bb.364:
	scratch_load_b32 v1, off, off offset:1464 ; 4-byte Folded Reload
	v_mov_b32_e32 v5, 0
	s_delay_alu instid0(VALU_DEP_1)
	v_mov_b32_e32 v6, v5
	v_mov_b32_e32 v7, v5
	;; [unrolled: 1-line block ×3, first 2 shown]
	s_waitcnt vmcnt(0)
	scratch_load_b128 v[1:4], v1, off
	scratch_store_b128 off, v[5:8], off offset:304
	s_waitcnt vmcnt(0)
	ds_store_b128 v244, v[1:4]
.LBB126_365:
	s_or_b32 exec_lo, exec_lo, s2
	s_waitcnt lgkmcnt(0)
	s_waitcnt_vscnt null, 0x0
	s_barrier
	buffer_gl0_inv
	s_clause 0x4
	scratch_load_b128 v[2:5], off, off offset:320
	scratch_load_b128 v[6:9], off, off offset:336
	;; [unrolled: 1-line block ×5, first 2 shown]
	v_mov_b32_e32 v1, 0
	scratch_load_b128 v[26:29], off, off offset:304
	s_mov_b32 s2, exec_lo
	ds_load_b128 v[22:25], v1 offset:1328
	ds_load_b128 v[30:33], v1 offset:1344
	s_waitcnt vmcnt(5) lgkmcnt(1)
	v_mul_f64 v[34:35], v[24:25], v[4:5]
	v_mul_f64 v[4:5], v[22:23], v[4:5]
	s_waitcnt vmcnt(4) lgkmcnt(0)
	v_mul_f64 v[36:37], v[30:31], v[8:9]
	v_mul_f64 v[8:9], v[32:33], v[8:9]
	s_delay_alu instid0(VALU_DEP_4) | instskip(NEXT) | instid1(VALU_DEP_4)
	v_fma_f64 v[22:23], v[22:23], v[2:3], -v[34:35]
	v_fma_f64 v[24:25], v[24:25], v[2:3], v[4:5]
	ds_load_b128 v[2:5], v1 offset:1360
	v_fma_f64 v[32:33], v[32:33], v[6:7], v[36:37]
	v_fma_f64 v[30:31], v[30:31], v[6:7], -v[8:9]
	ds_load_b128 v[6:9], v1 offset:1376
	s_waitcnt vmcnt(3) lgkmcnt(1)
	v_mul_f64 v[34:35], v[2:3], v[12:13]
	v_mul_f64 v[12:13], v[4:5], v[12:13]
	s_waitcnt vmcnt(2) lgkmcnt(0)
	v_mul_f64 v[36:37], v[6:7], v[16:17]
	s_delay_alu instid0(VALU_DEP_3) | instskip(NEXT) | instid1(VALU_DEP_3)
	v_fma_f64 v[34:35], v[4:5], v[10:11], v[34:35]
	v_fma_f64 v[38:39], v[2:3], v[10:11], -v[12:13]
	v_mul_f64 v[10:11], v[8:9], v[16:17]
	ds_load_b128 v[2:5], v1 offset:1392
	v_fma_f64 v[16:17], v[8:9], v[14:15], v[36:37]
	v_fma_f64 v[14:15], v[6:7], v[14:15], -v[10:11]
	ds_load_b128 v[6:9], v1 offset:1408
	s_waitcnt vmcnt(1) lgkmcnt(1)
	v_mul_f64 v[10:11], v[2:3], v[20:21]
	v_mul_f64 v[12:13], v[4:5], v[20:21]
	s_delay_alu instid0(VALU_DEP_2) | instskip(NEXT) | instid1(VALU_DEP_2)
	v_fma_f64 v[20:21], v[4:5], v[18:19], v[10:11]
	v_fma_f64 v[18:19], v[2:3], v[18:19], -v[12:13]
	s_clause 0x1
	scratch_load_b128 v[2:5], off, off offset:400
	scratch_load_b128 v[10:13], off, off offset:416
	s_waitcnt vmcnt(1) lgkmcnt(0)
	v_mul_f64 v[36:37], v[6:7], v[4:5]
	v_mul_f64 v[4:5], v[8:9], v[4:5]
	s_delay_alu instid0(VALU_DEP_2) | instskip(NEXT) | instid1(VALU_DEP_2)
	v_fma_f64 v[36:37], v[8:9], v[2:3], v[36:37]
	v_fma_f64 v[40:41], v[6:7], v[2:3], -v[4:5]
	ds_load_b128 v[2:5], v1 offset:1424
	ds_load_b128 v[6:9], v1 offset:1440
	s_waitcnt vmcnt(0) lgkmcnt(1)
	v_mul_f64 v[42:43], v[2:3], v[12:13]
	s_delay_alu instid0(VALU_DEP_1) | instskip(SKIP_1) | instid1(VALU_DEP_1)
	v_fma_f64 v[42:43], v[4:5], v[10:11], v[42:43]
	v_mul_f64 v[4:5], v[4:5], v[12:13]
	v_fma_f64 v[44:45], v[2:3], v[10:11], -v[4:5]
	s_clause 0x1
	scratch_load_b128 v[2:5], off, off offset:432
	scratch_load_b128 v[10:13], off, off offset:448
	s_waitcnt vmcnt(1) lgkmcnt(0)
	v_mul_f64 v[46:47], v[6:7], v[4:5]
	v_mul_f64 v[4:5], v[8:9], v[4:5]
	s_delay_alu instid0(VALU_DEP_2) | instskip(NEXT) | instid1(VALU_DEP_2)
	v_fma_f64 v[46:47], v[8:9], v[2:3], v[46:47]
	v_fma_f64 v[48:49], v[6:7], v[2:3], -v[4:5]
	ds_load_b128 v[2:5], v1 offset:1456
	ds_load_b128 v[6:9], v1 offset:1472
	s_waitcnt vmcnt(0) lgkmcnt(1)
	v_mul_f64 v[51:52], v[2:3], v[12:13]
	s_delay_alu instid0(VALU_DEP_1) | instskip(SKIP_1) | instid1(VALU_DEP_1)
	v_fma_f64 v[51:52], v[4:5], v[10:11], v[51:52]
	v_mul_f64 v[4:5], v[4:5], v[12:13]
	v_fma_f64 v[55:56], v[2:3], v[10:11], -v[4:5]
	s_clause 0x1
	scratch_load_b128 v[2:5], off, off offset:464
	scratch_load_b128 v[10:13], off, off offset:480
	s_waitcnt vmcnt(1) lgkmcnt(0)
	v_mul_f64 v[58:59], v[6:7], v[4:5]
	v_mul_f64 v[4:5], v[8:9], v[4:5]
	s_delay_alu instid0(VALU_DEP_2) | instskip(NEXT) | instid1(VALU_DEP_2)
	v_fma_f64 v[58:59], v[8:9], v[2:3], v[58:59]
	v_fma_f64 v[60:61], v[6:7], v[2:3], -v[4:5]
	ds_load_b128 v[2:5], v1 offset:1488
	ds_load_b128 v[6:9], v1 offset:1504
	s_waitcnt vmcnt(0) lgkmcnt(1)
	v_mul_f64 v[62:63], v[2:3], v[12:13]
	s_delay_alu instid0(VALU_DEP_1) | instskip(SKIP_1) | instid1(VALU_DEP_1)
	v_fma_f64 v[62:63], v[4:5], v[10:11], v[62:63]
	v_mul_f64 v[4:5], v[4:5], v[12:13]
	v_fma_f64 v[64:65], v[2:3], v[10:11], -v[4:5]
	s_clause 0x1
	scratch_load_b128 v[2:5], off, off offset:496
	scratch_load_b128 v[10:13], off, off offset:512
	s_waitcnt vmcnt(1) lgkmcnt(0)
	v_mul_f64 v[66:67], v[6:7], v[4:5]
	v_mul_f64 v[4:5], v[8:9], v[4:5]
	s_delay_alu instid0(VALU_DEP_2) | instskip(NEXT) | instid1(VALU_DEP_2)
	v_fma_f64 v[66:67], v[8:9], v[2:3], v[66:67]
	v_fma_f64 v[68:69], v[6:7], v[2:3], -v[4:5]
	ds_load_b128 v[2:5], v1 offset:1520
	ds_load_b128 v[6:9], v1 offset:1536
	s_waitcnt vmcnt(0) lgkmcnt(1)
	v_mul_f64 v[70:71], v[2:3], v[12:13]
	s_delay_alu instid0(VALU_DEP_1) | instskip(SKIP_1) | instid1(VALU_DEP_1)
	v_fma_f64 v[70:71], v[4:5], v[10:11], v[70:71]
	v_mul_f64 v[4:5], v[4:5], v[12:13]
	v_fma_f64 v[72:73], v[2:3], v[10:11], -v[4:5]
	s_clause 0x1
	scratch_load_b128 v[2:5], off, off offset:528
	scratch_load_b128 v[10:13], off, off offset:544
	s_waitcnt vmcnt(1) lgkmcnt(0)
	v_mul_f64 v[74:75], v[6:7], v[4:5]
	v_mul_f64 v[4:5], v[8:9], v[4:5]
	s_delay_alu instid0(VALU_DEP_2) | instskip(NEXT) | instid1(VALU_DEP_2)
	v_fma_f64 v[74:75], v[8:9], v[2:3], v[74:75]
	v_fma_f64 v[76:77], v[6:7], v[2:3], -v[4:5]
	ds_load_b128 v[2:5], v1 offset:1552
	ds_load_b128 v[6:9], v1 offset:1568
	s_waitcnt vmcnt(0) lgkmcnt(1)
	v_mul_f64 v[78:79], v[2:3], v[12:13]
	s_delay_alu instid0(VALU_DEP_1) | instskip(SKIP_1) | instid1(VALU_DEP_1)
	v_fma_f64 v[78:79], v[4:5], v[10:11], v[78:79]
	v_mul_f64 v[4:5], v[4:5], v[12:13]
	v_fma_f64 v[80:81], v[2:3], v[10:11], -v[4:5]
	s_clause 0x1
	scratch_load_b128 v[2:5], off, off offset:560
	scratch_load_b128 v[10:13], off, off offset:576
	s_waitcnt vmcnt(1) lgkmcnt(0)
	v_mul_f64 v[82:83], v[6:7], v[4:5]
	v_mul_f64 v[4:5], v[8:9], v[4:5]
	s_delay_alu instid0(VALU_DEP_2) | instskip(NEXT) | instid1(VALU_DEP_2)
	v_fma_f64 v[82:83], v[8:9], v[2:3], v[82:83]
	v_fma_f64 v[84:85], v[6:7], v[2:3], -v[4:5]
	ds_load_b128 v[2:5], v1 offset:1584
	ds_load_b128 v[6:9], v1 offset:1600
	s_waitcnt vmcnt(0) lgkmcnt(1)
	v_mul_f64 v[86:87], v[2:3], v[12:13]
	s_delay_alu instid0(VALU_DEP_1) | instskip(SKIP_1) | instid1(VALU_DEP_1)
	v_fma_f64 v[86:87], v[4:5], v[10:11], v[86:87]
	v_mul_f64 v[4:5], v[4:5], v[12:13]
	v_fma_f64 v[89:90], v[2:3], v[10:11], -v[4:5]
	s_clause 0x1
	scratch_load_b128 v[2:5], off, off offset:592
	scratch_load_b128 v[10:13], off, off offset:608
	s_waitcnt vmcnt(1) lgkmcnt(0)
	v_mul_f64 v[91:92], v[6:7], v[4:5]
	v_mul_f64 v[4:5], v[8:9], v[4:5]
	s_delay_alu instid0(VALU_DEP_2) | instskip(NEXT) | instid1(VALU_DEP_2)
	v_fma_f64 v[91:92], v[8:9], v[2:3], v[91:92]
	v_fma_f64 v[93:94], v[6:7], v[2:3], -v[4:5]
	ds_load_b128 v[2:5], v1 offset:1616
	ds_load_b128 v[6:9], v1 offset:1632
	s_waitcnt vmcnt(0) lgkmcnt(1)
	v_mul_f64 v[95:96], v[2:3], v[12:13]
	s_delay_alu instid0(VALU_DEP_1) | instskip(SKIP_1) | instid1(VALU_DEP_1)
	v_fma_f64 v[95:96], v[4:5], v[10:11], v[95:96]
	v_mul_f64 v[4:5], v[4:5], v[12:13]
	v_fma_f64 v[97:98], v[2:3], v[10:11], -v[4:5]
	s_clause 0x1
	scratch_load_b128 v[2:5], off, off offset:624
	scratch_load_b128 v[10:13], off, off offset:640
	s_waitcnt vmcnt(1) lgkmcnt(0)
	v_mul_f64 v[99:100], v[6:7], v[4:5]
	v_mul_f64 v[4:5], v[8:9], v[4:5]
	s_delay_alu instid0(VALU_DEP_2) | instskip(NEXT) | instid1(VALU_DEP_2)
	v_fma_f64 v[99:100], v[8:9], v[2:3], v[99:100]
	v_fma_f64 v[101:102], v[6:7], v[2:3], -v[4:5]
	ds_load_b128 v[2:5], v1 offset:1648
	ds_load_b128 v[6:9], v1 offset:1664
	s_waitcnt vmcnt(0) lgkmcnt(1)
	v_mul_f64 v[103:104], v[2:3], v[12:13]
	s_delay_alu instid0(VALU_DEP_1) | instskip(SKIP_1) | instid1(VALU_DEP_1)
	v_fma_f64 v[103:104], v[4:5], v[10:11], v[103:104]
	v_mul_f64 v[4:5], v[4:5], v[12:13]
	v_fma_f64 v[105:106], v[2:3], v[10:11], -v[4:5]
	s_clause 0x1
	scratch_load_b128 v[2:5], off, off offset:656
	scratch_load_b128 v[10:13], off, off offset:672
	s_waitcnt vmcnt(1) lgkmcnt(0)
	v_mul_f64 v[180:181], v[6:7], v[4:5]
	v_mul_f64 v[4:5], v[8:9], v[4:5]
	s_delay_alu instid0(VALU_DEP_2) | instskip(NEXT) | instid1(VALU_DEP_2)
	v_fma_f64 v[180:181], v[8:9], v[2:3], v[180:181]
	v_fma_f64 v[182:183], v[6:7], v[2:3], -v[4:5]
	ds_load_b128 v[2:5], v1 offset:1680
	ds_load_b128 v[6:9], v1 offset:1696
	s_waitcnt vmcnt(0) lgkmcnt(1)
	v_mul_f64 v[184:185], v[2:3], v[12:13]
	s_delay_alu instid0(VALU_DEP_1) | instskip(SKIP_1) | instid1(VALU_DEP_1)
	v_fma_f64 v[184:185], v[4:5], v[10:11], v[184:185]
	v_mul_f64 v[4:5], v[4:5], v[12:13]
	v_fma_f64 v[186:187], v[2:3], v[10:11], -v[4:5]
	s_clause 0x1
	scratch_load_b128 v[2:5], off, off offset:688
	scratch_load_b128 v[10:13], off, off offset:704
	s_waitcnt vmcnt(1) lgkmcnt(0)
	v_mul_f64 v[188:189], v[6:7], v[4:5]
	v_mul_f64 v[4:5], v[8:9], v[4:5]
	s_delay_alu instid0(VALU_DEP_2) | instskip(NEXT) | instid1(VALU_DEP_2)
	v_fma_f64 v[188:189], v[8:9], v[2:3], v[188:189]
	v_fma_f64 v[190:191], v[6:7], v[2:3], -v[4:5]
	ds_load_b128 v[2:5], v1 offset:1712
	ds_load_b128 v[6:9], v1 offset:1728
	s_waitcnt vmcnt(0) lgkmcnt(1)
	v_mul_f64 v[192:193], v[2:3], v[12:13]
	s_delay_alu instid0(VALU_DEP_1) | instskip(SKIP_1) | instid1(VALU_DEP_1)
	v_fma_f64 v[192:193], v[4:5], v[10:11], v[192:193]
	v_mul_f64 v[4:5], v[4:5], v[12:13]
	v_fma_f64 v[194:195], v[2:3], v[10:11], -v[4:5]
	s_clause 0x1
	scratch_load_b128 v[2:5], off, off offset:720
	scratch_load_b128 v[10:13], off, off offset:736
	s_waitcnt vmcnt(1) lgkmcnt(0)
	v_mul_f64 v[196:197], v[6:7], v[4:5]
	v_mul_f64 v[4:5], v[8:9], v[4:5]
	s_delay_alu instid0(VALU_DEP_2) | instskip(NEXT) | instid1(VALU_DEP_2)
	v_fma_f64 v[196:197], v[8:9], v[2:3], v[196:197]
	v_fma_f64 v[198:199], v[6:7], v[2:3], -v[4:5]
	ds_load_b128 v[2:5], v1 offset:1744
	ds_load_b128 v[6:9], v1 offset:1760
	s_waitcnt vmcnt(0) lgkmcnt(1)
	v_mul_f64 v[200:201], v[2:3], v[12:13]
	s_delay_alu instid0(VALU_DEP_1) | instskip(SKIP_1) | instid1(VALU_DEP_1)
	v_fma_f64 v[200:201], v[4:5], v[10:11], v[200:201]
	v_mul_f64 v[4:5], v[4:5], v[12:13]
	v_fma_f64 v[202:203], v[2:3], v[10:11], -v[4:5]
	s_clause 0x1
	scratch_load_b128 v[2:5], off, off offset:752
	scratch_load_b128 v[10:13], off, off offset:768
	s_waitcnt vmcnt(1) lgkmcnt(0)
	v_mul_f64 v[204:205], v[6:7], v[4:5]
	v_mul_f64 v[4:5], v[8:9], v[4:5]
	s_delay_alu instid0(VALU_DEP_2) | instskip(NEXT) | instid1(VALU_DEP_2)
	v_fma_f64 v[204:205], v[8:9], v[2:3], v[204:205]
	v_fma_f64 v[206:207], v[6:7], v[2:3], -v[4:5]
	ds_load_b128 v[2:5], v1 offset:1776
	ds_load_b128 v[6:9], v1 offset:1792
	s_waitcnt vmcnt(0) lgkmcnt(1)
	v_mul_f64 v[208:209], v[2:3], v[12:13]
	s_delay_alu instid0(VALU_DEP_1) | instskip(SKIP_1) | instid1(VALU_DEP_1)
	v_fma_f64 v[208:209], v[4:5], v[10:11], v[208:209]
	v_mul_f64 v[4:5], v[4:5], v[12:13]
	v_fma_f64 v[211:212], v[2:3], v[10:11], -v[4:5]
	s_clause 0x1
	scratch_load_b128 v[2:5], off, off offset:784
	scratch_load_b128 v[10:13], off, off offset:800
	s_waitcnt vmcnt(1) lgkmcnt(0)
	v_mul_f64 v[213:214], v[6:7], v[4:5]
	v_mul_f64 v[4:5], v[8:9], v[4:5]
	s_delay_alu instid0(VALU_DEP_2) | instskip(NEXT) | instid1(VALU_DEP_2)
	v_fma_f64 v[213:214], v[8:9], v[2:3], v[213:214]
	v_fma_f64 v[215:216], v[6:7], v[2:3], -v[4:5]
	ds_load_b128 v[2:5], v1 offset:1808
	ds_load_b128 v[6:9], v1 offset:1824
	s_waitcnt vmcnt(0) lgkmcnt(1)
	v_mul_f64 v[217:218], v[2:3], v[12:13]
	s_delay_alu instid0(VALU_DEP_1) | instskip(SKIP_1) | instid1(VALU_DEP_1)
	v_fma_f64 v[217:218], v[4:5], v[10:11], v[217:218]
	v_mul_f64 v[4:5], v[4:5], v[12:13]
	v_fma_f64 v[219:220], v[2:3], v[10:11], -v[4:5]
	s_clause 0x1
	scratch_load_b128 v[2:5], off, off offset:816
	scratch_load_b128 v[10:13], off, off offset:832
	s_waitcnt vmcnt(1) lgkmcnt(0)
	v_mul_f64 v[221:222], v[6:7], v[4:5]
	v_mul_f64 v[4:5], v[8:9], v[4:5]
	s_delay_alu instid0(VALU_DEP_2) | instskip(NEXT) | instid1(VALU_DEP_2)
	v_fma_f64 v[221:222], v[8:9], v[2:3], v[221:222]
	v_fma_f64 v[223:224], v[6:7], v[2:3], -v[4:5]
	ds_load_b128 v[2:5], v1 offset:1840
	ds_load_b128 v[6:9], v1 offset:1856
	s_waitcnt vmcnt(0) lgkmcnt(1)
	v_mul_f64 v[225:226], v[2:3], v[12:13]
	s_delay_alu instid0(VALU_DEP_1) | instskip(SKIP_1) | instid1(VALU_DEP_1)
	v_fma_f64 v[225:226], v[4:5], v[10:11], v[225:226]
	v_mul_f64 v[4:5], v[4:5], v[12:13]
	v_fma_f64 v[227:228], v[2:3], v[10:11], -v[4:5]
	s_clause 0x1
	scratch_load_b128 v[2:5], off, off offset:848
	scratch_load_b128 v[10:13], off, off offset:864
	s_waitcnt vmcnt(1) lgkmcnt(0)
	v_mul_f64 v[229:230], v[6:7], v[4:5]
	v_mul_f64 v[4:5], v[8:9], v[4:5]
	s_delay_alu instid0(VALU_DEP_2) | instskip(NEXT) | instid1(VALU_DEP_2)
	v_fma_f64 v[229:230], v[8:9], v[2:3], v[229:230]
	v_fma_f64 v[231:232], v[6:7], v[2:3], -v[4:5]
	ds_load_b128 v[2:5], v1 offset:1872
	ds_load_b128 v[6:9], v1 offset:1888
	s_waitcnt vmcnt(0) lgkmcnt(1)
	v_mul_f64 v[233:234], v[2:3], v[12:13]
	s_delay_alu instid0(VALU_DEP_1) | instskip(SKIP_1) | instid1(VALU_DEP_1)
	v_fma_f64 v[233:234], v[4:5], v[10:11], v[233:234]
	v_mul_f64 v[4:5], v[4:5], v[12:13]
	v_fma_f64 v[235:236], v[2:3], v[10:11], -v[4:5]
	s_clause 0x1
	scratch_load_b128 v[2:5], off, off offset:880
	scratch_load_b128 v[10:13], off, off offset:896
	s_waitcnt vmcnt(1) lgkmcnt(0)
	v_mul_f64 v[238:239], v[6:7], v[4:5]
	v_mul_f64 v[4:5], v[8:9], v[4:5]
	s_delay_alu instid0(VALU_DEP_2) | instskip(NEXT) | instid1(VALU_DEP_2)
	v_fma_f64 v[238:239], v[8:9], v[2:3], v[238:239]
	v_fma_f64 v[240:241], v[6:7], v[2:3], -v[4:5]
	ds_load_b128 v[2:5], v1 offset:1904
	ds_load_b128 v[6:9], v1 offset:1920
	s_waitcnt vmcnt(0) lgkmcnt(1)
	v_mul_f64 v[242:243], v[2:3], v[12:13]
	s_delay_alu instid0(VALU_DEP_1) | instskip(SKIP_1) | instid1(VALU_DEP_1)
	v_fma_f64 v[242:243], v[4:5], v[10:11], v[242:243]
	v_mul_f64 v[4:5], v[4:5], v[12:13]
	v_fma_f64 v[245:246], v[2:3], v[10:11], -v[4:5]
	s_clause 0x1
	scratch_load_b128 v[2:5], off, off offset:912
	scratch_load_b128 v[10:13], off, off offset:928
	s_waitcnt vmcnt(1) lgkmcnt(0)
	v_mul_f64 v[247:248], v[6:7], v[4:5]
	v_mul_f64 v[4:5], v[8:9], v[4:5]
	s_delay_alu instid0(VALU_DEP_2) | instskip(NEXT) | instid1(VALU_DEP_2)
	v_fma_f64 v[247:248], v[8:9], v[2:3], v[247:248]
	v_fma_f64 v[249:250], v[6:7], v[2:3], -v[4:5]
	ds_load_b128 v[2:5], v1 offset:1936
	ds_load_b128 v[6:9], v1 offset:1952
	s_waitcnt vmcnt(0) lgkmcnt(1)
	v_mul_f64 v[252:253], v[2:3], v[12:13]
	s_delay_alu instid0(VALU_DEP_1) | instskip(SKIP_1) | instid1(VALU_DEP_1)
	v_fma_f64 v[252:253], v[4:5], v[10:11], v[252:253]
	v_mul_f64 v[4:5], v[4:5], v[12:13]
	v_fma_f64 v[254:255], v[2:3], v[10:11], -v[4:5]
	v_add_f64 v[2:3], v[22:23], 0
	v_add_f64 v[4:5], v[24:25], 0
	s_delay_alu instid0(VALU_DEP_2) | instskip(NEXT) | instid1(VALU_DEP_2)
	v_add_f64 v[2:3], v[2:3], v[30:31]
	v_add_f64 v[4:5], v[4:5], v[32:33]
	s_delay_alu instid0(VALU_DEP_2) | instskip(NEXT) | instid1(VALU_DEP_2)
	;; [unrolled: 3-line block ×32, first 2 shown]
	v_add_f64 v[2:3], v[2:3], v[227:228]
	v_add_f64 v[10:11], v[4:5], v[225:226]
	s_delay_alu instid0(VALU_DEP_2)
	v_add_f64 v[12:13], v[2:3], v[231:232]
	scratch_load_b128 v[2:5], off, off offset:944
	v_add_f64 v[14:15], v[10:11], v[229:230]
	v_add_f64 v[16:17], v[12:13], v[235:236]
	scratch_load_b128 v[10:13], off, off offset:960
	v_add_f64 v[18:19], v[14:15], v[233:234]
	;; [unrolled: 3-line block ×4, first 2 shown]
	v_add_f64 v[24:25], v[24:25], v[249:250]
	s_delay_alu instid0(VALU_DEP_2) | instskip(NEXT) | instid1(VALU_DEP_2)
	v_add_f64 v[22:23], v[22:23], v[247:248]
	v_add_f64 v[24:25], v[24:25], v[254:255]
	s_delay_alu instid0(VALU_DEP_2) | instskip(SKIP_3) | instid1(VALU_DEP_2)
	v_add_f64 v[22:23], v[22:23], v[252:253]
	s_waitcnt vmcnt(3) lgkmcnt(0)
	v_mul_f64 v[30:31], v[6:7], v[4:5]
	v_mul_f64 v[4:5], v[8:9], v[4:5]
	v_fma_f64 v[30:31], v[8:9], v[2:3], v[30:31]
	s_delay_alu instid0(VALU_DEP_2)
	v_fma_f64 v[32:33], v[6:7], v[2:3], -v[4:5]
	ds_load_b128 v[2:5], v1 offset:1968
	ds_load_b128 v[6:9], v1 offset:1984
	s_waitcnt vmcnt(2) lgkmcnt(1)
	v_mul_f64 v[34:35], v[2:3], v[12:13]
	v_mul_f64 v[12:13], v[4:5], v[12:13]
	s_waitcnt vmcnt(1) lgkmcnt(0)
	v_mul_f64 v[36:37], v[6:7], v[16:17]
	v_add_f64 v[22:23], v[22:23], v[30:31]
	s_delay_alu instid0(VALU_DEP_4) | instskip(NEXT) | instid1(VALU_DEP_4)
	v_fma_f64 v[34:35], v[4:5], v[10:11], v[34:35]
	v_fma_f64 v[10:11], v[2:3], v[10:11], -v[12:13]
	v_mul_f64 v[12:13], v[8:9], v[16:17]
	v_add_f64 v[16:17], v[24:25], v[32:33]
	ds_load_b128 v[2:5], v1 offset:2000
	v_fma_f64 v[8:9], v[8:9], v[14:15], v[36:37]
	s_waitcnt vmcnt(0) lgkmcnt(0)
	v_mul_f64 v[24:25], v[2:3], v[20:21]
	v_mul_f64 v[20:21], v[4:5], v[20:21]
	v_fma_f64 v[6:7], v[6:7], v[14:15], -v[12:13]
	v_add_f64 v[10:11], v[16:17], v[10:11]
	v_add_f64 v[12:13], v[22:23], v[34:35]
	v_fma_f64 v[4:5], v[4:5], v[18:19], v[24:25]
	v_fma_f64 v[2:3], v[2:3], v[18:19], -v[20:21]
	s_delay_alu instid0(VALU_DEP_4) | instskip(NEXT) | instid1(VALU_DEP_4)
	v_add_f64 v[6:7], v[10:11], v[6:7]
	v_add_f64 v[8:9], v[12:13], v[8:9]
	s_delay_alu instid0(VALU_DEP_2) | instskip(NEXT) | instid1(VALU_DEP_2)
	v_add_f64 v[2:3], v[6:7], v[2:3]
	v_add_f64 v[4:5], v[8:9], v[4:5]
	s_delay_alu instid0(VALU_DEP_2) | instskip(NEXT) | instid1(VALU_DEP_2)
	v_add_f64 v[2:3], v[26:27], -v[2:3]
	v_add_f64 v[4:5], v[28:29], -v[4:5]
	scratch_store_b128 off, v[2:5], off offset:304
	v_cmpx_lt_u32_e32 18, v179
	s_cbranch_execz .LBB126_367
; %bb.366:
	scratch_load_b32 v2, off, off offset:1472 ; 4-byte Folded Reload
	v_mov_b32_e32 v3, v1
	v_mov_b32_e32 v4, v1
	s_waitcnt vmcnt(0)
	scratch_load_b128 v[5:8], v2, off
	v_mov_b32_e32 v2, v1
	scratch_store_b128 off, v[1:4], off offset:288
	s_waitcnt vmcnt(0)
	ds_store_b128 v244, v[5:8]
.LBB126_367:
	s_or_b32 exec_lo, exec_lo, s2
	s_waitcnt lgkmcnt(0)
	s_waitcnt_vscnt null, 0x0
	s_barrier
	buffer_gl0_inv
	s_clause 0x4
	scratch_load_b128 v[2:5], off, off offset:304
	scratch_load_b128 v[6:9], off, off offset:320
	;; [unrolled: 1-line block ×5, first 2 shown]
	ds_load_b128 v[22:25], v1 offset:1312
	ds_load_b128 v[26:29], v1 offset:1328
	scratch_load_b128 v[30:33], off, off offset:288
	s_mov_b32 s2, exec_lo
	s_waitcnt vmcnt(5) lgkmcnt(1)
	v_mul_f64 v[34:35], v[24:25], v[4:5]
	v_mul_f64 v[4:5], v[22:23], v[4:5]
	s_waitcnt vmcnt(4) lgkmcnt(0)
	v_mul_f64 v[36:37], v[26:27], v[8:9]
	v_mul_f64 v[8:9], v[28:29], v[8:9]
	s_delay_alu instid0(VALU_DEP_4) | instskip(NEXT) | instid1(VALU_DEP_4)
	v_fma_f64 v[22:23], v[22:23], v[2:3], -v[34:35]
	v_fma_f64 v[24:25], v[24:25], v[2:3], v[4:5]
	ds_load_b128 v[2:5], v1 offset:1344
	v_fma_f64 v[28:29], v[28:29], v[6:7], v[36:37]
	v_fma_f64 v[26:27], v[26:27], v[6:7], -v[8:9]
	ds_load_b128 v[6:9], v1 offset:1360
	s_waitcnt vmcnt(3) lgkmcnt(1)
	v_mul_f64 v[34:35], v[2:3], v[12:13]
	v_mul_f64 v[12:13], v[4:5], v[12:13]
	s_waitcnt vmcnt(2) lgkmcnt(0)
	v_mul_f64 v[36:37], v[6:7], v[16:17]
	s_delay_alu instid0(VALU_DEP_3) | instskip(NEXT) | instid1(VALU_DEP_3)
	v_fma_f64 v[34:35], v[4:5], v[10:11], v[34:35]
	v_fma_f64 v[38:39], v[2:3], v[10:11], -v[12:13]
	v_mul_f64 v[10:11], v[8:9], v[16:17]
	ds_load_b128 v[2:5], v1 offset:1376
	v_fma_f64 v[16:17], v[8:9], v[14:15], v[36:37]
	v_fma_f64 v[14:15], v[6:7], v[14:15], -v[10:11]
	ds_load_b128 v[6:9], v1 offset:1392
	s_waitcnt vmcnt(1) lgkmcnt(1)
	v_mul_f64 v[10:11], v[2:3], v[20:21]
	v_mul_f64 v[12:13], v[4:5], v[20:21]
	s_delay_alu instid0(VALU_DEP_2) | instskip(NEXT) | instid1(VALU_DEP_2)
	v_fma_f64 v[20:21], v[4:5], v[18:19], v[10:11]
	v_fma_f64 v[18:19], v[2:3], v[18:19], -v[12:13]
	s_clause 0x1
	scratch_load_b128 v[2:5], off, off offset:384
	scratch_load_b128 v[10:13], off, off offset:400
	s_waitcnt vmcnt(1) lgkmcnt(0)
	v_mul_f64 v[36:37], v[6:7], v[4:5]
	v_mul_f64 v[4:5], v[8:9], v[4:5]
	s_delay_alu instid0(VALU_DEP_2) | instskip(NEXT) | instid1(VALU_DEP_2)
	v_fma_f64 v[36:37], v[8:9], v[2:3], v[36:37]
	v_fma_f64 v[40:41], v[6:7], v[2:3], -v[4:5]
	ds_load_b128 v[2:5], v1 offset:1408
	ds_load_b128 v[6:9], v1 offset:1424
	s_waitcnt vmcnt(0) lgkmcnt(1)
	v_mul_f64 v[42:43], v[2:3], v[12:13]
	s_delay_alu instid0(VALU_DEP_1) | instskip(SKIP_1) | instid1(VALU_DEP_1)
	v_fma_f64 v[42:43], v[4:5], v[10:11], v[42:43]
	v_mul_f64 v[4:5], v[4:5], v[12:13]
	v_fma_f64 v[44:45], v[2:3], v[10:11], -v[4:5]
	s_clause 0x1
	scratch_load_b128 v[2:5], off, off offset:416
	scratch_load_b128 v[10:13], off, off offset:432
	s_waitcnt vmcnt(1) lgkmcnt(0)
	v_mul_f64 v[46:47], v[6:7], v[4:5]
	v_mul_f64 v[4:5], v[8:9], v[4:5]
	s_delay_alu instid0(VALU_DEP_2) | instskip(NEXT) | instid1(VALU_DEP_2)
	v_fma_f64 v[46:47], v[8:9], v[2:3], v[46:47]
	v_fma_f64 v[48:49], v[6:7], v[2:3], -v[4:5]
	ds_load_b128 v[2:5], v1 offset:1440
	ds_load_b128 v[6:9], v1 offset:1456
	s_waitcnt vmcnt(0) lgkmcnt(1)
	v_mul_f64 v[51:52], v[2:3], v[12:13]
	s_delay_alu instid0(VALU_DEP_1) | instskip(SKIP_1) | instid1(VALU_DEP_1)
	v_fma_f64 v[51:52], v[4:5], v[10:11], v[51:52]
	v_mul_f64 v[4:5], v[4:5], v[12:13]
	;; [unrolled: 17-line block ×18, first 2 shown]
	v_fma_f64 v[113:114], v[2:3], v[10:11], -v[4:5]
	v_add_f64 v[2:3], v[22:23], 0
	v_add_f64 v[4:5], v[24:25], 0
	s_delay_alu instid0(VALU_DEP_2) | instskip(NEXT) | instid1(VALU_DEP_2)
	v_add_f64 v[2:3], v[2:3], v[26:27]
	v_add_f64 v[4:5], v[4:5], v[28:29]
	s_delay_alu instid0(VALU_DEP_2) | instskip(NEXT) | instid1(VALU_DEP_2)
	;; [unrolled: 3-line block ×34, first 2 shown]
	v_add_f64 v[2:3], v[2:3], v[235:236]
	v_add_f64 v[10:11], v[4:5], v[233:234]
	s_delay_alu instid0(VALU_DEP_2)
	v_add_f64 v[12:13], v[2:3], v[240:241]
	scratch_load_b128 v[2:5], off, off offset:960
	v_add_f64 v[14:15], v[10:11], v[238:239]
	v_add_f64 v[16:17], v[12:13], v[245:246]
	scratch_load_b128 v[10:13], off, off offset:976
	v_add_f64 v[18:19], v[14:15], v[242:243]
	;; [unrolled: 3-line block ×3, first 2 shown]
	v_add_f64 v[20:21], v[20:21], v[254:255]
	s_delay_alu instid0(VALU_DEP_2) | instskip(NEXT) | instid1(VALU_DEP_2)
	v_add_f64 v[18:19], v[18:19], v[252:253]
	v_add_f64 v[28:29], v[20:21], v[109:110]
	s_delay_alu instid0(VALU_DEP_2)
	v_add_f64 v[34:35], v[18:19], v[107:108]
	ds_load_b128 v[18:21], v1 offset:1984
	ds_load_b128 v[22:25], v1 offset:2000
	s_waitcnt vmcnt(2) lgkmcnt(2)
	v_mul_f64 v[26:27], v[6:7], v[4:5]
	v_mul_f64 v[4:5], v[8:9], v[4:5]
	s_waitcnt vmcnt(1) lgkmcnt(1)
	v_mul_f64 v[36:37], v[18:19], v[12:13]
	s_delay_alu instid0(VALU_DEP_3) | instskip(NEXT) | instid1(VALU_DEP_3)
	v_fma_f64 v[8:9], v[8:9], v[2:3], v[26:27]
	v_fma_f64 v[1:2], v[6:7], v[2:3], -v[4:5]
	v_mul_f64 v[3:4], v[20:21], v[12:13]
	v_add_f64 v[5:6], v[28:29], v[113:114]
	v_add_f64 v[12:13], v[34:35], v[111:112]
	s_waitcnt vmcnt(0) lgkmcnt(0)
	v_mul_f64 v[26:27], v[22:23], v[16:17]
	v_mul_f64 v[16:17], v[24:25], v[16:17]
	v_fma_f64 v[20:21], v[20:21], v[10:11], v[36:37]
	v_fma_f64 v[3:4], v[18:19], v[10:11], -v[3:4]
	v_add_f64 v[1:2], v[5:6], v[1:2]
	v_add_f64 v[5:6], v[12:13], v[8:9]
	v_fma_f64 v[7:8], v[24:25], v[14:15], v[26:27]
	v_fma_f64 v[9:10], v[22:23], v[14:15], -v[16:17]
	s_delay_alu instid0(VALU_DEP_4) | instskip(NEXT) | instid1(VALU_DEP_4)
	v_add_f64 v[1:2], v[1:2], v[3:4]
	v_add_f64 v[3:4], v[5:6], v[20:21]
	s_delay_alu instid0(VALU_DEP_2) | instskip(NEXT) | instid1(VALU_DEP_2)
	v_add_f64 v[1:2], v[1:2], v[9:10]
	v_add_f64 v[3:4], v[3:4], v[7:8]
	s_delay_alu instid0(VALU_DEP_2) | instskip(NEXT) | instid1(VALU_DEP_2)
	v_add_f64 v[1:2], v[30:31], -v[1:2]
	v_add_f64 v[3:4], v[32:33], -v[3:4]
	scratch_store_b128 off, v[1:4], off offset:288
	v_cmpx_lt_u32_e32 17, v179
	s_cbranch_execz .LBB126_369
; %bb.368:
	scratch_load_b32 v1, off, off offset:1008 ; 4-byte Folded Reload
	v_mov_b32_e32 v5, 0
	s_delay_alu instid0(VALU_DEP_1)
	v_mov_b32_e32 v6, v5
	v_mov_b32_e32 v7, v5
	;; [unrolled: 1-line block ×3, first 2 shown]
	s_waitcnt vmcnt(0)
	scratch_load_b128 v[1:4], v1, off
	scratch_store_b128 off, v[5:8], off offset:272
	s_waitcnt vmcnt(0)
	ds_store_b128 v244, v[1:4]
.LBB126_369:
	s_or_b32 exec_lo, exec_lo, s2
	s_waitcnt lgkmcnt(0)
	s_waitcnt_vscnt null, 0x0
	s_barrier
	buffer_gl0_inv
	s_clause 0x4
	scratch_load_b128 v[2:5], off, off offset:288
	scratch_load_b128 v[6:9], off, off offset:304
	;; [unrolled: 1-line block ×5, first 2 shown]
	v_mov_b32_e32 v1, 0
	scratch_load_b128 v[26:29], off, off offset:272
	s_mov_b32 s2, exec_lo
	ds_load_b128 v[22:25], v1 offset:1296
	ds_load_b128 v[30:33], v1 offset:1312
	s_waitcnt vmcnt(5) lgkmcnt(1)
	v_mul_f64 v[34:35], v[24:25], v[4:5]
	v_mul_f64 v[4:5], v[22:23], v[4:5]
	s_waitcnt vmcnt(4) lgkmcnt(0)
	v_mul_f64 v[36:37], v[30:31], v[8:9]
	v_mul_f64 v[8:9], v[32:33], v[8:9]
	s_delay_alu instid0(VALU_DEP_4) | instskip(NEXT) | instid1(VALU_DEP_4)
	v_fma_f64 v[22:23], v[22:23], v[2:3], -v[34:35]
	v_fma_f64 v[24:25], v[24:25], v[2:3], v[4:5]
	ds_load_b128 v[2:5], v1 offset:1328
	v_fma_f64 v[32:33], v[32:33], v[6:7], v[36:37]
	v_fma_f64 v[30:31], v[30:31], v[6:7], -v[8:9]
	ds_load_b128 v[6:9], v1 offset:1344
	s_waitcnt vmcnt(3) lgkmcnt(1)
	v_mul_f64 v[34:35], v[2:3], v[12:13]
	v_mul_f64 v[12:13], v[4:5], v[12:13]
	s_waitcnt vmcnt(2) lgkmcnt(0)
	v_mul_f64 v[36:37], v[6:7], v[16:17]
	s_delay_alu instid0(VALU_DEP_3) | instskip(NEXT) | instid1(VALU_DEP_3)
	v_fma_f64 v[34:35], v[4:5], v[10:11], v[34:35]
	v_fma_f64 v[38:39], v[2:3], v[10:11], -v[12:13]
	v_mul_f64 v[10:11], v[8:9], v[16:17]
	ds_load_b128 v[2:5], v1 offset:1360
	v_fma_f64 v[16:17], v[8:9], v[14:15], v[36:37]
	v_fma_f64 v[14:15], v[6:7], v[14:15], -v[10:11]
	ds_load_b128 v[6:9], v1 offset:1376
	s_waitcnt vmcnt(1) lgkmcnt(1)
	v_mul_f64 v[10:11], v[2:3], v[20:21]
	v_mul_f64 v[12:13], v[4:5], v[20:21]
	s_delay_alu instid0(VALU_DEP_2) | instskip(NEXT) | instid1(VALU_DEP_2)
	v_fma_f64 v[20:21], v[4:5], v[18:19], v[10:11]
	v_fma_f64 v[18:19], v[2:3], v[18:19], -v[12:13]
	s_clause 0x1
	scratch_load_b128 v[2:5], off, off offset:368
	scratch_load_b128 v[10:13], off, off offset:384
	s_waitcnt vmcnt(1) lgkmcnt(0)
	v_mul_f64 v[36:37], v[6:7], v[4:5]
	v_mul_f64 v[4:5], v[8:9], v[4:5]
	s_delay_alu instid0(VALU_DEP_2) | instskip(NEXT) | instid1(VALU_DEP_2)
	v_fma_f64 v[36:37], v[8:9], v[2:3], v[36:37]
	v_fma_f64 v[40:41], v[6:7], v[2:3], -v[4:5]
	ds_load_b128 v[2:5], v1 offset:1392
	ds_load_b128 v[6:9], v1 offset:1408
	s_waitcnt vmcnt(0) lgkmcnt(1)
	v_mul_f64 v[42:43], v[2:3], v[12:13]
	s_delay_alu instid0(VALU_DEP_1) | instskip(SKIP_1) | instid1(VALU_DEP_1)
	v_fma_f64 v[42:43], v[4:5], v[10:11], v[42:43]
	v_mul_f64 v[4:5], v[4:5], v[12:13]
	v_fma_f64 v[44:45], v[2:3], v[10:11], -v[4:5]
	s_clause 0x1
	scratch_load_b128 v[2:5], off, off offset:400
	scratch_load_b128 v[10:13], off, off offset:416
	s_waitcnt vmcnt(1) lgkmcnt(0)
	v_mul_f64 v[46:47], v[6:7], v[4:5]
	v_mul_f64 v[4:5], v[8:9], v[4:5]
	s_delay_alu instid0(VALU_DEP_2) | instskip(NEXT) | instid1(VALU_DEP_2)
	v_fma_f64 v[46:47], v[8:9], v[2:3], v[46:47]
	v_fma_f64 v[48:49], v[6:7], v[2:3], -v[4:5]
	ds_load_b128 v[2:5], v1 offset:1424
	ds_load_b128 v[6:9], v1 offset:1440
	s_waitcnt vmcnt(0) lgkmcnt(1)
	v_mul_f64 v[51:52], v[2:3], v[12:13]
	s_delay_alu instid0(VALU_DEP_1) | instskip(SKIP_1) | instid1(VALU_DEP_1)
	v_fma_f64 v[51:52], v[4:5], v[10:11], v[51:52]
	v_mul_f64 v[4:5], v[4:5], v[12:13]
	;; [unrolled: 17-line block ×18, first 2 shown]
	v_fma_f64 v[254:255], v[2:3], v[10:11], -v[4:5]
	v_add_f64 v[2:3], v[22:23], 0
	v_add_f64 v[4:5], v[24:25], 0
	s_delay_alu instid0(VALU_DEP_2) | instskip(NEXT) | instid1(VALU_DEP_2)
	v_add_f64 v[2:3], v[2:3], v[30:31]
	v_add_f64 v[4:5], v[4:5], v[32:33]
	s_delay_alu instid0(VALU_DEP_2) | instskip(NEXT) | instid1(VALU_DEP_2)
	;; [unrolled: 3-line block ×34, first 2 shown]
	v_add_f64 v[2:3], v[2:3], v[227:228]
	v_add_f64 v[10:11], v[4:5], v[225:226]
	s_delay_alu instid0(VALU_DEP_2)
	v_add_f64 v[12:13], v[2:3], v[231:232]
	scratch_load_b128 v[2:5], off, off offset:944
	v_add_f64 v[14:15], v[10:11], v[229:230]
	v_add_f64 v[16:17], v[12:13], v[235:236]
	scratch_load_b128 v[10:13], off, off offset:960
	v_add_f64 v[18:19], v[14:15], v[233:234]
	;; [unrolled: 3-line block ×4, first 2 shown]
	v_add_f64 v[24:25], v[24:25], v[249:250]
	s_delay_alu instid0(VALU_DEP_2) | instskip(NEXT) | instid1(VALU_DEP_2)
	v_add_f64 v[22:23], v[22:23], v[247:248]
	v_add_f64 v[24:25], v[24:25], v[254:255]
	s_delay_alu instid0(VALU_DEP_2) | instskip(SKIP_3) | instid1(VALU_DEP_2)
	v_add_f64 v[22:23], v[22:23], v[252:253]
	s_waitcnt vmcnt(3) lgkmcnt(0)
	v_mul_f64 v[30:31], v[6:7], v[4:5]
	v_mul_f64 v[4:5], v[8:9], v[4:5]
	v_fma_f64 v[30:31], v[8:9], v[2:3], v[30:31]
	s_delay_alu instid0(VALU_DEP_2)
	v_fma_f64 v[32:33], v[6:7], v[2:3], -v[4:5]
	ds_load_b128 v[2:5], v1 offset:1968
	ds_load_b128 v[6:9], v1 offset:1984
	s_waitcnt vmcnt(2) lgkmcnt(1)
	v_mul_f64 v[34:35], v[2:3], v[12:13]
	v_mul_f64 v[12:13], v[4:5], v[12:13]
	s_waitcnt vmcnt(1) lgkmcnt(0)
	v_mul_f64 v[36:37], v[6:7], v[16:17]
	v_add_f64 v[22:23], v[22:23], v[30:31]
	s_delay_alu instid0(VALU_DEP_4) | instskip(NEXT) | instid1(VALU_DEP_4)
	v_fma_f64 v[34:35], v[4:5], v[10:11], v[34:35]
	v_fma_f64 v[10:11], v[2:3], v[10:11], -v[12:13]
	v_mul_f64 v[12:13], v[8:9], v[16:17]
	v_add_f64 v[16:17], v[24:25], v[32:33]
	ds_load_b128 v[2:5], v1 offset:2000
	v_fma_f64 v[8:9], v[8:9], v[14:15], v[36:37]
	s_waitcnt vmcnt(0) lgkmcnt(0)
	v_mul_f64 v[24:25], v[2:3], v[20:21]
	v_mul_f64 v[20:21], v[4:5], v[20:21]
	v_fma_f64 v[6:7], v[6:7], v[14:15], -v[12:13]
	v_add_f64 v[10:11], v[16:17], v[10:11]
	v_add_f64 v[12:13], v[22:23], v[34:35]
	v_fma_f64 v[4:5], v[4:5], v[18:19], v[24:25]
	v_fma_f64 v[2:3], v[2:3], v[18:19], -v[20:21]
	s_delay_alu instid0(VALU_DEP_4) | instskip(NEXT) | instid1(VALU_DEP_4)
	v_add_f64 v[6:7], v[10:11], v[6:7]
	v_add_f64 v[8:9], v[12:13], v[8:9]
	s_delay_alu instid0(VALU_DEP_2) | instskip(NEXT) | instid1(VALU_DEP_2)
	v_add_f64 v[2:3], v[6:7], v[2:3]
	v_add_f64 v[4:5], v[8:9], v[4:5]
	s_delay_alu instid0(VALU_DEP_2) | instskip(NEXT) | instid1(VALU_DEP_2)
	v_add_f64 v[2:3], v[26:27], -v[2:3]
	v_add_f64 v[4:5], v[28:29], -v[4:5]
	scratch_store_b128 off, v[2:5], off offset:272
	v_cmpx_lt_u32_e32 16, v179
	s_cbranch_execz .LBB126_371
; %bb.370:
	scratch_load_b32 v2, off, off offset:1012 ; 4-byte Folded Reload
	v_mov_b32_e32 v3, v1
	v_mov_b32_e32 v4, v1
	s_waitcnt vmcnt(0)
	scratch_load_b128 v[5:8], v2, off
	v_mov_b32_e32 v2, v1
	scratch_store_b128 off, v[1:4], off offset:256
	s_waitcnt vmcnt(0)
	ds_store_b128 v244, v[5:8]
.LBB126_371:
	s_or_b32 exec_lo, exec_lo, s2
	s_waitcnt lgkmcnt(0)
	s_waitcnt_vscnt null, 0x0
	s_barrier
	buffer_gl0_inv
	s_clause 0x4
	scratch_load_b128 v[2:5], off, off offset:272
	scratch_load_b128 v[6:9], off, off offset:288
	scratch_load_b128 v[10:13], off, off offset:304
	scratch_load_b128 v[14:17], off, off offset:320
	scratch_load_b128 v[18:21], off, off offset:336
	ds_load_b128 v[22:25], v1 offset:1280
	ds_load_b128 v[26:29], v1 offset:1296
	scratch_load_b128 v[30:33], off, off offset:256
	s_mov_b32 s2, exec_lo
	s_waitcnt vmcnt(5) lgkmcnt(1)
	v_mul_f64 v[34:35], v[24:25], v[4:5]
	v_mul_f64 v[4:5], v[22:23], v[4:5]
	s_waitcnt vmcnt(4) lgkmcnt(0)
	v_mul_f64 v[36:37], v[26:27], v[8:9]
	v_mul_f64 v[8:9], v[28:29], v[8:9]
	s_delay_alu instid0(VALU_DEP_4) | instskip(NEXT) | instid1(VALU_DEP_4)
	v_fma_f64 v[22:23], v[22:23], v[2:3], -v[34:35]
	v_fma_f64 v[24:25], v[24:25], v[2:3], v[4:5]
	ds_load_b128 v[2:5], v1 offset:1312
	v_fma_f64 v[28:29], v[28:29], v[6:7], v[36:37]
	v_fma_f64 v[26:27], v[26:27], v[6:7], -v[8:9]
	ds_load_b128 v[6:9], v1 offset:1328
	s_waitcnt vmcnt(3) lgkmcnt(1)
	v_mul_f64 v[34:35], v[2:3], v[12:13]
	v_mul_f64 v[12:13], v[4:5], v[12:13]
	s_waitcnt vmcnt(2) lgkmcnt(0)
	v_mul_f64 v[36:37], v[6:7], v[16:17]
	s_delay_alu instid0(VALU_DEP_3) | instskip(NEXT) | instid1(VALU_DEP_3)
	v_fma_f64 v[34:35], v[4:5], v[10:11], v[34:35]
	v_fma_f64 v[38:39], v[2:3], v[10:11], -v[12:13]
	v_mul_f64 v[10:11], v[8:9], v[16:17]
	ds_load_b128 v[2:5], v1 offset:1344
	v_fma_f64 v[16:17], v[8:9], v[14:15], v[36:37]
	v_fma_f64 v[14:15], v[6:7], v[14:15], -v[10:11]
	ds_load_b128 v[6:9], v1 offset:1360
	s_waitcnt vmcnt(1) lgkmcnt(1)
	v_mul_f64 v[10:11], v[2:3], v[20:21]
	v_mul_f64 v[12:13], v[4:5], v[20:21]
	s_delay_alu instid0(VALU_DEP_2) | instskip(NEXT) | instid1(VALU_DEP_2)
	v_fma_f64 v[20:21], v[4:5], v[18:19], v[10:11]
	v_fma_f64 v[18:19], v[2:3], v[18:19], -v[12:13]
	s_clause 0x1
	scratch_load_b128 v[2:5], off, off offset:352
	scratch_load_b128 v[10:13], off, off offset:368
	s_waitcnt vmcnt(1) lgkmcnt(0)
	v_mul_f64 v[36:37], v[6:7], v[4:5]
	v_mul_f64 v[4:5], v[8:9], v[4:5]
	s_delay_alu instid0(VALU_DEP_2) | instskip(NEXT) | instid1(VALU_DEP_2)
	v_fma_f64 v[36:37], v[8:9], v[2:3], v[36:37]
	v_fma_f64 v[40:41], v[6:7], v[2:3], -v[4:5]
	ds_load_b128 v[2:5], v1 offset:1376
	ds_load_b128 v[6:9], v1 offset:1392
	s_waitcnt vmcnt(0) lgkmcnt(1)
	v_mul_f64 v[42:43], v[2:3], v[12:13]
	s_delay_alu instid0(VALU_DEP_1) | instskip(SKIP_1) | instid1(VALU_DEP_1)
	v_fma_f64 v[42:43], v[4:5], v[10:11], v[42:43]
	v_mul_f64 v[4:5], v[4:5], v[12:13]
	v_fma_f64 v[44:45], v[2:3], v[10:11], -v[4:5]
	s_clause 0x1
	scratch_load_b128 v[2:5], off, off offset:384
	scratch_load_b128 v[10:13], off, off offset:400
	s_waitcnt vmcnt(1) lgkmcnt(0)
	v_mul_f64 v[46:47], v[6:7], v[4:5]
	v_mul_f64 v[4:5], v[8:9], v[4:5]
	s_delay_alu instid0(VALU_DEP_2) | instskip(NEXT) | instid1(VALU_DEP_2)
	v_fma_f64 v[46:47], v[8:9], v[2:3], v[46:47]
	v_fma_f64 v[48:49], v[6:7], v[2:3], -v[4:5]
	ds_load_b128 v[2:5], v1 offset:1408
	ds_load_b128 v[6:9], v1 offset:1424
	s_waitcnt vmcnt(0) lgkmcnt(1)
	v_mul_f64 v[51:52], v[2:3], v[12:13]
	s_delay_alu instid0(VALU_DEP_1) | instskip(SKIP_1) | instid1(VALU_DEP_1)
	v_fma_f64 v[51:52], v[4:5], v[10:11], v[51:52]
	v_mul_f64 v[4:5], v[4:5], v[12:13]
	;; [unrolled: 17-line block ×19, first 2 shown]
	v_fma_f64 v[121:122], v[2:3], v[10:11], -v[4:5]
	v_add_f64 v[2:3], v[22:23], 0
	v_add_f64 v[4:5], v[24:25], 0
	s_delay_alu instid0(VALU_DEP_2) | instskip(NEXT) | instid1(VALU_DEP_2)
	v_add_f64 v[2:3], v[2:3], v[26:27]
	v_add_f64 v[4:5], v[4:5], v[28:29]
	s_delay_alu instid0(VALU_DEP_2) | instskip(NEXT) | instid1(VALU_DEP_2)
	;; [unrolled: 3-line block ×36, first 2 shown]
	v_add_f64 v[2:3], v[2:3], v[235:236]
	v_add_f64 v[10:11], v[4:5], v[233:234]
	s_delay_alu instid0(VALU_DEP_2)
	v_add_f64 v[12:13], v[2:3], v[240:241]
	scratch_load_b128 v[2:5], off, off offset:960
	v_add_f64 v[14:15], v[10:11], v[238:239]
	v_add_f64 v[16:17], v[12:13], v[245:246]
	scratch_load_b128 v[10:13], off, off offset:976
	v_add_f64 v[18:19], v[14:15], v[242:243]
	;; [unrolled: 3-line block ×3, first 2 shown]
	v_add_f64 v[20:21], v[20:21], v[254:255]
	s_delay_alu instid0(VALU_DEP_2) | instskip(NEXT) | instid1(VALU_DEP_2)
	v_add_f64 v[18:19], v[18:19], v[252:253]
	v_add_f64 v[28:29], v[20:21], v[117:118]
	s_delay_alu instid0(VALU_DEP_2)
	v_add_f64 v[34:35], v[18:19], v[115:116]
	ds_load_b128 v[18:21], v1 offset:1984
	ds_load_b128 v[22:25], v1 offset:2000
	s_waitcnt vmcnt(2) lgkmcnt(2)
	v_mul_f64 v[26:27], v[6:7], v[4:5]
	v_mul_f64 v[4:5], v[8:9], v[4:5]
	s_waitcnt vmcnt(1) lgkmcnt(1)
	v_mul_f64 v[36:37], v[18:19], v[12:13]
	s_delay_alu instid0(VALU_DEP_3) | instskip(NEXT) | instid1(VALU_DEP_3)
	v_fma_f64 v[8:9], v[8:9], v[2:3], v[26:27]
	v_fma_f64 v[1:2], v[6:7], v[2:3], -v[4:5]
	v_mul_f64 v[3:4], v[20:21], v[12:13]
	v_add_f64 v[5:6], v[28:29], v[121:122]
	v_add_f64 v[12:13], v[34:35], v[119:120]
	s_waitcnt vmcnt(0) lgkmcnt(0)
	v_mul_f64 v[26:27], v[22:23], v[16:17]
	v_mul_f64 v[16:17], v[24:25], v[16:17]
	v_fma_f64 v[20:21], v[20:21], v[10:11], v[36:37]
	v_fma_f64 v[3:4], v[18:19], v[10:11], -v[3:4]
	v_add_f64 v[1:2], v[5:6], v[1:2]
	v_add_f64 v[5:6], v[12:13], v[8:9]
	v_fma_f64 v[7:8], v[24:25], v[14:15], v[26:27]
	v_fma_f64 v[9:10], v[22:23], v[14:15], -v[16:17]
	s_delay_alu instid0(VALU_DEP_4) | instskip(NEXT) | instid1(VALU_DEP_4)
	v_add_f64 v[1:2], v[1:2], v[3:4]
	v_add_f64 v[3:4], v[5:6], v[20:21]
	s_delay_alu instid0(VALU_DEP_2) | instskip(NEXT) | instid1(VALU_DEP_2)
	v_add_f64 v[1:2], v[1:2], v[9:10]
	v_add_f64 v[3:4], v[3:4], v[7:8]
	s_delay_alu instid0(VALU_DEP_2) | instskip(NEXT) | instid1(VALU_DEP_2)
	v_add_f64 v[1:2], v[30:31], -v[1:2]
	v_add_f64 v[3:4], v[32:33], -v[3:4]
	scratch_store_b128 off, v[1:4], off offset:256
	v_cmpx_lt_u32_e32 15, v179
	s_cbranch_execz .LBB126_373
; %bb.372:
	scratch_load_b32 v1, off, off offset:1016 ; 4-byte Folded Reload
	v_mov_b32_e32 v5, 0
	s_delay_alu instid0(VALU_DEP_1)
	v_mov_b32_e32 v6, v5
	v_mov_b32_e32 v7, v5
	;; [unrolled: 1-line block ×3, first 2 shown]
	s_waitcnt vmcnt(0)
	scratch_load_b128 v[1:4], v1, off
	scratch_store_b128 off, v[5:8], off offset:240
	s_waitcnt vmcnt(0)
	ds_store_b128 v244, v[1:4]
.LBB126_373:
	s_or_b32 exec_lo, exec_lo, s2
	s_waitcnt lgkmcnt(0)
	s_waitcnt_vscnt null, 0x0
	s_barrier
	buffer_gl0_inv
	s_clause 0x4
	scratch_load_b128 v[2:5], off, off offset:256
	scratch_load_b128 v[6:9], off, off offset:272
	;; [unrolled: 1-line block ×5, first 2 shown]
	v_mov_b32_e32 v1, 0
	scratch_load_b128 v[26:29], off, off offset:240
	s_mov_b32 s2, exec_lo
	ds_load_b128 v[22:25], v1 offset:1264
	ds_load_b128 v[30:33], v1 offset:1280
	s_waitcnt vmcnt(5) lgkmcnt(1)
	v_mul_f64 v[34:35], v[24:25], v[4:5]
	v_mul_f64 v[4:5], v[22:23], v[4:5]
	s_waitcnt vmcnt(4) lgkmcnt(0)
	v_mul_f64 v[36:37], v[30:31], v[8:9]
	v_mul_f64 v[8:9], v[32:33], v[8:9]
	s_delay_alu instid0(VALU_DEP_4) | instskip(NEXT) | instid1(VALU_DEP_4)
	v_fma_f64 v[22:23], v[22:23], v[2:3], -v[34:35]
	v_fma_f64 v[24:25], v[24:25], v[2:3], v[4:5]
	ds_load_b128 v[2:5], v1 offset:1296
	v_fma_f64 v[32:33], v[32:33], v[6:7], v[36:37]
	v_fma_f64 v[30:31], v[30:31], v[6:7], -v[8:9]
	ds_load_b128 v[6:9], v1 offset:1312
	s_waitcnt vmcnt(3) lgkmcnt(1)
	v_mul_f64 v[34:35], v[2:3], v[12:13]
	v_mul_f64 v[12:13], v[4:5], v[12:13]
	s_waitcnt vmcnt(2) lgkmcnt(0)
	v_mul_f64 v[36:37], v[6:7], v[16:17]
	s_delay_alu instid0(VALU_DEP_3) | instskip(NEXT) | instid1(VALU_DEP_3)
	v_fma_f64 v[34:35], v[4:5], v[10:11], v[34:35]
	v_fma_f64 v[38:39], v[2:3], v[10:11], -v[12:13]
	v_mul_f64 v[10:11], v[8:9], v[16:17]
	ds_load_b128 v[2:5], v1 offset:1328
	v_fma_f64 v[16:17], v[8:9], v[14:15], v[36:37]
	v_fma_f64 v[14:15], v[6:7], v[14:15], -v[10:11]
	ds_load_b128 v[6:9], v1 offset:1344
	s_waitcnt vmcnt(1) lgkmcnt(1)
	v_mul_f64 v[10:11], v[2:3], v[20:21]
	v_mul_f64 v[12:13], v[4:5], v[20:21]
	s_delay_alu instid0(VALU_DEP_2) | instskip(NEXT) | instid1(VALU_DEP_2)
	v_fma_f64 v[20:21], v[4:5], v[18:19], v[10:11]
	v_fma_f64 v[18:19], v[2:3], v[18:19], -v[12:13]
	s_clause 0x1
	scratch_load_b128 v[2:5], off, off offset:336
	scratch_load_b128 v[10:13], off, off offset:352
	s_waitcnt vmcnt(1) lgkmcnt(0)
	v_mul_f64 v[36:37], v[6:7], v[4:5]
	v_mul_f64 v[4:5], v[8:9], v[4:5]
	s_delay_alu instid0(VALU_DEP_2) | instskip(NEXT) | instid1(VALU_DEP_2)
	v_fma_f64 v[36:37], v[8:9], v[2:3], v[36:37]
	v_fma_f64 v[40:41], v[6:7], v[2:3], -v[4:5]
	ds_load_b128 v[2:5], v1 offset:1360
	ds_load_b128 v[6:9], v1 offset:1376
	s_waitcnt vmcnt(0) lgkmcnt(1)
	v_mul_f64 v[42:43], v[2:3], v[12:13]
	s_delay_alu instid0(VALU_DEP_1) | instskip(SKIP_1) | instid1(VALU_DEP_1)
	v_fma_f64 v[42:43], v[4:5], v[10:11], v[42:43]
	v_mul_f64 v[4:5], v[4:5], v[12:13]
	v_fma_f64 v[44:45], v[2:3], v[10:11], -v[4:5]
	s_clause 0x1
	scratch_load_b128 v[2:5], off, off offset:368
	scratch_load_b128 v[10:13], off, off offset:384
	s_waitcnt vmcnt(1) lgkmcnt(0)
	v_mul_f64 v[46:47], v[6:7], v[4:5]
	v_mul_f64 v[4:5], v[8:9], v[4:5]
	s_delay_alu instid0(VALU_DEP_2) | instskip(NEXT) | instid1(VALU_DEP_2)
	v_fma_f64 v[46:47], v[8:9], v[2:3], v[46:47]
	v_fma_f64 v[48:49], v[6:7], v[2:3], -v[4:5]
	ds_load_b128 v[2:5], v1 offset:1392
	ds_load_b128 v[6:9], v1 offset:1408
	s_waitcnt vmcnt(0) lgkmcnt(1)
	v_mul_f64 v[51:52], v[2:3], v[12:13]
	s_delay_alu instid0(VALU_DEP_1) | instskip(SKIP_1) | instid1(VALU_DEP_1)
	v_fma_f64 v[51:52], v[4:5], v[10:11], v[51:52]
	v_mul_f64 v[4:5], v[4:5], v[12:13]
	;; [unrolled: 17-line block ×19, first 2 shown]
	v_fma_f64 v[254:255], v[2:3], v[10:11], -v[4:5]
	v_add_f64 v[2:3], v[22:23], 0
	v_add_f64 v[4:5], v[24:25], 0
	s_delay_alu instid0(VALU_DEP_2) | instskip(NEXT) | instid1(VALU_DEP_2)
	v_add_f64 v[2:3], v[2:3], v[30:31]
	v_add_f64 v[4:5], v[4:5], v[32:33]
	s_delay_alu instid0(VALU_DEP_2) | instskip(NEXT) | instid1(VALU_DEP_2)
	;; [unrolled: 3-line block ×36, first 2 shown]
	v_add_f64 v[2:3], v[2:3], v[227:228]
	v_add_f64 v[10:11], v[4:5], v[225:226]
	s_delay_alu instid0(VALU_DEP_2)
	v_add_f64 v[12:13], v[2:3], v[231:232]
	scratch_load_b128 v[2:5], off, off offset:944
	v_add_f64 v[14:15], v[10:11], v[229:230]
	v_add_f64 v[16:17], v[12:13], v[235:236]
	scratch_load_b128 v[10:13], off, off offset:960
	v_add_f64 v[18:19], v[14:15], v[233:234]
	v_add_f64 v[20:21], v[16:17], v[240:241]
	scratch_load_b128 v[14:17], off, off offset:976
	v_add_f64 v[22:23], v[18:19], v[238:239]
	v_add_f64 v[24:25], v[20:21], v[245:246]
	scratch_load_b128 v[18:21], off, off offset:992
	v_add_f64 v[22:23], v[22:23], v[242:243]
	v_add_f64 v[24:25], v[24:25], v[249:250]
	s_delay_alu instid0(VALU_DEP_2) | instskip(NEXT) | instid1(VALU_DEP_2)
	v_add_f64 v[22:23], v[22:23], v[247:248]
	v_add_f64 v[24:25], v[24:25], v[254:255]
	s_delay_alu instid0(VALU_DEP_2) | instskip(SKIP_3) | instid1(VALU_DEP_2)
	v_add_f64 v[22:23], v[22:23], v[252:253]
	s_waitcnt vmcnt(3) lgkmcnt(0)
	v_mul_f64 v[30:31], v[6:7], v[4:5]
	v_mul_f64 v[4:5], v[8:9], v[4:5]
	v_fma_f64 v[30:31], v[8:9], v[2:3], v[30:31]
	s_delay_alu instid0(VALU_DEP_2)
	v_fma_f64 v[32:33], v[6:7], v[2:3], -v[4:5]
	ds_load_b128 v[2:5], v1 offset:1968
	ds_load_b128 v[6:9], v1 offset:1984
	s_waitcnt vmcnt(2) lgkmcnt(1)
	v_mul_f64 v[34:35], v[2:3], v[12:13]
	v_mul_f64 v[12:13], v[4:5], v[12:13]
	s_waitcnt vmcnt(1) lgkmcnt(0)
	v_mul_f64 v[36:37], v[6:7], v[16:17]
	v_add_f64 v[22:23], v[22:23], v[30:31]
	s_delay_alu instid0(VALU_DEP_4) | instskip(NEXT) | instid1(VALU_DEP_4)
	v_fma_f64 v[34:35], v[4:5], v[10:11], v[34:35]
	v_fma_f64 v[10:11], v[2:3], v[10:11], -v[12:13]
	v_mul_f64 v[12:13], v[8:9], v[16:17]
	v_add_f64 v[16:17], v[24:25], v[32:33]
	ds_load_b128 v[2:5], v1 offset:2000
	v_fma_f64 v[8:9], v[8:9], v[14:15], v[36:37]
	s_waitcnt vmcnt(0) lgkmcnt(0)
	v_mul_f64 v[24:25], v[2:3], v[20:21]
	v_mul_f64 v[20:21], v[4:5], v[20:21]
	v_fma_f64 v[6:7], v[6:7], v[14:15], -v[12:13]
	v_add_f64 v[10:11], v[16:17], v[10:11]
	v_add_f64 v[12:13], v[22:23], v[34:35]
	v_fma_f64 v[4:5], v[4:5], v[18:19], v[24:25]
	v_fma_f64 v[2:3], v[2:3], v[18:19], -v[20:21]
	s_delay_alu instid0(VALU_DEP_4) | instskip(NEXT) | instid1(VALU_DEP_4)
	v_add_f64 v[6:7], v[10:11], v[6:7]
	v_add_f64 v[8:9], v[12:13], v[8:9]
	s_delay_alu instid0(VALU_DEP_2) | instskip(NEXT) | instid1(VALU_DEP_2)
	v_add_f64 v[2:3], v[6:7], v[2:3]
	v_add_f64 v[4:5], v[8:9], v[4:5]
	s_delay_alu instid0(VALU_DEP_2) | instskip(NEXT) | instid1(VALU_DEP_2)
	v_add_f64 v[2:3], v[26:27], -v[2:3]
	v_add_f64 v[4:5], v[28:29], -v[4:5]
	scratch_store_b128 off, v[2:5], off offset:240
	v_cmpx_lt_u32_e32 14, v179
	s_cbranch_execz .LBB126_375
; %bb.374:
	scratch_load_b32 v2, off, off offset:1020 ; 4-byte Folded Reload
	v_mov_b32_e32 v3, v1
	v_mov_b32_e32 v4, v1
	s_waitcnt vmcnt(0)
	scratch_load_b128 v[5:8], v2, off
	v_mov_b32_e32 v2, v1
	scratch_store_b128 off, v[1:4], off offset:224
	s_waitcnt vmcnt(0)
	ds_store_b128 v244, v[5:8]
.LBB126_375:
	s_or_b32 exec_lo, exec_lo, s2
	s_waitcnt lgkmcnt(0)
	s_waitcnt_vscnt null, 0x0
	s_barrier
	buffer_gl0_inv
	s_clause 0x5
	scratch_load_b128 v[22:25], off, off offset:240
	scratch_load_b128 v[2:5], off, off offset:256
	;; [unrolled: 1-line block ×6, first 2 shown]
	ds_load_b128 v[26:29], v1 offset:1248
	s_mov_b32 s2, exec_lo
	s_waitcnt vmcnt(5) lgkmcnt(0)
	v_mul_f64 v[30:31], v[28:29], v[24:25]
	v_mul_f64 v[32:33], v[26:27], v[24:25]
	s_delay_alu instid0(VALU_DEP_2) | instskip(NEXT) | instid1(VALU_DEP_2)
	v_fma_f64 v[24:25], v[26:27], v[22:23], -v[30:31]
	v_fma_f64 v[22:23], v[28:29], v[22:23], v[32:33]
	ds_load_b128 v[26:29], v1 offset:1264
	s_waitcnt vmcnt(4) lgkmcnt(0)
	v_mul_f64 v[30:31], v[26:27], v[4:5]
	v_mul_f64 v[4:5], v[28:29], v[4:5]
	s_delay_alu instid0(VALU_DEP_2) | instskip(NEXT) | instid1(VALU_DEP_2)
	v_fma_f64 v[30:31], v[28:29], v[2:3], v[30:31]
	v_fma_f64 v[32:33], v[26:27], v[2:3], -v[4:5]
	ds_load_b128 v[2:5], v1 offset:1280
	s_waitcnt vmcnt(3) lgkmcnt(0)
	v_mul_f64 v[26:27], v[2:3], v[8:9]
	v_mul_f64 v[8:9], v[4:5], v[8:9]
	s_delay_alu instid0(VALU_DEP_2) | instskip(NEXT) | instid1(VALU_DEP_2)
	v_fma_f64 v[34:35], v[4:5], v[6:7], v[26:27]
	v_fma_f64 v[36:37], v[2:3], v[6:7], -v[8:9]
	;; [unrolled: 7-line block ×5, first 2 shown]
	scratch_load_b128 v[2:5], off, off offset:336
	ds_load_b128 v[6:9], v1 offset:1344
	s_waitcnt vmcnt(0) lgkmcnt(0)
	v_mul_f64 v[14:15], v[6:7], v[4:5]
	v_mul_f64 v[4:5], v[8:9], v[4:5]
	s_delay_alu instid0(VALU_DEP_2) | instskip(NEXT) | instid1(VALU_DEP_2)
	v_fma_f64 v[46:47], v[8:9], v[2:3], v[14:15]
	v_fma_f64 v[48:49], v[6:7], v[2:3], -v[4:5]
	scratch_load_b128 v[2:5], off, off offset:352
	ds_load_b128 v[6:9], v1 offset:1360
	s_waitcnt vmcnt(0) lgkmcnt(0)
	v_mul_f64 v[14:15], v[6:7], v[4:5]
	v_mul_f64 v[4:5], v[8:9], v[4:5]
	s_delay_alu instid0(VALU_DEP_2) | instskip(NEXT) | instid1(VALU_DEP_2)
	v_fma_f64 v[51:52], v[8:9], v[2:3], v[14:15]
	v_fma_f64 v[55:56], v[6:7], v[2:3], -v[4:5]
	;; [unrolled: 8-line block ×39, first 2 shown]
	v_add_f64 v[2:3], v[24:25], 0
	v_add_f64 v[4:5], v[22:23], 0
	scratch_load_b128 v[6:9], off, off offset:976
	v_add_f64 v[2:3], v[2:3], v[32:33]
	v_add_f64 v[4:5], v[4:5], v[30:31]
	s_delay_alu instid0(VALU_DEP_2) | instskip(NEXT) | instid1(VALU_DEP_2)
	v_add_f64 v[2:3], v[2:3], v[36:37]
	v_add_f64 v[4:5], v[4:5], v[34:35]
	s_delay_alu instid0(VALU_DEP_2) | instskip(NEXT) | instid1(VALU_DEP_2)
	v_add_f64 v[2:3], v[2:3], v[10:11]
	v_add_f64 v[4:5], v[4:5], v[12:13]
	scratch_load_b128 v[10:13], off, off offset:960
	v_add_f64 v[2:3], v[2:3], v[40:41]
	v_add_f64 v[4:5], v[4:5], v[38:39]
	s_delay_alu instid0(VALU_DEP_2) | instskip(NEXT) | instid1(VALU_DEP_2)
	v_add_f64 v[2:3], v[2:3], v[44:45]
	v_add_f64 v[4:5], v[4:5], v[42:43]
	s_delay_alu instid0(VALU_DEP_2) | instskip(NEXT) | instid1(VALU_DEP_2)
	;; [unrolled: 3-line block ×36, first 2 shown]
	v_add_f64 v[22:23], v[2:3], v[249:250]
	v_add_f64 v[30:31], v[4:5], v[247:248]
	scratch_load_b128 v[2:5], off, off offset:992
	v_add_f64 v[24:25], v[22:23], v[254:255]
	v_add_f64 v[22:23], v[30:31], v[252:253]
	scratch_load_b128 v[30:33], off, off offset:224
	v_add_f64 v[28:29], v[24:25], v[28:29]
	v_add_f64 v[26:27], v[22:23], v[26:27]
	ds_load_b128 v[22:25], v1 offset:1968
	v_add_f64 v[20:21], v[28:29], v[20:21]
	v_add_f64 v[18:19], v[26:27], v[18:19]
	s_delay_alu instid0(VALU_DEP_2) | instskip(NEXT) | instid1(VALU_DEP_2)
	v_add_f64 v[20:21], v[20:21], v[16:17]
	v_add_f64 v[18:19], v[18:19], v[14:15]
	ds_load_b128 v[14:17], v1 offset:2000
	s_waitcnt vmcnt(2) lgkmcnt(1)
	v_mul_f64 v[28:29], v[22:23], v[12:13]
	v_mul_f64 v[12:13], v[24:25], v[12:13]
	s_delay_alu instid0(VALU_DEP_2) | instskip(NEXT) | instid1(VALU_DEP_2)
	v_fma_f64 v[24:25], v[24:25], v[10:11], v[28:29]
	v_fma_f64 v[22:23], v[22:23], v[10:11], -v[12:13]
	ds_load_b128 v[10:13], v1 offset:1984
	s_waitcnt lgkmcnt(0)
	v_mul_f64 v[26:27], v[10:11], v[8:9]
	v_mul_f64 v[8:9], v[12:13], v[8:9]
	s_delay_alu instid0(VALU_DEP_2) | instskip(NEXT) | instid1(VALU_DEP_2)
	v_fma_f64 v[12:13], v[12:13], v[6:7], v[26:27]
	v_fma_f64 v[6:7], v[10:11], v[6:7], -v[8:9]
	v_add_f64 v[8:9], v[20:21], v[22:23]
	v_add_f64 v[10:11], v[18:19], v[24:25]
	s_waitcnt vmcnt(1)
	v_mul_f64 v[28:29], v[14:15], v[4:5]
	v_mul_f64 v[4:5], v[16:17], v[4:5]
	s_delay_alu instid0(VALU_DEP_2) | instskip(NEXT) | instid1(VALU_DEP_2)
	v_fma_f64 v[16:17], v[16:17], v[2:3], v[28:29]
	v_fma_f64 v[1:2], v[14:15], v[2:3], -v[4:5]
	v_add_f64 v[3:4], v[8:9], v[6:7]
	v_add_f64 v[5:6], v[10:11], v[12:13]
	s_delay_alu instid0(VALU_DEP_2) | instskip(NEXT) | instid1(VALU_DEP_2)
	v_add_f64 v[1:2], v[3:4], v[1:2]
	v_add_f64 v[3:4], v[5:6], v[16:17]
	s_waitcnt vmcnt(0)
	s_delay_alu instid0(VALU_DEP_2) | instskip(NEXT) | instid1(VALU_DEP_2)
	v_add_f64 v[1:2], v[30:31], -v[1:2]
	v_add_f64 v[3:4], v[32:33], -v[3:4]
	scratch_store_b128 off, v[1:4], off offset:224
	v_cmpx_lt_u32_e32 13, v179
	s_cbranch_execz .LBB126_377
; %bb.376:
	scratch_load_b32 v1, off, off offset:1024 ; 4-byte Folded Reload
	v_mov_b32_e32 v5, 0
	s_delay_alu instid0(VALU_DEP_1)
	v_mov_b32_e32 v6, v5
	v_mov_b32_e32 v7, v5
	;; [unrolled: 1-line block ×3, first 2 shown]
	s_waitcnt vmcnt(0)
	scratch_load_b128 v[1:4], v1, off
	scratch_store_b128 off, v[5:8], off offset:208
	s_waitcnt vmcnt(0)
	ds_store_b128 v244, v[1:4]
.LBB126_377:
	s_or_b32 exec_lo, exec_lo, s2
	s_waitcnt lgkmcnt(0)
	s_waitcnt_vscnt null, 0x0
	s_barrier
	buffer_gl0_inv
	s_clause 0x5
	scratch_load_b128 v[2:5], off, off offset:224
	scratch_load_b128 v[6:9], off, off offset:240
	;; [unrolled: 1-line block ×6, first 2 shown]
	v_mov_b32_e32 v1, 0
	s_mov_b32 s2, exec_lo
	ds_load_b128 v[26:29], v1 offset:1232
	s_waitcnt vmcnt(5) lgkmcnt(0)
	v_mul_f64 v[30:31], v[28:29], v[4:5]
	v_mul_f64 v[4:5], v[26:27], v[4:5]
	s_delay_alu instid0(VALU_DEP_2) | instskip(NEXT) | instid1(VALU_DEP_2)
	v_fma_f64 v[26:27], v[26:27], v[2:3], -v[30:31]
	v_fma_f64 v[28:29], v[28:29], v[2:3], v[4:5]
	ds_load_b128 v[2:5], v1 offset:1248
	s_waitcnt vmcnt(4) lgkmcnt(0)
	v_mul_f64 v[30:31], v[2:3], v[8:9]
	v_mul_f64 v[8:9], v[4:5], v[8:9]
	s_delay_alu instid0(VALU_DEP_2) | instskip(NEXT) | instid1(VALU_DEP_2)
	v_fma_f64 v[30:31], v[4:5], v[6:7], v[30:31]
	v_fma_f64 v[32:33], v[2:3], v[6:7], -v[8:9]
	ds_load_b128 v[2:5], v1 offset:1264
	s_waitcnt vmcnt(3) lgkmcnt(0)
	v_mul_f64 v[6:7], v[2:3], v[12:13]
	v_mul_f64 v[8:9], v[4:5], v[12:13]
	s_delay_alu instid0(VALU_DEP_2) | instskip(NEXT) | instid1(VALU_DEP_2)
	v_fma_f64 v[12:13], v[4:5], v[10:11], v[6:7]
	v_fma_f64 v[10:11], v[2:3], v[10:11], -v[8:9]
	;; [unrolled: 7-line block ×5, first 2 shown]
	scratch_load_b128 v[2:5], off, off offset:320
	ds_load_b128 v[6:9], v1 offset:1328
	s_waitcnt vmcnt(0) lgkmcnt(0)
	v_mul_f64 v[14:15], v[6:7], v[4:5]
	v_mul_f64 v[4:5], v[8:9], v[4:5]
	s_delay_alu instid0(VALU_DEP_2) | instskip(NEXT) | instid1(VALU_DEP_2)
	v_fma_f64 v[46:47], v[8:9], v[2:3], v[14:15]
	v_fma_f64 v[48:49], v[6:7], v[2:3], -v[4:5]
	scratch_load_b128 v[2:5], off, off offset:336
	ds_load_b128 v[6:9], v1 offset:1344
	s_waitcnt vmcnt(0) lgkmcnt(0)
	v_mul_f64 v[14:15], v[6:7], v[4:5]
	v_mul_f64 v[4:5], v[8:9], v[4:5]
	s_delay_alu instid0(VALU_DEP_2) | instskip(NEXT) | instid1(VALU_DEP_2)
	v_fma_f64 v[51:52], v[8:9], v[2:3], v[14:15]
	v_fma_f64 v[55:56], v[6:7], v[2:3], -v[4:5]
	scratch_load_b128 v[2:5], off, off offset:352
	ds_load_b128 v[6:9], v1 offset:1360
	s_waitcnt vmcnt(0) lgkmcnt(0)
	v_mul_f64 v[14:15], v[6:7], v[4:5]
	v_mul_f64 v[4:5], v[8:9], v[4:5]
	s_delay_alu instid0(VALU_DEP_2) | instskip(NEXT) | instid1(VALU_DEP_2)
	v_fma_f64 v[58:59], v[8:9], v[2:3], v[14:15]
	v_fma_f64 v[60:61], v[6:7], v[2:3], -v[4:5]
	scratch_load_b128 v[2:5], off, off offset:368
	ds_load_b128 v[6:9], v1 offset:1376
	s_waitcnt vmcnt(0) lgkmcnt(0)
	v_mul_f64 v[14:15], v[6:7], v[4:5]
	v_mul_f64 v[4:5], v[8:9], v[4:5]
	s_delay_alu instid0(VALU_DEP_2) | instskip(NEXT) | instid1(VALU_DEP_2)
	v_fma_f64 v[62:63], v[8:9], v[2:3], v[14:15]
	v_fma_f64 v[64:65], v[6:7], v[2:3], -v[4:5]
	scratch_load_b128 v[2:5], off, off offset:384
	ds_load_b128 v[6:9], v1 offset:1392
	s_waitcnt vmcnt(0) lgkmcnt(0)
	v_mul_f64 v[14:15], v[6:7], v[4:5]
	v_mul_f64 v[4:5], v[8:9], v[4:5]
	s_delay_alu instid0(VALU_DEP_2) | instskip(NEXT) | instid1(VALU_DEP_2)
	v_fma_f64 v[66:67], v[8:9], v[2:3], v[14:15]
	v_fma_f64 v[68:69], v[6:7], v[2:3], -v[4:5]
	scratch_load_b128 v[2:5], off, off offset:400
	ds_load_b128 v[6:9], v1 offset:1408
	s_waitcnt vmcnt(0) lgkmcnt(0)
	v_mul_f64 v[14:15], v[6:7], v[4:5]
	v_mul_f64 v[4:5], v[8:9], v[4:5]
	s_delay_alu instid0(VALU_DEP_2) | instskip(NEXT) | instid1(VALU_DEP_2)
	v_fma_f64 v[70:71], v[8:9], v[2:3], v[14:15]
	v_fma_f64 v[72:73], v[6:7], v[2:3], -v[4:5]
	scratch_load_b128 v[2:5], off, off offset:416
	ds_load_b128 v[6:9], v1 offset:1424
	s_waitcnt vmcnt(0) lgkmcnt(0)
	v_mul_f64 v[14:15], v[6:7], v[4:5]
	v_mul_f64 v[4:5], v[8:9], v[4:5]
	s_delay_alu instid0(VALU_DEP_2) | instskip(NEXT) | instid1(VALU_DEP_2)
	v_fma_f64 v[74:75], v[8:9], v[2:3], v[14:15]
	v_fma_f64 v[76:77], v[6:7], v[2:3], -v[4:5]
	scratch_load_b128 v[2:5], off, off offset:432
	ds_load_b128 v[6:9], v1 offset:1440
	s_waitcnt vmcnt(0) lgkmcnt(0)
	v_mul_f64 v[14:15], v[6:7], v[4:5]
	v_mul_f64 v[4:5], v[8:9], v[4:5]
	s_delay_alu instid0(VALU_DEP_2) | instskip(NEXT) | instid1(VALU_DEP_2)
	v_fma_f64 v[78:79], v[8:9], v[2:3], v[14:15]
	v_fma_f64 v[80:81], v[6:7], v[2:3], -v[4:5]
	scratch_load_b128 v[2:5], off, off offset:448
	ds_load_b128 v[6:9], v1 offset:1456
	s_waitcnt vmcnt(0) lgkmcnt(0)
	v_mul_f64 v[14:15], v[6:7], v[4:5]
	v_mul_f64 v[4:5], v[8:9], v[4:5]
	s_delay_alu instid0(VALU_DEP_2) | instskip(NEXT) | instid1(VALU_DEP_2)
	v_fma_f64 v[82:83], v[8:9], v[2:3], v[14:15]
	v_fma_f64 v[84:85], v[6:7], v[2:3], -v[4:5]
	scratch_load_b128 v[2:5], off, off offset:464
	ds_load_b128 v[6:9], v1 offset:1472
	s_waitcnt vmcnt(0) lgkmcnt(0)
	v_mul_f64 v[14:15], v[6:7], v[4:5]
	v_mul_f64 v[4:5], v[8:9], v[4:5]
	s_delay_alu instid0(VALU_DEP_2) | instskip(NEXT) | instid1(VALU_DEP_2)
	v_fma_f64 v[86:87], v[8:9], v[2:3], v[14:15]
	v_fma_f64 v[89:90], v[6:7], v[2:3], -v[4:5]
	scratch_load_b128 v[2:5], off, off offset:480
	ds_load_b128 v[6:9], v1 offset:1488
	s_waitcnt vmcnt(0) lgkmcnt(0)
	v_mul_f64 v[14:15], v[6:7], v[4:5]
	v_mul_f64 v[4:5], v[8:9], v[4:5]
	s_delay_alu instid0(VALU_DEP_2) | instskip(NEXT) | instid1(VALU_DEP_2)
	v_fma_f64 v[91:92], v[8:9], v[2:3], v[14:15]
	v_fma_f64 v[93:94], v[6:7], v[2:3], -v[4:5]
	scratch_load_b128 v[2:5], off, off offset:496
	ds_load_b128 v[6:9], v1 offset:1504
	s_waitcnt vmcnt(0) lgkmcnt(0)
	v_mul_f64 v[14:15], v[6:7], v[4:5]
	v_mul_f64 v[4:5], v[8:9], v[4:5]
	s_delay_alu instid0(VALU_DEP_2) | instskip(NEXT) | instid1(VALU_DEP_2)
	v_fma_f64 v[95:96], v[8:9], v[2:3], v[14:15]
	v_fma_f64 v[97:98], v[6:7], v[2:3], -v[4:5]
	scratch_load_b128 v[2:5], off, off offset:512
	ds_load_b128 v[6:9], v1 offset:1520
	s_waitcnt vmcnt(0) lgkmcnt(0)
	v_mul_f64 v[14:15], v[6:7], v[4:5]
	v_mul_f64 v[4:5], v[8:9], v[4:5]
	s_delay_alu instid0(VALU_DEP_2) | instskip(NEXT) | instid1(VALU_DEP_2)
	v_fma_f64 v[99:100], v[8:9], v[2:3], v[14:15]
	v_fma_f64 v[101:102], v[6:7], v[2:3], -v[4:5]
	scratch_load_b128 v[2:5], off, off offset:528
	ds_load_b128 v[6:9], v1 offset:1536
	s_waitcnt vmcnt(0) lgkmcnt(0)
	v_mul_f64 v[14:15], v[6:7], v[4:5]
	v_mul_f64 v[4:5], v[8:9], v[4:5]
	s_delay_alu instid0(VALU_DEP_2) | instskip(NEXT) | instid1(VALU_DEP_2)
	v_fma_f64 v[103:104], v[8:9], v[2:3], v[14:15]
	v_fma_f64 v[105:106], v[6:7], v[2:3], -v[4:5]
	scratch_load_b128 v[2:5], off, off offset:544
	ds_load_b128 v[6:9], v1 offset:1552
	s_waitcnt vmcnt(0) lgkmcnt(0)
	v_mul_f64 v[14:15], v[6:7], v[4:5]
	v_mul_f64 v[4:5], v[8:9], v[4:5]
	s_delay_alu instid0(VALU_DEP_2) | instskip(NEXT) | instid1(VALU_DEP_2)
	v_fma_f64 v[107:108], v[8:9], v[2:3], v[14:15]
	v_fma_f64 v[109:110], v[6:7], v[2:3], -v[4:5]
	scratch_load_b128 v[2:5], off, off offset:560
	ds_load_b128 v[6:9], v1 offset:1568
	s_waitcnt vmcnt(0) lgkmcnt(0)
	v_mul_f64 v[14:15], v[6:7], v[4:5]
	v_mul_f64 v[4:5], v[8:9], v[4:5]
	s_delay_alu instid0(VALU_DEP_2) | instskip(NEXT) | instid1(VALU_DEP_2)
	v_fma_f64 v[111:112], v[8:9], v[2:3], v[14:15]
	v_fma_f64 v[113:114], v[6:7], v[2:3], -v[4:5]
	scratch_load_b128 v[2:5], off, off offset:576
	ds_load_b128 v[6:9], v1 offset:1584
	s_waitcnt vmcnt(0) lgkmcnt(0)
	v_mul_f64 v[14:15], v[6:7], v[4:5]
	v_mul_f64 v[4:5], v[8:9], v[4:5]
	s_delay_alu instid0(VALU_DEP_2) | instskip(NEXT) | instid1(VALU_DEP_2)
	v_fma_f64 v[115:116], v[8:9], v[2:3], v[14:15]
	v_fma_f64 v[117:118], v[6:7], v[2:3], -v[4:5]
	scratch_load_b128 v[2:5], off, off offset:592
	ds_load_b128 v[6:9], v1 offset:1600
	s_waitcnt vmcnt(0) lgkmcnt(0)
	v_mul_f64 v[14:15], v[6:7], v[4:5]
	v_mul_f64 v[4:5], v[8:9], v[4:5]
	s_delay_alu instid0(VALU_DEP_2) | instskip(NEXT) | instid1(VALU_DEP_2)
	v_fma_f64 v[119:120], v[8:9], v[2:3], v[14:15]
	v_fma_f64 v[121:122], v[6:7], v[2:3], -v[4:5]
	scratch_load_b128 v[2:5], off, off offset:608
	ds_load_b128 v[6:9], v1 offset:1616
	s_waitcnt vmcnt(0) lgkmcnt(0)
	v_mul_f64 v[14:15], v[6:7], v[4:5]
	v_mul_f64 v[4:5], v[8:9], v[4:5]
	s_delay_alu instid0(VALU_DEP_2) | instskip(NEXT) | instid1(VALU_DEP_2)
	v_fma_f64 v[180:181], v[8:9], v[2:3], v[14:15]
	v_fma_f64 v[182:183], v[6:7], v[2:3], -v[4:5]
	scratch_load_b128 v[2:5], off, off offset:624
	ds_load_b128 v[6:9], v1 offset:1632
	s_waitcnt vmcnt(0) lgkmcnt(0)
	v_mul_f64 v[14:15], v[6:7], v[4:5]
	v_mul_f64 v[4:5], v[8:9], v[4:5]
	s_delay_alu instid0(VALU_DEP_2) | instskip(NEXT) | instid1(VALU_DEP_2)
	v_fma_f64 v[184:185], v[8:9], v[2:3], v[14:15]
	v_fma_f64 v[186:187], v[6:7], v[2:3], -v[4:5]
	scratch_load_b128 v[2:5], off, off offset:640
	ds_load_b128 v[6:9], v1 offset:1648
	s_waitcnt vmcnt(0) lgkmcnt(0)
	v_mul_f64 v[14:15], v[6:7], v[4:5]
	v_mul_f64 v[4:5], v[8:9], v[4:5]
	s_delay_alu instid0(VALU_DEP_2) | instskip(NEXT) | instid1(VALU_DEP_2)
	v_fma_f64 v[188:189], v[8:9], v[2:3], v[14:15]
	v_fma_f64 v[190:191], v[6:7], v[2:3], -v[4:5]
	scratch_load_b128 v[2:5], off, off offset:656
	ds_load_b128 v[6:9], v1 offset:1664
	s_waitcnt vmcnt(0) lgkmcnt(0)
	v_mul_f64 v[14:15], v[6:7], v[4:5]
	v_mul_f64 v[4:5], v[8:9], v[4:5]
	s_delay_alu instid0(VALU_DEP_2) | instskip(NEXT) | instid1(VALU_DEP_2)
	v_fma_f64 v[192:193], v[8:9], v[2:3], v[14:15]
	v_fma_f64 v[194:195], v[6:7], v[2:3], -v[4:5]
	scratch_load_b128 v[2:5], off, off offset:672
	ds_load_b128 v[6:9], v1 offset:1680
	s_waitcnt vmcnt(0) lgkmcnt(0)
	v_mul_f64 v[14:15], v[6:7], v[4:5]
	v_mul_f64 v[4:5], v[8:9], v[4:5]
	s_delay_alu instid0(VALU_DEP_2) | instskip(NEXT) | instid1(VALU_DEP_2)
	v_fma_f64 v[196:197], v[8:9], v[2:3], v[14:15]
	v_fma_f64 v[198:199], v[6:7], v[2:3], -v[4:5]
	scratch_load_b128 v[2:5], off, off offset:688
	ds_load_b128 v[6:9], v1 offset:1696
	s_waitcnt vmcnt(0) lgkmcnt(0)
	v_mul_f64 v[14:15], v[6:7], v[4:5]
	v_mul_f64 v[4:5], v[8:9], v[4:5]
	s_delay_alu instid0(VALU_DEP_2) | instskip(NEXT) | instid1(VALU_DEP_2)
	v_fma_f64 v[200:201], v[8:9], v[2:3], v[14:15]
	v_fma_f64 v[202:203], v[6:7], v[2:3], -v[4:5]
	scratch_load_b128 v[2:5], off, off offset:704
	ds_load_b128 v[6:9], v1 offset:1712
	s_waitcnt vmcnt(0) lgkmcnt(0)
	v_mul_f64 v[14:15], v[6:7], v[4:5]
	v_mul_f64 v[4:5], v[8:9], v[4:5]
	s_delay_alu instid0(VALU_DEP_2) | instskip(NEXT) | instid1(VALU_DEP_2)
	v_fma_f64 v[204:205], v[8:9], v[2:3], v[14:15]
	v_fma_f64 v[206:207], v[6:7], v[2:3], -v[4:5]
	scratch_load_b128 v[2:5], off, off offset:720
	ds_load_b128 v[6:9], v1 offset:1728
	s_waitcnt vmcnt(0) lgkmcnt(0)
	v_mul_f64 v[14:15], v[6:7], v[4:5]
	v_mul_f64 v[4:5], v[8:9], v[4:5]
	s_delay_alu instid0(VALU_DEP_2) | instskip(NEXT) | instid1(VALU_DEP_2)
	v_fma_f64 v[208:209], v[8:9], v[2:3], v[14:15]
	v_fma_f64 v[211:212], v[6:7], v[2:3], -v[4:5]
	scratch_load_b128 v[2:5], off, off offset:736
	ds_load_b128 v[6:9], v1 offset:1744
	s_waitcnt vmcnt(0) lgkmcnt(0)
	v_mul_f64 v[14:15], v[6:7], v[4:5]
	v_mul_f64 v[4:5], v[8:9], v[4:5]
	s_delay_alu instid0(VALU_DEP_2) | instskip(NEXT) | instid1(VALU_DEP_2)
	v_fma_f64 v[213:214], v[8:9], v[2:3], v[14:15]
	v_fma_f64 v[215:216], v[6:7], v[2:3], -v[4:5]
	scratch_load_b128 v[2:5], off, off offset:752
	ds_load_b128 v[6:9], v1 offset:1760
	s_waitcnt vmcnt(0) lgkmcnt(0)
	v_mul_f64 v[14:15], v[6:7], v[4:5]
	v_mul_f64 v[4:5], v[8:9], v[4:5]
	s_delay_alu instid0(VALU_DEP_2) | instskip(NEXT) | instid1(VALU_DEP_2)
	v_fma_f64 v[217:218], v[8:9], v[2:3], v[14:15]
	v_fma_f64 v[219:220], v[6:7], v[2:3], -v[4:5]
	scratch_load_b128 v[2:5], off, off offset:768
	ds_load_b128 v[6:9], v1 offset:1776
	s_waitcnt vmcnt(0) lgkmcnt(0)
	v_mul_f64 v[14:15], v[6:7], v[4:5]
	v_mul_f64 v[4:5], v[8:9], v[4:5]
	s_delay_alu instid0(VALU_DEP_2) | instskip(NEXT) | instid1(VALU_DEP_2)
	v_fma_f64 v[221:222], v[8:9], v[2:3], v[14:15]
	v_fma_f64 v[223:224], v[6:7], v[2:3], -v[4:5]
	scratch_load_b128 v[2:5], off, off offset:784
	ds_load_b128 v[6:9], v1 offset:1792
	s_waitcnt vmcnt(0) lgkmcnt(0)
	v_mul_f64 v[14:15], v[6:7], v[4:5]
	v_mul_f64 v[4:5], v[8:9], v[4:5]
	s_delay_alu instid0(VALU_DEP_2) | instskip(NEXT) | instid1(VALU_DEP_2)
	v_fma_f64 v[225:226], v[8:9], v[2:3], v[14:15]
	v_fma_f64 v[227:228], v[6:7], v[2:3], -v[4:5]
	scratch_load_b128 v[2:5], off, off offset:800
	ds_load_b128 v[6:9], v1 offset:1808
	s_waitcnt vmcnt(0) lgkmcnt(0)
	v_mul_f64 v[14:15], v[6:7], v[4:5]
	v_mul_f64 v[4:5], v[8:9], v[4:5]
	s_delay_alu instid0(VALU_DEP_2) | instskip(NEXT) | instid1(VALU_DEP_2)
	v_fma_f64 v[229:230], v[8:9], v[2:3], v[14:15]
	v_fma_f64 v[231:232], v[6:7], v[2:3], -v[4:5]
	scratch_load_b128 v[2:5], off, off offset:816
	ds_load_b128 v[6:9], v1 offset:1824
	s_waitcnt vmcnt(0) lgkmcnt(0)
	v_mul_f64 v[14:15], v[6:7], v[4:5]
	v_mul_f64 v[4:5], v[8:9], v[4:5]
	s_delay_alu instid0(VALU_DEP_2) | instskip(NEXT) | instid1(VALU_DEP_2)
	v_fma_f64 v[233:234], v[8:9], v[2:3], v[14:15]
	v_fma_f64 v[235:236], v[6:7], v[2:3], -v[4:5]
	scratch_load_b128 v[2:5], off, off offset:832
	ds_load_b128 v[6:9], v1 offset:1840
	s_waitcnt vmcnt(0) lgkmcnt(0)
	v_mul_f64 v[14:15], v[6:7], v[4:5]
	v_mul_f64 v[4:5], v[8:9], v[4:5]
	s_delay_alu instid0(VALU_DEP_2) | instskip(NEXT) | instid1(VALU_DEP_2)
	v_fma_f64 v[238:239], v[8:9], v[2:3], v[14:15]
	v_fma_f64 v[240:241], v[6:7], v[2:3], -v[4:5]
	scratch_load_b128 v[2:5], off, off offset:848
	ds_load_b128 v[6:9], v1 offset:1856
	s_waitcnt vmcnt(0) lgkmcnt(0)
	v_mul_f64 v[14:15], v[6:7], v[4:5]
	v_mul_f64 v[4:5], v[8:9], v[4:5]
	s_delay_alu instid0(VALU_DEP_2) | instskip(NEXT) | instid1(VALU_DEP_2)
	v_fma_f64 v[242:243], v[8:9], v[2:3], v[14:15]
	v_fma_f64 v[245:246], v[6:7], v[2:3], -v[4:5]
	scratch_load_b128 v[2:5], off, off offset:864
	ds_load_b128 v[6:9], v1 offset:1872
	s_waitcnt vmcnt(0) lgkmcnt(0)
	v_mul_f64 v[14:15], v[6:7], v[4:5]
	v_mul_f64 v[4:5], v[8:9], v[4:5]
	s_delay_alu instid0(VALU_DEP_2) | instskip(NEXT) | instid1(VALU_DEP_2)
	v_fma_f64 v[247:248], v[8:9], v[2:3], v[14:15]
	v_fma_f64 v[249:250], v[6:7], v[2:3], -v[4:5]
	scratch_load_b128 v[2:5], off, off offset:880
	ds_load_b128 v[6:9], v1 offset:1888
	s_waitcnt vmcnt(0) lgkmcnt(0)
	v_mul_f64 v[14:15], v[6:7], v[4:5]
	v_mul_f64 v[4:5], v[8:9], v[4:5]
	s_delay_alu instid0(VALU_DEP_2) | instskip(NEXT) | instid1(VALU_DEP_2)
	v_fma_f64 v[252:253], v[8:9], v[2:3], v[14:15]
	v_fma_f64 v[254:255], v[6:7], v[2:3], -v[4:5]
	scratch_load_b128 v[2:5], off, off offset:896
	ds_load_b128 v[6:9], v1 offset:1904
	s_waitcnt vmcnt(0) lgkmcnt(0)
	v_mul_f64 v[14:15], v[6:7], v[4:5]
	v_mul_f64 v[4:5], v[8:9], v[4:5]
	s_delay_alu instid0(VALU_DEP_2) | instskip(NEXT) | instid1(VALU_DEP_2)
	v_fma_f64 v[123:124], v[8:9], v[2:3], v[14:15]
	v_fma_f64 v[125:126], v[6:7], v[2:3], -v[4:5]
	scratch_load_b128 v[2:5], off, off offset:912
	ds_load_b128 v[6:9], v1 offset:1920
	s_waitcnt vmcnt(0) lgkmcnt(0)
	v_mul_f64 v[14:15], v[6:7], v[4:5]
	v_mul_f64 v[4:5], v[8:9], v[4:5]
	s_delay_alu instid0(VALU_DEP_2) | instskip(NEXT) | instid1(VALU_DEP_2)
	v_fma_f64 v[18:19], v[8:9], v[2:3], v[14:15]
	v_fma_f64 v[22:23], v[6:7], v[2:3], -v[4:5]
	scratch_load_b128 v[2:5], off, off offset:928
	ds_load_b128 v[6:9], v1 offset:1936
	s_waitcnt vmcnt(0) lgkmcnt(0)
	v_mul_f64 v[14:15], v[6:7], v[4:5]
	v_mul_f64 v[4:5], v[8:9], v[4:5]
	s_delay_alu instid0(VALU_DEP_2) | instskip(NEXT) | instid1(VALU_DEP_2)
	v_fma_f64 v[20:21], v[8:9], v[2:3], v[14:15]
	v_fma_f64 v[24:25], v[6:7], v[2:3], -v[4:5]
	scratch_load_b128 v[2:5], off, off offset:944
	ds_load_b128 v[6:9], v1 offset:1952
	s_waitcnt vmcnt(0) lgkmcnt(0)
	v_mul_f64 v[14:15], v[6:7], v[4:5]
	v_mul_f64 v[4:5], v[8:9], v[4:5]
	s_delay_alu instid0(VALU_DEP_2) | instskip(NEXT) | instid1(VALU_DEP_2)
	v_fma_f64 v[14:15], v[8:9], v[2:3], v[14:15]
	v_fma_f64 v[16:17], v[6:7], v[2:3], -v[4:5]
	v_add_f64 v[2:3], v[26:27], 0
	v_add_f64 v[4:5], v[28:29], 0
	scratch_load_b128 v[6:9], off, off offset:976
	v_add_f64 v[2:3], v[2:3], v[32:33]
	v_add_f64 v[4:5], v[4:5], v[30:31]
	s_delay_alu instid0(VALU_DEP_2) | instskip(NEXT) | instid1(VALU_DEP_2)
	v_add_f64 v[2:3], v[2:3], v[10:11]
	v_add_f64 v[4:5], v[4:5], v[12:13]
	scratch_load_b128 v[10:13], off, off offset:960
	v_add_f64 v[2:3], v[2:3], v[36:37]
	v_add_f64 v[4:5], v[4:5], v[34:35]
	s_delay_alu instid0(VALU_DEP_2) | instskip(NEXT) | instid1(VALU_DEP_2)
	v_add_f64 v[2:3], v[2:3], v[40:41]
	v_add_f64 v[4:5], v[4:5], v[38:39]
	s_delay_alu instid0(VALU_DEP_2) | instskip(NEXT) | instid1(VALU_DEP_2)
	;; [unrolled: 3-line block ×38, first 2 shown]
	v_add_f64 v[26:27], v[2:3], v[254:255]
	v_add_f64 v[30:31], v[4:5], v[252:253]
	scratch_load_b128 v[2:5], off, off offset:992
	v_add_f64 v[28:29], v[26:27], v[125:126]
	v_add_f64 v[26:27], v[30:31], v[123:124]
	scratch_load_b128 v[30:33], off, off offset:208
	v_add_f64 v[22:23], v[28:29], v[22:23]
	v_add_f64 v[18:19], v[26:27], v[18:19]
	ds_load_b128 v[26:29], v1 offset:1968
	v_add_f64 v[22:23], v[22:23], v[24:25]
	v_add_f64 v[18:19], v[18:19], v[20:21]
	s_delay_alu instid0(VALU_DEP_2) | instskip(NEXT) | instid1(VALU_DEP_2)
	v_add_f64 v[22:23], v[22:23], v[16:17]
	v_add_f64 v[18:19], v[18:19], v[14:15]
	ds_load_b128 v[14:17], v1 offset:2000
	s_waitcnt vmcnt(2) lgkmcnt(1)
	v_mul_f64 v[24:25], v[26:27], v[12:13]
	v_mul_f64 v[12:13], v[28:29], v[12:13]
	s_delay_alu instid0(VALU_DEP_2) | instskip(NEXT) | instid1(VALU_DEP_2)
	v_fma_f64 v[20:21], v[28:29], v[10:11], v[24:25]
	v_fma_f64 v[24:25], v[26:27], v[10:11], -v[12:13]
	ds_load_b128 v[10:13], v1 offset:1984
	s_waitcnt lgkmcnt(0)
	v_mul_f64 v[26:27], v[10:11], v[8:9]
	v_mul_f64 v[8:9], v[12:13], v[8:9]
	v_add_f64 v[18:19], v[18:19], v[20:21]
	s_delay_alu instid0(VALU_DEP_3) | instskip(NEXT) | instid1(VALU_DEP_3)
	v_fma_f64 v[12:13], v[12:13], v[6:7], v[26:27]
	v_fma_f64 v[6:7], v[10:11], v[6:7], -v[8:9]
	v_add_f64 v[10:11], v[22:23], v[24:25]
	s_waitcnt vmcnt(1)
	v_mul_f64 v[8:9], v[14:15], v[4:5]
	v_mul_f64 v[4:5], v[16:17], v[4:5]
	s_delay_alu instid0(VALU_DEP_2) | instskip(NEXT) | instid1(VALU_DEP_2)
	v_fma_f64 v[8:9], v[16:17], v[2:3], v[8:9]
	v_fma_f64 v[2:3], v[14:15], v[2:3], -v[4:5]
	v_add_f64 v[4:5], v[10:11], v[6:7]
	v_add_f64 v[6:7], v[18:19], v[12:13]
	s_delay_alu instid0(VALU_DEP_2) | instskip(NEXT) | instid1(VALU_DEP_2)
	v_add_f64 v[2:3], v[4:5], v[2:3]
	v_add_f64 v[4:5], v[6:7], v[8:9]
	s_waitcnt vmcnt(0)
	s_delay_alu instid0(VALU_DEP_2) | instskip(NEXT) | instid1(VALU_DEP_2)
	v_add_f64 v[2:3], v[30:31], -v[2:3]
	v_add_f64 v[4:5], v[32:33], -v[4:5]
	scratch_store_b128 off, v[2:5], off offset:208
	v_cmpx_lt_u32_e32 12, v179
	s_cbranch_execz .LBB126_379
; %bb.378:
	scratch_load_b32 v2, off, off offset:1028 ; 4-byte Folded Reload
	v_mov_b32_e32 v3, v1
	v_mov_b32_e32 v4, v1
	s_waitcnt vmcnt(0)
	scratch_load_b128 v[5:8], v2, off
	v_mov_b32_e32 v2, v1
	scratch_store_b128 off, v[1:4], off offset:192
	s_waitcnt vmcnt(0)
	ds_store_b128 v244, v[5:8]
.LBB126_379:
	s_or_b32 exec_lo, exec_lo, s2
	s_waitcnt lgkmcnt(0)
	s_waitcnt_vscnt null, 0x0
	s_barrier
	buffer_gl0_inv
	s_clause 0x8
	scratch_load_b128 v[34:37], off, off offset:208
	scratch_load_b128 v[38:41], off, off offset:224
	;; [unrolled: 1-line block ×9, first 2 shown]
	ds_load_b128 v[46:49], v1 offset:1216
	ds_load_b128 v[42:45], v1 offset:1232
	s_clause 0x1
	scratch_load_b128 v[2:5], off, off offset:192
	scratch_load_b128 v[58:61], off, off offset:352
	s_mov_b32 s2, exec_lo
	ds_load_b128 v[62:65], v1 offset:1264
	s_waitcnt vmcnt(10) lgkmcnt(2)
	v_mul_f64 v[51:52], v[48:49], v[36:37]
	v_mul_f64 v[36:37], v[46:47], v[36:37]
	s_waitcnt vmcnt(9) lgkmcnt(1)
	v_mul_f64 v[55:56], v[42:43], v[40:41]
	v_mul_f64 v[40:41], v[44:45], v[40:41]
	s_waitcnt vmcnt(7) lgkmcnt(0)
	v_mul_f64 v[70:71], v[64:65], v[28:29]
	v_fma_f64 v[51:52], v[46:47], v[34:35], -v[51:52]
	v_fma_f64 v[66:67], v[48:49], v[34:35], v[36:37]
	ds_load_b128 v[34:37], v1 offset:1248
	scratch_load_b128 v[46:49], off, off offset:368
	v_fma_f64 v[44:45], v[44:45], v[38:39], v[55:56]
	v_fma_f64 v[42:43], v[42:43], v[38:39], -v[40:41]
	scratch_load_b128 v[38:41], off, off offset:384
	s_waitcnt lgkmcnt(0)
	v_mul_f64 v[68:69], v[34:35], v[32:33]
	v_mul_f64 v[32:33], v[36:37], v[32:33]
	v_add_f64 v[51:52], v[51:52], 0
	v_add_f64 v[55:56], v[66:67], 0
	v_mul_f64 v[66:67], v[62:63], v[28:29]
	v_fma_f64 v[62:63], v[62:63], v[26:27], -v[70:71]
	v_fma_f64 v[36:37], v[36:37], v[30:31], v[68:69]
	v_fma_f64 v[68:69], v[34:35], v[30:31], -v[32:33]
	ds_load_b128 v[28:31], v1 offset:1280
	scratch_load_b128 v[32:35], off, off offset:400
	v_add_f64 v[51:52], v[51:52], v[42:43]
	v_add_f64 v[55:56], v[55:56], v[44:45]
	ds_load_b128 v[42:45], v1 offset:1296
	v_fma_f64 v[64:65], v[64:65], v[26:27], v[66:67]
	s_waitcnt vmcnt(9) lgkmcnt(1)
	v_mul_f64 v[72:73], v[28:29], v[24:25]
	v_mul_f64 v[74:75], v[30:31], v[24:25]
	scratch_load_b128 v[24:27], off, off offset:416
	s_waitcnt vmcnt(9) lgkmcnt(0)
	v_mul_f64 v[66:67], v[44:45], v[20:21]
	v_add_f64 v[51:52], v[51:52], v[68:69]
	v_add_f64 v[36:37], v[55:56], v[36:37]
	v_mul_f64 v[55:56], v[42:43], v[20:21]
	v_fma_f64 v[68:69], v[30:31], v[22:23], v[72:73]
	v_fma_f64 v[70:71], v[28:29], v[22:23], -v[74:75]
	ds_load_b128 v[20:23], v1 offset:1312
	scratch_load_b128 v[28:31], off, off offset:432
	v_fma_f64 v[42:43], v[42:43], v[18:19], -v[66:67]
	v_add_f64 v[51:52], v[51:52], v[62:63]
	v_add_f64 v[36:37], v[36:37], v[64:65]
	ds_load_b128 v[62:65], v1 offset:1328
	s_waitcnt vmcnt(9) lgkmcnt(1)
	v_mul_f64 v[72:73], v[20:21], v[16:17]
	v_mul_f64 v[74:75], v[22:23], v[16:17]
	v_fma_f64 v[44:45], v[44:45], v[18:19], v[55:56]
	scratch_load_b128 v[16:19], off, off offset:448
	s_waitcnt vmcnt(9) lgkmcnt(0)
	v_mul_f64 v[55:56], v[62:63], v[12:13]
	v_mul_f64 v[66:67], v[64:65], v[12:13]
	v_add_f64 v[51:52], v[51:52], v[70:71]
	v_add_f64 v[36:37], v[36:37], v[68:69]
	v_fma_f64 v[68:69], v[22:23], v[14:15], v[72:73]
	v_fma_f64 v[70:71], v[20:21], v[14:15], -v[74:75]
	ds_load_b128 v[12:15], v1 offset:1344
	scratch_load_b128 v[20:23], off, off offset:464
	v_fma_f64 v[55:56], v[64:65], v[10:11], v[55:56]
	v_fma_f64 v[62:63], v[62:63], v[10:11], -v[66:67]
	ds_load_b128 v[64:67], v1 offset:1392
	v_add_f64 v[51:52], v[51:52], v[42:43]
	v_add_f64 v[36:37], v[36:37], v[44:45]
	ds_load_b128 v[42:45], v1 offset:1360
	s_waitcnt vmcnt(9) lgkmcnt(2)
	v_mul_f64 v[72:73], v[12:13], v[8:9]
	v_mul_f64 v[74:75], v[14:15], v[8:9]
	scratch_load_b128 v[8:11], off, off offset:480
	v_add_f64 v[51:52], v[51:52], v[70:71]
	v_add_f64 v[36:37], v[36:37], v[68:69]
	s_waitcnt vmcnt(8) lgkmcnt(0)
	v_mul_f64 v[68:69], v[42:43], v[60:61]
	v_mul_f64 v[70:71], v[44:45], v[60:61]
	v_fma_f64 v[72:73], v[14:15], v[6:7], v[72:73]
	v_fma_f64 v[6:7], v[12:13], v[6:7], -v[74:75]
	ds_load_b128 v[12:15], v1 offset:1376
	v_add_f64 v[51:52], v[51:52], v[62:63]
	v_add_f64 v[36:37], v[36:37], v[55:56]
	scratch_load_b128 v[60:63], off, off offset:496
	v_fma_f64 v[68:69], v[44:45], v[58:59], v[68:69]
	v_fma_f64 v[58:59], v[42:43], v[58:59], -v[70:71]
	scratch_load_b128 v[42:45], off, off offset:512
	s_waitcnt vmcnt(9) lgkmcnt(0)
	v_mul_f64 v[55:56], v[12:13], v[48:49]
	v_mul_f64 v[48:49], v[14:15], v[48:49]
	v_add_f64 v[6:7], v[51:52], v[6:7]
	v_add_f64 v[36:37], v[36:37], v[72:73]
	s_waitcnt vmcnt(8)
	v_mul_f64 v[51:52], v[64:65], v[40:41]
	v_mul_f64 v[40:41], v[66:67], v[40:41]
	v_fma_f64 v[55:56], v[14:15], v[46:47], v[55:56]
	v_fma_f64 v[72:73], v[12:13], v[46:47], -v[48:49]
	ds_load_b128 v[12:15], v1 offset:1408
	scratch_load_b128 v[46:49], off, off offset:528
	v_add_f64 v[6:7], v[6:7], v[58:59]
	v_add_f64 v[36:37], v[36:37], v[68:69]
	ds_load_b128 v[68:71], v1 offset:1424
	s_waitcnt vmcnt(8) lgkmcnt(1)
	v_mul_f64 v[58:59], v[12:13], v[34:35]
	v_mul_f64 v[74:75], v[14:15], v[34:35]
	v_fma_f64 v[51:52], v[66:67], v[38:39], v[51:52]
	v_fma_f64 v[38:39], v[64:65], v[38:39], -v[40:41]
	ds_load_b128 v[64:67], v1 offset:1456
	v_add_f64 v[6:7], v[6:7], v[72:73]
	v_add_f64 v[40:41], v[36:37], v[55:56]
	scratch_load_b128 v[34:37], off, off offset:544
	s_waitcnt vmcnt(8) lgkmcnt(1)
	v_mul_f64 v[55:56], v[68:69], v[26:27]
	v_mul_f64 v[26:27], v[70:71], v[26:27]
	v_fma_f64 v[58:59], v[14:15], v[32:33], v[58:59]
	v_fma_f64 v[32:33], v[12:13], v[32:33], -v[74:75]
	ds_load_b128 v[12:15], v1 offset:1440
	s_waitcnt vmcnt(7) lgkmcnt(0)
	v_mul_f64 v[72:73], v[12:13], v[30:31]
	v_mul_f64 v[30:31], v[14:15], v[30:31]
	v_add_f64 v[6:7], v[6:7], v[38:39]
	v_add_f64 v[51:52], v[40:41], v[51:52]
	scratch_load_b128 v[38:41], off, off offset:560
	v_fma_f64 v[55:56], v[70:71], v[24:25], v[55:56]
	v_fma_f64 v[68:69], v[68:69], v[24:25], -v[26:27]
	scratch_load_b128 v[24:27], off, off offset:576
	v_add_f64 v[6:7], v[6:7], v[32:33]
	v_add_f64 v[32:33], v[51:52], v[58:59]
	s_waitcnt vmcnt(8)
	v_mul_f64 v[51:52], v[64:65], v[18:19]
	v_mul_f64 v[18:19], v[66:67], v[18:19]
	v_fma_f64 v[58:59], v[14:15], v[28:29], v[72:73]
	v_fma_f64 v[72:73], v[12:13], v[28:29], -v[30:31]
	ds_load_b128 v[12:15], v1 offset:1472
	scratch_load_b128 v[28:31], off, off offset:592
	v_add_f64 v[6:7], v[6:7], v[68:69]
	v_add_f64 v[32:33], v[32:33], v[55:56]
	ds_load_b128 v[68:71], v1 offset:1488
	s_waitcnt vmcnt(8) lgkmcnt(1)
	v_mul_f64 v[55:56], v[12:13], v[22:23]
	v_mul_f64 v[22:23], v[14:15], v[22:23]
	v_fma_f64 v[51:52], v[66:67], v[16:17], v[51:52]
	v_fma_f64 v[64:65], v[64:65], v[16:17], -v[18:19]
	scratch_load_b128 v[16:19], off, off offset:608
	v_add_f64 v[6:7], v[6:7], v[72:73]
	v_add_f64 v[32:33], v[32:33], v[58:59]
	s_waitcnt vmcnt(8) lgkmcnt(0)
	v_mul_f64 v[58:59], v[68:69], v[10:11]
	v_mul_f64 v[72:73], v[70:71], v[10:11]
	v_fma_f64 v[14:15], v[14:15], v[20:21], v[55:56]
	v_fma_f64 v[55:56], v[12:13], v[20:21], -v[22:23]
	ds_load_b128 v[10:13], v1 offset:1504
	scratch_load_b128 v[20:23], off, off offset:624
	v_add_f64 v[6:7], v[6:7], v[64:65]
	v_add_f64 v[32:33], v[32:33], v[51:52]
	ds_load_b128 v[64:67], v1 offset:1520
	v_fma_f64 v[58:59], v[70:71], v[8:9], v[58:59]
	v_fma_f64 v[68:69], v[68:69], v[8:9], -v[72:73]
	s_waitcnt vmcnt(8) lgkmcnt(1)
	v_mul_f64 v[51:52], v[10:11], v[62:63]
	v_mul_f64 v[62:63], v[12:13], v[62:63]
	v_add_f64 v[55:56], v[6:7], v[55:56]
	scratch_load_b128 v[6:9], off, off offset:640
	v_add_f64 v[14:15], v[32:33], v[14:15]
	s_waitcnt vmcnt(8) lgkmcnt(0)
	v_mul_f64 v[32:33], v[64:65], v[44:45]
	v_mul_f64 v[44:45], v[66:67], v[44:45]
	v_fma_f64 v[51:52], v[12:13], v[60:61], v[51:52]
	v_fma_f64 v[62:63], v[10:11], v[60:61], -v[62:63]
	ds_load_b128 v[10:13], v1 offset:1536
	v_add_f64 v[55:56], v[55:56], v[68:69]
	ds_load_b128 v[68:71], v1 offset:1552
	v_add_f64 v[14:15], v[14:15], v[58:59]
	scratch_load_b128 v[58:61], off, off offset:656
	s_waitcnt vmcnt(8) lgkmcnt(1)
	v_mul_f64 v[72:73], v[10:11], v[48:49]
	v_mul_f64 v[48:49], v[12:13], v[48:49]
	v_fma_f64 v[32:33], v[66:67], v[42:43], v[32:33]
	v_fma_f64 v[64:65], v[64:65], v[42:43], -v[44:45]
	scratch_load_b128 v[42:45], off, off offset:672
	v_add_f64 v[55:56], v[55:56], v[62:63]
	v_add_f64 v[14:15], v[14:15], v[51:52]
	v_fma_f64 v[66:67], v[12:13], v[46:47], v[72:73]
	v_fma_f64 v[72:73], v[10:11], v[46:47], -v[48:49]
	ds_load_b128 v[10:13], v1 offset:1568
	scratch_load_b128 v[46:49], off, off offset:688
	s_waitcnt vmcnt(9) lgkmcnt(1)
	v_mul_f64 v[51:52], v[68:69], v[36:37]
	v_mul_f64 v[36:37], v[70:71], v[36:37]
	v_add_f64 v[55:56], v[55:56], v[64:65]
	ds_load_b128 v[62:65], v1 offset:1584
	v_add_f64 v[14:15], v[14:15], v[32:33]
	s_waitcnt vmcnt(8) lgkmcnt(1)
	v_mul_f64 v[74:75], v[10:11], v[40:41]
	v_mul_f64 v[40:41], v[12:13], v[40:41]
	v_fma_f64 v[51:52], v[70:71], v[34:35], v[51:52]
	v_fma_f64 v[36:37], v[68:69], v[34:35], -v[36:37]
	scratch_load_b128 v[32:35], off, off offset:704
	s_waitcnt vmcnt(8) lgkmcnt(0)
	v_mul_f64 v[70:71], v[62:63], v[26:27]
	v_mul_f64 v[26:27], v[64:65], v[26:27]
	v_add_f64 v[55:56], v[55:56], v[72:73]
	v_add_f64 v[14:15], v[14:15], v[66:67]
	ds_load_b128 v[66:69], v1 offset:1616
	v_fma_f64 v[72:73], v[12:13], v[38:39], v[74:75]
	v_fma_f64 v[40:41], v[10:11], v[38:39], -v[40:41]
	ds_load_b128 v[10:13], v1 offset:1600
	v_fma_f64 v[64:65], v[64:65], v[24:25], v[70:71]
	v_fma_f64 v[62:63], v[62:63], v[24:25], -v[26:27]
	scratch_load_b128 v[24:27], off, off offset:736
	v_add_f64 v[55:56], v[55:56], v[36:37]
	scratch_load_b128 v[36:39], off, off offset:720
	v_add_f64 v[14:15], v[14:15], v[51:52]
	s_waitcnt vmcnt(9) lgkmcnt(0)
	v_mul_f64 v[51:52], v[10:11], v[30:31]
	v_mul_f64 v[30:31], v[12:13], v[30:31]
	v_add_f64 v[40:41], v[55:56], v[40:41]
	s_waitcnt vmcnt(8)
	v_mul_f64 v[55:56], v[66:67], v[18:19]
	v_add_f64 v[14:15], v[14:15], v[72:73]
	v_mul_f64 v[18:19], v[68:69], v[18:19]
	v_fma_f64 v[51:52], v[12:13], v[28:29], v[51:52]
	v_fma_f64 v[70:71], v[10:11], v[28:29], -v[30:31]
	ds_load_b128 v[10:13], v1 offset:1632
	scratch_load_b128 v[28:31], off, off offset:752
	v_add_f64 v[40:41], v[40:41], v[62:63]
	v_fma_f64 v[55:56], v[68:69], v[16:17], v[55:56]
	v_add_f64 v[14:15], v[14:15], v[64:65]
	ds_load_b128 v[62:65], v1 offset:1648
	s_waitcnt vmcnt(8) lgkmcnt(1)
	v_mul_f64 v[72:73], v[10:11], v[22:23]
	v_mul_f64 v[22:23], v[12:13], v[22:23]
	v_fma_f64 v[18:19], v[66:67], v[16:17], -v[18:19]
	ds_load_b128 v[66:69], v1 offset:1680
	v_add_f64 v[40:41], v[40:41], v[70:71]
	v_add_f64 v[51:52], v[14:15], v[51:52]
	scratch_load_b128 v[14:17], off, off offset:768
	v_fma_f64 v[12:13], v[12:13], v[20:21], v[72:73]
	v_fma_f64 v[22:23], v[10:11], v[20:21], -v[22:23]
	s_waitcnt vmcnt(8) lgkmcnt(1)
	v_mul_f64 v[70:71], v[62:63], v[8:9]
	v_mul_f64 v[74:75], v[64:65], v[8:9]
	ds_load_b128 v[8:11], v1 offset:1664
	v_add_f64 v[40:41], v[40:41], v[18:19]
	scratch_load_b128 v[18:21], off, off offset:784
	v_add_f64 v[51:52], v[51:52], v[55:56]
	v_fma_f64 v[64:65], v[64:65], v[6:7], v[70:71]
	v_fma_f64 v[6:7], v[62:63], v[6:7], -v[74:75]
	s_waitcnt vmcnt(8) lgkmcnt(0)
	v_mul_f64 v[55:56], v[8:9], v[60:61]
	v_mul_f64 v[72:73], v[10:11], v[60:61]
	scratch_load_b128 v[60:63], off, off offset:800
	v_add_f64 v[22:23], v[40:41], v[22:23]
	s_waitcnt vmcnt(8)
	v_mul_f64 v[40:41], v[66:67], v[44:45]
	v_add_f64 v[12:13], v[51:52], v[12:13]
	v_mul_f64 v[44:45], v[68:69], v[44:45]
	v_fma_f64 v[51:52], v[10:11], v[58:59], v[55:56]
	v_fma_f64 v[55:56], v[8:9], v[58:59], -v[72:73]
	ds_load_b128 v[70:73], v1 offset:1712
	v_add_f64 v[22:23], v[22:23], v[6:7]
	ds_load_b128 v[6:9], v1 offset:1696
	v_add_f64 v[58:59], v[12:13], v[64:65]
	scratch_load_b128 v[10:13], off, off offset:816
	v_fma_f64 v[68:69], v[68:69], v[42:43], v[40:41]
	v_fma_f64 v[44:45], v[66:67], v[42:43], -v[44:45]
	scratch_load_b128 v[40:43], off, off offset:832
	s_waitcnt vmcnt(9) lgkmcnt(0)
	v_mul_f64 v[64:65], v[6:7], v[48:49]
	v_mul_f64 v[48:49], v[8:9], v[48:49]
	v_add_f64 v[22:23], v[22:23], v[55:56]
	s_waitcnt vmcnt(8)
	v_mul_f64 v[55:56], v[70:71], v[34:35]
	v_add_f64 v[51:52], v[58:59], v[51:52]
	v_mul_f64 v[34:35], v[72:73], v[34:35]
	v_fma_f64 v[58:59], v[8:9], v[46:47], v[64:65]
	v_fma_f64 v[48:49], v[6:7], v[46:47], -v[48:49]
	ds_load_b128 v[6:9], v1 offset:1728
	ds_load_b128 v[64:67], v1 offset:1744
	v_add_f64 v[22:23], v[22:23], v[44:45]
	scratch_load_b128 v[44:47], off, off offset:848
	v_add_f64 v[51:52], v[51:52], v[68:69]
	v_fma_f64 v[55:56], v[72:73], v[32:33], v[55:56]
	v_fma_f64 v[70:71], v[70:71], v[32:33], -v[34:35]
	scratch_load_b128 v[32:35], off, off offset:864
	s_waitcnt vmcnt(8) lgkmcnt(1)
	v_mul_f64 v[68:69], v[6:7], v[38:39]
	v_mul_f64 v[38:39], v[8:9], v[38:39]
	v_add_f64 v[22:23], v[22:23], v[48:49]
	v_add_f64 v[48:49], v[51:52], v[58:59]
	s_waitcnt lgkmcnt(0)
	v_mul_f64 v[51:52], v[64:65], v[26:27]
	v_mul_f64 v[26:27], v[66:67], v[26:27]
	v_fma_f64 v[58:59], v[8:9], v[36:37], v[68:69]
	v_fma_f64 v[72:73], v[6:7], v[36:37], -v[38:39]
	ds_load_b128 v[6:9], v1 offset:1760
	scratch_load_b128 v[36:39], off, off offset:880
	v_add_f64 v[22:23], v[22:23], v[70:71]
	ds_load_b128 v[68:71], v1 offset:1776
	v_add_f64 v[48:49], v[48:49], v[55:56]
	s_waitcnt vmcnt(8) lgkmcnt(1)
	v_mul_f64 v[55:56], v[6:7], v[30:31]
	v_mul_f64 v[30:31], v[8:9], v[30:31]
	v_fma_f64 v[51:52], v[66:67], v[24:25], v[51:52]
	v_fma_f64 v[26:27], v[64:65], v[24:25], -v[26:27]
	v_add_f64 v[64:65], v[22:23], v[72:73]
	scratch_load_b128 v[22:25], off, off offset:896
	v_add_f64 v[48:49], v[48:49], v[58:59]
	v_fma_f64 v[55:56], v[8:9], v[28:29], v[55:56]
	v_fma_f64 v[30:31], v[6:7], v[28:29], -v[30:31]
	ds_load_b128 v[6:9], v1 offset:1792
	s_waitcnt vmcnt(8) lgkmcnt(1)
	v_mul_f64 v[58:59], v[68:69], v[16:17]
	v_mul_f64 v[16:17], v[70:71], v[16:17]
	v_add_f64 v[72:73], v[64:65], v[26:27]
	ds_load_b128 v[64:67], v1 offset:1808
	v_add_f64 v[48:49], v[48:49], v[51:52]
	scratch_load_b128 v[26:29], off, off offset:912
	s_waitcnt vmcnt(8) lgkmcnt(1)
	v_mul_f64 v[51:52], v[6:7], v[20:21]
	v_mul_f64 v[20:21], v[8:9], v[20:21]
	v_fma_f64 v[58:59], v[70:71], v[14:15], v[58:59]
	v_fma_f64 v[68:69], v[68:69], v[14:15], -v[16:17]
	scratch_load_b128 v[14:17], off, off offset:928
	v_add_f64 v[30:31], v[72:73], v[30:31]
	v_add_f64 v[48:49], v[48:49], v[55:56]
	s_waitcnt vmcnt(8) lgkmcnt(0)
	v_mul_f64 v[55:56], v[64:65], v[62:63]
	v_mul_f64 v[62:63], v[66:67], v[62:63]
	v_fma_f64 v[51:52], v[8:9], v[18:19], v[51:52]
	v_fma_f64 v[72:73], v[6:7], v[18:19], -v[20:21]
	ds_load_b128 v[6:9], v1 offset:1824
	scratch_load_b128 v[18:21], off, off offset:944
	v_add_f64 v[30:31], v[30:31], v[68:69]
	ds_load_b128 v[68:71], v1 offset:1840
	v_add_f64 v[48:49], v[48:49], v[58:59]
	v_fma_f64 v[55:56], v[66:67], v[60:61], v[55:56]
	v_fma_f64 v[62:63], v[64:65], v[60:61], -v[62:63]
	scratch_load_b128 v[58:61], off, off offset:960
	s_waitcnt vmcnt(9) lgkmcnt(1)
	v_mul_f64 v[74:75], v[6:7], v[12:13]
	v_mul_f64 v[12:13], v[8:9], v[12:13]
	v_add_f64 v[30:31], v[30:31], v[72:73]
	v_add_f64 v[48:49], v[48:49], v[51:52]
	s_waitcnt vmcnt(8) lgkmcnt(0)
	v_mul_f64 v[51:52], v[68:69], v[42:43]
	v_mul_f64 v[42:43], v[70:71], v[42:43]
	v_fma_f64 v[66:67], v[8:9], v[10:11], v[74:75]
	v_fma_f64 v[72:73], v[6:7], v[10:11], -v[12:13]
	ds_load_b128 v[6:9], v1 offset:1856
	scratch_load_b128 v[10:13], off, off offset:976
	v_add_f64 v[30:31], v[30:31], v[62:63]
	ds_load_b128 v[62:65], v1 offset:1872
	v_add_f64 v[48:49], v[48:49], v[55:56]
	v_fma_f64 v[51:52], v[70:71], v[40:41], v[51:52]
	v_fma_f64 v[68:69], v[68:69], v[40:41], -v[42:43]
	scratch_load_b128 v[40:43], off, off offset:992
	s_waitcnt vmcnt(9) lgkmcnt(1)
	v_mul_f64 v[55:56], v[6:7], v[46:47]
	v_mul_f64 v[46:47], v[8:9], v[46:47]
	v_add_f64 v[30:31], v[30:31], v[72:73]
	v_add_f64 v[48:49], v[48:49], v[66:67]
	s_waitcnt vmcnt(8) lgkmcnt(0)
	v_mul_f64 v[66:67], v[62:63], v[34:35]
	v_mul_f64 v[34:35], v[64:65], v[34:35]
	v_fma_f64 v[55:56], v[8:9], v[44:45], v[55:56]
	v_fma_f64 v[70:71], v[6:7], v[44:45], -v[46:47]
	ds_load_b128 v[6:9], v1 offset:1888
	ds_load_b128 v[44:47], v1 offset:1904
	v_add_f64 v[30:31], v[30:31], v[68:69]
	v_add_f64 v[48:49], v[48:49], v[51:52]
	s_waitcnt vmcnt(7) lgkmcnt(1)
	v_mul_f64 v[51:52], v[6:7], v[38:39]
	v_mul_f64 v[38:39], v[8:9], v[38:39]
	v_fma_f64 v[64:65], v[64:65], v[32:33], v[66:67]
	v_fma_f64 v[32:33], v[62:63], v[32:33], -v[34:35]
	v_add_f64 v[30:31], v[30:31], v[70:71]
	v_add_f64 v[34:35], v[48:49], v[55:56]
	v_fma_f64 v[51:52], v[8:9], v[36:37], v[51:52]
	v_fma_f64 v[36:37], v[6:7], v[36:37], -v[38:39]
	s_waitcnt vmcnt(6) lgkmcnt(0)
	v_mul_f64 v[48:49], v[44:45], v[24:25]
	v_mul_f64 v[24:25], v[46:47], v[24:25]
	v_add_f64 v[38:39], v[30:31], v[32:33]
	ds_load_b128 v[6:9], v1 offset:1920
	ds_load_b128 v[30:33], v1 offset:1936
	v_add_f64 v[34:35], v[34:35], v[64:65]
	v_fma_f64 v[46:47], v[46:47], v[22:23], v[48:49]
	v_fma_f64 v[22:23], v[44:45], v[22:23], -v[24:25]
	s_waitcnt vmcnt(5) lgkmcnt(1)
	v_mul_f64 v[55:56], v[6:7], v[28:29]
	v_mul_f64 v[28:29], v[8:9], v[28:29]
	v_add_f64 v[24:25], v[38:39], v[36:37]
	s_waitcnt vmcnt(4) lgkmcnt(0)
	v_mul_f64 v[36:37], v[30:31], v[16:17]
	v_add_f64 v[34:35], v[34:35], v[51:52]
	v_mul_f64 v[16:17], v[32:33], v[16:17]
	v_fma_f64 v[38:39], v[8:9], v[26:27], v[55:56]
	v_fma_f64 v[26:27], v[6:7], v[26:27], -v[28:29]
	v_add_f64 v[28:29], v[24:25], v[22:23]
	ds_load_b128 v[6:9], v1 offset:1952
	ds_load_b128 v[22:25], v1 offset:1968
	v_add_f64 v[34:35], v[34:35], v[46:47]
	v_fma_f64 v[32:33], v[32:33], v[14:15], v[36:37]
	v_fma_f64 v[14:15], v[30:31], v[14:15], -v[16:17]
	s_waitcnt vmcnt(3) lgkmcnt(1)
	v_mul_f64 v[44:45], v[6:7], v[20:21]
	v_mul_f64 v[20:21], v[8:9], v[20:21]
	s_waitcnt vmcnt(2) lgkmcnt(0)
	v_mul_f64 v[30:31], v[24:25], v[60:61]
	v_add_f64 v[16:17], v[28:29], v[26:27]
	v_mul_f64 v[28:29], v[22:23], v[60:61]
	v_add_f64 v[26:27], v[34:35], v[38:39]
	v_fma_f64 v[34:35], v[8:9], v[18:19], v[44:45]
	v_fma_f64 v[18:19], v[6:7], v[18:19], -v[20:21]
	v_fma_f64 v[22:23], v[22:23], v[58:59], -v[30:31]
	v_add_f64 v[20:21], v[16:17], v[14:15]
	ds_load_b128 v[6:9], v1 offset:1984
	ds_load_b128 v[14:17], v1 offset:2000
	v_add_f64 v[26:27], v[26:27], v[32:33]
	v_fma_f64 v[24:25], v[24:25], v[58:59], v[28:29]
	s_waitcnt vmcnt(1) lgkmcnt(1)
	v_mul_f64 v[32:33], v[6:7], v[12:13]
	v_mul_f64 v[12:13], v[8:9], v[12:13]
	s_waitcnt vmcnt(0) lgkmcnt(0)
	v_mul_f64 v[28:29], v[16:17], v[42:43]
	v_add_f64 v[18:19], v[20:21], v[18:19]
	v_add_f64 v[20:21], v[26:27], v[34:35]
	v_mul_f64 v[26:27], v[14:15], v[42:43]
	v_fma_f64 v[8:9], v[8:9], v[10:11], v[32:33]
	v_fma_f64 v[6:7], v[6:7], v[10:11], -v[12:13]
	v_fma_f64 v[14:15], v[14:15], v[40:41], -v[28:29]
	v_add_f64 v[10:11], v[18:19], v[22:23]
	v_add_f64 v[12:13], v[20:21], v[24:25]
	v_fma_f64 v[16:17], v[16:17], v[40:41], v[26:27]
	s_delay_alu instid0(VALU_DEP_3) | instskip(NEXT) | instid1(VALU_DEP_3)
	v_add_f64 v[6:7], v[10:11], v[6:7]
	v_add_f64 v[8:9], v[12:13], v[8:9]
	s_delay_alu instid0(VALU_DEP_2) | instskip(NEXT) | instid1(VALU_DEP_2)
	v_add_f64 v[6:7], v[6:7], v[14:15]
	v_add_f64 v[8:9], v[8:9], v[16:17]
	s_delay_alu instid0(VALU_DEP_2) | instskip(NEXT) | instid1(VALU_DEP_2)
	v_add_f64 v[1:2], v[2:3], -v[6:7]
	v_add_f64 v[3:4], v[4:5], -v[8:9]
	scratch_store_b128 off, v[1:4], off offset:192
	v_cmpx_lt_u32_e32 11, v179
	s_cbranch_execz .LBB126_381
; %bb.380:
	scratch_load_b32 v1, off, off offset:1032 ; 4-byte Folded Reload
	v_mov_b32_e32 v5, 0
	s_delay_alu instid0(VALU_DEP_1)
	v_mov_b32_e32 v6, v5
	v_mov_b32_e32 v7, v5
	;; [unrolled: 1-line block ×3, first 2 shown]
	s_waitcnt vmcnt(0)
	scratch_load_b128 v[1:4], v1, off
	scratch_store_b128 off, v[5:8], off offset:176
	s_waitcnt vmcnt(0)
	ds_store_b128 v244, v[1:4]
.LBB126_381:
	s_or_b32 exec_lo, exec_lo, s2
	s_waitcnt lgkmcnt(0)
	s_waitcnt_vscnt null, 0x0
	s_barrier
	buffer_gl0_inv
	s_clause 0x7
	scratch_load_b128 v[34:37], off, off offset:192
	scratch_load_b128 v[38:41], off, off offset:208
	;; [unrolled: 1-line block ×8, first 2 shown]
	v_mov_b32_e32 v1, 0
	s_mov_b32 s2, exec_lo
	ds_load_b128 v[46:49], v1 offset:1200
	s_clause 0x1
	scratch_load_b128 v[14:17], off, off offset:320
	scratch_load_b128 v[2:5], off, off offset:176
	ds_load_b128 v[42:45], v1 offset:1216
	scratch_load_b128 v[58:61], off, off offset:336
	ds_load_b128 v[62:65], v1 offset:1248
	s_waitcnt vmcnt(10) lgkmcnt(2)
	v_mul_f64 v[51:52], v[48:49], v[36:37]
	v_mul_f64 v[36:37], v[46:47], v[36:37]
	s_delay_alu instid0(VALU_DEP_2) | instskip(NEXT) | instid1(VALU_DEP_2)
	v_fma_f64 v[51:52], v[46:47], v[34:35], -v[51:52]
	v_fma_f64 v[66:67], v[48:49], v[34:35], v[36:37]
	ds_load_b128 v[34:37], v1 offset:1232
	s_waitcnt vmcnt(9) lgkmcnt(2)
	v_mul_f64 v[55:56], v[42:43], v[40:41]
	v_mul_f64 v[40:41], v[44:45], v[40:41]
	scratch_load_b128 v[46:49], off, off offset:352
	s_waitcnt vmcnt(9) lgkmcnt(0)
	v_mul_f64 v[68:69], v[34:35], v[32:33]
	v_mul_f64 v[32:33], v[36:37], v[32:33]
	v_add_f64 v[51:52], v[51:52], 0
	v_fma_f64 v[44:45], v[44:45], v[38:39], v[55:56]
	v_fma_f64 v[42:43], v[42:43], v[38:39], -v[40:41]
	v_add_f64 v[55:56], v[66:67], 0
	scratch_load_b128 v[38:41], off, off offset:368
	v_fma_f64 v[36:37], v[36:37], v[30:31], v[68:69]
	v_fma_f64 v[68:69], v[34:35], v[30:31], -v[32:33]
	scratch_load_b128 v[32:35], off, off offset:384
	v_add_f64 v[51:52], v[51:52], v[42:43]
	v_add_f64 v[55:56], v[55:56], v[44:45]
	ds_load_b128 v[42:45], v1 offset:1280
	s_waitcnt vmcnt(10)
	v_mul_f64 v[66:67], v[62:63], v[28:29]
	v_mul_f64 v[70:71], v[64:65], v[28:29]
	ds_load_b128 v[28:31], v1 offset:1264
	v_add_f64 v[51:52], v[51:52], v[68:69]
	v_add_f64 v[36:37], v[55:56], v[36:37]
	s_waitcnt vmcnt(8) lgkmcnt(1)
	v_mul_f64 v[55:56], v[42:43], v[20:21]
	v_fma_f64 v[64:65], v[64:65], v[26:27], v[66:67]
	v_fma_f64 v[62:63], v[62:63], v[26:27], -v[70:71]
	v_mul_f64 v[66:67], v[44:45], v[20:21]
	s_delay_alu instid0(VALU_DEP_4) | instskip(NEXT) | instid1(VALU_DEP_4)
	v_fma_f64 v[55:56], v[44:45], v[18:19], v[55:56]
	v_add_f64 v[36:37], v[36:37], v[64:65]
	s_delay_alu instid0(VALU_DEP_4)
	v_add_f64 v[51:52], v[51:52], v[62:63]
	ds_load_b128 v[62:65], v1 offset:1312
	s_waitcnt lgkmcnt(1)
	v_mul_f64 v[72:73], v[28:29], v[24:25]
	v_mul_f64 v[74:75], v[30:31], v[24:25]
	scratch_load_b128 v[24:27], off, off offset:400
	v_fma_f64 v[18:19], v[42:43], v[18:19], -v[66:67]
	scratch_load_b128 v[42:45], off, off offset:432
	v_fma_f64 v[68:69], v[30:31], v[22:23], v[72:73]
	v_fma_f64 v[70:71], v[28:29], v[22:23], -v[74:75]
	ds_load_b128 v[20:23], v1 offset:1296
	scratch_load_b128 v[28:31], off, off offset:416
	s_waitcnt vmcnt(9) lgkmcnt(1)
	v_mul_f64 v[74:75], v[64:65], v[8:9]
	v_add_f64 v[36:37], v[36:37], v[68:69]
	ds_load_b128 v[66:69], v1 offset:1344
	s_waitcnt lgkmcnt(1)
	v_mul_f64 v[72:73], v[20:21], v[12:13]
	v_mul_f64 v[12:13], v[22:23], v[12:13]
	v_add_f64 v[51:52], v[51:52], v[70:71]
	v_mul_f64 v[70:71], v[62:63], v[8:9]
	v_add_f64 v[36:37], v[36:37], v[55:56]
	v_fma_f64 v[22:23], v[22:23], v[10:11], v[72:73]
	v_fma_f64 v[12:13], v[20:21], v[10:11], -v[12:13]
	v_add_f64 v[51:52], v[51:52], v[18:19]
	ds_load_b128 v[8:11], v1 offset:1328
	scratch_load_b128 v[18:21], off, off offset:448
	v_fma_f64 v[70:71], v[64:65], v[6:7], v[70:71]
	v_fma_f64 v[6:7], v[62:63], v[6:7], -v[74:75]
	scratch_load_b128 v[62:65], off, off offset:464
	s_waitcnt vmcnt(10) lgkmcnt(0)
	v_mul_f64 v[55:56], v[8:9], v[16:17]
	v_mul_f64 v[16:17], v[10:11], v[16:17]
	v_add_f64 v[22:23], v[36:37], v[22:23]
	s_waitcnt vmcnt(8)
	v_mul_f64 v[36:37], v[66:67], v[60:61]
	v_add_f64 v[12:13], v[51:52], v[12:13]
	v_mul_f64 v[51:52], v[68:69], v[60:61]
	v_fma_f64 v[55:56], v[10:11], v[14:15], v[55:56]
	v_fma_f64 v[60:61], v[8:9], v[14:15], -v[16:17]
	ds_load_b128 v[14:17], v1 offset:1376
	v_add_f64 v[22:23], v[22:23], v[70:71]
	v_fma_f64 v[36:37], v[68:69], v[58:59], v[36:37]
	v_add_f64 v[72:73], v[12:13], v[6:7]
	scratch_load_b128 v[10:13], off, off offset:480
	ds_load_b128 v[6:9], v1 offset:1360
	v_fma_f64 v[51:52], v[66:67], v[58:59], -v[51:52]
	s_waitcnt vmcnt(8) lgkmcnt(0)
	v_mul_f64 v[70:71], v[6:7], v[48:49]
	v_mul_f64 v[48:49], v[8:9], v[48:49]
	v_add_f64 v[22:23], v[22:23], v[55:56]
	s_waitcnt vmcnt(7)
	v_mul_f64 v[55:56], v[14:15], v[40:41]
	v_add_f64 v[66:67], v[72:73], v[60:61]
	scratch_load_b128 v[58:61], off, off offset:496
	v_mul_f64 v[40:41], v[16:17], v[40:41]
	v_fma_f64 v[70:71], v[8:9], v[46:47], v[70:71]
	v_fma_f64 v[72:73], v[6:7], v[46:47], -v[48:49]
	scratch_load_b128 v[46:49], off, off offset:512
	ds_load_b128 v[6:9], v1 offset:1392
	v_add_f64 v[22:23], v[22:23], v[36:37]
	v_fma_f64 v[55:56], v[16:17], v[38:39], v[55:56]
	v_add_f64 v[51:52], v[66:67], v[51:52]
	ds_load_b128 v[66:69], v1 offset:1408
	v_fma_f64 v[38:39], v[14:15], v[38:39], -v[40:41]
	scratch_load_b128 v[14:17], off, off offset:528
	s_waitcnt vmcnt(9) lgkmcnt(1)
	v_mul_f64 v[36:37], v[6:7], v[34:35]
	v_mul_f64 v[34:35], v[8:9], v[34:35]
	v_add_f64 v[22:23], v[22:23], v[70:71]
	v_add_f64 v[40:41], v[51:52], v[72:73]
	s_delay_alu instid0(VALU_DEP_4) | instskip(NEXT) | instid1(VALU_DEP_4)
	v_fma_f64 v[70:71], v[8:9], v[32:33], v[36:37]
	v_fma_f64 v[72:73], v[6:7], v[32:33], -v[34:35]
	scratch_load_b128 v[32:35], off, off offset:544
	ds_load_b128 v[6:9], v1 offset:1424
	s_waitcnt vmcnt(9) lgkmcnt(1)
	v_mul_f64 v[51:52], v[66:67], v[26:27]
	v_mul_f64 v[26:27], v[68:69], v[26:27]
	v_add_f64 v[22:23], v[22:23], v[55:56]
	v_add_f64 v[40:41], v[40:41], v[38:39]
	ds_load_b128 v[36:39], v1 offset:1440
	v_fma_f64 v[51:52], v[68:69], v[24:25], v[51:52]
	s_waitcnt vmcnt(7) lgkmcnt(1)
	v_mul_f64 v[55:56], v[6:7], v[30:31]
	v_mul_f64 v[30:31], v[8:9], v[30:31]
	v_fma_f64 v[26:27], v[66:67], v[24:25], -v[26:27]
	v_add_f64 v[66:67], v[22:23], v[70:71]
	scratch_load_b128 v[22:25], off, off offset:560
	v_add_f64 v[40:41], v[40:41], v[72:73]
	s_waitcnt lgkmcnt(0)
	v_mul_f64 v[70:71], v[36:37], v[44:45]
	v_mul_f64 v[44:45], v[38:39], v[44:45]
	v_fma_f64 v[55:56], v[8:9], v[28:29], v[55:56]
	v_fma_f64 v[30:31], v[6:7], v[28:29], -v[30:31]
	ds_load_b128 v[6:9], v1 offset:1456
	v_add_f64 v[51:52], v[66:67], v[51:52]
	ds_load_b128 v[66:69], v1 offset:1472
	v_add_f64 v[40:41], v[40:41], v[26:27]
	scratch_load_b128 v[26:29], off, off offset:576
	v_fma_f64 v[70:71], v[38:39], v[42:43], v[70:71]
	v_fma_f64 v[42:43], v[36:37], v[42:43], -v[44:45]
	scratch_load_b128 v[36:39], off, off offset:592
	s_waitcnt vmcnt(9) lgkmcnt(1)
	v_mul_f64 v[72:73], v[6:7], v[20:21]
	v_mul_f64 v[20:21], v[8:9], v[20:21]
	s_waitcnt vmcnt(8) lgkmcnt(0)
	v_mul_f64 v[44:45], v[66:67], v[64:65]
	v_add_f64 v[30:31], v[40:41], v[30:31]
	v_add_f64 v[40:41], v[51:52], v[55:56]
	v_mul_f64 v[51:52], v[68:69], v[64:65]
	v_fma_f64 v[55:56], v[8:9], v[18:19], v[72:73]
	v_fma_f64 v[64:65], v[6:7], v[18:19], -v[20:21]
	scratch_load_b128 v[18:21], off, off offset:608
	ds_load_b128 v[6:9], v1 offset:1488
	v_fma_f64 v[44:45], v[68:69], v[62:63], v[44:45]
	v_add_f64 v[30:31], v[30:31], v[42:43]
	v_add_f64 v[70:71], v[40:41], v[70:71]
	ds_load_b128 v[40:43], v1 offset:1504
	v_fma_f64 v[51:52], v[66:67], v[62:63], -v[51:52]
	ds_load_b128 v[66:69], v1 offset:1536
	s_waitcnt vmcnt(8) lgkmcnt(2)
	v_mul_f64 v[72:73], v[6:7], v[12:13]
	v_mul_f64 v[12:13], v[8:9], v[12:13]
	v_add_f64 v[30:31], v[30:31], v[64:65]
	v_add_f64 v[55:56], v[70:71], v[55:56]
	scratch_load_b128 v[62:65], off, off offset:624
	s_waitcnt vmcnt(8) lgkmcnt(1)
	v_mul_f64 v[70:71], v[40:41], v[60:61]
	v_mul_f64 v[60:61], v[42:43], v[60:61]
	v_fma_f64 v[72:73], v[8:9], v[10:11], v[72:73]
	v_fma_f64 v[74:75], v[6:7], v[10:11], -v[12:13]
	scratch_load_b128 v[10:13], off, off offset:640
	ds_load_b128 v[6:9], v1 offset:1520
	v_add_f64 v[30:31], v[30:31], v[51:52]
	v_add_f64 v[44:45], v[55:56], v[44:45]
	s_waitcnt vmcnt(8) lgkmcnt(0)
	v_mul_f64 v[51:52], v[6:7], v[48:49]
	v_mul_f64 v[48:49], v[8:9], v[48:49]
	v_fma_f64 v[55:56], v[42:43], v[58:59], v[70:71]
	v_fma_f64 v[58:59], v[40:41], v[58:59], -v[60:61]
	scratch_load_b128 v[40:43], off, off offset:656
	s_waitcnt vmcnt(8)
	v_mul_f64 v[70:71], v[66:67], v[16:17]
	v_mul_f64 v[16:17], v[68:69], v[16:17]
	v_add_f64 v[30:31], v[30:31], v[74:75]
	v_add_f64 v[44:45], v[44:45], v[72:73]
	v_fma_f64 v[51:52], v[8:9], v[46:47], v[51:52]
	v_fma_f64 v[48:49], v[6:7], v[46:47], -v[48:49]
	ds_load_b128 v[6:9], v1 offset:1552
	v_fma_f64 v[68:69], v[68:69], v[14:15], v[70:71]
	v_fma_f64 v[66:67], v[66:67], v[14:15], -v[16:17]
	scratch_load_b128 v[14:17], off, off offset:688
	v_add_f64 v[30:31], v[30:31], v[58:59]
	v_add_f64 v[55:56], v[44:45], v[55:56]
	scratch_load_b128 v[44:47], off, off offset:672
	ds_load_b128 v[58:61], v1 offset:1568
	s_waitcnt vmcnt(9) lgkmcnt(1)
	v_mul_f64 v[72:73], v[6:7], v[34:35]
	v_mul_f64 v[34:35], v[8:9], v[34:35]
	v_add_f64 v[30:31], v[30:31], v[48:49]
	v_add_f64 v[48:49], v[55:56], v[51:52]
	s_delay_alu instid0(VALU_DEP_4) | instskip(NEXT) | instid1(VALU_DEP_4)
	v_fma_f64 v[55:56], v[8:9], v[32:33], v[72:73]
	v_fma_f64 v[34:35], v[6:7], v[32:33], -v[34:35]
	ds_load_b128 v[6:9], v1 offset:1584
	s_waitcnt vmcnt(8) lgkmcnt(1)
	v_mul_f64 v[51:52], v[58:59], v[24:25]
	v_mul_f64 v[24:25], v[60:61], v[24:25]
	v_add_f64 v[70:71], v[30:31], v[66:67]
	v_add_f64 v[48:49], v[48:49], v[68:69]
	ds_load_b128 v[66:69], v1 offset:1600
	scratch_load_b128 v[30:33], off, off offset:704
	v_fma_f64 v[51:52], v[60:61], v[22:23], v[51:52]
	v_fma_f64 v[58:59], v[58:59], v[22:23], -v[24:25]
	s_waitcnt vmcnt(8) lgkmcnt(1)
	v_mul_f64 v[72:73], v[6:7], v[28:29]
	v_mul_f64 v[28:29], v[8:9], v[28:29]
	scratch_load_b128 v[22:25], off, off offset:720
	v_add_f64 v[34:35], v[70:71], v[34:35]
	v_add_f64 v[48:49], v[48:49], v[55:56]
	s_waitcnt vmcnt(8) lgkmcnt(0)
	v_mul_f64 v[55:56], v[66:67], v[38:39]
	v_mul_f64 v[38:39], v[68:69], v[38:39]
	v_fma_f64 v[70:71], v[8:9], v[26:27], v[72:73]
	v_fma_f64 v[72:73], v[6:7], v[26:27], -v[28:29]
	scratch_load_b128 v[26:29], off, off offset:736
	ds_load_b128 v[6:9], v1 offset:1616
	v_add_f64 v[34:35], v[34:35], v[58:59]
	ds_load_b128 v[58:61], v1 offset:1632
	v_add_f64 v[48:49], v[48:49], v[51:52]
	s_waitcnt vmcnt(8) lgkmcnt(1)
	v_mul_f64 v[51:52], v[6:7], v[20:21]
	v_mul_f64 v[20:21], v[8:9], v[20:21]
	v_fma_f64 v[55:56], v[68:69], v[36:37], v[55:56]
	v_fma_f64 v[38:39], v[66:67], v[36:37], -v[38:39]
	v_add_f64 v[66:67], v[34:35], v[72:73]
	scratch_load_b128 v[34:37], off, off offset:752
	v_add_f64 v[48:49], v[48:49], v[70:71]
	v_fma_f64 v[51:52], v[8:9], v[18:19], v[51:52]
	v_fma_f64 v[72:73], v[6:7], v[18:19], -v[20:21]
	scratch_load_b128 v[18:21], off, off offset:768
	ds_load_b128 v[6:9], v1 offset:1648
	s_waitcnt vmcnt(9) lgkmcnt(1)
	v_mul_f64 v[68:69], v[58:59], v[64:65]
	v_mul_f64 v[70:71], v[60:61], v[64:65]
	v_add_f64 v[38:39], v[66:67], v[38:39]
	ds_load_b128 v[64:67], v1 offset:1664
	v_add_f64 v[48:49], v[48:49], v[55:56]
	s_waitcnt vmcnt(8) lgkmcnt(1)
	v_mul_f64 v[55:56], v[6:7], v[12:13]
	v_mul_f64 v[12:13], v[8:9], v[12:13]
	v_fma_f64 v[68:69], v[60:61], v[62:63], v[68:69]
	v_fma_f64 v[62:63], v[58:59], v[62:63], -v[70:71]
	scratch_load_b128 v[58:61], off, off offset:784
	v_add_f64 v[38:39], v[38:39], v[72:73]
	v_add_f64 v[48:49], v[48:49], v[51:52]
	s_waitcnt vmcnt(8) lgkmcnt(0)
	v_mul_f64 v[51:52], v[64:65], v[42:43]
	v_mul_f64 v[42:43], v[66:67], v[42:43]
	v_fma_f64 v[55:56], v[8:9], v[10:11], v[55:56]
	v_fma_f64 v[72:73], v[6:7], v[10:11], -v[12:13]
	scratch_load_b128 v[10:13], off, off offset:800
	ds_load_b128 v[6:9], v1 offset:1680
	v_add_f64 v[38:39], v[38:39], v[62:63]
	v_add_f64 v[48:49], v[48:49], v[68:69]
	ds_load_b128 v[68:71], v1 offset:1696
	v_fma_f64 v[51:52], v[66:67], v[40:41], v[51:52]
	v_fma_f64 v[42:43], v[64:65], v[40:41], -v[42:43]
	s_waitcnt vmcnt(7) lgkmcnt(1)
	v_mul_f64 v[62:63], v[6:7], v[46:47]
	v_mul_f64 v[46:47], v[8:9], v[46:47]
	v_add_f64 v[64:65], v[38:39], v[72:73]
	scratch_load_b128 v[38:41], off, off offset:816
	v_add_f64 v[48:49], v[48:49], v[55:56]
	s_waitcnt lgkmcnt(0)
	v_mul_f64 v[55:56], v[68:69], v[16:17]
	v_mul_f64 v[16:17], v[70:71], v[16:17]
	v_fma_f64 v[62:63], v[8:9], v[44:45], v[62:63]
	v_fma_f64 v[66:67], v[6:7], v[44:45], -v[46:47]
	ds_load_b128 v[6:9], v1 offset:1712
	v_add_f64 v[64:65], v[64:65], v[42:43]
	scratch_load_b128 v[42:45], off, off offset:832
	v_add_f64 v[51:52], v[48:49], v[51:52]
	ds_load_b128 v[46:49], v1 offset:1728
	v_fma_f64 v[55:56], v[70:71], v[14:15], v[55:56]
	v_fma_f64 v[68:69], v[68:69], v[14:15], -v[16:17]
	scratch_load_b128 v[14:17], off, off offset:848
	s_waitcnt vmcnt(9) lgkmcnt(1)
	v_mul_f64 v[72:73], v[6:7], v[32:33]
	v_mul_f64 v[32:33], v[8:9], v[32:33]
	v_add_f64 v[64:65], v[64:65], v[66:67]
	s_waitcnt vmcnt(8) lgkmcnt(0)
	v_mul_f64 v[66:67], v[46:47], v[24:25]
	v_add_f64 v[51:52], v[51:52], v[62:63]
	v_mul_f64 v[24:25], v[48:49], v[24:25]
	v_fma_f64 v[70:71], v[8:9], v[30:31], v[72:73]
	v_fma_f64 v[72:73], v[6:7], v[30:31], -v[32:33]
	scratch_load_b128 v[30:33], off, off offset:864
	ds_load_b128 v[6:9], v1 offset:1744
	v_add_f64 v[68:69], v[64:65], v[68:69]
	ds_load_b128 v[62:65], v1 offset:1760
	v_add_f64 v[51:52], v[51:52], v[55:56]
	v_fma_f64 v[48:49], v[48:49], v[22:23], v[66:67]
	s_waitcnt vmcnt(8) lgkmcnt(1)
	v_mul_f64 v[55:56], v[6:7], v[28:29]
	v_mul_f64 v[28:29], v[8:9], v[28:29]
	v_fma_f64 v[46:47], v[46:47], v[22:23], -v[24:25]
	scratch_load_b128 v[22:25], off, off offset:880
	v_add_f64 v[66:67], v[68:69], v[72:73]
	v_add_f64 v[51:52], v[51:52], v[70:71]
	v_fma_f64 v[55:56], v[8:9], v[26:27], v[55:56]
	v_fma_f64 v[70:71], v[6:7], v[26:27], -v[28:29]
	scratch_load_b128 v[26:29], off, off offset:896
	ds_load_b128 v[6:9], v1 offset:1776
	s_waitcnt vmcnt(9) lgkmcnt(1)
	v_mul_f64 v[68:69], v[62:63], v[36:37]
	v_mul_f64 v[36:37], v[64:65], v[36:37]
	v_add_f64 v[66:67], v[66:67], v[46:47]
	v_add_f64 v[51:52], v[51:52], v[48:49]
	ds_load_b128 v[46:49], v1 offset:1792
	s_waitcnt vmcnt(8) lgkmcnt(1)
	v_mul_f64 v[72:73], v[6:7], v[20:21]
	v_mul_f64 v[20:21], v[8:9], v[20:21]
	v_fma_f64 v[64:65], v[64:65], v[34:35], v[68:69]
	v_fma_f64 v[62:63], v[62:63], v[34:35], -v[36:37]
	scratch_load_b128 v[34:37], off, off offset:912
	s_waitcnt vmcnt(8) lgkmcnt(0)
	v_mul_f64 v[68:69], v[48:49], v[60:61]
	v_add_f64 v[66:67], v[66:67], v[70:71]
	v_add_f64 v[51:52], v[51:52], v[55:56]
	v_mul_f64 v[55:56], v[46:47], v[60:61]
	v_fma_f64 v[70:71], v[8:9], v[18:19], v[72:73]
	v_fma_f64 v[72:73], v[6:7], v[18:19], -v[20:21]
	scratch_load_b128 v[18:21], off, off offset:928
	ds_load_b128 v[6:9], v1 offset:1808
	v_add_f64 v[66:67], v[66:67], v[62:63]
	ds_load_b128 v[60:63], v1 offset:1824
	v_add_f64 v[51:52], v[51:52], v[64:65]
	s_waitcnt vmcnt(8) lgkmcnt(1)
	v_mul_f64 v[64:65], v[6:7], v[12:13]
	v_mul_f64 v[12:13], v[8:9], v[12:13]
	v_fma_f64 v[55:56], v[48:49], v[58:59], v[55:56]
	v_fma_f64 v[58:59], v[46:47], v[58:59], -v[68:69]
	scratch_load_b128 v[46:49], off, off offset:944
	v_add_f64 v[66:67], v[66:67], v[72:73]
	v_add_f64 v[51:52], v[51:52], v[70:71]
	v_fma_f64 v[70:71], v[8:9], v[10:11], v[64:65]
	v_fma_f64 v[72:73], v[6:7], v[10:11], -v[12:13]
	scratch_load_b128 v[10:13], off, off offset:960
	ds_load_b128 v[6:9], v1 offset:1840
	s_waitcnt vmcnt(9) lgkmcnt(1)
	v_mul_f64 v[68:69], v[60:61], v[40:41]
	v_mul_f64 v[40:41], v[62:63], v[40:41]
	v_add_f64 v[58:59], v[66:67], v[58:59]
	ds_load_b128 v[64:67], v1 offset:1856
	v_add_f64 v[51:52], v[51:52], v[55:56]
	s_waitcnt vmcnt(8) lgkmcnt(1)
	v_mul_f64 v[55:56], v[6:7], v[44:45]
	v_mul_f64 v[44:45], v[8:9], v[44:45]
	v_fma_f64 v[62:63], v[62:63], v[38:39], v[68:69]
	v_fma_f64 v[60:61], v[60:61], v[38:39], -v[40:41]
	scratch_load_b128 v[38:41], off, off offset:976
	s_waitcnt vmcnt(8) lgkmcnt(0)
	v_mul_f64 v[68:69], v[64:65], v[16:17]
	v_mul_f64 v[16:17], v[66:67], v[16:17]
	v_add_f64 v[58:59], v[58:59], v[72:73]
	v_add_f64 v[51:52], v[51:52], v[70:71]
	v_fma_f64 v[55:56], v[8:9], v[42:43], v[55:56]
	v_fma_f64 v[70:71], v[6:7], v[42:43], -v[44:45]
	scratch_load_b128 v[42:45], off, off offset:992
	ds_load_b128 v[6:9], v1 offset:1872
	v_fma_f64 v[66:67], v[66:67], v[14:15], v[68:69]
	v_fma_f64 v[14:15], v[64:65], v[14:15], -v[16:17]
	v_add_f64 v[72:73], v[58:59], v[60:61]
	ds_load_b128 v[58:61], v1 offset:1888
	v_add_f64 v[51:52], v[51:52], v[62:63]
	s_waitcnt vmcnt(8) lgkmcnt(1)
	v_mul_f64 v[62:63], v[6:7], v[32:33]
	v_mul_f64 v[32:33], v[8:9], v[32:33]
	v_add_f64 v[16:17], v[72:73], v[70:71]
	s_delay_alu instid0(VALU_DEP_4)
	v_add_f64 v[51:52], v[51:52], v[55:56]
	s_waitcnt vmcnt(7) lgkmcnt(0)
	v_mul_f64 v[55:56], v[58:59], v[24:25]
	v_mul_f64 v[24:25], v[60:61], v[24:25]
	v_fma_f64 v[62:63], v[8:9], v[30:31], v[62:63]
	v_fma_f64 v[30:31], v[6:7], v[30:31], -v[32:33]
	v_add_f64 v[32:33], v[16:17], v[14:15]
	ds_load_b128 v[6:9], v1 offset:1904
	ds_load_b128 v[14:17], v1 offset:1920
	v_add_f64 v[51:52], v[51:52], v[66:67]
	v_fma_f64 v[55:56], v[60:61], v[22:23], v[55:56]
	v_fma_f64 v[22:23], v[58:59], v[22:23], -v[24:25]
	s_waitcnt vmcnt(6) lgkmcnt(1)
	v_mul_f64 v[64:65], v[6:7], v[28:29]
	v_mul_f64 v[28:29], v[8:9], v[28:29]
	v_add_f64 v[24:25], v[32:33], v[30:31]
	s_waitcnt vmcnt(5) lgkmcnt(0)
	v_mul_f64 v[32:33], v[14:15], v[36:37]
	v_add_f64 v[30:31], v[51:52], v[62:63]
	v_mul_f64 v[36:37], v[16:17], v[36:37]
	v_fma_f64 v[51:52], v[8:9], v[26:27], v[64:65]
	v_fma_f64 v[26:27], v[6:7], v[26:27], -v[28:29]
	v_add_f64 v[28:29], v[24:25], v[22:23]
	ds_load_b128 v[6:9], v1 offset:1936
	ds_load_b128 v[22:25], v1 offset:1952
	v_add_f64 v[30:31], v[30:31], v[55:56]
	v_fma_f64 v[16:17], v[16:17], v[34:35], v[32:33]
	v_fma_f64 v[14:15], v[14:15], v[34:35], -v[36:37]
	s_waitcnt vmcnt(4) lgkmcnt(1)
	v_mul_f64 v[55:56], v[6:7], v[20:21]
	v_mul_f64 v[20:21], v[8:9], v[20:21]
	s_waitcnt vmcnt(3) lgkmcnt(0)
	v_mul_f64 v[32:33], v[24:25], v[48:49]
	v_add_f64 v[26:27], v[28:29], v[26:27]
	v_add_f64 v[28:29], v[30:31], v[51:52]
	v_mul_f64 v[30:31], v[22:23], v[48:49]
	v_fma_f64 v[34:35], v[8:9], v[18:19], v[55:56]
	v_fma_f64 v[18:19], v[6:7], v[18:19], -v[20:21]
	v_fma_f64 v[22:23], v[22:23], v[46:47], -v[32:33]
	v_add_f64 v[20:21], v[26:27], v[14:15]
	v_add_f64 v[26:27], v[28:29], v[16:17]
	ds_load_b128 v[6:9], v1 offset:1968
	ds_load_b128 v[14:17], v1 offset:1984
	v_fma_f64 v[24:25], v[24:25], v[46:47], v[30:31]
	s_waitcnt vmcnt(2) lgkmcnt(1)
	v_mul_f64 v[28:29], v[6:7], v[12:13]
	v_mul_f64 v[12:13], v[8:9], v[12:13]
	s_waitcnt vmcnt(1) lgkmcnt(0)
	v_mul_f64 v[30:31], v[16:17], v[40:41]
	v_add_f64 v[18:19], v[20:21], v[18:19]
	v_add_f64 v[20:21], v[26:27], v[34:35]
	v_mul_f64 v[26:27], v[14:15], v[40:41]
	v_fma_f64 v[28:29], v[8:9], v[10:11], v[28:29]
	v_fma_f64 v[10:11], v[6:7], v[10:11], -v[12:13]
	ds_load_b128 v[6:9], v1 offset:2000
	v_fma_f64 v[14:15], v[14:15], v[38:39], -v[30:31]
	v_add_f64 v[12:13], v[18:19], v[22:23]
	v_add_f64 v[18:19], v[20:21], v[24:25]
	v_fma_f64 v[16:17], v[16:17], v[38:39], v[26:27]
	s_waitcnt vmcnt(0) lgkmcnt(0)
	v_mul_f64 v[20:21], v[6:7], v[44:45]
	v_mul_f64 v[22:23], v[8:9], v[44:45]
	v_add_f64 v[10:11], v[12:13], v[10:11]
	v_add_f64 v[12:13], v[18:19], v[28:29]
	s_delay_alu instid0(VALU_DEP_4) | instskip(NEXT) | instid1(VALU_DEP_4)
	v_fma_f64 v[8:9], v[8:9], v[42:43], v[20:21]
	v_fma_f64 v[6:7], v[6:7], v[42:43], -v[22:23]
	s_delay_alu instid0(VALU_DEP_4) | instskip(NEXT) | instid1(VALU_DEP_4)
	v_add_f64 v[10:11], v[10:11], v[14:15]
	v_add_f64 v[12:13], v[12:13], v[16:17]
	s_delay_alu instid0(VALU_DEP_2) | instskip(NEXT) | instid1(VALU_DEP_2)
	v_add_f64 v[6:7], v[10:11], v[6:7]
	v_add_f64 v[8:9], v[12:13], v[8:9]
	s_delay_alu instid0(VALU_DEP_2) | instskip(NEXT) | instid1(VALU_DEP_2)
	v_add_f64 v[2:3], v[2:3], -v[6:7]
	v_add_f64 v[4:5], v[4:5], -v[8:9]
	scratch_store_b128 off, v[2:5], off offset:176
	v_cmpx_lt_u32_e32 10, v179
	s_cbranch_execz .LBB126_383
; %bb.382:
	scratch_load_b32 v2, off, off offset:1036 ; 4-byte Folded Reload
	v_mov_b32_e32 v3, v1
	v_mov_b32_e32 v4, v1
	s_waitcnt vmcnt(0)
	scratch_load_b128 v[5:8], v2, off
	v_mov_b32_e32 v2, v1
	scratch_store_b128 off, v[1:4], off offset:160
	s_waitcnt vmcnt(0)
	ds_store_b128 v244, v[5:8]
.LBB126_383:
	s_or_b32 exec_lo, exec_lo, s2
	s_waitcnt lgkmcnt(0)
	s_waitcnt_vscnt null, 0x0
	s_barrier
	buffer_gl0_inv
	s_clause 0x8
	scratch_load_b128 v[34:37], off, off offset:176
	scratch_load_b128 v[38:41], off, off offset:192
	;; [unrolled: 1-line block ×9, first 2 shown]
	ds_load_b128 v[46:49], v1 offset:1184
	ds_load_b128 v[42:45], v1 offset:1200
	s_clause 0x1
	scratch_load_b128 v[2:5], off, off offset:160
	scratch_load_b128 v[58:61], off, off offset:320
	s_mov_b32 s2, exec_lo
	ds_load_b128 v[62:65], v1 offset:1232
	s_waitcnt vmcnt(10) lgkmcnt(2)
	v_mul_f64 v[51:52], v[48:49], v[36:37]
	v_mul_f64 v[36:37], v[46:47], v[36:37]
	s_waitcnt vmcnt(9) lgkmcnt(1)
	v_mul_f64 v[55:56], v[42:43], v[40:41]
	v_mul_f64 v[40:41], v[44:45], v[40:41]
	s_waitcnt vmcnt(7) lgkmcnt(0)
	v_mul_f64 v[70:71], v[64:65], v[28:29]
	v_fma_f64 v[51:52], v[46:47], v[34:35], -v[51:52]
	v_fma_f64 v[66:67], v[48:49], v[34:35], v[36:37]
	ds_load_b128 v[34:37], v1 offset:1216
	scratch_load_b128 v[46:49], off, off offset:336
	v_fma_f64 v[44:45], v[44:45], v[38:39], v[55:56]
	v_fma_f64 v[42:43], v[42:43], v[38:39], -v[40:41]
	scratch_load_b128 v[38:41], off, off offset:352
	s_waitcnt lgkmcnt(0)
	v_mul_f64 v[68:69], v[34:35], v[32:33]
	v_mul_f64 v[32:33], v[36:37], v[32:33]
	v_add_f64 v[51:52], v[51:52], 0
	v_add_f64 v[55:56], v[66:67], 0
	v_mul_f64 v[66:67], v[62:63], v[28:29]
	v_fma_f64 v[62:63], v[62:63], v[26:27], -v[70:71]
	v_fma_f64 v[36:37], v[36:37], v[30:31], v[68:69]
	v_fma_f64 v[68:69], v[34:35], v[30:31], -v[32:33]
	ds_load_b128 v[28:31], v1 offset:1248
	scratch_load_b128 v[32:35], off, off offset:368
	v_add_f64 v[51:52], v[51:52], v[42:43]
	v_add_f64 v[55:56], v[55:56], v[44:45]
	ds_load_b128 v[42:45], v1 offset:1264
	v_fma_f64 v[64:65], v[64:65], v[26:27], v[66:67]
	s_waitcnt vmcnt(9) lgkmcnt(1)
	v_mul_f64 v[72:73], v[28:29], v[24:25]
	v_mul_f64 v[74:75], v[30:31], v[24:25]
	scratch_load_b128 v[24:27], off, off offset:384
	s_waitcnt vmcnt(9) lgkmcnt(0)
	v_mul_f64 v[66:67], v[44:45], v[20:21]
	v_add_f64 v[51:52], v[51:52], v[68:69]
	v_add_f64 v[36:37], v[55:56], v[36:37]
	v_mul_f64 v[55:56], v[42:43], v[20:21]
	v_fma_f64 v[68:69], v[30:31], v[22:23], v[72:73]
	v_fma_f64 v[70:71], v[28:29], v[22:23], -v[74:75]
	ds_load_b128 v[20:23], v1 offset:1280
	scratch_load_b128 v[28:31], off, off offset:400
	v_fma_f64 v[42:43], v[42:43], v[18:19], -v[66:67]
	v_add_f64 v[51:52], v[51:52], v[62:63]
	v_add_f64 v[36:37], v[36:37], v[64:65]
	ds_load_b128 v[62:65], v1 offset:1296
	s_waitcnt vmcnt(9) lgkmcnt(1)
	v_mul_f64 v[72:73], v[20:21], v[16:17]
	v_mul_f64 v[74:75], v[22:23], v[16:17]
	v_fma_f64 v[44:45], v[44:45], v[18:19], v[55:56]
	scratch_load_b128 v[16:19], off, off offset:416
	s_waitcnt vmcnt(9) lgkmcnt(0)
	v_mul_f64 v[55:56], v[62:63], v[12:13]
	v_mul_f64 v[66:67], v[64:65], v[12:13]
	v_add_f64 v[51:52], v[51:52], v[70:71]
	v_add_f64 v[36:37], v[36:37], v[68:69]
	v_fma_f64 v[68:69], v[22:23], v[14:15], v[72:73]
	v_fma_f64 v[70:71], v[20:21], v[14:15], -v[74:75]
	ds_load_b128 v[12:15], v1 offset:1312
	scratch_load_b128 v[20:23], off, off offset:432
	v_fma_f64 v[55:56], v[64:65], v[10:11], v[55:56]
	v_fma_f64 v[62:63], v[62:63], v[10:11], -v[66:67]
	ds_load_b128 v[64:67], v1 offset:1360
	v_add_f64 v[51:52], v[51:52], v[42:43]
	v_add_f64 v[36:37], v[36:37], v[44:45]
	ds_load_b128 v[42:45], v1 offset:1328
	s_waitcnt vmcnt(9) lgkmcnt(2)
	v_mul_f64 v[72:73], v[12:13], v[8:9]
	v_mul_f64 v[74:75], v[14:15], v[8:9]
	scratch_load_b128 v[8:11], off, off offset:448
	v_add_f64 v[51:52], v[51:52], v[70:71]
	v_add_f64 v[36:37], v[36:37], v[68:69]
	s_waitcnt vmcnt(8) lgkmcnt(0)
	v_mul_f64 v[68:69], v[42:43], v[60:61]
	v_mul_f64 v[70:71], v[44:45], v[60:61]
	v_fma_f64 v[72:73], v[14:15], v[6:7], v[72:73]
	v_fma_f64 v[6:7], v[12:13], v[6:7], -v[74:75]
	ds_load_b128 v[12:15], v1 offset:1344
	v_add_f64 v[51:52], v[51:52], v[62:63]
	v_add_f64 v[36:37], v[36:37], v[55:56]
	scratch_load_b128 v[60:63], off, off offset:464
	v_fma_f64 v[68:69], v[44:45], v[58:59], v[68:69]
	v_fma_f64 v[58:59], v[42:43], v[58:59], -v[70:71]
	scratch_load_b128 v[42:45], off, off offset:480
	s_waitcnt vmcnt(9) lgkmcnt(0)
	v_mul_f64 v[55:56], v[12:13], v[48:49]
	v_mul_f64 v[48:49], v[14:15], v[48:49]
	v_add_f64 v[6:7], v[51:52], v[6:7]
	v_add_f64 v[36:37], v[36:37], v[72:73]
	s_waitcnt vmcnt(8)
	v_mul_f64 v[51:52], v[64:65], v[40:41]
	v_mul_f64 v[40:41], v[66:67], v[40:41]
	v_fma_f64 v[55:56], v[14:15], v[46:47], v[55:56]
	v_fma_f64 v[72:73], v[12:13], v[46:47], -v[48:49]
	ds_load_b128 v[12:15], v1 offset:1376
	scratch_load_b128 v[46:49], off, off offset:496
	v_add_f64 v[6:7], v[6:7], v[58:59]
	v_add_f64 v[36:37], v[36:37], v[68:69]
	ds_load_b128 v[68:71], v1 offset:1392
	s_waitcnt vmcnt(8) lgkmcnt(1)
	v_mul_f64 v[58:59], v[12:13], v[34:35]
	v_mul_f64 v[74:75], v[14:15], v[34:35]
	v_fma_f64 v[51:52], v[66:67], v[38:39], v[51:52]
	v_fma_f64 v[38:39], v[64:65], v[38:39], -v[40:41]
	ds_load_b128 v[64:67], v1 offset:1424
	v_add_f64 v[6:7], v[6:7], v[72:73]
	v_add_f64 v[40:41], v[36:37], v[55:56]
	scratch_load_b128 v[34:37], off, off offset:512
	s_waitcnt vmcnt(8) lgkmcnt(1)
	v_mul_f64 v[55:56], v[68:69], v[26:27]
	v_mul_f64 v[26:27], v[70:71], v[26:27]
	v_fma_f64 v[58:59], v[14:15], v[32:33], v[58:59]
	v_fma_f64 v[32:33], v[12:13], v[32:33], -v[74:75]
	ds_load_b128 v[12:15], v1 offset:1408
	s_waitcnt vmcnt(7) lgkmcnt(0)
	v_mul_f64 v[72:73], v[12:13], v[30:31]
	v_mul_f64 v[30:31], v[14:15], v[30:31]
	v_add_f64 v[6:7], v[6:7], v[38:39]
	v_add_f64 v[51:52], v[40:41], v[51:52]
	scratch_load_b128 v[38:41], off, off offset:528
	v_fma_f64 v[55:56], v[70:71], v[24:25], v[55:56]
	v_fma_f64 v[68:69], v[68:69], v[24:25], -v[26:27]
	scratch_load_b128 v[24:27], off, off offset:544
	v_add_f64 v[6:7], v[6:7], v[32:33]
	v_add_f64 v[32:33], v[51:52], v[58:59]
	s_waitcnt vmcnt(8)
	v_mul_f64 v[51:52], v[64:65], v[18:19]
	v_mul_f64 v[18:19], v[66:67], v[18:19]
	v_fma_f64 v[58:59], v[14:15], v[28:29], v[72:73]
	v_fma_f64 v[72:73], v[12:13], v[28:29], -v[30:31]
	ds_load_b128 v[12:15], v1 offset:1440
	scratch_load_b128 v[28:31], off, off offset:560
	v_add_f64 v[6:7], v[6:7], v[68:69]
	v_add_f64 v[32:33], v[32:33], v[55:56]
	ds_load_b128 v[68:71], v1 offset:1456
	s_waitcnt vmcnt(8) lgkmcnt(1)
	v_mul_f64 v[55:56], v[12:13], v[22:23]
	v_mul_f64 v[22:23], v[14:15], v[22:23]
	v_fma_f64 v[51:52], v[66:67], v[16:17], v[51:52]
	v_fma_f64 v[64:65], v[64:65], v[16:17], -v[18:19]
	scratch_load_b128 v[16:19], off, off offset:576
	v_add_f64 v[6:7], v[6:7], v[72:73]
	v_add_f64 v[32:33], v[32:33], v[58:59]
	s_waitcnt vmcnt(8) lgkmcnt(0)
	v_mul_f64 v[58:59], v[68:69], v[10:11]
	v_mul_f64 v[72:73], v[70:71], v[10:11]
	v_fma_f64 v[14:15], v[14:15], v[20:21], v[55:56]
	v_fma_f64 v[55:56], v[12:13], v[20:21], -v[22:23]
	ds_load_b128 v[10:13], v1 offset:1472
	scratch_load_b128 v[20:23], off, off offset:592
	v_add_f64 v[6:7], v[6:7], v[64:65]
	v_add_f64 v[32:33], v[32:33], v[51:52]
	ds_load_b128 v[64:67], v1 offset:1488
	v_fma_f64 v[58:59], v[70:71], v[8:9], v[58:59]
	v_fma_f64 v[68:69], v[68:69], v[8:9], -v[72:73]
	s_waitcnt vmcnt(8) lgkmcnt(1)
	v_mul_f64 v[51:52], v[10:11], v[62:63]
	v_mul_f64 v[62:63], v[12:13], v[62:63]
	v_add_f64 v[55:56], v[6:7], v[55:56]
	scratch_load_b128 v[6:9], off, off offset:608
	v_add_f64 v[14:15], v[32:33], v[14:15]
	s_waitcnt vmcnt(8) lgkmcnt(0)
	v_mul_f64 v[32:33], v[64:65], v[44:45]
	v_mul_f64 v[44:45], v[66:67], v[44:45]
	v_fma_f64 v[51:52], v[12:13], v[60:61], v[51:52]
	v_fma_f64 v[62:63], v[10:11], v[60:61], -v[62:63]
	ds_load_b128 v[10:13], v1 offset:1504
	v_add_f64 v[55:56], v[55:56], v[68:69]
	ds_load_b128 v[68:71], v1 offset:1520
	v_add_f64 v[14:15], v[14:15], v[58:59]
	scratch_load_b128 v[58:61], off, off offset:624
	s_waitcnt vmcnt(8) lgkmcnt(1)
	v_mul_f64 v[72:73], v[10:11], v[48:49]
	v_mul_f64 v[48:49], v[12:13], v[48:49]
	v_fma_f64 v[32:33], v[66:67], v[42:43], v[32:33]
	v_fma_f64 v[64:65], v[64:65], v[42:43], -v[44:45]
	scratch_load_b128 v[42:45], off, off offset:640
	v_add_f64 v[55:56], v[55:56], v[62:63]
	v_add_f64 v[14:15], v[14:15], v[51:52]
	v_fma_f64 v[66:67], v[12:13], v[46:47], v[72:73]
	v_fma_f64 v[72:73], v[10:11], v[46:47], -v[48:49]
	ds_load_b128 v[10:13], v1 offset:1536
	scratch_load_b128 v[46:49], off, off offset:656
	s_waitcnt vmcnt(9) lgkmcnt(1)
	v_mul_f64 v[51:52], v[68:69], v[36:37]
	v_mul_f64 v[36:37], v[70:71], v[36:37]
	v_add_f64 v[55:56], v[55:56], v[64:65]
	ds_load_b128 v[62:65], v1 offset:1552
	v_add_f64 v[14:15], v[14:15], v[32:33]
	s_waitcnt vmcnt(8) lgkmcnt(1)
	v_mul_f64 v[74:75], v[10:11], v[40:41]
	v_mul_f64 v[40:41], v[12:13], v[40:41]
	v_fma_f64 v[51:52], v[70:71], v[34:35], v[51:52]
	v_fma_f64 v[36:37], v[68:69], v[34:35], -v[36:37]
	scratch_load_b128 v[32:35], off, off offset:672
	s_waitcnt vmcnt(8) lgkmcnt(0)
	v_mul_f64 v[70:71], v[62:63], v[26:27]
	v_mul_f64 v[26:27], v[64:65], v[26:27]
	v_add_f64 v[55:56], v[55:56], v[72:73]
	v_add_f64 v[14:15], v[14:15], v[66:67]
	ds_load_b128 v[66:69], v1 offset:1584
	v_fma_f64 v[72:73], v[12:13], v[38:39], v[74:75]
	v_fma_f64 v[40:41], v[10:11], v[38:39], -v[40:41]
	ds_load_b128 v[10:13], v1 offset:1568
	v_fma_f64 v[64:65], v[64:65], v[24:25], v[70:71]
	v_fma_f64 v[62:63], v[62:63], v[24:25], -v[26:27]
	scratch_load_b128 v[24:27], off, off offset:704
	v_add_f64 v[55:56], v[55:56], v[36:37]
	scratch_load_b128 v[36:39], off, off offset:688
	v_add_f64 v[14:15], v[14:15], v[51:52]
	s_waitcnt vmcnt(9) lgkmcnt(0)
	v_mul_f64 v[51:52], v[10:11], v[30:31]
	v_mul_f64 v[30:31], v[12:13], v[30:31]
	v_add_f64 v[40:41], v[55:56], v[40:41]
	s_waitcnt vmcnt(8)
	v_mul_f64 v[55:56], v[66:67], v[18:19]
	v_add_f64 v[14:15], v[14:15], v[72:73]
	v_mul_f64 v[18:19], v[68:69], v[18:19]
	v_fma_f64 v[51:52], v[12:13], v[28:29], v[51:52]
	v_fma_f64 v[70:71], v[10:11], v[28:29], -v[30:31]
	ds_load_b128 v[10:13], v1 offset:1600
	scratch_load_b128 v[28:31], off, off offset:720
	v_add_f64 v[40:41], v[40:41], v[62:63]
	v_fma_f64 v[55:56], v[68:69], v[16:17], v[55:56]
	v_add_f64 v[14:15], v[14:15], v[64:65]
	ds_load_b128 v[62:65], v1 offset:1616
	s_waitcnt vmcnt(8) lgkmcnt(1)
	v_mul_f64 v[72:73], v[10:11], v[22:23]
	v_mul_f64 v[22:23], v[12:13], v[22:23]
	v_fma_f64 v[18:19], v[66:67], v[16:17], -v[18:19]
	ds_load_b128 v[66:69], v1 offset:1648
	v_add_f64 v[40:41], v[40:41], v[70:71]
	v_add_f64 v[51:52], v[14:15], v[51:52]
	scratch_load_b128 v[14:17], off, off offset:736
	v_fma_f64 v[12:13], v[12:13], v[20:21], v[72:73]
	v_fma_f64 v[22:23], v[10:11], v[20:21], -v[22:23]
	s_waitcnt vmcnt(8) lgkmcnt(1)
	v_mul_f64 v[70:71], v[62:63], v[8:9]
	v_mul_f64 v[74:75], v[64:65], v[8:9]
	ds_load_b128 v[8:11], v1 offset:1632
	v_add_f64 v[40:41], v[40:41], v[18:19]
	scratch_load_b128 v[18:21], off, off offset:752
	v_add_f64 v[51:52], v[51:52], v[55:56]
	v_fma_f64 v[64:65], v[64:65], v[6:7], v[70:71]
	v_fma_f64 v[6:7], v[62:63], v[6:7], -v[74:75]
	s_waitcnt vmcnt(8) lgkmcnt(0)
	v_mul_f64 v[55:56], v[8:9], v[60:61]
	v_mul_f64 v[72:73], v[10:11], v[60:61]
	scratch_load_b128 v[60:63], off, off offset:768
	v_add_f64 v[22:23], v[40:41], v[22:23]
	s_waitcnt vmcnt(8)
	v_mul_f64 v[40:41], v[66:67], v[44:45]
	v_add_f64 v[12:13], v[51:52], v[12:13]
	v_mul_f64 v[44:45], v[68:69], v[44:45]
	v_fma_f64 v[51:52], v[10:11], v[58:59], v[55:56]
	v_fma_f64 v[55:56], v[8:9], v[58:59], -v[72:73]
	ds_load_b128 v[70:73], v1 offset:1680
	v_add_f64 v[22:23], v[22:23], v[6:7]
	ds_load_b128 v[6:9], v1 offset:1664
	v_add_f64 v[58:59], v[12:13], v[64:65]
	scratch_load_b128 v[10:13], off, off offset:784
	v_fma_f64 v[68:69], v[68:69], v[42:43], v[40:41]
	v_fma_f64 v[44:45], v[66:67], v[42:43], -v[44:45]
	scratch_load_b128 v[40:43], off, off offset:800
	s_waitcnt vmcnt(9) lgkmcnt(0)
	v_mul_f64 v[64:65], v[6:7], v[48:49]
	v_mul_f64 v[48:49], v[8:9], v[48:49]
	v_add_f64 v[22:23], v[22:23], v[55:56]
	s_waitcnt vmcnt(8)
	v_mul_f64 v[55:56], v[70:71], v[34:35]
	v_add_f64 v[51:52], v[58:59], v[51:52]
	v_mul_f64 v[34:35], v[72:73], v[34:35]
	v_fma_f64 v[58:59], v[8:9], v[46:47], v[64:65]
	v_fma_f64 v[48:49], v[6:7], v[46:47], -v[48:49]
	ds_load_b128 v[6:9], v1 offset:1696
	ds_load_b128 v[64:67], v1 offset:1712
	v_add_f64 v[22:23], v[22:23], v[44:45]
	scratch_load_b128 v[44:47], off, off offset:816
	v_add_f64 v[51:52], v[51:52], v[68:69]
	v_fma_f64 v[55:56], v[72:73], v[32:33], v[55:56]
	v_fma_f64 v[70:71], v[70:71], v[32:33], -v[34:35]
	scratch_load_b128 v[32:35], off, off offset:832
	s_waitcnt vmcnt(8) lgkmcnt(1)
	v_mul_f64 v[68:69], v[6:7], v[38:39]
	v_mul_f64 v[38:39], v[8:9], v[38:39]
	v_add_f64 v[22:23], v[22:23], v[48:49]
	v_add_f64 v[48:49], v[51:52], v[58:59]
	s_waitcnt lgkmcnt(0)
	v_mul_f64 v[51:52], v[64:65], v[26:27]
	v_mul_f64 v[26:27], v[66:67], v[26:27]
	v_fma_f64 v[58:59], v[8:9], v[36:37], v[68:69]
	v_fma_f64 v[72:73], v[6:7], v[36:37], -v[38:39]
	ds_load_b128 v[6:9], v1 offset:1728
	scratch_load_b128 v[36:39], off, off offset:848
	v_add_f64 v[22:23], v[22:23], v[70:71]
	ds_load_b128 v[68:71], v1 offset:1744
	v_add_f64 v[48:49], v[48:49], v[55:56]
	s_waitcnt vmcnt(8) lgkmcnt(1)
	v_mul_f64 v[55:56], v[6:7], v[30:31]
	v_mul_f64 v[30:31], v[8:9], v[30:31]
	v_fma_f64 v[51:52], v[66:67], v[24:25], v[51:52]
	v_fma_f64 v[26:27], v[64:65], v[24:25], -v[26:27]
	v_add_f64 v[64:65], v[22:23], v[72:73]
	scratch_load_b128 v[22:25], off, off offset:864
	v_add_f64 v[48:49], v[48:49], v[58:59]
	v_fma_f64 v[55:56], v[8:9], v[28:29], v[55:56]
	v_fma_f64 v[30:31], v[6:7], v[28:29], -v[30:31]
	ds_load_b128 v[6:9], v1 offset:1760
	s_waitcnt vmcnt(8) lgkmcnt(1)
	v_mul_f64 v[58:59], v[68:69], v[16:17]
	v_mul_f64 v[16:17], v[70:71], v[16:17]
	v_add_f64 v[72:73], v[64:65], v[26:27]
	ds_load_b128 v[64:67], v1 offset:1776
	v_add_f64 v[48:49], v[48:49], v[51:52]
	scratch_load_b128 v[26:29], off, off offset:880
	s_waitcnt vmcnt(8) lgkmcnt(1)
	v_mul_f64 v[51:52], v[6:7], v[20:21]
	v_mul_f64 v[20:21], v[8:9], v[20:21]
	v_fma_f64 v[58:59], v[70:71], v[14:15], v[58:59]
	v_fma_f64 v[68:69], v[68:69], v[14:15], -v[16:17]
	scratch_load_b128 v[14:17], off, off offset:896
	v_add_f64 v[30:31], v[72:73], v[30:31]
	v_add_f64 v[48:49], v[48:49], v[55:56]
	s_waitcnt vmcnt(8) lgkmcnt(0)
	v_mul_f64 v[55:56], v[64:65], v[62:63]
	v_mul_f64 v[62:63], v[66:67], v[62:63]
	v_fma_f64 v[51:52], v[8:9], v[18:19], v[51:52]
	v_fma_f64 v[72:73], v[6:7], v[18:19], -v[20:21]
	ds_load_b128 v[6:9], v1 offset:1792
	scratch_load_b128 v[18:21], off, off offset:912
	v_add_f64 v[30:31], v[30:31], v[68:69]
	ds_load_b128 v[68:71], v1 offset:1808
	v_add_f64 v[48:49], v[48:49], v[58:59]
	v_fma_f64 v[55:56], v[66:67], v[60:61], v[55:56]
	v_fma_f64 v[62:63], v[64:65], v[60:61], -v[62:63]
	scratch_load_b128 v[58:61], off, off offset:928
	s_waitcnt vmcnt(9) lgkmcnt(1)
	v_mul_f64 v[74:75], v[6:7], v[12:13]
	v_mul_f64 v[12:13], v[8:9], v[12:13]
	v_add_f64 v[30:31], v[30:31], v[72:73]
	v_add_f64 v[48:49], v[48:49], v[51:52]
	s_waitcnt vmcnt(8) lgkmcnt(0)
	v_mul_f64 v[51:52], v[68:69], v[42:43]
	v_mul_f64 v[42:43], v[70:71], v[42:43]
	v_fma_f64 v[66:67], v[8:9], v[10:11], v[74:75]
	v_fma_f64 v[72:73], v[6:7], v[10:11], -v[12:13]
	ds_load_b128 v[6:9], v1 offset:1824
	scratch_load_b128 v[10:13], off, off offset:944
	v_add_f64 v[30:31], v[30:31], v[62:63]
	ds_load_b128 v[62:65], v1 offset:1840
	v_add_f64 v[48:49], v[48:49], v[55:56]
	v_fma_f64 v[51:52], v[70:71], v[40:41], v[51:52]
	v_fma_f64 v[68:69], v[68:69], v[40:41], -v[42:43]
	scratch_load_b128 v[40:43], off, off offset:960
	s_waitcnt vmcnt(9) lgkmcnt(1)
	v_mul_f64 v[55:56], v[6:7], v[46:47]
	v_mul_f64 v[46:47], v[8:9], v[46:47]
	s_waitcnt vmcnt(8) lgkmcnt(0)
	v_mul_f64 v[70:71], v[62:63], v[34:35]
	v_mul_f64 v[34:35], v[64:65], v[34:35]
	v_add_f64 v[30:31], v[30:31], v[72:73]
	v_add_f64 v[48:49], v[48:49], v[66:67]
	v_fma_f64 v[55:56], v[8:9], v[44:45], v[55:56]
	v_fma_f64 v[72:73], v[6:7], v[44:45], -v[46:47]
	ds_load_b128 v[6:9], v1 offset:1856
	scratch_load_b128 v[44:47], off, off offset:976
	v_fma_f64 v[64:65], v[64:65], v[32:33], v[70:71]
	v_fma_f64 v[34:35], v[62:63], v[32:33], -v[34:35]
	v_add_f64 v[30:31], v[30:31], v[68:69]
	ds_load_b128 v[66:69], v1 offset:1872
	v_add_f64 v[48:49], v[48:49], v[51:52]
	s_waitcnt vmcnt(8) lgkmcnt(1)
	v_mul_f64 v[51:52], v[6:7], v[38:39]
	v_mul_f64 v[38:39], v[8:9], v[38:39]
	v_add_f64 v[62:63], v[30:31], v[72:73]
	scratch_load_b128 v[30:33], off, off offset:992
	v_add_f64 v[48:49], v[48:49], v[55:56]
	v_fma_f64 v[51:52], v[8:9], v[36:37], v[51:52]
	v_fma_f64 v[38:39], v[6:7], v[36:37], -v[38:39]
	s_waitcnt vmcnt(8) lgkmcnt(0)
	v_mul_f64 v[55:56], v[66:67], v[24:25]
	v_mul_f64 v[24:25], v[68:69], v[24:25]
	v_add_f64 v[62:63], v[62:63], v[34:35]
	ds_load_b128 v[6:9], v1 offset:1888
	ds_load_b128 v[34:37], v1 offset:1904
	v_add_f64 v[48:49], v[48:49], v[64:65]
	v_fma_f64 v[55:56], v[68:69], v[22:23], v[55:56]
	v_fma_f64 v[22:23], v[66:67], v[22:23], -v[24:25]
	s_waitcnt vmcnt(7) lgkmcnt(1)
	v_mul_f64 v[64:65], v[6:7], v[28:29]
	v_mul_f64 v[28:29], v[8:9], v[28:29]
	v_add_f64 v[24:25], v[62:63], v[38:39]
	v_add_f64 v[38:39], v[48:49], v[51:52]
	s_waitcnt vmcnt(6) lgkmcnt(0)
	v_mul_f64 v[48:49], v[34:35], v[16:17]
	v_mul_f64 v[16:17], v[36:37], v[16:17]
	v_fma_f64 v[51:52], v[8:9], v[26:27], v[64:65]
	v_fma_f64 v[26:27], v[6:7], v[26:27], -v[28:29]
	v_add_f64 v[28:29], v[24:25], v[22:23]
	ds_load_b128 v[6:9], v1 offset:1920
	ds_load_b128 v[22:25], v1 offset:1936
	v_add_f64 v[38:39], v[38:39], v[55:56]
	v_fma_f64 v[36:37], v[36:37], v[14:15], v[48:49]
	v_fma_f64 v[14:15], v[34:35], v[14:15], -v[16:17]
	s_waitcnt vmcnt(5) lgkmcnt(1)
	v_mul_f64 v[55:56], v[6:7], v[20:21]
	v_mul_f64 v[20:21], v[8:9], v[20:21]
	s_waitcnt vmcnt(4) lgkmcnt(0)
	v_mul_f64 v[34:35], v[24:25], v[60:61]
	v_add_f64 v[16:17], v[28:29], v[26:27]
	v_mul_f64 v[28:29], v[22:23], v[60:61]
	v_add_f64 v[26:27], v[38:39], v[51:52]
	v_fma_f64 v[38:39], v[8:9], v[18:19], v[55:56]
	v_fma_f64 v[18:19], v[6:7], v[18:19], -v[20:21]
	v_fma_f64 v[22:23], v[22:23], v[58:59], -v[34:35]
	v_add_f64 v[20:21], v[16:17], v[14:15]
	ds_load_b128 v[6:9], v1 offset:1952
	ds_load_b128 v[14:17], v1 offset:1968
	v_add_f64 v[26:27], v[26:27], v[36:37]
	v_fma_f64 v[24:25], v[24:25], v[58:59], v[28:29]
	s_waitcnt vmcnt(3) lgkmcnt(1)
	v_mul_f64 v[36:37], v[6:7], v[12:13]
	v_mul_f64 v[12:13], v[8:9], v[12:13]
	s_waitcnt vmcnt(2) lgkmcnt(0)
	v_mul_f64 v[28:29], v[16:17], v[42:43]
	v_add_f64 v[18:19], v[20:21], v[18:19]
	v_add_f64 v[20:21], v[26:27], v[38:39]
	v_mul_f64 v[26:27], v[14:15], v[42:43]
	v_fma_f64 v[34:35], v[8:9], v[10:11], v[36:37]
	v_fma_f64 v[36:37], v[6:7], v[10:11], -v[12:13]
	ds_load_b128 v[6:9], v1 offset:1984
	ds_load_b128 v[10:13], v1 offset:2000
	v_fma_f64 v[14:15], v[14:15], v[40:41], -v[28:29]
	v_add_f64 v[18:19], v[18:19], v[22:23]
	v_add_f64 v[20:21], v[20:21], v[24:25]
	s_waitcnt vmcnt(1) lgkmcnt(1)
	v_mul_f64 v[22:23], v[6:7], v[46:47]
	v_mul_f64 v[24:25], v[8:9], v[46:47]
	v_fma_f64 v[16:17], v[16:17], v[40:41], v[26:27]
	v_add_f64 v[18:19], v[18:19], v[36:37]
	v_add_f64 v[20:21], v[20:21], v[34:35]
	v_fma_f64 v[8:9], v[8:9], v[44:45], v[22:23]
	v_fma_f64 v[6:7], v[6:7], v[44:45], -v[24:25]
	s_waitcnt vmcnt(0) lgkmcnt(0)
	v_mul_f64 v[26:27], v[10:11], v[32:33]
	v_mul_f64 v[28:29], v[12:13], v[32:33]
	v_add_f64 v[14:15], v[18:19], v[14:15]
	v_add_f64 v[16:17], v[20:21], v[16:17]
	s_delay_alu instid0(VALU_DEP_4) | instskip(NEXT) | instid1(VALU_DEP_4)
	v_fma_f64 v[12:13], v[12:13], v[30:31], v[26:27]
	v_fma_f64 v[10:11], v[10:11], v[30:31], -v[28:29]
	s_delay_alu instid0(VALU_DEP_4) | instskip(NEXT) | instid1(VALU_DEP_4)
	v_add_f64 v[6:7], v[14:15], v[6:7]
	v_add_f64 v[8:9], v[16:17], v[8:9]
	s_delay_alu instid0(VALU_DEP_2) | instskip(NEXT) | instid1(VALU_DEP_2)
	v_add_f64 v[6:7], v[6:7], v[10:11]
	v_add_f64 v[8:9], v[8:9], v[12:13]
	s_delay_alu instid0(VALU_DEP_2) | instskip(NEXT) | instid1(VALU_DEP_2)
	v_add_f64 v[1:2], v[2:3], -v[6:7]
	v_add_f64 v[3:4], v[4:5], -v[8:9]
	scratch_store_b128 off, v[1:4], off offset:160
	v_cmpx_lt_u32_e32 9, v179
	s_cbranch_execz .LBB126_385
; %bb.384:
	scratch_load_b32 v1, off, off offset:1040 ; 4-byte Folded Reload
	v_mov_b32_e32 v5, 0
	s_delay_alu instid0(VALU_DEP_1)
	v_mov_b32_e32 v6, v5
	v_mov_b32_e32 v7, v5
	;; [unrolled: 1-line block ×3, first 2 shown]
	s_waitcnt vmcnt(0)
	scratch_load_b128 v[1:4], v1, off
	scratch_store_b128 off, v[5:8], off offset:144
	s_waitcnt vmcnt(0)
	ds_store_b128 v244, v[1:4]
.LBB126_385:
	s_or_b32 exec_lo, exec_lo, s2
	s_waitcnt lgkmcnt(0)
	s_waitcnt_vscnt null, 0x0
	s_barrier
	buffer_gl0_inv
	s_clause 0x7
	scratch_load_b128 v[34:37], off, off offset:160
	scratch_load_b128 v[38:41], off, off offset:176
	scratch_load_b128 v[30:33], off, off offset:192
	scratch_load_b128 v[26:29], off, off offset:208
	scratch_load_b128 v[22:25], off, off offset:224
	scratch_load_b128 v[18:21], off, off offset:240
	scratch_load_b128 v[10:13], off, off offset:256
	scratch_load_b128 v[6:9], off, off offset:272
	v_mov_b32_e32 v1, 0
	s_mov_b32 s2, exec_lo
	ds_load_b128 v[46:49], v1 offset:1168
	s_clause 0x1
	scratch_load_b128 v[14:17], off, off offset:288
	scratch_load_b128 v[2:5], off, off offset:144
	ds_load_b128 v[42:45], v1 offset:1184
	scratch_load_b128 v[58:61], off, off offset:304
	ds_load_b128 v[62:65], v1 offset:1216
	s_waitcnt vmcnt(10) lgkmcnt(2)
	v_mul_f64 v[51:52], v[48:49], v[36:37]
	v_mul_f64 v[36:37], v[46:47], v[36:37]
	s_delay_alu instid0(VALU_DEP_2) | instskip(NEXT) | instid1(VALU_DEP_2)
	v_fma_f64 v[51:52], v[46:47], v[34:35], -v[51:52]
	v_fma_f64 v[66:67], v[48:49], v[34:35], v[36:37]
	ds_load_b128 v[34:37], v1 offset:1200
	s_waitcnt vmcnt(9) lgkmcnt(2)
	v_mul_f64 v[55:56], v[42:43], v[40:41]
	v_mul_f64 v[40:41], v[44:45], v[40:41]
	scratch_load_b128 v[46:49], off, off offset:320
	s_waitcnt vmcnt(9) lgkmcnt(0)
	v_mul_f64 v[68:69], v[34:35], v[32:33]
	v_mul_f64 v[32:33], v[36:37], v[32:33]
	v_add_f64 v[51:52], v[51:52], 0
	v_fma_f64 v[44:45], v[44:45], v[38:39], v[55:56]
	v_fma_f64 v[42:43], v[42:43], v[38:39], -v[40:41]
	v_add_f64 v[55:56], v[66:67], 0
	scratch_load_b128 v[38:41], off, off offset:336
	v_fma_f64 v[36:37], v[36:37], v[30:31], v[68:69]
	v_fma_f64 v[68:69], v[34:35], v[30:31], -v[32:33]
	scratch_load_b128 v[32:35], off, off offset:352
	v_add_f64 v[51:52], v[51:52], v[42:43]
	v_add_f64 v[55:56], v[55:56], v[44:45]
	ds_load_b128 v[42:45], v1 offset:1248
	s_waitcnt vmcnt(10)
	v_mul_f64 v[66:67], v[62:63], v[28:29]
	v_mul_f64 v[70:71], v[64:65], v[28:29]
	ds_load_b128 v[28:31], v1 offset:1232
	v_add_f64 v[51:52], v[51:52], v[68:69]
	v_add_f64 v[36:37], v[55:56], v[36:37]
	s_waitcnt vmcnt(8) lgkmcnt(1)
	v_mul_f64 v[55:56], v[42:43], v[20:21]
	v_fma_f64 v[64:65], v[64:65], v[26:27], v[66:67]
	v_fma_f64 v[62:63], v[62:63], v[26:27], -v[70:71]
	v_mul_f64 v[66:67], v[44:45], v[20:21]
	s_delay_alu instid0(VALU_DEP_4) | instskip(NEXT) | instid1(VALU_DEP_4)
	v_fma_f64 v[55:56], v[44:45], v[18:19], v[55:56]
	v_add_f64 v[36:37], v[36:37], v[64:65]
	s_delay_alu instid0(VALU_DEP_4)
	v_add_f64 v[51:52], v[51:52], v[62:63]
	ds_load_b128 v[62:65], v1 offset:1280
	s_waitcnt lgkmcnt(1)
	v_mul_f64 v[72:73], v[28:29], v[24:25]
	v_mul_f64 v[74:75], v[30:31], v[24:25]
	scratch_load_b128 v[24:27], off, off offset:368
	v_fma_f64 v[18:19], v[42:43], v[18:19], -v[66:67]
	scratch_load_b128 v[42:45], off, off offset:400
	v_fma_f64 v[68:69], v[30:31], v[22:23], v[72:73]
	v_fma_f64 v[70:71], v[28:29], v[22:23], -v[74:75]
	ds_load_b128 v[20:23], v1 offset:1264
	scratch_load_b128 v[28:31], off, off offset:384
	s_waitcnt vmcnt(9) lgkmcnt(1)
	v_mul_f64 v[74:75], v[64:65], v[8:9]
	v_add_f64 v[36:37], v[36:37], v[68:69]
	ds_load_b128 v[66:69], v1 offset:1312
	s_waitcnt lgkmcnt(1)
	v_mul_f64 v[72:73], v[20:21], v[12:13]
	v_mul_f64 v[12:13], v[22:23], v[12:13]
	v_add_f64 v[51:52], v[51:52], v[70:71]
	v_mul_f64 v[70:71], v[62:63], v[8:9]
	v_add_f64 v[36:37], v[36:37], v[55:56]
	v_fma_f64 v[22:23], v[22:23], v[10:11], v[72:73]
	v_fma_f64 v[12:13], v[20:21], v[10:11], -v[12:13]
	v_add_f64 v[51:52], v[51:52], v[18:19]
	ds_load_b128 v[8:11], v1 offset:1296
	scratch_load_b128 v[18:21], off, off offset:416
	v_fma_f64 v[70:71], v[64:65], v[6:7], v[70:71]
	v_fma_f64 v[6:7], v[62:63], v[6:7], -v[74:75]
	scratch_load_b128 v[62:65], off, off offset:432
	s_waitcnt vmcnt(10) lgkmcnt(0)
	v_mul_f64 v[55:56], v[8:9], v[16:17]
	v_mul_f64 v[16:17], v[10:11], v[16:17]
	v_add_f64 v[22:23], v[36:37], v[22:23]
	s_waitcnt vmcnt(8)
	v_mul_f64 v[36:37], v[66:67], v[60:61]
	v_add_f64 v[12:13], v[51:52], v[12:13]
	v_mul_f64 v[51:52], v[68:69], v[60:61]
	v_fma_f64 v[55:56], v[10:11], v[14:15], v[55:56]
	v_fma_f64 v[60:61], v[8:9], v[14:15], -v[16:17]
	ds_load_b128 v[14:17], v1 offset:1344
	v_add_f64 v[22:23], v[22:23], v[70:71]
	v_fma_f64 v[36:37], v[68:69], v[58:59], v[36:37]
	v_add_f64 v[72:73], v[12:13], v[6:7]
	scratch_load_b128 v[10:13], off, off offset:448
	ds_load_b128 v[6:9], v1 offset:1328
	v_fma_f64 v[51:52], v[66:67], v[58:59], -v[51:52]
	s_waitcnt vmcnt(8) lgkmcnt(0)
	v_mul_f64 v[70:71], v[6:7], v[48:49]
	v_mul_f64 v[48:49], v[8:9], v[48:49]
	v_add_f64 v[22:23], v[22:23], v[55:56]
	s_waitcnt vmcnt(7)
	v_mul_f64 v[55:56], v[14:15], v[40:41]
	v_add_f64 v[66:67], v[72:73], v[60:61]
	scratch_load_b128 v[58:61], off, off offset:464
	v_mul_f64 v[40:41], v[16:17], v[40:41]
	v_fma_f64 v[70:71], v[8:9], v[46:47], v[70:71]
	v_fma_f64 v[72:73], v[6:7], v[46:47], -v[48:49]
	scratch_load_b128 v[46:49], off, off offset:480
	ds_load_b128 v[6:9], v1 offset:1360
	v_add_f64 v[22:23], v[22:23], v[36:37]
	v_fma_f64 v[55:56], v[16:17], v[38:39], v[55:56]
	v_add_f64 v[51:52], v[66:67], v[51:52]
	ds_load_b128 v[66:69], v1 offset:1376
	v_fma_f64 v[38:39], v[14:15], v[38:39], -v[40:41]
	scratch_load_b128 v[14:17], off, off offset:496
	s_waitcnt vmcnt(9) lgkmcnt(1)
	v_mul_f64 v[36:37], v[6:7], v[34:35]
	v_mul_f64 v[34:35], v[8:9], v[34:35]
	v_add_f64 v[22:23], v[22:23], v[70:71]
	v_add_f64 v[40:41], v[51:52], v[72:73]
	s_delay_alu instid0(VALU_DEP_4) | instskip(NEXT) | instid1(VALU_DEP_4)
	v_fma_f64 v[70:71], v[8:9], v[32:33], v[36:37]
	v_fma_f64 v[72:73], v[6:7], v[32:33], -v[34:35]
	scratch_load_b128 v[32:35], off, off offset:512
	ds_load_b128 v[6:9], v1 offset:1392
	s_waitcnt vmcnt(9) lgkmcnt(1)
	v_mul_f64 v[51:52], v[66:67], v[26:27]
	v_mul_f64 v[26:27], v[68:69], v[26:27]
	v_add_f64 v[22:23], v[22:23], v[55:56]
	v_add_f64 v[40:41], v[40:41], v[38:39]
	ds_load_b128 v[36:39], v1 offset:1408
	v_fma_f64 v[51:52], v[68:69], v[24:25], v[51:52]
	s_waitcnt vmcnt(7) lgkmcnt(1)
	v_mul_f64 v[55:56], v[6:7], v[30:31]
	v_mul_f64 v[30:31], v[8:9], v[30:31]
	v_fma_f64 v[26:27], v[66:67], v[24:25], -v[26:27]
	v_add_f64 v[66:67], v[22:23], v[70:71]
	scratch_load_b128 v[22:25], off, off offset:528
	v_add_f64 v[40:41], v[40:41], v[72:73]
	s_waitcnt lgkmcnt(0)
	v_mul_f64 v[70:71], v[36:37], v[44:45]
	v_mul_f64 v[44:45], v[38:39], v[44:45]
	v_fma_f64 v[55:56], v[8:9], v[28:29], v[55:56]
	v_fma_f64 v[30:31], v[6:7], v[28:29], -v[30:31]
	ds_load_b128 v[6:9], v1 offset:1424
	v_add_f64 v[51:52], v[66:67], v[51:52]
	ds_load_b128 v[66:69], v1 offset:1440
	v_add_f64 v[40:41], v[40:41], v[26:27]
	scratch_load_b128 v[26:29], off, off offset:544
	v_fma_f64 v[70:71], v[38:39], v[42:43], v[70:71]
	v_fma_f64 v[42:43], v[36:37], v[42:43], -v[44:45]
	scratch_load_b128 v[36:39], off, off offset:560
	s_waitcnt vmcnt(9) lgkmcnt(1)
	v_mul_f64 v[72:73], v[6:7], v[20:21]
	v_mul_f64 v[20:21], v[8:9], v[20:21]
	s_waitcnt vmcnt(8) lgkmcnt(0)
	v_mul_f64 v[44:45], v[66:67], v[64:65]
	v_add_f64 v[30:31], v[40:41], v[30:31]
	v_add_f64 v[40:41], v[51:52], v[55:56]
	v_mul_f64 v[51:52], v[68:69], v[64:65]
	v_fma_f64 v[55:56], v[8:9], v[18:19], v[72:73]
	v_fma_f64 v[64:65], v[6:7], v[18:19], -v[20:21]
	scratch_load_b128 v[18:21], off, off offset:576
	ds_load_b128 v[6:9], v1 offset:1456
	v_fma_f64 v[44:45], v[68:69], v[62:63], v[44:45]
	v_add_f64 v[30:31], v[30:31], v[42:43]
	v_add_f64 v[70:71], v[40:41], v[70:71]
	ds_load_b128 v[40:43], v1 offset:1472
	v_fma_f64 v[51:52], v[66:67], v[62:63], -v[51:52]
	ds_load_b128 v[66:69], v1 offset:1504
	s_waitcnt vmcnt(8) lgkmcnt(2)
	v_mul_f64 v[72:73], v[6:7], v[12:13]
	v_mul_f64 v[12:13], v[8:9], v[12:13]
	v_add_f64 v[30:31], v[30:31], v[64:65]
	v_add_f64 v[55:56], v[70:71], v[55:56]
	scratch_load_b128 v[62:65], off, off offset:592
	s_waitcnt vmcnt(8) lgkmcnt(1)
	v_mul_f64 v[70:71], v[40:41], v[60:61]
	v_mul_f64 v[60:61], v[42:43], v[60:61]
	v_fma_f64 v[72:73], v[8:9], v[10:11], v[72:73]
	v_fma_f64 v[74:75], v[6:7], v[10:11], -v[12:13]
	scratch_load_b128 v[10:13], off, off offset:608
	ds_load_b128 v[6:9], v1 offset:1488
	v_add_f64 v[30:31], v[30:31], v[51:52]
	v_add_f64 v[44:45], v[55:56], v[44:45]
	s_waitcnt vmcnt(8) lgkmcnt(0)
	v_mul_f64 v[51:52], v[6:7], v[48:49]
	v_mul_f64 v[48:49], v[8:9], v[48:49]
	v_fma_f64 v[55:56], v[42:43], v[58:59], v[70:71]
	v_fma_f64 v[58:59], v[40:41], v[58:59], -v[60:61]
	scratch_load_b128 v[40:43], off, off offset:624
	s_waitcnt vmcnt(8)
	v_mul_f64 v[70:71], v[66:67], v[16:17]
	v_mul_f64 v[16:17], v[68:69], v[16:17]
	v_add_f64 v[30:31], v[30:31], v[74:75]
	v_add_f64 v[44:45], v[44:45], v[72:73]
	v_fma_f64 v[51:52], v[8:9], v[46:47], v[51:52]
	v_fma_f64 v[48:49], v[6:7], v[46:47], -v[48:49]
	ds_load_b128 v[6:9], v1 offset:1520
	v_fma_f64 v[68:69], v[68:69], v[14:15], v[70:71]
	v_fma_f64 v[66:67], v[66:67], v[14:15], -v[16:17]
	scratch_load_b128 v[14:17], off, off offset:656
	v_add_f64 v[30:31], v[30:31], v[58:59]
	v_add_f64 v[55:56], v[44:45], v[55:56]
	scratch_load_b128 v[44:47], off, off offset:640
	ds_load_b128 v[58:61], v1 offset:1536
	s_waitcnt vmcnt(9) lgkmcnt(1)
	v_mul_f64 v[72:73], v[6:7], v[34:35]
	v_mul_f64 v[34:35], v[8:9], v[34:35]
	v_add_f64 v[30:31], v[30:31], v[48:49]
	v_add_f64 v[48:49], v[55:56], v[51:52]
	s_delay_alu instid0(VALU_DEP_4) | instskip(NEXT) | instid1(VALU_DEP_4)
	v_fma_f64 v[55:56], v[8:9], v[32:33], v[72:73]
	v_fma_f64 v[34:35], v[6:7], v[32:33], -v[34:35]
	ds_load_b128 v[6:9], v1 offset:1552
	s_waitcnt vmcnt(8) lgkmcnt(1)
	v_mul_f64 v[51:52], v[58:59], v[24:25]
	v_mul_f64 v[24:25], v[60:61], v[24:25]
	v_add_f64 v[70:71], v[30:31], v[66:67]
	v_add_f64 v[48:49], v[48:49], v[68:69]
	ds_load_b128 v[66:69], v1 offset:1568
	scratch_load_b128 v[30:33], off, off offset:672
	v_fma_f64 v[51:52], v[60:61], v[22:23], v[51:52]
	v_fma_f64 v[58:59], v[58:59], v[22:23], -v[24:25]
	s_waitcnt vmcnt(8) lgkmcnt(1)
	v_mul_f64 v[72:73], v[6:7], v[28:29]
	v_mul_f64 v[28:29], v[8:9], v[28:29]
	scratch_load_b128 v[22:25], off, off offset:688
	v_add_f64 v[34:35], v[70:71], v[34:35]
	v_add_f64 v[48:49], v[48:49], v[55:56]
	s_waitcnt vmcnt(8) lgkmcnt(0)
	v_mul_f64 v[55:56], v[66:67], v[38:39]
	v_mul_f64 v[38:39], v[68:69], v[38:39]
	v_fma_f64 v[70:71], v[8:9], v[26:27], v[72:73]
	v_fma_f64 v[72:73], v[6:7], v[26:27], -v[28:29]
	scratch_load_b128 v[26:29], off, off offset:704
	ds_load_b128 v[6:9], v1 offset:1584
	v_add_f64 v[34:35], v[34:35], v[58:59]
	ds_load_b128 v[58:61], v1 offset:1600
	v_add_f64 v[48:49], v[48:49], v[51:52]
	s_waitcnt vmcnt(8) lgkmcnt(1)
	v_mul_f64 v[51:52], v[6:7], v[20:21]
	v_mul_f64 v[20:21], v[8:9], v[20:21]
	v_fma_f64 v[55:56], v[68:69], v[36:37], v[55:56]
	v_fma_f64 v[38:39], v[66:67], v[36:37], -v[38:39]
	v_add_f64 v[66:67], v[34:35], v[72:73]
	scratch_load_b128 v[34:37], off, off offset:720
	v_add_f64 v[48:49], v[48:49], v[70:71]
	v_fma_f64 v[51:52], v[8:9], v[18:19], v[51:52]
	v_fma_f64 v[72:73], v[6:7], v[18:19], -v[20:21]
	scratch_load_b128 v[18:21], off, off offset:736
	ds_load_b128 v[6:9], v1 offset:1616
	s_waitcnt vmcnt(9) lgkmcnt(1)
	v_mul_f64 v[68:69], v[58:59], v[64:65]
	v_mul_f64 v[70:71], v[60:61], v[64:65]
	v_add_f64 v[38:39], v[66:67], v[38:39]
	ds_load_b128 v[64:67], v1 offset:1632
	v_add_f64 v[48:49], v[48:49], v[55:56]
	s_waitcnt vmcnt(8) lgkmcnt(1)
	v_mul_f64 v[55:56], v[6:7], v[12:13]
	v_mul_f64 v[12:13], v[8:9], v[12:13]
	v_fma_f64 v[68:69], v[60:61], v[62:63], v[68:69]
	v_fma_f64 v[62:63], v[58:59], v[62:63], -v[70:71]
	scratch_load_b128 v[58:61], off, off offset:752
	v_add_f64 v[38:39], v[38:39], v[72:73]
	v_add_f64 v[48:49], v[48:49], v[51:52]
	s_waitcnt vmcnt(8) lgkmcnt(0)
	v_mul_f64 v[51:52], v[64:65], v[42:43]
	v_mul_f64 v[42:43], v[66:67], v[42:43]
	v_fma_f64 v[55:56], v[8:9], v[10:11], v[55:56]
	v_fma_f64 v[72:73], v[6:7], v[10:11], -v[12:13]
	scratch_load_b128 v[10:13], off, off offset:768
	ds_load_b128 v[6:9], v1 offset:1648
	v_add_f64 v[38:39], v[38:39], v[62:63]
	v_add_f64 v[48:49], v[48:49], v[68:69]
	ds_load_b128 v[68:71], v1 offset:1664
	v_fma_f64 v[51:52], v[66:67], v[40:41], v[51:52]
	v_fma_f64 v[42:43], v[64:65], v[40:41], -v[42:43]
	s_waitcnt vmcnt(7) lgkmcnt(1)
	v_mul_f64 v[62:63], v[6:7], v[46:47]
	v_mul_f64 v[46:47], v[8:9], v[46:47]
	v_add_f64 v[64:65], v[38:39], v[72:73]
	scratch_load_b128 v[38:41], off, off offset:784
	v_add_f64 v[48:49], v[48:49], v[55:56]
	s_waitcnt lgkmcnt(0)
	v_mul_f64 v[55:56], v[68:69], v[16:17]
	v_mul_f64 v[16:17], v[70:71], v[16:17]
	v_fma_f64 v[62:63], v[8:9], v[44:45], v[62:63]
	v_fma_f64 v[66:67], v[6:7], v[44:45], -v[46:47]
	ds_load_b128 v[6:9], v1 offset:1680
	v_add_f64 v[64:65], v[64:65], v[42:43]
	scratch_load_b128 v[42:45], off, off offset:800
	v_add_f64 v[51:52], v[48:49], v[51:52]
	ds_load_b128 v[46:49], v1 offset:1696
	v_fma_f64 v[55:56], v[70:71], v[14:15], v[55:56]
	v_fma_f64 v[68:69], v[68:69], v[14:15], -v[16:17]
	scratch_load_b128 v[14:17], off, off offset:816
	s_waitcnt vmcnt(9) lgkmcnt(1)
	v_mul_f64 v[72:73], v[6:7], v[32:33]
	v_mul_f64 v[32:33], v[8:9], v[32:33]
	v_add_f64 v[64:65], v[64:65], v[66:67]
	s_waitcnt vmcnt(8) lgkmcnt(0)
	v_mul_f64 v[66:67], v[46:47], v[24:25]
	v_add_f64 v[51:52], v[51:52], v[62:63]
	v_mul_f64 v[24:25], v[48:49], v[24:25]
	v_fma_f64 v[70:71], v[8:9], v[30:31], v[72:73]
	v_fma_f64 v[72:73], v[6:7], v[30:31], -v[32:33]
	scratch_load_b128 v[30:33], off, off offset:832
	ds_load_b128 v[6:9], v1 offset:1712
	v_add_f64 v[68:69], v[64:65], v[68:69]
	ds_load_b128 v[62:65], v1 offset:1728
	v_add_f64 v[51:52], v[51:52], v[55:56]
	v_fma_f64 v[48:49], v[48:49], v[22:23], v[66:67]
	s_waitcnt vmcnt(8) lgkmcnt(1)
	v_mul_f64 v[55:56], v[6:7], v[28:29]
	v_mul_f64 v[28:29], v[8:9], v[28:29]
	v_fma_f64 v[46:47], v[46:47], v[22:23], -v[24:25]
	scratch_load_b128 v[22:25], off, off offset:848
	v_add_f64 v[66:67], v[68:69], v[72:73]
	v_add_f64 v[51:52], v[51:52], v[70:71]
	v_fma_f64 v[55:56], v[8:9], v[26:27], v[55:56]
	v_fma_f64 v[70:71], v[6:7], v[26:27], -v[28:29]
	scratch_load_b128 v[26:29], off, off offset:864
	ds_load_b128 v[6:9], v1 offset:1744
	s_waitcnt vmcnt(9) lgkmcnt(1)
	v_mul_f64 v[68:69], v[62:63], v[36:37]
	v_mul_f64 v[36:37], v[64:65], v[36:37]
	v_add_f64 v[66:67], v[66:67], v[46:47]
	v_add_f64 v[51:52], v[51:52], v[48:49]
	ds_load_b128 v[46:49], v1 offset:1760
	s_waitcnt vmcnt(8) lgkmcnt(1)
	v_mul_f64 v[72:73], v[6:7], v[20:21]
	v_mul_f64 v[20:21], v[8:9], v[20:21]
	v_fma_f64 v[64:65], v[64:65], v[34:35], v[68:69]
	v_fma_f64 v[62:63], v[62:63], v[34:35], -v[36:37]
	scratch_load_b128 v[34:37], off, off offset:880
	s_waitcnt vmcnt(8) lgkmcnt(0)
	v_mul_f64 v[68:69], v[48:49], v[60:61]
	v_add_f64 v[66:67], v[66:67], v[70:71]
	v_add_f64 v[51:52], v[51:52], v[55:56]
	v_mul_f64 v[55:56], v[46:47], v[60:61]
	v_fma_f64 v[70:71], v[8:9], v[18:19], v[72:73]
	v_fma_f64 v[72:73], v[6:7], v[18:19], -v[20:21]
	scratch_load_b128 v[18:21], off, off offset:896
	ds_load_b128 v[6:9], v1 offset:1776
	v_add_f64 v[66:67], v[66:67], v[62:63]
	ds_load_b128 v[60:63], v1 offset:1792
	v_add_f64 v[51:52], v[51:52], v[64:65]
	s_waitcnt vmcnt(8) lgkmcnt(1)
	v_mul_f64 v[64:65], v[6:7], v[12:13]
	v_mul_f64 v[12:13], v[8:9], v[12:13]
	v_fma_f64 v[55:56], v[48:49], v[58:59], v[55:56]
	v_fma_f64 v[58:59], v[46:47], v[58:59], -v[68:69]
	scratch_load_b128 v[46:49], off, off offset:912
	v_add_f64 v[66:67], v[66:67], v[72:73]
	v_add_f64 v[51:52], v[51:52], v[70:71]
	v_fma_f64 v[70:71], v[8:9], v[10:11], v[64:65]
	v_fma_f64 v[72:73], v[6:7], v[10:11], -v[12:13]
	scratch_load_b128 v[10:13], off, off offset:928
	ds_load_b128 v[6:9], v1 offset:1808
	s_waitcnt vmcnt(9) lgkmcnt(1)
	v_mul_f64 v[68:69], v[60:61], v[40:41]
	v_mul_f64 v[40:41], v[62:63], v[40:41]
	v_add_f64 v[58:59], v[66:67], v[58:59]
	ds_load_b128 v[64:67], v1 offset:1824
	v_add_f64 v[51:52], v[51:52], v[55:56]
	s_waitcnt vmcnt(8) lgkmcnt(1)
	v_mul_f64 v[55:56], v[6:7], v[44:45]
	v_mul_f64 v[44:45], v[8:9], v[44:45]
	v_fma_f64 v[62:63], v[62:63], v[38:39], v[68:69]
	v_fma_f64 v[60:61], v[60:61], v[38:39], -v[40:41]
	scratch_load_b128 v[38:41], off, off offset:944
	s_waitcnt vmcnt(8) lgkmcnt(0)
	v_mul_f64 v[68:69], v[64:65], v[16:17]
	v_mul_f64 v[16:17], v[66:67], v[16:17]
	v_add_f64 v[58:59], v[58:59], v[72:73]
	v_add_f64 v[51:52], v[51:52], v[70:71]
	v_fma_f64 v[55:56], v[8:9], v[42:43], v[55:56]
	v_fma_f64 v[70:71], v[6:7], v[42:43], -v[44:45]
	scratch_load_b128 v[42:45], off, off offset:960
	ds_load_b128 v[6:9], v1 offset:1840
	v_fma_f64 v[66:67], v[66:67], v[14:15], v[68:69]
	v_fma_f64 v[64:65], v[64:65], v[14:15], -v[16:17]
	scratch_load_b128 v[14:17], off, off offset:976
	v_add_f64 v[72:73], v[58:59], v[60:61]
	ds_load_b128 v[58:61], v1 offset:1856
	v_add_f64 v[51:52], v[51:52], v[62:63]
	s_waitcnt vmcnt(9) lgkmcnt(1)
	v_mul_f64 v[62:63], v[6:7], v[32:33]
	v_mul_f64 v[32:33], v[8:9], v[32:33]
	v_add_f64 v[68:69], v[72:73], v[70:71]
	s_delay_alu instid0(VALU_DEP_4)
	v_add_f64 v[51:52], v[51:52], v[55:56]
	s_waitcnt vmcnt(8) lgkmcnt(0)
	v_mul_f64 v[55:56], v[58:59], v[24:25]
	v_mul_f64 v[24:25], v[60:61], v[24:25]
	v_fma_f64 v[70:71], v[8:9], v[30:31], v[62:63]
	v_fma_f64 v[72:73], v[6:7], v[30:31], -v[32:33]
	scratch_load_b128 v[30:33], off, off offset:992
	ds_load_b128 v[6:9], v1 offset:1872
	v_add_f64 v[68:69], v[68:69], v[64:65]
	ds_load_b128 v[62:65], v1 offset:1888
	v_add_f64 v[51:52], v[51:52], v[66:67]
	s_waitcnt vmcnt(8) lgkmcnt(1)
	v_mul_f64 v[66:67], v[6:7], v[28:29]
	v_mul_f64 v[28:29], v[8:9], v[28:29]
	v_fma_f64 v[55:56], v[60:61], v[22:23], v[55:56]
	v_fma_f64 v[22:23], v[58:59], v[22:23], -v[24:25]
	s_waitcnt vmcnt(7) lgkmcnt(0)
	v_mul_f64 v[58:59], v[62:63], v[36:37]
	v_mul_f64 v[36:37], v[64:65], v[36:37]
	v_add_f64 v[24:25], v[68:69], v[72:73]
	v_add_f64 v[51:52], v[51:52], v[70:71]
	v_fma_f64 v[60:61], v[8:9], v[26:27], v[66:67]
	v_fma_f64 v[26:27], v[6:7], v[26:27], -v[28:29]
	v_fma_f64 v[58:59], v[64:65], v[34:35], v[58:59]
	v_fma_f64 v[34:35], v[62:63], v[34:35], -v[36:37]
	v_add_f64 v[28:29], v[24:25], v[22:23]
	ds_load_b128 v[6:9], v1 offset:1904
	ds_load_b128 v[22:25], v1 offset:1920
	v_add_f64 v[51:52], v[51:52], v[55:56]
	s_waitcnt vmcnt(6) lgkmcnt(1)
	v_mul_f64 v[55:56], v[6:7], v[20:21]
	v_mul_f64 v[20:21], v[8:9], v[20:21]
	s_waitcnt vmcnt(5) lgkmcnt(0)
	v_mul_f64 v[36:37], v[22:23], v[48:49]
	v_mul_f64 v[48:49], v[24:25], v[48:49]
	v_add_f64 v[26:27], v[28:29], v[26:27]
	v_add_f64 v[28:29], v[51:52], v[60:61]
	v_fma_f64 v[51:52], v[8:9], v[18:19], v[55:56]
	v_fma_f64 v[55:56], v[6:7], v[18:19], -v[20:21]
	ds_load_b128 v[6:9], v1 offset:1936
	ds_load_b128 v[18:21], v1 offset:1952
	v_fma_f64 v[24:25], v[24:25], v[46:47], v[36:37]
	v_fma_f64 v[22:23], v[22:23], v[46:47], -v[48:49]
	v_add_f64 v[26:27], v[26:27], v[34:35]
	v_add_f64 v[28:29], v[28:29], v[58:59]
	s_waitcnt vmcnt(4) lgkmcnt(1)
	v_mul_f64 v[34:35], v[6:7], v[12:13]
	v_mul_f64 v[12:13], v[8:9], v[12:13]
	s_waitcnt vmcnt(3) lgkmcnt(0)
	v_mul_f64 v[36:37], v[18:19], v[40:41]
	v_add_f64 v[26:27], v[26:27], v[55:56]
	v_mul_f64 v[40:41], v[20:21], v[40:41]
	v_add_f64 v[28:29], v[28:29], v[51:52]
	v_fma_f64 v[34:35], v[8:9], v[10:11], v[34:35]
	v_fma_f64 v[46:47], v[6:7], v[10:11], -v[12:13]
	ds_load_b128 v[6:9], v1 offset:1968
	ds_load_b128 v[10:13], v1 offset:1984
	v_fma_f64 v[20:21], v[20:21], v[38:39], v[36:37]
	v_add_f64 v[22:23], v[26:27], v[22:23]
	s_waitcnt vmcnt(2) lgkmcnt(1)
	v_mul_f64 v[26:27], v[6:7], v[44:45]
	v_add_f64 v[24:25], v[28:29], v[24:25]
	v_mul_f64 v[28:29], v[8:9], v[44:45]
	v_fma_f64 v[18:19], v[18:19], v[38:39], -v[40:41]
	v_add_f64 v[22:23], v[22:23], v[46:47]
	v_fma_f64 v[26:27], v[8:9], v[42:43], v[26:27]
	v_add_f64 v[24:25], v[24:25], v[34:35]
	s_waitcnt vmcnt(1) lgkmcnt(0)
	v_mul_f64 v[34:35], v[10:11], v[16:17]
	v_mul_f64 v[16:17], v[12:13], v[16:17]
	v_fma_f64 v[28:29], v[6:7], v[42:43], -v[28:29]
	ds_load_b128 v[6:9], v1 offset:2000
	v_add_f64 v[18:19], v[22:23], v[18:19]
	s_waitcnt vmcnt(0) lgkmcnt(0)
	v_mul_f64 v[22:23], v[6:7], v[32:33]
	v_add_f64 v[20:21], v[24:25], v[20:21]
	v_mul_f64 v[24:25], v[8:9], v[32:33]
	v_fma_f64 v[12:13], v[12:13], v[14:15], v[34:35]
	v_fma_f64 v[10:11], v[10:11], v[14:15], -v[16:17]
	v_add_f64 v[14:15], v[18:19], v[28:29]
	v_fma_f64 v[8:9], v[8:9], v[30:31], v[22:23]
	v_add_f64 v[16:17], v[20:21], v[26:27]
	v_fma_f64 v[6:7], v[6:7], v[30:31], -v[24:25]
	s_delay_alu instid0(VALU_DEP_4) | instskip(NEXT) | instid1(VALU_DEP_3)
	v_add_f64 v[10:11], v[14:15], v[10:11]
	v_add_f64 v[12:13], v[16:17], v[12:13]
	s_delay_alu instid0(VALU_DEP_2) | instskip(NEXT) | instid1(VALU_DEP_2)
	v_add_f64 v[6:7], v[10:11], v[6:7]
	v_add_f64 v[8:9], v[12:13], v[8:9]
	s_delay_alu instid0(VALU_DEP_2) | instskip(NEXT) | instid1(VALU_DEP_2)
	v_add_f64 v[2:3], v[2:3], -v[6:7]
	v_add_f64 v[4:5], v[4:5], -v[8:9]
	scratch_store_b128 off, v[2:5], off offset:144
	v_cmpx_lt_u32_e32 8, v179
	s_cbranch_execz .LBB126_387
; %bb.386:
	scratch_load_b32 v2, off, off offset:1044 ; 4-byte Folded Reload
	v_mov_b32_e32 v3, v1
	v_mov_b32_e32 v4, v1
	s_waitcnt vmcnt(0)
	scratch_load_b128 v[5:8], v2, off
	v_mov_b32_e32 v2, v1
	scratch_store_b128 off, v[1:4], off offset:128
	s_waitcnt vmcnt(0)
	ds_store_b128 v244, v[5:8]
.LBB126_387:
	s_or_b32 exec_lo, exec_lo, s2
	s_waitcnt lgkmcnt(0)
	s_waitcnt_vscnt null, 0x0
	s_barrier
	buffer_gl0_inv
	s_clause 0x8
	scratch_load_b128 v[34:37], off, off offset:144
	scratch_load_b128 v[38:41], off, off offset:160
	;; [unrolled: 1-line block ×9, first 2 shown]
	ds_load_b128 v[46:49], v1 offset:1152
	ds_load_b128 v[42:45], v1 offset:1168
	s_clause 0x1
	scratch_load_b128 v[2:5], off, off offset:128
	scratch_load_b128 v[58:61], off, off offset:288
	s_mov_b32 s2, exec_lo
	ds_load_b128 v[62:65], v1 offset:1200
	s_waitcnt vmcnt(10) lgkmcnt(2)
	v_mul_f64 v[51:52], v[48:49], v[36:37]
	v_mul_f64 v[36:37], v[46:47], v[36:37]
	s_waitcnt vmcnt(9) lgkmcnt(1)
	v_mul_f64 v[55:56], v[42:43], v[40:41]
	v_mul_f64 v[40:41], v[44:45], v[40:41]
	s_waitcnt vmcnt(7) lgkmcnt(0)
	v_mul_f64 v[70:71], v[64:65], v[28:29]
	v_fma_f64 v[51:52], v[46:47], v[34:35], -v[51:52]
	v_fma_f64 v[66:67], v[48:49], v[34:35], v[36:37]
	ds_load_b128 v[34:37], v1 offset:1184
	scratch_load_b128 v[46:49], off, off offset:304
	v_fma_f64 v[44:45], v[44:45], v[38:39], v[55:56]
	v_fma_f64 v[42:43], v[42:43], v[38:39], -v[40:41]
	scratch_load_b128 v[38:41], off, off offset:320
	s_waitcnt lgkmcnt(0)
	v_mul_f64 v[68:69], v[34:35], v[32:33]
	v_mul_f64 v[32:33], v[36:37], v[32:33]
	v_add_f64 v[51:52], v[51:52], 0
	v_add_f64 v[55:56], v[66:67], 0
	v_mul_f64 v[66:67], v[62:63], v[28:29]
	v_fma_f64 v[62:63], v[62:63], v[26:27], -v[70:71]
	v_fma_f64 v[36:37], v[36:37], v[30:31], v[68:69]
	v_fma_f64 v[68:69], v[34:35], v[30:31], -v[32:33]
	ds_load_b128 v[28:31], v1 offset:1216
	scratch_load_b128 v[32:35], off, off offset:336
	v_add_f64 v[51:52], v[51:52], v[42:43]
	v_add_f64 v[55:56], v[55:56], v[44:45]
	ds_load_b128 v[42:45], v1 offset:1232
	v_fma_f64 v[64:65], v[64:65], v[26:27], v[66:67]
	s_waitcnt vmcnt(9) lgkmcnt(1)
	v_mul_f64 v[72:73], v[28:29], v[24:25]
	v_mul_f64 v[74:75], v[30:31], v[24:25]
	scratch_load_b128 v[24:27], off, off offset:352
	s_waitcnt vmcnt(9) lgkmcnt(0)
	v_mul_f64 v[66:67], v[44:45], v[20:21]
	v_add_f64 v[51:52], v[51:52], v[68:69]
	v_add_f64 v[36:37], v[55:56], v[36:37]
	v_mul_f64 v[55:56], v[42:43], v[20:21]
	v_fma_f64 v[68:69], v[30:31], v[22:23], v[72:73]
	v_fma_f64 v[70:71], v[28:29], v[22:23], -v[74:75]
	ds_load_b128 v[20:23], v1 offset:1248
	scratch_load_b128 v[28:31], off, off offset:368
	v_fma_f64 v[42:43], v[42:43], v[18:19], -v[66:67]
	v_add_f64 v[51:52], v[51:52], v[62:63]
	v_add_f64 v[36:37], v[36:37], v[64:65]
	ds_load_b128 v[62:65], v1 offset:1264
	s_waitcnt vmcnt(9) lgkmcnt(1)
	v_mul_f64 v[72:73], v[20:21], v[16:17]
	v_mul_f64 v[74:75], v[22:23], v[16:17]
	v_fma_f64 v[44:45], v[44:45], v[18:19], v[55:56]
	scratch_load_b128 v[16:19], off, off offset:384
	s_waitcnt vmcnt(9) lgkmcnt(0)
	v_mul_f64 v[55:56], v[62:63], v[12:13]
	v_mul_f64 v[66:67], v[64:65], v[12:13]
	v_add_f64 v[51:52], v[51:52], v[70:71]
	v_add_f64 v[36:37], v[36:37], v[68:69]
	v_fma_f64 v[68:69], v[22:23], v[14:15], v[72:73]
	v_fma_f64 v[70:71], v[20:21], v[14:15], -v[74:75]
	ds_load_b128 v[12:15], v1 offset:1280
	scratch_load_b128 v[20:23], off, off offset:400
	v_fma_f64 v[55:56], v[64:65], v[10:11], v[55:56]
	v_fma_f64 v[62:63], v[62:63], v[10:11], -v[66:67]
	ds_load_b128 v[64:67], v1 offset:1328
	v_add_f64 v[51:52], v[51:52], v[42:43]
	v_add_f64 v[36:37], v[36:37], v[44:45]
	ds_load_b128 v[42:45], v1 offset:1296
	s_waitcnt vmcnt(9) lgkmcnt(2)
	v_mul_f64 v[72:73], v[12:13], v[8:9]
	v_mul_f64 v[74:75], v[14:15], v[8:9]
	scratch_load_b128 v[8:11], off, off offset:416
	v_add_f64 v[51:52], v[51:52], v[70:71]
	v_add_f64 v[36:37], v[36:37], v[68:69]
	s_waitcnt vmcnt(8) lgkmcnt(0)
	v_mul_f64 v[68:69], v[42:43], v[60:61]
	v_mul_f64 v[70:71], v[44:45], v[60:61]
	v_fma_f64 v[72:73], v[14:15], v[6:7], v[72:73]
	v_fma_f64 v[6:7], v[12:13], v[6:7], -v[74:75]
	ds_load_b128 v[12:15], v1 offset:1312
	v_add_f64 v[51:52], v[51:52], v[62:63]
	v_add_f64 v[36:37], v[36:37], v[55:56]
	scratch_load_b128 v[60:63], off, off offset:432
	v_fma_f64 v[68:69], v[44:45], v[58:59], v[68:69]
	v_fma_f64 v[58:59], v[42:43], v[58:59], -v[70:71]
	scratch_load_b128 v[42:45], off, off offset:448
	s_waitcnt vmcnt(9) lgkmcnt(0)
	v_mul_f64 v[55:56], v[12:13], v[48:49]
	v_mul_f64 v[48:49], v[14:15], v[48:49]
	v_add_f64 v[6:7], v[51:52], v[6:7]
	v_add_f64 v[36:37], v[36:37], v[72:73]
	s_waitcnt vmcnt(8)
	v_mul_f64 v[51:52], v[64:65], v[40:41]
	v_mul_f64 v[40:41], v[66:67], v[40:41]
	v_fma_f64 v[55:56], v[14:15], v[46:47], v[55:56]
	v_fma_f64 v[72:73], v[12:13], v[46:47], -v[48:49]
	ds_load_b128 v[12:15], v1 offset:1344
	scratch_load_b128 v[46:49], off, off offset:464
	v_add_f64 v[6:7], v[6:7], v[58:59]
	v_add_f64 v[36:37], v[36:37], v[68:69]
	ds_load_b128 v[68:71], v1 offset:1360
	s_waitcnt vmcnt(8) lgkmcnt(1)
	v_mul_f64 v[58:59], v[12:13], v[34:35]
	v_mul_f64 v[74:75], v[14:15], v[34:35]
	v_fma_f64 v[51:52], v[66:67], v[38:39], v[51:52]
	v_fma_f64 v[38:39], v[64:65], v[38:39], -v[40:41]
	ds_load_b128 v[64:67], v1 offset:1392
	v_add_f64 v[6:7], v[6:7], v[72:73]
	v_add_f64 v[40:41], v[36:37], v[55:56]
	scratch_load_b128 v[34:37], off, off offset:480
	s_waitcnt vmcnt(8) lgkmcnt(1)
	v_mul_f64 v[55:56], v[68:69], v[26:27]
	v_mul_f64 v[26:27], v[70:71], v[26:27]
	v_fma_f64 v[58:59], v[14:15], v[32:33], v[58:59]
	v_fma_f64 v[32:33], v[12:13], v[32:33], -v[74:75]
	ds_load_b128 v[12:15], v1 offset:1376
	s_waitcnt vmcnt(7) lgkmcnt(0)
	v_mul_f64 v[72:73], v[12:13], v[30:31]
	v_mul_f64 v[30:31], v[14:15], v[30:31]
	v_add_f64 v[6:7], v[6:7], v[38:39]
	v_add_f64 v[51:52], v[40:41], v[51:52]
	scratch_load_b128 v[38:41], off, off offset:496
	v_fma_f64 v[55:56], v[70:71], v[24:25], v[55:56]
	v_fma_f64 v[68:69], v[68:69], v[24:25], -v[26:27]
	scratch_load_b128 v[24:27], off, off offset:512
	v_add_f64 v[6:7], v[6:7], v[32:33]
	v_add_f64 v[32:33], v[51:52], v[58:59]
	s_waitcnt vmcnt(8)
	v_mul_f64 v[51:52], v[64:65], v[18:19]
	v_mul_f64 v[18:19], v[66:67], v[18:19]
	v_fma_f64 v[58:59], v[14:15], v[28:29], v[72:73]
	v_fma_f64 v[72:73], v[12:13], v[28:29], -v[30:31]
	ds_load_b128 v[12:15], v1 offset:1408
	scratch_load_b128 v[28:31], off, off offset:528
	v_add_f64 v[6:7], v[6:7], v[68:69]
	v_add_f64 v[32:33], v[32:33], v[55:56]
	ds_load_b128 v[68:71], v1 offset:1424
	s_waitcnt vmcnt(8) lgkmcnt(1)
	v_mul_f64 v[55:56], v[12:13], v[22:23]
	v_mul_f64 v[22:23], v[14:15], v[22:23]
	v_fma_f64 v[51:52], v[66:67], v[16:17], v[51:52]
	v_fma_f64 v[64:65], v[64:65], v[16:17], -v[18:19]
	scratch_load_b128 v[16:19], off, off offset:544
	v_add_f64 v[6:7], v[6:7], v[72:73]
	v_add_f64 v[32:33], v[32:33], v[58:59]
	s_waitcnt vmcnt(8) lgkmcnt(0)
	v_mul_f64 v[58:59], v[68:69], v[10:11]
	v_mul_f64 v[72:73], v[70:71], v[10:11]
	v_fma_f64 v[14:15], v[14:15], v[20:21], v[55:56]
	v_fma_f64 v[55:56], v[12:13], v[20:21], -v[22:23]
	ds_load_b128 v[10:13], v1 offset:1440
	scratch_load_b128 v[20:23], off, off offset:560
	v_add_f64 v[6:7], v[6:7], v[64:65]
	v_add_f64 v[32:33], v[32:33], v[51:52]
	ds_load_b128 v[64:67], v1 offset:1456
	v_fma_f64 v[58:59], v[70:71], v[8:9], v[58:59]
	v_fma_f64 v[68:69], v[68:69], v[8:9], -v[72:73]
	s_waitcnt vmcnt(8) lgkmcnt(1)
	v_mul_f64 v[51:52], v[10:11], v[62:63]
	v_mul_f64 v[62:63], v[12:13], v[62:63]
	v_add_f64 v[55:56], v[6:7], v[55:56]
	scratch_load_b128 v[6:9], off, off offset:576
	v_add_f64 v[14:15], v[32:33], v[14:15]
	s_waitcnt vmcnt(8) lgkmcnt(0)
	v_mul_f64 v[32:33], v[64:65], v[44:45]
	v_mul_f64 v[44:45], v[66:67], v[44:45]
	v_fma_f64 v[51:52], v[12:13], v[60:61], v[51:52]
	v_fma_f64 v[62:63], v[10:11], v[60:61], -v[62:63]
	ds_load_b128 v[10:13], v1 offset:1472
	v_add_f64 v[55:56], v[55:56], v[68:69]
	ds_load_b128 v[68:71], v1 offset:1488
	v_add_f64 v[14:15], v[14:15], v[58:59]
	scratch_load_b128 v[58:61], off, off offset:592
	s_waitcnt vmcnt(8) lgkmcnt(1)
	v_mul_f64 v[72:73], v[10:11], v[48:49]
	v_mul_f64 v[48:49], v[12:13], v[48:49]
	v_fma_f64 v[32:33], v[66:67], v[42:43], v[32:33]
	v_fma_f64 v[64:65], v[64:65], v[42:43], -v[44:45]
	scratch_load_b128 v[42:45], off, off offset:608
	v_add_f64 v[55:56], v[55:56], v[62:63]
	v_add_f64 v[14:15], v[14:15], v[51:52]
	v_fma_f64 v[66:67], v[12:13], v[46:47], v[72:73]
	v_fma_f64 v[72:73], v[10:11], v[46:47], -v[48:49]
	ds_load_b128 v[10:13], v1 offset:1504
	scratch_load_b128 v[46:49], off, off offset:624
	s_waitcnt vmcnt(9) lgkmcnt(1)
	v_mul_f64 v[51:52], v[68:69], v[36:37]
	v_mul_f64 v[36:37], v[70:71], v[36:37]
	v_add_f64 v[55:56], v[55:56], v[64:65]
	ds_load_b128 v[62:65], v1 offset:1520
	v_add_f64 v[14:15], v[14:15], v[32:33]
	s_waitcnt vmcnt(8) lgkmcnt(1)
	v_mul_f64 v[74:75], v[10:11], v[40:41]
	v_mul_f64 v[40:41], v[12:13], v[40:41]
	v_fma_f64 v[51:52], v[70:71], v[34:35], v[51:52]
	v_fma_f64 v[36:37], v[68:69], v[34:35], -v[36:37]
	scratch_load_b128 v[32:35], off, off offset:640
	s_waitcnt vmcnt(8) lgkmcnt(0)
	v_mul_f64 v[70:71], v[62:63], v[26:27]
	v_mul_f64 v[26:27], v[64:65], v[26:27]
	v_add_f64 v[55:56], v[55:56], v[72:73]
	v_add_f64 v[14:15], v[14:15], v[66:67]
	ds_load_b128 v[66:69], v1 offset:1552
	v_fma_f64 v[72:73], v[12:13], v[38:39], v[74:75]
	v_fma_f64 v[40:41], v[10:11], v[38:39], -v[40:41]
	ds_load_b128 v[10:13], v1 offset:1536
	v_fma_f64 v[64:65], v[64:65], v[24:25], v[70:71]
	v_fma_f64 v[62:63], v[62:63], v[24:25], -v[26:27]
	scratch_load_b128 v[24:27], off, off offset:672
	v_add_f64 v[55:56], v[55:56], v[36:37]
	scratch_load_b128 v[36:39], off, off offset:656
	v_add_f64 v[14:15], v[14:15], v[51:52]
	s_waitcnt vmcnt(9) lgkmcnt(0)
	v_mul_f64 v[51:52], v[10:11], v[30:31]
	v_mul_f64 v[30:31], v[12:13], v[30:31]
	v_add_f64 v[40:41], v[55:56], v[40:41]
	s_waitcnt vmcnt(8)
	v_mul_f64 v[55:56], v[66:67], v[18:19]
	v_add_f64 v[14:15], v[14:15], v[72:73]
	v_mul_f64 v[18:19], v[68:69], v[18:19]
	v_fma_f64 v[51:52], v[12:13], v[28:29], v[51:52]
	v_fma_f64 v[70:71], v[10:11], v[28:29], -v[30:31]
	ds_load_b128 v[10:13], v1 offset:1568
	scratch_load_b128 v[28:31], off, off offset:688
	v_add_f64 v[40:41], v[40:41], v[62:63]
	v_fma_f64 v[55:56], v[68:69], v[16:17], v[55:56]
	v_add_f64 v[14:15], v[14:15], v[64:65]
	ds_load_b128 v[62:65], v1 offset:1584
	s_waitcnt vmcnt(8) lgkmcnt(1)
	v_mul_f64 v[72:73], v[10:11], v[22:23]
	v_mul_f64 v[22:23], v[12:13], v[22:23]
	v_fma_f64 v[18:19], v[66:67], v[16:17], -v[18:19]
	ds_load_b128 v[66:69], v1 offset:1616
	v_add_f64 v[40:41], v[40:41], v[70:71]
	v_add_f64 v[51:52], v[14:15], v[51:52]
	scratch_load_b128 v[14:17], off, off offset:704
	v_fma_f64 v[12:13], v[12:13], v[20:21], v[72:73]
	v_fma_f64 v[22:23], v[10:11], v[20:21], -v[22:23]
	s_waitcnt vmcnt(8) lgkmcnt(1)
	v_mul_f64 v[70:71], v[62:63], v[8:9]
	v_mul_f64 v[74:75], v[64:65], v[8:9]
	ds_load_b128 v[8:11], v1 offset:1600
	v_add_f64 v[40:41], v[40:41], v[18:19]
	scratch_load_b128 v[18:21], off, off offset:720
	v_add_f64 v[51:52], v[51:52], v[55:56]
	v_fma_f64 v[64:65], v[64:65], v[6:7], v[70:71]
	v_fma_f64 v[6:7], v[62:63], v[6:7], -v[74:75]
	s_waitcnt vmcnt(8) lgkmcnt(0)
	v_mul_f64 v[55:56], v[8:9], v[60:61]
	v_mul_f64 v[72:73], v[10:11], v[60:61]
	scratch_load_b128 v[60:63], off, off offset:736
	v_add_f64 v[22:23], v[40:41], v[22:23]
	s_waitcnt vmcnt(8)
	v_mul_f64 v[40:41], v[66:67], v[44:45]
	v_add_f64 v[12:13], v[51:52], v[12:13]
	v_mul_f64 v[44:45], v[68:69], v[44:45]
	v_fma_f64 v[51:52], v[10:11], v[58:59], v[55:56]
	v_fma_f64 v[55:56], v[8:9], v[58:59], -v[72:73]
	ds_load_b128 v[70:73], v1 offset:1648
	v_add_f64 v[22:23], v[22:23], v[6:7]
	ds_load_b128 v[6:9], v1 offset:1632
	v_add_f64 v[58:59], v[12:13], v[64:65]
	scratch_load_b128 v[10:13], off, off offset:752
	v_fma_f64 v[68:69], v[68:69], v[42:43], v[40:41]
	v_fma_f64 v[44:45], v[66:67], v[42:43], -v[44:45]
	scratch_load_b128 v[40:43], off, off offset:768
	s_waitcnt vmcnt(9) lgkmcnt(0)
	v_mul_f64 v[64:65], v[6:7], v[48:49]
	v_mul_f64 v[48:49], v[8:9], v[48:49]
	v_add_f64 v[22:23], v[22:23], v[55:56]
	s_waitcnt vmcnt(8)
	v_mul_f64 v[55:56], v[70:71], v[34:35]
	v_add_f64 v[51:52], v[58:59], v[51:52]
	v_mul_f64 v[34:35], v[72:73], v[34:35]
	v_fma_f64 v[58:59], v[8:9], v[46:47], v[64:65]
	v_fma_f64 v[48:49], v[6:7], v[46:47], -v[48:49]
	ds_load_b128 v[6:9], v1 offset:1664
	ds_load_b128 v[64:67], v1 offset:1680
	v_add_f64 v[22:23], v[22:23], v[44:45]
	scratch_load_b128 v[44:47], off, off offset:784
	v_add_f64 v[51:52], v[51:52], v[68:69]
	v_fma_f64 v[55:56], v[72:73], v[32:33], v[55:56]
	v_fma_f64 v[70:71], v[70:71], v[32:33], -v[34:35]
	scratch_load_b128 v[32:35], off, off offset:800
	s_waitcnt vmcnt(8) lgkmcnt(1)
	v_mul_f64 v[68:69], v[6:7], v[38:39]
	v_mul_f64 v[38:39], v[8:9], v[38:39]
	v_add_f64 v[22:23], v[22:23], v[48:49]
	v_add_f64 v[48:49], v[51:52], v[58:59]
	s_waitcnt lgkmcnt(0)
	v_mul_f64 v[51:52], v[64:65], v[26:27]
	v_mul_f64 v[26:27], v[66:67], v[26:27]
	v_fma_f64 v[58:59], v[8:9], v[36:37], v[68:69]
	v_fma_f64 v[72:73], v[6:7], v[36:37], -v[38:39]
	ds_load_b128 v[6:9], v1 offset:1696
	scratch_load_b128 v[36:39], off, off offset:816
	v_add_f64 v[22:23], v[22:23], v[70:71]
	ds_load_b128 v[68:71], v1 offset:1712
	v_add_f64 v[48:49], v[48:49], v[55:56]
	s_waitcnt vmcnt(8) lgkmcnt(1)
	v_mul_f64 v[55:56], v[6:7], v[30:31]
	v_mul_f64 v[30:31], v[8:9], v[30:31]
	v_fma_f64 v[51:52], v[66:67], v[24:25], v[51:52]
	v_fma_f64 v[26:27], v[64:65], v[24:25], -v[26:27]
	v_add_f64 v[64:65], v[22:23], v[72:73]
	scratch_load_b128 v[22:25], off, off offset:832
	v_add_f64 v[48:49], v[48:49], v[58:59]
	v_fma_f64 v[55:56], v[8:9], v[28:29], v[55:56]
	v_fma_f64 v[30:31], v[6:7], v[28:29], -v[30:31]
	ds_load_b128 v[6:9], v1 offset:1728
	s_waitcnt vmcnt(8) lgkmcnt(1)
	v_mul_f64 v[58:59], v[68:69], v[16:17]
	v_mul_f64 v[16:17], v[70:71], v[16:17]
	v_add_f64 v[72:73], v[64:65], v[26:27]
	ds_load_b128 v[64:67], v1 offset:1744
	v_add_f64 v[48:49], v[48:49], v[51:52]
	scratch_load_b128 v[26:29], off, off offset:848
	s_waitcnt vmcnt(8) lgkmcnt(1)
	v_mul_f64 v[51:52], v[6:7], v[20:21]
	v_mul_f64 v[20:21], v[8:9], v[20:21]
	v_fma_f64 v[58:59], v[70:71], v[14:15], v[58:59]
	v_fma_f64 v[68:69], v[68:69], v[14:15], -v[16:17]
	scratch_load_b128 v[14:17], off, off offset:864
	v_add_f64 v[30:31], v[72:73], v[30:31]
	v_add_f64 v[48:49], v[48:49], v[55:56]
	s_waitcnt vmcnt(8) lgkmcnt(0)
	v_mul_f64 v[55:56], v[64:65], v[62:63]
	v_mul_f64 v[62:63], v[66:67], v[62:63]
	v_fma_f64 v[51:52], v[8:9], v[18:19], v[51:52]
	v_fma_f64 v[72:73], v[6:7], v[18:19], -v[20:21]
	ds_load_b128 v[6:9], v1 offset:1760
	scratch_load_b128 v[18:21], off, off offset:880
	v_add_f64 v[30:31], v[30:31], v[68:69]
	ds_load_b128 v[68:71], v1 offset:1776
	v_add_f64 v[48:49], v[48:49], v[58:59]
	v_fma_f64 v[55:56], v[66:67], v[60:61], v[55:56]
	v_fma_f64 v[62:63], v[64:65], v[60:61], -v[62:63]
	scratch_load_b128 v[58:61], off, off offset:896
	s_waitcnt vmcnt(9) lgkmcnt(1)
	v_mul_f64 v[74:75], v[6:7], v[12:13]
	v_mul_f64 v[12:13], v[8:9], v[12:13]
	v_add_f64 v[30:31], v[30:31], v[72:73]
	v_add_f64 v[48:49], v[48:49], v[51:52]
	s_waitcnt vmcnt(8) lgkmcnt(0)
	v_mul_f64 v[51:52], v[68:69], v[42:43]
	v_mul_f64 v[42:43], v[70:71], v[42:43]
	v_fma_f64 v[66:67], v[8:9], v[10:11], v[74:75]
	v_fma_f64 v[72:73], v[6:7], v[10:11], -v[12:13]
	ds_load_b128 v[6:9], v1 offset:1792
	scratch_load_b128 v[10:13], off, off offset:912
	v_add_f64 v[30:31], v[30:31], v[62:63]
	ds_load_b128 v[62:65], v1 offset:1808
	v_add_f64 v[48:49], v[48:49], v[55:56]
	v_fma_f64 v[51:52], v[70:71], v[40:41], v[51:52]
	v_fma_f64 v[68:69], v[68:69], v[40:41], -v[42:43]
	scratch_load_b128 v[40:43], off, off offset:928
	s_waitcnt vmcnt(9) lgkmcnt(1)
	v_mul_f64 v[55:56], v[6:7], v[46:47]
	v_mul_f64 v[46:47], v[8:9], v[46:47]
	s_waitcnt vmcnt(8) lgkmcnt(0)
	v_mul_f64 v[70:71], v[62:63], v[34:35]
	v_mul_f64 v[34:35], v[64:65], v[34:35]
	v_add_f64 v[30:31], v[30:31], v[72:73]
	v_add_f64 v[48:49], v[48:49], v[66:67]
	v_fma_f64 v[55:56], v[8:9], v[44:45], v[55:56]
	v_fma_f64 v[72:73], v[6:7], v[44:45], -v[46:47]
	ds_load_b128 v[6:9], v1 offset:1824
	scratch_load_b128 v[44:47], off, off offset:944
	v_fma_f64 v[64:65], v[64:65], v[32:33], v[70:71]
	v_fma_f64 v[34:35], v[62:63], v[32:33], -v[34:35]
	v_add_f64 v[30:31], v[30:31], v[68:69]
	ds_load_b128 v[66:69], v1 offset:1840
	v_add_f64 v[48:49], v[48:49], v[51:52]
	s_waitcnt vmcnt(8) lgkmcnt(1)
	v_mul_f64 v[51:52], v[6:7], v[38:39]
	v_mul_f64 v[38:39], v[8:9], v[38:39]
	v_add_f64 v[62:63], v[30:31], v[72:73]
	scratch_load_b128 v[30:33], off, off offset:960
	v_add_f64 v[48:49], v[48:49], v[55:56]
	v_fma_f64 v[51:52], v[8:9], v[36:37], v[51:52]
	v_fma_f64 v[38:39], v[6:7], v[36:37], -v[38:39]
	ds_load_b128 v[6:9], v1 offset:1856
	s_waitcnt vmcnt(8) lgkmcnt(1)
	v_mul_f64 v[55:56], v[66:67], v[24:25]
	v_mul_f64 v[24:25], v[68:69], v[24:25]
	v_add_f64 v[70:71], v[62:63], v[34:35]
	scratch_load_b128 v[34:37], off, off offset:976
	v_add_f64 v[48:49], v[48:49], v[64:65]
	ds_load_b128 v[62:65], v1 offset:1872
	v_fma_f64 v[55:56], v[68:69], v[22:23], v[55:56]
	v_fma_f64 v[66:67], v[66:67], v[22:23], -v[24:25]
	scratch_load_b128 v[22:25], off, off offset:992
	s_waitcnt vmcnt(9) lgkmcnt(1)
	v_mul_f64 v[72:73], v[6:7], v[28:29]
	v_mul_f64 v[28:29], v[8:9], v[28:29]
	v_add_f64 v[38:39], v[70:71], v[38:39]
	v_add_f64 v[48:49], v[48:49], v[51:52]
	s_waitcnt vmcnt(8) lgkmcnt(0)
	v_mul_f64 v[51:52], v[62:63], v[16:17]
	v_mul_f64 v[16:17], v[64:65], v[16:17]
	v_fma_f64 v[68:69], v[8:9], v[26:27], v[72:73]
	v_fma_f64 v[70:71], v[6:7], v[26:27], -v[28:29]
	ds_load_b128 v[6:9], v1 offset:1888
	ds_load_b128 v[26:29], v1 offset:1904
	v_add_f64 v[38:39], v[38:39], v[66:67]
	v_add_f64 v[48:49], v[48:49], v[55:56]
	s_waitcnt vmcnt(7) lgkmcnt(1)
	v_mul_f64 v[55:56], v[6:7], v[20:21]
	v_mul_f64 v[20:21], v[8:9], v[20:21]
	v_fma_f64 v[51:52], v[64:65], v[14:15], v[51:52]
	v_fma_f64 v[14:15], v[62:63], v[14:15], -v[16:17]
	v_add_f64 v[16:17], v[38:39], v[70:71]
	v_add_f64 v[38:39], v[48:49], v[68:69]
	s_waitcnt vmcnt(6) lgkmcnt(0)
	v_mul_f64 v[48:49], v[26:27], v[60:61]
	v_mul_f64 v[60:61], v[28:29], v[60:61]
	v_fma_f64 v[55:56], v[8:9], v[18:19], v[55:56]
	v_fma_f64 v[18:19], v[6:7], v[18:19], -v[20:21]
	v_add_f64 v[20:21], v[16:17], v[14:15]
	ds_load_b128 v[6:9], v1 offset:1920
	ds_load_b128 v[14:17], v1 offset:1936
	v_add_f64 v[38:39], v[38:39], v[51:52]
	v_fma_f64 v[28:29], v[28:29], v[58:59], v[48:49]
	v_fma_f64 v[26:27], v[26:27], v[58:59], -v[60:61]
	s_waitcnt vmcnt(5) lgkmcnt(1)
	v_mul_f64 v[51:52], v[6:7], v[12:13]
	v_mul_f64 v[12:13], v[8:9], v[12:13]
	v_add_f64 v[18:19], v[20:21], v[18:19]
	v_add_f64 v[20:21], v[38:39], v[55:56]
	s_waitcnt vmcnt(4) lgkmcnt(0)
	v_mul_f64 v[38:39], v[14:15], v[42:43]
	v_mul_f64 v[42:43], v[16:17], v[42:43]
	v_fma_f64 v[48:49], v[8:9], v[10:11], v[51:52]
	v_fma_f64 v[51:52], v[6:7], v[10:11], -v[12:13]
	ds_load_b128 v[6:9], v1 offset:1952
	ds_load_b128 v[10:13], v1 offset:1968
	v_add_f64 v[18:19], v[18:19], v[26:27]
	v_add_f64 v[20:21], v[20:21], v[28:29]
	s_waitcnt vmcnt(3) lgkmcnt(1)
	v_mul_f64 v[26:27], v[6:7], v[46:47]
	v_mul_f64 v[28:29], v[8:9], v[46:47]
	v_fma_f64 v[16:17], v[16:17], v[40:41], v[38:39]
	v_fma_f64 v[14:15], v[14:15], v[40:41], -v[42:43]
	v_add_f64 v[18:19], v[18:19], v[51:52]
	v_add_f64 v[20:21], v[20:21], v[48:49]
	v_fma_f64 v[26:27], v[8:9], v[44:45], v[26:27]
	v_fma_f64 v[28:29], v[6:7], v[44:45], -v[28:29]
	s_waitcnt vmcnt(2) lgkmcnt(0)
	v_mul_f64 v[38:39], v[10:11], v[32:33]
	v_mul_f64 v[32:33], v[12:13], v[32:33]
	v_add_f64 v[18:19], v[18:19], v[14:15]
	v_add_f64 v[20:21], v[20:21], v[16:17]
	ds_load_b128 v[6:9], v1 offset:1984
	ds_load_b128 v[14:17], v1 offset:2000
	v_fma_f64 v[12:13], v[12:13], v[30:31], v[38:39]
	v_fma_f64 v[10:11], v[10:11], v[30:31], -v[32:33]
	s_waitcnt vmcnt(1) lgkmcnt(1)
	v_mul_f64 v[40:41], v[6:7], v[36:37]
	v_mul_f64 v[36:37], v[8:9], v[36:37]
	v_add_f64 v[18:19], v[18:19], v[28:29]
	v_add_f64 v[20:21], v[20:21], v[26:27]
	s_waitcnt vmcnt(0) lgkmcnt(0)
	v_mul_f64 v[26:27], v[14:15], v[24:25]
	v_mul_f64 v[24:25], v[16:17], v[24:25]
	v_fma_f64 v[8:9], v[8:9], v[34:35], v[40:41]
	v_fma_f64 v[6:7], v[6:7], v[34:35], -v[36:37]
	v_add_f64 v[10:11], v[18:19], v[10:11]
	v_add_f64 v[12:13], v[20:21], v[12:13]
	v_fma_f64 v[16:17], v[16:17], v[22:23], v[26:27]
	v_fma_f64 v[14:15], v[14:15], v[22:23], -v[24:25]
	s_delay_alu instid0(VALU_DEP_4) | instskip(NEXT) | instid1(VALU_DEP_4)
	v_add_f64 v[6:7], v[10:11], v[6:7]
	v_add_f64 v[8:9], v[12:13], v[8:9]
	s_delay_alu instid0(VALU_DEP_2) | instskip(NEXT) | instid1(VALU_DEP_2)
	v_add_f64 v[6:7], v[6:7], v[14:15]
	v_add_f64 v[8:9], v[8:9], v[16:17]
	s_delay_alu instid0(VALU_DEP_2) | instskip(NEXT) | instid1(VALU_DEP_2)
	v_add_f64 v[1:2], v[2:3], -v[6:7]
	v_add_f64 v[3:4], v[4:5], -v[8:9]
	scratch_store_b128 off, v[1:4], off offset:128
	v_cmpx_lt_u32_e32 7, v179
	s_cbranch_execz .LBB126_389
; %bb.388:
	scratch_load_b32 v1, off, off offset:1048 ; 4-byte Folded Reload
	v_mov_b32_e32 v5, 0
	s_delay_alu instid0(VALU_DEP_1)
	v_mov_b32_e32 v6, v5
	v_mov_b32_e32 v7, v5
	;; [unrolled: 1-line block ×3, first 2 shown]
	s_waitcnt vmcnt(0)
	scratch_load_b128 v[1:4], v1, off
	scratch_store_b128 off, v[5:8], off offset:112
	s_waitcnt vmcnt(0)
	ds_store_b128 v244, v[1:4]
.LBB126_389:
	s_or_b32 exec_lo, exec_lo, s2
	s_waitcnt lgkmcnt(0)
	s_waitcnt_vscnt null, 0x0
	s_barrier
	buffer_gl0_inv
	s_clause 0x7
	scratch_load_b128 v[34:37], off, off offset:128
	scratch_load_b128 v[38:41], off, off offset:144
	;; [unrolled: 1-line block ×8, first 2 shown]
	v_mov_b32_e32 v1, 0
	s_mov_b32 s2, exec_lo
	ds_load_b128 v[46:49], v1 offset:1136
	s_clause 0x1
	scratch_load_b128 v[14:17], off, off offset:256
	scratch_load_b128 v[2:5], off, off offset:112
	ds_load_b128 v[42:45], v1 offset:1152
	scratch_load_b128 v[58:61], off, off offset:272
	ds_load_b128 v[62:65], v1 offset:1184
	s_waitcnt vmcnt(10) lgkmcnt(2)
	v_mul_f64 v[51:52], v[48:49], v[36:37]
	v_mul_f64 v[36:37], v[46:47], v[36:37]
	s_delay_alu instid0(VALU_DEP_2) | instskip(NEXT) | instid1(VALU_DEP_2)
	v_fma_f64 v[51:52], v[46:47], v[34:35], -v[51:52]
	v_fma_f64 v[66:67], v[48:49], v[34:35], v[36:37]
	ds_load_b128 v[34:37], v1 offset:1168
	s_waitcnt vmcnt(9) lgkmcnt(2)
	v_mul_f64 v[55:56], v[42:43], v[40:41]
	v_mul_f64 v[40:41], v[44:45], v[40:41]
	scratch_load_b128 v[46:49], off, off offset:288
	s_waitcnt vmcnt(9) lgkmcnt(0)
	v_mul_f64 v[68:69], v[34:35], v[32:33]
	v_mul_f64 v[32:33], v[36:37], v[32:33]
	v_add_f64 v[51:52], v[51:52], 0
	v_fma_f64 v[44:45], v[44:45], v[38:39], v[55:56]
	v_fma_f64 v[42:43], v[42:43], v[38:39], -v[40:41]
	v_add_f64 v[55:56], v[66:67], 0
	scratch_load_b128 v[38:41], off, off offset:304
	v_fma_f64 v[36:37], v[36:37], v[30:31], v[68:69]
	v_fma_f64 v[68:69], v[34:35], v[30:31], -v[32:33]
	scratch_load_b128 v[32:35], off, off offset:320
	v_add_f64 v[51:52], v[51:52], v[42:43]
	v_add_f64 v[55:56], v[55:56], v[44:45]
	ds_load_b128 v[42:45], v1 offset:1216
	s_waitcnt vmcnt(10)
	v_mul_f64 v[66:67], v[62:63], v[28:29]
	v_mul_f64 v[70:71], v[64:65], v[28:29]
	ds_load_b128 v[28:31], v1 offset:1200
	v_add_f64 v[51:52], v[51:52], v[68:69]
	v_add_f64 v[36:37], v[55:56], v[36:37]
	s_waitcnt vmcnt(8) lgkmcnt(1)
	v_mul_f64 v[55:56], v[42:43], v[20:21]
	v_fma_f64 v[64:65], v[64:65], v[26:27], v[66:67]
	v_fma_f64 v[62:63], v[62:63], v[26:27], -v[70:71]
	v_mul_f64 v[66:67], v[44:45], v[20:21]
	s_delay_alu instid0(VALU_DEP_4) | instskip(NEXT) | instid1(VALU_DEP_4)
	v_fma_f64 v[55:56], v[44:45], v[18:19], v[55:56]
	v_add_f64 v[36:37], v[36:37], v[64:65]
	s_delay_alu instid0(VALU_DEP_4)
	v_add_f64 v[51:52], v[51:52], v[62:63]
	ds_load_b128 v[62:65], v1 offset:1248
	s_waitcnt lgkmcnt(1)
	v_mul_f64 v[72:73], v[28:29], v[24:25]
	v_mul_f64 v[74:75], v[30:31], v[24:25]
	scratch_load_b128 v[24:27], off, off offset:336
	v_fma_f64 v[18:19], v[42:43], v[18:19], -v[66:67]
	scratch_load_b128 v[42:45], off, off offset:368
	v_fma_f64 v[68:69], v[30:31], v[22:23], v[72:73]
	v_fma_f64 v[70:71], v[28:29], v[22:23], -v[74:75]
	ds_load_b128 v[20:23], v1 offset:1232
	scratch_load_b128 v[28:31], off, off offset:352
	s_waitcnt vmcnt(9) lgkmcnt(1)
	v_mul_f64 v[74:75], v[64:65], v[8:9]
	v_add_f64 v[36:37], v[36:37], v[68:69]
	ds_load_b128 v[66:69], v1 offset:1280
	s_waitcnt lgkmcnt(1)
	v_mul_f64 v[72:73], v[20:21], v[12:13]
	v_mul_f64 v[12:13], v[22:23], v[12:13]
	v_add_f64 v[51:52], v[51:52], v[70:71]
	v_mul_f64 v[70:71], v[62:63], v[8:9]
	v_add_f64 v[36:37], v[36:37], v[55:56]
	v_fma_f64 v[22:23], v[22:23], v[10:11], v[72:73]
	v_fma_f64 v[12:13], v[20:21], v[10:11], -v[12:13]
	v_add_f64 v[51:52], v[51:52], v[18:19]
	ds_load_b128 v[8:11], v1 offset:1264
	scratch_load_b128 v[18:21], off, off offset:384
	v_fma_f64 v[70:71], v[64:65], v[6:7], v[70:71]
	v_fma_f64 v[6:7], v[62:63], v[6:7], -v[74:75]
	scratch_load_b128 v[62:65], off, off offset:400
	s_waitcnt vmcnt(10) lgkmcnt(0)
	v_mul_f64 v[55:56], v[8:9], v[16:17]
	v_mul_f64 v[16:17], v[10:11], v[16:17]
	v_add_f64 v[22:23], v[36:37], v[22:23]
	s_waitcnt vmcnt(8)
	v_mul_f64 v[36:37], v[66:67], v[60:61]
	v_add_f64 v[12:13], v[51:52], v[12:13]
	v_mul_f64 v[51:52], v[68:69], v[60:61]
	v_fma_f64 v[55:56], v[10:11], v[14:15], v[55:56]
	v_fma_f64 v[60:61], v[8:9], v[14:15], -v[16:17]
	ds_load_b128 v[14:17], v1 offset:1312
	v_add_f64 v[22:23], v[22:23], v[70:71]
	v_fma_f64 v[36:37], v[68:69], v[58:59], v[36:37]
	v_add_f64 v[72:73], v[12:13], v[6:7]
	scratch_load_b128 v[10:13], off, off offset:416
	ds_load_b128 v[6:9], v1 offset:1296
	v_fma_f64 v[51:52], v[66:67], v[58:59], -v[51:52]
	s_waitcnt vmcnt(8) lgkmcnt(0)
	v_mul_f64 v[70:71], v[6:7], v[48:49]
	v_mul_f64 v[48:49], v[8:9], v[48:49]
	v_add_f64 v[22:23], v[22:23], v[55:56]
	s_waitcnt vmcnt(7)
	v_mul_f64 v[55:56], v[14:15], v[40:41]
	v_add_f64 v[66:67], v[72:73], v[60:61]
	scratch_load_b128 v[58:61], off, off offset:432
	v_mul_f64 v[40:41], v[16:17], v[40:41]
	v_fma_f64 v[70:71], v[8:9], v[46:47], v[70:71]
	v_fma_f64 v[72:73], v[6:7], v[46:47], -v[48:49]
	scratch_load_b128 v[46:49], off, off offset:448
	ds_load_b128 v[6:9], v1 offset:1328
	v_add_f64 v[22:23], v[22:23], v[36:37]
	v_fma_f64 v[55:56], v[16:17], v[38:39], v[55:56]
	v_add_f64 v[51:52], v[66:67], v[51:52]
	ds_load_b128 v[66:69], v1 offset:1344
	v_fma_f64 v[38:39], v[14:15], v[38:39], -v[40:41]
	scratch_load_b128 v[14:17], off, off offset:464
	s_waitcnt vmcnt(9) lgkmcnt(1)
	v_mul_f64 v[36:37], v[6:7], v[34:35]
	v_mul_f64 v[34:35], v[8:9], v[34:35]
	v_add_f64 v[22:23], v[22:23], v[70:71]
	v_add_f64 v[40:41], v[51:52], v[72:73]
	s_delay_alu instid0(VALU_DEP_4) | instskip(NEXT) | instid1(VALU_DEP_4)
	v_fma_f64 v[70:71], v[8:9], v[32:33], v[36:37]
	v_fma_f64 v[72:73], v[6:7], v[32:33], -v[34:35]
	scratch_load_b128 v[32:35], off, off offset:480
	ds_load_b128 v[6:9], v1 offset:1360
	s_waitcnt vmcnt(9) lgkmcnt(1)
	v_mul_f64 v[51:52], v[66:67], v[26:27]
	v_mul_f64 v[26:27], v[68:69], v[26:27]
	v_add_f64 v[22:23], v[22:23], v[55:56]
	v_add_f64 v[40:41], v[40:41], v[38:39]
	ds_load_b128 v[36:39], v1 offset:1376
	v_fma_f64 v[51:52], v[68:69], v[24:25], v[51:52]
	s_waitcnt vmcnt(7) lgkmcnt(1)
	v_mul_f64 v[55:56], v[6:7], v[30:31]
	v_mul_f64 v[30:31], v[8:9], v[30:31]
	v_fma_f64 v[26:27], v[66:67], v[24:25], -v[26:27]
	v_add_f64 v[66:67], v[22:23], v[70:71]
	scratch_load_b128 v[22:25], off, off offset:496
	v_add_f64 v[40:41], v[40:41], v[72:73]
	s_waitcnt lgkmcnt(0)
	v_mul_f64 v[70:71], v[36:37], v[44:45]
	v_mul_f64 v[44:45], v[38:39], v[44:45]
	v_fma_f64 v[55:56], v[8:9], v[28:29], v[55:56]
	v_fma_f64 v[30:31], v[6:7], v[28:29], -v[30:31]
	ds_load_b128 v[6:9], v1 offset:1392
	v_add_f64 v[51:52], v[66:67], v[51:52]
	ds_load_b128 v[66:69], v1 offset:1408
	v_add_f64 v[40:41], v[40:41], v[26:27]
	scratch_load_b128 v[26:29], off, off offset:512
	v_fma_f64 v[70:71], v[38:39], v[42:43], v[70:71]
	v_fma_f64 v[42:43], v[36:37], v[42:43], -v[44:45]
	scratch_load_b128 v[36:39], off, off offset:528
	s_waitcnt vmcnt(9) lgkmcnt(1)
	v_mul_f64 v[72:73], v[6:7], v[20:21]
	v_mul_f64 v[20:21], v[8:9], v[20:21]
	s_waitcnt vmcnt(8) lgkmcnt(0)
	v_mul_f64 v[44:45], v[66:67], v[64:65]
	v_add_f64 v[30:31], v[40:41], v[30:31]
	v_add_f64 v[40:41], v[51:52], v[55:56]
	v_mul_f64 v[51:52], v[68:69], v[64:65]
	v_fma_f64 v[55:56], v[8:9], v[18:19], v[72:73]
	v_fma_f64 v[64:65], v[6:7], v[18:19], -v[20:21]
	scratch_load_b128 v[18:21], off, off offset:544
	ds_load_b128 v[6:9], v1 offset:1424
	v_fma_f64 v[44:45], v[68:69], v[62:63], v[44:45]
	v_add_f64 v[30:31], v[30:31], v[42:43]
	v_add_f64 v[70:71], v[40:41], v[70:71]
	ds_load_b128 v[40:43], v1 offset:1440
	v_fma_f64 v[51:52], v[66:67], v[62:63], -v[51:52]
	ds_load_b128 v[66:69], v1 offset:1472
	s_waitcnt vmcnt(8) lgkmcnt(2)
	v_mul_f64 v[72:73], v[6:7], v[12:13]
	v_mul_f64 v[12:13], v[8:9], v[12:13]
	v_add_f64 v[30:31], v[30:31], v[64:65]
	v_add_f64 v[55:56], v[70:71], v[55:56]
	scratch_load_b128 v[62:65], off, off offset:560
	s_waitcnt vmcnt(8) lgkmcnt(1)
	v_mul_f64 v[70:71], v[40:41], v[60:61]
	v_mul_f64 v[60:61], v[42:43], v[60:61]
	v_fma_f64 v[72:73], v[8:9], v[10:11], v[72:73]
	v_fma_f64 v[74:75], v[6:7], v[10:11], -v[12:13]
	scratch_load_b128 v[10:13], off, off offset:576
	ds_load_b128 v[6:9], v1 offset:1456
	v_add_f64 v[30:31], v[30:31], v[51:52]
	v_add_f64 v[44:45], v[55:56], v[44:45]
	s_waitcnt vmcnt(8) lgkmcnt(0)
	v_mul_f64 v[51:52], v[6:7], v[48:49]
	v_mul_f64 v[48:49], v[8:9], v[48:49]
	v_fma_f64 v[55:56], v[42:43], v[58:59], v[70:71]
	v_fma_f64 v[58:59], v[40:41], v[58:59], -v[60:61]
	scratch_load_b128 v[40:43], off, off offset:592
	s_waitcnt vmcnt(8)
	v_mul_f64 v[70:71], v[66:67], v[16:17]
	v_mul_f64 v[16:17], v[68:69], v[16:17]
	v_add_f64 v[30:31], v[30:31], v[74:75]
	v_add_f64 v[44:45], v[44:45], v[72:73]
	v_fma_f64 v[51:52], v[8:9], v[46:47], v[51:52]
	v_fma_f64 v[48:49], v[6:7], v[46:47], -v[48:49]
	ds_load_b128 v[6:9], v1 offset:1488
	v_fma_f64 v[68:69], v[68:69], v[14:15], v[70:71]
	v_fma_f64 v[66:67], v[66:67], v[14:15], -v[16:17]
	scratch_load_b128 v[14:17], off, off offset:624
	v_add_f64 v[30:31], v[30:31], v[58:59]
	v_add_f64 v[55:56], v[44:45], v[55:56]
	scratch_load_b128 v[44:47], off, off offset:608
	ds_load_b128 v[58:61], v1 offset:1504
	s_waitcnt vmcnt(9) lgkmcnt(1)
	v_mul_f64 v[72:73], v[6:7], v[34:35]
	v_mul_f64 v[34:35], v[8:9], v[34:35]
	v_add_f64 v[30:31], v[30:31], v[48:49]
	v_add_f64 v[48:49], v[55:56], v[51:52]
	s_delay_alu instid0(VALU_DEP_4) | instskip(NEXT) | instid1(VALU_DEP_4)
	v_fma_f64 v[55:56], v[8:9], v[32:33], v[72:73]
	v_fma_f64 v[34:35], v[6:7], v[32:33], -v[34:35]
	ds_load_b128 v[6:9], v1 offset:1520
	s_waitcnt vmcnt(8) lgkmcnt(1)
	v_mul_f64 v[51:52], v[58:59], v[24:25]
	v_mul_f64 v[24:25], v[60:61], v[24:25]
	v_add_f64 v[70:71], v[30:31], v[66:67]
	v_add_f64 v[48:49], v[48:49], v[68:69]
	ds_load_b128 v[66:69], v1 offset:1536
	scratch_load_b128 v[30:33], off, off offset:640
	v_fma_f64 v[51:52], v[60:61], v[22:23], v[51:52]
	v_fma_f64 v[58:59], v[58:59], v[22:23], -v[24:25]
	s_waitcnt vmcnt(8) lgkmcnt(1)
	v_mul_f64 v[72:73], v[6:7], v[28:29]
	v_mul_f64 v[28:29], v[8:9], v[28:29]
	scratch_load_b128 v[22:25], off, off offset:656
	v_add_f64 v[34:35], v[70:71], v[34:35]
	v_add_f64 v[48:49], v[48:49], v[55:56]
	s_waitcnt vmcnt(8) lgkmcnt(0)
	v_mul_f64 v[55:56], v[66:67], v[38:39]
	v_mul_f64 v[38:39], v[68:69], v[38:39]
	v_fma_f64 v[70:71], v[8:9], v[26:27], v[72:73]
	v_fma_f64 v[72:73], v[6:7], v[26:27], -v[28:29]
	scratch_load_b128 v[26:29], off, off offset:672
	ds_load_b128 v[6:9], v1 offset:1552
	v_add_f64 v[34:35], v[34:35], v[58:59]
	ds_load_b128 v[58:61], v1 offset:1568
	v_add_f64 v[48:49], v[48:49], v[51:52]
	s_waitcnt vmcnt(8) lgkmcnt(1)
	v_mul_f64 v[51:52], v[6:7], v[20:21]
	v_mul_f64 v[20:21], v[8:9], v[20:21]
	v_fma_f64 v[55:56], v[68:69], v[36:37], v[55:56]
	v_fma_f64 v[38:39], v[66:67], v[36:37], -v[38:39]
	v_add_f64 v[66:67], v[34:35], v[72:73]
	scratch_load_b128 v[34:37], off, off offset:688
	v_add_f64 v[48:49], v[48:49], v[70:71]
	v_fma_f64 v[51:52], v[8:9], v[18:19], v[51:52]
	v_fma_f64 v[72:73], v[6:7], v[18:19], -v[20:21]
	scratch_load_b128 v[18:21], off, off offset:704
	ds_load_b128 v[6:9], v1 offset:1584
	s_waitcnt vmcnt(9) lgkmcnt(1)
	v_mul_f64 v[68:69], v[58:59], v[64:65]
	v_mul_f64 v[70:71], v[60:61], v[64:65]
	v_add_f64 v[38:39], v[66:67], v[38:39]
	ds_load_b128 v[64:67], v1 offset:1600
	v_add_f64 v[48:49], v[48:49], v[55:56]
	s_waitcnt vmcnt(8) lgkmcnt(1)
	v_mul_f64 v[55:56], v[6:7], v[12:13]
	v_mul_f64 v[12:13], v[8:9], v[12:13]
	v_fma_f64 v[68:69], v[60:61], v[62:63], v[68:69]
	v_fma_f64 v[62:63], v[58:59], v[62:63], -v[70:71]
	scratch_load_b128 v[58:61], off, off offset:720
	v_add_f64 v[38:39], v[38:39], v[72:73]
	v_add_f64 v[48:49], v[48:49], v[51:52]
	s_waitcnt vmcnt(8) lgkmcnt(0)
	v_mul_f64 v[51:52], v[64:65], v[42:43]
	v_mul_f64 v[42:43], v[66:67], v[42:43]
	v_fma_f64 v[55:56], v[8:9], v[10:11], v[55:56]
	v_fma_f64 v[72:73], v[6:7], v[10:11], -v[12:13]
	scratch_load_b128 v[10:13], off, off offset:736
	ds_load_b128 v[6:9], v1 offset:1616
	v_add_f64 v[38:39], v[38:39], v[62:63]
	v_add_f64 v[48:49], v[48:49], v[68:69]
	ds_load_b128 v[68:71], v1 offset:1632
	v_fma_f64 v[51:52], v[66:67], v[40:41], v[51:52]
	v_fma_f64 v[42:43], v[64:65], v[40:41], -v[42:43]
	s_waitcnt vmcnt(7) lgkmcnt(1)
	v_mul_f64 v[62:63], v[6:7], v[46:47]
	v_mul_f64 v[46:47], v[8:9], v[46:47]
	v_add_f64 v[64:65], v[38:39], v[72:73]
	scratch_load_b128 v[38:41], off, off offset:752
	v_add_f64 v[48:49], v[48:49], v[55:56]
	s_waitcnt lgkmcnt(0)
	v_mul_f64 v[55:56], v[68:69], v[16:17]
	v_mul_f64 v[16:17], v[70:71], v[16:17]
	v_fma_f64 v[62:63], v[8:9], v[44:45], v[62:63]
	v_fma_f64 v[66:67], v[6:7], v[44:45], -v[46:47]
	ds_load_b128 v[6:9], v1 offset:1648
	v_add_f64 v[64:65], v[64:65], v[42:43]
	scratch_load_b128 v[42:45], off, off offset:768
	v_add_f64 v[51:52], v[48:49], v[51:52]
	ds_load_b128 v[46:49], v1 offset:1664
	v_fma_f64 v[55:56], v[70:71], v[14:15], v[55:56]
	v_fma_f64 v[68:69], v[68:69], v[14:15], -v[16:17]
	scratch_load_b128 v[14:17], off, off offset:784
	s_waitcnt vmcnt(9) lgkmcnt(1)
	v_mul_f64 v[72:73], v[6:7], v[32:33]
	v_mul_f64 v[32:33], v[8:9], v[32:33]
	v_add_f64 v[64:65], v[64:65], v[66:67]
	s_waitcnt vmcnt(8) lgkmcnt(0)
	v_mul_f64 v[66:67], v[46:47], v[24:25]
	v_add_f64 v[51:52], v[51:52], v[62:63]
	v_mul_f64 v[24:25], v[48:49], v[24:25]
	v_fma_f64 v[70:71], v[8:9], v[30:31], v[72:73]
	v_fma_f64 v[72:73], v[6:7], v[30:31], -v[32:33]
	scratch_load_b128 v[30:33], off, off offset:800
	ds_load_b128 v[6:9], v1 offset:1680
	v_add_f64 v[68:69], v[64:65], v[68:69]
	ds_load_b128 v[62:65], v1 offset:1696
	v_add_f64 v[51:52], v[51:52], v[55:56]
	v_fma_f64 v[48:49], v[48:49], v[22:23], v[66:67]
	s_waitcnt vmcnt(8) lgkmcnt(1)
	v_mul_f64 v[55:56], v[6:7], v[28:29]
	v_mul_f64 v[28:29], v[8:9], v[28:29]
	v_fma_f64 v[46:47], v[46:47], v[22:23], -v[24:25]
	scratch_load_b128 v[22:25], off, off offset:816
	v_add_f64 v[66:67], v[68:69], v[72:73]
	v_add_f64 v[51:52], v[51:52], v[70:71]
	v_fma_f64 v[55:56], v[8:9], v[26:27], v[55:56]
	v_fma_f64 v[70:71], v[6:7], v[26:27], -v[28:29]
	scratch_load_b128 v[26:29], off, off offset:832
	ds_load_b128 v[6:9], v1 offset:1712
	s_waitcnt vmcnt(9) lgkmcnt(1)
	v_mul_f64 v[68:69], v[62:63], v[36:37]
	v_mul_f64 v[36:37], v[64:65], v[36:37]
	v_add_f64 v[66:67], v[66:67], v[46:47]
	v_add_f64 v[51:52], v[51:52], v[48:49]
	ds_load_b128 v[46:49], v1 offset:1728
	s_waitcnt vmcnt(8) lgkmcnt(1)
	v_mul_f64 v[72:73], v[6:7], v[20:21]
	v_mul_f64 v[20:21], v[8:9], v[20:21]
	v_fma_f64 v[64:65], v[64:65], v[34:35], v[68:69]
	v_fma_f64 v[62:63], v[62:63], v[34:35], -v[36:37]
	scratch_load_b128 v[34:37], off, off offset:848
	s_waitcnt vmcnt(8) lgkmcnt(0)
	v_mul_f64 v[68:69], v[48:49], v[60:61]
	v_add_f64 v[66:67], v[66:67], v[70:71]
	v_add_f64 v[51:52], v[51:52], v[55:56]
	v_mul_f64 v[55:56], v[46:47], v[60:61]
	v_fma_f64 v[70:71], v[8:9], v[18:19], v[72:73]
	v_fma_f64 v[72:73], v[6:7], v[18:19], -v[20:21]
	scratch_load_b128 v[18:21], off, off offset:864
	ds_load_b128 v[6:9], v1 offset:1744
	v_add_f64 v[66:67], v[66:67], v[62:63]
	ds_load_b128 v[60:63], v1 offset:1760
	v_add_f64 v[51:52], v[51:52], v[64:65]
	s_waitcnt vmcnt(8) lgkmcnt(1)
	v_mul_f64 v[64:65], v[6:7], v[12:13]
	v_mul_f64 v[12:13], v[8:9], v[12:13]
	v_fma_f64 v[55:56], v[48:49], v[58:59], v[55:56]
	v_fma_f64 v[58:59], v[46:47], v[58:59], -v[68:69]
	scratch_load_b128 v[46:49], off, off offset:880
	v_add_f64 v[66:67], v[66:67], v[72:73]
	v_add_f64 v[51:52], v[51:52], v[70:71]
	v_fma_f64 v[70:71], v[8:9], v[10:11], v[64:65]
	v_fma_f64 v[72:73], v[6:7], v[10:11], -v[12:13]
	scratch_load_b128 v[10:13], off, off offset:896
	ds_load_b128 v[6:9], v1 offset:1776
	s_waitcnt vmcnt(9) lgkmcnt(1)
	v_mul_f64 v[68:69], v[60:61], v[40:41]
	v_mul_f64 v[40:41], v[62:63], v[40:41]
	v_add_f64 v[58:59], v[66:67], v[58:59]
	ds_load_b128 v[64:67], v1 offset:1792
	v_add_f64 v[51:52], v[51:52], v[55:56]
	s_waitcnt vmcnt(8) lgkmcnt(1)
	v_mul_f64 v[55:56], v[6:7], v[44:45]
	v_mul_f64 v[44:45], v[8:9], v[44:45]
	v_fma_f64 v[62:63], v[62:63], v[38:39], v[68:69]
	v_fma_f64 v[60:61], v[60:61], v[38:39], -v[40:41]
	scratch_load_b128 v[38:41], off, off offset:912
	s_waitcnt vmcnt(8) lgkmcnt(0)
	v_mul_f64 v[68:69], v[64:65], v[16:17]
	v_mul_f64 v[16:17], v[66:67], v[16:17]
	v_add_f64 v[58:59], v[58:59], v[72:73]
	v_add_f64 v[51:52], v[51:52], v[70:71]
	v_fma_f64 v[55:56], v[8:9], v[42:43], v[55:56]
	v_fma_f64 v[70:71], v[6:7], v[42:43], -v[44:45]
	scratch_load_b128 v[42:45], off, off offset:928
	ds_load_b128 v[6:9], v1 offset:1808
	v_fma_f64 v[66:67], v[66:67], v[14:15], v[68:69]
	v_fma_f64 v[64:65], v[64:65], v[14:15], -v[16:17]
	scratch_load_b128 v[14:17], off, off offset:944
	v_add_f64 v[72:73], v[58:59], v[60:61]
	ds_load_b128 v[58:61], v1 offset:1824
	v_add_f64 v[51:52], v[51:52], v[62:63]
	s_waitcnt vmcnt(9) lgkmcnt(1)
	v_mul_f64 v[62:63], v[6:7], v[32:33]
	v_mul_f64 v[32:33], v[8:9], v[32:33]
	v_add_f64 v[68:69], v[72:73], v[70:71]
	s_delay_alu instid0(VALU_DEP_4)
	v_add_f64 v[51:52], v[51:52], v[55:56]
	s_waitcnt vmcnt(8) lgkmcnt(0)
	v_mul_f64 v[55:56], v[58:59], v[24:25]
	v_mul_f64 v[24:25], v[60:61], v[24:25]
	v_fma_f64 v[70:71], v[8:9], v[30:31], v[62:63]
	v_fma_f64 v[72:73], v[6:7], v[30:31], -v[32:33]
	scratch_load_b128 v[30:33], off, off offset:960
	ds_load_b128 v[6:9], v1 offset:1840
	v_add_f64 v[68:69], v[68:69], v[64:65]
	ds_load_b128 v[62:65], v1 offset:1856
	v_add_f64 v[51:52], v[51:52], v[66:67]
	s_waitcnt vmcnt(8) lgkmcnt(1)
	v_mul_f64 v[66:67], v[6:7], v[28:29]
	v_mul_f64 v[28:29], v[8:9], v[28:29]
	v_fma_f64 v[55:56], v[60:61], v[22:23], v[55:56]
	v_fma_f64 v[58:59], v[58:59], v[22:23], -v[24:25]
	scratch_load_b128 v[22:25], off, off offset:976
	v_add_f64 v[60:61], v[68:69], v[72:73]
	s_waitcnt vmcnt(8) lgkmcnt(0)
	v_mul_f64 v[68:69], v[62:63], v[36:37]
	v_add_f64 v[51:52], v[51:52], v[70:71]
	v_mul_f64 v[36:37], v[64:65], v[36:37]
	v_fma_f64 v[66:67], v[8:9], v[26:27], v[66:67]
	v_fma_f64 v[70:71], v[6:7], v[26:27], -v[28:29]
	scratch_load_b128 v[26:29], off, off offset:992
	ds_load_b128 v[6:9], v1 offset:1872
	v_add_f64 v[72:73], v[60:61], v[58:59]
	ds_load_b128 v[58:61], v1 offset:1888
	v_add_f64 v[51:52], v[51:52], v[55:56]
	s_waitcnt vmcnt(8) lgkmcnt(1)
	v_mul_f64 v[55:56], v[6:7], v[20:21]
	v_mul_f64 v[20:21], v[8:9], v[20:21]
	v_fma_f64 v[64:65], v[64:65], v[34:35], v[68:69]
	v_fma_f64 v[34:35], v[62:63], v[34:35], -v[36:37]
	s_waitcnt vmcnt(7) lgkmcnt(0)
	v_mul_f64 v[62:63], v[58:59], v[48:49]
	v_mul_f64 v[48:49], v[60:61], v[48:49]
	v_add_f64 v[36:37], v[72:73], v[70:71]
	v_add_f64 v[51:52], v[51:52], v[66:67]
	v_fma_f64 v[55:56], v[8:9], v[18:19], v[55:56]
	v_fma_f64 v[66:67], v[6:7], v[18:19], -v[20:21]
	ds_load_b128 v[6:9], v1 offset:1904
	ds_load_b128 v[18:21], v1 offset:1920
	v_fma_f64 v[60:61], v[60:61], v[46:47], v[62:63]
	v_fma_f64 v[46:47], v[58:59], v[46:47], -v[48:49]
	v_add_f64 v[34:35], v[36:37], v[34:35]
	v_add_f64 v[36:37], v[51:52], v[64:65]
	s_waitcnt vmcnt(6) lgkmcnt(1)
	v_mul_f64 v[51:52], v[6:7], v[12:13]
	v_mul_f64 v[12:13], v[8:9], v[12:13]
	s_waitcnt vmcnt(5) lgkmcnt(0)
	v_mul_f64 v[48:49], v[18:19], v[40:41]
	v_add_f64 v[34:35], v[34:35], v[66:67]
	v_mul_f64 v[40:41], v[20:21], v[40:41]
	v_add_f64 v[36:37], v[36:37], v[55:56]
	v_fma_f64 v[51:52], v[8:9], v[10:11], v[51:52]
	v_fma_f64 v[55:56], v[6:7], v[10:11], -v[12:13]
	ds_load_b128 v[6:9], v1 offset:1936
	ds_load_b128 v[10:13], v1 offset:1952
	v_fma_f64 v[20:21], v[20:21], v[38:39], v[48:49]
	v_add_f64 v[34:35], v[34:35], v[46:47]
	s_waitcnt vmcnt(4) lgkmcnt(1)
	v_mul_f64 v[46:47], v[6:7], v[44:45]
	v_add_f64 v[36:37], v[36:37], v[60:61]
	v_mul_f64 v[44:45], v[8:9], v[44:45]
	v_fma_f64 v[18:19], v[18:19], v[38:39], -v[40:41]
	s_waitcnt vmcnt(3) lgkmcnt(0)
	v_mul_f64 v[38:39], v[10:11], v[16:17]
	v_mul_f64 v[40:41], v[12:13], v[16:17]
	v_add_f64 v[34:35], v[34:35], v[55:56]
	v_fma_f64 v[46:47], v[8:9], v[42:43], v[46:47]
	v_add_f64 v[36:37], v[36:37], v[51:52]
	v_fma_f64 v[42:43], v[6:7], v[42:43], -v[44:45]
	v_fma_f64 v[12:13], v[12:13], v[14:15], v[38:39]
	v_fma_f64 v[10:11], v[10:11], v[14:15], -v[40:41]
	v_add_f64 v[34:35], v[34:35], v[18:19]
	ds_load_b128 v[6:9], v1 offset:1968
	ds_load_b128 v[16:19], v1 offset:1984
	v_add_f64 v[20:21], v[36:37], v[20:21]
	s_waitcnt vmcnt(2) lgkmcnt(1)
	v_mul_f64 v[36:37], v[6:7], v[32:33]
	v_mul_f64 v[32:33], v[8:9], v[32:33]
	v_add_f64 v[14:15], v[34:35], v[42:43]
	s_waitcnt vmcnt(1) lgkmcnt(0)
	v_mul_f64 v[34:35], v[16:17], v[24:25]
	v_add_f64 v[20:21], v[20:21], v[46:47]
	v_mul_f64 v[24:25], v[18:19], v[24:25]
	v_fma_f64 v[36:37], v[8:9], v[30:31], v[36:37]
	v_fma_f64 v[30:31], v[6:7], v[30:31], -v[32:33]
	ds_load_b128 v[6:9], v1 offset:2000
	v_add_f64 v[10:11], v[14:15], v[10:11]
	v_fma_f64 v[18:19], v[18:19], v[22:23], v[34:35]
	v_add_f64 v[12:13], v[20:21], v[12:13]
	v_fma_f64 v[16:17], v[16:17], v[22:23], -v[24:25]
	s_waitcnt vmcnt(0) lgkmcnt(0)
	v_mul_f64 v[14:15], v[6:7], v[28:29]
	v_mul_f64 v[20:21], v[8:9], v[28:29]
	v_add_f64 v[10:11], v[10:11], v[30:31]
	v_add_f64 v[12:13], v[12:13], v[36:37]
	s_delay_alu instid0(VALU_DEP_4) | instskip(NEXT) | instid1(VALU_DEP_4)
	v_fma_f64 v[8:9], v[8:9], v[26:27], v[14:15]
	v_fma_f64 v[6:7], v[6:7], v[26:27], -v[20:21]
	s_delay_alu instid0(VALU_DEP_4) | instskip(NEXT) | instid1(VALU_DEP_4)
	v_add_f64 v[10:11], v[10:11], v[16:17]
	v_add_f64 v[12:13], v[12:13], v[18:19]
	s_delay_alu instid0(VALU_DEP_2) | instskip(NEXT) | instid1(VALU_DEP_2)
	v_add_f64 v[6:7], v[10:11], v[6:7]
	v_add_f64 v[8:9], v[12:13], v[8:9]
	s_delay_alu instid0(VALU_DEP_2) | instskip(NEXT) | instid1(VALU_DEP_2)
	v_add_f64 v[2:3], v[2:3], -v[6:7]
	v_add_f64 v[4:5], v[4:5], -v[8:9]
	scratch_store_b128 off, v[2:5], off offset:112
	v_cmpx_lt_u32_e32 6, v179
	s_cbranch_execz .LBB126_391
; %bb.390:
	scratch_load_b32 v2, off, off offset:1052 ; 4-byte Folded Reload
	v_mov_b32_e32 v3, v1
	v_mov_b32_e32 v4, v1
	s_waitcnt vmcnt(0)
	scratch_load_b128 v[5:8], v2, off
	v_mov_b32_e32 v2, v1
	scratch_store_b128 off, v[1:4], off offset:96
	s_waitcnt vmcnt(0)
	ds_store_b128 v244, v[5:8]
.LBB126_391:
	s_or_b32 exec_lo, exec_lo, s2
	s_waitcnt lgkmcnt(0)
	s_waitcnt_vscnt null, 0x0
	s_barrier
	buffer_gl0_inv
	s_clause 0x8
	scratch_load_b128 v[34:37], off, off offset:112
	scratch_load_b128 v[38:41], off, off offset:128
	;; [unrolled: 1-line block ×9, first 2 shown]
	ds_load_b128 v[46:49], v1 offset:1120
	ds_load_b128 v[42:45], v1 offset:1136
	s_clause 0x1
	scratch_load_b128 v[2:5], off, off offset:96
	scratch_load_b128 v[58:61], off, off offset:256
	s_mov_b32 s2, exec_lo
	ds_load_b128 v[62:65], v1 offset:1168
	s_waitcnt vmcnt(10) lgkmcnt(2)
	v_mul_f64 v[51:52], v[48:49], v[36:37]
	v_mul_f64 v[36:37], v[46:47], v[36:37]
	s_waitcnt vmcnt(9) lgkmcnt(1)
	v_mul_f64 v[55:56], v[42:43], v[40:41]
	v_mul_f64 v[40:41], v[44:45], v[40:41]
	s_waitcnt vmcnt(7) lgkmcnt(0)
	v_mul_f64 v[70:71], v[64:65], v[28:29]
	v_fma_f64 v[51:52], v[46:47], v[34:35], -v[51:52]
	v_fma_f64 v[66:67], v[48:49], v[34:35], v[36:37]
	ds_load_b128 v[34:37], v1 offset:1152
	scratch_load_b128 v[46:49], off, off offset:272
	v_fma_f64 v[44:45], v[44:45], v[38:39], v[55:56]
	v_fma_f64 v[42:43], v[42:43], v[38:39], -v[40:41]
	scratch_load_b128 v[38:41], off, off offset:288
	s_waitcnt lgkmcnt(0)
	v_mul_f64 v[68:69], v[34:35], v[32:33]
	v_mul_f64 v[32:33], v[36:37], v[32:33]
	v_add_f64 v[51:52], v[51:52], 0
	v_add_f64 v[55:56], v[66:67], 0
	v_mul_f64 v[66:67], v[62:63], v[28:29]
	v_fma_f64 v[62:63], v[62:63], v[26:27], -v[70:71]
	v_fma_f64 v[36:37], v[36:37], v[30:31], v[68:69]
	v_fma_f64 v[68:69], v[34:35], v[30:31], -v[32:33]
	ds_load_b128 v[28:31], v1 offset:1184
	scratch_load_b128 v[32:35], off, off offset:304
	v_add_f64 v[51:52], v[51:52], v[42:43]
	v_add_f64 v[55:56], v[55:56], v[44:45]
	ds_load_b128 v[42:45], v1 offset:1200
	v_fma_f64 v[64:65], v[64:65], v[26:27], v[66:67]
	s_waitcnt vmcnt(9) lgkmcnt(1)
	v_mul_f64 v[72:73], v[28:29], v[24:25]
	v_mul_f64 v[74:75], v[30:31], v[24:25]
	scratch_load_b128 v[24:27], off, off offset:320
	s_waitcnt vmcnt(9) lgkmcnt(0)
	v_mul_f64 v[66:67], v[44:45], v[20:21]
	v_add_f64 v[51:52], v[51:52], v[68:69]
	v_add_f64 v[36:37], v[55:56], v[36:37]
	v_mul_f64 v[55:56], v[42:43], v[20:21]
	v_fma_f64 v[68:69], v[30:31], v[22:23], v[72:73]
	v_fma_f64 v[70:71], v[28:29], v[22:23], -v[74:75]
	ds_load_b128 v[20:23], v1 offset:1216
	scratch_load_b128 v[28:31], off, off offset:336
	v_fma_f64 v[42:43], v[42:43], v[18:19], -v[66:67]
	v_add_f64 v[51:52], v[51:52], v[62:63]
	v_add_f64 v[36:37], v[36:37], v[64:65]
	ds_load_b128 v[62:65], v1 offset:1232
	s_waitcnt vmcnt(9) lgkmcnt(1)
	v_mul_f64 v[72:73], v[20:21], v[16:17]
	v_mul_f64 v[74:75], v[22:23], v[16:17]
	v_fma_f64 v[44:45], v[44:45], v[18:19], v[55:56]
	scratch_load_b128 v[16:19], off, off offset:352
	s_waitcnt vmcnt(9) lgkmcnt(0)
	v_mul_f64 v[55:56], v[62:63], v[12:13]
	v_mul_f64 v[66:67], v[64:65], v[12:13]
	v_add_f64 v[51:52], v[51:52], v[70:71]
	v_add_f64 v[36:37], v[36:37], v[68:69]
	v_fma_f64 v[68:69], v[22:23], v[14:15], v[72:73]
	v_fma_f64 v[70:71], v[20:21], v[14:15], -v[74:75]
	ds_load_b128 v[12:15], v1 offset:1248
	scratch_load_b128 v[20:23], off, off offset:368
	v_fma_f64 v[55:56], v[64:65], v[10:11], v[55:56]
	v_fma_f64 v[62:63], v[62:63], v[10:11], -v[66:67]
	ds_load_b128 v[64:67], v1 offset:1296
	v_add_f64 v[51:52], v[51:52], v[42:43]
	v_add_f64 v[36:37], v[36:37], v[44:45]
	ds_load_b128 v[42:45], v1 offset:1264
	s_waitcnt vmcnt(9) lgkmcnt(2)
	v_mul_f64 v[72:73], v[12:13], v[8:9]
	v_mul_f64 v[74:75], v[14:15], v[8:9]
	scratch_load_b128 v[8:11], off, off offset:384
	v_add_f64 v[51:52], v[51:52], v[70:71]
	v_add_f64 v[36:37], v[36:37], v[68:69]
	s_waitcnt vmcnt(8) lgkmcnt(0)
	v_mul_f64 v[68:69], v[42:43], v[60:61]
	v_mul_f64 v[70:71], v[44:45], v[60:61]
	v_fma_f64 v[72:73], v[14:15], v[6:7], v[72:73]
	v_fma_f64 v[6:7], v[12:13], v[6:7], -v[74:75]
	ds_load_b128 v[12:15], v1 offset:1280
	v_add_f64 v[51:52], v[51:52], v[62:63]
	v_add_f64 v[36:37], v[36:37], v[55:56]
	scratch_load_b128 v[60:63], off, off offset:400
	v_fma_f64 v[68:69], v[44:45], v[58:59], v[68:69]
	v_fma_f64 v[58:59], v[42:43], v[58:59], -v[70:71]
	scratch_load_b128 v[42:45], off, off offset:416
	s_waitcnt vmcnt(9) lgkmcnt(0)
	v_mul_f64 v[55:56], v[12:13], v[48:49]
	v_mul_f64 v[48:49], v[14:15], v[48:49]
	v_add_f64 v[6:7], v[51:52], v[6:7]
	v_add_f64 v[36:37], v[36:37], v[72:73]
	s_waitcnt vmcnt(8)
	v_mul_f64 v[51:52], v[64:65], v[40:41]
	v_mul_f64 v[40:41], v[66:67], v[40:41]
	v_fma_f64 v[55:56], v[14:15], v[46:47], v[55:56]
	v_fma_f64 v[72:73], v[12:13], v[46:47], -v[48:49]
	ds_load_b128 v[12:15], v1 offset:1312
	scratch_load_b128 v[46:49], off, off offset:432
	v_add_f64 v[6:7], v[6:7], v[58:59]
	v_add_f64 v[36:37], v[36:37], v[68:69]
	ds_load_b128 v[68:71], v1 offset:1328
	s_waitcnt vmcnt(8) lgkmcnt(1)
	v_mul_f64 v[58:59], v[12:13], v[34:35]
	v_mul_f64 v[74:75], v[14:15], v[34:35]
	v_fma_f64 v[51:52], v[66:67], v[38:39], v[51:52]
	v_fma_f64 v[38:39], v[64:65], v[38:39], -v[40:41]
	ds_load_b128 v[64:67], v1 offset:1360
	v_add_f64 v[6:7], v[6:7], v[72:73]
	v_add_f64 v[40:41], v[36:37], v[55:56]
	scratch_load_b128 v[34:37], off, off offset:448
	s_waitcnt vmcnt(8) lgkmcnt(1)
	v_mul_f64 v[55:56], v[68:69], v[26:27]
	v_mul_f64 v[26:27], v[70:71], v[26:27]
	v_fma_f64 v[58:59], v[14:15], v[32:33], v[58:59]
	v_fma_f64 v[32:33], v[12:13], v[32:33], -v[74:75]
	ds_load_b128 v[12:15], v1 offset:1344
	s_waitcnt vmcnt(7) lgkmcnt(0)
	v_mul_f64 v[72:73], v[12:13], v[30:31]
	v_mul_f64 v[30:31], v[14:15], v[30:31]
	v_add_f64 v[6:7], v[6:7], v[38:39]
	v_add_f64 v[51:52], v[40:41], v[51:52]
	scratch_load_b128 v[38:41], off, off offset:464
	v_fma_f64 v[55:56], v[70:71], v[24:25], v[55:56]
	v_fma_f64 v[68:69], v[68:69], v[24:25], -v[26:27]
	scratch_load_b128 v[24:27], off, off offset:480
	v_add_f64 v[6:7], v[6:7], v[32:33]
	v_add_f64 v[32:33], v[51:52], v[58:59]
	s_waitcnt vmcnt(8)
	v_mul_f64 v[51:52], v[64:65], v[18:19]
	v_mul_f64 v[18:19], v[66:67], v[18:19]
	v_fma_f64 v[58:59], v[14:15], v[28:29], v[72:73]
	v_fma_f64 v[72:73], v[12:13], v[28:29], -v[30:31]
	ds_load_b128 v[12:15], v1 offset:1376
	scratch_load_b128 v[28:31], off, off offset:496
	v_add_f64 v[6:7], v[6:7], v[68:69]
	v_add_f64 v[32:33], v[32:33], v[55:56]
	ds_load_b128 v[68:71], v1 offset:1392
	s_waitcnt vmcnt(8) lgkmcnt(1)
	v_mul_f64 v[55:56], v[12:13], v[22:23]
	v_mul_f64 v[22:23], v[14:15], v[22:23]
	v_fma_f64 v[51:52], v[66:67], v[16:17], v[51:52]
	v_fma_f64 v[64:65], v[64:65], v[16:17], -v[18:19]
	scratch_load_b128 v[16:19], off, off offset:512
	v_add_f64 v[6:7], v[6:7], v[72:73]
	v_add_f64 v[32:33], v[32:33], v[58:59]
	s_waitcnt vmcnt(8) lgkmcnt(0)
	v_mul_f64 v[58:59], v[68:69], v[10:11]
	v_mul_f64 v[72:73], v[70:71], v[10:11]
	v_fma_f64 v[14:15], v[14:15], v[20:21], v[55:56]
	v_fma_f64 v[55:56], v[12:13], v[20:21], -v[22:23]
	ds_load_b128 v[10:13], v1 offset:1408
	scratch_load_b128 v[20:23], off, off offset:528
	v_add_f64 v[6:7], v[6:7], v[64:65]
	v_add_f64 v[32:33], v[32:33], v[51:52]
	ds_load_b128 v[64:67], v1 offset:1424
	v_fma_f64 v[58:59], v[70:71], v[8:9], v[58:59]
	v_fma_f64 v[68:69], v[68:69], v[8:9], -v[72:73]
	s_waitcnt vmcnt(8) lgkmcnt(1)
	v_mul_f64 v[51:52], v[10:11], v[62:63]
	v_mul_f64 v[62:63], v[12:13], v[62:63]
	v_add_f64 v[55:56], v[6:7], v[55:56]
	scratch_load_b128 v[6:9], off, off offset:544
	v_add_f64 v[14:15], v[32:33], v[14:15]
	s_waitcnt vmcnt(8) lgkmcnt(0)
	v_mul_f64 v[32:33], v[64:65], v[44:45]
	v_mul_f64 v[44:45], v[66:67], v[44:45]
	v_fma_f64 v[51:52], v[12:13], v[60:61], v[51:52]
	v_fma_f64 v[62:63], v[10:11], v[60:61], -v[62:63]
	ds_load_b128 v[10:13], v1 offset:1440
	v_add_f64 v[55:56], v[55:56], v[68:69]
	ds_load_b128 v[68:71], v1 offset:1456
	v_add_f64 v[14:15], v[14:15], v[58:59]
	scratch_load_b128 v[58:61], off, off offset:560
	s_waitcnt vmcnt(8) lgkmcnt(1)
	v_mul_f64 v[72:73], v[10:11], v[48:49]
	v_mul_f64 v[48:49], v[12:13], v[48:49]
	v_fma_f64 v[32:33], v[66:67], v[42:43], v[32:33]
	v_fma_f64 v[64:65], v[64:65], v[42:43], -v[44:45]
	scratch_load_b128 v[42:45], off, off offset:576
	v_add_f64 v[55:56], v[55:56], v[62:63]
	v_add_f64 v[14:15], v[14:15], v[51:52]
	v_fma_f64 v[66:67], v[12:13], v[46:47], v[72:73]
	v_fma_f64 v[72:73], v[10:11], v[46:47], -v[48:49]
	ds_load_b128 v[10:13], v1 offset:1472
	scratch_load_b128 v[46:49], off, off offset:592
	s_waitcnt vmcnt(9) lgkmcnt(1)
	v_mul_f64 v[51:52], v[68:69], v[36:37]
	v_mul_f64 v[36:37], v[70:71], v[36:37]
	v_add_f64 v[55:56], v[55:56], v[64:65]
	ds_load_b128 v[62:65], v1 offset:1488
	v_add_f64 v[14:15], v[14:15], v[32:33]
	s_waitcnt vmcnt(8) lgkmcnt(1)
	v_mul_f64 v[74:75], v[10:11], v[40:41]
	v_mul_f64 v[40:41], v[12:13], v[40:41]
	v_fma_f64 v[51:52], v[70:71], v[34:35], v[51:52]
	v_fma_f64 v[36:37], v[68:69], v[34:35], -v[36:37]
	scratch_load_b128 v[32:35], off, off offset:608
	s_waitcnt vmcnt(8) lgkmcnt(0)
	v_mul_f64 v[70:71], v[62:63], v[26:27]
	v_mul_f64 v[26:27], v[64:65], v[26:27]
	v_add_f64 v[55:56], v[55:56], v[72:73]
	v_add_f64 v[14:15], v[14:15], v[66:67]
	ds_load_b128 v[66:69], v1 offset:1520
	v_fma_f64 v[72:73], v[12:13], v[38:39], v[74:75]
	v_fma_f64 v[40:41], v[10:11], v[38:39], -v[40:41]
	ds_load_b128 v[10:13], v1 offset:1504
	v_fma_f64 v[64:65], v[64:65], v[24:25], v[70:71]
	v_fma_f64 v[62:63], v[62:63], v[24:25], -v[26:27]
	scratch_load_b128 v[24:27], off, off offset:640
	v_add_f64 v[55:56], v[55:56], v[36:37]
	scratch_load_b128 v[36:39], off, off offset:624
	v_add_f64 v[14:15], v[14:15], v[51:52]
	s_waitcnt vmcnt(9) lgkmcnt(0)
	v_mul_f64 v[51:52], v[10:11], v[30:31]
	v_mul_f64 v[30:31], v[12:13], v[30:31]
	v_add_f64 v[40:41], v[55:56], v[40:41]
	s_waitcnt vmcnt(8)
	v_mul_f64 v[55:56], v[66:67], v[18:19]
	v_add_f64 v[14:15], v[14:15], v[72:73]
	v_mul_f64 v[18:19], v[68:69], v[18:19]
	v_fma_f64 v[51:52], v[12:13], v[28:29], v[51:52]
	v_fma_f64 v[70:71], v[10:11], v[28:29], -v[30:31]
	ds_load_b128 v[10:13], v1 offset:1536
	scratch_load_b128 v[28:31], off, off offset:656
	v_add_f64 v[40:41], v[40:41], v[62:63]
	v_fma_f64 v[55:56], v[68:69], v[16:17], v[55:56]
	v_add_f64 v[14:15], v[14:15], v[64:65]
	ds_load_b128 v[62:65], v1 offset:1552
	s_waitcnt vmcnt(8) lgkmcnt(1)
	v_mul_f64 v[72:73], v[10:11], v[22:23]
	v_mul_f64 v[22:23], v[12:13], v[22:23]
	v_fma_f64 v[18:19], v[66:67], v[16:17], -v[18:19]
	ds_load_b128 v[66:69], v1 offset:1584
	v_add_f64 v[40:41], v[40:41], v[70:71]
	v_add_f64 v[51:52], v[14:15], v[51:52]
	scratch_load_b128 v[14:17], off, off offset:672
	v_fma_f64 v[12:13], v[12:13], v[20:21], v[72:73]
	v_fma_f64 v[22:23], v[10:11], v[20:21], -v[22:23]
	s_waitcnt vmcnt(8) lgkmcnt(1)
	v_mul_f64 v[70:71], v[62:63], v[8:9]
	v_mul_f64 v[74:75], v[64:65], v[8:9]
	ds_load_b128 v[8:11], v1 offset:1568
	v_add_f64 v[40:41], v[40:41], v[18:19]
	scratch_load_b128 v[18:21], off, off offset:688
	v_add_f64 v[51:52], v[51:52], v[55:56]
	v_fma_f64 v[64:65], v[64:65], v[6:7], v[70:71]
	v_fma_f64 v[6:7], v[62:63], v[6:7], -v[74:75]
	s_waitcnt vmcnt(8) lgkmcnt(0)
	v_mul_f64 v[55:56], v[8:9], v[60:61]
	v_mul_f64 v[72:73], v[10:11], v[60:61]
	scratch_load_b128 v[60:63], off, off offset:704
	v_add_f64 v[22:23], v[40:41], v[22:23]
	s_waitcnt vmcnt(8)
	v_mul_f64 v[40:41], v[66:67], v[44:45]
	v_add_f64 v[12:13], v[51:52], v[12:13]
	v_mul_f64 v[44:45], v[68:69], v[44:45]
	v_fma_f64 v[51:52], v[10:11], v[58:59], v[55:56]
	v_fma_f64 v[55:56], v[8:9], v[58:59], -v[72:73]
	ds_load_b128 v[70:73], v1 offset:1616
	v_add_f64 v[22:23], v[22:23], v[6:7]
	ds_load_b128 v[6:9], v1 offset:1600
	v_add_f64 v[58:59], v[12:13], v[64:65]
	scratch_load_b128 v[10:13], off, off offset:720
	v_fma_f64 v[68:69], v[68:69], v[42:43], v[40:41]
	v_fma_f64 v[44:45], v[66:67], v[42:43], -v[44:45]
	scratch_load_b128 v[40:43], off, off offset:736
	s_waitcnt vmcnt(9) lgkmcnt(0)
	v_mul_f64 v[64:65], v[6:7], v[48:49]
	v_mul_f64 v[48:49], v[8:9], v[48:49]
	v_add_f64 v[22:23], v[22:23], v[55:56]
	s_waitcnt vmcnt(8)
	v_mul_f64 v[55:56], v[70:71], v[34:35]
	v_add_f64 v[51:52], v[58:59], v[51:52]
	v_mul_f64 v[34:35], v[72:73], v[34:35]
	v_fma_f64 v[58:59], v[8:9], v[46:47], v[64:65]
	v_fma_f64 v[48:49], v[6:7], v[46:47], -v[48:49]
	ds_load_b128 v[6:9], v1 offset:1632
	ds_load_b128 v[64:67], v1 offset:1648
	v_add_f64 v[22:23], v[22:23], v[44:45]
	scratch_load_b128 v[44:47], off, off offset:752
	v_add_f64 v[51:52], v[51:52], v[68:69]
	v_fma_f64 v[55:56], v[72:73], v[32:33], v[55:56]
	v_fma_f64 v[70:71], v[70:71], v[32:33], -v[34:35]
	scratch_load_b128 v[32:35], off, off offset:768
	s_waitcnt vmcnt(8) lgkmcnt(1)
	v_mul_f64 v[68:69], v[6:7], v[38:39]
	v_mul_f64 v[38:39], v[8:9], v[38:39]
	v_add_f64 v[22:23], v[22:23], v[48:49]
	v_add_f64 v[48:49], v[51:52], v[58:59]
	s_waitcnt lgkmcnt(0)
	v_mul_f64 v[51:52], v[64:65], v[26:27]
	v_mul_f64 v[26:27], v[66:67], v[26:27]
	v_fma_f64 v[58:59], v[8:9], v[36:37], v[68:69]
	v_fma_f64 v[72:73], v[6:7], v[36:37], -v[38:39]
	ds_load_b128 v[6:9], v1 offset:1664
	scratch_load_b128 v[36:39], off, off offset:784
	v_add_f64 v[22:23], v[22:23], v[70:71]
	ds_load_b128 v[68:71], v1 offset:1680
	v_add_f64 v[48:49], v[48:49], v[55:56]
	s_waitcnt vmcnt(8) lgkmcnt(1)
	v_mul_f64 v[55:56], v[6:7], v[30:31]
	v_mul_f64 v[30:31], v[8:9], v[30:31]
	v_fma_f64 v[51:52], v[66:67], v[24:25], v[51:52]
	v_fma_f64 v[26:27], v[64:65], v[24:25], -v[26:27]
	v_add_f64 v[64:65], v[22:23], v[72:73]
	scratch_load_b128 v[22:25], off, off offset:800
	v_add_f64 v[48:49], v[48:49], v[58:59]
	v_fma_f64 v[55:56], v[8:9], v[28:29], v[55:56]
	v_fma_f64 v[30:31], v[6:7], v[28:29], -v[30:31]
	ds_load_b128 v[6:9], v1 offset:1696
	s_waitcnt vmcnt(8) lgkmcnt(1)
	v_mul_f64 v[58:59], v[68:69], v[16:17]
	v_mul_f64 v[16:17], v[70:71], v[16:17]
	v_add_f64 v[72:73], v[64:65], v[26:27]
	ds_load_b128 v[64:67], v1 offset:1712
	v_add_f64 v[48:49], v[48:49], v[51:52]
	scratch_load_b128 v[26:29], off, off offset:816
	s_waitcnt vmcnt(8) lgkmcnt(1)
	v_mul_f64 v[51:52], v[6:7], v[20:21]
	v_mul_f64 v[20:21], v[8:9], v[20:21]
	v_fma_f64 v[58:59], v[70:71], v[14:15], v[58:59]
	v_fma_f64 v[68:69], v[68:69], v[14:15], -v[16:17]
	scratch_load_b128 v[14:17], off, off offset:832
	v_add_f64 v[30:31], v[72:73], v[30:31]
	v_add_f64 v[48:49], v[48:49], v[55:56]
	s_waitcnt vmcnt(8) lgkmcnt(0)
	v_mul_f64 v[55:56], v[64:65], v[62:63]
	v_mul_f64 v[62:63], v[66:67], v[62:63]
	v_fma_f64 v[51:52], v[8:9], v[18:19], v[51:52]
	v_fma_f64 v[72:73], v[6:7], v[18:19], -v[20:21]
	ds_load_b128 v[6:9], v1 offset:1728
	scratch_load_b128 v[18:21], off, off offset:848
	v_add_f64 v[30:31], v[30:31], v[68:69]
	ds_load_b128 v[68:71], v1 offset:1744
	v_add_f64 v[48:49], v[48:49], v[58:59]
	v_fma_f64 v[55:56], v[66:67], v[60:61], v[55:56]
	v_fma_f64 v[62:63], v[64:65], v[60:61], -v[62:63]
	scratch_load_b128 v[58:61], off, off offset:864
	s_waitcnt vmcnt(9) lgkmcnt(1)
	v_mul_f64 v[74:75], v[6:7], v[12:13]
	v_mul_f64 v[12:13], v[8:9], v[12:13]
	v_add_f64 v[30:31], v[30:31], v[72:73]
	v_add_f64 v[48:49], v[48:49], v[51:52]
	s_waitcnt vmcnt(8) lgkmcnt(0)
	v_mul_f64 v[51:52], v[68:69], v[42:43]
	v_mul_f64 v[42:43], v[70:71], v[42:43]
	v_fma_f64 v[66:67], v[8:9], v[10:11], v[74:75]
	v_fma_f64 v[72:73], v[6:7], v[10:11], -v[12:13]
	ds_load_b128 v[6:9], v1 offset:1760
	scratch_load_b128 v[10:13], off, off offset:880
	v_add_f64 v[30:31], v[30:31], v[62:63]
	ds_load_b128 v[62:65], v1 offset:1776
	v_add_f64 v[48:49], v[48:49], v[55:56]
	v_fma_f64 v[51:52], v[70:71], v[40:41], v[51:52]
	v_fma_f64 v[68:69], v[68:69], v[40:41], -v[42:43]
	scratch_load_b128 v[40:43], off, off offset:896
	s_waitcnt vmcnt(9) lgkmcnt(1)
	v_mul_f64 v[55:56], v[6:7], v[46:47]
	v_mul_f64 v[46:47], v[8:9], v[46:47]
	s_waitcnt vmcnt(8) lgkmcnt(0)
	v_mul_f64 v[70:71], v[62:63], v[34:35]
	v_mul_f64 v[34:35], v[64:65], v[34:35]
	v_add_f64 v[30:31], v[30:31], v[72:73]
	v_add_f64 v[48:49], v[48:49], v[66:67]
	v_fma_f64 v[55:56], v[8:9], v[44:45], v[55:56]
	v_fma_f64 v[72:73], v[6:7], v[44:45], -v[46:47]
	ds_load_b128 v[6:9], v1 offset:1792
	scratch_load_b128 v[44:47], off, off offset:912
	v_fma_f64 v[64:65], v[64:65], v[32:33], v[70:71]
	v_fma_f64 v[34:35], v[62:63], v[32:33], -v[34:35]
	v_add_f64 v[30:31], v[30:31], v[68:69]
	ds_load_b128 v[66:69], v1 offset:1808
	v_add_f64 v[48:49], v[48:49], v[51:52]
	s_waitcnt vmcnt(8) lgkmcnt(1)
	v_mul_f64 v[51:52], v[6:7], v[38:39]
	v_mul_f64 v[38:39], v[8:9], v[38:39]
	v_add_f64 v[62:63], v[30:31], v[72:73]
	scratch_load_b128 v[30:33], off, off offset:928
	v_add_f64 v[48:49], v[48:49], v[55:56]
	v_fma_f64 v[51:52], v[8:9], v[36:37], v[51:52]
	v_fma_f64 v[38:39], v[6:7], v[36:37], -v[38:39]
	ds_load_b128 v[6:9], v1 offset:1824
	s_waitcnt vmcnt(8) lgkmcnt(1)
	v_mul_f64 v[55:56], v[66:67], v[24:25]
	v_mul_f64 v[24:25], v[68:69], v[24:25]
	v_add_f64 v[70:71], v[62:63], v[34:35]
	scratch_load_b128 v[34:37], off, off offset:944
	v_add_f64 v[48:49], v[48:49], v[64:65]
	ds_load_b128 v[62:65], v1 offset:1840
	v_fma_f64 v[55:56], v[68:69], v[22:23], v[55:56]
	v_fma_f64 v[66:67], v[66:67], v[22:23], -v[24:25]
	scratch_load_b128 v[22:25], off, off offset:960
	s_waitcnt vmcnt(9) lgkmcnt(1)
	v_mul_f64 v[72:73], v[6:7], v[28:29]
	v_mul_f64 v[28:29], v[8:9], v[28:29]
	v_add_f64 v[38:39], v[70:71], v[38:39]
	v_add_f64 v[48:49], v[48:49], v[51:52]
	s_waitcnt vmcnt(8) lgkmcnt(0)
	v_mul_f64 v[51:52], v[62:63], v[16:17]
	v_mul_f64 v[16:17], v[64:65], v[16:17]
	v_fma_f64 v[70:71], v[8:9], v[26:27], v[72:73]
	v_fma_f64 v[72:73], v[6:7], v[26:27], -v[28:29]
	ds_load_b128 v[6:9], v1 offset:1856
	scratch_load_b128 v[26:29], off, off offset:976
	v_add_f64 v[38:39], v[38:39], v[66:67]
	ds_load_b128 v[66:69], v1 offset:1872
	v_add_f64 v[48:49], v[48:49], v[55:56]
	v_fma_f64 v[51:52], v[64:65], v[14:15], v[51:52]
	s_waitcnt vmcnt(8) lgkmcnt(1)
	v_mul_f64 v[55:56], v[6:7], v[20:21]
	v_mul_f64 v[20:21], v[8:9], v[20:21]
	v_fma_f64 v[62:63], v[62:63], v[14:15], -v[16:17]
	scratch_load_b128 v[14:17], off, off offset:992
	s_waitcnt vmcnt(8) lgkmcnt(0)
	v_mul_f64 v[64:65], v[66:67], v[60:61]
	v_mul_f64 v[60:61], v[68:69], v[60:61]
	v_add_f64 v[38:39], v[38:39], v[72:73]
	v_add_f64 v[48:49], v[48:49], v[70:71]
	v_fma_f64 v[55:56], v[8:9], v[18:19], v[55:56]
	v_fma_f64 v[70:71], v[6:7], v[18:19], -v[20:21]
	ds_load_b128 v[6:9], v1 offset:1888
	ds_load_b128 v[18:21], v1 offset:1904
	v_add_f64 v[38:39], v[38:39], v[62:63]
	v_fma_f64 v[62:63], v[68:69], v[58:59], v[64:65]
	v_add_f64 v[48:49], v[48:49], v[51:52]
	s_waitcnt vmcnt(7) lgkmcnt(1)
	v_mul_f64 v[51:52], v[6:7], v[12:13]
	v_mul_f64 v[12:13], v[8:9], v[12:13]
	v_fma_f64 v[58:59], v[66:67], v[58:59], -v[60:61]
	v_add_f64 v[38:39], v[38:39], v[70:71]
	v_add_f64 v[48:49], v[48:49], v[55:56]
	s_waitcnt vmcnt(6) lgkmcnt(0)
	v_mul_f64 v[55:56], v[18:19], v[42:43]
	v_mul_f64 v[42:43], v[20:21], v[42:43]
	v_fma_f64 v[51:52], v[8:9], v[10:11], v[51:52]
	v_fma_f64 v[60:61], v[6:7], v[10:11], -v[12:13]
	ds_load_b128 v[6:9], v1 offset:1920
	ds_load_b128 v[10:13], v1 offset:1936
	v_add_f64 v[38:39], v[38:39], v[58:59]
	s_waitcnt vmcnt(5) lgkmcnt(1)
	v_mul_f64 v[58:59], v[6:7], v[46:47]
	v_add_f64 v[48:49], v[48:49], v[62:63]
	v_mul_f64 v[46:47], v[8:9], v[46:47]
	v_fma_f64 v[20:21], v[20:21], v[40:41], v[55:56]
	v_fma_f64 v[18:19], v[18:19], v[40:41], -v[42:43]
	v_add_f64 v[38:39], v[38:39], v[60:61]
	v_add_f64 v[40:41], v[48:49], v[51:52]
	v_fma_f64 v[48:49], v[8:9], v[44:45], v[58:59]
	v_fma_f64 v[44:45], v[6:7], v[44:45], -v[46:47]
	s_waitcnt vmcnt(4) lgkmcnt(0)
	v_mul_f64 v[42:43], v[10:11], v[32:33]
	v_mul_f64 v[32:33], v[12:13], v[32:33]
	v_add_f64 v[38:39], v[38:39], v[18:19]
	v_add_f64 v[40:41], v[40:41], v[20:21]
	ds_load_b128 v[6:9], v1 offset:1952
	ds_load_b128 v[18:21], v1 offset:1968
	v_fma_f64 v[12:13], v[12:13], v[30:31], v[42:43]
	v_fma_f64 v[10:11], v[10:11], v[30:31], -v[32:33]
	s_waitcnt vmcnt(3) lgkmcnt(1)
	v_mul_f64 v[46:47], v[6:7], v[36:37]
	v_mul_f64 v[36:37], v[8:9], v[36:37]
	v_add_f64 v[30:31], v[38:39], v[44:45]
	s_waitcnt vmcnt(2) lgkmcnt(0)
	v_mul_f64 v[38:39], v[18:19], v[24:25]
	v_add_f64 v[32:33], v[40:41], v[48:49]
	v_mul_f64 v[24:25], v[20:21], v[24:25]
	v_fma_f64 v[40:41], v[8:9], v[34:35], v[46:47]
	v_fma_f64 v[34:35], v[6:7], v[34:35], -v[36:37]
	v_add_f64 v[30:31], v[30:31], v[10:11]
	v_fma_f64 v[20:21], v[20:21], v[22:23], v[38:39]
	v_add_f64 v[32:33], v[32:33], v[12:13]
	ds_load_b128 v[6:9], v1 offset:1984
	ds_load_b128 v[10:13], v1 offset:2000
	v_fma_f64 v[18:19], v[18:19], v[22:23], -v[24:25]
	s_waitcnt vmcnt(1) lgkmcnt(1)
	v_mul_f64 v[36:37], v[6:7], v[28:29]
	v_mul_f64 v[28:29], v[8:9], v[28:29]
	v_add_f64 v[22:23], v[30:31], v[34:35]
	s_waitcnt vmcnt(0) lgkmcnt(0)
	v_mul_f64 v[30:31], v[10:11], v[16:17]
	v_add_f64 v[24:25], v[32:33], v[40:41]
	v_mul_f64 v[16:17], v[12:13], v[16:17]
	v_fma_f64 v[8:9], v[8:9], v[26:27], v[36:37]
	v_fma_f64 v[6:7], v[6:7], v[26:27], -v[28:29]
	v_add_f64 v[18:19], v[22:23], v[18:19]
	v_fma_f64 v[12:13], v[12:13], v[14:15], v[30:31]
	v_add_f64 v[20:21], v[24:25], v[20:21]
	v_fma_f64 v[10:11], v[10:11], v[14:15], -v[16:17]
	s_delay_alu instid0(VALU_DEP_4) | instskip(NEXT) | instid1(VALU_DEP_3)
	v_add_f64 v[6:7], v[18:19], v[6:7]
	v_add_f64 v[8:9], v[20:21], v[8:9]
	s_delay_alu instid0(VALU_DEP_2) | instskip(NEXT) | instid1(VALU_DEP_2)
	v_add_f64 v[6:7], v[6:7], v[10:11]
	v_add_f64 v[8:9], v[8:9], v[12:13]
	s_delay_alu instid0(VALU_DEP_2) | instskip(NEXT) | instid1(VALU_DEP_2)
	v_add_f64 v[1:2], v[2:3], -v[6:7]
	v_add_f64 v[3:4], v[4:5], -v[8:9]
	scratch_store_b128 off, v[1:4], off offset:96
	v_cmpx_lt_u32_e32 5, v179
	s_cbranch_execz .LBB126_393
; %bb.392:
	scratch_load_b32 v1, off, off offset:1056 ; 4-byte Folded Reload
	v_mov_b32_e32 v5, 0
	s_delay_alu instid0(VALU_DEP_1)
	v_mov_b32_e32 v6, v5
	v_mov_b32_e32 v7, v5
	;; [unrolled: 1-line block ×3, first 2 shown]
	s_waitcnt vmcnt(0)
	scratch_load_b128 v[1:4], v1, off
	scratch_store_b128 off, v[5:8], off offset:80
	s_waitcnt vmcnt(0)
	ds_store_b128 v244, v[1:4]
.LBB126_393:
	s_or_b32 exec_lo, exec_lo, s2
	s_waitcnt lgkmcnt(0)
	s_waitcnt_vscnt null, 0x0
	s_barrier
	buffer_gl0_inv
	s_clause 0x7
	scratch_load_b128 v[34:37], off, off offset:96
	scratch_load_b128 v[38:41], off, off offset:112
	;; [unrolled: 1-line block ×8, first 2 shown]
	v_mov_b32_e32 v1, 0
	s_mov_b32 s2, exec_lo
	ds_load_b128 v[46:49], v1 offset:1104
	s_clause 0x1
	scratch_load_b128 v[14:17], off, off offset:224
	scratch_load_b128 v[2:5], off, off offset:80
	ds_load_b128 v[42:45], v1 offset:1120
	scratch_load_b128 v[58:61], off, off offset:240
	ds_load_b128 v[62:65], v1 offset:1152
	s_waitcnt vmcnt(10) lgkmcnt(2)
	v_mul_f64 v[51:52], v[48:49], v[36:37]
	v_mul_f64 v[36:37], v[46:47], v[36:37]
	s_delay_alu instid0(VALU_DEP_2) | instskip(NEXT) | instid1(VALU_DEP_2)
	v_fma_f64 v[51:52], v[46:47], v[34:35], -v[51:52]
	v_fma_f64 v[66:67], v[48:49], v[34:35], v[36:37]
	ds_load_b128 v[34:37], v1 offset:1136
	s_waitcnt vmcnt(9) lgkmcnt(2)
	v_mul_f64 v[55:56], v[42:43], v[40:41]
	v_mul_f64 v[40:41], v[44:45], v[40:41]
	scratch_load_b128 v[46:49], off, off offset:256
	s_waitcnt vmcnt(9) lgkmcnt(0)
	v_mul_f64 v[68:69], v[34:35], v[32:33]
	v_mul_f64 v[32:33], v[36:37], v[32:33]
	v_add_f64 v[51:52], v[51:52], 0
	v_fma_f64 v[44:45], v[44:45], v[38:39], v[55:56]
	v_fma_f64 v[42:43], v[42:43], v[38:39], -v[40:41]
	v_add_f64 v[55:56], v[66:67], 0
	scratch_load_b128 v[38:41], off, off offset:272
	v_fma_f64 v[36:37], v[36:37], v[30:31], v[68:69]
	v_fma_f64 v[68:69], v[34:35], v[30:31], -v[32:33]
	scratch_load_b128 v[32:35], off, off offset:288
	v_add_f64 v[51:52], v[51:52], v[42:43]
	v_add_f64 v[55:56], v[55:56], v[44:45]
	ds_load_b128 v[42:45], v1 offset:1184
	s_waitcnt vmcnt(10)
	v_mul_f64 v[66:67], v[62:63], v[28:29]
	v_mul_f64 v[70:71], v[64:65], v[28:29]
	ds_load_b128 v[28:31], v1 offset:1168
	v_add_f64 v[51:52], v[51:52], v[68:69]
	v_add_f64 v[36:37], v[55:56], v[36:37]
	s_waitcnt vmcnt(8) lgkmcnt(1)
	v_mul_f64 v[55:56], v[42:43], v[20:21]
	v_fma_f64 v[64:65], v[64:65], v[26:27], v[66:67]
	v_fma_f64 v[62:63], v[62:63], v[26:27], -v[70:71]
	v_mul_f64 v[66:67], v[44:45], v[20:21]
	s_delay_alu instid0(VALU_DEP_4) | instskip(NEXT) | instid1(VALU_DEP_4)
	v_fma_f64 v[55:56], v[44:45], v[18:19], v[55:56]
	v_add_f64 v[36:37], v[36:37], v[64:65]
	s_delay_alu instid0(VALU_DEP_4)
	v_add_f64 v[51:52], v[51:52], v[62:63]
	ds_load_b128 v[62:65], v1 offset:1216
	s_waitcnt lgkmcnt(1)
	v_mul_f64 v[72:73], v[28:29], v[24:25]
	v_mul_f64 v[74:75], v[30:31], v[24:25]
	scratch_load_b128 v[24:27], off, off offset:304
	v_fma_f64 v[18:19], v[42:43], v[18:19], -v[66:67]
	scratch_load_b128 v[42:45], off, off offset:336
	v_fma_f64 v[68:69], v[30:31], v[22:23], v[72:73]
	v_fma_f64 v[70:71], v[28:29], v[22:23], -v[74:75]
	ds_load_b128 v[20:23], v1 offset:1200
	scratch_load_b128 v[28:31], off, off offset:320
	s_waitcnt vmcnt(9) lgkmcnt(1)
	v_mul_f64 v[74:75], v[64:65], v[8:9]
	v_add_f64 v[36:37], v[36:37], v[68:69]
	ds_load_b128 v[66:69], v1 offset:1248
	s_waitcnt lgkmcnt(1)
	v_mul_f64 v[72:73], v[20:21], v[12:13]
	v_mul_f64 v[12:13], v[22:23], v[12:13]
	v_add_f64 v[51:52], v[51:52], v[70:71]
	v_mul_f64 v[70:71], v[62:63], v[8:9]
	v_add_f64 v[36:37], v[36:37], v[55:56]
	v_fma_f64 v[22:23], v[22:23], v[10:11], v[72:73]
	v_fma_f64 v[12:13], v[20:21], v[10:11], -v[12:13]
	v_add_f64 v[51:52], v[51:52], v[18:19]
	ds_load_b128 v[8:11], v1 offset:1232
	scratch_load_b128 v[18:21], off, off offset:352
	v_fma_f64 v[70:71], v[64:65], v[6:7], v[70:71]
	v_fma_f64 v[6:7], v[62:63], v[6:7], -v[74:75]
	scratch_load_b128 v[62:65], off, off offset:368
	s_waitcnt vmcnt(10) lgkmcnt(0)
	v_mul_f64 v[55:56], v[8:9], v[16:17]
	v_mul_f64 v[16:17], v[10:11], v[16:17]
	v_add_f64 v[22:23], v[36:37], v[22:23]
	s_waitcnt vmcnt(8)
	v_mul_f64 v[36:37], v[66:67], v[60:61]
	v_add_f64 v[12:13], v[51:52], v[12:13]
	v_mul_f64 v[51:52], v[68:69], v[60:61]
	v_fma_f64 v[55:56], v[10:11], v[14:15], v[55:56]
	v_fma_f64 v[60:61], v[8:9], v[14:15], -v[16:17]
	ds_load_b128 v[14:17], v1 offset:1280
	v_add_f64 v[22:23], v[22:23], v[70:71]
	v_fma_f64 v[36:37], v[68:69], v[58:59], v[36:37]
	v_add_f64 v[72:73], v[12:13], v[6:7]
	scratch_load_b128 v[10:13], off, off offset:384
	ds_load_b128 v[6:9], v1 offset:1264
	v_fma_f64 v[51:52], v[66:67], v[58:59], -v[51:52]
	s_waitcnt vmcnt(8) lgkmcnt(0)
	v_mul_f64 v[70:71], v[6:7], v[48:49]
	v_mul_f64 v[48:49], v[8:9], v[48:49]
	v_add_f64 v[22:23], v[22:23], v[55:56]
	s_waitcnt vmcnt(7)
	v_mul_f64 v[55:56], v[14:15], v[40:41]
	v_add_f64 v[66:67], v[72:73], v[60:61]
	scratch_load_b128 v[58:61], off, off offset:400
	v_mul_f64 v[40:41], v[16:17], v[40:41]
	v_fma_f64 v[70:71], v[8:9], v[46:47], v[70:71]
	v_fma_f64 v[72:73], v[6:7], v[46:47], -v[48:49]
	scratch_load_b128 v[46:49], off, off offset:416
	ds_load_b128 v[6:9], v1 offset:1296
	v_add_f64 v[22:23], v[22:23], v[36:37]
	v_fma_f64 v[55:56], v[16:17], v[38:39], v[55:56]
	v_add_f64 v[51:52], v[66:67], v[51:52]
	ds_load_b128 v[66:69], v1 offset:1312
	v_fma_f64 v[38:39], v[14:15], v[38:39], -v[40:41]
	scratch_load_b128 v[14:17], off, off offset:432
	s_waitcnt vmcnt(9) lgkmcnt(1)
	v_mul_f64 v[36:37], v[6:7], v[34:35]
	v_mul_f64 v[34:35], v[8:9], v[34:35]
	v_add_f64 v[22:23], v[22:23], v[70:71]
	v_add_f64 v[40:41], v[51:52], v[72:73]
	s_delay_alu instid0(VALU_DEP_4) | instskip(NEXT) | instid1(VALU_DEP_4)
	v_fma_f64 v[70:71], v[8:9], v[32:33], v[36:37]
	v_fma_f64 v[72:73], v[6:7], v[32:33], -v[34:35]
	scratch_load_b128 v[32:35], off, off offset:448
	ds_load_b128 v[6:9], v1 offset:1328
	s_waitcnt vmcnt(9) lgkmcnt(1)
	v_mul_f64 v[51:52], v[66:67], v[26:27]
	v_mul_f64 v[26:27], v[68:69], v[26:27]
	v_add_f64 v[22:23], v[22:23], v[55:56]
	v_add_f64 v[40:41], v[40:41], v[38:39]
	ds_load_b128 v[36:39], v1 offset:1344
	v_fma_f64 v[51:52], v[68:69], v[24:25], v[51:52]
	s_waitcnt vmcnt(7) lgkmcnt(1)
	v_mul_f64 v[55:56], v[6:7], v[30:31]
	v_mul_f64 v[30:31], v[8:9], v[30:31]
	v_fma_f64 v[26:27], v[66:67], v[24:25], -v[26:27]
	v_add_f64 v[66:67], v[22:23], v[70:71]
	scratch_load_b128 v[22:25], off, off offset:464
	v_add_f64 v[40:41], v[40:41], v[72:73]
	s_waitcnt lgkmcnt(0)
	v_mul_f64 v[70:71], v[36:37], v[44:45]
	v_mul_f64 v[44:45], v[38:39], v[44:45]
	v_fma_f64 v[55:56], v[8:9], v[28:29], v[55:56]
	v_fma_f64 v[30:31], v[6:7], v[28:29], -v[30:31]
	ds_load_b128 v[6:9], v1 offset:1360
	v_add_f64 v[51:52], v[66:67], v[51:52]
	ds_load_b128 v[66:69], v1 offset:1376
	v_add_f64 v[40:41], v[40:41], v[26:27]
	scratch_load_b128 v[26:29], off, off offset:480
	v_fma_f64 v[70:71], v[38:39], v[42:43], v[70:71]
	v_fma_f64 v[42:43], v[36:37], v[42:43], -v[44:45]
	scratch_load_b128 v[36:39], off, off offset:496
	s_waitcnt vmcnt(9) lgkmcnt(1)
	v_mul_f64 v[72:73], v[6:7], v[20:21]
	v_mul_f64 v[20:21], v[8:9], v[20:21]
	s_waitcnt vmcnt(8) lgkmcnt(0)
	v_mul_f64 v[44:45], v[66:67], v[64:65]
	v_add_f64 v[30:31], v[40:41], v[30:31]
	v_add_f64 v[40:41], v[51:52], v[55:56]
	v_mul_f64 v[51:52], v[68:69], v[64:65]
	v_fma_f64 v[55:56], v[8:9], v[18:19], v[72:73]
	v_fma_f64 v[64:65], v[6:7], v[18:19], -v[20:21]
	scratch_load_b128 v[18:21], off, off offset:512
	ds_load_b128 v[6:9], v1 offset:1392
	v_fma_f64 v[44:45], v[68:69], v[62:63], v[44:45]
	v_add_f64 v[30:31], v[30:31], v[42:43]
	v_add_f64 v[70:71], v[40:41], v[70:71]
	ds_load_b128 v[40:43], v1 offset:1408
	v_fma_f64 v[51:52], v[66:67], v[62:63], -v[51:52]
	ds_load_b128 v[66:69], v1 offset:1440
	s_waitcnt vmcnt(8) lgkmcnt(2)
	v_mul_f64 v[72:73], v[6:7], v[12:13]
	v_mul_f64 v[12:13], v[8:9], v[12:13]
	v_add_f64 v[30:31], v[30:31], v[64:65]
	v_add_f64 v[55:56], v[70:71], v[55:56]
	scratch_load_b128 v[62:65], off, off offset:528
	s_waitcnt vmcnt(8) lgkmcnt(1)
	v_mul_f64 v[70:71], v[40:41], v[60:61]
	v_mul_f64 v[60:61], v[42:43], v[60:61]
	v_fma_f64 v[72:73], v[8:9], v[10:11], v[72:73]
	v_fma_f64 v[74:75], v[6:7], v[10:11], -v[12:13]
	scratch_load_b128 v[10:13], off, off offset:544
	ds_load_b128 v[6:9], v1 offset:1424
	v_add_f64 v[30:31], v[30:31], v[51:52]
	v_add_f64 v[44:45], v[55:56], v[44:45]
	s_waitcnt vmcnt(8) lgkmcnt(0)
	v_mul_f64 v[51:52], v[6:7], v[48:49]
	v_mul_f64 v[48:49], v[8:9], v[48:49]
	v_fma_f64 v[55:56], v[42:43], v[58:59], v[70:71]
	v_fma_f64 v[58:59], v[40:41], v[58:59], -v[60:61]
	scratch_load_b128 v[40:43], off, off offset:560
	s_waitcnt vmcnt(8)
	v_mul_f64 v[70:71], v[66:67], v[16:17]
	v_mul_f64 v[16:17], v[68:69], v[16:17]
	v_add_f64 v[30:31], v[30:31], v[74:75]
	v_add_f64 v[44:45], v[44:45], v[72:73]
	v_fma_f64 v[51:52], v[8:9], v[46:47], v[51:52]
	v_fma_f64 v[48:49], v[6:7], v[46:47], -v[48:49]
	ds_load_b128 v[6:9], v1 offset:1456
	v_fma_f64 v[68:69], v[68:69], v[14:15], v[70:71]
	v_fma_f64 v[66:67], v[66:67], v[14:15], -v[16:17]
	scratch_load_b128 v[14:17], off, off offset:592
	v_add_f64 v[30:31], v[30:31], v[58:59]
	v_add_f64 v[55:56], v[44:45], v[55:56]
	scratch_load_b128 v[44:47], off, off offset:576
	ds_load_b128 v[58:61], v1 offset:1472
	s_waitcnt vmcnt(9) lgkmcnt(1)
	v_mul_f64 v[72:73], v[6:7], v[34:35]
	v_mul_f64 v[34:35], v[8:9], v[34:35]
	v_add_f64 v[30:31], v[30:31], v[48:49]
	v_add_f64 v[48:49], v[55:56], v[51:52]
	s_delay_alu instid0(VALU_DEP_4) | instskip(NEXT) | instid1(VALU_DEP_4)
	v_fma_f64 v[55:56], v[8:9], v[32:33], v[72:73]
	v_fma_f64 v[34:35], v[6:7], v[32:33], -v[34:35]
	ds_load_b128 v[6:9], v1 offset:1488
	s_waitcnt vmcnt(8) lgkmcnt(1)
	v_mul_f64 v[51:52], v[58:59], v[24:25]
	v_mul_f64 v[24:25], v[60:61], v[24:25]
	v_add_f64 v[70:71], v[30:31], v[66:67]
	v_add_f64 v[48:49], v[48:49], v[68:69]
	ds_load_b128 v[66:69], v1 offset:1504
	scratch_load_b128 v[30:33], off, off offset:608
	v_fma_f64 v[51:52], v[60:61], v[22:23], v[51:52]
	v_fma_f64 v[58:59], v[58:59], v[22:23], -v[24:25]
	s_waitcnt vmcnt(8) lgkmcnt(1)
	v_mul_f64 v[72:73], v[6:7], v[28:29]
	v_mul_f64 v[28:29], v[8:9], v[28:29]
	scratch_load_b128 v[22:25], off, off offset:624
	v_add_f64 v[34:35], v[70:71], v[34:35]
	v_add_f64 v[48:49], v[48:49], v[55:56]
	s_waitcnt vmcnt(8) lgkmcnt(0)
	v_mul_f64 v[55:56], v[66:67], v[38:39]
	v_mul_f64 v[38:39], v[68:69], v[38:39]
	v_fma_f64 v[70:71], v[8:9], v[26:27], v[72:73]
	v_fma_f64 v[72:73], v[6:7], v[26:27], -v[28:29]
	scratch_load_b128 v[26:29], off, off offset:640
	ds_load_b128 v[6:9], v1 offset:1520
	v_add_f64 v[34:35], v[34:35], v[58:59]
	ds_load_b128 v[58:61], v1 offset:1536
	v_add_f64 v[48:49], v[48:49], v[51:52]
	s_waitcnt vmcnt(8) lgkmcnt(1)
	v_mul_f64 v[51:52], v[6:7], v[20:21]
	v_mul_f64 v[20:21], v[8:9], v[20:21]
	v_fma_f64 v[55:56], v[68:69], v[36:37], v[55:56]
	v_fma_f64 v[38:39], v[66:67], v[36:37], -v[38:39]
	v_add_f64 v[66:67], v[34:35], v[72:73]
	scratch_load_b128 v[34:37], off, off offset:656
	v_add_f64 v[48:49], v[48:49], v[70:71]
	v_fma_f64 v[51:52], v[8:9], v[18:19], v[51:52]
	v_fma_f64 v[72:73], v[6:7], v[18:19], -v[20:21]
	scratch_load_b128 v[18:21], off, off offset:672
	ds_load_b128 v[6:9], v1 offset:1552
	s_waitcnt vmcnt(9) lgkmcnt(1)
	v_mul_f64 v[68:69], v[58:59], v[64:65]
	v_mul_f64 v[70:71], v[60:61], v[64:65]
	v_add_f64 v[38:39], v[66:67], v[38:39]
	ds_load_b128 v[64:67], v1 offset:1568
	v_add_f64 v[48:49], v[48:49], v[55:56]
	s_waitcnt vmcnt(8) lgkmcnt(1)
	v_mul_f64 v[55:56], v[6:7], v[12:13]
	v_mul_f64 v[12:13], v[8:9], v[12:13]
	v_fma_f64 v[68:69], v[60:61], v[62:63], v[68:69]
	v_fma_f64 v[62:63], v[58:59], v[62:63], -v[70:71]
	scratch_load_b128 v[58:61], off, off offset:688
	v_add_f64 v[38:39], v[38:39], v[72:73]
	v_add_f64 v[48:49], v[48:49], v[51:52]
	s_waitcnt vmcnt(8) lgkmcnt(0)
	v_mul_f64 v[51:52], v[64:65], v[42:43]
	v_mul_f64 v[42:43], v[66:67], v[42:43]
	v_fma_f64 v[55:56], v[8:9], v[10:11], v[55:56]
	v_fma_f64 v[72:73], v[6:7], v[10:11], -v[12:13]
	scratch_load_b128 v[10:13], off, off offset:704
	ds_load_b128 v[6:9], v1 offset:1584
	v_add_f64 v[38:39], v[38:39], v[62:63]
	v_add_f64 v[48:49], v[48:49], v[68:69]
	ds_load_b128 v[68:71], v1 offset:1600
	v_fma_f64 v[51:52], v[66:67], v[40:41], v[51:52]
	v_fma_f64 v[42:43], v[64:65], v[40:41], -v[42:43]
	s_waitcnt vmcnt(7) lgkmcnt(1)
	v_mul_f64 v[62:63], v[6:7], v[46:47]
	v_mul_f64 v[46:47], v[8:9], v[46:47]
	v_add_f64 v[64:65], v[38:39], v[72:73]
	scratch_load_b128 v[38:41], off, off offset:720
	v_add_f64 v[48:49], v[48:49], v[55:56]
	s_waitcnt lgkmcnt(0)
	v_mul_f64 v[55:56], v[68:69], v[16:17]
	v_mul_f64 v[16:17], v[70:71], v[16:17]
	v_fma_f64 v[62:63], v[8:9], v[44:45], v[62:63]
	v_fma_f64 v[66:67], v[6:7], v[44:45], -v[46:47]
	ds_load_b128 v[6:9], v1 offset:1616
	v_add_f64 v[64:65], v[64:65], v[42:43]
	scratch_load_b128 v[42:45], off, off offset:736
	v_add_f64 v[51:52], v[48:49], v[51:52]
	ds_load_b128 v[46:49], v1 offset:1632
	v_fma_f64 v[55:56], v[70:71], v[14:15], v[55:56]
	v_fma_f64 v[68:69], v[68:69], v[14:15], -v[16:17]
	scratch_load_b128 v[14:17], off, off offset:752
	s_waitcnt vmcnt(9) lgkmcnt(1)
	v_mul_f64 v[72:73], v[6:7], v[32:33]
	v_mul_f64 v[32:33], v[8:9], v[32:33]
	v_add_f64 v[64:65], v[64:65], v[66:67]
	s_waitcnt vmcnt(8) lgkmcnt(0)
	v_mul_f64 v[66:67], v[46:47], v[24:25]
	v_add_f64 v[51:52], v[51:52], v[62:63]
	v_mul_f64 v[24:25], v[48:49], v[24:25]
	v_fma_f64 v[70:71], v[8:9], v[30:31], v[72:73]
	v_fma_f64 v[72:73], v[6:7], v[30:31], -v[32:33]
	scratch_load_b128 v[30:33], off, off offset:768
	ds_load_b128 v[6:9], v1 offset:1648
	v_add_f64 v[68:69], v[64:65], v[68:69]
	ds_load_b128 v[62:65], v1 offset:1664
	v_add_f64 v[51:52], v[51:52], v[55:56]
	v_fma_f64 v[48:49], v[48:49], v[22:23], v[66:67]
	s_waitcnt vmcnt(8) lgkmcnt(1)
	v_mul_f64 v[55:56], v[6:7], v[28:29]
	v_mul_f64 v[28:29], v[8:9], v[28:29]
	v_fma_f64 v[46:47], v[46:47], v[22:23], -v[24:25]
	scratch_load_b128 v[22:25], off, off offset:784
	v_add_f64 v[66:67], v[68:69], v[72:73]
	v_add_f64 v[51:52], v[51:52], v[70:71]
	v_fma_f64 v[55:56], v[8:9], v[26:27], v[55:56]
	v_fma_f64 v[70:71], v[6:7], v[26:27], -v[28:29]
	scratch_load_b128 v[26:29], off, off offset:800
	ds_load_b128 v[6:9], v1 offset:1680
	s_waitcnt vmcnt(9) lgkmcnt(1)
	v_mul_f64 v[68:69], v[62:63], v[36:37]
	v_mul_f64 v[36:37], v[64:65], v[36:37]
	v_add_f64 v[66:67], v[66:67], v[46:47]
	v_add_f64 v[51:52], v[51:52], v[48:49]
	ds_load_b128 v[46:49], v1 offset:1696
	s_waitcnt vmcnt(8) lgkmcnt(1)
	v_mul_f64 v[72:73], v[6:7], v[20:21]
	v_mul_f64 v[20:21], v[8:9], v[20:21]
	v_fma_f64 v[64:65], v[64:65], v[34:35], v[68:69]
	v_fma_f64 v[62:63], v[62:63], v[34:35], -v[36:37]
	scratch_load_b128 v[34:37], off, off offset:816
	s_waitcnt vmcnt(8) lgkmcnt(0)
	v_mul_f64 v[68:69], v[48:49], v[60:61]
	v_add_f64 v[66:67], v[66:67], v[70:71]
	v_add_f64 v[51:52], v[51:52], v[55:56]
	v_mul_f64 v[55:56], v[46:47], v[60:61]
	v_fma_f64 v[70:71], v[8:9], v[18:19], v[72:73]
	v_fma_f64 v[72:73], v[6:7], v[18:19], -v[20:21]
	scratch_load_b128 v[18:21], off, off offset:832
	ds_load_b128 v[6:9], v1 offset:1712
	v_add_f64 v[66:67], v[66:67], v[62:63]
	ds_load_b128 v[60:63], v1 offset:1728
	v_add_f64 v[51:52], v[51:52], v[64:65]
	s_waitcnt vmcnt(8) lgkmcnt(1)
	v_mul_f64 v[64:65], v[6:7], v[12:13]
	v_mul_f64 v[12:13], v[8:9], v[12:13]
	v_fma_f64 v[55:56], v[48:49], v[58:59], v[55:56]
	v_fma_f64 v[58:59], v[46:47], v[58:59], -v[68:69]
	scratch_load_b128 v[46:49], off, off offset:848
	v_add_f64 v[66:67], v[66:67], v[72:73]
	v_add_f64 v[51:52], v[51:52], v[70:71]
	v_fma_f64 v[70:71], v[8:9], v[10:11], v[64:65]
	v_fma_f64 v[72:73], v[6:7], v[10:11], -v[12:13]
	scratch_load_b128 v[10:13], off, off offset:864
	ds_load_b128 v[6:9], v1 offset:1744
	s_waitcnt vmcnt(9) lgkmcnt(1)
	v_mul_f64 v[68:69], v[60:61], v[40:41]
	v_mul_f64 v[40:41], v[62:63], v[40:41]
	v_add_f64 v[58:59], v[66:67], v[58:59]
	ds_load_b128 v[64:67], v1 offset:1760
	v_add_f64 v[51:52], v[51:52], v[55:56]
	s_waitcnt vmcnt(8) lgkmcnt(1)
	v_mul_f64 v[55:56], v[6:7], v[44:45]
	v_mul_f64 v[44:45], v[8:9], v[44:45]
	v_fma_f64 v[62:63], v[62:63], v[38:39], v[68:69]
	v_fma_f64 v[60:61], v[60:61], v[38:39], -v[40:41]
	scratch_load_b128 v[38:41], off, off offset:880
	s_waitcnt vmcnt(8) lgkmcnt(0)
	v_mul_f64 v[68:69], v[64:65], v[16:17]
	v_mul_f64 v[16:17], v[66:67], v[16:17]
	v_add_f64 v[58:59], v[58:59], v[72:73]
	v_add_f64 v[51:52], v[51:52], v[70:71]
	v_fma_f64 v[55:56], v[8:9], v[42:43], v[55:56]
	v_fma_f64 v[70:71], v[6:7], v[42:43], -v[44:45]
	scratch_load_b128 v[42:45], off, off offset:896
	ds_load_b128 v[6:9], v1 offset:1776
	v_fma_f64 v[66:67], v[66:67], v[14:15], v[68:69]
	v_fma_f64 v[64:65], v[64:65], v[14:15], -v[16:17]
	scratch_load_b128 v[14:17], off, off offset:912
	v_add_f64 v[72:73], v[58:59], v[60:61]
	ds_load_b128 v[58:61], v1 offset:1792
	v_add_f64 v[51:52], v[51:52], v[62:63]
	s_waitcnt vmcnt(9) lgkmcnt(1)
	v_mul_f64 v[62:63], v[6:7], v[32:33]
	v_mul_f64 v[32:33], v[8:9], v[32:33]
	v_add_f64 v[68:69], v[72:73], v[70:71]
	s_delay_alu instid0(VALU_DEP_4)
	v_add_f64 v[51:52], v[51:52], v[55:56]
	s_waitcnt vmcnt(8) lgkmcnt(0)
	v_mul_f64 v[55:56], v[58:59], v[24:25]
	v_mul_f64 v[24:25], v[60:61], v[24:25]
	v_fma_f64 v[70:71], v[8:9], v[30:31], v[62:63]
	v_fma_f64 v[72:73], v[6:7], v[30:31], -v[32:33]
	scratch_load_b128 v[30:33], off, off offset:928
	ds_load_b128 v[6:9], v1 offset:1808
	v_add_f64 v[68:69], v[68:69], v[64:65]
	ds_load_b128 v[62:65], v1 offset:1824
	v_add_f64 v[51:52], v[51:52], v[66:67]
	s_waitcnt vmcnt(8) lgkmcnt(1)
	v_mul_f64 v[66:67], v[6:7], v[28:29]
	v_mul_f64 v[28:29], v[8:9], v[28:29]
	v_fma_f64 v[55:56], v[60:61], v[22:23], v[55:56]
	v_fma_f64 v[58:59], v[58:59], v[22:23], -v[24:25]
	scratch_load_b128 v[22:25], off, off offset:944
	v_add_f64 v[60:61], v[68:69], v[72:73]
	s_waitcnt vmcnt(8) lgkmcnt(0)
	v_mul_f64 v[68:69], v[62:63], v[36:37]
	v_add_f64 v[51:52], v[51:52], v[70:71]
	v_mul_f64 v[36:37], v[64:65], v[36:37]
	v_fma_f64 v[66:67], v[8:9], v[26:27], v[66:67]
	v_fma_f64 v[70:71], v[6:7], v[26:27], -v[28:29]
	scratch_load_b128 v[26:29], off, off offset:960
	ds_load_b128 v[6:9], v1 offset:1840
	v_add_f64 v[72:73], v[60:61], v[58:59]
	ds_load_b128 v[58:61], v1 offset:1856
	v_add_f64 v[51:52], v[51:52], v[55:56]
	s_waitcnt vmcnt(8) lgkmcnt(1)
	v_mul_f64 v[55:56], v[6:7], v[20:21]
	v_mul_f64 v[20:21], v[8:9], v[20:21]
	v_fma_f64 v[64:65], v[64:65], v[34:35], v[68:69]
	v_fma_f64 v[62:63], v[62:63], v[34:35], -v[36:37]
	scratch_load_b128 v[34:37], off, off offset:976
	v_add_f64 v[68:69], v[72:73], v[70:71]
	v_add_f64 v[51:52], v[51:52], v[66:67]
	s_waitcnt vmcnt(8) lgkmcnt(0)
	v_mul_f64 v[66:67], v[58:59], v[48:49]
	v_mul_f64 v[48:49], v[60:61], v[48:49]
	v_fma_f64 v[55:56], v[8:9], v[18:19], v[55:56]
	v_fma_f64 v[70:71], v[6:7], v[18:19], -v[20:21]
	scratch_load_b128 v[18:21], off, off offset:992
	ds_load_b128 v[6:9], v1 offset:1872
	v_add_f64 v[68:69], v[68:69], v[62:63]
	v_add_f64 v[51:52], v[51:52], v[64:65]
	ds_load_b128 v[62:65], v1 offset:1888
	s_waitcnt vmcnt(8) lgkmcnt(1)
	v_mul_f64 v[72:73], v[6:7], v[12:13]
	v_mul_f64 v[12:13], v[8:9], v[12:13]
	v_fma_f64 v[60:61], v[60:61], v[46:47], v[66:67]
	v_fma_f64 v[46:47], v[58:59], v[46:47], -v[48:49]
	v_add_f64 v[48:49], v[68:69], v[70:71]
	v_add_f64 v[51:52], v[51:52], v[55:56]
	s_waitcnt vmcnt(7) lgkmcnt(0)
	v_mul_f64 v[55:56], v[62:63], v[40:41]
	v_mul_f64 v[40:41], v[64:65], v[40:41]
	v_fma_f64 v[58:59], v[8:9], v[10:11], v[72:73]
	v_fma_f64 v[66:67], v[6:7], v[10:11], -v[12:13]
	ds_load_b128 v[6:9], v1 offset:1904
	ds_load_b128 v[10:13], v1 offset:1920
	v_add_f64 v[46:47], v[48:49], v[46:47]
	v_add_f64 v[48:49], v[51:52], v[60:61]
	s_waitcnt vmcnt(6) lgkmcnt(1)
	v_mul_f64 v[51:52], v[6:7], v[44:45]
	v_mul_f64 v[44:45], v[8:9], v[44:45]
	v_fma_f64 v[55:56], v[64:65], v[38:39], v[55:56]
	v_fma_f64 v[38:39], v[62:63], v[38:39], -v[40:41]
	v_add_f64 v[40:41], v[46:47], v[66:67]
	v_add_f64 v[46:47], v[48:49], v[58:59]
	s_waitcnt vmcnt(5) lgkmcnt(0)
	v_mul_f64 v[48:49], v[10:11], v[16:17]
	v_mul_f64 v[16:17], v[12:13], v[16:17]
	v_fma_f64 v[51:52], v[8:9], v[42:43], v[51:52]
	v_fma_f64 v[42:43], v[6:7], v[42:43], -v[44:45]
	v_add_f64 v[44:45], v[40:41], v[38:39]
	ds_load_b128 v[6:9], v1 offset:1936
	ds_load_b128 v[38:41], v1 offset:1952
	v_add_f64 v[46:47], v[46:47], v[55:56]
	v_fma_f64 v[12:13], v[12:13], v[14:15], v[48:49]
	v_fma_f64 v[10:11], v[10:11], v[14:15], -v[16:17]
	s_waitcnt vmcnt(4) lgkmcnt(1)
	v_mul_f64 v[55:56], v[6:7], v[32:33]
	v_mul_f64 v[32:33], v[8:9], v[32:33]
	v_add_f64 v[14:15], v[44:45], v[42:43]
	s_waitcnt vmcnt(3) lgkmcnt(0)
	v_mul_f64 v[42:43], v[38:39], v[24:25]
	v_add_f64 v[16:17], v[46:47], v[51:52]
	v_mul_f64 v[24:25], v[40:41], v[24:25]
	v_fma_f64 v[44:45], v[8:9], v[30:31], v[55:56]
	v_fma_f64 v[30:31], v[6:7], v[30:31], -v[32:33]
	v_add_f64 v[14:15], v[14:15], v[10:11]
	v_fma_f64 v[40:41], v[40:41], v[22:23], v[42:43]
	v_add_f64 v[16:17], v[16:17], v[12:13]
	ds_load_b128 v[6:9], v1 offset:1968
	ds_load_b128 v[10:13], v1 offset:1984
	v_fma_f64 v[22:23], v[38:39], v[22:23], -v[24:25]
	s_waitcnt vmcnt(2) lgkmcnt(1)
	v_mul_f64 v[32:33], v[6:7], v[28:29]
	v_mul_f64 v[28:29], v[8:9], v[28:29]
	s_waitcnt vmcnt(1) lgkmcnt(0)
	v_mul_f64 v[24:25], v[10:11], v[36:37]
	v_add_f64 v[14:15], v[14:15], v[30:31]
	v_mul_f64 v[30:31], v[12:13], v[36:37]
	v_add_f64 v[16:17], v[16:17], v[44:45]
	v_fma_f64 v[32:33], v[8:9], v[26:27], v[32:33]
	v_fma_f64 v[26:27], v[6:7], v[26:27], -v[28:29]
	ds_load_b128 v[6:9], v1 offset:2000
	v_fma_f64 v[12:13], v[12:13], v[34:35], v[24:25]
	v_add_f64 v[14:15], v[14:15], v[22:23]
	v_fma_f64 v[10:11], v[10:11], v[34:35], -v[30:31]
	v_add_f64 v[16:17], v[16:17], v[40:41]
	s_waitcnt vmcnt(0) lgkmcnt(0)
	v_mul_f64 v[22:23], v[6:7], v[20:21]
	v_mul_f64 v[20:21], v[8:9], v[20:21]
	v_add_f64 v[14:15], v[14:15], v[26:27]
	s_delay_alu instid0(VALU_DEP_4) | instskip(NEXT) | instid1(VALU_DEP_4)
	v_add_f64 v[16:17], v[16:17], v[32:33]
	v_fma_f64 v[8:9], v[8:9], v[18:19], v[22:23]
	s_delay_alu instid0(VALU_DEP_4) | instskip(NEXT) | instid1(VALU_DEP_4)
	v_fma_f64 v[6:7], v[6:7], v[18:19], -v[20:21]
	v_add_f64 v[10:11], v[14:15], v[10:11]
	s_delay_alu instid0(VALU_DEP_4) | instskip(NEXT) | instid1(VALU_DEP_2)
	v_add_f64 v[12:13], v[16:17], v[12:13]
	v_add_f64 v[6:7], v[10:11], v[6:7]
	s_delay_alu instid0(VALU_DEP_2) | instskip(NEXT) | instid1(VALU_DEP_2)
	v_add_f64 v[8:9], v[12:13], v[8:9]
	v_add_f64 v[2:3], v[2:3], -v[6:7]
	s_delay_alu instid0(VALU_DEP_2)
	v_add_f64 v[4:5], v[4:5], -v[8:9]
	scratch_store_b128 off, v[2:5], off offset:80
	v_cmpx_lt_u32_e32 4, v179
	s_cbranch_execz .LBB126_395
; %bb.394:
	v_add_nc_u32_e64 v2, 0, 64
	v_mov_b32_e32 v3, v1
	v_mov_b32_e32 v4, v1
	scratch_load_b128 v[5:8], v2, off
	v_mov_b32_e32 v2, v1
	scratch_store_b128 off, v[1:4], off offset:64
	s_waitcnt vmcnt(0)
	ds_store_b128 v244, v[5:8]
.LBB126_395:
	s_or_b32 exec_lo, exec_lo, s2
	s_waitcnt lgkmcnt(0)
	s_waitcnt_vscnt null, 0x0
	s_barrier
	buffer_gl0_inv
	s_clause 0x8
	scratch_load_b128 v[34:37], off, off offset:80
	scratch_load_b128 v[38:41], off, off offset:96
	scratch_load_b128 v[30:33], off, off offset:112
	scratch_load_b128 v[26:29], off, off offset:128
	scratch_load_b128 v[22:25], off, off offset:144
	scratch_load_b128 v[18:21], off, off offset:160
	scratch_load_b128 v[14:17], off, off offset:176
	scratch_load_b128 v[10:13], off, off offset:192
	scratch_load_b128 v[6:9], off, off offset:208
	ds_load_b128 v[46:49], v1 offset:1088
	ds_load_b128 v[42:45], v1 offset:1104
	s_clause 0x1
	scratch_load_b128 v[2:5], off, off offset:64
	scratch_load_b128 v[58:61], off, off offset:224
	s_mov_b32 s2, exec_lo
	ds_load_b128 v[62:65], v1 offset:1136
	s_waitcnt vmcnt(10) lgkmcnt(2)
	v_mul_f64 v[51:52], v[48:49], v[36:37]
	v_mul_f64 v[36:37], v[46:47], v[36:37]
	s_waitcnt vmcnt(9) lgkmcnt(1)
	v_mul_f64 v[55:56], v[42:43], v[40:41]
	v_mul_f64 v[40:41], v[44:45], v[40:41]
	s_waitcnt vmcnt(7) lgkmcnt(0)
	v_mul_f64 v[70:71], v[64:65], v[28:29]
	v_fma_f64 v[51:52], v[46:47], v[34:35], -v[51:52]
	v_fma_f64 v[66:67], v[48:49], v[34:35], v[36:37]
	ds_load_b128 v[34:37], v1 offset:1120
	scratch_load_b128 v[46:49], off, off offset:240
	v_fma_f64 v[44:45], v[44:45], v[38:39], v[55:56]
	v_fma_f64 v[42:43], v[42:43], v[38:39], -v[40:41]
	scratch_load_b128 v[38:41], off, off offset:256
	s_waitcnt lgkmcnt(0)
	v_mul_f64 v[68:69], v[34:35], v[32:33]
	v_mul_f64 v[32:33], v[36:37], v[32:33]
	v_add_f64 v[51:52], v[51:52], 0
	v_add_f64 v[55:56], v[66:67], 0
	v_mul_f64 v[66:67], v[62:63], v[28:29]
	v_fma_f64 v[62:63], v[62:63], v[26:27], -v[70:71]
	v_fma_f64 v[36:37], v[36:37], v[30:31], v[68:69]
	v_fma_f64 v[68:69], v[34:35], v[30:31], -v[32:33]
	ds_load_b128 v[28:31], v1 offset:1152
	scratch_load_b128 v[32:35], off, off offset:272
	v_add_f64 v[51:52], v[51:52], v[42:43]
	v_add_f64 v[55:56], v[55:56], v[44:45]
	ds_load_b128 v[42:45], v1 offset:1168
	v_fma_f64 v[64:65], v[64:65], v[26:27], v[66:67]
	s_waitcnt vmcnt(9) lgkmcnt(1)
	v_mul_f64 v[72:73], v[28:29], v[24:25]
	v_mul_f64 v[74:75], v[30:31], v[24:25]
	scratch_load_b128 v[24:27], off, off offset:288
	s_waitcnt vmcnt(9) lgkmcnt(0)
	v_mul_f64 v[66:67], v[44:45], v[20:21]
	v_add_f64 v[51:52], v[51:52], v[68:69]
	v_add_f64 v[36:37], v[55:56], v[36:37]
	v_mul_f64 v[55:56], v[42:43], v[20:21]
	v_fma_f64 v[68:69], v[30:31], v[22:23], v[72:73]
	v_fma_f64 v[70:71], v[28:29], v[22:23], -v[74:75]
	ds_load_b128 v[20:23], v1 offset:1184
	scratch_load_b128 v[28:31], off, off offset:304
	v_fma_f64 v[42:43], v[42:43], v[18:19], -v[66:67]
	v_add_f64 v[51:52], v[51:52], v[62:63]
	v_add_f64 v[36:37], v[36:37], v[64:65]
	ds_load_b128 v[62:65], v1 offset:1200
	s_waitcnt vmcnt(9) lgkmcnt(1)
	v_mul_f64 v[72:73], v[20:21], v[16:17]
	v_mul_f64 v[74:75], v[22:23], v[16:17]
	v_fma_f64 v[44:45], v[44:45], v[18:19], v[55:56]
	scratch_load_b128 v[16:19], off, off offset:320
	s_waitcnt vmcnt(9) lgkmcnt(0)
	v_mul_f64 v[55:56], v[62:63], v[12:13]
	v_mul_f64 v[66:67], v[64:65], v[12:13]
	v_add_f64 v[51:52], v[51:52], v[70:71]
	v_add_f64 v[36:37], v[36:37], v[68:69]
	v_fma_f64 v[68:69], v[22:23], v[14:15], v[72:73]
	v_fma_f64 v[70:71], v[20:21], v[14:15], -v[74:75]
	ds_load_b128 v[12:15], v1 offset:1216
	scratch_load_b128 v[20:23], off, off offset:336
	v_fma_f64 v[55:56], v[64:65], v[10:11], v[55:56]
	v_fma_f64 v[62:63], v[62:63], v[10:11], -v[66:67]
	ds_load_b128 v[64:67], v1 offset:1264
	v_add_f64 v[51:52], v[51:52], v[42:43]
	v_add_f64 v[36:37], v[36:37], v[44:45]
	ds_load_b128 v[42:45], v1 offset:1232
	s_waitcnt vmcnt(9) lgkmcnt(2)
	v_mul_f64 v[72:73], v[12:13], v[8:9]
	v_mul_f64 v[74:75], v[14:15], v[8:9]
	scratch_load_b128 v[8:11], off, off offset:352
	v_add_f64 v[51:52], v[51:52], v[70:71]
	v_add_f64 v[36:37], v[36:37], v[68:69]
	s_waitcnt vmcnt(8) lgkmcnt(0)
	v_mul_f64 v[68:69], v[42:43], v[60:61]
	v_mul_f64 v[70:71], v[44:45], v[60:61]
	v_fma_f64 v[72:73], v[14:15], v[6:7], v[72:73]
	v_fma_f64 v[6:7], v[12:13], v[6:7], -v[74:75]
	ds_load_b128 v[12:15], v1 offset:1248
	v_add_f64 v[51:52], v[51:52], v[62:63]
	v_add_f64 v[36:37], v[36:37], v[55:56]
	scratch_load_b128 v[60:63], off, off offset:368
	v_fma_f64 v[68:69], v[44:45], v[58:59], v[68:69]
	v_fma_f64 v[58:59], v[42:43], v[58:59], -v[70:71]
	scratch_load_b128 v[42:45], off, off offset:384
	s_waitcnt vmcnt(9) lgkmcnt(0)
	v_mul_f64 v[55:56], v[12:13], v[48:49]
	v_mul_f64 v[48:49], v[14:15], v[48:49]
	v_add_f64 v[6:7], v[51:52], v[6:7]
	v_add_f64 v[36:37], v[36:37], v[72:73]
	s_waitcnt vmcnt(8)
	v_mul_f64 v[51:52], v[64:65], v[40:41]
	v_mul_f64 v[40:41], v[66:67], v[40:41]
	v_fma_f64 v[55:56], v[14:15], v[46:47], v[55:56]
	v_fma_f64 v[72:73], v[12:13], v[46:47], -v[48:49]
	ds_load_b128 v[12:15], v1 offset:1280
	scratch_load_b128 v[46:49], off, off offset:400
	v_add_f64 v[6:7], v[6:7], v[58:59]
	v_add_f64 v[36:37], v[36:37], v[68:69]
	ds_load_b128 v[68:71], v1 offset:1296
	s_waitcnt vmcnt(8) lgkmcnt(1)
	v_mul_f64 v[58:59], v[12:13], v[34:35]
	v_mul_f64 v[74:75], v[14:15], v[34:35]
	v_fma_f64 v[51:52], v[66:67], v[38:39], v[51:52]
	v_fma_f64 v[38:39], v[64:65], v[38:39], -v[40:41]
	ds_load_b128 v[64:67], v1 offset:1328
	v_add_f64 v[6:7], v[6:7], v[72:73]
	v_add_f64 v[40:41], v[36:37], v[55:56]
	scratch_load_b128 v[34:37], off, off offset:416
	s_waitcnt vmcnt(8) lgkmcnt(1)
	v_mul_f64 v[55:56], v[68:69], v[26:27]
	v_mul_f64 v[26:27], v[70:71], v[26:27]
	v_fma_f64 v[58:59], v[14:15], v[32:33], v[58:59]
	v_fma_f64 v[32:33], v[12:13], v[32:33], -v[74:75]
	ds_load_b128 v[12:15], v1 offset:1312
	s_waitcnt vmcnt(7) lgkmcnt(0)
	v_mul_f64 v[72:73], v[12:13], v[30:31]
	v_mul_f64 v[30:31], v[14:15], v[30:31]
	v_add_f64 v[6:7], v[6:7], v[38:39]
	v_add_f64 v[51:52], v[40:41], v[51:52]
	scratch_load_b128 v[38:41], off, off offset:432
	v_fma_f64 v[55:56], v[70:71], v[24:25], v[55:56]
	v_fma_f64 v[68:69], v[68:69], v[24:25], -v[26:27]
	scratch_load_b128 v[24:27], off, off offset:448
	v_add_f64 v[6:7], v[6:7], v[32:33]
	v_add_f64 v[32:33], v[51:52], v[58:59]
	s_waitcnt vmcnt(8)
	v_mul_f64 v[51:52], v[64:65], v[18:19]
	v_mul_f64 v[18:19], v[66:67], v[18:19]
	v_fma_f64 v[58:59], v[14:15], v[28:29], v[72:73]
	v_fma_f64 v[72:73], v[12:13], v[28:29], -v[30:31]
	ds_load_b128 v[12:15], v1 offset:1344
	scratch_load_b128 v[28:31], off, off offset:464
	v_add_f64 v[6:7], v[6:7], v[68:69]
	v_add_f64 v[32:33], v[32:33], v[55:56]
	ds_load_b128 v[68:71], v1 offset:1360
	s_waitcnt vmcnt(8) lgkmcnt(1)
	v_mul_f64 v[55:56], v[12:13], v[22:23]
	v_mul_f64 v[22:23], v[14:15], v[22:23]
	v_fma_f64 v[51:52], v[66:67], v[16:17], v[51:52]
	v_fma_f64 v[64:65], v[64:65], v[16:17], -v[18:19]
	scratch_load_b128 v[16:19], off, off offset:480
	v_add_f64 v[6:7], v[6:7], v[72:73]
	v_add_f64 v[32:33], v[32:33], v[58:59]
	s_waitcnt vmcnt(8) lgkmcnt(0)
	v_mul_f64 v[58:59], v[68:69], v[10:11]
	v_mul_f64 v[72:73], v[70:71], v[10:11]
	v_fma_f64 v[14:15], v[14:15], v[20:21], v[55:56]
	v_fma_f64 v[55:56], v[12:13], v[20:21], -v[22:23]
	ds_load_b128 v[10:13], v1 offset:1376
	scratch_load_b128 v[20:23], off, off offset:496
	v_add_f64 v[6:7], v[6:7], v[64:65]
	v_add_f64 v[32:33], v[32:33], v[51:52]
	ds_load_b128 v[64:67], v1 offset:1392
	v_fma_f64 v[58:59], v[70:71], v[8:9], v[58:59]
	v_fma_f64 v[68:69], v[68:69], v[8:9], -v[72:73]
	s_waitcnt vmcnt(8) lgkmcnt(1)
	v_mul_f64 v[51:52], v[10:11], v[62:63]
	v_mul_f64 v[62:63], v[12:13], v[62:63]
	v_add_f64 v[55:56], v[6:7], v[55:56]
	scratch_load_b128 v[6:9], off, off offset:512
	v_add_f64 v[14:15], v[32:33], v[14:15]
	s_waitcnt vmcnt(8) lgkmcnt(0)
	v_mul_f64 v[32:33], v[64:65], v[44:45]
	v_mul_f64 v[44:45], v[66:67], v[44:45]
	v_fma_f64 v[51:52], v[12:13], v[60:61], v[51:52]
	v_fma_f64 v[62:63], v[10:11], v[60:61], -v[62:63]
	ds_load_b128 v[10:13], v1 offset:1408
	v_add_f64 v[55:56], v[55:56], v[68:69]
	ds_load_b128 v[68:71], v1 offset:1424
	v_add_f64 v[14:15], v[14:15], v[58:59]
	scratch_load_b128 v[58:61], off, off offset:528
	s_waitcnt vmcnt(8) lgkmcnt(1)
	v_mul_f64 v[72:73], v[10:11], v[48:49]
	v_mul_f64 v[48:49], v[12:13], v[48:49]
	v_fma_f64 v[32:33], v[66:67], v[42:43], v[32:33]
	v_fma_f64 v[64:65], v[64:65], v[42:43], -v[44:45]
	scratch_load_b128 v[42:45], off, off offset:544
	v_add_f64 v[55:56], v[55:56], v[62:63]
	v_add_f64 v[14:15], v[14:15], v[51:52]
	v_fma_f64 v[66:67], v[12:13], v[46:47], v[72:73]
	v_fma_f64 v[72:73], v[10:11], v[46:47], -v[48:49]
	ds_load_b128 v[10:13], v1 offset:1440
	scratch_load_b128 v[46:49], off, off offset:560
	s_waitcnt vmcnt(9) lgkmcnt(1)
	v_mul_f64 v[51:52], v[68:69], v[36:37]
	v_mul_f64 v[36:37], v[70:71], v[36:37]
	v_add_f64 v[55:56], v[55:56], v[64:65]
	ds_load_b128 v[62:65], v1 offset:1456
	v_add_f64 v[14:15], v[14:15], v[32:33]
	s_waitcnt vmcnt(8) lgkmcnt(1)
	v_mul_f64 v[74:75], v[10:11], v[40:41]
	v_mul_f64 v[40:41], v[12:13], v[40:41]
	v_fma_f64 v[51:52], v[70:71], v[34:35], v[51:52]
	v_fma_f64 v[36:37], v[68:69], v[34:35], -v[36:37]
	scratch_load_b128 v[32:35], off, off offset:576
	s_waitcnt vmcnt(8) lgkmcnt(0)
	v_mul_f64 v[70:71], v[62:63], v[26:27]
	v_mul_f64 v[26:27], v[64:65], v[26:27]
	v_add_f64 v[55:56], v[55:56], v[72:73]
	v_add_f64 v[14:15], v[14:15], v[66:67]
	ds_load_b128 v[66:69], v1 offset:1488
	v_fma_f64 v[72:73], v[12:13], v[38:39], v[74:75]
	v_fma_f64 v[40:41], v[10:11], v[38:39], -v[40:41]
	ds_load_b128 v[10:13], v1 offset:1472
	v_fma_f64 v[64:65], v[64:65], v[24:25], v[70:71]
	v_fma_f64 v[62:63], v[62:63], v[24:25], -v[26:27]
	scratch_load_b128 v[24:27], off, off offset:608
	v_add_f64 v[55:56], v[55:56], v[36:37]
	scratch_load_b128 v[36:39], off, off offset:592
	v_add_f64 v[14:15], v[14:15], v[51:52]
	s_waitcnt vmcnt(9) lgkmcnt(0)
	v_mul_f64 v[51:52], v[10:11], v[30:31]
	v_mul_f64 v[30:31], v[12:13], v[30:31]
	v_add_f64 v[40:41], v[55:56], v[40:41]
	s_waitcnt vmcnt(8)
	v_mul_f64 v[55:56], v[66:67], v[18:19]
	v_add_f64 v[14:15], v[14:15], v[72:73]
	v_mul_f64 v[18:19], v[68:69], v[18:19]
	v_fma_f64 v[51:52], v[12:13], v[28:29], v[51:52]
	v_fma_f64 v[70:71], v[10:11], v[28:29], -v[30:31]
	ds_load_b128 v[10:13], v1 offset:1504
	scratch_load_b128 v[28:31], off, off offset:624
	v_add_f64 v[40:41], v[40:41], v[62:63]
	v_fma_f64 v[55:56], v[68:69], v[16:17], v[55:56]
	v_add_f64 v[14:15], v[14:15], v[64:65]
	ds_load_b128 v[62:65], v1 offset:1520
	s_waitcnt vmcnt(8) lgkmcnt(1)
	v_mul_f64 v[72:73], v[10:11], v[22:23]
	v_mul_f64 v[22:23], v[12:13], v[22:23]
	v_fma_f64 v[18:19], v[66:67], v[16:17], -v[18:19]
	ds_load_b128 v[66:69], v1 offset:1552
	v_add_f64 v[40:41], v[40:41], v[70:71]
	v_add_f64 v[51:52], v[14:15], v[51:52]
	scratch_load_b128 v[14:17], off, off offset:640
	v_fma_f64 v[12:13], v[12:13], v[20:21], v[72:73]
	v_fma_f64 v[22:23], v[10:11], v[20:21], -v[22:23]
	s_waitcnt vmcnt(8) lgkmcnt(1)
	v_mul_f64 v[70:71], v[62:63], v[8:9]
	v_mul_f64 v[74:75], v[64:65], v[8:9]
	ds_load_b128 v[8:11], v1 offset:1536
	v_add_f64 v[40:41], v[40:41], v[18:19]
	scratch_load_b128 v[18:21], off, off offset:656
	v_add_f64 v[51:52], v[51:52], v[55:56]
	v_fma_f64 v[64:65], v[64:65], v[6:7], v[70:71]
	v_fma_f64 v[6:7], v[62:63], v[6:7], -v[74:75]
	s_waitcnt vmcnt(8) lgkmcnt(0)
	v_mul_f64 v[55:56], v[8:9], v[60:61]
	v_mul_f64 v[72:73], v[10:11], v[60:61]
	scratch_load_b128 v[60:63], off, off offset:672
	v_add_f64 v[22:23], v[40:41], v[22:23]
	s_waitcnt vmcnt(8)
	v_mul_f64 v[40:41], v[66:67], v[44:45]
	v_add_f64 v[12:13], v[51:52], v[12:13]
	v_mul_f64 v[44:45], v[68:69], v[44:45]
	v_fma_f64 v[51:52], v[10:11], v[58:59], v[55:56]
	v_fma_f64 v[55:56], v[8:9], v[58:59], -v[72:73]
	ds_load_b128 v[70:73], v1 offset:1584
	v_add_f64 v[22:23], v[22:23], v[6:7]
	ds_load_b128 v[6:9], v1 offset:1568
	v_add_f64 v[58:59], v[12:13], v[64:65]
	scratch_load_b128 v[10:13], off, off offset:688
	v_fma_f64 v[68:69], v[68:69], v[42:43], v[40:41]
	v_fma_f64 v[44:45], v[66:67], v[42:43], -v[44:45]
	scratch_load_b128 v[40:43], off, off offset:704
	s_waitcnt vmcnt(9) lgkmcnt(0)
	v_mul_f64 v[64:65], v[6:7], v[48:49]
	v_mul_f64 v[48:49], v[8:9], v[48:49]
	v_add_f64 v[22:23], v[22:23], v[55:56]
	s_waitcnt vmcnt(8)
	v_mul_f64 v[55:56], v[70:71], v[34:35]
	v_add_f64 v[51:52], v[58:59], v[51:52]
	v_mul_f64 v[34:35], v[72:73], v[34:35]
	v_fma_f64 v[58:59], v[8:9], v[46:47], v[64:65]
	v_fma_f64 v[48:49], v[6:7], v[46:47], -v[48:49]
	ds_load_b128 v[6:9], v1 offset:1600
	ds_load_b128 v[64:67], v1 offset:1616
	v_add_f64 v[22:23], v[22:23], v[44:45]
	scratch_load_b128 v[44:47], off, off offset:720
	v_add_f64 v[51:52], v[51:52], v[68:69]
	v_fma_f64 v[55:56], v[72:73], v[32:33], v[55:56]
	v_fma_f64 v[70:71], v[70:71], v[32:33], -v[34:35]
	scratch_load_b128 v[32:35], off, off offset:736
	s_waitcnt vmcnt(8) lgkmcnt(1)
	v_mul_f64 v[68:69], v[6:7], v[38:39]
	v_mul_f64 v[38:39], v[8:9], v[38:39]
	v_add_f64 v[22:23], v[22:23], v[48:49]
	v_add_f64 v[48:49], v[51:52], v[58:59]
	s_waitcnt lgkmcnt(0)
	v_mul_f64 v[51:52], v[64:65], v[26:27]
	v_mul_f64 v[26:27], v[66:67], v[26:27]
	v_fma_f64 v[58:59], v[8:9], v[36:37], v[68:69]
	v_fma_f64 v[72:73], v[6:7], v[36:37], -v[38:39]
	ds_load_b128 v[6:9], v1 offset:1632
	scratch_load_b128 v[36:39], off, off offset:752
	v_add_f64 v[22:23], v[22:23], v[70:71]
	ds_load_b128 v[68:71], v1 offset:1648
	v_add_f64 v[48:49], v[48:49], v[55:56]
	s_waitcnt vmcnt(8) lgkmcnt(1)
	v_mul_f64 v[55:56], v[6:7], v[30:31]
	v_mul_f64 v[30:31], v[8:9], v[30:31]
	v_fma_f64 v[51:52], v[66:67], v[24:25], v[51:52]
	v_fma_f64 v[26:27], v[64:65], v[24:25], -v[26:27]
	v_add_f64 v[64:65], v[22:23], v[72:73]
	scratch_load_b128 v[22:25], off, off offset:768
	v_add_f64 v[48:49], v[48:49], v[58:59]
	v_fma_f64 v[55:56], v[8:9], v[28:29], v[55:56]
	v_fma_f64 v[30:31], v[6:7], v[28:29], -v[30:31]
	ds_load_b128 v[6:9], v1 offset:1664
	s_waitcnt vmcnt(8) lgkmcnt(1)
	v_mul_f64 v[58:59], v[68:69], v[16:17]
	v_mul_f64 v[16:17], v[70:71], v[16:17]
	v_add_f64 v[72:73], v[64:65], v[26:27]
	ds_load_b128 v[64:67], v1 offset:1680
	v_add_f64 v[48:49], v[48:49], v[51:52]
	scratch_load_b128 v[26:29], off, off offset:784
	s_waitcnt vmcnt(8) lgkmcnt(1)
	v_mul_f64 v[51:52], v[6:7], v[20:21]
	v_mul_f64 v[20:21], v[8:9], v[20:21]
	v_fma_f64 v[58:59], v[70:71], v[14:15], v[58:59]
	v_fma_f64 v[68:69], v[68:69], v[14:15], -v[16:17]
	scratch_load_b128 v[14:17], off, off offset:800
	v_add_f64 v[30:31], v[72:73], v[30:31]
	v_add_f64 v[48:49], v[48:49], v[55:56]
	s_waitcnt vmcnt(8) lgkmcnt(0)
	v_mul_f64 v[55:56], v[64:65], v[62:63]
	v_mul_f64 v[62:63], v[66:67], v[62:63]
	v_fma_f64 v[51:52], v[8:9], v[18:19], v[51:52]
	v_fma_f64 v[72:73], v[6:7], v[18:19], -v[20:21]
	ds_load_b128 v[6:9], v1 offset:1696
	scratch_load_b128 v[18:21], off, off offset:816
	v_add_f64 v[30:31], v[30:31], v[68:69]
	ds_load_b128 v[68:71], v1 offset:1712
	v_add_f64 v[48:49], v[48:49], v[58:59]
	v_fma_f64 v[55:56], v[66:67], v[60:61], v[55:56]
	v_fma_f64 v[62:63], v[64:65], v[60:61], -v[62:63]
	scratch_load_b128 v[58:61], off, off offset:832
	s_waitcnt vmcnt(9) lgkmcnt(1)
	v_mul_f64 v[74:75], v[6:7], v[12:13]
	v_mul_f64 v[12:13], v[8:9], v[12:13]
	v_add_f64 v[30:31], v[30:31], v[72:73]
	v_add_f64 v[48:49], v[48:49], v[51:52]
	s_waitcnt vmcnt(8) lgkmcnt(0)
	v_mul_f64 v[51:52], v[68:69], v[42:43]
	v_mul_f64 v[42:43], v[70:71], v[42:43]
	v_fma_f64 v[66:67], v[8:9], v[10:11], v[74:75]
	v_fma_f64 v[72:73], v[6:7], v[10:11], -v[12:13]
	ds_load_b128 v[6:9], v1 offset:1728
	scratch_load_b128 v[10:13], off, off offset:848
	v_add_f64 v[30:31], v[30:31], v[62:63]
	ds_load_b128 v[62:65], v1 offset:1744
	v_add_f64 v[48:49], v[48:49], v[55:56]
	v_fma_f64 v[51:52], v[70:71], v[40:41], v[51:52]
	v_fma_f64 v[68:69], v[68:69], v[40:41], -v[42:43]
	scratch_load_b128 v[40:43], off, off offset:864
	s_waitcnt vmcnt(9) lgkmcnt(1)
	v_mul_f64 v[55:56], v[6:7], v[46:47]
	v_mul_f64 v[46:47], v[8:9], v[46:47]
	s_waitcnt vmcnt(8) lgkmcnt(0)
	v_mul_f64 v[70:71], v[62:63], v[34:35]
	v_mul_f64 v[34:35], v[64:65], v[34:35]
	v_add_f64 v[30:31], v[30:31], v[72:73]
	v_add_f64 v[48:49], v[48:49], v[66:67]
	v_fma_f64 v[55:56], v[8:9], v[44:45], v[55:56]
	v_fma_f64 v[72:73], v[6:7], v[44:45], -v[46:47]
	ds_load_b128 v[6:9], v1 offset:1760
	scratch_load_b128 v[44:47], off, off offset:880
	v_fma_f64 v[64:65], v[64:65], v[32:33], v[70:71]
	v_fma_f64 v[34:35], v[62:63], v[32:33], -v[34:35]
	v_add_f64 v[30:31], v[30:31], v[68:69]
	ds_load_b128 v[66:69], v1 offset:1776
	v_add_f64 v[48:49], v[48:49], v[51:52]
	s_waitcnt vmcnt(8) lgkmcnt(1)
	v_mul_f64 v[51:52], v[6:7], v[38:39]
	v_mul_f64 v[38:39], v[8:9], v[38:39]
	v_add_f64 v[62:63], v[30:31], v[72:73]
	scratch_load_b128 v[30:33], off, off offset:896
	v_add_f64 v[48:49], v[48:49], v[55:56]
	v_fma_f64 v[51:52], v[8:9], v[36:37], v[51:52]
	v_fma_f64 v[38:39], v[6:7], v[36:37], -v[38:39]
	ds_load_b128 v[6:9], v1 offset:1792
	s_waitcnt vmcnt(8) lgkmcnt(1)
	v_mul_f64 v[55:56], v[66:67], v[24:25]
	v_mul_f64 v[24:25], v[68:69], v[24:25]
	v_add_f64 v[70:71], v[62:63], v[34:35]
	scratch_load_b128 v[34:37], off, off offset:912
	v_add_f64 v[48:49], v[48:49], v[64:65]
	ds_load_b128 v[62:65], v1 offset:1808
	v_fma_f64 v[55:56], v[68:69], v[22:23], v[55:56]
	v_fma_f64 v[66:67], v[66:67], v[22:23], -v[24:25]
	scratch_load_b128 v[22:25], off, off offset:928
	s_waitcnt vmcnt(9) lgkmcnt(1)
	v_mul_f64 v[72:73], v[6:7], v[28:29]
	v_mul_f64 v[28:29], v[8:9], v[28:29]
	v_add_f64 v[38:39], v[70:71], v[38:39]
	v_add_f64 v[48:49], v[48:49], v[51:52]
	s_waitcnt vmcnt(8) lgkmcnt(0)
	v_mul_f64 v[51:52], v[62:63], v[16:17]
	v_mul_f64 v[16:17], v[64:65], v[16:17]
	v_fma_f64 v[70:71], v[8:9], v[26:27], v[72:73]
	v_fma_f64 v[72:73], v[6:7], v[26:27], -v[28:29]
	ds_load_b128 v[6:9], v1 offset:1824
	scratch_load_b128 v[26:29], off, off offset:944
	v_add_f64 v[38:39], v[38:39], v[66:67]
	ds_load_b128 v[66:69], v1 offset:1840
	v_add_f64 v[48:49], v[48:49], v[55:56]
	v_fma_f64 v[51:52], v[64:65], v[14:15], v[51:52]
	s_waitcnt vmcnt(8) lgkmcnt(1)
	v_mul_f64 v[55:56], v[6:7], v[20:21]
	v_mul_f64 v[20:21], v[8:9], v[20:21]
	v_fma_f64 v[62:63], v[62:63], v[14:15], -v[16:17]
	scratch_load_b128 v[14:17], off, off offset:960
	s_waitcnt vmcnt(8) lgkmcnt(0)
	v_mul_f64 v[64:65], v[66:67], v[60:61]
	v_add_f64 v[38:39], v[38:39], v[72:73]
	v_add_f64 v[48:49], v[48:49], v[70:71]
	v_mul_f64 v[70:71], v[68:69], v[60:61]
	v_fma_f64 v[55:56], v[8:9], v[18:19], v[55:56]
	v_fma_f64 v[72:73], v[6:7], v[18:19], -v[20:21]
	ds_load_b128 v[6:9], v1 offset:1856
	scratch_load_b128 v[18:21], off, off offset:976
	v_fma_f64 v[68:69], v[68:69], v[58:59], v[64:65]
	v_add_f64 v[38:39], v[38:39], v[62:63]
	ds_load_b128 v[60:63], v1 offset:1872
	v_add_f64 v[48:49], v[48:49], v[51:52]
	s_waitcnt vmcnt(8) lgkmcnt(1)
	v_mul_f64 v[51:52], v[6:7], v[12:13]
	v_mul_f64 v[12:13], v[8:9], v[12:13]
	v_fma_f64 v[58:59], v[66:67], v[58:59], -v[70:71]
	scratch_load_b128 v[64:67], off, off offset:992
	v_add_f64 v[38:39], v[38:39], v[72:73]
	v_add_f64 v[48:49], v[48:49], v[55:56]
	s_waitcnt vmcnt(8) lgkmcnt(0)
	v_mul_f64 v[55:56], v[60:61], v[42:43]
	v_mul_f64 v[42:43], v[62:63], v[42:43]
	v_fma_f64 v[51:52], v[8:9], v[10:11], v[51:52]
	v_fma_f64 v[70:71], v[6:7], v[10:11], -v[12:13]
	ds_load_b128 v[6:9], v1 offset:1888
	ds_load_b128 v[10:13], v1 offset:1904
	v_add_f64 v[38:39], v[38:39], v[58:59]
	s_waitcnt vmcnt(7) lgkmcnt(1)
	v_mul_f64 v[58:59], v[6:7], v[46:47]
	v_add_f64 v[48:49], v[48:49], v[68:69]
	v_mul_f64 v[46:47], v[8:9], v[46:47]
	v_fma_f64 v[55:56], v[62:63], v[40:41], v[55:56]
	v_fma_f64 v[40:41], v[60:61], v[40:41], -v[42:43]
	v_add_f64 v[38:39], v[38:39], v[70:71]
	v_add_f64 v[42:43], v[48:49], v[51:52]
	v_fma_f64 v[51:52], v[8:9], v[44:45], v[58:59]
	v_fma_f64 v[44:45], v[6:7], v[44:45], -v[46:47]
	s_waitcnt vmcnt(6) lgkmcnt(0)
	v_mul_f64 v[48:49], v[10:11], v[32:33]
	v_mul_f64 v[32:33], v[12:13], v[32:33]
	v_add_f64 v[46:47], v[38:39], v[40:41]
	ds_load_b128 v[6:9], v1 offset:1920
	ds_load_b128 v[38:41], v1 offset:1936
	v_add_f64 v[42:43], v[42:43], v[55:56]
	v_fma_f64 v[12:13], v[12:13], v[30:31], v[48:49]
	v_fma_f64 v[10:11], v[10:11], v[30:31], -v[32:33]
	s_waitcnt vmcnt(5) lgkmcnt(1)
	v_mul_f64 v[55:56], v[6:7], v[36:37]
	v_mul_f64 v[36:37], v[8:9], v[36:37]
	v_add_f64 v[30:31], v[46:47], v[44:45]
	v_add_f64 v[32:33], v[42:43], v[51:52]
	s_waitcnt vmcnt(4) lgkmcnt(0)
	v_mul_f64 v[42:43], v[38:39], v[24:25]
	v_mul_f64 v[24:25], v[40:41], v[24:25]
	v_fma_f64 v[44:45], v[8:9], v[34:35], v[55:56]
	v_fma_f64 v[34:35], v[6:7], v[34:35], -v[36:37]
	v_add_f64 v[30:31], v[30:31], v[10:11]
	v_add_f64 v[32:33], v[32:33], v[12:13]
	ds_load_b128 v[6:9], v1 offset:1952
	ds_load_b128 v[10:13], v1 offset:1968
	v_fma_f64 v[40:41], v[40:41], v[22:23], v[42:43]
	v_fma_f64 v[22:23], v[38:39], v[22:23], -v[24:25]
	s_waitcnt vmcnt(3) lgkmcnt(1)
	v_mul_f64 v[36:37], v[6:7], v[28:29]
	v_mul_f64 v[28:29], v[8:9], v[28:29]
	v_add_f64 v[24:25], v[30:31], v[34:35]
	v_add_f64 v[30:31], v[32:33], v[44:45]
	s_waitcnt vmcnt(2) lgkmcnt(0)
	v_mul_f64 v[32:33], v[10:11], v[16:17]
	v_mul_f64 v[16:17], v[12:13], v[16:17]
	v_fma_f64 v[34:35], v[8:9], v[26:27], v[36:37]
	v_fma_f64 v[26:27], v[6:7], v[26:27], -v[28:29]
	v_add_f64 v[28:29], v[24:25], v[22:23]
	ds_load_b128 v[6:9], v1 offset:1984
	ds_load_b128 v[22:25], v1 offset:2000
	v_add_f64 v[30:31], v[30:31], v[40:41]
	v_fma_f64 v[12:13], v[12:13], v[14:15], v[32:33]
	v_fma_f64 v[10:11], v[10:11], v[14:15], -v[16:17]
	s_waitcnt vmcnt(1) lgkmcnt(1)
	v_mul_f64 v[36:37], v[6:7], v[20:21]
	v_mul_f64 v[20:21], v[8:9], v[20:21]
	v_add_f64 v[14:15], v[28:29], v[26:27]
	s_waitcnt vmcnt(0) lgkmcnt(0)
	v_mul_f64 v[26:27], v[22:23], v[66:67]
	v_add_f64 v[16:17], v[30:31], v[34:35]
	v_mul_f64 v[28:29], v[24:25], v[66:67]
	v_fma_f64 v[8:9], v[8:9], v[18:19], v[36:37]
	v_fma_f64 v[6:7], v[6:7], v[18:19], -v[20:21]
	v_add_f64 v[10:11], v[14:15], v[10:11]
	v_fma_f64 v[14:15], v[24:25], v[64:65], v[26:27]
	v_add_f64 v[12:13], v[16:17], v[12:13]
	v_fma_f64 v[16:17], v[22:23], v[64:65], -v[28:29]
	s_delay_alu instid0(VALU_DEP_4) | instskip(NEXT) | instid1(VALU_DEP_3)
	v_add_f64 v[6:7], v[10:11], v[6:7]
	v_add_f64 v[8:9], v[12:13], v[8:9]
	s_delay_alu instid0(VALU_DEP_2) | instskip(NEXT) | instid1(VALU_DEP_2)
	v_add_f64 v[6:7], v[6:7], v[16:17]
	v_add_f64 v[8:9], v[8:9], v[14:15]
	s_delay_alu instid0(VALU_DEP_2) | instskip(NEXT) | instid1(VALU_DEP_2)
	v_add_f64 v[1:2], v[2:3], -v[6:7]
	v_add_f64 v[3:4], v[4:5], -v[8:9]
	scratch_store_b128 off, v[1:4], off offset:64
	v_cmpx_lt_u32_e32 3, v179
	s_cbranch_execz .LBB126_397
; %bb.396:
	v_add_nc_u32_e64 v1, 0, 48
	v_mov_b32_e32 v5, 0
	scratch_load_b128 v[1:4], v1, off
	v_mov_b32_e32 v6, v5
	v_mov_b32_e32 v7, v5
	;; [unrolled: 1-line block ×3, first 2 shown]
	scratch_store_b128 off, v[5:8], off offset:48
	s_waitcnt vmcnt(0)
	ds_store_b128 v244, v[1:4]
.LBB126_397:
	s_or_b32 exec_lo, exec_lo, s2
	s_waitcnt lgkmcnt(0)
	s_waitcnt_vscnt null, 0x0
	s_barrier
	buffer_gl0_inv
	s_clause 0x7
	scratch_load_b128 v[34:37], off, off offset:64
	scratch_load_b128 v[38:41], off, off offset:80
	;; [unrolled: 1-line block ×8, first 2 shown]
	v_mov_b32_e32 v1, 0
	s_mov_b32 s2, exec_lo
	ds_load_b128 v[46:49], v1 offset:1072
	s_clause 0x1
	scratch_load_b128 v[14:17], off, off offset:192
	scratch_load_b128 v[2:5], off, off offset:48
	ds_load_b128 v[42:45], v1 offset:1088
	scratch_load_b128 v[58:61], off, off offset:208
	ds_load_b128 v[62:65], v1 offset:1120
	s_waitcnt vmcnt(10) lgkmcnt(2)
	v_mul_f64 v[51:52], v[48:49], v[36:37]
	v_mul_f64 v[36:37], v[46:47], v[36:37]
	s_delay_alu instid0(VALU_DEP_2) | instskip(NEXT) | instid1(VALU_DEP_2)
	v_fma_f64 v[51:52], v[46:47], v[34:35], -v[51:52]
	v_fma_f64 v[66:67], v[48:49], v[34:35], v[36:37]
	ds_load_b128 v[34:37], v1 offset:1104
	s_waitcnt vmcnt(9) lgkmcnt(2)
	v_mul_f64 v[55:56], v[42:43], v[40:41]
	v_mul_f64 v[40:41], v[44:45], v[40:41]
	scratch_load_b128 v[46:49], off, off offset:224
	s_waitcnt vmcnt(9) lgkmcnt(0)
	v_mul_f64 v[68:69], v[34:35], v[32:33]
	v_mul_f64 v[32:33], v[36:37], v[32:33]
	v_add_f64 v[51:52], v[51:52], 0
	v_fma_f64 v[44:45], v[44:45], v[38:39], v[55:56]
	v_fma_f64 v[42:43], v[42:43], v[38:39], -v[40:41]
	v_add_f64 v[55:56], v[66:67], 0
	scratch_load_b128 v[38:41], off, off offset:240
	v_fma_f64 v[36:37], v[36:37], v[30:31], v[68:69]
	v_fma_f64 v[68:69], v[34:35], v[30:31], -v[32:33]
	scratch_load_b128 v[32:35], off, off offset:256
	v_add_f64 v[51:52], v[51:52], v[42:43]
	v_add_f64 v[55:56], v[55:56], v[44:45]
	ds_load_b128 v[42:45], v1 offset:1152
	s_waitcnt vmcnt(10)
	v_mul_f64 v[66:67], v[62:63], v[28:29]
	v_mul_f64 v[70:71], v[64:65], v[28:29]
	ds_load_b128 v[28:31], v1 offset:1136
	v_add_f64 v[51:52], v[51:52], v[68:69]
	v_add_f64 v[36:37], v[55:56], v[36:37]
	s_waitcnt vmcnt(8) lgkmcnt(1)
	v_mul_f64 v[55:56], v[42:43], v[20:21]
	v_fma_f64 v[64:65], v[64:65], v[26:27], v[66:67]
	v_fma_f64 v[62:63], v[62:63], v[26:27], -v[70:71]
	v_mul_f64 v[66:67], v[44:45], v[20:21]
	s_delay_alu instid0(VALU_DEP_4) | instskip(NEXT) | instid1(VALU_DEP_4)
	v_fma_f64 v[55:56], v[44:45], v[18:19], v[55:56]
	v_add_f64 v[36:37], v[36:37], v[64:65]
	s_delay_alu instid0(VALU_DEP_4)
	v_add_f64 v[51:52], v[51:52], v[62:63]
	ds_load_b128 v[62:65], v1 offset:1184
	s_waitcnt lgkmcnt(1)
	v_mul_f64 v[72:73], v[28:29], v[24:25]
	v_mul_f64 v[74:75], v[30:31], v[24:25]
	scratch_load_b128 v[24:27], off, off offset:272
	v_fma_f64 v[18:19], v[42:43], v[18:19], -v[66:67]
	scratch_load_b128 v[42:45], off, off offset:304
	v_fma_f64 v[68:69], v[30:31], v[22:23], v[72:73]
	v_fma_f64 v[70:71], v[28:29], v[22:23], -v[74:75]
	ds_load_b128 v[20:23], v1 offset:1168
	scratch_load_b128 v[28:31], off, off offset:288
	s_waitcnt vmcnt(9) lgkmcnt(1)
	v_mul_f64 v[74:75], v[64:65], v[8:9]
	v_add_f64 v[36:37], v[36:37], v[68:69]
	ds_load_b128 v[66:69], v1 offset:1216
	s_waitcnt lgkmcnt(1)
	v_mul_f64 v[72:73], v[20:21], v[12:13]
	v_mul_f64 v[12:13], v[22:23], v[12:13]
	v_add_f64 v[51:52], v[51:52], v[70:71]
	v_mul_f64 v[70:71], v[62:63], v[8:9]
	v_add_f64 v[36:37], v[36:37], v[55:56]
	v_fma_f64 v[22:23], v[22:23], v[10:11], v[72:73]
	v_fma_f64 v[12:13], v[20:21], v[10:11], -v[12:13]
	v_add_f64 v[51:52], v[51:52], v[18:19]
	ds_load_b128 v[8:11], v1 offset:1200
	scratch_load_b128 v[18:21], off, off offset:320
	v_fma_f64 v[70:71], v[64:65], v[6:7], v[70:71]
	v_fma_f64 v[6:7], v[62:63], v[6:7], -v[74:75]
	scratch_load_b128 v[62:65], off, off offset:336
	s_waitcnt vmcnt(10) lgkmcnt(0)
	v_mul_f64 v[55:56], v[8:9], v[16:17]
	v_mul_f64 v[16:17], v[10:11], v[16:17]
	v_add_f64 v[22:23], v[36:37], v[22:23]
	s_waitcnt vmcnt(8)
	v_mul_f64 v[36:37], v[66:67], v[60:61]
	v_add_f64 v[12:13], v[51:52], v[12:13]
	v_mul_f64 v[51:52], v[68:69], v[60:61]
	v_fma_f64 v[55:56], v[10:11], v[14:15], v[55:56]
	v_fma_f64 v[60:61], v[8:9], v[14:15], -v[16:17]
	ds_load_b128 v[14:17], v1 offset:1248
	v_add_f64 v[22:23], v[22:23], v[70:71]
	v_fma_f64 v[36:37], v[68:69], v[58:59], v[36:37]
	v_add_f64 v[72:73], v[12:13], v[6:7]
	scratch_load_b128 v[10:13], off, off offset:352
	ds_load_b128 v[6:9], v1 offset:1232
	v_fma_f64 v[51:52], v[66:67], v[58:59], -v[51:52]
	s_waitcnt vmcnt(8) lgkmcnt(0)
	v_mul_f64 v[70:71], v[6:7], v[48:49]
	v_mul_f64 v[48:49], v[8:9], v[48:49]
	v_add_f64 v[22:23], v[22:23], v[55:56]
	s_waitcnt vmcnt(7)
	v_mul_f64 v[55:56], v[14:15], v[40:41]
	v_add_f64 v[66:67], v[72:73], v[60:61]
	scratch_load_b128 v[58:61], off, off offset:368
	v_mul_f64 v[40:41], v[16:17], v[40:41]
	v_fma_f64 v[70:71], v[8:9], v[46:47], v[70:71]
	v_fma_f64 v[72:73], v[6:7], v[46:47], -v[48:49]
	scratch_load_b128 v[46:49], off, off offset:384
	ds_load_b128 v[6:9], v1 offset:1264
	v_add_f64 v[22:23], v[22:23], v[36:37]
	v_fma_f64 v[55:56], v[16:17], v[38:39], v[55:56]
	v_add_f64 v[51:52], v[66:67], v[51:52]
	ds_load_b128 v[66:69], v1 offset:1280
	v_fma_f64 v[38:39], v[14:15], v[38:39], -v[40:41]
	scratch_load_b128 v[14:17], off, off offset:400
	s_waitcnt vmcnt(9) lgkmcnt(1)
	v_mul_f64 v[36:37], v[6:7], v[34:35]
	v_mul_f64 v[34:35], v[8:9], v[34:35]
	v_add_f64 v[22:23], v[22:23], v[70:71]
	v_add_f64 v[40:41], v[51:52], v[72:73]
	s_delay_alu instid0(VALU_DEP_4) | instskip(NEXT) | instid1(VALU_DEP_4)
	v_fma_f64 v[70:71], v[8:9], v[32:33], v[36:37]
	v_fma_f64 v[72:73], v[6:7], v[32:33], -v[34:35]
	scratch_load_b128 v[32:35], off, off offset:416
	ds_load_b128 v[6:9], v1 offset:1296
	s_waitcnt vmcnt(9) lgkmcnt(1)
	v_mul_f64 v[51:52], v[66:67], v[26:27]
	v_mul_f64 v[26:27], v[68:69], v[26:27]
	v_add_f64 v[22:23], v[22:23], v[55:56]
	v_add_f64 v[40:41], v[40:41], v[38:39]
	ds_load_b128 v[36:39], v1 offset:1312
	v_fma_f64 v[51:52], v[68:69], v[24:25], v[51:52]
	s_waitcnt vmcnt(7) lgkmcnt(1)
	v_mul_f64 v[55:56], v[6:7], v[30:31]
	v_mul_f64 v[30:31], v[8:9], v[30:31]
	v_fma_f64 v[26:27], v[66:67], v[24:25], -v[26:27]
	v_add_f64 v[66:67], v[22:23], v[70:71]
	scratch_load_b128 v[22:25], off, off offset:432
	v_add_f64 v[40:41], v[40:41], v[72:73]
	s_waitcnt lgkmcnt(0)
	v_mul_f64 v[70:71], v[36:37], v[44:45]
	v_mul_f64 v[44:45], v[38:39], v[44:45]
	v_fma_f64 v[55:56], v[8:9], v[28:29], v[55:56]
	v_fma_f64 v[30:31], v[6:7], v[28:29], -v[30:31]
	ds_load_b128 v[6:9], v1 offset:1328
	v_add_f64 v[51:52], v[66:67], v[51:52]
	ds_load_b128 v[66:69], v1 offset:1344
	v_add_f64 v[40:41], v[40:41], v[26:27]
	scratch_load_b128 v[26:29], off, off offset:448
	v_fma_f64 v[70:71], v[38:39], v[42:43], v[70:71]
	v_fma_f64 v[42:43], v[36:37], v[42:43], -v[44:45]
	scratch_load_b128 v[36:39], off, off offset:464
	s_waitcnt vmcnt(9) lgkmcnt(1)
	v_mul_f64 v[72:73], v[6:7], v[20:21]
	v_mul_f64 v[20:21], v[8:9], v[20:21]
	s_waitcnt vmcnt(8) lgkmcnt(0)
	v_mul_f64 v[44:45], v[66:67], v[64:65]
	v_add_f64 v[30:31], v[40:41], v[30:31]
	v_add_f64 v[40:41], v[51:52], v[55:56]
	v_mul_f64 v[51:52], v[68:69], v[64:65]
	v_fma_f64 v[55:56], v[8:9], v[18:19], v[72:73]
	v_fma_f64 v[64:65], v[6:7], v[18:19], -v[20:21]
	scratch_load_b128 v[18:21], off, off offset:480
	ds_load_b128 v[6:9], v1 offset:1360
	v_fma_f64 v[44:45], v[68:69], v[62:63], v[44:45]
	v_add_f64 v[30:31], v[30:31], v[42:43]
	v_add_f64 v[70:71], v[40:41], v[70:71]
	ds_load_b128 v[40:43], v1 offset:1376
	v_fma_f64 v[51:52], v[66:67], v[62:63], -v[51:52]
	ds_load_b128 v[66:69], v1 offset:1408
	s_waitcnt vmcnt(8) lgkmcnt(2)
	v_mul_f64 v[72:73], v[6:7], v[12:13]
	v_mul_f64 v[12:13], v[8:9], v[12:13]
	v_add_f64 v[30:31], v[30:31], v[64:65]
	v_add_f64 v[55:56], v[70:71], v[55:56]
	scratch_load_b128 v[62:65], off, off offset:496
	s_waitcnt vmcnt(8) lgkmcnt(1)
	v_mul_f64 v[70:71], v[40:41], v[60:61]
	v_mul_f64 v[60:61], v[42:43], v[60:61]
	v_fma_f64 v[72:73], v[8:9], v[10:11], v[72:73]
	v_fma_f64 v[74:75], v[6:7], v[10:11], -v[12:13]
	scratch_load_b128 v[10:13], off, off offset:512
	ds_load_b128 v[6:9], v1 offset:1392
	v_add_f64 v[30:31], v[30:31], v[51:52]
	v_add_f64 v[44:45], v[55:56], v[44:45]
	s_waitcnt vmcnt(8) lgkmcnt(0)
	v_mul_f64 v[51:52], v[6:7], v[48:49]
	v_mul_f64 v[48:49], v[8:9], v[48:49]
	v_fma_f64 v[55:56], v[42:43], v[58:59], v[70:71]
	v_fma_f64 v[58:59], v[40:41], v[58:59], -v[60:61]
	scratch_load_b128 v[40:43], off, off offset:528
	s_waitcnt vmcnt(8)
	v_mul_f64 v[70:71], v[66:67], v[16:17]
	v_mul_f64 v[16:17], v[68:69], v[16:17]
	v_add_f64 v[30:31], v[30:31], v[74:75]
	v_add_f64 v[44:45], v[44:45], v[72:73]
	v_fma_f64 v[51:52], v[8:9], v[46:47], v[51:52]
	v_fma_f64 v[48:49], v[6:7], v[46:47], -v[48:49]
	ds_load_b128 v[6:9], v1 offset:1424
	v_fma_f64 v[68:69], v[68:69], v[14:15], v[70:71]
	v_fma_f64 v[66:67], v[66:67], v[14:15], -v[16:17]
	scratch_load_b128 v[14:17], off, off offset:560
	v_add_f64 v[30:31], v[30:31], v[58:59]
	v_add_f64 v[55:56], v[44:45], v[55:56]
	scratch_load_b128 v[44:47], off, off offset:544
	ds_load_b128 v[58:61], v1 offset:1440
	s_waitcnt vmcnt(9) lgkmcnt(1)
	v_mul_f64 v[72:73], v[6:7], v[34:35]
	v_mul_f64 v[34:35], v[8:9], v[34:35]
	v_add_f64 v[30:31], v[30:31], v[48:49]
	v_add_f64 v[48:49], v[55:56], v[51:52]
	s_delay_alu instid0(VALU_DEP_4) | instskip(NEXT) | instid1(VALU_DEP_4)
	v_fma_f64 v[55:56], v[8:9], v[32:33], v[72:73]
	v_fma_f64 v[34:35], v[6:7], v[32:33], -v[34:35]
	ds_load_b128 v[6:9], v1 offset:1456
	s_waitcnt vmcnt(8) lgkmcnt(1)
	v_mul_f64 v[51:52], v[58:59], v[24:25]
	v_mul_f64 v[24:25], v[60:61], v[24:25]
	v_add_f64 v[70:71], v[30:31], v[66:67]
	v_add_f64 v[48:49], v[48:49], v[68:69]
	ds_load_b128 v[66:69], v1 offset:1472
	scratch_load_b128 v[30:33], off, off offset:576
	v_fma_f64 v[51:52], v[60:61], v[22:23], v[51:52]
	v_fma_f64 v[58:59], v[58:59], v[22:23], -v[24:25]
	s_waitcnt vmcnt(8) lgkmcnt(1)
	v_mul_f64 v[72:73], v[6:7], v[28:29]
	v_mul_f64 v[28:29], v[8:9], v[28:29]
	scratch_load_b128 v[22:25], off, off offset:592
	v_add_f64 v[34:35], v[70:71], v[34:35]
	v_add_f64 v[48:49], v[48:49], v[55:56]
	s_waitcnt vmcnt(8) lgkmcnt(0)
	v_mul_f64 v[55:56], v[66:67], v[38:39]
	v_mul_f64 v[38:39], v[68:69], v[38:39]
	v_fma_f64 v[70:71], v[8:9], v[26:27], v[72:73]
	v_fma_f64 v[72:73], v[6:7], v[26:27], -v[28:29]
	scratch_load_b128 v[26:29], off, off offset:608
	ds_load_b128 v[6:9], v1 offset:1488
	v_add_f64 v[34:35], v[34:35], v[58:59]
	ds_load_b128 v[58:61], v1 offset:1504
	v_add_f64 v[48:49], v[48:49], v[51:52]
	s_waitcnt vmcnt(8) lgkmcnt(1)
	v_mul_f64 v[51:52], v[6:7], v[20:21]
	v_mul_f64 v[20:21], v[8:9], v[20:21]
	v_fma_f64 v[55:56], v[68:69], v[36:37], v[55:56]
	v_fma_f64 v[38:39], v[66:67], v[36:37], -v[38:39]
	v_add_f64 v[66:67], v[34:35], v[72:73]
	scratch_load_b128 v[34:37], off, off offset:624
	v_add_f64 v[48:49], v[48:49], v[70:71]
	v_fma_f64 v[51:52], v[8:9], v[18:19], v[51:52]
	v_fma_f64 v[72:73], v[6:7], v[18:19], -v[20:21]
	scratch_load_b128 v[18:21], off, off offset:640
	ds_load_b128 v[6:9], v1 offset:1520
	s_waitcnt vmcnt(9) lgkmcnt(1)
	v_mul_f64 v[68:69], v[58:59], v[64:65]
	v_mul_f64 v[70:71], v[60:61], v[64:65]
	v_add_f64 v[38:39], v[66:67], v[38:39]
	ds_load_b128 v[64:67], v1 offset:1536
	v_add_f64 v[48:49], v[48:49], v[55:56]
	s_waitcnt vmcnt(8) lgkmcnt(1)
	v_mul_f64 v[55:56], v[6:7], v[12:13]
	v_mul_f64 v[12:13], v[8:9], v[12:13]
	v_fma_f64 v[68:69], v[60:61], v[62:63], v[68:69]
	v_fma_f64 v[62:63], v[58:59], v[62:63], -v[70:71]
	scratch_load_b128 v[58:61], off, off offset:656
	v_add_f64 v[38:39], v[38:39], v[72:73]
	v_add_f64 v[48:49], v[48:49], v[51:52]
	s_waitcnt vmcnt(8) lgkmcnt(0)
	v_mul_f64 v[51:52], v[64:65], v[42:43]
	v_mul_f64 v[42:43], v[66:67], v[42:43]
	v_fma_f64 v[55:56], v[8:9], v[10:11], v[55:56]
	v_fma_f64 v[72:73], v[6:7], v[10:11], -v[12:13]
	scratch_load_b128 v[10:13], off, off offset:672
	ds_load_b128 v[6:9], v1 offset:1552
	v_add_f64 v[38:39], v[38:39], v[62:63]
	v_add_f64 v[48:49], v[48:49], v[68:69]
	ds_load_b128 v[68:71], v1 offset:1568
	v_fma_f64 v[51:52], v[66:67], v[40:41], v[51:52]
	v_fma_f64 v[42:43], v[64:65], v[40:41], -v[42:43]
	s_waitcnt vmcnt(7) lgkmcnt(1)
	v_mul_f64 v[62:63], v[6:7], v[46:47]
	v_mul_f64 v[46:47], v[8:9], v[46:47]
	v_add_f64 v[64:65], v[38:39], v[72:73]
	scratch_load_b128 v[38:41], off, off offset:688
	v_add_f64 v[48:49], v[48:49], v[55:56]
	s_waitcnt lgkmcnt(0)
	v_mul_f64 v[55:56], v[68:69], v[16:17]
	v_mul_f64 v[16:17], v[70:71], v[16:17]
	v_fma_f64 v[62:63], v[8:9], v[44:45], v[62:63]
	v_fma_f64 v[66:67], v[6:7], v[44:45], -v[46:47]
	ds_load_b128 v[6:9], v1 offset:1584
	v_add_f64 v[64:65], v[64:65], v[42:43]
	scratch_load_b128 v[42:45], off, off offset:704
	v_add_f64 v[51:52], v[48:49], v[51:52]
	ds_load_b128 v[46:49], v1 offset:1600
	v_fma_f64 v[55:56], v[70:71], v[14:15], v[55:56]
	v_fma_f64 v[68:69], v[68:69], v[14:15], -v[16:17]
	scratch_load_b128 v[14:17], off, off offset:720
	s_waitcnt vmcnt(9) lgkmcnt(1)
	v_mul_f64 v[72:73], v[6:7], v[32:33]
	v_mul_f64 v[32:33], v[8:9], v[32:33]
	v_add_f64 v[64:65], v[64:65], v[66:67]
	s_waitcnt vmcnt(8) lgkmcnt(0)
	v_mul_f64 v[66:67], v[46:47], v[24:25]
	v_add_f64 v[51:52], v[51:52], v[62:63]
	v_mul_f64 v[24:25], v[48:49], v[24:25]
	v_fma_f64 v[70:71], v[8:9], v[30:31], v[72:73]
	v_fma_f64 v[72:73], v[6:7], v[30:31], -v[32:33]
	scratch_load_b128 v[30:33], off, off offset:736
	ds_load_b128 v[6:9], v1 offset:1616
	v_add_f64 v[68:69], v[64:65], v[68:69]
	ds_load_b128 v[62:65], v1 offset:1632
	v_add_f64 v[51:52], v[51:52], v[55:56]
	v_fma_f64 v[48:49], v[48:49], v[22:23], v[66:67]
	s_waitcnt vmcnt(8) lgkmcnt(1)
	v_mul_f64 v[55:56], v[6:7], v[28:29]
	v_mul_f64 v[28:29], v[8:9], v[28:29]
	v_fma_f64 v[46:47], v[46:47], v[22:23], -v[24:25]
	scratch_load_b128 v[22:25], off, off offset:752
	v_add_f64 v[66:67], v[68:69], v[72:73]
	v_add_f64 v[51:52], v[51:52], v[70:71]
	v_fma_f64 v[55:56], v[8:9], v[26:27], v[55:56]
	v_fma_f64 v[70:71], v[6:7], v[26:27], -v[28:29]
	scratch_load_b128 v[26:29], off, off offset:768
	ds_load_b128 v[6:9], v1 offset:1648
	s_waitcnt vmcnt(9) lgkmcnt(1)
	v_mul_f64 v[68:69], v[62:63], v[36:37]
	v_mul_f64 v[36:37], v[64:65], v[36:37]
	v_add_f64 v[66:67], v[66:67], v[46:47]
	v_add_f64 v[51:52], v[51:52], v[48:49]
	ds_load_b128 v[46:49], v1 offset:1664
	s_waitcnt vmcnt(8) lgkmcnt(1)
	v_mul_f64 v[72:73], v[6:7], v[20:21]
	v_mul_f64 v[20:21], v[8:9], v[20:21]
	v_fma_f64 v[64:65], v[64:65], v[34:35], v[68:69]
	v_fma_f64 v[62:63], v[62:63], v[34:35], -v[36:37]
	scratch_load_b128 v[34:37], off, off offset:784
	s_waitcnt vmcnt(8) lgkmcnt(0)
	v_mul_f64 v[68:69], v[48:49], v[60:61]
	v_add_f64 v[66:67], v[66:67], v[70:71]
	v_add_f64 v[51:52], v[51:52], v[55:56]
	v_mul_f64 v[55:56], v[46:47], v[60:61]
	v_fma_f64 v[70:71], v[8:9], v[18:19], v[72:73]
	v_fma_f64 v[72:73], v[6:7], v[18:19], -v[20:21]
	scratch_load_b128 v[18:21], off, off offset:800
	ds_load_b128 v[6:9], v1 offset:1680
	v_add_f64 v[66:67], v[66:67], v[62:63]
	ds_load_b128 v[60:63], v1 offset:1696
	v_add_f64 v[51:52], v[51:52], v[64:65]
	s_waitcnt vmcnt(8) lgkmcnt(1)
	v_mul_f64 v[64:65], v[6:7], v[12:13]
	v_mul_f64 v[12:13], v[8:9], v[12:13]
	v_fma_f64 v[55:56], v[48:49], v[58:59], v[55:56]
	v_fma_f64 v[58:59], v[46:47], v[58:59], -v[68:69]
	scratch_load_b128 v[46:49], off, off offset:816
	v_add_f64 v[66:67], v[66:67], v[72:73]
	v_add_f64 v[51:52], v[51:52], v[70:71]
	v_fma_f64 v[70:71], v[8:9], v[10:11], v[64:65]
	v_fma_f64 v[72:73], v[6:7], v[10:11], -v[12:13]
	scratch_load_b128 v[10:13], off, off offset:832
	ds_load_b128 v[6:9], v1 offset:1712
	s_waitcnt vmcnt(9) lgkmcnt(1)
	v_mul_f64 v[68:69], v[60:61], v[40:41]
	v_mul_f64 v[40:41], v[62:63], v[40:41]
	v_add_f64 v[58:59], v[66:67], v[58:59]
	ds_load_b128 v[64:67], v1 offset:1728
	v_add_f64 v[51:52], v[51:52], v[55:56]
	s_waitcnt vmcnt(8) lgkmcnt(1)
	v_mul_f64 v[55:56], v[6:7], v[44:45]
	v_mul_f64 v[44:45], v[8:9], v[44:45]
	v_fma_f64 v[62:63], v[62:63], v[38:39], v[68:69]
	v_fma_f64 v[60:61], v[60:61], v[38:39], -v[40:41]
	scratch_load_b128 v[38:41], off, off offset:848
	s_waitcnt vmcnt(8) lgkmcnt(0)
	v_mul_f64 v[68:69], v[64:65], v[16:17]
	v_mul_f64 v[16:17], v[66:67], v[16:17]
	v_add_f64 v[58:59], v[58:59], v[72:73]
	v_add_f64 v[51:52], v[51:52], v[70:71]
	v_fma_f64 v[55:56], v[8:9], v[42:43], v[55:56]
	v_fma_f64 v[70:71], v[6:7], v[42:43], -v[44:45]
	scratch_load_b128 v[42:45], off, off offset:864
	ds_load_b128 v[6:9], v1 offset:1744
	v_fma_f64 v[66:67], v[66:67], v[14:15], v[68:69]
	v_fma_f64 v[64:65], v[64:65], v[14:15], -v[16:17]
	scratch_load_b128 v[14:17], off, off offset:880
	v_add_f64 v[72:73], v[58:59], v[60:61]
	ds_load_b128 v[58:61], v1 offset:1760
	v_add_f64 v[51:52], v[51:52], v[62:63]
	s_waitcnt vmcnt(9) lgkmcnt(1)
	v_mul_f64 v[62:63], v[6:7], v[32:33]
	v_mul_f64 v[32:33], v[8:9], v[32:33]
	v_add_f64 v[68:69], v[72:73], v[70:71]
	s_delay_alu instid0(VALU_DEP_4)
	v_add_f64 v[51:52], v[51:52], v[55:56]
	s_waitcnt vmcnt(8) lgkmcnt(0)
	v_mul_f64 v[55:56], v[58:59], v[24:25]
	v_mul_f64 v[24:25], v[60:61], v[24:25]
	v_fma_f64 v[70:71], v[8:9], v[30:31], v[62:63]
	v_fma_f64 v[72:73], v[6:7], v[30:31], -v[32:33]
	scratch_load_b128 v[30:33], off, off offset:896
	ds_load_b128 v[6:9], v1 offset:1776
	v_add_f64 v[68:69], v[68:69], v[64:65]
	ds_load_b128 v[62:65], v1 offset:1792
	v_add_f64 v[51:52], v[51:52], v[66:67]
	s_waitcnt vmcnt(8) lgkmcnt(1)
	v_mul_f64 v[66:67], v[6:7], v[28:29]
	v_mul_f64 v[28:29], v[8:9], v[28:29]
	v_fma_f64 v[55:56], v[60:61], v[22:23], v[55:56]
	v_fma_f64 v[58:59], v[58:59], v[22:23], -v[24:25]
	scratch_load_b128 v[22:25], off, off offset:912
	v_add_f64 v[60:61], v[68:69], v[72:73]
	s_waitcnt vmcnt(8) lgkmcnt(0)
	v_mul_f64 v[68:69], v[62:63], v[36:37]
	v_add_f64 v[51:52], v[51:52], v[70:71]
	v_mul_f64 v[36:37], v[64:65], v[36:37]
	v_fma_f64 v[66:67], v[8:9], v[26:27], v[66:67]
	v_fma_f64 v[70:71], v[6:7], v[26:27], -v[28:29]
	scratch_load_b128 v[26:29], off, off offset:928
	ds_load_b128 v[6:9], v1 offset:1808
	v_add_f64 v[72:73], v[60:61], v[58:59]
	ds_load_b128 v[58:61], v1 offset:1824
	v_add_f64 v[51:52], v[51:52], v[55:56]
	s_waitcnt vmcnt(8) lgkmcnt(1)
	v_mul_f64 v[55:56], v[6:7], v[20:21]
	v_mul_f64 v[20:21], v[8:9], v[20:21]
	v_fma_f64 v[64:65], v[64:65], v[34:35], v[68:69]
	v_fma_f64 v[62:63], v[62:63], v[34:35], -v[36:37]
	scratch_load_b128 v[34:37], off, off offset:944
	v_add_f64 v[68:69], v[72:73], v[70:71]
	v_add_f64 v[51:52], v[51:52], v[66:67]
	s_waitcnt vmcnt(8) lgkmcnt(0)
	v_mul_f64 v[66:67], v[58:59], v[48:49]
	v_mul_f64 v[48:49], v[60:61], v[48:49]
	v_fma_f64 v[55:56], v[8:9], v[18:19], v[55:56]
	v_fma_f64 v[70:71], v[6:7], v[18:19], -v[20:21]
	scratch_load_b128 v[18:21], off, off offset:960
	ds_load_b128 v[6:9], v1 offset:1840
	v_add_f64 v[68:69], v[68:69], v[62:63]
	v_add_f64 v[51:52], v[51:52], v[64:65]
	ds_load_b128 v[62:65], v1 offset:1856
	s_waitcnt vmcnt(8) lgkmcnt(1)
	v_mul_f64 v[72:73], v[6:7], v[12:13]
	v_mul_f64 v[12:13], v[8:9], v[12:13]
	v_fma_f64 v[60:61], v[60:61], v[46:47], v[66:67]
	v_fma_f64 v[58:59], v[58:59], v[46:47], -v[48:49]
	scratch_load_b128 v[46:49], off, off offset:976
	v_add_f64 v[66:67], v[68:69], v[70:71]
	v_add_f64 v[51:52], v[51:52], v[55:56]
	s_waitcnt vmcnt(8) lgkmcnt(0)
	v_mul_f64 v[55:56], v[62:63], v[40:41]
	v_mul_f64 v[40:41], v[64:65], v[40:41]
	v_fma_f64 v[68:69], v[8:9], v[10:11], v[72:73]
	v_fma_f64 v[70:71], v[6:7], v[10:11], -v[12:13]
	scratch_load_b128 v[10:13], off, off offset:992
	ds_load_b128 v[6:9], v1 offset:1872
	v_add_f64 v[66:67], v[66:67], v[58:59]
	v_add_f64 v[51:52], v[51:52], v[60:61]
	ds_load_b128 v[58:61], v1 offset:1888
	s_waitcnt vmcnt(8) lgkmcnt(1)
	v_mul_f64 v[72:73], v[6:7], v[44:45]
	v_mul_f64 v[44:45], v[8:9], v[44:45]
	v_fma_f64 v[55:56], v[64:65], v[38:39], v[55:56]
	v_fma_f64 v[38:39], v[62:63], v[38:39], -v[40:41]
	s_waitcnt vmcnt(7) lgkmcnt(0)
	v_mul_f64 v[62:63], v[58:59], v[16:17]
	v_mul_f64 v[16:17], v[60:61], v[16:17]
	v_add_f64 v[40:41], v[66:67], v[70:71]
	v_add_f64 v[51:52], v[51:52], v[68:69]
	v_fma_f64 v[64:65], v[8:9], v[42:43], v[72:73]
	v_fma_f64 v[42:43], v[6:7], v[42:43], -v[44:45]
	v_fma_f64 v[60:61], v[60:61], v[14:15], v[62:63]
	v_fma_f64 v[14:15], v[58:59], v[14:15], -v[16:17]
	v_add_f64 v[44:45], v[40:41], v[38:39]
	ds_load_b128 v[6:9], v1 offset:1904
	ds_load_b128 v[38:41], v1 offset:1920
	v_add_f64 v[51:52], v[51:52], v[55:56]
	s_waitcnt vmcnt(6) lgkmcnt(1)
	v_mul_f64 v[55:56], v[6:7], v[32:33]
	v_mul_f64 v[32:33], v[8:9], v[32:33]
	v_add_f64 v[16:17], v[44:45], v[42:43]
	s_waitcnt vmcnt(5) lgkmcnt(0)
	v_mul_f64 v[44:45], v[38:39], v[24:25]
	v_add_f64 v[42:43], v[51:52], v[64:65]
	v_mul_f64 v[24:25], v[40:41], v[24:25]
	v_fma_f64 v[51:52], v[8:9], v[30:31], v[55:56]
	v_fma_f64 v[30:31], v[6:7], v[30:31], -v[32:33]
	v_add_f64 v[32:33], v[16:17], v[14:15]
	ds_load_b128 v[6:9], v1 offset:1936
	ds_load_b128 v[14:17], v1 offset:1952
	v_add_f64 v[42:43], v[42:43], v[60:61]
	v_fma_f64 v[40:41], v[40:41], v[22:23], v[44:45]
	v_fma_f64 v[22:23], v[38:39], v[22:23], -v[24:25]
	s_waitcnt vmcnt(4) lgkmcnt(1)
	v_mul_f64 v[55:56], v[6:7], v[28:29]
	v_mul_f64 v[28:29], v[8:9], v[28:29]
	v_add_f64 v[24:25], v[32:33], v[30:31]
	s_waitcnt vmcnt(3) lgkmcnt(0)
	v_mul_f64 v[32:33], v[14:15], v[36:37]
	v_add_f64 v[30:31], v[42:43], v[51:52]
	v_mul_f64 v[36:37], v[16:17], v[36:37]
	v_fma_f64 v[38:39], v[8:9], v[26:27], v[55:56]
	v_fma_f64 v[26:27], v[6:7], v[26:27], -v[28:29]
	v_add_f64 v[28:29], v[24:25], v[22:23]
	ds_load_b128 v[6:9], v1 offset:1968
	ds_load_b128 v[22:25], v1 offset:1984
	v_add_f64 v[30:31], v[30:31], v[40:41]
	v_fma_f64 v[16:17], v[16:17], v[34:35], v[32:33]
	v_fma_f64 v[14:15], v[14:15], v[34:35], -v[36:37]
	s_waitcnt vmcnt(2) lgkmcnt(1)
	v_mul_f64 v[40:41], v[6:7], v[20:21]
	v_mul_f64 v[20:21], v[8:9], v[20:21]
	s_waitcnt vmcnt(1) lgkmcnt(0)
	v_mul_f64 v[32:33], v[24:25], v[48:49]
	v_add_f64 v[26:27], v[28:29], v[26:27]
	v_add_f64 v[28:29], v[30:31], v[38:39]
	v_mul_f64 v[30:31], v[22:23], v[48:49]
	v_fma_f64 v[34:35], v[8:9], v[18:19], v[40:41]
	v_fma_f64 v[18:19], v[6:7], v[18:19], -v[20:21]
	ds_load_b128 v[6:9], v1 offset:2000
	v_fma_f64 v[22:23], v[22:23], v[46:47], -v[32:33]
	v_add_f64 v[14:15], v[26:27], v[14:15]
	v_add_f64 v[16:17], v[28:29], v[16:17]
	v_fma_f64 v[24:25], v[24:25], v[46:47], v[30:31]
	s_waitcnt vmcnt(0) lgkmcnt(0)
	v_mul_f64 v[20:21], v[6:7], v[12:13]
	v_mul_f64 v[12:13], v[8:9], v[12:13]
	v_add_f64 v[14:15], v[14:15], v[18:19]
	v_add_f64 v[16:17], v[16:17], v[34:35]
	s_delay_alu instid0(VALU_DEP_4) | instskip(NEXT) | instid1(VALU_DEP_4)
	v_fma_f64 v[8:9], v[8:9], v[10:11], v[20:21]
	v_fma_f64 v[6:7], v[6:7], v[10:11], -v[12:13]
	s_delay_alu instid0(VALU_DEP_4) | instskip(NEXT) | instid1(VALU_DEP_4)
	v_add_f64 v[10:11], v[14:15], v[22:23]
	v_add_f64 v[12:13], v[16:17], v[24:25]
	s_delay_alu instid0(VALU_DEP_2) | instskip(NEXT) | instid1(VALU_DEP_2)
	v_add_f64 v[6:7], v[10:11], v[6:7]
	v_add_f64 v[8:9], v[12:13], v[8:9]
	s_delay_alu instid0(VALU_DEP_2) | instskip(NEXT) | instid1(VALU_DEP_2)
	v_add_f64 v[2:3], v[2:3], -v[6:7]
	v_add_f64 v[4:5], v[4:5], -v[8:9]
	scratch_store_b128 off, v[2:5], off offset:48
	v_cmpx_lt_u32_e32 2, v179
	s_cbranch_execz .LBB126_399
; %bb.398:
	scratch_load_b128 v[5:8], v251, off
	v_mov_b32_e32 v2, v1
	v_mov_b32_e32 v3, v1
	;; [unrolled: 1-line block ×3, first 2 shown]
	scratch_store_b128 off, v[1:4], off offset:32
	s_waitcnt vmcnt(0)
	ds_store_b128 v244, v[5:8]
.LBB126_399:
	s_or_b32 exec_lo, exec_lo, s2
	s_waitcnt lgkmcnt(0)
	s_waitcnt_vscnt null, 0x0
	s_barrier
	buffer_gl0_inv
	s_clause 0x8
	scratch_load_b128 v[34:37], off, off offset:48
	scratch_load_b128 v[38:41], off, off offset:64
	;; [unrolled: 1-line block ×9, first 2 shown]
	ds_load_b128 v[46:49], v1 offset:1056
	ds_load_b128 v[42:45], v1 offset:1072
	s_clause 0x1
	scratch_load_b128 v[2:5], off, off offset:32
	scratch_load_b128 v[58:61], off, off offset:192
	s_mov_b32 s2, exec_lo
	ds_load_b128 v[62:65], v1 offset:1104
	s_waitcnt vmcnt(10) lgkmcnt(2)
	v_mul_f64 v[51:52], v[48:49], v[36:37]
	v_mul_f64 v[36:37], v[46:47], v[36:37]
	s_waitcnt vmcnt(9) lgkmcnt(1)
	v_mul_f64 v[55:56], v[42:43], v[40:41]
	v_mul_f64 v[40:41], v[44:45], v[40:41]
	s_waitcnt vmcnt(7) lgkmcnt(0)
	v_mul_f64 v[70:71], v[64:65], v[28:29]
	v_fma_f64 v[51:52], v[46:47], v[34:35], -v[51:52]
	v_fma_f64 v[66:67], v[48:49], v[34:35], v[36:37]
	ds_load_b128 v[34:37], v1 offset:1088
	scratch_load_b128 v[46:49], off, off offset:208
	v_fma_f64 v[44:45], v[44:45], v[38:39], v[55:56]
	v_fma_f64 v[42:43], v[42:43], v[38:39], -v[40:41]
	scratch_load_b128 v[38:41], off, off offset:224
	s_waitcnt lgkmcnt(0)
	v_mul_f64 v[68:69], v[34:35], v[32:33]
	v_mul_f64 v[32:33], v[36:37], v[32:33]
	v_add_f64 v[51:52], v[51:52], 0
	v_add_f64 v[55:56], v[66:67], 0
	v_mul_f64 v[66:67], v[62:63], v[28:29]
	v_fma_f64 v[62:63], v[62:63], v[26:27], -v[70:71]
	v_fma_f64 v[36:37], v[36:37], v[30:31], v[68:69]
	v_fma_f64 v[68:69], v[34:35], v[30:31], -v[32:33]
	ds_load_b128 v[28:31], v1 offset:1120
	scratch_load_b128 v[32:35], off, off offset:240
	v_add_f64 v[51:52], v[51:52], v[42:43]
	v_add_f64 v[55:56], v[55:56], v[44:45]
	ds_load_b128 v[42:45], v1 offset:1136
	v_fma_f64 v[64:65], v[64:65], v[26:27], v[66:67]
	s_waitcnt vmcnt(9) lgkmcnt(1)
	v_mul_f64 v[72:73], v[28:29], v[24:25]
	v_mul_f64 v[74:75], v[30:31], v[24:25]
	scratch_load_b128 v[24:27], off, off offset:256
	s_waitcnt vmcnt(9) lgkmcnt(0)
	v_mul_f64 v[66:67], v[44:45], v[20:21]
	v_add_f64 v[51:52], v[51:52], v[68:69]
	v_add_f64 v[36:37], v[55:56], v[36:37]
	v_mul_f64 v[55:56], v[42:43], v[20:21]
	v_fma_f64 v[68:69], v[30:31], v[22:23], v[72:73]
	v_fma_f64 v[70:71], v[28:29], v[22:23], -v[74:75]
	ds_load_b128 v[20:23], v1 offset:1152
	scratch_load_b128 v[28:31], off, off offset:272
	v_fma_f64 v[42:43], v[42:43], v[18:19], -v[66:67]
	v_add_f64 v[51:52], v[51:52], v[62:63]
	v_add_f64 v[36:37], v[36:37], v[64:65]
	ds_load_b128 v[62:65], v1 offset:1168
	s_waitcnt vmcnt(9) lgkmcnt(1)
	v_mul_f64 v[72:73], v[20:21], v[16:17]
	v_mul_f64 v[74:75], v[22:23], v[16:17]
	v_fma_f64 v[44:45], v[44:45], v[18:19], v[55:56]
	scratch_load_b128 v[16:19], off, off offset:288
	s_waitcnt vmcnt(9) lgkmcnt(0)
	v_mul_f64 v[55:56], v[62:63], v[12:13]
	v_mul_f64 v[66:67], v[64:65], v[12:13]
	v_add_f64 v[51:52], v[51:52], v[70:71]
	v_add_f64 v[36:37], v[36:37], v[68:69]
	v_fma_f64 v[68:69], v[22:23], v[14:15], v[72:73]
	v_fma_f64 v[70:71], v[20:21], v[14:15], -v[74:75]
	ds_load_b128 v[12:15], v1 offset:1184
	scratch_load_b128 v[20:23], off, off offset:304
	v_fma_f64 v[55:56], v[64:65], v[10:11], v[55:56]
	v_fma_f64 v[62:63], v[62:63], v[10:11], -v[66:67]
	ds_load_b128 v[64:67], v1 offset:1232
	v_add_f64 v[51:52], v[51:52], v[42:43]
	v_add_f64 v[36:37], v[36:37], v[44:45]
	ds_load_b128 v[42:45], v1 offset:1200
	s_waitcnt vmcnt(9) lgkmcnt(2)
	v_mul_f64 v[72:73], v[12:13], v[8:9]
	v_mul_f64 v[74:75], v[14:15], v[8:9]
	scratch_load_b128 v[8:11], off, off offset:320
	v_add_f64 v[51:52], v[51:52], v[70:71]
	v_add_f64 v[36:37], v[36:37], v[68:69]
	s_waitcnt vmcnt(8) lgkmcnt(0)
	v_mul_f64 v[68:69], v[42:43], v[60:61]
	v_mul_f64 v[70:71], v[44:45], v[60:61]
	v_fma_f64 v[72:73], v[14:15], v[6:7], v[72:73]
	v_fma_f64 v[6:7], v[12:13], v[6:7], -v[74:75]
	ds_load_b128 v[12:15], v1 offset:1216
	v_add_f64 v[51:52], v[51:52], v[62:63]
	v_add_f64 v[36:37], v[36:37], v[55:56]
	scratch_load_b128 v[60:63], off, off offset:336
	v_fma_f64 v[68:69], v[44:45], v[58:59], v[68:69]
	v_fma_f64 v[58:59], v[42:43], v[58:59], -v[70:71]
	scratch_load_b128 v[42:45], off, off offset:352
	s_waitcnt vmcnt(9) lgkmcnt(0)
	v_mul_f64 v[55:56], v[12:13], v[48:49]
	v_mul_f64 v[48:49], v[14:15], v[48:49]
	v_add_f64 v[6:7], v[51:52], v[6:7]
	v_add_f64 v[36:37], v[36:37], v[72:73]
	s_waitcnt vmcnt(8)
	v_mul_f64 v[51:52], v[64:65], v[40:41]
	v_mul_f64 v[40:41], v[66:67], v[40:41]
	v_fma_f64 v[55:56], v[14:15], v[46:47], v[55:56]
	v_fma_f64 v[72:73], v[12:13], v[46:47], -v[48:49]
	ds_load_b128 v[12:15], v1 offset:1248
	scratch_load_b128 v[46:49], off, off offset:368
	v_add_f64 v[6:7], v[6:7], v[58:59]
	v_add_f64 v[36:37], v[36:37], v[68:69]
	ds_load_b128 v[68:71], v1 offset:1264
	s_waitcnt vmcnt(8) lgkmcnt(1)
	v_mul_f64 v[58:59], v[12:13], v[34:35]
	v_mul_f64 v[74:75], v[14:15], v[34:35]
	v_fma_f64 v[51:52], v[66:67], v[38:39], v[51:52]
	v_fma_f64 v[38:39], v[64:65], v[38:39], -v[40:41]
	ds_load_b128 v[64:67], v1 offset:1296
	v_add_f64 v[6:7], v[6:7], v[72:73]
	v_add_f64 v[40:41], v[36:37], v[55:56]
	scratch_load_b128 v[34:37], off, off offset:384
	s_waitcnt vmcnt(8) lgkmcnt(1)
	v_mul_f64 v[55:56], v[68:69], v[26:27]
	v_mul_f64 v[26:27], v[70:71], v[26:27]
	v_fma_f64 v[58:59], v[14:15], v[32:33], v[58:59]
	v_fma_f64 v[32:33], v[12:13], v[32:33], -v[74:75]
	ds_load_b128 v[12:15], v1 offset:1280
	s_waitcnt vmcnt(7) lgkmcnt(0)
	v_mul_f64 v[72:73], v[12:13], v[30:31]
	v_mul_f64 v[30:31], v[14:15], v[30:31]
	v_add_f64 v[6:7], v[6:7], v[38:39]
	v_add_f64 v[51:52], v[40:41], v[51:52]
	scratch_load_b128 v[38:41], off, off offset:400
	v_fma_f64 v[55:56], v[70:71], v[24:25], v[55:56]
	v_fma_f64 v[68:69], v[68:69], v[24:25], -v[26:27]
	scratch_load_b128 v[24:27], off, off offset:416
	v_add_f64 v[6:7], v[6:7], v[32:33]
	v_add_f64 v[32:33], v[51:52], v[58:59]
	s_waitcnt vmcnt(8)
	v_mul_f64 v[51:52], v[64:65], v[18:19]
	v_mul_f64 v[18:19], v[66:67], v[18:19]
	v_fma_f64 v[58:59], v[14:15], v[28:29], v[72:73]
	v_fma_f64 v[72:73], v[12:13], v[28:29], -v[30:31]
	ds_load_b128 v[12:15], v1 offset:1312
	scratch_load_b128 v[28:31], off, off offset:432
	v_add_f64 v[6:7], v[6:7], v[68:69]
	v_add_f64 v[32:33], v[32:33], v[55:56]
	ds_load_b128 v[68:71], v1 offset:1328
	s_waitcnt vmcnt(8) lgkmcnt(1)
	v_mul_f64 v[55:56], v[12:13], v[22:23]
	v_mul_f64 v[22:23], v[14:15], v[22:23]
	v_fma_f64 v[51:52], v[66:67], v[16:17], v[51:52]
	v_fma_f64 v[64:65], v[64:65], v[16:17], -v[18:19]
	scratch_load_b128 v[16:19], off, off offset:448
	v_add_f64 v[6:7], v[6:7], v[72:73]
	v_add_f64 v[32:33], v[32:33], v[58:59]
	s_waitcnt vmcnt(8) lgkmcnt(0)
	v_mul_f64 v[58:59], v[68:69], v[10:11]
	v_mul_f64 v[72:73], v[70:71], v[10:11]
	v_fma_f64 v[14:15], v[14:15], v[20:21], v[55:56]
	v_fma_f64 v[55:56], v[12:13], v[20:21], -v[22:23]
	ds_load_b128 v[10:13], v1 offset:1344
	scratch_load_b128 v[20:23], off, off offset:464
	v_add_f64 v[6:7], v[6:7], v[64:65]
	v_add_f64 v[32:33], v[32:33], v[51:52]
	ds_load_b128 v[64:67], v1 offset:1360
	v_fma_f64 v[58:59], v[70:71], v[8:9], v[58:59]
	v_fma_f64 v[68:69], v[68:69], v[8:9], -v[72:73]
	s_waitcnt vmcnt(8) lgkmcnt(1)
	v_mul_f64 v[51:52], v[10:11], v[62:63]
	v_mul_f64 v[62:63], v[12:13], v[62:63]
	v_add_f64 v[55:56], v[6:7], v[55:56]
	scratch_load_b128 v[6:9], off, off offset:480
	v_add_f64 v[14:15], v[32:33], v[14:15]
	s_waitcnt vmcnt(8) lgkmcnt(0)
	v_mul_f64 v[32:33], v[64:65], v[44:45]
	v_mul_f64 v[44:45], v[66:67], v[44:45]
	v_fma_f64 v[51:52], v[12:13], v[60:61], v[51:52]
	v_fma_f64 v[62:63], v[10:11], v[60:61], -v[62:63]
	ds_load_b128 v[10:13], v1 offset:1376
	v_add_f64 v[55:56], v[55:56], v[68:69]
	ds_load_b128 v[68:71], v1 offset:1392
	v_add_f64 v[14:15], v[14:15], v[58:59]
	scratch_load_b128 v[58:61], off, off offset:496
	s_waitcnt vmcnt(8) lgkmcnt(1)
	v_mul_f64 v[72:73], v[10:11], v[48:49]
	v_mul_f64 v[48:49], v[12:13], v[48:49]
	v_fma_f64 v[32:33], v[66:67], v[42:43], v[32:33]
	v_fma_f64 v[64:65], v[64:65], v[42:43], -v[44:45]
	scratch_load_b128 v[42:45], off, off offset:512
	v_add_f64 v[55:56], v[55:56], v[62:63]
	v_add_f64 v[14:15], v[14:15], v[51:52]
	v_fma_f64 v[66:67], v[12:13], v[46:47], v[72:73]
	v_fma_f64 v[72:73], v[10:11], v[46:47], -v[48:49]
	ds_load_b128 v[10:13], v1 offset:1408
	scratch_load_b128 v[46:49], off, off offset:528
	s_waitcnt vmcnt(9) lgkmcnt(1)
	v_mul_f64 v[51:52], v[68:69], v[36:37]
	v_mul_f64 v[36:37], v[70:71], v[36:37]
	v_add_f64 v[55:56], v[55:56], v[64:65]
	ds_load_b128 v[62:65], v1 offset:1424
	v_add_f64 v[14:15], v[14:15], v[32:33]
	s_waitcnt vmcnt(8) lgkmcnt(1)
	v_mul_f64 v[74:75], v[10:11], v[40:41]
	v_mul_f64 v[40:41], v[12:13], v[40:41]
	v_fma_f64 v[51:52], v[70:71], v[34:35], v[51:52]
	v_fma_f64 v[36:37], v[68:69], v[34:35], -v[36:37]
	scratch_load_b128 v[32:35], off, off offset:544
	s_waitcnt vmcnt(8) lgkmcnt(0)
	v_mul_f64 v[70:71], v[62:63], v[26:27]
	v_mul_f64 v[26:27], v[64:65], v[26:27]
	v_add_f64 v[55:56], v[55:56], v[72:73]
	v_add_f64 v[14:15], v[14:15], v[66:67]
	ds_load_b128 v[66:69], v1 offset:1456
	v_fma_f64 v[72:73], v[12:13], v[38:39], v[74:75]
	v_fma_f64 v[40:41], v[10:11], v[38:39], -v[40:41]
	ds_load_b128 v[10:13], v1 offset:1440
	v_fma_f64 v[64:65], v[64:65], v[24:25], v[70:71]
	v_fma_f64 v[62:63], v[62:63], v[24:25], -v[26:27]
	scratch_load_b128 v[24:27], off, off offset:576
	v_add_f64 v[55:56], v[55:56], v[36:37]
	scratch_load_b128 v[36:39], off, off offset:560
	v_add_f64 v[14:15], v[14:15], v[51:52]
	s_waitcnt vmcnt(9) lgkmcnt(0)
	v_mul_f64 v[51:52], v[10:11], v[30:31]
	v_mul_f64 v[30:31], v[12:13], v[30:31]
	v_add_f64 v[40:41], v[55:56], v[40:41]
	s_waitcnt vmcnt(8)
	v_mul_f64 v[55:56], v[66:67], v[18:19]
	v_add_f64 v[14:15], v[14:15], v[72:73]
	v_mul_f64 v[18:19], v[68:69], v[18:19]
	v_fma_f64 v[51:52], v[12:13], v[28:29], v[51:52]
	v_fma_f64 v[70:71], v[10:11], v[28:29], -v[30:31]
	ds_load_b128 v[10:13], v1 offset:1472
	scratch_load_b128 v[28:31], off, off offset:592
	v_add_f64 v[40:41], v[40:41], v[62:63]
	v_fma_f64 v[55:56], v[68:69], v[16:17], v[55:56]
	v_add_f64 v[14:15], v[14:15], v[64:65]
	ds_load_b128 v[62:65], v1 offset:1488
	s_waitcnt vmcnt(8) lgkmcnt(1)
	v_mul_f64 v[72:73], v[10:11], v[22:23]
	v_mul_f64 v[22:23], v[12:13], v[22:23]
	v_fma_f64 v[18:19], v[66:67], v[16:17], -v[18:19]
	ds_load_b128 v[66:69], v1 offset:1520
	v_add_f64 v[40:41], v[40:41], v[70:71]
	v_add_f64 v[51:52], v[14:15], v[51:52]
	scratch_load_b128 v[14:17], off, off offset:608
	v_fma_f64 v[12:13], v[12:13], v[20:21], v[72:73]
	v_fma_f64 v[22:23], v[10:11], v[20:21], -v[22:23]
	s_waitcnt vmcnt(8) lgkmcnt(1)
	v_mul_f64 v[70:71], v[62:63], v[8:9]
	v_mul_f64 v[74:75], v[64:65], v[8:9]
	ds_load_b128 v[8:11], v1 offset:1504
	v_add_f64 v[40:41], v[40:41], v[18:19]
	scratch_load_b128 v[18:21], off, off offset:624
	v_add_f64 v[51:52], v[51:52], v[55:56]
	v_fma_f64 v[64:65], v[64:65], v[6:7], v[70:71]
	v_fma_f64 v[6:7], v[62:63], v[6:7], -v[74:75]
	s_waitcnt vmcnt(8) lgkmcnt(0)
	v_mul_f64 v[55:56], v[8:9], v[60:61]
	v_mul_f64 v[72:73], v[10:11], v[60:61]
	scratch_load_b128 v[60:63], off, off offset:640
	v_add_f64 v[22:23], v[40:41], v[22:23]
	s_waitcnt vmcnt(8)
	v_mul_f64 v[40:41], v[66:67], v[44:45]
	v_add_f64 v[12:13], v[51:52], v[12:13]
	v_mul_f64 v[44:45], v[68:69], v[44:45]
	v_fma_f64 v[51:52], v[10:11], v[58:59], v[55:56]
	v_fma_f64 v[55:56], v[8:9], v[58:59], -v[72:73]
	ds_load_b128 v[70:73], v1 offset:1552
	v_add_f64 v[22:23], v[22:23], v[6:7]
	ds_load_b128 v[6:9], v1 offset:1536
	v_add_f64 v[58:59], v[12:13], v[64:65]
	scratch_load_b128 v[10:13], off, off offset:656
	v_fma_f64 v[68:69], v[68:69], v[42:43], v[40:41]
	v_fma_f64 v[44:45], v[66:67], v[42:43], -v[44:45]
	scratch_load_b128 v[40:43], off, off offset:672
	s_waitcnt vmcnt(9) lgkmcnt(0)
	v_mul_f64 v[64:65], v[6:7], v[48:49]
	v_mul_f64 v[48:49], v[8:9], v[48:49]
	v_add_f64 v[22:23], v[22:23], v[55:56]
	s_waitcnt vmcnt(8)
	v_mul_f64 v[55:56], v[70:71], v[34:35]
	v_add_f64 v[51:52], v[58:59], v[51:52]
	v_mul_f64 v[34:35], v[72:73], v[34:35]
	v_fma_f64 v[58:59], v[8:9], v[46:47], v[64:65]
	v_fma_f64 v[48:49], v[6:7], v[46:47], -v[48:49]
	ds_load_b128 v[6:9], v1 offset:1568
	ds_load_b128 v[64:67], v1 offset:1584
	v_add_f64 v[22:23], v[22:23], v[44:45]
	scratch_load_b128 v[44:47], off, off offset:688
	v_add_f64 v[51:52], v[51:52], v[68:69]
	v_fma_f64 v[55:56], v[72:73], v[32:33], v[55:56]
	v_fma_f64 v[70:71], v[70:71], v[32:33], -v[34:35]
	scratch_load_b128 v[32:35], off, off offset:704
	s_waitcnt vmcnt(8) lgkmcnt(1)
	v_mul_f64 v[68:69], v[6:7], v[38:39]
	v_mul_f64 v[38:39], v[8:9], v[38:39]
	v_add_f64 v[22:23], v[22:23], v[48:49]
	v_add_f64 v[48:49], v[51:52], v[58:59]
	s_waitcnt lgkmcnt(0)
	v_mul_f64 v[51:52], v[64:65], v[26:27]
	v_mul_f64 v[26:27], v[66:67], v[26:27]
	v_fma_f64 v[58:59], v[8:9], v[36:37], v[68:69]
	v_fma_f64 v[72:73], v[6:7], v[36:37], -v[38:39]
	ds_load_b128 v[6:9], v1 offset:1600
	scratch_load_b128 v[36:39], off, off offset:720
	v_add_f64 v[22:23], v[22:23], v[70:71]
	ds_load_b128 v[68:71], v1 offset:1616
	v_add_f64 v[48:49], v[48:49], v[55:56]
	s_waitcnt vmcnt(8) lgkmcnt(1)
	v_mul_f64 v[55:56], v[6:7], v[30:31]
	v_mul_f64 v[30:31], v[8:9], v[30:31]
	v_fma_f64 v[51:52], v[66:67], v[24:25], v[51:52]
	v_fma_f64 v[26:27], v[64:65], v[24:25], -v[26:27]
	v_add_f64 v[64:65], v[22:23], v[72:73]
	scratch_load_b128 v[22:25], off, off offset:736
	v_add_f64 v[48:49], v[48:49], v[58:59]
	v_fma_f64 v[55:56], v[8:9], v[28:29], v[55:56]
	v_fma_f64 v[30:31], v[6:7], v[28:29], -v[30:31]
	ds_load_b128 v[6:9], v1 offset:1632
	s_waitcnt vmcnt(8) lgkmcnt(1)
	v_mul_f64 v[58:59], v[68:69], v[16:17]
	v_mul_f64 v[16:17], v[70:71], v[16:17]
	v_add_f64 v[72:73], v[64:65], v[26:27]
	ds_load_b128 v[64:67], v1 offset:1648
	v_add_f64 v[48:49], v[48:49], v[51:52]
	scratch_load_b128 v[26:29], off, off offset:752
	s_waitcnt vmcnt(8) lgkmcnt(1)
	v_mul_f64 v[51:52], v[6:7], v[20:21]
	v_mul_f64 v[20:21], v[8:9], v[20:21]
	v_fma_f64 v[58:59], v[70:71], v[14:15], v[58:59]
	v_fma_f64 v[68:69], v[68:69], v[14:15], -v[16:17]
	scratch_load_b128 v[14:17], off, off offset:768
	v_add_f64 v[30:31], v[72:73], v[30:31]
	v_add_f64 v[48:49], v[48:49], v[55:56]
	s_waitcnt vmcnt(8) lgkmcnt(0)
	v_mul_f64 v[55:56], v[64:65], v[62:63]
	v_mul_f64 v[62:63], v[66:67], v[62:63]
	v_fma_f64 v[51:52], v[8:9], v[18:19], v[51:52]
	v_fma_f64 v[72:73], v[6:7], v[18:19], -v[20:21]
	ds_load_b128 v[6:9], v1 offset:1664
	scratch_load_b128 v[18:21], off, off offset:784
	v_add_f64 v[30:31], v[30:31], v[68:69]
	ds_load_b128 v[68:71], v1 offset:1680
	v_add_f64 v[48:49], v[48:49], v[58:59]
	v_fma_f64 v[55:56], v[66:67], v[60:61], v[55:56]
	v_fma_f64 v[62:63], v[64:65], v[60:61], -v[62:63]
	scratch_load_b128 v[58:61], off, off offset:800
	s_waitcnt vmcnt(9) lgkmcnt(1)
	v_mul_f64 v[74:75], v[6:7], v[12:13]
	v_mul_f64 v[12:13], v[8:9], v[12:13]
	v_add_f64 v[30:31], v[30:31], v[72:73]
	v_add_f64 v[48:49], v[48:49], v[51:52]
	s_waitcnt vmcnt(8) lgkmcnt(0)
	v_mul_f64 v[51:52], v[68:69], v[42:43]
	v_mul_f64 v[42:43], v[70:71], v[42:43]
	v_fma_f64 v[66:67], v[8:9], v[10:11], v[74:75]
	v_fma_f64 v[72:73], v[6:7], v[10:11], -v[12:13]
	ds_load_b128 v[6:9], v1 offset:1696
	scratch_load_b128 v[10:13], off, off offset:816
	v_add_f64 v[30:31], v[30:31], v[62:63]
	ds_load_b128 v[62:65], v1 offset:1712
	v_add_f64 v[48:49], v[48:49], v[55:56]
	v_fma_f64 v[51:52], v[70:71], v[40:41], v[51:52]
	v_fma_f64 v[68:69], v[68:69], v[40:41], -v[42:43]
	scratch_load_b128 v[40:43], off, off offset:832
	s_waitcnt vmcnt(9) lgkmcnt(1)
	v_mul_f64 v[55:56], v[6:7], v[46:47]
	v_mul_f64 v[46:47], v[8:9], v[46:47]
	s_waitcnt vmcnt(8) lgkmcnt(0)
	v_mul_f64 v[70:71], v[62:63], v[34:35]
	v_mul_f64 v[34:35], v[64:65], v[34:35]
	v_add_f64 v[30:31], v[30:31], v[72:73]
	v_add_f64 v[48:49], v[48:49], v[66:67]
	v_fma_f64 v[55:56], v[8:9], v[44:45], v[55:56]
	v_fma_f64 v[72:73], v[6:7], v[44:45], -v[46:47]
	ds_load_b128 v[6:9], v1 offset:1728
	scratch_load_b128 v[44:47], off, off offset:848
	v_fma_f64 v[64:65], v[64:65], v[32:33], v[70:71]
	v_fma_f64 v[34:35], v[62:63], v[32:33], -v[34:35]
	v_add_f64 v[30:31], v[30:31], v[68:69]
	ds_load_b128 v[66:69], v1 offset:1744
	v_add_f64 v[48:49], v[48:49], v[51:52]
	s_waitcnt vmcnt(8) lgkmcnt(1)
	v_mul_f64 v[51:52], v[6:7], v[38:39]
	v_mul_f64 v[38:39], v[8:9], v[38:39]
	v_add_f64 v[62:63], v[30:31], v[72:73]
	scratch_load_b128 v[30:33], off, off offset:864
	v_add_f64 v[48:49], v[48:49], v[55:56]
	v_fma_f64 v[51:52], v[8:9], v[36:37], v[51:52]
	v_fma_f64 v[38:39], v[6:7], v[36:37], -v[38:39]
	ds_load_b128 v[6:9], v1 offset:1760
	s_waitcnt vmcnt(8) lgkmcnt(1)
	v_mul_f64 v[55:56], v[66:67], v[24:25]
	v_mul_f64 v[24:25], v[68:69], v[24:25]
	v_add_f64 v[70:71], v[62:63], v[34:35]
	scratch_load_b128 v[34:37], off, off offset:880
	v_add_f64 v[48:49], v[48:49], v[64:65]
	ds_load_b128 v[62:65], v1 offset:1776
	v_fma_f64 v[55:56], v[68:69], v[22:23], v[55:56]
	v_fma_f64 v[66:67], v[66:67], v[22:23], -v[24:25]
	scratch_load_b128 v[22:25], off, off offset:896
	s_waitcnt vmcnt(9) lgkmcnt(1)
	v_mul_f64 v[72:73], v[6:7], v[28:29]
	v_mul_f64 v[28:29], v[8:9], v[28:29]
	v_add_f64 v[38:39], v[70:71], v[38:39]
	v_add_f64 v[48:49], v[48:49], v[51:52]
	s_waitcnt vmcnt(8) lgkmcnt(0)
	v_mul_f64 v[51:52], v[62:63], v[16:17]
	v_mul_f64 v[16:17], v[64:65], v[16:17]
	v_fma_f64 v[70:71], v[8:9], v[26:27], v[72:73]
	v_fma_f64 v[72:73], v[6:7], v[26:27], -v[28:29]
	ds_load_b128 v[6:9], v1 offset:1792
	scratch_load_b128 v[26:29], off, off offset:912
	v_add_f64 v[38:39], v[38:39], v[66:67]
	ds_load_b128 v[66:69], v1 offset:1808
	v_add_f64 v[48:49], v[48:49], v[55:56]
	v_fma_f64 v[51:52], v[64:65], v[14:15], v[51:52]
	s_waitcnt vmcnt(8) lgkmcnt(1)
	v_mul_f64 v[55:56], v[6:7], v[20:21]
	v_mul_f64 v[20:21], v[8:9], v[20:21]
	v_fma_f64 v[62:63], v[62:63], v[14:15], -v[16:17]
	scratch_load_b128 v[14:17], off, off offset:928
	s_waitcnt vmcnt(8) lgkmcnt(0)
	v_mul_f64 v[64:65], v[66:67], v[60:61]
	v_add_f64 v[38:39], v[38:39], v[72:73]
	v_add_f64 v[48:49], v[48:49], v[70:71]
	v_mul_f64 v[70:71], v[68:69], v[60:61]
	v_fma_f64 v[55:56], v[8:9], v[18:19], v[55:56]
	v_fma_f64 v[72:73], v[6:7], v[18:19], -v[20:21]
	ds_load_b128 v[6:9], v1 offset:1824
	scratch_load_b128 v[18:21], off, off offset:944
	v_fma_f64 v[68:69], v[68:69], v[58:59], v[64:65]
	v_add_f64 v[38:39], v[38:39], v[62:63]
	ds_load_b128 v[60:63], v1 offset:1840
	v_add_f64 v[48:49], v[48:49], v[51:52]
	s_waitcnt vmcnt(8) lgkmcnt(1)
	v_mul_f64 v[51:52], v[6:7], v[12:13]
	v_mul_f64 v[12:13], v[8:9], v[12:13]
	v_fma_f64 v[58:59], v[66:67], v[58:59], -v[70:71]
	scratch_load_b128 v[64:67], off, off offset:960
	v_add_f64 v[38:39], v[38:39], v[72:73]
	v_add_f64 v[48:49], v[48:49], v[55:56]
	s_waitcnt vmcnt(8) lgkmcnt(0)
	v_mul_f64 v[55:56], v[60:61], v[42:43]
	v_mul_f64 v[42:43], v[62:63], v[42:43]
	v_fma_f64 v[51:52], v[8:9], v[10:11], v[51:52]
	v_fma_f64 v[72:73], v[6:7], v[10:11], -v[12:13]
	ds_load_b128 v[6:9], v1 offset:1856
	scratch_load_b128 v[10:13], off, off offset:976
	v_add_f64 v[38:39], v[38:39], v[58:59]
	v_add_f64 v[48:49], v[48:49], v[68:69]
	ds_load_b128 v[68:71], v1 offset:1872
	s_waitcnt vmcnt(8) lgkmcnt(1)
	v_mul_f64 v[58:59], v[6:7], v[46:47]
	v_mul_f64 v[46:47], v[8:9], v[46:47]
	v_fma_f64 v[55:56], v[62:63], v[40:41], v[55:56]
	v_fma_f64 v[42:43], v[60:61], v[40:41], -v[42:43]
	v_add_f64 v[60:61], v[38:39], v[72:73]
	scratch_load_b128 v[38:41], off, off offset:992
	v_add_f64 v[48:49], v[48:49], v[51:52]
	v_fma_f64 v[58:59], v[8:9], v[44:45], v[58:59]
	v_fma_f64 v[46:47], v[6:7], v[44:45], -v[46:47]
	s_waitcnt vmcnt(8) lgkmcnt(0)
	v_mul_f64 v[51:52], v[68:69], v[32:33]
	v_mul_f64 v[32:33], v[70:71], v[32:33]
	v_add_f64 v[60:61], v[60:61], v[42:43]
	ds_load_b128 v[6:9], v1 offset:1888
	ds_load_b128 v[42:45], v1 offset:1904
	v_add_f64 v[48:49], v[48:49], v[55:56]
	v_fma_f64 v[51:52], v[70:71], v[30:31], v[51:52]
	v_fma_f64 v[30:31], v[68:69], v[30:31], -v[32:33]
	s_waitcnt vmcnt(7) lgkmcnt(1)
	v_mul_f64 v[55:56], v[6:7], v[36:37]
	v_mul_f64 v[36:37], v[8:9], v[36:37]
	v_add_f64 v[32:33], v[60:61], v[46:47]
	v_add_f64 v[46:47], v[48:49], v[58:59]
	s_waitcnt vmcnt(6) lgkmcnt(0)
	v_mul_f64 v[48:49], v[42:43], v[24:25]
	v_mul_f64 v[24:25], v[44:45], v[24:25]
	v_fma_f64 v[55:56], v[8:9], v[34:35], v[55:56]
	v_fma_f64 v[34:35], v[6:7], v[34:35], -v[36:37]
	v_add_f64 v[36:37], v[32:33], v[30:31]
	ds_load_b128 v[6:9], v1 offset:1920
	ds_load_b128 v[30:33], v1 offset:1936
	v_add_f64 v[46:47], v[46:47], v[51:52]
	v_fma_f64 v[44:45], v[44:45], v[22:23], v[48:49]
	v_fma_f64 v[22:23], v[42:43], v[22:23], -v[24:25]
	s_waitcnt vmcnt(5) lgkmcnt(1)
	v_mul_f64 v[51:52], v[6:7], v[28:29]
	v_mul_f64 v[28:29], v[8:9], v[28:29]
	v_add_f64 v[24:25], v[36:37], v[34:35]
	s_waitcnt vmcnt(4) lgkmcnt(0)
	v_mul_f64 v[36:37], v[30:31], v[16:17]
	v_add_f64 v[34:35], v[46:47], v[55:56]
	v_mul_f64 v[16:17], v[32:33], v[16:17]
	v_fma_f64 v[42:43], v[8:9], v[26:27], v[51:52]
	v_fma_f64 v[26:27], v[6:7], v[26:27], -v[28:29]
	v_add_f64 v[28:29], v[24:25], v[22:23]
	ds_load_b128 v[6:9], v1 offset:1952
	ds_load_b128 v[22:25], v1 offset:1968
	v_add_f64 v[34:35], v[34:35], v[44:45]
	v_fma_f64 v[32:33], v[32:33], v[14:15], v[36:37]
	v_fma_f64 v[14:15], v[30:31], v[14:15], -v[16:17]
	s_waitcnt vmcnt(3) lgkmcnt(1)
	v_mul_f64 v[44:45], v[6:7], v[20:21]
	v_mul_f64 v[20:21], v[8:9], v[20:21]
	s_waitcnt vmcnt(2) lgkmcnt(0)
	v_mul_f64 v[30:31], v[24:25], v[66:67]
	v_add_f64 v[16:17], v[28:29], v[26:27]
	v_mul_f64 v[28:29], v[22:23], v[66:67]
	v_add_f64 v[26:27], v[34:35], v[42:43]
	v_fma_f64 v[34:35], v[8:9], v[18:19], v[44:45]
	v_fma_f64 v[18:19], v[6:7], v[18:19], -v[20:21]
	v_fma_f64 v[22:23], v[22:23], v[64:65], -v[30:31]
	v_add_f64 v[20:21], v[16:17], v[14:15]
	ds_load_b128 v[6:9], v1 offset:1984
	ds_load_b128 v[14:17], v1 offset:2000
	v_add_f64 v[26:27], v[26:27], v[32:33]
	v_fma_f64 v[24:25], v[24:25], v[64:65], v[28:29]
	s_waitcnt vmcnt(1) lgkmcnt(1)
	v_mul_f64 v[32:33], v[6:7], v[12:13]
	v_mul_f64 v[12:13], v[8:9], v[12:13]
	v_add_f64 v[18:19], v[20:21], v[18:19]
	v_add_f64 v[20:21], v[26:27], v[34:35]
	s_waitcnt vmcnt(0) lgkmcnt(0)
	v_mul_f64 v[26:27], v[14:15], v[40:41]
	v_mul_f64 v[28:29], v[16:17], v[40:41]
	v_fma_f64 v[8:9], v[8:9], v[10:11], v[32:33]
	v_fma_f64 v[6:7], v[6:7], v[10:11], -v[12:13]
	v_add_f64 v[10:11], v[18:19], v[22:23]
	v_add_f64 v[12:13], v[20:21], v[24:25]
	v_fma_f64 v[16:17], v[16:17], v[38:39], v[26:27]
	v_fma_f64 v[14:15], v[14:15], v[38:39], -v[28:29]
	s_delay_alu instid0(VALU_DEP_4) | instskip(NEXT) | instid1(VALU_DEP_4)
	v_add_f64 v[6:7], v[10:11], v[6:7]
	v_add_f64 v[8:9], v[12:13], v[8:9]
	s_delay_alu instid0(VALU_DEP_2) | instskip(NEXT) | instid1(VALU_DEP_2)
	v_add_f64 v[6:7], v[6:7], v[14:15]
	v_add_f64 v[8:9], v[8:9], v[16:17]
	s_delay_alu instid0(VALU_DEP_2) | instskip(NEXT) | instid1(VALU_DEP_2)
	v_add_f64 v[1:2], v[2:3], -v[6:7]
	v_add_f64 v[3:4], v[4:5], -v[8:9]
	scratch_store_b128 off, v[1:4], off offset:32
	v_cmpx_lt_u32_e32 1, v179
	s_cbranch_execz .LBB126_401
; %bb.400:
	scratch_load_b128 v[1:4], v237, off
	v_mov_b32_e32 v5, 0
	s_delay_alu instid0(VALU_DEP_1)
	v_mov_b32_e32 v6, v5
	v_mov_b32_e32 v7, v5
	;; [unrolled: 1-line block ×3, first 2 shown]
	scratch_store_b128 off, v[5:8], off offset:16
	s_waitcnt vmcnt(0)
	ds_store_b128 v244, v[1:4]
.LBB126_401:
	s_or_b32 exec_lo, exec_lo, s2
	s_waitcnt lgkmcnt(0)
	s_waitcnt_vscnt null, 0x0
	s_barrier
	buffer_gl0_inv
	s_clause 0x7
	scratch_load_b128 v[34:37], off, off offset:32
	scratch_load_b128 v[38:41], off, off offset:48
	;; [unrolled: 1-line block ×8, first 2 shown]
	v_mov_b32_e32 v1, 0
	s_mov_b32 s2, exec_lo
	ds_load_b128 v[46:49], v1 offset:1040
	s_clause 0x1
	scratch_load_b128 v[14:17], off, off offset:160
	scratch_load_b128 v[2:5], off, off offset:16
	ds_load_b128 v[42:45], v1 offset:1056
	scratch_load_b128 v[58:61], off, off offset:176
	ds_load_b128 v[62:65], v1 offset:1088
	s_waitcnt vmcnt(10) lgkmcnt(2)
	v_mul_f64 v[51:52], v[48:49], v[36:37]
	v_mul_f64 v[36:37], v[46:47], v[36:37]
	s_delay_alu instid0(VALU_DEP_2) | instskip(NEXT) | instid1(VALU_DEP_2)
	v_fma_f64 v[51:52], v[46:47], v[34:35], -v[51:52]
	v_fma_f64 v[66:67], v[48:49], v[34:35], v[36:37]
	ds_load_b128 v[34:37], v1 offset:1072
	s_waitcnt vmcnt(9) lgkmcnt(2)
	v_mul_f64 v[55:56], v[42:43], v[40:41]
	v_mul_f64 v[40:41], v[44:45], v[40:41]
	scratch_load_b128 v[46:49], off, off offset:192
	s_waitcnt vmcnt(9) lgkmcnt(0)
	v_mul_f64 v[68:69], v[34:35], v[32:33]
	v_mul_f64 v[32:33], v[36:37], v[32:33]
	v_add_f64 v[51:52], v[51:52], 0
	v_fma_f64 v[44:45], v[44:45], v[38:39], v[55:56]
	v_fma_f64 v[42:43], v[42:43], v[38:39], -v[40:41]
	v_add_f64 v[55:56], v[66:67], 0
	scratch_load_b128 v[38:41], off, off offset:208
	v_fma_f64 v[36:37], v[36:37], v[30:31], v[68:69]
	v_fma_f64 v[68:69], v[34:35], v[30:31], -v[32:33]
	scratch_load_b128 v[32:35], off, off offset:224
	v_add_f64 v[51:52], v[51:52], v[42:43]
	v_add_f64 v[55:56], v[55:56], v[44:45]
	ds_load_b128 v[42:45], v1 offset:1120
	s_waitcnt vmcnt(10)
	v_mul_f64 v[66:67], v[62:63], v[28:29]
	v_mul_f64 v[70:71], v[64:65], v[28:29]
	ds_load_b128 v[28:31], v1 offset:1104
	v_add_f64 v[51:52], v[51:52], v[68:69]
	v_add_f64 v[36:37], v[55:56], v[36:37]
	s_waitcnt vmcnt(8) lgkmcnt(1)
	v_mul_f64 v[55:56], v[42:43], v[20:21]
	v_fma_f64 v[64:65], v[64:65], v[26:27], v[66:67]
	v_fma_f64 v[62:63], v[62:63], v[26:27], -v[70:71]
	v_mul_f64 v[66:67], v[44:45], v[20:21]
	s_delay_alu instid0(VALU_DEP_4) | instskip(NEXT) | instid1(VALU_DEP_4)
	v_fma_f64 v[55:56], v[44:45], v[18:19], v[55:56]
	v_add_f64 v[36:37], v[36:37], v[64:65]
	s_delay_alu instid0(VALU_DEP_4)
	v_add_f64 v[51:52], v[51:52], v[62:63]
	ds_load_b128 v[62:65], v1 offset:1152
	s_waitcnt lgkmcnt(1)
	v_mul_f64 v[72:73], v[28:29], v[24:25]
	v_mul_f64 v[74:75], v[30:31], v[24:25]
	scratch_load_b128 v[24:27], off, off offset:240
	v_fma_f64 v[18:19], v[42:43], v[18:19], -v[66:67]
	scratch_load_b128 v[42:45], off, off offset:272
	v_fma_f64 v[68:69], v[30:31], v[22:23], v[72:73]
	v_fma_f64 v[70:71], v[28:29], v[22:23], -v[74:75]
	ds_load_b128 v[20:23], v1 offset:1136
	scratch_load_b128 v[28:31], off, off offset:256
	s_waitcnt vmcnt(9) lgkmcnt(1)
	v_mul_f64 v[74:75], v[64:65], v[8:9]
	v_add_f64 v[36:37], v[36:37], v[68:69]
	ds_load_b128 v[66:69], v1 offset:1184
	s_waitcnt lgkmcnt(1)
	v_mul_f64 v[72:73], v[20:21], v[12:13]
	v_mul_f64 v[12:13], v[22:23], v[12:13]
	v_add_f64 v[51:52], v[51:52], v[70:71]
	v_mul_f64 v[70:71], v[62:63], v[8:9]
	v_add_f64 v[36:37], v[36:37], v[55:56]
	v_fma_f64 v[22:23], v[22:23], v[10:11], v[72:73]
	v_fma_f64 v[12:13], v[20:21], v[10:11], -v[12:13]
	v_add_f64 v[51:52], v[51:52], v[18:19]
	ds_load_b128 v[8:11], v1 offset:1168
	scratch_load_b128 v[18:21], off, off offset:288
	v_fma_f64 v[70:71], v[64:65], v[6:7], v[70:71]
	v_fma_f64 v[6:7], v[62:63], v[6:7], -v[74:75]
	scratch_load_b128 v[62:65], off, off offset:304
	s_waitcnt vmcnt(10) lgkmcnt(0)
	v_mul_f64 v[55:56], v[8:9], v[16:17]
	v_mul_f64 v[16:17], v[10:11], v[16:17]
	v_add_f64 v[22:23], v[36:37], v[22:23]
	s_waitcnt vmcnt(8)
	v_mul_f64 v[36:37], v[66:67], v[60:61]
	v_add_f64 v[12:13], v[51:52], v[12:13]
	v_mul_f64 v[51:52], v[68:69], v[60:61]
	v_fma_f64 v[55:56], v[10:11], v[14:15], v[55:56]
	v_fma_f64 v[60:61], v[8:9], v[14:15], -v[16:17]
	ds_load_b128 v[14:17], v1 offset:1216
	v_add_f64 v[22:23], v[22:23], v[70:71]
	v_fma_f64 v[36:37], v[68:69], v[58:59], v[36:37]
	v_add_f64 v[72:73], v[12:13], v[6:7]
	scratch_load_b128 v[10:13], off, off offset:320
	ds_load_b128 v[6:9], v1 offset:1200
	v_fma_f64 v[51:52], v[66:67], v[58:59], -v[51:52]
	s_waitcnt vmcnt(8) lgkmcnt(0)
	v_mul_f64 v[70:71], v[6:7], v[48:49]
	v_mul_f64 v[48:49], v[8:9], v[48:49]
	v_add_f64 v[22:23], v[22:23], v[55:56]
	s_waitcnt vmcnt(7)
	v_mul_f64 v[55:56], v[14:15], v[40:41]
	v_add_f64 v[66:67], v[72:73], v[60:61]
	scratch_load_b128 v[58:61], off, off offset:336
	v_mul_f64 v[40:41], v[16:17], v[40:41]
	v_fma_f64 v[70:71], v[8:9], v[46:47], v[70:71]
	v_fma_f64 v[72:73], v[6:7], v[46:47], -v[48:49]
	scratch_load_b128 v[46:49], off, off offset:352
	ds_load_b128 v[6:9], v1 offset:1232
	v_add_f64 v[22:23], v[22:23], v[36:37]
	v_fma_f64 v[55:56], v[16:17], v[38:39], v[55:56]
	v_add_f64 v[51:52], v[66:67], v[51:52]
	ds_load_b128 v[66:69], v1 offset:1248
	v_fma_f64 v[38:39], v[14:15], v[38:39], -v[40:41]
	scratch_load_b128 v[14:17], off, off offset:368
	s_waitcnt vmcnt(9) lgkmcnt(1)
	v_mul_f64 v[36:37], v[6:7], v[34:35]
	v_mul_f64 v[34:35], v[8:9], v[34:35]
	v_add_f64 v[22:23], v[22:23], v[70:71]
	v_add_f64 v[40:41], v[51:52], v[72:73]
	s_delay_alu instid0(VALU_DEP_4) | instskip(NEXT) | instid1(VALU_DEP_4)
	v_fma_f64 v[70:71], v[8:9], v[32:33], v[36:37]
	v_fma_f64 v[72:73], v[6:7], v[32:33], -v[34:35]
	scratch_load_b128 v[32:35], off, off offset:384
	ds_load_b128 v[6:9], v1 offset:1264
	s_waitcnt vmcnt(9) lgkmcnt(1)
	v_mul_f64 v[51:52], v[66:67], v[26:27]
	v_mul_f64 v[26:27], v[68:69], v[26:27]
	v_add_f64 v[22:23], v[22:23], v[55:56]
	v_add_f64 v[40:41], v[40:41], v[38:39]
	ds_load_b128 v[36:39], v1 offset:1280
	v_fma_f64 v[51:52], v[68:69], v[24:25], v[51:52]
	s_waitcnt vmcnt(7) lgkmcnt(1)
	v_mul_f64 v[55:56], v[6:7], v[30:31]
	v_mul_f64 v[30:31], v[8:9], v[30:31]
	v_fma_f64 v[26:27], v[66:67], v[24:25], -v[26:27]
	v_add_f64 v[66:67], v[22:23], v[70:71]
	scratch_load_b128 v[22:25], off, off offset:400
	v_add_f64 v[40:41], v[40:41], v[72:73]
	s_waitcnt lgkmcnt(0)
	v_mul_f64 v[70:71], v[36:37], v[44:45]
	v_mul_f64 v[44:45], v[38:39], v[44:45]
	v_fma_f64 v[55:56], v[8:9], v[28:29], v[55:56]
	v_fma_f64 v[30:31], v[6:7], v[28:29], -v[30:31]
	ds_load_b128 v[6:9], v1 offset:1296
	v_add_f64 v[51:52], v[66:67], v[51:52]
	ds_load_b128 v[66:69], v1 offset:1312
	v_add_f64 v[40:41], v[40:41], v[26:27]
	scratch_load_b128 v[26:29], off, off offset:416
	v_fma_f64 v[70:71], v[38:39], v[42:43], v[70:71]
	v_fma_f64 v[42:43], v[36:37], v[42:43], -v[44:45]
	scratch_load_b128 v[36:39], off, off offset:432
	s_waitcnt vmcnt(9) lgkmcnt(1)
	v_mul_f64 v[72:73], v[6:7], v[20:21]
	v_mul_f64 v[20:21], v[8:9], v[20:21]
	s_waitcnt vmcnt(8) lgkmcnt(0)
	v_mul_f64 v[44:45], v[66:67], v[64:65]
	v_add_f64 v[30:31], v[40:41], v[30:31]
	v_add_f64 v[40:41], v[51:52], v[55:56]
	v_mul_f64 v[51:52], v[68:69], v[64:65]
	v_fma_f64 v[55:56], v[8:9], v[18:19], v[72:73]
	v_fma_f64 v[64:65], v[6:7], v[18:19], -v[20:21]
	scratch_load_b128 v[18:21], off, off offset:448
	ds_load_b128 v[6:9], v1 offset:1328
	v_fma_f64 v[44:45], v[68:69], v[62:63], v[44:45]
	v_add_f64 v[30:31], v[30:31], v[42:43]
	v_add_f64 v[70:71], v[40:41], v[70:71]
	ds_load_b128 v[40:43], v1 offset:1344
	v_fma_f64 v[51:52], v[66:67], v[62:63], -v[51:52]
	ds_load_b128 v[66:69], v1 offset:1376
	s_waitcnt vmcnt(8) lgkmcnt(2)
	v_mul_f64 v[72:73], v[6:7], v[12:13]
	v_mul_f64 v[12:13], v[8:9], v[12:13]
	v_add_f64 v[30:31], v[30:31], v[64:65]
	v_add_f64 v[55:56], v[70:71], v[55:56]
	scratch_load_b128 v[62:65], off, off offset:464
	s_waitcnt vmcnt(8) lgkmcnt(1)
	v_mul_f64 v[70:71], v[40:41], v[60:61]
	v_mul_f64 v[60:61], v[42:43], v[60:61]
	v_fma_f64 v[72:73], v[8:9], v[10:11], v[72:73]
	v_fma_f64 v[74:75], v[6:7], v[10:11], -v[12:13]
	scratch_load_b128 v[10:13], off, off offset:480
	ds_load_b128 v[6:9], v1 offset:1360
	v_add_f64 v[30:31], v[30:31], v[51:52]
	v_add_f64 v[44:45], v[55:56], v[44:45]
	s_waitcnt vmcnt(8) lgkmcnt(0)
	v_mul_f64 v[51:52], v[6:7], v[48:49]
	v_mul_f64 v[48:49], v[8:9], v[48:49]
	v_fma_f64 v[55:56], v[42:43], v[58:59], v[70:71]
	v_fma_f64 v[58:59], v[40:41], v[58:59], -v[60:61]
	scratch_load_b128 v[40:43], off, off offset:496
	s_waitcnt vmcnt(8)
	v_mul_f64 v[70:71], v[66:67], v[16:17]
	v_mul_f64 v[16:17], v[68:69], v[16:17]
	v_add_f64 v[30:31], v[30:31], v[74:75]
	v_add_f64 v[44:45], v[44:45], v[72:73]
	v_fma_f64 v[51:52], v[8:9], v[46:47], v[51:52]
	v_fma_f64 v[48:49], v[6:7], v[46:47], -v[48:49]
	ds_load_b128 v[6:9], v1 offset:1392
	v_fma_f64 v[68:69], v[68:69], v[14:15], v[70:71]
	v_fma_f64 v[66:67], v[66:67], v[14:15], -v[16:17]
	scratch_load_b128 v[14:17], off, off offset:528
	v_add_f64 v[30:31], v[30:31], v[58:59]
	v_add_f64 v[55:56], v[44:45], v[55:56]
	scratch_load_b128 v[44:47], off, off offset:512
	ds_load_b128 v[58:61], v1 offset:1408
	s_waitcnt vmcnt(9) lgkmcnt(1)
	v_mul_f64 v[72:73], v[6:7], v[34:35]
	v_mul_f64 v[34:35], v[8:9], v[34:35]
	v_add_f64 v[30:31], v[30:31], v[48:49]
	v_add_f64 v[48:49], v[55:56], v[51:52]
	s_delay_alu instid0(VALU_DEP_4) | instskip(NEXT) | instid1(VALU_DEP_4)
	v_fma_f64 v[55:56], v[8:9], v[32:33], v[72:73]
	v_fma_f64 v[34:35], v[6:7], v[32:33], -v[34:35]
	ds_load_b128 v[6:9], v1 offset:1424
	s_waitcnt vmcnt(8) lgkmcnt(1)
	v_mul_f64 v[51:52], v[58:59], v[24:25]
	v_mul_f64 v[24:25], v[60:61], v[24:25]
	v_add_f64 v[70:71], v[30:31], v[66:67]
	v_add_f64 v[48:49], v[48:49], v[68:69]
	ds_load_b128 v[66:69], v1 offset:1440
	scratch_load_b128 v[30:33], off, off offset:544
	v_fma_f64 v[51:52], v[60:61], v[22:23], v[51:52]
	v_fma_f64 v[58:59], v[58:59], v[22:23], -v[24:25]
	s_waitcnt vmcnt(8) lgkmcnt(1)
	v_mul_f64 v[72:73], v[6:7], v[28:29]
	v_mul_f64 v[28:29], v[8:9], v[28:29]
	scratch_load_b128 v[22:25], off, off offset:560
	v_add_f64 v[34:35], v[70:71], v[34:35]
	v_add_f64 v[48:49], v[48:49], v[55:56]
	s_waitcnt vmcnt(8) lgkmcnt(0)
	v_mul_f64 v[55:56], v[66:67], v[38:39]
	v_mul_f64 v[38:39], v[68:69], v[38:39]
	v_fma_f64 v[70:71], v[8:9], v[26:27], v[72:73]
	v_fma_f64 v[72:73], v[6:7], v[26:27], -v[28:29]
	scratch_load_b128 v[26:29], off, off offset:576
	ds_load_b128 v[6:9], v1 offset:1456
	v_add_f64 v[34:35], v[34:35], v[58:59]
	ds_load_b128 v[58:61], v1 offset:1472
	v_add_f64 v[48:49], v[48:49], v[51:52]
	s_waitcnt vmcnt(8) lgkmcnt(1)
	v_mul_f64 v[51:52], v[6:7], v[20:21]
	v_mul_f64 v[20:21], v[8:9], v[20:21]
	v_fma_f64 v[55:56], v[68:69], v[36:37], v[55:56]
	v_fma_f64 v[38:39], v[66:67], v[36:37], -v[38:39]
	v_add_f64 v[66:67], v[34:35], v[72:73]
	scratch_load_b128 v[34:37], off, off offset:592
	v_add_f64 v[48:49], v[48:49], v[70:71]
	v_fma_f64 v[51:52], v[8:9], v[18:19], v[51:52]
	v_fma_f64 v[72:73], v[6:7], v[18:19], -v[20:21]
	scratch_load_b128 v[18:21], off, off offset:608
	ds_load_b128 v[6:9], v1 offset:1488
	s_waitcnt vmcnt(9) lgkmcnt(1)
	v_mul_f64 v[68:69], v[58:59], v[64:65]
	v_mul_f64 v[70:71], v[60:61], v[64:65]
	v_add_f64 v[38:39], v[66:67], v[38:39]
	ds_load_b128 v[64:67], v1 offset:1504
	v_add_f64 v[48:49], v[48:49], v[55:56]
	s_waitcnt vmcnt(8) lgkmcnt(1)
	v_mul_f64 v[55:56], v[6:7], v[12:13]
	v_mul_f64 v[12:13], v[8:9], v[12:13]
	v_fma_f64 v[68:69], v[60:61], v[62:63], v[68:69]
	v_fma_f64 v[62:63], v[58:59], v[62:63], -v[70:71]
	scratch_load_b128 v[58:61], off, off offset:624
	v_add_f64 v[38:39], v[38:39], v[72:73]
	v_add_f64 v[48:49], v[48:49], v[51:52]
	s_waitcnt vmcnt(8) lgkmcnt(0)
	v_mul_f64 v[51:52], v[64:65], v[42:43]
	v_mul_f64 v[42:43], v[66:67], v[42:43]
	v_fma_f64 v[55:56], v[8:9], v[10:11], v[55:56]
	v_fma_f64 v[72:73], v[6:7], v[10:11], -v[12:13]
	scratch_load_b128 v[10:13], off, off offset:640
	ds_load_b128 v[6:9], v1 offset:1520
	v_add_f64 v[38:39], v[38:39], v[62:63]
	v_add_f64 v[48:49], v[48:49], v[68:69]
	ds_load_b128 v[68:71], v1 offset:1536
	v_fma_f64 v[51:52], v[66:67], v[40:41], v[51:52]
	v_fma_f64 v[42:43], v[64:65], v[40:41], -v[42:43]
	s_waitcnt vmcnt(7) lgkmcnt(1)
	v_mul_f64 v[62:63], v[6:7], v[46:47]
	v_mul_f64 v[46:47], v[8:9], v[46:47]
	v_add_f64 v[64:65], v[38:39], v[72:73]
	scratch_load_b128 v[38:41], off, off offset:656
	v_add_f64 v[48:49], v[48:49], v[55:56]
	s_waitcnt lgkmcnt(0)
	v_mul_f64 v[55:56], v[68:69], v[16:17]
	v_mul_f64 v[16:17], v[70:71], v[16:17]
	v_fma_f64 v[62:63], v[8:9], v[44:45], v[62:63]
	v_fma_f64 v[66:67], v[6:7], v[44:45], -v[46:47]
	ds_load_b128 v[6:9], v1 offset:1552
	v_add_f64 v[64:65], v[64:65], v[42:43]
	scratch_load_b128 v[42:45], off, off offset:672
	v_add_f64 v[51:52], v[48:49], v[51:52]
	ds_load_b128 v[46:49], v1 offset:1568
	v_fma_f64 v[55:56], v[70:71], v[14:15], v[55:56]
	v_fma_f64 v[68:69], v[68:69], v[14:15], -v[16:17]
	scratch_load_b128 v[14:17], off, off offset:688
	s_waitcnt vmcnt(9) lgkmcnt(1)
	v_mul_f64 v[72:73], v[6:7], v[32:33]
	v_mul_f64 v[32:33], v[8:9], v[32:33]
	v_add_f64 v[64:65], v[64:65], v[66:67]
	s_waitcnt vmcnt(8) lgkmcnt(0)
	v_mul_f64 v[66:67], v[46:47], v[24:25]
	v_add_f64 v[51:52], v[51:52], v[62:63]
	v_mul_f64 v[24:25], v[48:49], v[24:25]
	v_fma_f64 v[70:71], v[8:9], v[30:31], v[72:73]
	v_fma_f64 v[72:73], v[6:7], v[30:31], -v[32:33]
	scratch_load_b128 v[30:33], off, off offset:704
	ds_load_b128 v[6:9], v1 offset:1584
	v_add_f64 v[68:69], v[64:65], v[68:69]
	ds_load_b128 v[62:65], v1 offset:1600
	v_add_f64 v[51:52], v[51:52], v[55:56]
	v_fma_f64 v[48:49], v[48:49], v[22:23], v[66:67]
	s_waitcnt vmcnt(8) lgkmcnt(1)
	v_mul_f64 v[55:56], v[6:7], v[28:29]
	v_mul_f64 v[28:29], v[8:9], v[28:29]
	v_fma_f64 v[46:47], v[46:47], v[22:23], -v[24:25]
	scratch_load_b128 v[22:25], off, off offset:720
	v_add_f64 v[66:67], v[68:69], v[72:73]
	v_add_f64 v[51:52], v[51:52], v[70:71]
	v_fma_f64 v[55:56], v[8:9], v[26:27], v[55:56]
	v_fma_f64 v[70:71], v[6:7], v[26:27], -v[28:29]
	scratch_load_b128 v[26:29], off, off offset:736
	ds_load_b128 v[6:9], v1 offset:1616
	s_waitcnt vmcnt(9) lgkmcnt(1)
	v_mul_f64 v[68:69], v[62:63], v[36:37]
	v_mul_f64 v[36:37], v[64:65], v[36:37]
	v_add_f64 v[66:67], v[66:67], v[46:47]
	v_add_f64 v[51:52], v[51:52], v[48:49]
	ds_load_b128 v[46:49], v1 offset:1632
	s_waitcnt vmcnt(8) lgkmcnt(1)
	v_mul_f64 v[72:73], v[6:7], v[20:21]
	v_mul_f64 v[20:21], v[8:9], v[20:21]
	v_fma_f64 v[64:65], v[64:65], v[34:35], v[68:69]
	v_fma_f64 v[62:63], v[62:63], v[34:35], -v[36:37]
	scratch_load_b128 v[34:37], off, off offset:752
	s_waitcnt vmcnt(8) lgkmcnt(0)
	v_mul_f64 v[68:69], v[48:49], v[60:61]
	v_add_f64 v[66:67], v[66:67], v[70:71]
	v_add_f64 v[51:52], v[51:52], v[55:56]
	v_mul_f64 v[55:56], v[46:47], v[60:61]
	v_fma_f64 v[70:71], v[8:9], v[18:19], v[72:73]
	v_fma_f64 v[72:73], v[6:7], v[18:19], -v[20:21]
	scratch_load_b128 v[18:21], off, off offset:768
	ds_load_b128 v[6:9], v1 offset:1648
	v_add_f64 v[66:67], v[66:67], v[62:63]
	ds_load_b128 v[60:63], v1 offset:1664
	v_add_f64 v[51:52], v[51:52], v[64:65]
	s_waitcnt vmcnt(8) lgkmcnt(1)
	v_mul_f64 v[64:65], v[6:7], v[12:13]
	v_mul_f64 v[12:13], v[8:9], v[12:13]
	v_fma_f64 v[55:56], v[48:49], v[58:59], v[55:56]
	v_fma_f64 v[58:59], v[46:47], v[58:59], -v[68:69]
	scratch_load_b128 v[46:49], off, off offset:784
	v_add_f64 v[66:67], v[66:67], v[72:73]
	v_add_f64 v[51:52], v[51:52], v[70:71]
	v_fma_f64 v[70:71], v[8:9], v[10:11], v[64:65]
	v_fma_f64 v[72:73], v[6:7], v[10:11], -v[12:13]
	scratch_load_b128 v[10:13], off, off offset:800
	ds_load_b128 v[6:9], v1 offset:1680
	s_waitcnt vmcnt(9) lgkmcnt(1)
	v_mul_f64 v[68:69], v[60:61], v[40:41]
	v_mul_f64 v[40:41], v[62:63], v[40:41]
	v_add_f64 v[58:59], v[66:67], v[58:59]
	ds_load_b128 v[64:67], v1 offset:1696
	v_add_f64 v[51:52], v[51:52], v[55:56]
	s_waitcnt vmcnt(8) lgkmcnt(1)
	v_mul_f64 v[55:56], v[6:7], v[44:45]
	v_mul_f64 v[44:45], v[8:9], v[44:45]
	v_fma_f64 v[62:63], v[62:63], v[38:39], v[68:69]
	v_fma_f64 v[60:61], v[60:61], v[38:39], -v[40:41]
	scratch_load_b128 v[38:41], off, off offset:816
	s_waitcnt vmcnt(8) lgkmcnt(0)
	v_mul_f64 v[68:69], v[64:65], v[16:17]
	v_mul_f64 v[16:17], v[66:67], v[16:17]
	v_add_f64 v[58:59], v[58:59], v[72:73]
	v_add_f64 v[51:52], v[51:52], v[70:71]
	v_fma_f64 v[55:56], v[8:9], v[42:43], v[55:56]
	v_fma_f64 v[70:71], v[6:7], v[42:43], -v[44:45]
	scratch_load_b128 v[42:45], off, off offset:832
	ds_load_b128 v[6:9], v1 offset:1712
	v_fma_f64 v[66:67], v[66:67], v[14:15], v[68:69]
	v_fma_f64 v[64:65], v[64:65], v[14:15], -v[16:17]
	scratch_load_b128 v[14:17], off, off offset:848
	v_add_f64 v[72:73], v[58:59], v[60:61]
	ds_load_b128 v[58:61], v1 offset:1728
	v_add_f64 v[51:52], v[51:52], v[62:63]
	s_waitcnt vmcnt(9) lgkmcnt(1)
	v_mul_f64 v[62:63], v[6:7], v[32:33]
	v_mul_f64 v[32:33], v[8:9], v[32:33]
	v_add_f64 v[68:69], v[72:73], v[70:71]
	s_delay_alu instid0(VALU_DEP_4)
	v_add_f64 v[51:52], v[51:52], v[55:56]
	s_waitcnt vmcnt(8) lgkmcnt(0)
	v_mul_f64 v[55:56], v[58:59], v[24:25]
	v_mul_f64 v[24:25], v[60:61], v[24:25]
	v_fma_f64 v[70:71], v[8:9], v[30:31], v[62:63]
	v_fma_f64 v[72:73], v[6:7], v[30:31], -v[32:33]
	scratch_load_b128 v[30:33], off, off offset:864
	ds_load_b128 v[6:9], v1 offset:1744
	v_add_f64 v[68:69], v[68:69], v[64:65]
	ds_load_b128 v[62:65], v1 offset:1760
	v_add_f64 v[51:52], v[51:52], v[66:67]
	s_waitcnt vmcnt(8) lgkmcnt(1)
	v_mul_f64 v[66:67], v[6:7], v[28:29]
	v_mul_f64 v[28:29], v[8:9], v[28:29]
	v_fma_f64 v[55:56], v[60:61], v[22:23], v[55:56]
	v_fma_f64 v[58:59], v[58:59], v[22:23], -v[24:25]
	scratch_load_b128 v[22:25], off, off offset:880
	v_add_f64 v[60:61], v[68:69], v[72:73]
	s_waitcnt vmcnt(8) lgkmcnt(0)
	v_mul_f64 v[68:69], v[62:63], v[36:37]
	v_add_f64 v[51:52], v[51:52], v[70:71]
	v_mul_f64 v[36:37], v[64:65], v[36:37]
	v_fma_f64 v[66:67], v[8:9], v[26:27], v[66:67]
	v_fma_f64 v[70:71], v[6:7], v[26:27], -v[28:29]
	scratch_load_b128 v[26:29], off, off offset:896
	ds_load_b128 v[6:9], v1 offset:1776
	v_add_f64 v[72:73], v[60:61], v[58:59]
	ds_load_b128 v[58:61], v1 offset:1792
	v_add_f64 v[51:52], v[51:52], v[55:56]
	s_waitcnt vmcnt(8) lgkmcnt(1)
	v_mul_f64 v[55:56], v[6:7], v[20:21]
	v_mul_f64 v[20:21], v[8:9], v[20:21]
	v_fma_f64 v[64:65], v[64:65], v[34:35], v[68:69]
	v_fma_f64 v[62:63], v[62:63], v[34:35], -v[36:37]
	scratch_load_b128 v[34:37], off, off offset:912
	v_add_f64 v[68:69], v[72:73], v[70:71]
	v_add_f64 v[51:52], v[51:52], v[66:67]
	s_waitcnt vmcnt(8) lgkmcnt(0)
	v_mul_f64 v[66:67], v[58:59], v[48:49]
	v_mul_f64 v[48:49], v[60:61], v[48:49]
	v_fma_f64 v[55:56], v[8:9], v[18:19], v[55:56]
	v_fma_f64 v[70:71], v[6:7], v[18:19], -v[20:21]
	scratch_load_b128 v[18:21], off, off offset:928
	ds_load_b128 v[6:9], v1 offset:1808
	v_add_f64 v[68:69], v[68:69], v[62:63]
	v_add_f64 v[51:52], v[51:52], v[64:65]
	ds_load_b128 v[62:65], v1 offset:1824
	s_waitcnt vmcnt(8) lgkmcnt(1)
	v_mul_f64 v[72:73], v[6:7], v[12:13]
	v_mul_f64 v[12:13], v[8:9], v[12:13]
	v_fma_f64 v[60:61], v[60:61], v[46:47], v[66:67]
	v_fma_f64 v[58:59], v[58:59], v[46:47], -v[48:49]
	scratch_load_b128 v[46:49], off, off offset:944
	v_add_f64 v[66:67], v[68:69], v[70:71]
	v_add_f64 v[51:52], v[51:52], v[55:56]
	s_waitcnt vmcnt(8) lgkmcnt(0)
	v_mul_f64 v[55:56], v[62:63], v[40:41]
	v_mul_f64 v[40:41], v[64:65], v[40:41]
	v_fma_f64 v[68:69], v[8:9], v[10:11], v[72:73]
	v_fma_f64 v[70:71], v[6:7], v[10:11], -v[12:13]
	scratch_load_b128 v[10:13], off, off offset:960
	ds_load_b128 v[6:9], v1 offset:1840
	v_add_f64 v[66:67], v[66:67], v[58:59]
	v_add_f64 v[51:52], v[51:52], v[60:61]
	ds_load_b128 v[58:61], v1 offset:1856
	s_waitcnt vmcnt(8) lgkmcnt(1)
	v_mul_f64 v[72:73], v[6:7], v[44:45]
	v_mul_f64 v[44:45], v[8:9], v[44:45]
	v_fma_f64 v[55:56], v[64:65], v[38:39], v[55:56]
	v_fma_f64 v[62:63], v[62:63], v[38:39], -v[40:41]
	scratch_load_b128 v[38:41], off, off offset:976
	v_add_f64 v[64:65], v[66:67], v[70:71]
	s_waitcnt vmcnt(8) lgkmcnt(0)
	v_mul_f64 v[66:67], v[58:59], v[16:17]
	v_add_f64 v[51:52], v[51:52], v[68:69]
	v_mul_f64 v[16:17], v[60:61], v[16:17]
	v_fma_f64 v[68:69], v[8:9], v[42:43], v[72:73]
	v_fma_f64 v[70:71], v[6:7], v[42:43], -v[44:45]
	scratch_load_b128 v[42:45], off, off offset:992
	ds_load_b128 v[6:9], v1 offset:1872
	v_add_f64 v[72:73], v[64:65], v[62:63]
	ds_load_b128 v[62:65], v1 offset:1888
	v_add_f64 v[51:52], v[51:52], v[55:56]
	s_waitcnt vmcnt(8) lgkmcnt(1)
	v_mul_f64 v[55:56], v[6:7], v[32:33]
	v_mul_f64 v[32:33], v[8:9], v[32:33]
	v_fma_f64 v[60:61], v[60:61], v[14:15], v[66:67]
	v_fma_f64 v[14:15], v[58:59], v[14:15], -v[16:17]
	s_waitcnt vmcnt(7) lgkmcnt(0)
	v_mul_f64 v[58:59], v[62:63], v[24:25]
	v_mul_f64 v[24:25], v[64:65], v[24:25]
	v_add_f64 v[16:17], v[72:73], v[70:71]
	v_add_f64 v[51:52], v[51:52], v[68:69]
	v_fma_f64 v[55:56], v[8:9], v[30:31], v[55:56]
	v_fma_f64 v[30:31], v[6:7], v[30:31], -v[32:33]
	v_fma_f64 v[58:59], v[64:65], v[22:23], v[58:59]
	v_fma_f64 v[22:23], v[62:63], v[22:23], -v[24:25]
	v_add_f64 v[32:33], v[16:17], v[14:15]
	ds_load_b128 v[6:9], v1 offset:1904
	ds_load_b128 v[14:17], v1 offset:1920
	v_add_f64 v[51:52], v[51:52], v[60:61]
	s_waitcnt vmcnt(6) lgkmcnt(1)
	v_mul_f64 v[60:61], v[6:7], v[28:29]
	v_mul_f64 v[28:29], v[8:9], v[28:29]
	v_add_f64 v[24:25], v[32:33], v[30:31]
	s_waitcnt vmcnt(5) lgkmcnt(0)
	v_mul_f64 v[32:33], v[14:15], v[36:37]
	v_add_f64 v[30:31], v[51:52], v[55:56]
	v_mul_f64 v[36:37], v[16:17], v[36:37]
	v_fma_f64 v[51:52], v[8:9], v[26:27], v[60:61]
	v_fma_f64 v[26:27], v[6:7], v[26:27], -v[28:29]
	v_add_f64 v[28:29], v[24:25], v[22:23]
	ds_load_b128 v[6:9], v1 offset:1936
	ds_load_b128 v[22:25], v1 offset:1952
	v_add_f64 v[30:31], v[30:31], v[58:59]
	v_fma_f64 v[16:17], v[16:17], v[34:35], v[32:33]
	v_fma_f64 v[14:15], v[14:15], v[34:35], -v[36:37]
	s_waitcnt vmcnt(4) lgkmcnt(1)
	v_mul_f64 v[55:56], v[6:7], v[20:21]
	v_mul_f64 v[20:21], v[8:9], v[20:21]
	s_waitcnt vmcnt(3) lgkmcnt(0)
	v_mul_f64 v[32:33], v[24:25], v[48:49]
	v_add_f64 v[26:27], v[28:29], v[26:27]
	v_add_f64 v[28:29], v[30:31], v[51:52]
	v_mul_f64 v[30:31], v[22:23], v[48:49]
	v_fma_f64 v[34:35], v[8:9], v[18:19], v[55:56]
	v_fma_f64 v[18:19], v[6:7], v[18:19], -v[20:21]
	v_fma_f64 v[22:23], v[22:23], v[46:47], -v[32:33]
	v_add_f64 v[20:21], v[26:27], v[14:15]
	v_add_f64 v[26:27], v[28:29], v[16:17]
	ds_load_b128 v[6:9], v1 offset:1968
	ds_load_b128 v[14:17], v1 offset:1984
	v_fma_f64 v[24:25], v[24:25], v[46:47], v[30:31]
	s_waitcnt vmcnt(2) lgkmcnt(1)
	v_mul_f64 v[28:29], v[6:7], v[12:13]
	v_mul_f64 v[12:13], v[8:9], v[12:13]
	s_waitcnt vmcnt(1) lgkmcnt(0)
	v_mul_f64 v[30:31], v[16:17], v[40:41]
	v_add_f64 v[18:19], v[20:21], v[18:19]
	v_add_f64 v[20:21], v[26:27], v[34:35]
	v_mul_f64 v[26:27], v[14:15], v[40:41]
	v_fma_f64 v[28:29], v[8:9], v[10:11], v[28:29]
	v_fma_f64 v[10:11], v[6:7], v[10:11], -v[12:13]
	ds_load_b128 v[6:9], v1 offset:2000
	v_fma_f64 v[14:15], v[14:15], v[38:39], -v[30:31]
	v_add_f64 v[12:13], v[18:19], v[22:23]
	v_add_f64 v[18:19], v[20:21], v[24:25]
	v_fma_f64 v[16:17], v[16:17], v[38:39], v[26:27]
	s_waitcnt vmcnt(0) lgkmcnt(0)
	v_mul_f64 v[20:21], v[6:7], v[44:45]
	v_mul_f64 v[22:23], v[8:9], v[44:45]
	v_add_f64 v[10:11], v[12:13], v[10:11]
	v_add_f64 v[12:13], v[18:19], v[28:29]
	s_delay_alu instid0(VALU_DEP_4) | instskip(NEXT) | instid1(VALU_DEP_4)
	v_fma_f64 v[8:9], v[8:9], v[42:43], v[20:21]
	v_fma_f64 v[6:7], v[6:7], v[42:43], -v[22:23]
	s_delay_alu instid0(VALU_DEP_4) | instskip(NEXT) | instid1(VALU_DEP_4)
	v_add_f64 v[10:11], v[10:11], v[14:15]
	v_add_f64 v[12:13], v[12:13], v[16:17]
	s_delay_alu instid0(VALU_DEP_2) | instskip(NEXT) | instid1(VALU_DEP_2)
	v_add_f64 v[6:7], v[10:11], v[6:7]
	v_add_f64 v[8:9], v[12:13], v[8:9]
	s_delay_alu instid0(VALU_DEP_2) | instskip(NEXT) | instid1(VALU_DEP_2)
	v_add_f64 v[2:3], v[2:3], -v[6:7]
	v_add_f64 v[4:5], v[4:5], -v[8:9]
	scratch_store_b128 off, v[2:5], off offset:16
	v_cmpx_ne_u32_e32 0, v179
	s_cbranch_execz .LBB126_403
; %bb.402:
	scratch_load_b128 v[5:8], off, off
	v_mov_b32_e32 v2, v1
	v_mov_b32_e32 v3, v1
	;; [unrolled: 1-line block ×3, first 2 shown]
	scratch_store_b128 off, v[1:4], off
	s_waitcnt vmcnt(0)
	ds_store_b128 v244, v[5:8]
.LBB126_403:
	s_or_b32 exec_lo, exec_lo, s2
	s_waitcnt lgkmcnt(0)
	s_waitcnt_vscnt null, 0x0
	s_barrier
	buffer_gl0_inv
	s_clause 0x8
	scratch_load_b128 v[30:33], off, off offset:16
	scratch_load_b128 v[34:37], off, off offset:32
	scratch_load_b128 v[38:41], off, off offset:48
	scratch_load_b128 v[26:29], off, off offset:64
	scratch_load_b128 v[22:25], off, off offset:80
	scratch_load_b128 v[18:21], off, off offset:96
	scratch_load_b128 v[14:17], off, off offset:112
	scratch_load_b128 v[10:13], off, off offset:128
	scratch_load_b128 v[6:9], off, off offset:144
	ds_load_b128 v[46:49], v1 offset:1024
	ds_load_b128 v[42:45], v1 offset:1040
	s_clause 0x1
	scratch_load_b128 v[2:5], off, off
	scratch_load_b128 v[58:61], off, off offset:160
	s_and_b32 vcc_lo, exec_lo, s14
	ds_load_b128 v[62:65], v1 offset:1072
	s_waitcnt vmcnt(10) lgkmcnt(2)
	v_mul_f64 v[51:52], v[48:49], v[32:33]
	v_mul_f64 v[32:33], v[46:47], v[32:33]
	s_waitcnt vmcnt(9) lgkmcnt(1)
	v_mul_f64 v[55:56], v[42:43], v[36:37]
	v_mul_f64 v[36:37], v[44:45], v[36:37]
	s_waitcnt vmcnt(7) lgkmcnt(0)
	v_mul_f64 v[70:71], v[64:65], v[28:29]
	v_fma_f64 v[51:52], v[46:47], v[30:31], -v[51:52]
	v_fma_f64 v[66:67], v[48:49], v[30:31], v[32:33]
	ds_load_b128 v[30:33], v1 offset:1056
	scratch_load_b128 v[46:49], off, off offset:176
	v_fma_f64 v[44:45], v[44:45], v[34:35], v[55:56]
	v_fma_f64 v[42:43], v[42:43], v[34:35], -v[36:37]
	scratch_load_b128 v[34:37], off, off offset:192
	s_waitcnt lgkmcnt(0)
	v_mul_f64 v[68:69], v[30:31], v[40:41]
	v_mul_f64 v[40:41], v[32:33], v[40:41]
	v_add_f64 v[51:52], v[51:52], 0
	v_add_f64 v[55:56], v[66:67], 0
	v_mul_f64 v[66:67], v[62:63], v[28:29]
	v_fma_f64 v[62:63], v[62:63], v[26:27], -v[70:71]
	v_fma_f64 v[32:33], v[32:33], v[38:39], v[68:69]
	v_fma_f64 v[68:69], v[30:31], v[38:39], -v[40:41]
	ds_load_b128 v[28:31], v1 offset:1088
	scratch_load_b128 v[38:41], off, off offset:208
	v_add_f64 v[51:52], v[51:52], v[42:43]
	v_add_f64 v[55:56], v[55:56], v[44:45]
	ds_load_b128 v[42:45], v1 offset:1104
	v_fma_f64 v[64:65], v[64:65], v[26:27], v[66:67]
	s_waitcnt vmcnt(9) lgkmcnt(1)
	v_mul_f64 v[72:73], v[28:29], v[24:25]
	v_mul_f64 v[74:75], v[30:31], v[24:25]
	scratch_load_b128 v[24:27], off, off offset:224
	s_waitcnt vmcnt(9) lgkmcnt(0)
	v_mul_f64 v[66:67], v[44:45], v[20:21]
	v_add_f64 v[51:52], v[51:52], v[68:69]
	v_add_f64 v[32:33], v[55:56], v[32:33]
	v_mul_f64 v[55:56], v[42:43], v[20:21]
	v_fma_f64 v[68:69], v[30:31], v[22:23], v[72:73]
	v_fma_f64 v[70:71], v[28:29], v[22:23], -v[74:75]
	ds_load_b128 v[20:23], v1 offset:1120
	scratch_load_b128 v[28:31], off, off offset:240
	v_fma_f64 v[42:43], v[42:43], v[18:19], -v[66:67]
	v_add_f64 v[51:52], v[51:52], v[62:63]
	v_add_f64 v[32:33], v[32:33], v[64:65]
	ds_load_b128 v[62:65], v1 offset:1136
	s_waitcnt vmcnt(9) lgkmcnt(1)
	v_mul_f64 v[72:73], v[20:21], v[16:17]
	v_mul_f64 v[74:75], v[22:23], v[16:17]
	v_fma_f64 v[44:45], v[44:45], v[18:19], v[55:56]
	scratch_load_b128 v[16:19], off, off offset:256
	s_waitcnt vmcnt(9) lgkmcnt(0)
	v_mul_f64 v[55:56], v[62:63], v[12:13]
	v_mul_f64 v[66:67], v[64:65], v[12:13]
	v_add_f64 v[51:52], v[51:52], v[70:71]
	v_add_f64 v[32:33], v[32:33], v[68:69]
	v_fma_f64 v[68:69], v[22:23], v[14:15], v[72:73]
	v_fma_f64 v[70:71], v[20:21], v[14:15], -v[74:75]
	ds_load_b128 v[12:15], v1 offset:1152
	scratch_load_b128 v[20:23], off, off offset:272
	v_fma_f64 v[55:56], v[64:65], v[10:11], v[55:56]
	v_fma_f64 v[62:63], v[62:63], v[10:11], -v[66:67]
	ds_load_b128 v[64:67], v1 offset:1200
	v_add_f64 v[51:52], v[51:52], v[42:43]
	v_add_f64 v[32:33], v[32:33], v[44:45]
	ds_load_b128 v[42:45], v1 offset:1168
	s_waitcnt vmcnt(9) lgkmcnt(2)
	v_mul_f64 v[72:73], v[12:13], v[8:9]
	v_mul_f64 v[74:75], v[14:15], v[8:9]
	scratch_load_b128 v[8:11], off, off offset:288
	v_add_f64 v[51:52], v[51:52], v[70:71]
	v_add_f64 v[32:33], v[32:33], v[68:69]
	s_waitcnt vmcnt(8) lgkmcnt(0)
	v_mul_f64 v[68:69], v[42:43], v[60:61]
	v_mul_f64 v[70:71], v[44:45], v[60:61]
	v_fma_f64 v[72:73], v[14:15], v[6:7], v[72:73]
	v_fma_f64 v[6:7], v[12:13], v[6:7], -v[74:75]
	ds_load_b128 v[12:15], v1 offset:1184
	v_add_f64 v[51:52], v[51:52], v[62:63]
	v_add_f64 v[32:33], v[32:33], v[55:56]
	scratch_load_b128 v[60:63], off, off offset:304
	v_fma_f64 v[68:69], v[44:45], v[58:59], v[68:69]
	v_fma_f64 v[58:59], v[42:43], v[58:59], -v[70:71]
	scratch_load_b128 v[42:45], off, off offset:320
	s_waitcnt vmcnt(9) lgkmcnt(0)
	v_mul_f64 v[55:56], v[12:13], v[48:49]
	v_mul_f64 v[48:49], v[14:15], v[48:49]
	v_add_f64 v[6:7], v[51:52], v[6:7]
	v_add_f64 v[32:33], v[32:33], v[72:73]
	s_waitcnt vmcnt(8)
	v_mul_f64 v[51:52], v[64:65], v[36:37]
	v_mul_f64 v[36:37], v[66:67], v[36:37]
	v_fma_f64 v[55:56], v[14:15], v[46:47], v[55:56]
	v_fma_f64 v[72:73], v[12:13], v[46:47], -v[48:49]
	ds_load_b128 v[12:15], v1 offset:1216
	scratch_load_b128 v[46:49], off, off offset:336
	v_add_f64 v[6:7], v[6:7], v[58:59]
	v_add_f64 v[32:33], v[32:33], v[68:69]
	ds_load_b128 v[68:71], v1 offset:1232
	s_waitcnt vmcnt(8) lgkmcnt(1)
	v_mul_f64 v[58:59], v[12:13], v[40:41]
	v_mul_f64 v[40:41], v[14:15], v[40:41]
	v_fma_f64 v[51:52], v[66:67], v[34:35], v[51:52]
	v_fma_f64 v[36:37], v[64:65], v[34:35], -v[36:37]
	ds_load_b128 v[64:67], v1 offset:1264
	v_add_f64 v[6:7], v[6:7], v[72:73]
	v_add_f64 v[55:56], v[32:33], v[55:56]
	scratch_load_b128 v[32:35], off, off offset:352
	s_waitcnt vmcnt(8) lgkmcnt(1)
	v_mul_f64 v[72:73], v[68:69], v[26:27]
	v_mul_f64 v[26:27], v[70:71], v[26:27]
	v_fma_f64 v[58:59], v[14:15], v[38:39], v[58:59]
	v_fma_f64 v[40:41], v[12:13], v[38:39], -v[40:41]
	ds_load_b128 v[12:15], v1 offset:1248
	v_add_f64 v[6:7], v[6:7], v[36:37]
	v_add_f64 v[51:52], v[55:56], v[51:52]
	scratch_load_b128 v[36:39], off, off offset:368
	s_waitcnt vmcnt(8) lgkmcnt(0)
	v_mul_f64 v[55:56], v[12:13], v[30:31]
	v_mul_f64 v[30:31], v[14:15], v[30:31]
	v_fma_f64 v[70:71], v[70:71], v[24:25], v[72:73]
	v_fma_f64 v[68:69], v[68:69], v[24:25], -v[26:27]
	scratch_load_b128 v[24:27], off, off offset:384
	v_add_f64 v[6:7], v[6:7], v[40:41]
	v_add_f64 v[40:41], v[51:52], v[58:59]
	s_waitcnt vmcnt(8)
	v_mul_f64 v[51:52], v[64:65], v[18:19]
	v_mul_f64 v[18:19], v[66:67], v[18:19]
	v_fma_f64 v[55:56], v[14:15], v[28:29], v[55:56]
	v_fma_f64 v[58:59], v[12:13], v[28:29], -v[30:31]
	ds_load_b128 v[12:15], v1 offset:1280
	scratch_load_b128 v[28:31], off, off offset:400
	v_add_f64 v[6:7], v[6:7], v[68:69]
	v_add_f64 v[40:41], v[40:41], v[70:71]
	ds_load_b128 v[68:71], v1 offset:1296
	s_waitcnt vmcnt(8) lgkmcnt(1)
	v_mul_f64 v[72:73], v[12:13], v[22:23]
	v_mul_f64 v[22:23], v[14:15], v[22:23]
	v_fma_f64 v[51:52], v[66:67], v[16:17], v[51:52]
	v_fma_f64 v[64:65], v[64:65], v[16:17], -v[18:19]
	scratch_load_b128 v[16:19], off, off offset:416
	v_add_f64 v[6:7], v[6:7], v[58:59]
	v_add_f64 v[40:41], v[40:41], v[55:56]
	s_waitcnt vmcnt(8) lgkmcnt(0)
	v_mul_f64 v[55:56], v[68:69], v[10:11]
	v_mul_f64 v[58:59], v[70:71], v[10:11]
	v_fma_f64 v[14:15], v[14:15], v[20:21], v[72:73]
	v_fma_f64 v[72:73], v[12:13], v[20:21], -v[22:23]
	ds_load_b128 v[10:13], v1 offset:1312
	scratch_load_b128 v[20:23], off, off offset:432
	v_add_f64 v[6:7], v[6:7], v[64:65]
	v_add_f64 v[40:41], v[40:41], v[51:52]
	ds_load_b128 v[64:67], v1 offset:1328
	v_fma_f64 v[55:56], v[70:71], v[8:9], v[55:56]
	v_fma_f64 v[58:59], v[68:69], v[8:9], -v[58:59]
	s_waitcnt vmcnt(8) lgkmcnt(1)
	v_mul_f64 v[51:52], v[10:11], v[62:63]
	v_mul_f64 v[62:63], v[12:13], v[62:63]
	v_add_f64 v[68:69], v[6:7], v[72:73]
	scratch_load_b128 v[6:9], off, off offset:448
	v_add_f64 v[14:15], v[40:41], v[14:15]
	s_waitcnt vmcnt(8) lgkmcnt(0)
	v_mul_f64 v[40:41], v[64:65], v[44:45]
	v_mul_f64 v[44:45], v[66:67], v[44:45]
	v_fma_f64 v[51:52], v[12:13], v[60:61], v[51:52]
	v_fma_f64 v[62:63], v[10:11], v[60:61], -v[62:63]
	ds_load_b128 v[10:13], v1 offset:1344
	v_add_f64 v[72:73], v[68:69], v[58:59]
	ds_load_b128 v[68:71], v1 offset:1360
	v_add_f64 v[14:15], v[14:15], v[55:56]
	scratch_load_b128 v[58:61], off, off offset:464
	s_waitcnt vmcnt(8) lgkmcnt(1)
	v_mul_f64 v[55:56], v[10:11], v[48:49]
	v_mul_f64 v[48:49], v[12:13], v[48:49]
	v_fma_f64 v[66:67], v[66:67], v[42:43], v[40:41]
	v_fma_f64 v[44:45], v[64:65], v[42:43], -v[44:45]
	scratch_load_b128 v[40:43], off, off offset:480
	v_add_f64 v[62:63], v[72:73], v[62:63]
	v_add_f64 v[14:15], v[14:15], v[51:52]
	v_fma_f64 v[55:56], v[12:13], v[46:47], v[55:56]
	v_fma_f64 v[48:49], v[10:11], v[46:47], -v[48:49]
	ds_load_b128 v[10:13], v1 offset:1376
	s_waitcnt vmcnt(8) lgkmcnt(1)
	v_mul_f64 v[51:52], v[68:69], v[34:35]
	v_mul_f64 v[34:35], v[70:71], v[34:35]
	v_add_f64 v[72:73], v[62:63], v[44:45]
	ds_load_b128 v[62:65], v1 offset:1392
	v_add_f64 v[14:15], v[14:15], v[66:67]
	scratch_load_b128 v[44:47], off, off offset:496
	s_waitcnt vmcnt(8) lgkmcnt(1)
	v_mul_f64 v[66:67], v[10:11], v[38:39]
	v_mul_f64 v[38:39], v[12:13], v[38:39]
	v_fma_f64 v[51:52], v[70:71], v[32:33], v[51:52]
	v_fma_f64 v[68:69], v[68:69], v[32:33], -v[34:35]
	scratch_load_b128 v[32:35], off, off offset:512
	v_add_f64 v[48:49], v[72:73], v[48:49]
	v_add_f64 v[14:15], v[14:15], v[55:56]
	s_waitcnt vmcnt(8) lgkmcnt(0)
	v_mul_f64 v[55:56], v[62:63], v[26:27]
	v_mul_f64 v[26:27], v[64:65], v[26:27]
	v_fma_f64 v[70:71], v[12:13], v[36:37], v[66:67]
	v_fma_f64 v[72:73], v[10:11], v[36:37], -v[38:39]
	ds_load_b128 v[10:13], v1 offset:1408
	scratch_load_b128 v[36:39], off, off offset:528
	v_add_f64 v[48:49], v[48:49], v[68:69]
	ds_load_b128 v[66:69], v1 offset:1424
	v_add_f64 v[14:15], v[14:15], v[51:52]
	s_waitcnt vmcnt(8) lgkmcnt(1)
	v_mul_f64 v[51:52], v[10:11], v[30:31]
	v_mul_f64 v[30:31], v[12:13], v[30:31]
	v_fma_f64 v[55:56], v[64:65], v[24:25], v[55:56]
	v_fma_f64 v[62:63], v[62:63], v[24:25], -v[26:27]
	scratch_load_b128 v[24:27], off, off offset:544
	v_add_f64 v[48:49], v[48:49], v[72:73]
	v_add_f64 v[14:15], v[14:15], v[70:71]
	s_waitcnt vmcnt(8) lgkmcnt(0)
	v_mul_f64 v[70:71], v[66:67], v[18:19]
	v_mul_f64 v[18:19], v[68:69], v[18:19]
	v_fma_f64 v[51:52], v[12:13], v[28:29], v[51:52]
	v_fma_f64 v[72:73], v[10:11], v[28:29], -v[30:31]
	ds_load_b128 v[10:13], v1 offset:1440
	scratch_load_b128 v[28:31], off, off offset:560
	v_add_f64 v[48:49], v[48:49], v[62:63]
	ds_load_b128 v[62:65], v1 offset:1456
	v_add_f64 v[14:15], v[14:15], v[55:56]
	s_waitcnt vmcnt(8) lgkmcnt(1)
	v_mul_f64 v[55:56], v[10:11], v[22:23]
	v_mul_f64 v[22:23], v[12:13], v[22:23]
	v_fma_f64 v[68:69], v[68:69], v[16:17], v[70:71]
	v_fma_f64 v[18:19], v[66:67], v[16:17], -v[18:19]
	v_add_f64 v[48:49], v[48:49], v[72:73]
	v_add_f64 v[51:52], v[14:15], v[51:52]
	scratch_load_b128 v[14:17], off, off offset:576
	v_fma_f64 v[12:13], v[12:13], v[20:21], v[55:56]
	v_fma_f64 v[22:23], v[10:11], v[20:21], -v[22:23]
	s_waitcnt vmcnt(8) lgkmcnt(0)
	v_mul_f64 v[70:71], v[62:63], v[8:9]
	v_mul_f64 v[72:73], v[64:65], v[8:9]
	ds_load_b128 v[8:11], v1 offset:1472
	v_add_f64 v[48:49], v[48:49], v[18:19]
	scratch_load_b128 v[18:21], off, off offset:592
	v_add_f64 v[51:52], v[51:52], v[68:69]
	ds_load_b128 v[66:69], v1 offset:1488
	v_fma_f64 v[64:65], v[64:65], v[6:7], v[70:71]
	v_fma_f64 v[6:7], v[62:63], v[6:7], -v[72:73]
	s_waitcnt vmcnt(8) lgkmcnt(1)
	v_mul_f64 v[55:56], v[8:9], v[60:61]
	v_mul_f64 v[74:75], v[10:11], v[60:61]
	scratch_load_b128 v[60:63], off, off offset:608
	ds_load_b128 v[70:73], v1 offset:1520
	v_add_f64 v[22:23], v[48:49], v[22:23]
	s_waitcnt vmcnt(8) lgkmcnt(1)
	v_mul_f64 v[48:49], v[66:67], v[42:43]
	v_add_f64 v[12:13], v[51:52], v[12:13]
	v_mul_f64 v[42:43], v[68:69], v[42:43]
	v_fma_f64 v[51:52], v[10:11], v[58:59], v[55:56]
	v_fma_f64 v[55:56], v[8:9], v[58:59], -v[74:75]
	v_add_f64 v[22:23], v[22:23], v[6:7]
	ds_load_b128 v[6:9], v1 offset:1504
	v_add_f64 v[58:59], v[12:13], v[64:65]
	scratch_load_b128 v[10:13], off, off offset:624
	v_fma_f64 v[48:49], v[68:69], v[40:41], v[48:49]
	v_fma_f64 v[66:67], v[66:67], v[40:41], -v[42:43]
	scratch_load_b128 v[40:43], off, off offset:640
	s_waitcnt vmcnt(9) lgkmcnt(0)
	v_mul_f64 v[64:65], v[6:7], v[46:47]
	v_mul_f64 v[46:47], v[8:9], v[46:47]
	v_add_f64 v[22:23], v[22:23], v[55:56]
	s_waitcnt vmcnt(8)
	v_mul_f64 v[55:56], v[70:71], v[34:35]
	v_add_f64 v[51:52], v[58:59], v[51:52]
	v_mul_f64 v[34:35], v[72:73], v[34:35]
	v_fma_f64 v[58:59], v[8:9], v[44:45], v[64:65]
	v_fma_f64 v[68:69], v[6:7], v[44:45], -v[46:47]
	ds_load_b128 v[6:9], v1 offset:1536
	scratch_load_b128 v[44:47], off, off offset:656
	v_add_f64 v[22:23], v[22:23], v[66:67]
	ds_load_b128 v[64:67], v1 offset:1552
	v_add_f64 v[48:49], v[51:52], v[48:49]
	v_fma_f64 v[55:56], v[72:73], v[32:33], v[55:56]
	v_fma_f64 v[70:71], v[70:71], v[32:33], -v[34:35]
	scratch_load_b128 v[32:35], off, off offset:672
	s_waitcnt vmcnt(9) lgkmcnt(1)
	v_mul_f64 v[51:52], v[6:7], v[38:39]
	v_mul_f64 v[38:39], v[8:9], v[38:39]
	v_add_f64 v[22:23], v[22:23], v[68:69]
	v_add_f64 v[48:49], v[48:49], v[58:59]
	s_waitcnt vmcnt(8) lgkmcnt(0)
	v_mul_f64 v[58:59], v[64:65], v[26:27]
	v_mul_f64 v[26:27], v[66:67], v[26:27]
	v_fma_f64 v[51:52], v[8:9], v[36:37], v[51:52]
	v_fma_f64 v[72:73], v[6:7], v[36:37], -v[38:39]
	ds_load_b128 v[6:9], v1 offset:1568
	scratch_load_b128 v[36:39], off, off offset:688
	v_add_f64 v[22:23], v[22:23], v[70:71]
	ds_load_b128 v[68:71], v1 offset:1584
	v_add_f64 v[48:49], v[48:49], v[55:56]
	s_waitcnt vmcnt(8) lgkmcnt(1)
	v_mul_f64 v[55:56], v[6:7], v[30:31]
	v_mul_f64 v[30:31], v[8:9], v[30:31]
	v_fma_f64 v[58:59], v[66:67], v[24:25], v[58:59]
	v_fma_f64 v[26:27], v[64:65], v[24:25], -v[26:27]
	v_add_f64 v[64:65], v[22:23], v[72:73]
	scratch_load_b128 v[22:25], off, off offset:704
	v_add_f64 v[48:49], v[48:49], v[51:52]
	v_fma_f64 v[55:56], v[8:9], v[28:29], v[55:56]
	v_fma_f64 v[30:31], v[6:7], v[28:29], -v[30:31]
	ds_load_b128 v[6:9], v1 offset:1600
	s_waitcnt vmcnt(8) lgkmcnt(1)
	v_mul_f64 v[51:52], v[68:69], v[16:17]
	v_mul_f64 v[16:17], v[70:71], v[16:17]
	v_add_f64 v[72:73], v[64:65], v[26:27]
	ds_load_b128 v[64:67], v1 offset:1616
	v_add_f64 v[48:49], v[48:49], v[58:59]
	scratch_load_b128 v[26:29], off, off offset:720
	s_waitcnt vmcnt(8) lgkmcnt(1)
	v_mul_f64 v[58:59], v[6:7], v[20:21]
	v_mul_f64 v[20:21], v[8:9], v[20:21]
	v_fma_f64 v[51:52], v[70:71], v[14:15], v[51:52]
	v_fma_f64 v[68:69], v[68:69], v[14:15], -v[16:17]
	scratch_load_b128 v[14:17], off, off offset:736
	v_add_f64 v[30:31], v[72:73], v[30:31]
	v_add_f64 v[48:49], v[48:49], v[55:56]
	s_waitcnt vmcnt(8) lgkmcnt(0)
	v_mul_f64 v[55:56], v[64:65], v[62:63]
	v_mul_f64 v[62:63], v[66:67], v[62:63]
	v_fma_f64 v[58:59], v[8:9], v[18:19], v[58:59]
	v_fma_f64 v[72:73], v[6:7], v[18:19], -v[20:21]
	ds_load_b128 v[6:9], v1 offset:1632
	scratch_load_b128 v[18:21], off, off offset:752
	v_add_f64 v[30:31], v[30:31], v[68:69]
	ds_load_b128 v[68:71], v1 offset:1648
	v_add_f64 v[48:49], v[48:49], v[51:52]
	v_fma_f64 v[55:56], v[66:67], v[60:61], v[55:56]
	v_fma_f64 v[62:63], v[64:65], v[60:61], -v[62:63]
	s_waitcnt vmcnt(8) lgkmcnt(1)
	v_mul_f64 v[51:52], v[6:7], v[12:13]
	v_mul_f64 v[12:13], v[8:9], v[12:13]
	s_waitcnt vmcnt(7) lgkmcnt(0)
	v_mul_f64 v[66:67], v[68:69], v[42:43]
	v_mul_f64 v[42:43], v[70:71], v[42:43]
	v_add_f64 v[30:31], v[30:31], v[72:73]
	v_add_f64 v[48:49], v[48:49], v[58:59]
	scratch_load_b128 v[58:61], off, off offset:768
	v_fma_f64 v[51:52], v[8:9], v[10:11], v[51:52]
	v_fma_f64 v[72:73], v[6:7], v[10:11], -v[12:13]
	ds_load_b128 v[6:9], v1 offset:1664
	scratch_load_b128 v[10:13], off, off offset:784
	v_fma_f64 v[66:67], v[70:71], v[40:41], v[66:67]
	v_fma_f64 v[68:69], v[68:69], v[40:41], -v[42:43]
	scratch_load_b128 v[40:43], off, off offset:800
	v_add_f64 v[30:31], v[30:31], v[62:63]
	ds_load_b128 v[62:65], v1 offset:1680
	v_add_f64 v[48:49], v[48:49], v[55:56]
	s_waitcnt vmcnt(9) lgkmcnt(1)
	v_mul_f64 v[55:56], v[6:7], v[46:47]
	v_mul_f64 v[46:47], v[8:9], v[46:47]
	v_add_f64 v[30:31], v[30:31], v[72:73]
	s_delay_alu instid0(VALU_DEP_4)
	v_add_f64 v[48:49], v[48:49], v[51:52]
	s_waitcnt vmcnt(8) lgkmcnt(0)
	v_mul_f64 v[51:52], v[62:63], v[34:35]
	v_mul_f64 v[34:35], v[64:65], v[34:35]
	v_fma_f64 v[55:56], v[8:9], v[44:45], v[55:56]
	v_fma_f64 v[70:71], v[6:7], v[44:45], -v[46:47]
	ds_load_b128 v[6:9], v1 offset:1696
	scratch_load_b128 v[44:47], off, off offset:816
	v_add_f64 v[30:31], v[30:31], v[68:69]
	v_add_f64 v[48:49], v[48:49], v[66:67]
	ds_load_b128 v[66:69], v1 offset:1712
	s_waitcnt vmcnt(8) lgkmcnt(1)
	v_mul_f64 v[72:73], v[6:7], v[38:39]
	v_mul_f64 v[38:39], v[8:9], v[38:39]
	v_fma_f64 v[51:52], v[64:65], v[32:33], v[51:52]
	v_fma_f64 v[34:35], v[62:63], v[32:33], -v[34:35]
	v_add_f64 v[62:63], v[30:31], v[70:71]
	scratch_load_b128 v[30:33], off, off offset:832
	v_add_f64 v[48:49], v[48:49], v[55:56]
	v_fma_f64 v[70:71], v[8:9], v[36:37], v[72:73]
	v_fma_f64 v[38:39], v[6:7], v[36:37], -v[38:39]
	ds_load_b128 v[6:9], v1 offset:1728
	s_waitcnt vmcnt(8) lgkmcnt(1)
	v_mul_f64 v[55:56], v[66:67], v[24:25]
	v_mul_f64 v[24:25], v[68:69], v[24:25]
	v_add_f64 v[72:73], v[62:63], v[34:35]
	ds_load_b128 v[62:65], v1 offset:1744
	v_add_f64 v[48:49], v[48:49], v[51:52]
	scratch_load_b128 v[34:37], off, off offset:848
	v_fma_f64 v[55:56], v[68:69], v[22:23], v[55:56]
	v_fma_f64 v[66:67], v[66:67], v[22:23], -v[24:25]
	scratch_load_b128 v[22:25], off, off offset:864
	s_waitcnt vmcnt(9) lgkmcnt(1)
	v_mul_f64 v[51:52], v[6:7], v[28:29]
	v_mul_f64 v[28:29], v[8:9], v[28:29]
	v_add_f64 v[38:39], v[72:73], v[38:39]
	v_add_f64 v[48:49], v[48:49], v[70:71]
	s_waitcnt vmcnt(8) lgkmcnt(0)
	v_mul_f64 v[70:71], v[62:63], v[16:17]
	v_mul_f64 v[16:17], v[64:65], v[16:17]
	v_fma_f64 v[51:52], v[8:9], v[26:27], v[51:52]
	v_fma_f64 v[72:73], v[6:7], v[26:27], -v[28:29]
	ds_load_b128 v[6:9], v1 offset:1760
	scratch_load_b128 v[26:29], off, off offset:880
	v_add_f64 v[38:39], v[38:39], v[66:67]
	ds_load_b128 v[66:69], v1 offset:1776
	v_add_f64 v[48:49], v[48:49], v[55:56]
	v_fma_f64 v[64:65], v[64:65], v[14:15], v[70:71]
	s_waitcnt vmcnt(8) lgkmcnt(1)
	v_mul_f64 v[55:56], v[6:7], v[20:21]
	v_mul_f64 v[20:21], v[8:9], v[20:21]
	v_fma_f64 v[62:63], v[62:63], v[14:15], -v[16:17]
	scratch_load_b128 v[14:17], off, off offset:896
	v_add_f64 v[38:39], v[38:39], v[72:73]
	v_add_f64 v[48:49], v[48:49], v[51:52]
	v_fma_f64 v[55:56], v[8:9], v[18:19], v[55:56]
	v_fma_f64 v[72:73], v[6:7], v[18:19], -v[20:21]
	ds_load_b128 v[6:9], v1 offset:1792
	scratch_load_b128 v[18:21], off, off offset:912
	s_waitcnt vmcnt(9) lgkmcnt(1)
	v_mul_f64 v[51:52], v[66:67], v[60:61]
	v_mul_f64 v[70:71], v[68:69], v[60:61]
	v_add_f64 v[38:39], v[38:39], v[62:63]
	ds_load_b128 v[60:63], v1 offset:1808
	v_add_f64 v[48:49], v[48:49], v[64:65]
	s_waitcnt vmcnt(8) lgkmcnt(1)
	v_mul_f64 v[74:75], v[6:7], v[12:13]
	v_mul_f64 v[12:13], v[8:9], v[12:13]
	v_fma_f64 v[51:52], v[68:69], v[58:59], v[51:52]
	v_fma_f64 v[58:59], v[66:67], v[58:59], -v[70:71]
	scratch_load_b128 v[64:67], off, off offset:928
	ds_load_b128 v[68:71], v1 offset:1840
	v_add_f64 v[38:39], v[38:39], v[72:73]
	v_add_f64 v[48:49], v[48:49], v[55:56]
	s_waitcnt vmcnt(8) lgkmcnt(1)
	v_mul_f64 v[55:56], v[60:61], v[42:43]
	v_mul_f64 v[42:43], v[62:63], v[42:43]
	v_fma_f64 v[72:73], v[8:9], v[10:11], v[74:75]
	v_fma_f64 v[74:75], v[6:7], v[10:11], -v[12:13]
	ds_load_b128 v[6:9], v1 offset:1824
	scratch_load_b128 v[10:13], off, off offset:944
	v_add_f64 v[38:39], v[38:39], v[58:59]
	v_add_f64 v[48:49], v[48:49], v[51:52]
	s_waitcnt vmcnt(8) lgkmcnt(0)
	v_mul_f64 v[51:52], v[6:7], v[46:47]
	v_mul_f64 v[46:47], v[8:9], v[46:47]
	v_fma_f64 v[55:56], v[62:63], v[40:41], v[55:56]
	v_fma_f64 v[42:43], v[60:61], v[40:41], -v[42:43]
	v_add_f64 v[58:59], v[38:39], v[74:75]
	scratch_load_b128 v[38:41], off, off offset:960
	v_add_f64 v[48:49], v[48:49], v[72:73]
	v_fma_f64 v[51:52], v[8:9], v[44:45], v[51:52]
	v_fma_f64 v[62:63], v[6:7], v[44:45], -v[46:47]
	ds_load_b128 v[6:9], v1 offset:1856
	s_waitcnt vmcnt(8)
	v_mul_f64 v[60:61], v[68:69], v[32:33]
	v_mul_f64 v[32:33], v[70:71], v[32:33]
	v_add_f64 v[58:59], v[58:59], v[42:43]
	scratch_load_b128 v[42:45], off, off offset:976
	v_add_f64 v[55:56], v[48:49], v[55:56]
	ds_load_b128 v[46:49], v1 offset:1872
	v_fma_f64 v[60:61], v[70:71], v[30:31], v[60:61]
	v_fma_f64 v[68:69], v[68:69], v[30:31], -v[32:33]
	scratch_load_b128 v[30:33], off, off offset:992
	s_waitcnt vmcnt(9) lgkmcnt(1)
	v_mul_f64 v[72:73], v[6:7], v[36:37]
	v_mul_f64 v[36:37], v[8:9], v[36:37]
	v_add_f64 v[58:59], v[58:59], v[62:63]
	v_add_f64 v[51:52], v[55:56], v[51:52]
	s_waitcnt vmcnt(8) lgkmcnt(0)
	v_mul_f64 v[55:56], v[46:47], v[24:25]
	v_mul_f64 v[24:25], v[48:49], v[24:25]
	v_fma_f64 v[62:63], v[8:9], v[34:35], v[72:73]
	v_fma_f64 v[70:71], v[6:7], v[34:35], -v[36:37]
	ds_load_b128 v[6:9], v1 offset:1888
	ds_load_b128 v[34:37], v1 offset:1904
	v_add_f64 v[58:59], v[58:59], v[68:69]
	v_add_f64 v[51:52], v[51:52], v[60:61]
	s_waitcnt vmcnt(7) lgkmcnt(1)
	v_mul_f64 v[60:61], v[6:7], v[28:29]
	v_mul_f64 v[28:29], v[8:9], v[28:29]
	v_fma_f64 v[48:49], v[48:49], v[22:23], v[55:56]
	v_fma_f64 v[22:23], v[46:47], v[22:23], -v[24:25]
	v_add_f64 v[24:25], v[58:59], v[70:71]
	v_add_f64 v[46:47], v[51:52], v[62:63]
	s_waitcnt vmcnt(6) lgkmcnt(0)
	v_mul_f64 v[51:52], v[34:35], v[16:17]
	v_mul_f64 v[16:17], v[36:37], v[16:17]
	v_fma_f64 v[55:56], v[8:9], v[26:27], v[60:61]
	v_fma_f64 v[26:27], v[6:7], v[26:27], -v[28:29]
	v_add_f64 v[28:29], v[24:25], v[22:23]
	ds_load_b128 v[6:9], v1 offset:1920
	ds_load_b128 v[22:25], v1 offset:1936
	v_add_f64 v[46:47], v[46:47], v[48:49]
	v_fma_f64 v[36:37], v[36:37], v[14:15], v[51:52]
	v_fma_f64 v[14:15], v[34:35], v[14:15], -v[16:17]
	s_waitcnt vmcnt(5) lgkmcnt(1)
	v_mul_f64 v[48:49], v[6:7], v[20:21]
	v_mul_f64 v[20:21], v[8:9], v[20:21]
	s_waitcnt vmcnt(4) lgkmcnt(0)
	v_mul_f64 v[34:35], v[24:25], v[66:67]
	v_add_f64 v[16:17], v[28:29], v[26:27]
	v_mul_f64 v[28:29], v[22:23], v[66:67]
	v_add_f64 v[26:27], v[46:47], v[55:56]
	v_fma_f64 v[46:47], v[8:9], v[18:19], v[48:49]
	v_fma_f64 v[18:19], v[6:7], v[18:19], -v[20:21]
	v_fma_f64 v[22:23], v[22:23], v[64:65], -v[34:35]
	v_add_f64 v[20:21], v[16:17], v[14:15]
	ds_load_b128 v[6:9], v1 offset:1952
	ds_load_b128 v[14:17], v1 offset:1968
	v_add_f64 v[26:27], v[26:27], v[36:37]
	v_fma_f64 v[24:25], v[24:25], v[64:65], v[28:29]
	s_waitcnt vmcnt(3) lgkmcnt(1)
	v_mul_f64 v[36:37], v[6:7], v[12:13]
	v_mul_f64 v[12:13], v[8:9], v[12:13]
	v_add_f64 v[18:19], v[20:21], v[18:19]
	v_add_f64 v[20:21], v[26:27], v[46:47]
	s_waitcnt vmcnt(2) lgkmcnt(0)
	v_mul_f64 v[26:27], v[14:15], v[40:41]
	v_mul_f64 v[28:29], v[16:17], v[40:41]
	v_fma_f64 v[34:35], v[8:9], v[10:11], v[36:37]
	v_fma_f64 v[36:37], v[6:7], v[10:11], -v[12:13]
	ds_load_b128 v[6:9], v1 offset:1984
	ds_load_b128 v[10:13], v1 offset:2000
	v_add_f64 v[18:19], v[18:19], v[22:23]
	v_add_f64 v[20:21], v[20:21], v[24:25]
	s_waitcnt vmcnt(1) lgkmcnt(1)
	v_mul_f64 v[22:23], v[6:7], v[44:45]
	v_mul_f64 v[24:25], v[8:9], v[44:45]
	v_fma_f64 v[16:17], v[16:17], v[38:39], v[26:27]
	v_fma_f64 v[14:15], v[14:15], v[38:39], -v[28:29]
	s_waitcnt vmcnt(0) lgkmcnt(0)
	v_mul_f64 v[26:27], v[10:11], v[32:33]
	v_mul_f64 v[28:29], v[12:13], v[32:33]
	v_add_f64 v[18:19], v[18:19], v[36:37]
	v_add_f64 v[20:21], v[20:21], v[34:35]
	v_fma_f64 v[8:9], v[8:9], v[42:43], v[22:23]
	v_fma_f64 v[6:7], v[6:7], v[42:43], -v[24:25]
	v_fma_f64 v[12:13], v[12:13], v[30:31], v[26:27]
	v_fma_f64 v[10:11], v[10:11], v[30:31], -v[28:29]
	v_add_f64 v[14:15], v[18:19], v[14:15]
	v_add_f64 v[16:17], v[20:21], v[16:17]
	s_delay_alu instid0(VALU_DEP_2) | instskip(NEXT) | instid1(VALU_DEP_2)
	v_add_f64 v[6:7], v[14:15], v[6:7]
	v_add_f64 v[8:9], v[16:17], v[8:9]
	s_delay_alu instid0(VALU_DEP_2) | instskip(NEXT) | instid1(VALU_DEP_2)
	;; [unrolled: 3-line block ×3, first 2 shown]
	v_add_f64 v[1:2], v[2:3], -v[6:7]
	v_add_f64 v[3:4], v[4:5], -v[8:9]
	scratch_store_b128 off, v[1:4], off
	s_cbranch_vccz .LBB126_529
; %bb.404:
	v_dual_mov_b32 v1, s8 :: v_dual_mov_b32 v2, s9
	s_load_b64 s[0:1], s[0:1], 0x4
	flat_load_b32 v1, v[1:2] offset:244
	v_bfe_u32 v2, v0, 10, 10
	v_bfe_u32 v0, v0, 20, 10
	s_waitcnt lgkmcnt(0)
	s_lshr_b32 s0, s0, 16
	s_delay_alu instid0(VALU_DEP_2) | instskip(SKIP_1) | instid1(SALU_CYCLE_1)
	v_mul_u32_u24_e32 v2, s1, v2
	s_mul_i32 s0, s0, s1
	v_mul_u32_u24_e32 v3, s0, v179
	s_delay_alu instid0(VALU_DEP_1) | instskip(NEXT) | instid1(VALU_DEP_1)
	v_add3_u32 v0, v3, v2, v0
	v_lshl_add_u32 v0, v0, 4, 0x7e8
	s_waitcnt vmcnt(0)
	v_cmp_ne_u32_e32 vcc_lo, 62, v1
	s_mov_b32 s0, exec_lo
	scratch_load_b32 v10, off, off offset:1348 ; 4-byte Folded Reload
	s_and_b32 s1, s0, vcc_lo
	s_delay_alu instid0(SALU_CYCLE_1)
	s_mov_b32 exec_lo, s1
	s_cbranch_execz .LBB126_406
; %bb.405:
	v_lshl_add_u32 v9, v1, 4, 0
	s_waitcnt vmcnt(0)
	s_clause 0x1
	scratch_load_b128 v[1:4], v10, off
	scratch_load_b128 v[5:8], v9, off offset:-16
	s_waitcnt vmcnt(1)
	ds_store_2addr_b64 v0, v[1:2], v[3:4] offset1:1
	s_waitcnt vmcnt(0)
	s_clause 0x1
	scratch_store_b128 v10, v[5:8], off
	scratch_store_b128 v9, v[1:4], off offset:-16
.LBB126_406:
	s_or_b32 exec_lo, exec_lo, s0
	v_dual_mov_b32 v1, s8 :: v_dual_mov_b32 v2, s9
	flat_load_b32 v1, v[1:2] offset:240
	s_waitcnt vmcnt(0) lgkmcnt(0)
	v_cmp_ne_u32_e32 vcc_lo, 61, v1
	s_mov_b32 s0, exec_lo
	s_clause 0x1f
	scratch_load_b32 v10, off, off offset:1352
	scratch_load_b32 v11, off, off offset:1356
	;; [unrolled: 1-line block ×32, first 2 shown]
	s_clause 0x6
	scratch_load_b32 v42, off, off offset:1480
	scratch_load_b32 v43, off, off offset:1484
	scratch_load_b32 v44, off, off offset:1488
	scratch_load_b32 v45, off, off offset:1492
	scratch_load_b32 v46, off, off offset:1496
	scratch_load_b32 v47, off, off offset:1500
	scratch_load_b32 v48, off, off offset:1504
	s_and_b32 s1, s0, vcc_lo
	s_delay_alu instid0(SALU_CYCLE_1)
	s_mov_b32 exec_lo, s1
	s_cbranch_execz .LBB126_408
; %bb.407:
	v_lshl_add_u32 v9, v1, 4, 0
	s_waitcnt vmcnt(38)
	s_clause 0x1
	scratch_load_b128 v[1:4], v10, off
	scratch_load_b128 v[5:8], v9, off offset:-16
	s_waitcnt vmcnt(1)
	ds_store_2addr_b64 v0, v[1:2], v[3:4] offset1:1
	s_waitcnt vmcnt(0)
	s_clause 0x1
	scratch_store_b128 v10, v[5:8], off
	scratch_store_b128 v9, v[1:4], off offset:-16
.LBB126_408:
	s_or_b32 exec_lo, exec_lo, s0
	v_dual_mov_b32 v1, s8 :: v_dual_mov_b32 v2, s9
	s_mov_b32 s0, exec_lo
	flat_load_b32 v1, v[1:2] offset:236
	s_waitcnt vmcnt(0) lgkmcnt(0)
	v_cmpx_ne_u32_e32 60, v1
	s_cbranch_execz .LBB126_410
; %bb.409:
	v_lshl_add_u32 v9, v1, 4, 0
	s_clause 0x1
	scratch_load_b128 v[1:4], v11, off
	scratch_load_b128 v[5:8], v9, off offset:-16
	s_waitcnt vmcnt(1)
	ds_store_2addr_b64 v0, v[1:2], v[3:4] offset1:1
	s_waitcnt vmcnt(0)
	s_clause 0x1
	scratch_store_b128 v11, v[5:8], off
	scratch_store_b128 v9, v[1:4], off offset:-16
.LBB126_410:
	s_or_b32 exec_lo, exec_lo, s0
	v_dual_mov_b32 v1, s8 :: v_dual_mov_b32 v2, s9
	s_mov_b32 s0, exec_lo
	flat_load_b32 v1, v[1:2] offset:232
	s_waitcnt vmcnt(0) lgkmcnt(0)
	v_cmpx_ne_u32_e32 59, v1
	s_cbranch_execz .LBB126_412
; %bb.411:
	v_lshl_add_u32 v9, v1, 4, 0
	s_clause 0x1
	scratch_load_b128 v[1:4], v12, off
	scratch_load_b128 v[5:8], v9, off offset:-16
	s_waitcnt vmcnt(1)
	ds_store_2addr_b64 v0, v[1:2], v[3:4] offset1:1
	s_waitcnt vmcnt(0)
	s_clause 0x1
	scratch_store_b128 v12, v[5:8], off
	scratch_store_b128 v9, v[1:4], off offset:-16
.LBB126_412:
	;; [unrolled: 19-line block ×42, first 2 shown]
	s_or_b32 exec_lo, exec_lo, s0
	v_dual_mov_b32 v1, s8 :: v_dual_mov_b32 v2, s9
	s_mov_b32 s0, exec_lo
	flat_load_b32 v1, v[1:2] offset:68
	s_waitcnt vmcnt(0) lgkmcnt(0)
	v_cmpx_ne_u32_e32 18, v1
	s_cbranch_execz .LBB126_494
; %bb.493:
	scratch_load_b32 v10, off, off offset:1008 ; 4-byte Folded Reload
	v_lshl_add_u32 v9, v1, 4, 0
	s_waitcnt vmcnt(0)
	s_clause 0x1
	scratch_load_b128 v[1:4], v10, off
	scratch_load_b128 v[5:8], v9, off offset:-16
	s_waitcnt vmcnt(1)
	ds_store_2addr_b64 v0, v[1:2], v[3:4] offset1:1
	s_waitcnt vmcnt(0)
	s_clause 0x1
	scratch_store_b128 v10, v[5:8], off
	scratch_store_b128 v9, v[1:4], off offset:-16
.LBB126_494:
	s_or_b32 exec_lo, exec_lo, s0
	v_dual_mov_b32 v1, s8 :: v_dual_mov_b32 v2, s9
	s_mov_b32 s0, exec_lo
	flat_load_b32 v1, v[1:2] offset:64
	s_waitcnt vmcnt(0) lgkmcnt(0)
	v_cmpx_ne_u32_e32 17, v1
	s_cbranch_execz .LBB126_496
; %bb.495:
	scratch_load_b32 v10, off, off offset:1012 ; 4-byte Folded Reload
	v_lshl_add_u32 v9, v1, 4, 0
	s_waitcnt vmcnt(0)
	s_clause 0x1
	scratch_load_b128 v[1:4], v10, off
	scratch_load_b128 v[5:8], v9, off offset:-16
	s_waitcnt vmcnt(1)
	ds_store_2addr_b64 v0, v[1:2], v[3:4] offset1:1
	s_waitcnt vmcnt(0)
	s_clause 0x1
	scratch_store_b128 v10, v[5:8], off
	scratch_store_b128 v9, v[1:4], off offset:-16
.LBB126_496:
	;; [unrolled: 21-line block ×13, first 2 shown]
	s_or_b32 exec_lo, exec_lo, s0
	v_dual_mov_b32 v1, s8 :: v_dual_mov_b32 v2, s9
	s_mov_b32 s0, exec_lo
	flat_load_b32 v1, v[1:2] offset:16
	s_waitcnt vmcnt(0) lgkmcnt(0)
	v_cmpx_ne_u32_e32 5, v1
	s_cbranch_execz .LBB126_520
; %bb.519:
	v_add_nc_u32_e64 v10, 0, 64
	v_lshl_add_u32 v9, v1, 4, 0
	s_clause 0x1
	scratch_load_b128 v[1:4], v10, off
	scratch_load_b128 v[5:8], v9, off offset:-16
	s_waitcnt vmcnt(1)
	ds_store_2addr_b64 v0, v[1:2], v[3:4] offset1:1
	s_waitcnt vmcnt(0)
	s_clause 0x1
	scratch_store_b128 v10, v[5:8], off
	scratch_store_b128 v9, v[1:4], off offset:-16
.LBB126_520:
	s_or_b32 exec_lo, exec_lo, s0
	v_dual_mov_b32 v1, s8 :: v_dual_mov_b32 v2, s9
	s_mov_b32 s0, exec_lo
	flat_load_b32 v1, v[1:2] offset:12
	s_waitcnt vmcnt(0) lgkmcnt(0)
	v_cmpx_ne_u32_e32 4, v1
	s_cbranch_execz .LBB126_522
; %bb.521:
	v_add_nc_u32_e64 v10, 0, 48
	v_lshl_add_u32 v9, v1, 4, 0
	s_clause 0x1
	scratch_load_b128 v[1:4], v10, off
	scratch_load_b128 v[5:8], v9, off offset:-16
	s_waitcnt vmcnt(1)
	ds_store_2addr_b64 v0, v[1:2], v[3:4] offset1:1
	s_waitcnt vmcnt(0)
	s_clause 0x1
	scratch_store_b128 v10, v[5:8], off
	scratch_store_b128 v9, v[1:4], off offset:-16
.LBB126_522:
	s_or_b32 exec_lo, exec_lo, s0
	v_dual_mov_b32 v1, s8 :: v_dual_mov_b32 v2, s9
	s_mov_b32 s0, exec_lo
	flat_load_b32 v1, v[1:2] offset:8
	s_waitcnt vmcnt(0) lgkmcnt(0)
	v_cmpx_ne_u32_e32 3, v1
	s_cbranch_execz .LBB126_524
; %bb.523:
	v_lshl_add_u32 v9, v1, 4, 0
	s_clause 0x1
	scratch_load_b128 v[1:4], v251, off
	scratch_load_b128 v[5:8], v9, off offset:-16
	s_waitcnt vmcnt(1)
	ds_store_2addr_b64 v0, v[1:2], v[3:4] offset1:1
	s_waitcnt vmcnt(0)
	s_clause 0x1
	scratch_store_b128 v251, v[5:8], off
	scratch_store_b128 v9, v[1:4], off offset:-16
.LBB126_524:
	s_or_b32 exec_lo, exec_lo, s0
	v_dual_mov_b32 v1, s8 :: v_dual_mov_b32 v2, s9
	s_mov_b32 s0, exec_lo
	flat_load_b32 v1, v[1:2] offset:4
	s_waitcnt vmcnt(0) lgkmcnt(0)
	v_cmpx_ne_u32_e32 2, v1
	s_cbranch_execz .LBB126_526
; %bb.525:
	v_lshl_add_u32 v9, v1, 4, 0
	s_clause 0x1
	scratch_load_b128 v[1:4], v237, off
	scratch_load_b128 v[5:8], v9, off offset:-16
	s_waitcnt vmcnt(1)
	ds_store_2addr_b64 v0, v[1:2], v[3:4] offset1:1
	s_waitcnt vmcnt(0)
	s_clause 0x1
	scratch_store_b128 v237, v[5:8], off
	scratch_store_b128 v9, v[1:4], off offset:-16
.LBB126_526:
	s_or_b32 exec_lo, exec_lo, s0
	v_dual_mov_b32 v1, s8 :: v_dual_mov_b32 v2, s9
	s_mov_b32 s0, exec_lo
	flat_load_b32 v1, v[1:2]
	s_waitcnt vmcnt(0) lgkmcnt(0)
	v_cmpx_ne_u32_e32 1, v1
	s_cbranch_execz .LBB126_528
; %bb.527:
	v_lshl_add_u32 v9, v1, 4, 0
	scratch_load_b128 v[1:4], off, off
	scratch_load_b128 v[5:8], v9, off offset:-16
	s_waitcnt vmcnt(1)
	ds_store_2addr_b64 v0, v[1:2], v[3:4] offset1:1
	s_waitcnt vmcnt(0)
	scratch_store_b128 off, v[5:8], off
	scratch_store_b128 v9, v[1:4], off offset:-16
.LBB126_528:
	s_or_b32 exec_lo, exec_lo, s0
.LBB126_529:
	v_add_nc_u32_e64 v12, 0, 48
	v_add_nc_u32_e64 v16, 0, 64
	scratch_load_b128 v[0:3], off, off
	s_clause 0x3
	scratch_load_b128 v[4:7], v237, off
	scratch_load_b128 v[8:11], v251, off
	;; [unrolled: 1-line block ×4, first 2 shown]
	scratch_load_b32 v20, off, off offset:1056 ; 4-byte Folded Reload
	s_waitcnt vmcnt(0)
	scratch_load_b128 v[20:23], v20, off
	scratch_load_b32 v24, off, off offset:1052 ; 4-byte Folded Reload
	s_waitcnt vmcnt(0)
	scratch_load_b128 v[24:27], v24, off
	;; [unrolled: 3-line block ×15, first 2 shown]
	scratch_load_b32 v48, off, off offset:1460 ; 4-byte Folded Reload
	global_store_b128 v[53:54], v[0:3], off
	scratch_load_b32 v0, off, off offset:1452 ; 4-byte Folded Reload
	s_waitcnt vmcnt(1)
	scratch_load_b128 v[179:182], v48, off
	s_waitcnt vmcnt(1)
	s_clause 0x1
	scratch_load_b128 v[0:3], v0, off
	scratch_load_b128 v[48:51], v50, off
	scratch_load_b64 v[52:53], off, off offset:1060 ; 8-byte Folded Reload
	s_waitcnt vmcnt(0)
	global_store_b128 v[52:53], v[4:7], off
	s_clause 0x1
	scratch_load_b128 v[4:7], v88, off
	scratch_load_b128 v[53:56], v57, off
	scratch_load_b64 v[74:75], off, off offset:1068 ; 8-byte Folded Reload
	s_waitcnt vmcnt(0)
	global_store_b128 v[74:75], v[8:11], off
	scratch_load_b128 v[8:11], v210, off
	scratch_load_b32 v52, off, off offset:1504 ; 4-byte Folded Reload
	s_waitcnt vmcnt(0)
	scratch_load_b128 v[229:232], v52, off
	scratch_load_b64 v[74:75], off, off offset:1076 ; 8-byte Folded Reload
	s_waitcnt vmcnt(0)
	global_store_b128 v[74:75], v[12:15], off
	scratch_load_b32 v12, off, off offset:1500 ; 4-byte Folded Reload
	s_waitcnt vmcnt(0)
	scratch_load_b128 v[12:15], v12, off
	scratch_load_b32 v52, off, off offset:1496 ; 4-byte Folded Reload
	s_waitcnt vmcnt(0)
	scratch_load_b128 v[223:226], v52, off
	scratch_load_b64 v[74:75], off, off offset:1084 ; 8-byte Folded Reload
	s_waitcnt vmcnt(0)
	global_store_b128 v[74:75], v[16:19], off
	scratch_load_b32 v16, off, off offset:1492 ; 4-byte Folded Reload
	s_waitcnt vmcnt(0)
	;; [unrolled: 9-line block ×9, first 2 shown]
	scratch_load_b128 v[44:47], v44, off
	scratch_load_b32 v52, off, off offset:1416 ; 4-byte Folded Reload
	s_waitcnt vmcnt(0)
	scratch_load_b128 v[195:198], v52, off
	s_clause 0x1
	scratch_load_b64 v[74:75], off, off offset:1148
	scratch_load_b32 v52, off, off offset:1412
	s_waitcnt vmcnt(1)
	global_store_b128 v[74:75], v[58:61], off
	s_waitcnt vmcnt(0)
	scratch_load_b128 v[58:61], v52, off
	scratch_load_b32 v52, off, off offset:1408 ; 4-byte Folded Reload
	s_waitcnt vmcnt(0)
	scratch_load_b128 v[75:78], v52, off
	s_clause 0x1
	scratch_load_b64 v[79:80], off, off offset:1156
	scratch_load_b32 v52, off, off offset:1404
	s_waitcnt vmcnt(1)
	global_store_b128 v[79:80], v[62:65], off
	s_waitcnt vmcnt(0)
	;; [unrolled: 10-line block ×9, first 2 shown]
	scratch_load_b128 v[179:182], v52, off
	scratch_load_b32 v52, off, off offset:1508 ; 4-byte Folded Reload
	s_waitcnt vmcnt(0)
	scratch_load_b128 v[99:102], v52, off
	scratch_load_b64 v[103:104], off, off offset:1220 ; 8-byte Folded Reload
	s_waitcnt vmcnt(0)
	global_store_b128 v[103:104], v[0:3], off
	scratch_load_b64 v[0:1], off, off offset:1228 ; 8-byte Folded Reload
	s_waitcnt vmcnt(0)
	global_store_b128 v[0:1], v[48:51], off
	;; [unrolled: 3-line block ×15, first 2 shown]
	scratch_load_b64 v[0:1], off, off offset:1340 ; 8-byte Folded Reload
	s_waitcnt vmcnt(0)
	s_clause 0x1a
	global_store_b128 v[0:1], v[203:206], off
	global_store_b128 v[127:128], v[32:35], off
	global_store_b128 v[129:130], v[183:186], off
	global_store_b128 v[131:132], v[36:39], off
	global_store_b128 v[133:134], v[199:202], off
	global_store_b128 v[135:136], v[40:43], off
	global_store_b128 v[137:138], v[233:236], off
	global_store_b128 v[139:140], v[44:47], off
	global_store_b128 v[141:142], v[195:198], off
	global_store_b128 v[143:144], v[58:61], off
	global_store_b128 v[145:146], v[75:78], off
	global_store_b128 v[147:148], v[62:65], off
	global_store_b128 v[149:150], v[191:194], off
	global_store_b128 v[151:152], v[66:69], off
	global_store_b128 v[153:154], v[79:82], off
	global_store_b128 v[155:156], v[70:73], off
	global_store_b128 v[157:158], v[187:190], off
	global_store_b128 v[159:160], v[83:86], off
	global_store_b128 v[161:162], v[237:240], off
	global_store_b128 v[163:164], v[241:244], off
	global_store_b128 v[165:166], v[87:90], off
	global_store_b128 v[167:168], v[245:248], off
	global_store_b128 v[169:170], v[91:94], off
	global_store_b128 v[171:172], v[249:252], off
	global_store_b128 v[173:174], v[95:98], off
	global_store_b128 v[175:176], v[179:182], off
	global_store_b128 v[177:178], v[99:102], off
	s_endpgm
	.section	.rodata,"a",@progbits
	.p2align	6, 0x0
	.amdhsa_kernel _ZN9rocsolver6v33100L18getri_kernel_smallILi63E19rocblas_complex_numIdEPKPS3_EEvT1_iilPiilS8_bb
		.amdhsa_group_segment_fixed_size 3048
		.amdhsa_private_segment_fixed_size 1520
		.amdhsa_kernarg_size 60
		.amdhsa_user_sgpr_count 15
		.amdhsa_user_sgpr_dispatch_ptr 1
		.amdhsa_user_sgpr_queue_ptr 0
		.amdhsa_user_sgpr_kernarg_segment_ptr 1
		.amdhsa_user_sgpr_dispatch_id 0
		.amdhsa_user_sgpr_private_segment_size 0
		.amdhsa_wavefront_size32 1
		.amdhsa_uses_dynamic_stack 0
		.amdhsa_enable_private_segment 1
		.amdhsa_system_sgpr_workgroup_id_x 1
		.amdhsa_system_sgpr_workgroup_id_y 0
		.amdhsa_system_sgpr_workgroup_id_z 0
		.amdhsa_system_sgpr_workgroup_info 0
		.amdhsa_system_vgpr_workitem_id 2
		.amdhsa_next_free_vgpr 256
		.amdhsa_next_free_sgpr 69
		.amdhsa_reserve_vcc 1
		.amdhsa_float_round_mode_32 0
		.amdhsa_float_round_mode_16_64 0
		.amdhsa_float_denorm_mode_32 3
		.amdhsa_float_denorm_mode_16_64 3
		.amdhsa_dx10_clamp 1
		.amdhsa_ieee_mode 1
		.amdhsa_fp16_overflow 0
		.amdhsa_workgroup_processor_mode 1
		.amdhsa_memory_ordered 1
		.amdhsa_forward_progress 0
		.amdhsa_shared_vgpr_count 0
		.amdhsa_exception_fp_ieee_invalid_op 0
		.amdhsa_exception_fp_denorm_src 0
		.amdhsa_exception_fp_ieee_div_zero 0
		.amdhsa_exception_fp_ieee_overflow 0
		.amdhsa_exception_fp_ieee_underflow 0
		.amdhsa_exception_fp_ieee_inexact 0
		.amdhsa_exception_int_div_zero 0
	.end_amdhsa_kernel
	.section	.text._ZN9rocsolver6v33100L18getri_kernel_smallILi63E19rocblas_complex_numIdEPKPS3_EEvT1_iilPiilS8_bb,"axG",@progbits,_ZN9rocsolver6v33100L18getri_kernel_smallILi63E19rocblas_complex_numIdEPKPS3_EEvT1_iilPiilS8_bb,comdat
.Lfunc_end126:
	.size	_ZN9rocsolver6v33100L18getri_kernel_smallILi63E19rocblas_complex_numIdEPKPS3_EEvT1_iilPiilS8_bb, .Lfunc_end126-_ZN9rocsolver6v33100L18getri_kernel_smallILi63E19rocblas_complex_numIdEPKPS3_EEvT1_iilPiilS8_bb
                                        ; -- End function
	.section	.AMDGPU.csdata,"",@progbits
; Kernel info:
; codeLenInByte = 183848
; NumSgprs: 71
; NumVgprs: 256
; ScratchSize: 1520
; MemoryBound: 0
; FloatMode: 240
; IeeeMode: 1
; LDSByteSize: 3048 bytes/workgroup (compile time only)
; SGPRBlocks: 8
; VGPRBlocks: 31
; NumSGPRsForWavesPerEU: 71
; NumVGPRsForWavesPerEU: 256
; Occupancy: 5
; WaveLimiterHint : 1
; COMPUTE_PGM_RSRC2:SCRATCH_EN: 1
; COMPUTE_PGM_RSRC2:USER_SGPR: 15
; COMPUTE_PGM_RSRC2:TRAP_HANDLER: 0
; COMPUTE_PGM_RSRC2:TGID_X_EN: 1
; COMPUTE_PGM_RSRC2:TGID_Y_EN: 0
; COMPUTE_PGM_RSRC2:TGID_Z_EN: 0
; COMPUTE_PGM_RSRC2:TIDIG_COMP_CNT: 2
	.section	.text._ZN9rocsolver6v33100L18getri_kernel_smallILi64E19rocblas_complex_numIdEPKPS3_EEvT1_iilPiilS8_bb,"axG",@progbits,_ZN9rocsolver6v33100L18getri_kernel_smallILi64E19rocblas_complex_numIdEPKPS3_EEvT1_iilPiilS8_bb,comdat
	.globl	_ZN9rocsolver6v33100L18getri_kernel_smallILi64E19rocblas_complex_numIdEPKPS3_EEvT1_iilPiilS8_bb ; -- Begin function _ZN9rocsolver6v33100L18getri_kernel_smallILi64E19rocblas_complex_numIdEPKPS3_EEvT1_iilPiilS8_bb
	.p2align	8
	.type	_ZN9rocsolver6v33100L18getri_kernel_smallILi64E19rocblas_complex_numIdEPKPS3_EEvT1_iilPiilS8_bb,@function
_ZN9rocsolver6v33100L18getri_kernel_smallILi64E19rocblas_complex_numIdEPKPS3_EEvT1_iilPiilS8_bb: ; @_ZN9rocsolver6v33100L18getri_kernel_smallILi64E19rocblas_complex_numIdEPKPS3_EEvT1_iilPiilS8_bb
; %bb.0:
	s_mov_b32 s10, s15
	s_clause 0x2
	s_load_b32 s15, s[2:3], 0x38
	s_load_b64 s[8:9], s[2:3], 0x0
	s_load_b128 s[4:7], s[2:3], 0x28
	s_waitcnt lgkmcnt(0)
	s_bitcmp1_b32 s15, 8
	s_cselect_b32 s14, -1, 0
	s_ashr_i32 s11, s10, 31
	s_delay_alu instid0(SALU_CYCLE_1) | instskip(NEXT) | instid1(SALU_CYCLE_1)
	s_lshl_b64 s[12:13], s[10:11], 3
	s_add_u32 s8, s8, s12
	s_addc_u32 s9, s9, s13
	s_load_b64 s[12:13], s[8:9], 0x0
	s_bfe_u32 s8, s15, 0x10008
	s_delay_alu instid0(SALU_CYCLE_1)
	s_cmp_eq_u32 s8, 0
                                        ; implicit-def: $sgpr8_sgpr9
	s_cbranch_scc1 .LBB127_2
; %bb.1:
	s_clause 0x1
	s_load_b32 s8, s[2:3], 0x20
	s_load_b64 s[16:17], s[2:3], 0x18
	s_mul_i32 s5, s10, s5
	s_mul_hi_u32 s9, s10, s4
	s_mul_i32 s18, s11, s4
	s_add_i32 s5, s9, s5
	s_mul_i32 s4, s10, s4
	s_add_i32 s5, s5, s18
	s_delay_alu instid0(SALU_CYCLE_1)
	s_lshl_b64 s[4:5], s[4:5], 2
	s_waitcnt lgkmcnt(0)
	s_ashr_i32 s9, s8, 31
	s_add_u32 s16, s16, s4
	s_addc_u32 s17, s17, s5
	s_lshl_b64 s[4:5], s[8:9], 2
	s_delay_alu instid0(SALU_CYCLE_1)
	s_add_u32 s8, s16, s4
	s_addc_u32 s9, s17, s5
.LBB127_2:
	s_load_b64 s[2:3], s[2:3], 0x8
	v_and_b32_e32 v178, 0x3ff, v0
	s_movk_i32 s18, 0xd0
	s_movk_i32 s19, 0xe0
	;; [unrolled: 1-line block ×4, first 2 shown]
	v_lshlrev_b32_e32 v13, 4, v178
	s_movk_i32 s22, 0x110
	s_movk_i32 s23, 0x120
	;; [unrolled: 1-line block ×13, first 2 shown]
	s_waitcnt lgkmcnt(0)
	v_add3_u32 v4, s3, s3, v178
	s_ashr_i32 s5, s2, 31
	s_mov_b32 s4, s2
	s_mov_b32 s16, s3
	s_lshl_b64 s[4:5], s[4:5], 4
	v_add_nc_u32_e32 v3, s3, v4
	v_ashrrev_i32_e32 v5, 31, v4
	s_add_u32 s4, s12, s4
	s_addc_u32 s5, s13, s5
	v_add_co_u32 v50, s2, s4, v13
	s_delay_alu instid0(VALU_DEP_2)
	v_lshlrev_b64 v[14:15], 4, v[4:5]
	v_ashrrev_i32_e32 v4, 31, v3
	s_ashr_i32 s17, s3, 31
	v_add_co_ci_u32_e64 v51, null, s5, 0, s2
	s_lshl_b64 s[12:13], s[16:17], 4
	v_add_nc_u32_e32 v2, s3, v3
	v_add_co_u32 v16, vcc_lo, v50, s12
	v_lshlrev_b64 v[3:4], 4, v[3:4]
	v_add_co_ci_u32_e32 v17, vcc_lo, s13, v51, vcc_lo
	v_add_co_u32 v18, vcc_lo, s4, v14
	v_add_co_ci_u32_e32 v19, vcc_lo, s5, v15, vcc_lo
	s_delay_alu instid0(VALU_DEP_4)
	v_add_co_u32 v22, vcc_lo, s4, v3
	v_ashrrev_i32_e32 v3, 31, v2
	v_add_co_ci_u32_e32 v23, vcc_lo, s5, v4, vcc_lo
	global_load_b128 v[8:11], v13, s[4:5]
	v_add_nc_u32_e32 v1, s3, v2
	v_lshlrev_b64 v[3:4], 4, v[2:3]
	s_clause 0x1
	scratch_store_b64 off, v[18:19], off offset:1260
	scratch_store_b64 off, v[22:23], off offset:1252
	global_load_b128 v[18:21], v[18:19], off
	v_add_nc_u32_e32 v6, s3, v1
	v_ashrrev_i32_e32 v2, 31, v1
	v_add_co_u32 v3, vcc_lo, s4, v3
	v_add_co_ci_u32_e32 v4, vcc_lo, s5, v4, vcc_lo
	scratch_store_b64 off, v[16:17], off offset:1268 ; 8-byte Folded Spill
	global_load_b128 v[14:17], v[16:17], off
	v_add_nc_u32_e32 v26, s3, v6
	v_ashrrev_i32_e32 v7, 31, v6
	v_lshlrev_b64 v[29:30], 4, v[1:2]
	global_load_b128 v[22:25], v[22:23], off
	scratch_store_b64 off, v[3:4], off offset:1276 ; 8-byte Folded Spill
	v_add_nc_u32_e32 v28, s3, v26
	v_lshlrev_b64 v[6:7], 4, v[6:7]
	v_ashrrev_i32_e32 v27, 31, v26
	v_add_co_u32 v31, vcc_lo, s4, v29
	s_delay_alu instid0(VALU_DEP_4) | instskip(SKIP_3) | instid1(VALU_DEP_4)
	v_add_nc_u32_e32 v34, s3, v28
	v_add_co_ci_u32_e32 v32, vcc_lo, s5, v30, vcc_lo
	v_ashrrev_i32_e32 v29, 31, v28
	v_add_co_u32 v39, vcc_lo, s4, v6
	v_add_nc_u32_e32 v36, s3, v34
	v_lshlrev_b64 v[37:38], 4, v[26:27]
	v_add_co_ci_u32_e32 v40, vcc_lo, s5, v7, vcc_lo
	v_lshlrev_b64 v[6:7], 4, v[28:29]
	global_load_b128 v[26:29], v[31:32], off
	v_add_nc_u32_e32 v5, s3, v36
	v_ashrrev_i32_e32 v35, 31, v34
	s_clause 0x1
	scratch_store_b64 off, v[31:32], off offset:1284
	scratch_store_b64 off, v[39:40], off offset:1292
	global_load_b128 v[30:33], v[39:40], off
	v_add_nc_u32_e32 v42, s3, v5
	v_add_co_u32 v39, vcc_lo, s4, v37
	v_add_co_ci_u32_e32 v40, vcc_lo, s5, v38, vcc_lo
	s_delay_alu instid0(VALU_DEP_3) | instskip(SKIP_3) | instid1(VALU_DEP_4)
	v_add_nc_u32_e32 v52, s3, v42
	v_ashrrev_i32_e32 v37, 31, v36
	v_add_co_u32 v47, vcc_lo, s4, v6
	v_lshlrev_b64 v[43:44], 4, v[34:35]
	v_add_nc_u32_e32 v76, s3, v52
	v_add_co_ci_u32_e32 v48, vcc_lo, s5, v7, vcc_lo
	v_lshlrev_b64 v[45:46], 4, v[36:37]
	v_ashrrev_i32_e32 v6, 31, v5
	s_delay_alu instid0(VALU_DEP_4)
	v_add_nc_u32_e32 v78, s3, v76
	s_clause 0x1
	scratch_store_b64 off, v[39:40], off offset:1300
	scratch_store_b64 off, v[47:48], off offset:1308
	s_clause 0x1
	global_load_b128 v[34:37], v[39:40], off
	global_load_b128 v[38:41], v[47:48], off
	v_add_nc_u32_e32 v80, s3, v78
	v_add_co_u32 v47, vcc_lo, s4, v43
	v_add_co_ci_u32_e32 v48, vcc_lo, s5, v44, vcc_lo
	s_delay_alu instid0(VALU_DEP_3) | instskip(SKIP_3) | instid1(VALU_DEP_4)
	v_add_nc_u32_e32 v82, s3, v80
	v_ashrrev_i32_e32 v43, 31, v42
	v_add_co_u32 v54, vcc_lo, s4, v45
	v_lshlrev_b64 v[5:6], 4, v[5:6]
	v_add_nc_u32_e32 v84, s3, v82
	v_add_co_ci_u32_e32 v55, vcc_lo, s5, v46, vcc_lo
	v_lshlrev_b64 v[74:75], 4, v[42:43]
	v_ashrrev_i32_e32 v53, 31, v52
	s_delay_alu instid0(VALU_DEP_4)
	v_add_nc_u32_e32 v90, s3, v84
	s_clause 0x1
	scratch_store_b64 off, v[47:48], off offset:1316
	scratch_store_b64 off, v[54:55], off offset:1324
	s_clause 0x1
	global_load_b128 v[42:45], v[47:48], off
	global_load_b128 v[46:49], v[54:55], off
	v_add_nc_u32_e32 v92, s3, v90
	v_add_co_u32 v54, vcc_lo, s4, v5
	v_add_co_ci_u32_e32 v55, vcc_lo, s5, v6, vcc_lo
	s_delay_alu instid0(VALU_DEP_3) | instskip(SKIP_3) | instid1(VALU_DEP_4)
	v_add_nc_u32_e32 v94, s3, v92
	v_ashrrev_i32_e32 v77, 31, v76
	v_add_co_u32 v56, vcc_lo, s4, v74
	v_lshlrev_b64 v[5:6], 4, v[52:53]
	v_add_nc_u32_e32 v96, s3, v94
	v_add_co_ci_u32_e32 v57, vcc_lo, s5, v75, vcc_lo
	v_lshlrev_b64 v[52:53], 4, v[76:77]
	v_ashrrev_i32_e32 v79, 31, v78
	s_delay_alu instid0(VALU_DEP_4)
	v_add_nc_u32_e32 v98, s3, v96
	scratch_store_b64 off, v[54:55], off offset:1332 ; 8-byte Folded Spill
	s_clause 0x1
	global_load_b128 v[164:167], v[54:55], off
	global_load_b128 v[168:171], v[56:57], off
	v_add_co_u32 v54, vcc_lo, s4, v5
	v_add_nc_u32_e32 v100, s3, v98
	v_add_co_ci_u32_e32 v55, vcc_lo, s5, v6, vcc_lo
	v_ashrrev_i32_e32 v81, 31, v80
	scratch_store_b64 off, v[56:57], off offset:1340 ; 8-byte Folded Spill
	v_add_nc_u32_e32 v102, s3, v100
	v_add_co_u32 v56, vcc_lo, s4, v52
	v_lshlrev_b64 v[5:6], 4, v[78:79]
	v_add_co_ci_u32_e32 v57, vcc_lo, s5, v53, vcc_lo
	scratch_store_b64 off, v[54:55], off offset:1348 ; 8-byte Folded Spill
	v_add_nc_u32_e32 v104, s3, v102
	v_lshlrev_b64 v[52:53], 4, v[80:81]
	scratch_store_b64 off, v[56:57], off offset:1356 ; 8-byte Folded Spill
	s_clause 0x1
	global_load_b128 v[172:175], v[54:55], off
	global_load_b128 v[179:182], v[56:57], off
	v_add_nc_u32_e32 v106, s3, v104
	v_add_co_u32 v54, vcc_lo, s4, v5
	v_ashrrev_i32_e32 v85, 31, v84
	v_ashrrev_i32_e32 v83, 31, v82
	s_delay_alu instid0(VALU_DEP_4) | instskip(SKIP_2) | instid1(VALU_DEP_3)
	v_add_nc_u32_e32 v108, s3, v106
	v_add_co_ci_u32_e32 v55, vcc_lo, s5, v6, vcc_lo
	v_add_co_u32 v56, vcc_lo, s4, v52
	v_add_nc_u32_e32 v110, s3, v108
	v_add_co_ci_u32_e32 v57, vcc_lo, s5, v53, vcc_lo
	v_lshlrev_b64 v[52:53], 4, v[84:85]
	v_lshlrev_b64 v[5:6], 4, v[82:83]
	s_delay_alu instid0(VALU_DEP_4)
	v_add_nc_u32_e32 v112, s3, v110
	v_ashrrev_i32_e32 v91, 31, v90
	scratch_store_b64 off, v[54:55], off offset:1364 ; 8-byte Folded Spill
	s_clause 0x1
	global_load_b128 v[183:186], v[54:55], off
	global_load_b128 v[187:190], v[56:57], off
	v_add_nc_u32_e32 v114, s3, v112
	v_add_co_u32 v54, vcc_lo, s4, v5
	v_add_co_ci_u32_e32 v55, vcc_lo, s5, v6, vcc_lo
	s_delay_alu instid0(VALU_DEP_3)
	v_add_nc_u32_e32 v116, s3, v114
	v_ashrrev_i32_e32 v93, 31, v92
	scratch_store_b64 off, v[56:57], off offset:1372 ; 8-byte Folded Spill
	v_add_co_u32 v56, vcc_lo, s4, v52
	v_add_nc_u32_e32 v118, s3, v116
	v_lshlrev_b64 v[5:6], 4, v[90:91]
	v_add_co_ci_u32_e32 v57, vcc_lo, s5, v53, vcc_lo
	scratch_store_b64 off, v[54:55], off offset:1380 ; 8-byte Folded Spill
	v_add_nc_u32_e32 v120, s3, v118
	v_lshlrev_b64 v[52:53], 4, v[92:93]
	scratch_store_b64 off, v[56:57], off offset:1388 ; 8-byte Folded Spill
	v_ashrrev_i32_e32 v95, 31, v94
	s_clause 0x1
	global_load_b128 v[191:194], v[54:55], off
	global_load_b128 v[195:198], v[56:57], off
	v_add_nc_u32_e32 v122, s3, v120
	v_add_co_u32 v54, vcc_lo, s4, v5
	v_add_co_ci_u32_e32 v55, vcc_lo, s5, v6, vcc_lo
	s_delay_alu instid0(VALU_DEP_3) | instskip(SKIP_3) | instid1(VALU_DEP_4)
	v_add_nc_u32_e32 v84, s3, v122
	v_lshlrev_b64 v[5:6], 4, v[94:95]
	v_ashrrev_i32_e32 v97, 31, v96
	v_add_co_u32 v56, vcc_lo, s4, v52
	v_add_nc_u32_e32 v124, s3, v84
	v_add_co_ci_u32_e32 v57, vcc_lo, s5, v53, vcc_lo
	s_delay_alu instid0(VALU_DEP_4) | instskip(SKIP_1) | instid1(VALU_DEP_4)
	v_lshlrev_b64 v[52:53], 4, v[96:97]
	v_ashrrev_i32_e32 v99, 31, v98
	v_add_nc_u32_e32 v126, s3, v124
	scratch_store_b64 off, v[54:55], off offset:1396 ; 8-byte Folded Spill
	s_clause 0x1
	global_load_b128 v[199:202], v[54:55], off
	global_load_b128 v[203:206], v[56:57], off
	v_add_co_u32 v54, vcc_lo, s4, v5
	v_add_nc_u32_e32 v92, s3, v126
	v_add_co_ci_u32_e32 v55, vcc_lo, s5, v6, vcc_lo
	v_lshlrev_b64 v[5:6], 4, v[98:99]
	v_ashrrev_i32_e32 v101, 31, v100
	s_delay_alu instid0(VALU_DEP_4)
	v_add_nc_u32_e32 v94, s3, v92
	scratch_store_b64 off, v[56:57], off offset:1404 ; 8-byte Folded Spill
	v_add_co_u32 v56, vcc_lo, s4, v52
	v_add_co_ci_u32_e32 v57, vcc_lo, s5, v53, vcc_lo
	scratch_store_b64 off, v[54:55], off offset:1412 ; 8-byte Folded Spill
	v_add_nc_u32_e32 v132, s3, v94
	v_lshlrev_b64 v[52:53], 4, v[100:101]
	scratch_store_b64 off, v[56:57], off offset:1420 ; 8-byte Folded Spill
	v_ashrrev_i32_e32 v103, 31, v102
	s_clause 0x1
	global_load_b128 v[207:210], v[54:55], off
	global_load_b128 v[211:214], v[56:57], off
	v_add_nc_u32_e32 v96, s3, v132
	v_add_co_u32 v54, vcc_lo, s4, v5
	v_add_co_ci_u32_e32 v55, vcc_lo, s5, v6, vcc_lo
	s_delay_alu instid0(VALU_DEP_3) | instskip(SKIP_3) | instid1(VALU_DEP_4)
	v_add_nc_u32_e32 v98, s3, v96
	v_lshlrev_b64 v[5:6], 4, v[102:103]
	v_ashrrev_i32_e32 v105, 31, v104
	v_add_co_u32 v56, vcc_lo, s4, v52
	v_add_nc_u32_e32 v138, s3, v98
	v_add_co_ci_u32_e32 v57, vcc_lo, s5, v53, vcc_lo
	s_delay_alu instid0(VALU_DEP_4) | instskip(SKIP_1) | instid1(VALU_DEP_4)
	v_lshlrev_b64 v[52:53], 4, v[104:105]
	v_ashrrev_i32_e32 v107, 31, v106
	v_add_nc_u32_e32 v100, s3, v138
	global_load_b128 v[1:4], v[3:4], off
	scratch_store_b64 off, v[54:55], off offset:1428 ; 8-byte Folded Spill
	s_clause 0x1
	global_load_b128 v[215:218], v[54:55], off
	global_load_b128 v[219:222], v[56:57], off
	v_add_nc_u32_e32 v102, s3, v100
	v_add_co_u32 v54, vcc_lo, s4, v5
	v_add_co_ci_u32_e32 v55, vcc_lo, s5, v6, vcc_lo
	s_delay_alu instid0(VALU_DEP_3) | instskip(SKIP_3) | instid1(VALU_DEP_4)
	v_add_nc_u32_e32 v144, s3, v102
	v_ashrrev_i32_e32 v109, 31, v108
	v_add_co_u32 v52, vcc_lo, s4, v52
	v_lshlrev_b64 v[5:6], 4, v[106:107]
	v_add_nc_u32_e32 v104, s3, v144
	v_add_co_ci_u32_e32 v53, vcc_lo, s5, v53, vcc_lo
	v_lshlrev_b64 v[106:107], 4, v[108:109]
	v_ashrrev_i32_e32 v111, 31, v110
	s_delay_alu instid0(VALU_DEP_4)
	v_add_nc_u32_e32 v148, s3, v104
	s_clause 0x2
	scratch_store_b64 off, v[56:57], off offset:1436
	scratch_store_b64 off, v[54:55], off offset:1444
	;; [unrolled: 1-line block ×3, first 2 shown]
	s_clause 0x1
	global_load_b128 v[223:226], v[54:55], off
	global_load_b128 v[227:230], v[52:53], off
	v_add_nc_u32_e32 v150, s3, v148
	v_add_co_u32 v52, vcc_lo, s4, v5
	v_add_co_ci_u32_e32 v53, vcc_lo, s5, v6, vcc_lo
	s_delay_alu instid0(VALU_DEP_3) | instskip(SKIP_3) | instid1(VALU_DEP_4)
	v_add_nc_u32_e32 v152, s3, v150
	v_add_co_u32 v54, vcc_lo, s4, v106
	v_lshlrev_b64 v[5:6], 4, v[110:111]
	v_ashrrev_i32_e32 v113, 31, v112
	v_add_nc_u32_e32 v154, s3, v152
	v_add_co_ci_u32_e32 v55, vcc_lo, s5, v107, vcc_lo
	v_ashrrev_i32_e32 v115, 31, v114
	s_delay_alu instid0(VALU_DEP_4) | instskip(NEXT) | instid1(VALU_DEP_4)
	v_lshlrev_b64 v[110:111], 4, v[112:113]
	v_add_nc_u32_e32 v156, s3, v154
	s_clause 0x1
	scratch_store_b64 off, v[52:53], off offset:1460
	scratch_store_b64 off, v[54:55], off offset:1468
	s_clause 0x1
	global_load_b128 v[231:234], v[52:53], off
	global_load_b128 v[235:238], v[54:55], off
	v_add_nc_u32_e32 v158, s3, v156
	v_add_co_u32 v52, vcc_lo, s4, v5
	v_add_co_ci_u32_e32 v53, vcc_lo, s5, v6, vcc_lo
	s_delay_alu instid0(VALU_DEP_3) | instskip(SKIP_3) | instid1(VALU_DEP_4)
	v_add_nc_u32_e32 v160, s3, v158
	v_lshlrev_b64 v[5:6], 4, v[114:115]
	v_ashrrev_i32_e32 v117, 31, v116
	v_add_co_u32 v61, vcc_lo, s4, v110
	v_add_nc_u32_e32 v176, s3, v160
	v_ashrrev_i32_e32 v119, 31, v118
	v_add_co_ci_u32_e32 v62, vcc_lo, s5, v111, vcc_lo
	v_lshlrev_b64 v[114:115], 4, v[116:117]
	s_delay_alu instid0(VALU_DEP_4) | instskip(SKIP_2) | instid1(VALU_DEP_3)
	v_add_nc_u32_e32 v239, s3, v176
	v_add_co_u32 v63, vcc_lo, s4, v5
	v_add_co_ci_u32_e32 v64, vcc_lo, s5, v6, vcc_lo
	v_add_nc_u32_e32 v86, s3, v239
	v_lshlrev_b64 v[5:6], 4, v[118:119]
	v_ashrrev_i32_e32 v121, 31, v120
	v_add_co_u32 v65, vcc_lo, s4, v114
	v_ashrrev_i32_e32 v123, 31, v122
	v_add_nc_u32_e32 v54, s3, v86
	v_add_co_ci_u32_e32 v66, vcc_lo, s5, v115, vcc_lo
	v_lshlrev_b64 v[118:119], 4, v[120:121]
	v_add_co_u32 v67, vcc_lo, s4, v5
	v_add_co_ci_u32_e32 v68, vcc_lo, s5, v6, vcc_lo
	v_lshlrev_b64 v[5:6], 4, v[122:123]
	v_ashrrev_i32_e32 v85, 31, v84
	v_add_nc_u32_e32 v56, s3, v54
	v_add_co_u32 v118, vcc_lo, s4, v118
	v_ashrrev_i32_e32 v125, 31, v124
	v_add_co_ci_u32_e32 v119, vcc_lo, s5, v119, vcc_lo
	v_lshlrev_b64 v[84:85], 4, v[84:85]
	v_add_co_u32 v120, vcc_lo, s4, v5
	v_add_nc_u32_e32 v58, s3, v56
	v_add_co_ci_u32_e32 v121, vcc_lo, s5, v6, vcc_lo
	v_lshlrev_b64 v[5:6], 4, v[124:125]
	v_ashrrev_i32_e32 v127, 31, v126
	v_add_co_u32 v122, vcc_lo, s4, v84
	v_ashrrev_i32_e32 v93, 31, v92
	v_add_nc_u32_e32 v60, s3, v58
	v_add_co_ci_u32_e32 v123, vcc_lo, s5, v85, vcc_lo
	v_add_co_u32 v124, vcc_lo, s4, v5
	v_lshlrev_b64 v[84:85], 4, v[126:127]
	v_add_co_ci_u32_e32 v125, vcc_lo, s5, v6, vcc_lo
	v_lshlrev_b64 v[5:6], 4, v[92:93]
	v_add_nc_u32_e32 v92, s3, v60
	v_ashrrev_i32_e32 v95, 31, v94
	v_add_co_u32 v128, vcc_lo, s4, v84
	v_add_co_ci_u32_e32 v129, vcc_lo, s5, v85, vcc_lo
	s_delay_alu instid0(VALU_DEP_4) | instskip(NEXT) | instid1(VALU_DEP_4)
	v_ashrrev_i32_e32 v93, 31, v92
	v_lshlrev_b64 v[84:85], 4, v[94:95]
	v_ashrrev_i32_e32 v133, 31, v132
	v_add_co_u32 v130, vcc_lo, s4, v5
	s_delay_alu instid0(VALU_DEP_4) | instskip(SKIP_1) | instid1(VALU_DEP_4)
	v_lshlrev_b64 v[92:93], 4, v[92:93]
	v_add_co_ci_u32_e32 v131, vcc_lo, s5, v6, vcc_lo
	v_lshlrev_b64 v[5:6], 4, v[132:133]
	v_add_co_u32 v132, vcc_lo, s4, v84
	v_add_co_ci_u32_e32 v133, vcc_lo, s5, v85, vcc_lo
	v_ashrrev_i32_e32 v97, 31, v96
	v_add_co_u32 v126, vcc_lo, s4, v92
	v_add_co_ci_u32_e32 v127, vcc_lo, s5, v93, vcc_lo
	v_ashrrev_i32_e32 v99, 31, v98
	s_delay_alu instid0(VALU_DEP_4)
	v_lshlrev_b64 v[84:85], 4, v[96:97]
	v_add_co_u32 v134, vcc_lo, s4, v5
	global_load_b128 v[242:245], v[126:127], off
	s_waitcnt vmcnt(29)
	scratch_store_b128 off, v[8:11], off
	s_waitcnt vmcnt(27)
	s_clause 0x1
	scratch_store_b128 off, v[14:17], off offset:16
	scratch_store_b64 off, v[52:53], off offset:1476
	v_add_co_ci_u32_e32 v135, vcc_lo, s5, v6, vcc_lo
	s_clause 0x1
	global_load_b128 v[5:8], v[52:53], off
	global_load_b128 v[9:12], v[61:62], off
	s_clause 0x2
	scratch_store_b64 off, v[61:62], off offset:1484
	scratch_store_b128 off, v[18:21], off offset:32
	scratch_store_b64 off, v[63:64], off offset:1492
	v_lshlrev_b64 v[18:19], 4, v[98:99]
	v_ashrrev_i32_e32 v139, 31, v138
	v_add_co_u32 v136, vcc_lo, s4, v84
	v_ashrrev_i32_e32 v101, 31, v100
	v_add_co_ci_u32_e32 v137, vcc_lo, s5, v85, vcc_lo
	s_delay_alu instid0(VALU_DEP_4)
	v_lshlrev_b64 v[20:21], 4, v[138:139]
	v_add_co_u32 v138, vcc_lo, s4, v18
	v_add_co_ci_u32_e32 v139, vcc_lo, s5, v19, vcc_lo
	v_lshlrev_b64 v[18:19], 4, v[100:101]
	v_ashrrev_i32_e32 v103, 31, v102
	v_add_co_u32 v140, vcc_lo, s4, v20
	v_ashrrev_i32_e32 v145, 31, v144
	v_add_co_ci_u32_e32 v141, vcc_lo, s5, v21, vcc_lo
	s_delay_alu instid0(VALU_DEP_4)
	v_lshlrev_b64 v[20:21], 4, v[102:103]
	v_add_co_u32 v142, vcc_lo, s4, v18
	v_add_co_ci_u32_e32 v143, vcc_lo, s5, v19, vcc_lo
	v_lshlrev_b64 v[18:19], 4, v[144:145]
	v_ashrrev_i32_e32 v105, 31, v104
	v_add_co_u32 v144, vcc_lo, s4, v20
	v_ashrrev_i32_e32 v149, 31, v148
	global_load_b128 v[14:17], v[63:64], off
	v_add_co_ci_u32_e32 v145, vcc_lo, s5, v21, vcc_lo
	v_lshlrev_b64 v[20:21], 4, v[104:105]
	v_add_co_u32 v146, vcc_lo, s4, v18
	v_add_co_ci_u32_e32 v147, vcc_lo, s5, v19, vcc_lo
	v_lshlrev_b64 v[18:19], 4, v[148:149]
	v_ashrrev_i32_e32 v151, 31, v150
	v_add_co_u32 v148, vcc_lo, s4, v20
	v_ashrrev_i32_e32 v153, 31, v152
	v_add_co_ci_u32_e32 v149, vcc_lo, s5, v21, vcc_lo
	s_delay_alu instid0(VALU_DEP_4)
	v_lshlrev_b64 v[20:21], 4, v[150:151]
	v_add_co_u32 v150, vcc_lo, s4, v18
	v_add_co_ci_u32_e32 v151, vcc_lo, s5, v19, vcc_lo
	v_lshlrev_b64 v[18:19], 4, v[152:153]
	v_ashrrev_i32_e32 v155, 31, v154
	v_add_co_u32 v152, vcc_lo, s4, v20
	v_ashrrev_i32_e32 v157, 31, v156
	v_add_co_ci_u32_e32 v153, vcc_lo, s5, v21, vcc_lo
	s_delay_alu instid0(VALU_DEP_4)
	v_lshlrev_b64 v[20:21], 4, v[154:155]
	v_add_co_u32 v154, vcc_lo, s4, v18
	v_add_co_ci_u32_e32 v155, vcc_lo, s5, v19, vcc_lo
	v_lshlrev_b64 v[18:19], 4, v[156:157]
	v_ashrrev_i32_e32 v159, 31, v158
	v_add_co_u32 v156, vcc_lo, s4, v20
	v_ashrrev_i32_e32 v161, 31, v160
	v_add_co_ci_u32_e32 v157, vcc_lo, s5, v21, vcc_lo
	s_delay_alu instid0(VALU_DEP_4) | instskip(SKIP_3) | instid1(VALU_DEP_4)
	v_lshlrev_b64 v[20:21], 4, v[158:159]
	v_add_co_u32 v158, vcc_lo, s4, v18
	v_add_co_ci_u32_e32 v159, vcc_lo, s5, v19, vcc_lo
	v_lshlrev_b64 v[18:19], 4, v[160:161]
	v_add_co_u32 v160, vcc_lo, s4, v20
	v_add_co_ci_u32_e32 v161, vcc_lo, s5, v21, vcc_lo
	s_waitcnt vmcnt(29)
	s_clause 0x1
	scratch_store_b128 off, v[22:25], off offset:48
	scratch_store_b64 off, v[65:66], off offset:1500
	v_add_co_u32 v162, vcc_lo, s4, v18
	v_add_co_ci_u32_e32 v163, vcc_lo, s5, v19, vcc_lo
	global_load_b128 v[18:21], v[65:66], off
	s_waitcnt vmcnt(11)
	s_clause 0x1
	scratch_store_b128 off, v[1:4], off offset:64
	scratch_store_b64 off, v[67:68], off offset:1508
	s_clause 0x1
	global_load_b128 v[1:4], v[67:68], off
	global_load_b128 v[22:25], v[118:119], off
	s_clause 0x2
	scratch_store_b128 off, v[26:29], off offset:80
	scratch_store_b128 off, v[30:33], off offset:96
	;; [unrolled: 1-line block ×3, first 2 shown]
	s_clause 0x1
	global_load_b128 v[26:29], v[120:121], off
	global_load_b128 v[30:33], v[122:123], off
	s_clause 0x1
	scratch_store_b128 off, v[38:41], off offset:128
	scratch_store_b128 off, v[42:45], off offset:144
	s_clause 0x1
	global_load_b128 v[34:37], v[124:125], off
	global_load_b128 v[38:41], v[128:129], off
	v_ashrrev_i32_e32 v177, 31, v176
	s_clause 0x1
	scratch_store_b128 off, v[46:49], off offset:160
	scratch_store_b128 off, v[164:167], off offset:176
	v_ashrrev_i32_e32 v240, 31, v239
	s_clause 0x1
	global_load_b128 v[42:45], v[130:131], off
	global_load_b128 v[46:49], v[132:133], off
	s_clause 0x1
	scratch_store_b128 off, v[168:171], off offset:192
	scratch_store_b128 off, v[172:175], off offset:208
	s_clause 0x1
	global_load_b128 v[246:249], v[134:135], off
	global_load_b128 v[250:253], v[136:137], off
	s_clause 0x1
	scratch_store_b128 off, v[179:182], off offset:224
	scratch_store_b128 off, v[183:186], off offset:240
	v_lshlrev_b64 v[84:85], 4, v[176:177]
	s_clause 0x1
	global_load_b128 v[179:182], v[138:139], off
	global_load_b128 v[183:186], v[140:141], off
	s_clause 0x1
	scratch_store_b128 off, v[187:190], off offset:256
	scratch_store_b128 off, v[191:194], off offset:272
	v_ashrrev_i32_e32 v87, 31, v86
	s_clause 0x1
	global_load_b128 v[187:190], v[142:143], off
	global_load_b128 v[191:194], v[144:145], off
	s_clause 0x1
	scratch_store_b128 off, v[195:198], off offset:288
	scratch_store_b128 off, v[199:202], off offset:304
	s_clause 0x1
	global_load_b128 v[195:198], v[146:147], off
	global_load_b128 v[199:202], v[148:149], off
	s_clause 0x1
	scratch_store_b128 off, v[203:206], off offset:320
	scratch_store_b128 off, v[207:210], off offset:336
	v_lshlrev_b64 v[92:93], 4, v[239:240]
	s_clause 0x1
	global_load_b128 v[203:206], v[150:151], off
	global_load_b128 v[207:210], v[152:153], off
	scratch_store_b128 off, v[211:214], off offset:352
	s_waitcnt vmcnt(28)
	scratch_store_b128 off, v[215:218], off offset:368
	v_ashrrev_i32_e32 v55, 31, v54
	s_clause 0x1
	global_load_b128 v[211:214], v[154:155], off
	global_load_b128 v[215:218], v[156:157], off
	s_waitcnt vmcnt(29)
	scratch_store_b128 off, v[219:222], off offset:384
	s_waitcnt vmcnt(28)
	scratch_store_b128 off, v[223:226], off offset:400
	s_clause 0x1
	global_load_b128 v[219:222], v[158:159], off
	global_load_b128 v[223:226], v[160:161], off
	v_add_co_u32 v164, vcc_lo, s4, v84
	v_ashrrev_i32_e32 v57, 31, v56
	v_add_co_ci_u32_e32 v165, vcc_lo, s5, v85, vcc_lo
	v_add_co_u32 v166, vcc_lo, s4, v92
	v_lshlrev_b64 v[54:55], 4, v[54:55]
	v_add_co_ci_u32_e32 v167, vcc_lo, s5, v93, vcc_lo
	v_lshlrev_b64 v[56:57], 4, v[56:57]
	v_ashrrev_i32_e32 v59, 31, v58
	v_ashrrev_i32_e32 v61, 31, v60
	s_movk_i32 s2, 0x50
	s_movk_i32 s3, 0x60
	s_movk_i32 s12, 0x90
	s_movk_i32 s13, 0xa0
	s_movk_i32 s16, 0xb0
	s_movk_i32 s17, 0xc0
	s_movk_i32 s38, 0x200
	s_movk_i32 s39, 0x210
	s_movk_i32 s40, 0x220
	s_movk_i32 s41, 0x230
	s_movk_i32 s42, 0x240
	s_movk_i32 s43, 0x250
	s_movk_i32 s44, 0x260
	s_movk_i32 s45, 0x270
	s_movk_i32 s46, 0x280
	s_movk_i32 s47, 0x290
	s_movk_i32 s48, 0x2a0
	s_movk_i32 s49, 0x2b0
	s_movk_i32 s50, 0x2c0
	s_movk_i32 s51, 0x2d0
	s_movk_i32 s52, 0x2e0
	s_movk_i32 s53, 0x2f0
	s_movk_i32 s54, 0x300
	s_movk_i32 s55, 0x310
	s_movk_i32 s56, 0x320
	s_movk_i32 s57, 0x330
	s_movk_i32 s58, 0x340
	s_movk_i32 s59, 0x350
	s_movk_i32 s60, 0x360
	s_movk_i32 s61, 0x370
	s_movk_i32 s62, 0x380
	s_movk_i32 s63, 0x390
	s_movk_i32 s64, 0x3a0
	s_movk_i32 s65, 0x3b0
	s_movk_i32 s66, 0x3c0
	s_movk_i32 s67, 0x3d0
	s_movk_i32 s68, 0x3e0
	s_movk_i32 s25, 0x140
	s_movk_i32 s26, 0x150
	s_movk_i32 s69, 0x3f0
	s_bitcmp0_b32 s15, 0
	s_waitcnt vmcnt(29)
	scratch_store_b128 off, v[227:230], off offset:416
	s_waitcnt vmcnt(28)
	scratch_store_b128 off, v[231:234], off offset:432
	;; [unrolled: 2-line block ×6, first 2 shown]
	v_lshlrev_b64 v[5:6], 4, v[86:87]
	s_delay_alu instid0(VALU_DEP_1) | instskip(NEXT) | instid1(VALU_DEP_2)
	v_add_co_u32 v168, vcc_lo, s4, v5
	v_add_co_ci_u32_e32 v169, vcc_lo, s5, v6, vcc_lo
	v_add_co_u32 v170, vcc_lo, s4, v54
	v_add_co_ci_u32_e32 v171, vcc_lo, s5, v55, vcc_lo
	;; [unrolled: 2-line block ×3, first 2 shown]
	s_clause 0x5
	global_load_b128 v[5:8], v[162:163], off
	global_load_b128 v[9:12], v[164:165], off
	;; [unrolled: 1-line block ×6, first 2 shown]
	v_lshlrev_b64 v[54:55], 4, v[58:59]
	v_lshlrev_b64 v[56:57], 4, v[60:61]
	s_delay_alu instid0(VALU_DEP_2) | instskip(NEXT) | instid1(VALU_DEP_3)
	v_add_co_u32 v174, vcc_lo, s4, v54
	v_add_co_ci_u32_e32 v175, vcc_lo, s5, v55, vcc_lo
	s_delay_alu instid0(VALU_DEP_3) | instskip(NEXT) | instid1(VALU_DEP_4)
	v_add_co_u32 v176, vcc_lo, s4, v56
	v_add_co_ci_u32_e32 v177, vcc_lo, s5, v57, vcc_lo
	s_movk_i32 s4, 0x70
	s_movk_i32 s5, 0x80
	s_waitcnt vmcnt(28)
	scratch_store_b128 off, v[18:21], off offset:512
	global_load_b128 v[18:21], v[174:175], off
	s_waitcnt vmcnt(28)
	scratch_store_b128 off, v[1:4], off offset:528
	global_load_b128 v[1:4], v[176:177], off
	s_waitcnt vmcnt(28)
	scratch_store_b128 off, v[22:25], off offset:544
	v_add_nc_u32_e64 v22, s2, 0
	scratch_store_b32 off, v22, off offset:1220 ; 4-byte Folded Spill
	s_waitcnt vmcnt(27)
	scratch_store_b128 off, v[26:29], off offset:560
	v_add_nc_u32_e64 v22, s3, 0
	s_mov_b32 s3, -1
	scratch_store_b32 off, v22, off offset:1216 ; 4-byte Folded Spill
	v_add_nc_u32_e64 v22, s4, 0
	scratch_store_b32 off, v22, off offset:1212 ; 4-byte Folded Spill
	v_add_nc_u32_e64 v22, s5, 0
	scratch_store_b32 off, v22, off offset:1204 ; 4-byte Folded Spill
	v_add_nc_u32_e64 v22, s12, 0
	scratch_store_b32 off, v22, off offset:1196 ; 4-byte Folded Spill
	s_waitcnt vmcnt(26)
	scratch_store_b128 off, v[30:33], off offset:576
	v_add_nc_u32_e64 v22, s13, 0
	scratch_store_b32 off, v22, off offset:1192 ; 4-byte Folded Spill
	v_add_nc_u32_e64 v22, s16, 0
	scratch_store_b32 off, v22, off offset:1188 ; 4-byte Folded Spill
	v_add_nc_u32_e64 v22, s17, 0
	scratch_store_b32 off, v22, off offset:1180 ; 4-byte Folded Spill
	v_add_nc_u32_e64 v22, s18, 0
	scratch_store_b32 off, v22, off offset:1172 ; 4-byte Folded Spill
	s_waitcnt vmcnt(25)
	scratch_store_b128 off, v[34:37], off offset:592
	v_add_nc_u32_e64 v22, s19, 0
	;; [unrolled: 10-line block ×3, first 2 shown]
	scratch_store_b32 off, v22, off offset:1144 ; 4-byte Folded Spill
	v_add_nc_u32_e64 v22, s24, 0
	scratch_store_b32 off, v22, off offset:1140 ; 4-byte Folded Spill
	s_waitcnt vmcnt(23)
	scratch_store_b128 off, v[42:45], off offset:624
	s_waitcnt vmcnt(22)
	scratch_store_b128 off, v[46:49], off offset:640
	;; [unrolled: 2-line block ×23, first 2 shown]
	v_add_nc_u32_e64 v5, s27, 0
	v_add_nc_u32_e64 v214, s25, 0
	;; [unrolled: 1-line block ×3, first 2 shown]
	scratch_store_b32 off, v5, off offset:1244 ; 4-byte Folded Spill
	v_add_nc_u32_e64 v5, s28, 0
	scratch_store_b32 off, v5, off offset:1240 ; 4-byte Folded Spill
	v_add_nc_u32_e64 v5, s29, 0
	;; [unrolled: 2-line block ×41, first 2 shown]
	scratch_store_b32 off, v5, off offset:1248 ; 4-byte Folded Spill
	s_waitcnt vmcnt(0)
	s_clause 0x1
	scratch_store_b128 off, v[1:4], off offset:992
	scratch_store_b128 off, v[242:245], off offset:1008
	s_cbranch_scc1 .LBB127_12
; %bb.3:
	v_cmp_eq_u32_e64 s2, 0, v178
	s_delay_alu instid0(VALU_DEP_1)
	s_and_saveexec_b32 s3, s2
	s_cbranch_execz .LBB127_5
; %bb.4:
	v_mov_b32_e32 v1, 0
	ds_store_b32 v1, v1 offset:2048
.LBB127_5:
	s_or_b32 exec_lo, exec_lo, s3
	s_waitcnt lgkmcnt(0)
	s_waitcnt_vscnt null, 0x0
	s_barrier
	buffer_gl0_inv
	scratch_load_b128 v[1:4], v13, off
	s_waitcnt vmcnt(0)
	v_cmp_eq_f64_e32 vcc_lo, 0, v[1:2]
	v_cmp_eq_f64_e64 s3, 0, v[3:4]
	s_delay_alu instid0(VALU_DEP_1) | instskip(NEXT) | instid1(SALU_CYCLE_1)
	s_and_b32 s3, vcc_lo, s3
	s_and_saveexec_b32 s4, s3
	s_cbranch_execz .LBB127_9
; %bb.6:
	v_mov_b32_e32 v1, 0
	s_mov_b32 s5, 0
	ds_load_b32 v2, v1 offset:2048
	s_waitcnt lgkmcnt(0)
	v_readfirstlane_b32 s3, v2
	v_add_nc_u32_e32 v2, 1, v178
	s_delay_alu instid0(VALU_DEP_2) | instskip(NEXT) | instid1(VALU_DEP_1)
	s_cmp_eq_u32 s3, 0
	v_cmp_gt_i32_e32 vcc_lo, s3, v2
	s_cselect_b32 s12, -1, 0
	s_delay_alu instid0(SALU_CYCLE_1) | instskip(NEXT) | instid1(SALU_CYCLE_1)
	s_or_b32 s12, s12, vcc_lo
	s_and_b32 exec_lo, exec_lo, s12
	s_cbranch_execz .LBB127_9
; %bb.7:
	v_mov_b32_e32 v3, s3
.LBB127_8:                              ; =>This Inner Loop Header: Depth=1
	ds_cmpstore_rtn_b32 v3, v1, v2, v3 offset:2048
	s_waitcnt lgkmcnt(0)
	v_cmp_ne_u32_e32 vcc_lo, 0, v3
	v_cmp_le_i32_e64 s3, v3, v2
	s_delay_alu instid0(VALU_DEP_1) | instskip(NEXT) | instid1(SALU_CYCLE_1)
	s_and_b32 s3, vcc_lo, s3
	s_and_b32 s3, exec_lo, s3
	s_delay_alu instid0(SALU_CYCLE_1) | instskip(NEXT) | instid1(SALU_CYCLE_1)
	s_or_b32 s5, s3, s5
	s_and_not1_b32 exec_lo, exec_lo, s5
	s_cbranch_execnz .LBB127_8
.LBB127_9:
	s_or_b32 exec_lo, exec_lo, s4
	v_mov_b32_e32 v1, 0
	s_barrier
	buffer_gl0_inv
	ds_load_b32 v2, v1 offset:2048
	s_and_saveexec_b32 s3, s2
	s_cbranch_execz .LBB127_11
; %bb.10:
	s_lshl_b64 s[4:5], s[10:11], 2
	s_delay_alu instid0(SALU_CYCLE_1)
	s_add_u32 s4, s6, s4
	s_addc_u32 s5, s7, s5
	s_waitcnt lgkmcnt(0)
	global_store_b32 v1, v2, s[4:5]
.LBB127_11:
	s_or_b32 exec_lo, exec_lo, s3
	s_waitcnt lgkmcnt(0)
	v_cmp_ne_u32_e32 vcc_lo, 0, v2
	s_mov_b32 s3, 0
	s_cbranch_vccz .LBB127_15
.LBB127_12:
	s_and_b32 vcc_lo, exec_lo, s3
	s_cbranch_vccz .LBB127_14
.LBB127_13:
	s_lshl_b64 s[2:3], s[10:11], 2
	v_mov_b32_e32 v1, 0
	s_add_u32 s2, s6, s2
	s_addc_u32 s3, s7, s3
	global_load_b32 v1, v1, s[2:3]
	s_waitcnt vmcnt(0)
	v_cmp_ne_u32_e32 vcc_lo, 0, v1
	s_cbranch_vccz .LBB127_282
.LBB127_14:
	s_endpgm
.LBB127_15:
	v_add_nc_u32_e32 v14, 0, v13
                                        ; implicit-def: $vgpr9_vgpr10
	scratch_load_b128 v[1:4], v14, off
	s_waitcnt vmcnt(0)
	v_mov_b32_e32 v5, v1
	v_cmp_gt_f64_e32 vcc_lo, 0, v[1:2]
	v_xor_b32_e32 v6, 0x80000000, v2
	v_xor_b32_e32 v7, 0x80000000, v4
	s_delay_alu instid0(VALU_DEP_2) | instskip(SKIP_1) | instid1(VALU_DEP_3)
	v_cndmask_b32_e32 v6, v2, v6, vcc_lo
	v_cmp_gt_f64_e32 vcc_lo, 0, v[3:4]
	v_dual_cndmask_b32 v8, v4, v7 :: v_dual_mov_b32 v7, v3
	s_delay_alu instid0(VALU_DEP_1) | instskip(SKIP_1) | instid1(SALU_CYCLE_1)
	v_cmp_ngt_f64_e32 vcc_lo, v[5:6], v[7:8]
                                        ; implicit-def: $vgpr5_vgpr6
	s_and_saveexec_b32 s3, vcc_lo
	s_xor_b32 s3, exec_lo, s3
	s_cbranch_execz .LBB127_17
; %bb.16:
	v_div_scale_f64 v[5:6], null, v[3:4], v[3:4], v[1:2]
	v_div_scale_f64 v[11:12], vcc_lo, v[1:2], v[3:4], v[1:2]
	s_delay_alu instid0(VALU_DEP_2) | instskip(SKIP_2) | instid1(VALU_DEP_1)
	v_rcp_f64_e32 v[7:8], v[5:6]
	s_waitcnt_depctr 0xfff
	v_fma_f64 v[9:10], -v[5:6], v[7:8], 1.0
	v_fma_f64 v[7:8], v[7:8], v[9:10], v[7:8]
	s_delay_alu instid0(VALU_DEP_1) | instskip(NEXT) | instid1(VALU_DEP_1)
	v_fma_f64 v[9:10], -v[5:6], v[7:8], 1.0
	v_fma_f64 v[7:8], v[7:8], v[9:10], v[7:8]
	s_delay_alu instid0(VALU_DEP_1) | instskip(NEXT) | instid1(VALU_DEP_1)
	v_mul_f64 v[9:10], v[11:12], v[7:8]
	v_fma_f64 v[5:6], -v[5:6], v[9:10], v[11:12]
	s_delay_alu instid0(VALU_DEP_1) | instskip(NEXT) | instid1(VALU_DEP_1)
	v_div_fmas_f64 v[5:6], v[5:6], v[7:8], v[9:10]
	v_div_fixup_f64 v[5:6], v[5:6], v[3:4], v[1:2]
	s_delay_alu instid0(VALU_DEP_1) | instskip(NEXT) | instid1(VALU_DEP_1)
	v_fma_f64 v[1:2], v[1:2], v[5:6], v[3:4]
	v_div_scale_f64 v[3:4], null, v[1:2], v[1:2], 1.0
	v_div_scale_f64 v[11:12], vcc_lo, 1.0, v[1:2], 1.0
	s_delay_alu instid0(VALU_DEP_2) | instskip(SKIP_2) | instid1(VALU_DEP_1)
	v_rcp_f64_e32 v[7:8], v[3:4]
	s_waitcnt_depctr 0xfff
	v_fma_f64 v[9:10], -v[3:4], v[7:8], 1.0
	v_fma_f64 v[7:8], v[7:8], v[9:10], v[7:8]
	s_delay_alu instid0(VALU_DEP_1) | instskip(NEXT) | instid1(VALU_DEP_1)
	v_fma_f64 v[9:10], -v[3:4], v[7:8], 1.0
	v_fma_f64 v[7:8], v[7:8], v[9:10], v[7:8]
	s_delay_alu instid0(VALU_DEP_1) | instskip(NEXT) | instid1(VALU_DEP_1)
	v_mul_f64 v[9:10], v[11:12], v[7:8]
	v_fma_f64 v[3:4], -v[3:4], v[9:10], v[11:12]
	s_delay_alu instid0(VALU_DEP_1) | instskip(NEXT) | instid1(VALU_DEP_1)
	v_div_fmas_f64 v[3:4], v[3:4], v[7:8], v[9:10]
	v_div_fixup_f64 v[7:8], v[3:4], v[1:2], 1.0
                                        ; implicit-def: $vgpr1_vgpr2
	s_delay_alu instid0(VALU_DEP_1) | instskip(SKIP_1) | instid1(VALU_DEP_2)
	v_mul_f64 v[5:6], v[5:6], v[7:8]
	v_xor_b32_e32 v8, 0x80000000, v8
	v_xor_b32_e32 v10, 0x80000000, v6
	s_delay_alu instid0(VALU_DEP_3)
	v_mov_b32_e32 v9, v5
.LBB127_17:
	s_and_not1_saveexec_b32 s3, s3
	s_cbranch_execz .LBB127_19
; %bb.18:
	v_div_scale_f64 v[5:6], null, v[1:2], v[1:2], v[3:4]
	v_div_scale_f64 v[11:12], vcc_lo, v[3:4], v[1:2], v[3:4]
	s_delay_alu instid0(VALU_DEP_2) | instskip(SKIP_2) | instid1(VALU_DEP_1)
	v_rcp_f64_e32 v[7:8], v[5:6]
	s_waitcnt_depctr 0xfff
	v_fma_f64 v[9:10], -v[5:6], v[7:8], 1.0
	v_fma_f64 v[7:8], v[7:8], v[9:10], v[7:8]
	s_delay_alu instid0(VALU_DEP_1) | instskip(NEXT) | instid1(VALU_DEP_1)
	v_fma_f64 v[9:10], -v[5:6], v[7:8], 1.0
	v_fma_f64 v[7:8], v[7:8], v[9:10], v[7:8]
	s_delay_alu instid0(VALU_DEP_1) | instskip(NEXT) | instid1(VALU_DEP_1)
	v_mul_f64 v[9:10], v[11:12], v[7:8]
	v_fma_f64 v[5:6], -v[5:6], v[9:10], v[11:12]
	s_delay_alu instid0(VALU_DEP_1) | instskip(NEXT) | instid1(VALU_DEP_1)
	v_div_fmas_f64 v[5:6], v[5:6], v[7:8], v[9:10]
	v_div_fixup_f64 v[7:8], v[5:6], v[1:2], v[3:4]
	s_delay_alu instid0(VALU_DEP_1) | instskip(NEXT) | instid1(VALU_DEP_1)
	v_fma_f64 v[1:2], v[3:4], v[7:8], v[1:2]
	v_div_scale_f64 v[3:4], null, v[1:2], v[1:2], 1.0
	s_delay_alu instid0(VALU_DEP_1) | instskip(SKIP_2) | instid1(VALU_DEP_1)
	v_rcp_f64_e32 v[5:6], v[3:4]
	s_waitcnt_depctr 0xfff
	v_fma_f64 v[9:10], -v[3:4], v[5:6], 1.0
	v_fma_f64 v[5:6], v[5:6], v[9:10], v[5:6]
	s_delay_alu instid0(VALU_DEP_1) | instskip(NEXT) | instid1(VALU_DEP_1)
	v_fma_f64 v[9:10], -v[3:4], v[5:6], 1.0
	v_fma_f64 v[5:6], v[5:6], v[9:10], v[5:6]
	v_div_scale_f64 v[9:10], vcc_lo, 1.0, v[1:2], 1.0
	s_delay_alu instid0(VALU_DEP_1) | instskip(NEXT) | instid1(VALU_DEP_1)
	v_mul_f64 v[11:12], v[9:10], v[5:6]
	v_fma_f64 v[3:4], -v[3:4], v[11:12], v[9:10]
	s_delay_alu instid0(VALU_DEP_1) | instskip(NEXT) | instid1(VALU_DEP_1)
	v_div_fmas_f64 v[3:4], v[3:4], v[5:6], v[11:12]
	v_div_fixup_f64 v[5:6], v[3:4], v[1:2], 1.0
	s_delay_alu instid0(VALU_DEP_1)
	v_mul_f64 v[7:8], v[7:8], -v[5:6]
	v_xor_b32_e32 v10, 0x80000000, v6
	v_mov_b32_e32 v9, v5
.LBB127_19:
	s_or_b32 exec_lo, exec_lo, s3
	v_add_nc_u32_e64 v1, 0, 16
	scratch_store_b128 v14, v[5:8], off
	v_xor_b32_e32 v12, 0x80000000, v8
	v_mov_b32_e32 v11, v7
	v_or_b32_e32 v5, 0x400, v13
	scratch_load_b128 v[1:4], v1, off
	ds_store_b128 v13, v[9:12]
	s_waitcnt vmcnt(0)
	ds_store_b128 v13, v[1:4] offset:1024
	s_waitcnt lgkmcnt(0)
	s_waitcnt_vscnt null, 0x0
	s_barrier
	buffer_gl0_inv
	s_and_saveexec_b32 s3, s2
	s_cbranch_execz .LBB127_21
; %bb.20:
	scratch_load_b128 v[1:4], v14, off
	ds_load_b128 v[6:9], v5
	v_mov_b32_e32 v10, 0
	ds_load_b128 v[15:18], v10 offset:16
	s_waitcnt vmcnt(0) lgkmcnt(1)
	v_mul_f64 v[10:11], v[6:7], v[3:4]
	v_mul_f64 v[3:4], v[8:9], v[3:4]
	s_delay_alu instid0(VALU_DEP_2) | instskip(NEXT) | instid1(VALU_DEP_2)
	v_fma_f64 v[8:9], v[8:9], v[1:2], v[10:11]
	v_fma_f64 v[1:2], v[6:7], v[1:2], -v[3:4]
	s_delay_alu instid0(VALU_DEP_2) | instskip(NEXT) | instid1(VALU_DEP_2)
	v_add_f64 v[3:4], v[8:9], 0
	v_add_f64 v[1:2], v[1:2], 0
	s_waitcnt lgkmcnt(0)
	s_delay_alu instid0(VALU_DEP_2) | instskip(NEXT) | instid1(VALU_DEP_2)
	v_mul_f64 v[6:7], v[3:4], v[17:18]
	v_mul_f64 v[8:9], v[1:2], v[17:18]
	s_delay_alu instid0(VALU_DEP_2) | instskip(NEXT) | instid1(VALU_DEP_2)
	v_fma_f64 v[1:2], v[1:2], v[15:16], -v[6:7]
	v_fma_f64 v[3:4], v[3:4], v[15:16], v[8:9]
	scratch_store_b128 off, v[1:4], off offset:16
.LBB127_21:
	s_or_b32 exec_lo, exec_lo, s3
	v_add_nc_u32_e64 v1, 0, 32
	s_waitcnt_vscnt null, 0x0
	s_barrier
	buffer_gl0_inv
	v_cmp_gt_u32_e32 vcc_lo, 2, v178
	scratch_load_b128 v[1:4], v1, off
	s_waitcnt vmcnt(0)
	ds_store_b128 v5, v[1:4]
	s_waitcnt lgkmcnt(0)
	s_barrier
	buffer_gl0_inv
	s_and_saveexec_b32 s3, vcc_lo
	s_cbranch_execz .LBB127_25
; %bb.22:
	scratch_load_b128 v[1:4], v14, off
	ds_load_b128 v[6:9], v5
	s_waitcnt vmcnt(0) lgkmcnt(0)
	v_mul_f64 v[10:11], v[8:9], v[3:4]
	v_mul_f64 v[3:4], v[6:7], v[3:4]
	s_delay_alu instid0(VALU_DEP_2) | instskip(NEXT) | instid1(VALU_DEP_2)
	v_fma_f64 v[6:7], v[6:7], v[1:2], -v[10:11]
	v_fma_f64 v[3:4], v[8:9], v[1:2], v[3:4]
	s_delay_alu instid0(VALU_DEP_2) | instskip(NEXT) | instid1(VALU_DEP_2)
	v_add_f64 v[1:2], v[6:7], 0
	v_add_f64 v[3:4], v[3:4], 0
	s_and_saveexec_b32 s4, s2
	s_cbranch_execz .LBB127_24
; %bb.23:
	scratch_load_b128 v[6:9], off, off offset:16
	v_mov_b32_e32 v10, 0
	ds_load_b128 v[15:18], v10 offset:1040
	s_waitcnt vmcnt(0) lgkmcnt(0)
	v_mul_f64 v[10:11], v[15:16], v[8:9]
	v_mul_f64 v[8:9], v[17:18], v[8:9]
	s_delay_alu instid0(VALU_DEP_2) | instskip(NEXT) | instid1(VALU_DEP_2)
	v_fma_f64 v[10:11], v[17:18], v[6:7], v[10:11]
	v_fma_f64 v[6:7], v[15:16], v[6:7], -v[8:9]
	s_delay_alu instid0(VALU_DEP_2) | instskip(NEXT) | instid1(VALU_DEP_2)
	v_add_f64 v[3:4], v[3:4], v[10:11]
	v_add_f64 v[1:2], v[1:2], v[6:7]
.LBB127_24:
	s_or_b32 exec_lo, exec_lo, s4
	v_mov_b32_e32 v6, 0
	ds_load_b128 v[6:9], v6 offset:32
	s_waitcnt lgkmcnt(0)
	v_mul_f64 v[10:11], v[3:4], v[8:9]
	v_mul_f64 v[8:9], v[1:2], v[8:9]
	s_delay_alu instid0(VALU_DEP_2) | instskip(NEXT) | instid1(VALU_DEP_2)
	v_fma_f64 v[1:2], v[1:2], v[6:7], -v[10:11]
	v_fma_f64 v[3:4], v[3:4], v[6:7], v[8:9]
	scratch_store_b128 off, v[1:4], off offset:32
.LBB127_25:
	s_or_b32 exec_lo, exec_lo, s3
	v_add_nc_u32_e64 v1, 0, 48
	s_waitcnt_vscnt null, 0x0
	s_barrier
	buffer_gl0_inv
	v_add_nc_u32_e32 v6, -1, v178
	scratch_load_b128 v[1:4], v1, off
	s_mov_b32 s4, exec_lo
	s_waitcnt vmcnt(0)
	ds_store_b128 v5, v[1:4]
	s_waitcnt lgkmcnt(0)
	s_barrier
	buffer_gl0_inv
	v_cmpx_gt_u32_e32 3, v178
	s_cbranch_execz .LBB127_29
; %bb.26:
	v_mov_b32_e32 v1, 0
	v_dual_mov_b32 v2, 0 :: v_dual_add_nc_u32 v7, -1, v178
	v_or_b32_e32 v8, 0x400, v13
	v_or_b32_e32 v9, 8, v14
	s_mov_b32 s5, 0
	s_delay_alu instid0(VALU_DEP_3)
	v_dual_mov_b32 v4, v2 :: v_dual_mov_b32 v3, v1
	.p2align	6
.LBB127_27:                             ; =>This Inner Loop Header: Depth=1
	scratch_load_b128 v[15:18], v9, off offset:-8
	ds_load_b128 v[19:22], v8
	v_add_nc_u32_e32 v7, 1, v7
	v_add_nc_u32_e32 v8, 16, v8
	;; [unrolled: 1-line block ×3, first 2 shown]
	s_delay_alu instid0(VALU_DEP_3) | instskip(NEXT) | instid1(VALU_DEP_1)
	v_cmp_lt_u32_e64 s3, 1, v7
	s_or_b32 s5, s3, s5
	s_waitcnt vmcnt(0) lgkmcnt(0)
	v_mul_f64 v[10:11], v[21:22], v[17:18]
	v_mul_f64 v[17:18], v[19:20], v[17:18]
	s_delay_alu instid0(VALU_DEP_2) | instskip(NEXT) | instid1(VALU_DEP_2)
	v_fma_f64 v[10:11], v[19:20], v[15:16], -v[10:11]
	v_fma_f64 v[15:16], v[21:22], v[15:16], v[17:18]
	s_delay_alu instid0(VALU_DEP_2) | instskip(NEXT) | instid1(VALU_DEP_2)
	v_add_f64 v[3:4], v[3:4], v[10:11]
	v_add_f64 v[1:2], v[1:2], v[15:16]
	s_and_not1_b32 exec_lo, exec_lo, s5
	s_cbranch_execnz .LBB127_27
; %bb.28:
	s_or_b32 exec_lo, exec_lo, s5
	v_mov_b32_e32 v7, 0
	ds_load_b128 v[7:10], v7 offset:48
	s_waitcnt lgkmcnt(0)
	v_mul_f64 v[11:12], v[1:2], v[9:10]
	v_mul_f64 v[15:16], v[3:4], v[9:10]
	s_delay_alu instid0(VALU_DEP_2) | instskip(NEXT) | instid1(VALU_DEP_2)
	v_fma_f64 v[9:10], v[3:4], v[7:8], -v[11:12]
	v_fma_f64 v[11:12], v[1:2], v[7:8], v[15:16]
	scratch_store_b128 off, v[9:12], off offset:48
.LBB127_29:
	s_or_b32 exec_lo, exec_lo, s4
	v_add_nc_u32_e64 v1, 0, 64
	s_waitcnt_vscnt null, 0x0
	s_barrier
	buffer_gl0_inv
	v_cmp_gt_u32_e64 s3, 4, v178
	scratch_load_b128 v[1:4], v1, off
	s_waitcnt vmcnt(0)
	ds_store_b128 v5, v[1:4]
	s_waitcnt lgkmcnt(0)
	s_barrier
	buffer_gl0_inv
	s_and_saveexec_b32 s5, s3
	s_cbranch_execz .LBB127_33
; %bb.30:
	v_mov_b32_e32 v1, 0
	v_dual_mov_b32 v2, 0 :: v_dual_add_nc_u32 v7, -1, v178
	v_or_b32_e32 v8, 0x400, v13
	v_or_b32_e32 v9, 8, v14
	s_mov_b32 s12, 0
	s_delay_alu instid0(VALU_DEP_3)
	v_dual_mov_b32 v4, v2 :: v_dual_mov_b32 v3, v1
	.p2align	6
.LBB127_31:                             ; =>This Inner Loop Header: Depth=1
	scratch_load_b128 v[15:18], v9, off offset:-8
	ds_load_b128 v[19:22], v8
	v_add_nc_u32_e32 v7, 1, v7
	v_add_nc_u32_e32 v8, 16, v8
	;; [unrolled: 1-line block ×3, first 2 shown]
	s_delay_alu instid0(VALU_DEP_3) | instskip(NEXT) | instid1(VALU_DEP_1)
	v_cmp_lt_u32_e64 s4, 2, v7
	s_or_b32 s12, s4, s12
	s_waitcnt vmcnt(0) lgkmcnt(0)
	v_mul_f64 v[10:11], v[21:22], v[17:18]
	v_mul_f64 v[17:18], v[19:20], v[17:18]
	s_delay_alu instid0(VALU_DEP_2) | instskip(NEXT) | instid1(VALU_DEP_2)
	v_fma_f64 v[10:11], v[19:20], v[15:16], -v[10:11]
	v_fma_f64 v[15:16], v[21:22], v[15:16], v[17:18]
	s_delay_alu instid0(VALU_DEP_2) | instskip(NEXT) | instid1(VALU_DEP_2)
	v_add_f64 v[3:4], v[3:4], v[10:11]
	v_add_f64 v[1:2], v[1:2], v[15:16]
	s_and_not1_b32 exec_lo, exec_lo, s12
	s_cbranch_execnz .LBB127_31
; %bb.32:
	s_or_b32 exec_lo, exec_lo, s12
	v_mov_b32_e32 v7, 0
	ds_load_b128 v[7:10], v7 offset:64
	s_waitcnt lgkmcnt(0)
	v_mul_f64 v[11:12], v[1:2], v[9:10]
	v_mul_f64 v[15:16], v[3:4], v[9:10]
	s_delay_alu instid0(VALU_DEP_2) | instskip(NEXT) | instid1(VALU_DEP_2)
	v_fma_f64 v[9:10], v[3:4], v[7:8], -v[11:12]
	v_fma_f64 v[11:12], v[1:2], v[7:8], v[15:16]
	scratch_store_b128 off, v[9:12], off offset:64
.LBB127_33:
	s_or_b32 exec_lo, exec_lo, s5
	s_waitcnt_vscnt null, 0x0
	s_barrier
	buffer_gl0_inv
	scratch_load_b32 v1, off, off offset:1220 ; 4-byte Folded Reload
	s_mov_b32 s5, exec_lo
	s_waitcnt vmcnt(0)
	scratch_load_b128 v[1:4], v1, off
	s_waitcnt vmcnt(0)
	ds_store_b128 v5, v[1:4]
	s_waitcnt lgkmcnt(0)
	s_barrier
	buffer_gl0_inv
	v_cmpx_gt_u32_e32 5, v178
	s_cbranch_execz .LBB127_37
; %bb.34:
	v_mov_b32_e32 v1, 0
	v_dual_mov_b32 v2, 0 :: v_dual_add_nc_u32 v7, -1, v178
	v_or_b32_e32 v8, 0x400, v13
	v_or_b32_e32 v9, 8, v14
	s_mov_b32 s12, 0
	s_delay_alu instid0(VALU_DEP_3)
	v_dual_mov_b32 v4, v2 :: v_dual_mov_b32 v3, v1
	.p2align	6
.LBB127_35:                             ; =>This Inner Loop Header: Depth=1
	scratch_load_b128 v[15:18], v9, off offset:-8
	ds_load_b128 v[19:22], v8
	v_add_nc_u32_e32 v7, 1, v7
	v_add_nc_u32_e32 v8, 16, v8
	;; [unrolled: 1-line block ×3, first 2 shown]
	s_delay_alu instid0(VALU_DEP_3) | instskip(NEXT) | instid1(VALU_DEP_1)
	v_cmp_lt_u32_e64 s4, 3, v7
	s_or_b32 s12, s4, s12
	s_waitcnt vmcnt(0) lgkmcnt(0)
	v_mul_f64 v[10:11], v[21:22], v[17:18]
	v_mul_f64 v[17:18], v[19:20], v[17:18]
	s_delay_alu instid0(VALU_DEP_2) | instskip(NEXT) | instid1(VALU_DEP_2)
	v_fma_f64 v[10:11], v[19:20], v[15:16], -v[10:11]
	v_fma_f64 v[15:16], v[21:22], v[15:16], v[17:18]
	s_delay_alu instid0(VALU_DEP_2) | instskip(NEXT) | instid1(VALU_DEP_2)
	v_add_f64 v[3:4], v[3:4], v[10:11]
	v_add_f64 v[1:2], v[1:2], v[15:16]
	s_and_not1_b32 exec_lo, exec_lo, s12
	s_cbranch_execnz .LBB127_35
; %bb.36:
	s_or_b32 exec_lo, exec_lo, s12
	v_mov_b32_e32 v7, 0
	ds_load_b128 v[7:10], v7 offset:80
	s_waitcnt lgkmcnt(0)
	v_mul_f64 v[11:12], v[1:2], v[9:10]
	v_mul_f64 v[15:16], v[3:4], v[9:10]
	s_delay_alu instid0(VALU_DEP_2) | instskip(NEXT) | instid1(VALU_DEP_2)
	v_fma_f64 v[9:10], v[3:4], v[7:8], -v[11:12]
	v_fma_f64 v[11:12], v[1:2], v[7:8], v[15:16]
	scratch_store_b128 off, v[9:12], off offset:80
.LBB127_37:
	s_or_b32 exec_lo, exec_lo, s5
	s_waitcnt_vscnt null, 0x0
	s_barrier
	buffer_gl0_inv
	scratch_load_b32 v1, off, off offset:1216 ; 4-byte Folded Reload
	v_cmp_gt_u32_e64 s4, 6, v178
	s_waitcnt vmcnt(0)
	scratch_load_b128 v[1:4], v1, off
	s_waitcnt vmcnt(0)
	ds_store_b128 v5, v[1:4]
	s_waitcnt lgkmcnt(0)
	s_barrier
	buffer_gl0_inv
	s_and_saveexec_b32 s12, s4
	s_cbranch_execz .LBB127_41
; %bb.38:
	v_mov_b32_e32 v1, 0
	v_dual_mov_b32 v2, 0 :: v_dual_add_nc_u32 v7, -1, v178
	v_or_b32_e32 v8, 0x400, v13
	v_or_b32_e32 v9, 8, v14
	s_mov_b32 s13, 0
	s_delay_alu instid0(VALU_DEP_3)
	v_dual_mov_b32 v4, v2 :: v_dual_mov_b32 v3, v1
	.p2align	6
.LBB127_39:                             ; =>This Inner Loop Header: Depth=1
	scratch_load_b128 v[15:18], v9, off offset:-8
	ds_load_b128 v[19:22], v8
	v_add_nc_u32_e32 v7, 1, v7
	v_add_nc_u32_e32 v8, 16, v8
	;; [unrolled: 1-line block ×3, first 2 shown]
	s_delay_alu instid0(VALU_DEP_3) | instskip(NEXT) | instid1(VALU_DEP_1)
	v_cmp_lt_u32_e64 s5, 4, v7
	s_or_b32 s13, s5, s13
	s_waitcnt vmcnt(0) lgkmcnt(0)
	v_mul_f64 v[10:11], v[21:22], v[17:18]
	v_mul_f64 v[17:18], v[19:20], v[17:18]
	s_delay_alu instid0(VALU_DEP_2) | instskip(NEXT) | instid1(VALU_DEP_2)
	v_fma_f64 v[10:11], v[19:20], v[15:16], -v[10:11]
	v_fma_f64 v[15:16], v[21:22], v[15:16], v[17:18]
	s_delay_alu instid0(VALU_DEP_2) | instskip(NEXT) | instid1(VALU_DEP_2)
	v_add_f64 v[3:4], v[3:4], v[10:11]
	v_add_f64 v[1:2], v[1:2], v[15:16]
	s_and_not1_b32 exec_lo, exec_lo, s13
	s_cbranch_execnz .LBB127_39
; %bb.40:
	s_or_b32 exec_lo, exec_lo, s13
	v_mov_b32_e32 v7, 0
	ds_load_b128 v[7:10], v7 offset:96
	s_waitcnt lgkmcnt(0)
	v_mul_f64 v[11:12], v[1:2], v[9:10]
	v_mul_f64 v[15:16], v[3:4], v[9:10]
	s_delay_alu instid0(VALU_DEP_2) | instskip(NEXT) | instid1(VALU_DEP_2)
	v_fma_f64 v[9:10], v[3:4], v[7:8], -v[11:12]
	v_fma_f64 v[11:12], v[1:2], v[7:8], v[15:16]
	scratch_store_b128 off, v[9:12], off offset:96
.LBB127_41:
	s_or_b32 exec_lo, exec_lo, s12
	s_waitcnt_vscnt null, 0x0
	s_barrier
	buffer_gl0_inv
	scratch_load_b32 v1, off, off offset:1212 ; 4-byte Folded Reload
	s_mov_b32 s12, exec_lo
	s_waitcnt vmcnt(0)
	scratch_load_b128 v[1:4], v1, off
	s_waitcnt vmcnt(0)
	ds_store_b128 v5, v[1:4]
	s_waitcnt lgkmcnt(0)
	s_barrier
	buffer_gl0_inv
	v_cmpx_gt_u32_e32 7, v178
	s_cbranch_execz .LBB127_45
; %bb.42:
	v_mov_b32_e32 v1, 0
	v_dual_mov_b32 v2, 0 :: v_dual_add_nc_u32 v7, -1, v178
	v_or_b32_e32 v8, 0x400, v13
	v_or_b32_e32 v9, 8, v14
	s_mov_b32 s13, 0
	s_delay_alu instid0(VALU_DEP_3)
	v_dual_mov_b32 v4, v2 :: v_dual_mov_b32 v3, v1
	.p2align	6
.LBB127_43:                             ; =>This Inner Loop Header: Depth=1
	scratch_load_b128 v[15:18], v9, off offset:-8
	ds_load_b128 v[19:22], v8
	v_add_nc_u32_e32 v7, 1, v7
	v_add_nc_u32_e32 v8, 16, v8
	;; [unrolled: 1-line block ×3, first 2 shown]
	s_delay_alu instid0(VALU_DEP_3) | instskip(NEXT) | instid1(VALU_DEP_1)
	v_cmp_lt_u32_e64 s5, 5, v7
	s_or_b32 s13, s5, s13
	s_waitcnt vmcnt(0) lgkmcnt(0)
	v_mul_f64 v[10:11], v[21:22], v[17:18]
	v_mul_f64 v[17:18], v[19:20], v[17:18]
	s_delay_alu instid0(VALU_DEP_2) | instskip(NEXT) | instid1(VALU_DEP_2)
	v_fma_f64 v[10:11], v[19:20], v[15:16], -v[10:11]
	v_fma_f64 v[15:16], v[21:22], v[15:16], v[17:18]
	s_delay_alu instid0(VALU_DEP_2) | instskip(NEXT) | instid1(VALU_DEP_2)
	v_add_f64 v[3:4], v[3:4], v[10:11]
	v_add_f64 v[1:2], v[1:2], v[15:16]
	s_and_not1_b32 exec_lo, exec_lo, s13
	s_cbranch_execnz .LBB127_43
; %bb.44:
	s_or_b32 exec_lo, exec_lo, s13
	v_mov_b32_e32 v7, 0
	ds_load_b128 v[7:10], v7 offset:112
	s_waitcnt lgkmcnt(0)
	v_mul_f64 v[11:12], v[1:2], v[9:10]
	v_mul_f64 v[15:16], v[3:4], v[9:10]
	s_delay_alu instid0(VALU_DEP_2) | instskip(NEXT) | instid1(VALU_DEP_2)
	v_fma_f64 v[9:10], v[3:4], v[7:8], -v[11:12]
	v_fma_f64 v[11:12], v[1:2], v[7:8], v[15:16]
	scratch_store_b128 off, v[9:12], off offset:112
.LBB127_45:
	s_or_b32 exec_lo, exec_lo, s12
	s_waitcnt_vscnt null, 0x0
	s_barrier
	buffer_gl0_inv
	scratch_load_b32 v1, off, off offset:1204 ; 4-byte Folded Reload
	s_mov_b32 s12, exec_lo
	s_waitcnt vmcnt(0)
	scratch_load_b128 v[1:4], v1, off
	s_waitcnt vmcnt(0)
	ds_store_b128 v5, v[1:4]
	s_waitcnt lgkmcnt(0)
	s_barrier
	buffer_gl0_inv
	v_cmpx_gt_u32_e32 8, v178
	s_cbranch_execz .LBB127_61
; %bb.46:
	scratch_load_b128 v[1:4], v14, off
	ds_load_b128 v[7:10], v5
	s_mov_b32 s13, exec_lo
	s_waitcnt vmcnt(0) lgkmcnt(0)
	v_mul_f64 v[11:12], v[9:10], v[3:4]
	v_mul_f64 v[3:4], v[7:8], v[3:4]
	s_delay_alu instid0(VALU_DEP_2) | instskip(NEXT) | instid1(VALU_DEP_2)
	v_fma_f64 v[7:8], v[7:8], v[1:2], -v[11:12]
	v_fma_f64 v[1:2], v[9:10], v[1:2], v[3:4]
	s_delay_alu instid0(VALU_DEP_2) | instskip(NEXT) | instid1(VALU_DEP_2)
	v_add_f64 v[3:4], v[7:8], 0
	v_add_f64 v[1:2], v[1:2], 0
	v_cmpx_ne_u32_e32 7, v178
	s_cbranch_execz .LBB127_60
; %bb.47:
	scratch_load_b128 v[7:10], v14, off offset:16
	ds_load_b128 v[15:18], v5 offset:16
	s_waitcnt vmcnt(0) lgkmcnt(0)
	v_mul_f64 v[11:12], v[17:18], v[9:10]
	v_mul_f64 v[9:10], v[15:16], v[9:10]
	s_delay_alu instid0(VALU_DEP_2) | instskip(NEXT) | instid1(VALU_DEP_2)
	v_fma_f64 v[11:12], v[15:16], v[7:8], -v[11:12]
	v_fma_f64 v[7:8], v[17:18], v[7:8], v[9:10]
	s_delay_alu instid0(VALU_DEP_2) | instskip(NEXT) | instid1(VALU_DEP_2)
	v_add_f64 v[3:4], v[3:4], v[11:12]
	v_add_f64 v[1:2], v[1:2], v[7:8]
	s_and_saveexec_b32 s5, s4
	s_cbranch_execz .LBB127_59
; %bb.48:
	scratch_load_b128 v[7:10], v14, off offset:32
	ds_load_b128 v[15:18], v5 offset:32
	s_mov_b32 s15, exec_lo
	s_waitcnt vmcnt(0) lgkmcnt(0)
	v_mul_f64 v[11:12], v[17:18], v[9:10]
	v_mul_f64 v[9:10], v[15:16], v[9:10]
	s_delay_alu instid0(VALU_DEP_2) | instskip(NEXT) | instid1(VALU_DEP_2)
	v_fma_f64 v[11:12], v[15:16], v[7:8], -v[11:12]
	v_fma_f64 v[7:8], v[17:18], v[7:8], v[9:10]
	s_delay_alu instid0(VALU_DEP_2) | instskip(NEXT) | instid1(VALU_DEP_2)
	v_add_f64 v[3:4], v[3:4], v[11:12]
	v_add_f64 v[1:2], v[1:2], v[7:8]
	v_cmpx_ne_u32_e32 5, v178
	s_cbranch_execz .LBB127_58
; %bb.49:
	scratch_load_b128 v[7:10], v14, off offset:48
	ds_load_b128 v[15:18], v5 offset:48
	s_waitcnt vmcnt(0) lgkmcnt(0)
	v_mul_f64 v[11:12], v[17:18], v[9:10]
	v_mul_f64 v[9:10], v[15:16], v[9:10]
	s_delay_alu instid0(VALU_DEP_2) | instskip(NEXT) | instid1(VALU_DEP_2)
	v_fma_f64 v[11:12], v[15:16], v[7:8], -v[11:12]
	v_fma_f64 v[7:8], v[17:18], v[7:8], v[9:10]
	s_delay_alu instid0(VALU_DEP_2) | instskip(NEXT) | instid1(VALU_DEP_2)
	v_add_f64 v[3:4], v[3:4], v[11:12]
	v_add_f64 v[1:2], v[1:2], v[7:8]
	s_and_saveexec_b32 s4, s3
	s_cbranch_execz .LBB127_57
; %bb.50:
	scratch_load_b128 v[7:10], v14, off offset:64
	ds_load_b128 v[15:18], v5 offset:64
	s_mov_b32 s16, exec_lo
	s_waitcnt vmcnt(0) lgkmcnt(0)
	v_mul_f64 v[11:12], v[17:18], v[9:10]
	v_mul_f64 v[9:10], v[15:16], v[9:10]
	s_delay_alu instid0(VALU_DEP_2) | instskip(NEXT) | instid1(VALU_DEP_2)
	v_fma_f64 v[11:12], v[15:16], v[7:8], -v[11:12]
	v_fma_f64 v[7:8], v[17:18], v[7:8], v[9:10]
	s_delay_alu instid0(VALU_DEP_2) | instskip(NEXT) | instid1(VALU_DEP_2)
	v_add_f64 v[3:4], v[3:4], v[11:12]
	v_add_f64 v[1:2], v[1:2], v[7:8]
	v_cmpx_ne_u32_e32 3, v178
	s_cbranch_execz .LBB127_56
; %bb.51:
	scratch_load_b128 v[7:10], v14, off offset:80
	ds_load_b128 v[15:18], v5 offset:80
	s_waitcnt vmcnt(0) lgkmcnt(0)
	v_mul_f64 v[11:12], v[17:18], v[9:10]
	v_mul_f64 v[9:10], v[15:16], v[9:10]
	s_delay_alu instid0(VALU_DEP_2) | instskip(NEXT) | instid1(VALU_DEP_2)
	v_fma_f64 v[11:12], v[15:16], v[7:8], -v[11:12]
	v_fma_f64 v[7:8], v[17:18], v[7:8], v[9:10]
	s_delay_alu instid0(VALU_DEP_2) | instskip(NEXT) | instid1(VALU_DEP_2)
	v_add_f64 v[3:4], v[3:4], v[11:12]
	v_add_f64 v[1:2], v[1:2], v[7:8]
	s_and_saveexec_b32 s3, vcc_lo
	s_cbranch_execz .LBB127_55
; %bb.52:
	scratch_load_b128 v[7:10], v14, off offset:96
	ds_load_b128 v[15:18], v5 offset:96
	s_waitcnt vmcnt(0) lgkmcnt(0)
	v_mul_f64 v[11:12], v[17:18], v[9:10]
	v_mul_f64 v[9:10], v[15:16], v[9:10]
	s_delay_alu instid0(VALU_DEP_2) | instskip(NEXT) | instid1(VALU_DEP_2)
	v_fma_f64 v[11:12], v[15:16], v[7:8], -v[11:12]
	v_fma_f64 v[7:8], v[17:18], v[7:8], v[9:10]
	s_delay_alu instid0(VALU_DEP_2) | instskip(NEXT) | instid1(VALU_DEP_2)
	v_add_f64 v[3:4], v[3:4], v[11:12]
	v_add_f64 v[1:2], v[1:2], v[7:8]
	s_and_saveexec_b32 s17, s2
	s_cbranch_execz .LBB127_54
; %bb.53:
	scratch_load_b128 v[7:10], v14, off offset:112
	ds_load_b128 v[15:18], v5 offset:112
	s_waitcnt vmcnt(0) lgkmcnt(0)
	v_mul_f64 v[11:12], v[17:18], v[9:10]
	v_mul_f64 v[9:10], v[15:16], v[9:10]
	s_delay_alu instid0(VALU_DEP_2) | instskip(NEXT) | instid1(VALU_DEP_2)
	v_fma_f64 v[11:12], v[15:16], v[7:8], -v[11:12]
	v_fma_f64 v[7:8], v[17:18], v[7:8], v[9:10]
	s_delay_alu instid0(VALU_DEP_2) | instskip(NEXT) | instid1(VALU_DEP_2)
	v_add_f64 v[3:4], v[3:4], v[11:12]
	v_add_f64 v[1:2], v[1:2], v[7:8]
.LBB127_54:
	s_or_b32 exec_lo, exec_lo, s17
.LBB127_55:
	s_delay_alu instid0(SALU_CYCLE_1)
	s_or_b32 exec_lo, exec_lo, s3
.LBB127_56:
	s_delay_alu instid0(SALU_CYCLE_1)
	s_or_b32 exec_lo, exec_lo, s16
.LBB127_57:
	s_delay_alu instid0(SALU_CYCLE_1)
	s_or_b32 exec_lo, exec_lo, s4
.LBB127_58:
	s_delay_alu instid0(SALU_CYCLE_1)
	s_or_b32 exec_lo, exec_lo, s15
.LBB127_59:
	s_delay_alu instid0(SALU_CYCLE_1)
	s_or_b32 exec_lo, exec_lo, s5
.LBB127_60:
	s_delay_alu instid0(SALU_CYCLE_1)
	s_or_b32 exec_lo, exec_lo, s13
	v_mov_b32_e32 v7, 0
	ds_load_b128 v[7:10], v7 offset:128
	s_waitcnt lgkmcnt(0)
	v_mul_f64 v[11:12], v[1:2], v[9:10]
	v_mul_f64 v[15:16], v[3:4], v[9:10]
	s_delay_alu instid0(VALU_DEP_2) | instskip(NEXT) | instid1(VALU_DEP_2)
	v_fma_f64 v[9:10], v[3:4], v[7:8], -v[11:12]
	v_fma_f64 v[11:12], v[1:2], v[7:8], v[15:16]
	scratch_store_b128 off, v[9:12], off offset:128
.LBB127_61:
	s_or_b32 exec_lo, exec_lo, s12
	s_waitcnt_vscnt null, 0x0
	s_barrier
	buffer_gl0_inv
	scratch_load_b32 v1, off, off offset:1196 ; 4-byte Folded Reload
	s_mov_b32 s2, exec_lo
	s_waitcnt vmcnt(0)
	scratch_load_b128 v[1:4], v1, off
	s_waitcnt vmcnt(0)
	ds_store_b128 v5, v[1:4]
	s_waitcnt lgkmcnt(0)
	s_barrier
	buffer_gl0_inv
	v_cmpx_gt_u32_e32 9, v178
	s_cbranch_execz .LBB127_65
; %bb.62:
	v_mov_b32_e32 v1, 0
	v_dual_mov_b32 v2, 0 :: v_dual_add_nc_u32 v7, -1, v178
	v_or_b32_e32 v8, 0x400, v13
	v_or_b32_e32 v9, 8, v14
	s_mov_b32 s3, 0
	s_delay_alu instid0(VALU_DEP_3)
	v_dual_mov_b32 v4, v2 :: v_dual_mov_b32 v3, v1
	.p2align	6
.LBB127_63:                             ; =>This Inner Loop Header: Depth=1
	scratch_load_b128 v[15:18], v9, off offset:-8
	ds_load_b128 v[19:22], v8
	v_add_nc_u32_e32 v7, 1, v7
	v_add_nc_u32_e32 v8, 16, v8
	v_add_nc_u32_e32 v9, 16, v9
	s_delay_alu instid0(VALU_DEP_3) | instskip(SKIP_4) | instid1(VALU_DEP_2)
	v_cmp_lt_u32_e32 vcc_lo, 7, v7
	s_or_b32 s3, vcc_lo, s3
	s_waitcnt vmcnt(0) lgkmcnt(0)
	v_mul_f64 v[10:11], v[21:22], v[17:18]
	v_mul_f64 v[17:18], v[19:20], v[17:18]
	v_fma_f64 v[10:11], v[19:20], v[15:16], -v[10:11]
	s_delay_alu instid0(VALU_DEP_2) | instskip(NEXT) | instid1(VALU_DEP_2)
	v_fma_f64 v[15:16], v[21:22], v[15:16], v[17:18]
	v_add_f64 v[3:4], v[3:4], v[10:11]
	s_delay_alu instid0(VALU_DEP_2)
	v_add_f64 v[1:2], v[1:2], v[15:16]
	s_and_not1_b32 exec_lo, exec_lo, s3
	s_cbranch_execnz .LBB127_63
; %bb.64:
	s_or_b32 exec_lo, exec_lo, s3
	v_mov_b32_e32 v7, 0
	ds_load_b128 v[7:10], v7 offset:144
	s_waitcnt lgkmcnt(0)
	v_mul_f64 v[11:12], v[1:2], v[9:10]
	v_mul_f64 v[15:16], v[3:4], v[9:10]
	s_delay_alu instid0(VALU_DEP_2) | instskip(NEXT) | instid1(VALU_DEP_2)
	v_fma_f64 v[9:10], v[3:4], v[7:8], -v[11:12]
	v_fma_f64 v[11:12], v[1:2], v[7:8], v[15:16]
	scratch_store_b128 off, v[9:12], off offset:144
.LBB127_65:
	s_or_b32 exec_lo, exec_lo, s2
	s_waitcnt_vscnt null, 0x0
	s_barrier
	buffer_gl0_inv
	scratch_load_b32 v1, off, off offset:1192 ; 4-byte Folded Reload
	s_mov_b32 s2, exec_lo
	s_waitcnt vmcnt(0)
	scratch_load_b128 v[1:4], v1, off
	s_waitcnt vmcnt(0)
	ds_store_b128 v5, v[1:4]
	s_waitcnt lgkmcnt(0)
	s_barrier
	buffer_gl0_inv
	v_cmpx_gt_u32_e32 10, v178
	s_cbranch_execz .LBB127_69
; %bb.66:
	v_mov_b32_e32 v1, 0
	v_dual_mov_b32 v2, 0 :: v_dual_add_nc_u32 v7, -1, v178
	v_or_b32_e32 v8, 0x400, v13
	v_or_b32_e32 v9, 8, v14
	s_mov_b32 s3, 0
	s_delay_alu instid0(VALU_DEP_3)
	v_dual_mov_b32 v4, v2 :: v_dual_mov_b32 v3, v1
	.p2align	6
.LBB127_67:                             ; =>This Inner Loop Header: Depth=1
	scratch_load_b128 v[15:18], v9, off offset:-8
	ds_load_b128 v[19:22], v8
	v_add_nc_u32_e32 v7, 1, v7
	v_add_nc_u32_e32 v8, 16, v8
	;; [unrolled: 1-line block ×3, first 2 shown]
	s_delay_alu instid0(VALU_DEP_3) | instskip(SKIP_4) | instid1(VALU_DEP_2)
	v_cmp_lt_u32_e32 vcc_lo, 8, v7
	s_or_b32 s3, vcc_lo, s3
	s_waitcnt vmcnt(0) lgkmcnt(0)
	v_mul_f64 v[10:11], v[21:22], v[17:18]
	v_mul_f64 v[17:18], v[19:20], v[17:18]
	v_fma_f64 v[10:11], v[19:20], v[15:16], -v[10:11]
	s_delay_alu instid0(VALU_DEP_2) | instskip(NEXT) | instid1(VALU_DEP_2)
	v_fma_f64 v[15:16], v[21:22], v[15:16], v[17:18]
	v_add_f64 v[3:4], v[3:4], v[10:11]
	s_delay_alu instid0(VALU_DEP_2)
	v_add_f64 v[1:2], v[1:2], v[15:16]
	s_and_not1_b32 exec_lo, exec_lo, s3
	s_cbranch_execnz .LBB127_67
; %bb.68:
	s_or_b32 exec_lo, exec_lo, s3
	v_mov_b32_e32 v7, 0
	ds_load_b128 v[7:10], v7 offset:160
	s_waitcnt lgkmcnt(0)
	v_mul_f64 v[11:12], v[1:2], v[9:10]
	v_mul_f64 v[15:16], v[3:4], v[9:10]
	s_delay_alu instid0(VALU_DEP_2) | instskip(NEXT) | instid1(VALU_DEP_2)
	v_fma_f64 v[9:10], v[3:4], v[7:8], -v[11:12]
	v_fma_f64 v[11:12], v[1:2], v[7:8], v[15:16]
	scratch_store_b128 off, v[9:12], off offset:160
.LBB127_69:
	s_or_b32 exec_lo, exec_lo, s2
	s_waitcnt_vscnt null, 0x0
	s_barrier
	buffer_gl0_inv
	scratch_load_b32 v1, off, off offset:1188 ; 4-byte Folded Reload
	s_mov_b32 s2, exec_lo
	s_waitcnt vmcnt(0)
	scratch_load_b128 v[1:4], v1, off
	s_waitcnt vmcnt(0)
	ds_store_b128 v5, v[1:4]
	s_waitcnt lgkmcnt(0)
	s_barrier
	buffer_gl0_inv
	v_cmpx_gt_u32_e32 11, v178
	s_cbranch_execz .LBB127_73
; %bb.70:
	v_mov_b32_e32 v1, 0
	v_dual_mov_b32 v2, 0 :: v_dual_add_nc_u32 v7, -1, v178
	v_or_b32_e32 v8, 0x400, v13
	v_or_b32_e32 v9, 8, v14
	s_mov_b32 s3, 0
	s_delay_alu instid0(VALU_DEP_3)
	v_dual_mov_b32 v4, v2 :: v_dual_mov_b32 v3, v1
	.p2align	6
.LBB127_71:                             ; =>This Inner Loop Header: Depth=1
	scratch_load_b128 v[15:18], v9, off offset:-8
	ds_load_b128 v[19:22], v8
	v_add_nc_u32_e32 v7, 1, v7
	v_add_nc_u32_e32 v8, 16, v8
	;; [unrolled: 1-line block ×3, first 2 shown]
	s_delay_alu instid0(VALU_DEP_3) | instskip(SKIP_4) | instid1(VALU_DEP_2)
	v_cmp_lt_u32_e32 vcc_lo, 9, v7
	s_or_b32 s3, vcc_lo, s3
	s_waitcnt vmcnt(0) lgkmcnt(0)
	v_mul_f64 v[10:11], v[21:22], v[17:18]
	v_mul_f64 v[17:18], v[19:20], v[17:18]
	v_fma_f64 v[10:11], v[19:20], v[15:16], -v[10:11]
	s_delay_alu instid0(VALU_DEP_2) | instskip(NEXT) | instid1(VALU_DEP_2)
	v_fma_f64 v[15:16], v[21:22], v[15:16], v[17:18]
	v_add_f64 v[3:4], v[3:4], v[10:11]
	s_delay_alu instid0(VALU_DEP_2)
	v_add_f64 v[1:2], v[1:2], v[15:16]
	s_and_not1_b32 exec_lo, exec_lo, s3
	s_cbranch_execnz .LBB127_71
; %bb.72:
	s_or_b32 exec_lo, exec_lo, s3
	v_mov_b32_e32 v7, 0
	ds_load_b128 v[7:10], v7 offset:176
	s_waitcnt lgkmcnt(0)
	v_mul_f64 v[11:12], v[1:2], v[9:10]
	v_mul_f64 v[15:16], v[3:4], v[9:10]
	s_delay_alu instid0(VALU_DEP_2) | instskip(NEXT) | instid1(VALU_DEP_2)
	v_fma_f64 v[9:10], v[3:4], v[7:8], -v[11:12]
	v_fma_f64 v[11:12], v[1:2], v[7:8], v[15:16]
	scratch_store_b128 off, v[9:12], off offset:176
.LBB127_73:
	s_or_b32 exec_lo, exec_lo, s2
	s_waitcnt_vscnt null, 0x0
	s_barrier
	buffer_gl0_inv
	scratch_load_b32 v1, off, off offset:1180 ; 4-byte Folded Reload
	s_mov_b32 s2, exec_lo
	s_waitcnt vmcnt(0)
	scratch_load_b128 v[1:4], v1, off
	s_waitcnt vmcnt(0)
	ds_store_b128 v5, v[1:4]
	s_waitcnt lgkmcnt(0)
	s_barrier
	buffer_gl0_inv
	v_cmpx_gt_u32_e32 12, v178
	s_cbranch_execz .LBB127_77
; %bb.74:
	v_mov_b32_e32 v1, 0
	v_dual_mov_b32 v2, 0 :: v_dual_add_nc_u32 v7, -1, v178
	v_or_b32_e32 v8, 0x400, v13
	v_or_b32_e32 v9, 8, v14
	s_mov_b32 s3, 0
	s_delay_alu instid0(VALU_DEP_3)
	v_dual_mov_b32 v4, v2 :: v_dual_mov_b32 v3, v1
	.p2align	6
.LBB127_75:                             ; =>This Inner Loop Header: Depth=1
	scratch_load_b128 v[15:18], v9, off offset:-8
	ds_load_b128 v[19:22], v8
	v_add_nc_u32_e32 v7, 1, v7
	v_add_nc_u32_e32 v8, 16, v8
	;; [unrolled: 1-line block ×3, first 2 shown]
	s_delay_alu instid0(VALU_DEP_3) | instskip(SKIP_4) | instid1(VALU_DEP_2)
	v_cmp_lt_u32_e32 vcc_lo, 10, v7
	s_or_b32 s3, vcc_lo, s3
	s_waitcnt vmcnt(0) lgkmcnt(0)
	v_mul_f64 v[10:11], v[21:22], v[17:18]
	v_mul_f64 v[17:18], v[19:20], v[17:18]
	v_fma_f64 v[10:11], v[19:20], v[15:16], -v[10:11]
	s_delay_alu instid0(VALU_DEP_2) | instskip(NEXT) | instid1(VALU_DEP_2)
	v_fma_f64 v[15:16], v[21:22], v[15:16], v[17:18]
	v_add_f64 v[3:4], v[3:4], v[10:11]
	s_delay_alu instid0(VALU_DEP_2)
	v_add_f64 v[1:2], v[1:2], v[15:16]
	s_and_not1_b32 exec_lo, exec_lo, s3
	s_cbranch_execnz .LBB127_75
; %bb.76:
	s_or_b32 exec_lo, exec_lo, s3
	v_mov_b32_e32 v7, 0
	ds_load_b128 v[7:10], v7 offset:192
	s_waitcnt lgkmcnt(0)
	v_mul_f64 v[11:12], v[1:2], v[9:10]
	v_mul_f64 v[15:16], v[3:4], v[9:10]
	s_delay_alu instid0(VALU_DEP_2) | instskip(NEXT) | instid1(VALU_DEP_2)
	v_fma_f64 v[9:10], v[3:4], v[7:8], -v[11:12]
	v_fma_f64 v[11:12], v[1:2], v[7:8], v[15:16]
	scratch_store_b128 off, v[9:12], off offset:192
.LBB127_77:
	s_or_b32 exec_lo, exec_lo, s2
	s_waitcnt_vscnt null, 0x0
	s_barrier
	buffer_gl0_inv
	scratch_load_b32 v1, off, off offset:1172 ; 4-byte Folded Reload
	s_mov_b32 s2, exec_lo
	s_waitcnt vmcnt(0)
	scratch_load_b128 v[1:4], v1, off
	s_waitcnt vmcnt(0)
	ds_store_b128 v5, v[1:4]
	s_waitcnt lgkmcnt(0)
	s_barrier
	buffer_gl0_inv
	v_cmpx_gt_u32_e32 13, v178
	s_cbranch_execz .LBB127_81
; %bb.78:
	v_mov_b32_e32 v1, 0
	v_dual_mov_b32 v2, 0 :: v_dual_add_nc_u32 v7, -1, v178
	v_or_b32_e32 v8, 0x400, v13
	v_or_b32_e32 v9, 8, v14
	s_mov_b32 s3, 0
	s_delay_alu instid0(VALU_DEP_3)
	v_dual_mov_b32 v4, v2 :: v_dual_mov_b32 v3, v1
	.p2align	6
.LBB127_79:                             ; =>This Inner Loop Header: Depth=1
	scratch_load_b128 v[15:18], v9, off offset:-8
	ds_load_b128 v[19:22], v8
	v_add_nc_u32_e32 v7, 1, v7
	v_add_nc_u32_e32 v8, 16, v8
	;; [unrolled: 1-line block ×3, first 2 shown]
	s_delay_alu instid0(VALU_DEP_3) | instskip(SKIP_4) | instid1(VALU_DEP_2)
	v_cmp_lt_u32_e32 vcc_lo, 11, v7
	s_or_b32 s3, vcc_lo, s3
	s_waitcnt vmcnt(0) lgkmcnt(0)
	v_mul_f64 v[10:11], v[21:22], v[17:18]
	v_mul_f64 v[17:18], v[19:20], v[17:18]
	v_fma_f64 v[10:11], v[19:20], v[15:16], -v[10:11]
	s_delay_alu instid0(VALU_DEP_2) | instskip(NEXT) | instid1(VALU_DEP_2)
	v_fma_f64 v[15:16], v[21:22], v[15:16], v[17:18]
	v_add_f64 v[3:4], v[3:4], v[10:11]
	s_delay_alu instid0(VALU_DEP_2)
	v_add_f64 v[1:2], v[1:2], v[15:16]
	s_and_not1_b32 exec_lo, exec_lo, s3
	s_cbranch_execnz .LBB127_79
; %bb.80:
	s_or_b32 exec_lo, exec_lo, s3
	v_mov_b32_e32 v7, 0
	ds_load_b128 v[7:10], v7 offset:208
	s_waitcnt lgkmcnt(0)
	v_mul_f64 v[11:12], v[1:2], v[9:10]
	v_mul_f64 v[15:16], v[3:4], v[9:10]
	s_delay_alu instid0(VALU_DEP_2) | instskip(NEXT) | instid1(VALU_DEP_2)
	v_fma_f64 v[9:10], v[3:4], v[7:8], -v[11:12]
	v_fma_f64 v[11:12], v[1:2], v[7:8], v[15:16]
	scratch_store_b128 off, v[9:12], off offset:208
.LBB127_81:
	s_or_b32 exec_lo, exec_lo, s2
	s_waitcnt_vscnt null, 0x0
	s_barrier
	buffer_gl0_inv
	scratch_load_b32 v1, off, off offset:1168 ; 4-byte Folded Reload
	s_mov_b32 s2, exec_lo
	s_waitcnt vmcnt(0)
	scratch_load_b128 v[1:4], v1, off
	s_waitcnt vmcnt(0)
	ds_store_b128 v5, v[1:4]
	s_waitcnt lgkmcnt(0)
	s_barrier
	buffer_gl0_inv
	v_cmpx_gt_u32_e32 14, v178
	s_cbranch_execz .LBB127_85
; %bb.82:
	v_mov_b32_e32 v1, 0
	v_dual_mov_b32 v2, 0 :: v_dual_add_nc_u32 v7, -1, v178
	v_or_b32_e32 v8, 0x400, v13
	v_or_b32_e32 v9, 8, v14
	s_mov_b32 s3, 0
	s_delay_alu instid0(VALU_DEP_3)
	v_dual_mov_b32 v4, v2 :: v_dual_mov_b32 v3, v1
	.p2align	6
.LBB127_83:                             ; =>This Inner Loop Header: Depth=1
	scratch_load_b128 v[15:18], v9, off offset:-8
	ds_load_b128 v[19:22], v8
	v_add_nc_u32_e32 v7, 1, v7
	v_add_nc_u32_e32 v8, 16, v8
	;; [unrolled: 1-line block ×3, first 2 shown]
	s_delay_alu instid0(VALU_DEP_3) | instskip(SKIP_4) | instid1(VALU_DEP_2)
	v_cmp_lt_u32_e32 vcc_lo, 12, v7
	s_or_b32 s3, vcc_lo, s3
	s_waitcnt vmcnt(0) lgkmcnt(0)
	v_mul_f64 v[10:11], v[21:22], v[17:18]
	v_mul_f64 v[17:18], v[19:20], v[17:18]
	v_fma_f64 v[10:11], v[19:20], v[15:16], -v[10:11]
	s_delay_alu instid0(VALU_DEP_2) | instskip(NEXT) | instid1(VALU_DEP_2)
	v_fma_f64 v[15:16], v[21:22], v[15:16], v[17:18]
	v_add_f64 v[3:4], v[3:4], v[10:11]
	s_delay_alu instid0(VALU_DEP_2)
	v_add_f64 v[1:2], v[1:2], v[15:16]
	s_and_not1_b32 exec_lo, exec_lo, s3
	s_cbranch_execnz .LBB127_83
; %bb.84:
	s_or_b32 exec_lo, exec_lo, s3
	v_mov_b32_e32 v7, 0
	ds_load_b128 v[7:10], v7 offset:224
	s_waitcnt lgkmcnt(0)
	v_mul_f64 v[11:12], v[1:2], v[9:10]
	v_mul_f64 v[15:16], v[3:4], v[9:10]
	s_delay_alu instid0(VALU_DEP_2) | instskip(NEXT) | instid1(VALU_DEP_2)
	v_fma_f64 v[9:10], v[3:4], v[7:8], -v[11:12]
	v_fma_f64 v[11:12], v[1:2], v[7:8], v[15:16]
	scratch_store_b128 off, v[9:12], off offset:224
.LBB127_85:
	s_or_b32 exec_lo, exec_lo, s2
	s_waitcnt_vscnt null, 0x0
	s_barrier
	buffer_gl0_inv
	scratch_load_b32 v1, off, off offset:1164 ; 4-byte Folded Reload
	s_mov_b32 s2, exec_lo
	s_waitcnt vmcnt(0)
	scratch_load_b128 v[1:4], v1, off
	s_waitcnt vmcnt(0)
	ds_store_b128 v5, v[1:4]
	s_waitcnt lgkmcnt(0)
	s_barrier
	buffer_gl0_inv
	v_cmpx_gt_u32_e32 15, v178
	s_cbranch_execz .LBB127_89
; %bb.86:
	v_mov_b32_e32 v1, 0
	v_dual_mov_b32 v2, 0 :: v_dual_add_nc_u32 v7, -1, v178
	v_or_b32_e32 v8, 0x400, v13
	v_or_b32_e32 v9, 8, v14
	s_mov_b32 s3, 0
	s_delay_alu instid0(VALU_DEP_3)
	v_dual_mov_b32 v4, v2 :: v_dual_mov_b32 v3, v1
	.p2align	6
.LBB127_87:                             ; =>This Inner Loop Header: Depth=1
	scratch_load_b128 v[15:18], v9, off offset:-8
	ds_load_b128 v[19:22], v8
	v_add_nc_u32_e32 v7, 1, v7
	v_add_nc_u32_e32 v8, 16, v8
	v_add_nc_u32_e32 v9, 16, v9
	s_delay_alu instid0(VALU_DEP_3) | instskip(SKIP_4) | instid1(VALU_DEP_2)
	v_cmp_lt_u32_e32 vcc_lo, 13, v7
	s_or_b32 s3, vcc_lo, s3
	s_waitcnt vmcnt(0) lgkmcnt(0)
	v_mul_f64 v[10:11], v[21:22], v[17:18]
	v_mul_f64 v[17:18], v[19:20], v[17:18]
	v_fma_f64 v[10:11], v[19:20], v[15:16], -v[10:11]
	s_delay_alu instid0(VALU_DEP_2) | instskip(NEXT) | instid1(VALU_DEP_2)
	v_fma_f64 v[15:16], v[21:22], v[15:16], v[17:18]
	v_add_f64 v[3:4], v[3:4], v[10:11]
	s_delay_alu instid0(VALU_DEP_2)
	v_add_f64 v[1:2], v[1:2], v[15:16]
	s_and_not1_b32 exec_lo, exec_lo, s3
	s_cbranch_execnz .LBB127_87
; %bb.88:
	s_or_b32 exec_lo, exec_lo, s3
	v_mov_b32_e32 v7, 0
	ds_load_b128 v[7:10], v7 offset:240
	s_waitcnt lgkmcnt(0)
	v_mul_f64 v[11:12], v[1:2], v[9:10]
	v_mul_f64 v[15:16], v[3:4], v[9:10]
	s_delay_alu instid0(VALU_DEP_2) | instskip(NEXT) | instid1(VALU_DEP_2)
	v_fma_f64 v[9:10], v[3:4], v[7:8], -v[11:12]
	v_fma_f64 v[11:12], v[1:2], v[7:8], v[15:16]
	scratch_store_b128 off, v[9:12], off offset:240
.LBB127_89:
	s_or_b32 exec_lo, exec_lo, s2
	s_waitcnt_vscnt null, 0x0
	s_barrier
	buffer_gl0_inv
	scratch_load_b32 v1, off, off offset:1156 ; 4-byte Folded Reload
	s_mov_b32 s2, exec_lo
	s_waitcnt vmcnt(0)
	scratch_load_b128 v[1:4], v1, off
	s_waitcnt vmcnt(0)
	ds_store_b128 v5, v[1:4]
	s_waitcnt lgkmcnt(0)
	s_barrier
	buffer_gl0_inv
	v_cmpx_gt_u32_e32 16, v178
	s_cbranch_execz .LBB127_93
; %bb.90:
	v_mov_b32_e32 v1, 0
	v_dual_mov_b32 v2, 0 :: v_dual_add_nc_u32 v7, -1, v178
	v_or_b32_e32 v8, 0x400, v13
	v_or_b32_e32 v9, 8, v14
	s_mov_b32 s3, 0
	s_delay_alu instid0(VALU_DEP_3)
	v_dual_mov_b32 v4, v2 :: v_dual_mov_b32 v3, v1
	.p2align	6
.LBB127_91:                             ; =>This Inner Loop Header: Depth=1
	scratch_load_b128 v[15:18], v9, off offset:-8
	ds_load_b128 v[19:22], v8
	v_add_nc_u32_e32 v7, 1, v7
	v_add_nc_u32_e32 v8, 16, v8
	;; [unrolled: 1-line block ×3, first 2 shown]
	s_delay_alu instid0(VALU_DEP_3) | instskip(SKIP_4) | instid1(VALU_DEP_2)
	v_cmp_lt_u32_e32 vcc_lo, 14, v7
	s_or_b32 s3, vcc_lo, s3
	s_waitcnt vmcnt(0) lgkmcnt(0)
	v_mul_f64 v[10:11], v[21:22], v[17:18]
	v_mul_f64 v[17:18], v[19:20], v[17:18]
	v_fma_f64 v[10:11], v[19:20], v[15:16], -v[10:11]
	s_delay_alu instid0(VALU_DEP_2) | instskip(NEXT) | instid1(VALU_DEP_2)
	v_fma_f64 v[15:16], v[21:22], v[15:16], v[17:18]
	v_add_f64 v[3:4], v[3:4], v[10:11]
	s_delay_alu instid0(VALU_DEP_2)
	v_add_f64 v[1:2], v[1:2], v[15:16]
	s_and_not1_b32 exec_lo, exec_lo, s3
	s_cbranch_execnz .LBB127_91
; %bb.92:
	s_or_b32 exec_lo, exec_lo, s3
	v_mov_b32_e32 v7, 0
	ds_load_b128 v[7:10], v7 offset:256
	s_waitcnt lgkmcnt(0)
	v_mul_f64 v[11:12], v[1:2], v[9:10]
	v_mul_f64 v[15:16], v[3:4], v[9:10]
	s_delay_alu instid0(VALU_DEP_2) | instskip(NEXT) | instid1(VALU_DEP_2)
	v_fma_f64 v[9:10], v[3:4], v[7:8], -v[11:12]
	v_fma_f64 v[11:12], v[1:2], v[7:8], v[15:16]
	scratch_store_b128 off, v[9:12], off offset:256
.LBB127_93:
	s_or_b32 exec_lo, exec_lo, s2
	s_waitcnt_vscnt null, 0x0
	s_barrier
	buffer_gl0_inv
	scratch_load_b32 v1, off, off offset:1148 ; 4-byte Folded Reload
	s_mov_b32 s2, exec_lo
	s_waitcnt vmcnt(0)
	scratch_load_b128 v[1:4], v1, off
	s_waitcnt vmcnt(0)
	ds_store_b128 v5, v[1:4]
	s_waitcnt lgkmcnt(0)
	s_barrier
	buffer_gl0_inv
	v_cmpx_gt_u32_e32 17, v178
	s_cbranch_execz .LBB127_97
; %bb.94:
	v_mov_b32_e32 v1, 0
	v_dual_mov_b32 v2, 0 :: v_dual_add_nc_u32 v7, -1, v178
	v_or_b32_e32 v8, 0x400, v13
	v_or_b32_e32 v9, 8, v14
	s_mov_b32 s3, 0
	s_delay_alu instid0(VALU_DEP_3)
	v_dual_mov_b32 v4, v2 :: v_dual_mov_b32 v3, v1
	.p2align	6
.LBB127_95:                             ; =>This Inner Loop Header: Depth=1
	scratch_load_b128 v[15:18], v9, off offset:-8
	ds_load_b128 v[19:22], v8
	v_add_nc_u32_e32 v7, 1, v7
	v_add_nc_u32_e32 v8, 16, v8
	;; [unrolled: 1-line block ×3, first 2 shown]
	s_delay_alu instid0(VALU_DEP_3) | instskip(SKIP_4) | instid1(VALU_DEP_2)
	v_cmp_lt_u32_e32 vcc_lo, 15, v7
	s_or_b32 s3, vcc_lo, s3
	s_waitcnt vmcnt(0) lgkmcnt(0)
	v_mul_f64 v[10:11], v[21:22], v[17:18]
	v_mul_f64 v[17:18], v[19:20], v[17:18]
	v_fma_f64 v[10:11], v[19:20], v[15:16], -v[10:11]
	s_delay_alu instid0(VALU_DEP_2) | instskip(NEXT) | instid1(VALU_DEP_2)
	v_fma_f64 v[15:16], v[21:22], v[15:16], v[17:18]
	v_add_f64 v[3:4], v[3:4], v[10:11]
	s_delay_alu instid0(VALU_DEP_2)
	v_add_f64 v[1:2], v[1:2], v[15:16]
	s_and_not1_b32 exec_lo, exec_lo, s3
	s_cbranch_execnz .LBB127_95
; %bb.96:
	s_or_b32 exec_lo, exec_lo, s3
	v_mov_b32_e32 v7, 0
	ds_load_b128 v[7:10], v7 offset:272
	s_waitcnt lgkmcnt(0)
	v_mul_f64 v[11:12], v[1:2], v[9:10]
	v_mul_f64 v[15:16], v[3:4], v[9:10]
	s_delay_alu instid0(VALU_DEP_2) | instskip(NEXT) | instid1(VALU_DEP_2)
	v_fma_f64 v[9:10], v[3:4], v[7:8], -v[11:12]
	v_fma_f64 v[11:12], v[1:2], v[7:8], v[15:16]
	scratch_store_b128 off, v[9:12], off offset:272
.LBB127_97:
	s_or_b32 exec_lo, exec_lo, s2
	s_waitcnt_vscnt null, 0x0
	s_barrier
	buffer_gl0_inv
	scratch_load_b32 v1, off, off offset:1144 ; 4-byte Folded Reload
	s_mov_b32 s2, exec_lo
	s_waitcnt vmcnt(0)
	scratch_load_b128 v[1:4], v1, off
	s_waitcnt vmcnt(0)
	ds_store_b128 v5, v[1:4]
	s_waitcnt lgkmcnt(0)
	s_barrier
	buffer_gl0_inv
	v_cmpx_gt_u32_e32 18, v178
	s_cbranch_execz .LBB127_101
; %bb.98:
	v_mov_b32_e32 v1, 0
	v_dual_mov_b32 v2, 0 :: v_dual_add_nc_u32 v7, -1, v178
	v_or_b32_e32 v8, 0x400, v13
	v_or_b32_e32 v9, 8, v14
	s_mov_b32 s3, 0
	s_delay_alu instid0(VALU_DEP_3)
	v_dual_mov_b32 v4, v2 :: v_dual_mov_b32 v3, v1
	.p2align	6
.LBB127_99:                             ; =>This Inner Loop Header: Depth=1
	scratch_load_b128 v[15:18], v9, off offset:-8
	ds_load_b128 v[19:22], v8
	v_add_nc_u32_e32 v7, 1, v7
	v_add_nc_u32_e32 v8, 16, v8
	;; [unrolled: 1-line block ×3, first 2 shown]
	s_delay_alu instid0(VALU_DEP_3) | instskip(SKIP_4) | instid1(VALU_DEP_2)
	v_cmp_lt_u32_e32 vcc_lo, 16, v7
	s_or_b32 s3, vcc_lo, s3
	s_waitcnt vmcnt(0) lgkmcnt(0)
	v_mul_f64 v[10:11], v[21:22], v[17:18]
	v_mul_f64 v[17:18], v[19:20], v[17:18]
	v_fma_f64 v[10:11], v[19:20], v[15:16], -v[10:11]
	s_delay_alu instid0(VALU_DEP_2) | instskip(NEXT) | instid1(VALU_DEP_2)
	v_fma_f64 v[15:16], v[21:22], v[15:16], v[17:18]
	v_add_f64 v[3:4], v[3:4], v[10:11]
	s_delay_alu instid0(VALU_DEP_2)
	v_add_f64 v[1:2], v[1:2], v[15:16]
	s_and_not1_b32 exec_lo, exec_lo, s3
	s_cbranch_execnz .LBB127_99
; %bb.100:
	s_or_b32 exec_lo, exec_lo, s3
	v_mov_b32_e32 v7, 0
	ds_load_b128 v[7:10], v7 offset:288
	s_waitcnt lgkmcnt(0)
	v_mul_f64 v[11:12], v[1:2], v[9:10]
	v_mul_f64 v[15:16], v[3:4], v[9:10]
	s_delay_alu instid0(VALU_DEP_2) | instskip(NEXT) | instid1(VALU_DEP_2)
	v_fma_f64 v[9:10], v[3:4], v[7:8], -v[11:12]
	v_fma_f64 v[11:12], v[1:2], v[7:8], v[15:16]
	scratch_store_b128 off, v[9:12], off offset:288
.LBB127_101:
	s_or_b32 exec_lo, exec_lo, s2
	s_waitcnt_vscnt null, 0x0
	s_barrier
	buffer_gl0_inv
	scratch_load_b32 v1, off, off offset:1140 ; 4-byte Folded Reload
	s_mov_b32 s2, exec_lo
	s_waitcnt vmcnt(0)
	scratch_load_b128 v[1:4], v1, off
	s_waitcnt vmcnt(0)
	ds_store_b128 v5, v[1:4]
	s_waitcnt lgkmcnt(0)
	s_barrier
	buffer_gl0_inv
	v_cmpx_gt_u32_e32 19, v178
	s_cbranch_execz .LBB127_105
; %bb.102:
	v_mov_b32_e32 v1, 0
	v_dual_mov_b32 v2, 0 :: v_dual_add_nc_u32 v7, -1, v178
	v_or_b32_e32 v8, 0x400, v13
	v_or_b32_e32 v9, 8, v14
	s_mov_b32 s3, 0
	s_delay_alu instid0(VALU_DEP_3)
	v_dual_mov_b32 v4, v2 :: v_dual_mov_b32 v3, v1
	.p2align	6
.LBB127_103:                            ; =>This Inner Loop Header: Depth=1
	scratch_load_b128 v[15:18], v9, off offset:-8
	ds_load_b128 v[19:22], v8
	v_add_nc_u32_e32 v7, 1, v7
	v_add_nc_u32_e32 v8, 16, v8
	;; [unrolled: 1-line block ×3, first 2 shown]
	s_delay_alu instid0(VALU_DEP_3) | instskip(SKIP_4) | instid1(VALU_DEP_2)
	v_cmp_lt_u32_e32 vcc_lo, 17, v7
	s_or_b32 s3, vcc_lo, s3
	s_waitcnt vmcnt(0) lgkmcnt(0)
	v_mul_f64 v[10:11], v[21:22], v[17:18]
	v_mul_f64 v[17:18], v[19:20], v[17:18]
	v_fma_f64 v[10:11], v[19:20], v[15:16], -v[10:11]
	s_delay_alu instid0(VALU_DEP_2) | instskip(NEXT) | instid1(VALU_DEP_2)
	v_fma_f64 v[15:16], v[21:22], v[15:16], v[17:18]
	v_add_f64 v[3:4], v[3:4], v[10:11]
	s_delay_alu instid0(VALU_DEP_2)
	v_add_f64 v[1:2], v[1:2], v[15:16]
	s_and_not1_b32 exec_lo, exec_lo, s3
	s_cbranch_execnz .LBB127_103
; %bb.104:
	s_or_b32 exec_lo, exec_lo, s3
	v_mov_b32_e32 v7, 0
	ds_load_b128 v[7:10], v7 offset:304
	s_waitcnt lgkmcnt(0)
	v_mul_f64 v[11:12], v[1:2], v[9:10]
	v_mul_f64 v[15:16], v[3:4], v[9:10]
	s_delay_alu instid0(VALU_DEP_2) | instskip(NEXT) | instid1(VALU_DEP_2)
	v_fma_f64 v[9:10], v[3:4], v[7:8], -v[11:12]
	v_fma_f64 v[11:12], v[1:2], v[7:8], v[15:16]
	scratch_store_b128 off, v[9:12], off offset:304
.LBB127_105:
	s_or_b32 exec_lo, exec_lo, s2
	s_waitcnt_vscnt null, 0x0
	s_barrier
	buffer_gl0_inv
	scratch_load_b128 v[1:4], v214, off
	s_mov_b32 s2, exec_lo
	s_waitcnt vmcnt(0)
	ds_store_b128 v5, v[1:4]
	s_waitcnt lgkmcnt(0)
	s_barrier
	buffer_gl0_inv
	v_cmpx_gt_u32_e32 20, v178
	s_cbranch_execz .LBB127_109
; %bb.106:
	v_mov_b32_e32 v1, 0
	v_dual_mov_b32 v2, 0 :: v_dual_add_nc_u32 v7, -1, v178
	v_or_b32_e32 v8, 0x400, v13
	v_or_b32_e32 v9, 8, v14
	s_mov_b32 s3, 0
	s_delay_alu instid0(VALU_DEP_3)
	v_dual_mov_b32 v4, v2 :: v_dual_mov_b32 v3, v1
	.p2align	6
.LBB127_107:                            ; =>This Inner Loop Header: Depth=1
	scratch_load_b128 v[15:18], v9, off offset:-8
	ds_load_b128 v[19:22], v8
	v_add_nc_u32_e32 v7, 1, v7
	v_add_nc_u32_e32 v8, 16, v8
	;; [unrolled: 1-line block ×3, first 2 shown]
	s_delay_alu instid0(VALU_DEP_3) | instskip(SKIP_4) | instid1(VALU_DEP_2)
	v_cmp_lt_u32_e32 vcc_lo, 18, v7
	s_or_b32 s3, vcc_lo, s3
	s_waitcnt vmcnt(0) lgkmcnt(0)
	v_mul_f64 v[10:11], v[21:22], v[17:18]
	v_mul_f64 v[17:18], v[19:20], v[17:18]
	v_fma_f64 v[10:11], v[19:20], v[15:16], -v[10:11]
	s_delay_alu instid0(VALU_DEP_2) | instskip(NEXT) | instid1(VALU_DEP_2)
	v_fma_f64 v[15:16], v[21:22], v[15:16], v[17:18]
	v_add_f64 v[3:4], v[3:4], v[10:11]
	s_delay_alu instid0(VALU_DEP_2)
	v_add_f64 v[1:2], v[1:2], v[15:16]
	s_and_not1_b32 exec_lo, exec_lo, s3
	s_cbranch_execnz .LBB127_107
; %bb.108:
	s_or_b32 exec_lo, exec_lo, s3
	v_mov_b32_e32 v7, 0
	ds_load_b128 v[7:10], v7 offset:320
	s_waitcnt lgkmcnt(0)
	v_mul_f64 v[11:12], v[1:2], v[9:10]
	v_mul_f64 v[15:16], v[3:4], v[9:10]
	s_delay_alu instid0(VALU_DEP_2) | instskip(NEXT) | instid1(VALU_DEP_2)
	v_fma_f64 v[9:10], v[3:4], v[7:8], -v[11:12]
	v_fma_f64 v[11:12], v[1:2], v[7:8], v[15:16]
	scratch_store_b128 off, v[9:12], off offset:320
.LBB127_109:
	s_or_b32 exec_lo, exec_lo, s2
	s_waitcnt_vscnt null, 0x0
	s_barrier
	buffer_gl0_inv
	scratch_load_b128 v[1:4], v209, off
	s_mov_b32 s2, exec_lo
	s_waitcnt vmcnt(0)
	ds_store_b128 v5, v[1:4]
	s_waitcnt lgkmcnt(0)
	s_barrier
	buffer_gl0_inv
	v_cmpx_gt_u32_e32 21, v178
	s_cbranch_execz .LBB127_113
; %bb.110:
	v_mov_b32_e32 v1, 0
	v_dual_mov_b32 v2, 0 :: v_dual_add_nc_u32 v7, -1, v178
	v_or_b32_e32 v8, 0x400, v13
	v_or_b32_e32 v9, 8, v14
	s_mov_b32 s3, 0
	s_delay_alu instid0(VALU_DEP_3)
	v_dual_mov_b32 v4, v2 :: v_dual_mov_b32 v3, v1
	.p2align	6
.LBB127_111:                            ; =>This Inner Loop Header: Depth=1
	scratch_load_b128 v[15:18], v9, off offset:-8
	ds_load_b128 v[19:22], v8
	v_add_nc_u32_e32 v7, 1, v7
	v_add_nc_u32_e32 v8, 16, v8
	;; [unrolled: 1-line block ×3, first 2 shown]
	s_delay_alu instid0(VALU_DEP_3) | instskip(SKIP_4) | instid1(VALU_DEP_2)
	v_cmp_lt_u32_e32 vcc_lo, 19, v7
	s_or_b32 s3, vcc_lo, s3
	s_waitcnt vmcnt(0) lgkmcnt(0)
	v_mul_f64 v[10:11], v[21:22], v[17:18]
	v_mul_f64 v[17:18], v[19:20], v[17:18]
	v_fma_f64 v[10:11], v[19:20], v[15:16], -v[10:11]
	s_delay_alu instid0(VALU_DEP_2) | instskip(NEXT) | instid1(VALU_DEP_2)
	v_fma_f64 v[15:16], v[21:22], v[15:16], v[17:18]
	v_add_f64 v[3:4], v[3:4], v[10:11]
	s_delay_alu instid0(VALU_DEP_2)
	v_add_f64 v[1:2], v[1:2], v[15:16]
	s_and_not1_b32 exec_lo, exec_lo, s3
	s_cbranch_execnz .LBB127_111
; %bb.112:
	s_or_b32 exec_lo, exec_lo, s3
	v_mov_b32_e32 v7, 0
	ds_load_b128 v[7:10], v7 offset:336
	s_waitcnt lgkmcnt(0)
	v_mul_f64 v[11:12], v[1:2], v[9:10]
	v_mul_f64 v[15:16], v[3:4], v[9:10]
	s_delay_alu instid0(VALU_DEP_2) | instskip(NEXT) | instid1(VALU_DEP_2)
	v_fma_f64 v[9:10], v[3:4], v[7:8], -v[11:12]
	v_fma_f64 v[11:12], v[1:2], v[7:8], v[15:16]
	scratch_store_b128 off, v[9:12], off offset:336
.LBB127_113:
	s_or_b32 exec_lo, exec_lo, s2
	s_waitcnt_vscnt null, 0x0
	s_barrier
	buffer_gl0_inv
	scratch_load_b32 v1, off, off offset:1244 ; 4-byte Folded Reload
	s_mov_b32 s2, exec_lo
	s_waitcnt vmcnt(0)
	scratch_load_b128 v[1:4], v1, off
	s_waitcnt vmcnt(0)
	ds_store_b128 v5, v[1:4]
	s_waitcnt lgkmcnt(0)
	s_barrier
	buffer_gl0_inv
	v_cmpx_gt_u32_e32 22, v178
	s_cbranch_execz .LBB127_117
; %bb.114:
	v_mov_b32_e32 v1, 0
	v_dual_mov_b32 v2, 0 :: v_dual_add_nc_u32 v7, -1, v178
	v_or_b32_e32 v8, 0x400, v13
	v_or_b32_e32 v9, 8, v14
	s_mov_b32 s3, 0
	s_delay_alu instid0(VALU_DEP_3)
	v_dual_mov_b32 v4, v2 :: v_dual_mov_b32 v3, v1
	.p2align	6
.LBB127_115:                            ; =>This Inner Loop Header: Depth=1
	scratch_load_b128 v[15:18], v9, off offset:-8
	ds_load_b128 v[19:22], v8
	v_add_nc_u32_e32 v7, 1, v7
	v_add_nc_u32_e32 v8, 16, v8
	;; [unrolled: 1-line block ×3, first 2 shown]
	s_delay_alu instid0(VALU_DEP_3) | instskip(SKIP_4) | instid1(VALU_DEP_2)
	v_cmp_lt_u32_e32 vcc_lo, 20, v7
	s_or_b32 s3, vcc_lo, s3
	s_waitcnt vmcnt(0) lgkmcnt(0)
	v_mul_f64 v[10:11], v[21:22], v[17:18]
	v_mul_f64 v[17:18], v[19:20], v[17:18]
	v_fma_f64 v[10:11], v[19:20], v[15:16], -v[10:11]
	s_delay_alu instid0(VALU_DEP_2) | instskip(NEXT) | instid1(VALU_DEP_2)
	v_fma_f64 v[15:16], v[21:22], v[15:16], v[17:18]
	v_add_f64 v[3:4], v[3:4], v[10:11]
	s_delay_alu instid0(VALU_DEP_2)
	v_add_f64 v[1:2], v[1:2], v[15:16]
	s_and_not1_b32 exec_lo, exec_lo, s3
	s_cbranch_execnz .LBB127_115
; %bb.116:
	s_or_b32 exec_lo, exec_lo, s3
	v_mov_b32_e32 v7, 0
	ds_load_b128 v[7:10], v7 offset:352
	s_waitcnt lgkmcnt(0)
	v_mul_f64 v[11:12], v[1:2], v[9:10]
	v_mul_f64 v[15:16], v[3:4], v[9:10]
	s_delay_alu instid0(VALU_DEP_2) | instskip(NEXT) | instid1(VALU_DEP_2)
	v_fma_f64 v[9:10], v[3:4], v[7:8], -v[11:12]
	v_fma_f64 v[11:12], v[1:2], v[7:8], v[15:16]
	scratch_store_b128 off, v[9:12], off offset:352
.LBB127_117:
	s_or_b32 exec_lo, exec_lo, s2
	s_waitcnt_vscnt null, 0x0
	s_barrier
	buffer_gl0_inv
	scratch_load_b32 v1, off, off offset:1240 ; 4-byte Folded Reload
	s_mov_b32 s2, exec_lo
	s_waitcnt vmcnt(0)
	scratch_load_b128 v[1:4], v1, off
	s_waitcnt vmcnt(0)
	ds_store_b128 v5, v[1:4]
	s_waitcnt lgkmcnt(0)
	s_barrier
	buffer_gl0_inv
	v_cmpx_gt_u32_e32 23, v178
	s_cbranch_execz .LBB127_121
; %bb.118:
	v_mov_b32_e32 v1, 0
	v_dual_mov_b32 v2, 0 :: v_dual_add_nc_u32 v7, -1, v178
	v_or_b32_e32 v8, 0x400, v13
	v_or_b32_e32 v9, 8, v14
	s_mov_b32 s3, 0
	s_delay_alu instid0(VALU_DEP_3)
	v_dual_mov_b32 v4, v2 :: v_dual_mov_b32 v3, v1
	.p2align	6
.LBB127_119:                            ; =>This Inner Loop Header: Depth=1
	scratch_load_b128 v[15:18], v9, off offset:-8
	ds_load_b128 v[19:22], v8
	v_add_nc_u32_e32 v7, 1, v7
	v_add_nc_u32_e32 v8, 16, v8
	;; [unrolled: 1-line block ×3, first 2 shown]
	s_delay_alu instid0(VALU_DEP_3) | instskip(SKIP_4) | instid1(VALU_DEP_2)
	v_cmp_lt_u32_e32 vcc_lo, 21, v7
	s_or_b32 s3, vcc_lo, s3
	s_waitcnt vmcnt(0) lgkmcnt(0)
	v_mul_f64 v[10:11], v[21:22], v[17:18]
	v_mul_f64 v[17:18], v[19:20], v[17:18]
	v_fma_f64 v[10:11], v[19:20], v[15:16], -v[10:11]
	s_delay_alu instid0(VALU_DEP_2) | instskip(NEXT) | instid1(VALU_DEP_2)
	v_fma_f64 v[15:16], v[21:22], v[15:16], v[17:18]
	v_add_f64 v[3:4], v[3:4], v[10:11]
	s_delay_alu instid0(VALU_DEP_2)
	v_add_f64 v[1:2], v[1:2], v[15:16]
	s_and_not1_b32 exec_lo, exec_lo, s3
	s_cbranch_execnz .LBB127_119
; %bb.120:
	s_or_b32 exec_lo, exec_lo, s3
	v_mov_b32_e32 v7, 0
	ds_load_b128 v[7:10], v7 offset:368
	s_waitcnt lgkmcnt(0)
	v_mul_f64 v[11:12], v[1:2], v[9:10]
	v_mul_f64 v[15:16], v[3:4], v[9:10]
	s_delay_alu instid0(VALU_DEP_2) | instskip(NEXT) | instid1(VALU_DEP_2)
	v_fma_f64 v[9:10], v[3:4], v[7:8], -v[11:12]
	v_fma_f64 v[11:12], v[1:2], v[7:8], v[15:16]
	scratch_store_b128 off, v[9:12], off offset:368
.LBB127_121:
	s_or_b32 exec_lo, exec_lo, s2
	s_waitcnt_vscnt null, 0x0
	s_barrier
	buffer_gl0_inv
	scratch_load_b32 v1, off, off offset:1236 ; 4-byte Folded Reload
	s_mov_b32 s2, exec_lo
	s_waitcnt vmcnt(0)
	scratch_load_b128 v[1:4], v1, off
	s_waitcnt vmcnt(0)
	ds_store_b128 v5, v[1:4]
	s_waitcnt lgkmcnt(0)
	s_barrier
	buffer_gl0_inv
	v_cmpx_gt_u32_e32 24, v178
	s_cbranch_execz .LBB127_125
; %bb.122:
	v_mov_b32_e32 v1, 0
	v_dual_mov_b32 v2, 0 :: v_dual_add_nc_u32 v7, -1, v178
	v_or_b32_e32 v8, 0x400, v13
	v_or_b32_e32 v9, 8, v14
	s_mov_b32 s3, 0
	s_delay_alu instid0(VALU_DEP_3)
	v_dual_mov_b32 v4, v2 :: v_dual_mov_b32 v3, v1
	.p2align	6
.LBB127_123:                            ; =>This Inner Loop Header: Depth=1
	scratch_load_b128 v[15:18], v9, off offset:-8
	ds_load_b128 v[19:22], v8
	v_add_nc_u32_e32 v7, 1, v7
	v_add_nc_u32_e32 v8, 16, v8
	;; [unrolled: 1-line block ×3, first 2 shown]
	s_delay_alu instid0(VALU_DEP_3) | instskip(SKIP_4) | instid1(VALU_DEP_2)
	v_cmp_lt_u32_e32 vcc_lo, 22, v7
	s_or_b32 s3, vcc_lo, s3
	s_waitcnt vmcnt(0) lgkmcnt(0)
	v_mul_f64 v[10:11], v[21:22], v[17:18]
	v_mul_f64 v[17:18], v[19:20], v[17:18]
	v_fma_f64 v[10:11], v[19:20], v[15:16], -v[10:11]
	s_delay_alu instid0(VALU_DEP_2) | instskip(NEXT) | instid1(VALU_DEP_2)
	v_fma_f64 v[15:16], v[21:22], v[15:16], v[17:18]
	v_add_f64 v[3:4], v[3:4], v[10:11]
	s_delay_alu instid0(VALU_DEP_2)
	v_add_f64 v[1:2], v[1:2], v[15:16]
	s_and_not1_b32 exec_lo, exec_lo, s3
	s_cbranch_execnz .LBB127_123
; %bb.124:
	s_or_b32 exec_lo, exec_lo, s3
	v_mov_b32_e32 v7, 0
	ds_load_b128 v[7:10], v7 offset:384
	s_waitcnt lgkmcnt(0)
	v_mul_f64 v[11:12], v[1:2], v[9:10]
	v_mul_f64 v[15:16], v[3:4], v[9:10]
	s_delay_alu instid0(VALU_DEP_2) | instskip(NEXT) | instid1(VALU_DEP_2)
	v_fma_f64 v[9:10], v[3:4], v[7:8], -v[11:12]
	v_fma_f64 v[11:12], v[1:2], v[7:8], v[15:16]
	scratch_store_b128 off, v[9:12], off offset:384
.LBB127_125:
	s_or_b32 exec_lo, exec_lo, s2
	s_waitcnt_vscnt null, 0x0
	s_barrier
	buffer_gl0_inv
	scratch_load_b32 v1, off, off offset:1232 ; 4-byte Folded Reload
	s_mov_b32 s2, exec_lo
	s_waitcnt vmcnt(0)
	scratch_load_b128 v[1:4], v1, off
	s_waitcnt vmcnt(0)
	ds_store_b128 v5, v[1:4]
	s_waitcnt lgkmcnt(0)
	s_barrier
	buffer_gl0_inv
	v_cmpx_gt_u32_e32 25, v178
	s_cbranch_execz .LBB127_129
; %bb.126:
	v_mov_b32_e32 v1, 0
	v_dual_mov_b32 v2, 0 :: v_dual_add_nc_u32 v7, -1, v178
	v_or_b32_e32 v8, 0x400, v13
	v_or_b32_e32 v9, 8, v14
	s_mov_b32 s3, 0
	s_delay_alu instid0(VALU_DEP_3)
	v_dual_mov_b32 v4, v2 :: v_dual_mov_b32 v3, v1
	.p2align	6
.LBB127_127:                            ; =>This Inner Loop Header: Depth=1
	scratch_load_b128 v[15:18], v9, off offset:-8
	ds_load_b128 v[19:22], v8
	v_add_nc_u32_e32 v7, 1, v7
	v_add_nc_u32_e32 v8, 16, v8
	;; [unrolled: 1-line block ×3, first 2 shown]
	s_delay_alu instid0(VALU_DEP_3) | instskip(SKIP_4) | instid1(VALU_DEP_2)
	v_cmp_lt_u32_e32 vcc_lo, 23, v7
	s_or_b32 s3, vcc_lo, s3
	s_waitcnt vmcnt(0) lgkmcnt(0)
	v_mul_f64 v[10:11], v[21:22], v[17:18]
	v_mul_f64 v[17:18], v[19:20], v[17:18]
	v_fma_f64 v[10:11], v[19:20], v[15:16], -v[10:11]
	s_delay_alu instid0(VALU_DEP_2) | instskip(NEXT) | instid1(VALU_DEP_2)
	v_fma_f64 v[15:16], v[21:22], v[15:16], v[17:18]
	v_add_f64 v[3:4], v[3:4], v[10:11]
	s_delay_alu instid0(VALU_DEP_2)
	v_add_f64 v[1:2], v[1:2], v[15:16]
	s_and_not1_b32 exec_lo, exec_lo, s3
	s_cbranch_execnz .LBB127_127
; %bb.128:
	s_or_b32 exec_lo, exec_lo, s3
	v_mov_b32_e32 v7, 0
	ds_load_b128 v[7:10], v7 offset:400
	s_waitcnt lgkmcnt(0)
	v_mul_f64 v[11:12], v[1:2], v[9:10]
	v_mul_f64 v[15:16], v[3:4], v[9:10]
	s_delay_alu instid0(VALU_DEP_2) | instskip(NEXT) | instid1(VALU_DEP_2)
	v_fma_f64 v[9:10], v[3:4], v[7:8], -v[11:12]
	v_fma_f64 v[11:12], v[1:2], v[7:8], v[15:16]
	scratch_store_b128 off, v[9:12], off offset:400
.LBB127_129:
	s_or_b32 exec_lo, exec_lo, s2
	s_waitcnt_vscnt null, 0x0
	s_barrier
	buffer_gl0_inv
	scratch_load_b32 v1, off, off offset:1228 ; 4-byte Folded Reload
	s_mov_b32 s2, exec_lo
	s_waitcnt vmcnt(0)
	scratch_load_b128 v[1:4], v1, off
	s_waitcnt vmcnt(0)
	ds_store_b128 v5, v[1:4]
	s_waitcnt lgkmcnt(0)
	s_barrier
	buffer_gl0_inv
	v_cmpx_gt_u32_e32 26, v178
	s_cbranch_execz .LBB127_133
; %bb.130:
	v_mov_b32_e32 v1, 0
	v_dual_mov_b32 v2, 0 :: v_dual_add_nc_u32 v7, -1, v178
	v_or_b32_e32 v8, 0x400, v13
	v_or_b32_e32 v9, 8, v14
	s_mov_b32 s3, 0
	s_delay_alu instid0(VALU_DEP_3)
	v_dual_mov_b32 v4, v2 :: v_dual_mov_b32 v3, v1
	.p2align	6
.LBB127_131:                            ; =>This Inner Loop Header: Depth=1
	scratch_load_b128 v[15:18], v9, off offset:-8
	ds_load_b128 v[19:22], v8
	v_add_nc_u32_e32 v7, 1, v7
	v_add_nc_u32_e32 v8, 16, v8
	;; [unrolled: 1-line block ×3, first 2 shown]
	s_delay_alu instid0(VALU_DEP_3) | instskip(SKIP_4) | instid1(VALU_DEP_2)
	v_cmp_lt_u32_e32 vcc_lo, 24, v7
	s_or_b32 s3, vcc_lo, s3
	s_waitcnt vmcnt(0) lgkmcnt(0)
	v_mul_f64 v[10:11], v[21:22], v[17:18]
	v_mul_f64 v[17:18], v[19:20], v[17:18]
	v_fma_f64 v[10:11], v[19:20], v[15:16], -v[10:11]
	s_delay_alu instid0(VALU_DEP_2) | instskip(NEXT) | instid1(VALU_DEP_2)
	v_fma_f64 v[15:16], v[21:22], v[15:16], v[17:18]
	v_add_f64 v[3:4], v[3:4], v[10:11]
	s_delay_alu instid0(VALU_DEP_2)
	v_add_f64 v[1:2], v[1:2], v[15:16]
	s_and_not1_b32 exec_lo, exec_lo, s3
	s_cbranch_execnz .LBB127_131
; %bb.132:
	s_or_b32 exec_lo, exec_lo, s3
	v_mov_b32_e32 v7, 0
	ds_load_b128 v[7:10], v7 offset:416
	s_waitcnt lgkmcnt(0)
	v_mul_f64 v[11:12], v[1:2], v[9:10]
	v_mul_f64 v[15:16], v[3:4], v[9:10]
	s_delay_alu instid0(VALU_DEP_2) | instskip(NEXT) | instid1(VALU_DEP_2)
	v_fma_f64 v[9:10], v[3:4], v[7:8], -v[11:12]
	v_fma_f64 v[11:12], v[1:2], v[7:8], v[15:16]
	scratch_store_b128 off, v[9:12], off offset:416
.LBB127_133:
	s_or_b32 exec_lo, exec_lo, s2
	s_waitcnt_vscnt null, 0x0
	s_barrier
	buffer_gl0_inv
	scratch_load_b32 v1, off, off offset:1224 ; 4-byte Folded Reload
	s_mov_b32 s2, exec_lo
	s_waitcnt vmcnt(0)
	scratch_load_b128 v[1:4], v1, off
	s_waitcnt vmcnt(0)
	ds_store_b128 v5, v[1:4]
	s_waitcnt lgkmcnt(0)
	s_barrier
	buffer_gl0_inv
	v_cmpx_gt_u32_e32 27, v178
	s_cbranch_execz .LBB127_137
; %bb.134:
	v_mov_b32_e32 v1, 0
	v_dual_mov_b32 v2, 0 :: v_dual_add_nc_u32 v7, -1, v178
	v_or_b32_e32 v8, 0x400, v13
	v_or_b32_e32 v9, 8, v14
	s_mov_b32 s3, 0
	s_delay_alu instid0(VALU_DEP_3)
	v_dual_mov_b32 v4, v2 :: v_dual_mov_b32 v3, v1
	.p2align	6
.LBB127_135:                            ; =>This Inner Loop Header: Depth=1
	scratch_load_b128 v[15:18], v9, off offset:-8
	ds_load_b128 v[19:22], v8
	v_add_nc_u32_e32 v7, 1, v7
	v_add_nc_u32_e32 v8, 16, v8
	;; [unrolled: 1-line block ×3, first 2 shown]
	s_delay_alu instid0(VALU_DEP_3) | instskip(SKIP_4) | instid1(VALU_DEP_2)
	v_cmp_lt_u32_e32 vcc_lo, 25, v7
	s_or_b32 s3, vcc_lo, s3
	s_waitcnt vmcnt(0) lgkmcnt(0)
	v_mul_f64 v[10:11], v[21:22], v[17:18]
	v_mul_f64 v[17:18], v[19:20], v[17:18]
	v_fma_f64 v[10:11], v[19:20], v[15:16], -v[10:11]
	s_delay_alu instid0(VALU_DEP_2) | instskip(NEXT) | instid1(VALU_DEP_2)
	v_fma_f64 v[15:16], v[21:22], v[15:16], v[17:18]
	v_add_f64 v[3:4], v[3:4], v[10:11]
	s_delay_alu instid0(VALU_DEP_2)
	v_add_f64 v[1:2], v[1:2], v[15:16]
	s_and_not1_b32 exec_lo, exec_lo, s3
	s_cbranch_execnz .LBB127_135
; %bb.136:
	s_or_b32 exec_lo, exec_lo, s3
	v_mov_b32_e32 v7, 0
	ds_load_b128 v[7:10], v7 offset:432
	s_waitcnt lgkmcnt(0)
	v_mul_f64 v[11:12], v[1:2], v[9:10]
	v_mul_f64 v[15:16], v[3:4], v[9:10]
	s_delay_alu instid0(VALU_DEP_2) | instskip(NEXT) | instid1(VALU_DEP_2)
	v_fma_f64 v[9:10], v[3:4], v[7:8], -v[11:12]
	v_fma_f64 v[11:12], v[1:2], v[7:8], v[15:16]
	scratch_store_b128 off, v[9:12], off offset:432
.LBB127_137:
	s_or_b32 exec_lo, exec_lo, s2
	s_waitcnt_vscnt null, 0x0
	s_barrier
	buffer_gl0_inv
	scratch_load_b32 v1, off, off offset:1208 ; 4-byte Folded Reload
	s_mov_b32 s2, exec_lo
	s_waitcnt vmcnt(0)
	scratch_load_b128 v[1:4], v1, off
	s_waitcnt vmcnt(0)
	ds_store_b128 v5, v[1:4]
	s_waitcnt lgkmcnt(0)
	s_barrier
	buffer_gl0_inv
	v_cmpx_gt_u32_e32 28, v178
	s_cbranch_execz .LBB127_141
; %bb.138:
	v_mov_b32_e32 v1, 0
	v_dual_mov_b32 v2, 0 :: v_dual_add_nc_u32 v7, -1, v178
	v_or_b32_e32 v8, 0x400, v13
	v_or_b32_e32 v9, 8, v14
	s_mov_b32 s3, 0
	s_delay_alu instid0(VALU_DEP_3)
	v_dual_mov_b32 v4, v2 :: v_dual_mov_b32 v3, v1
	.p2align	6
.LBB127_139:                            ; =>This Inner Loop Header: Depth=1
	scratch_load_b128 v[15:18], v9, off offset:-8
	ds_load_b128 v[19:22], v8
	v_add_nc_u32_e32 v7, 1, v7
	v_add_nc_u32_e32 v8, 16, v8
	;; [unrolled: 1-line block ×3, first 2 shown]
	s_delay_alu instid0(VALU_DEP_3) | instskip(SKIP_4) | instid1(VALU_DEP_2)
	v_cmp_lt_u32_e32 vcc_lo, 26, v7
	s_or_b32 s3, vcc_lo, s3
	s_waitcnt vmcnt(0) lgkmcnt(0)
	v_mul_f64 v[10:11], v[21:22], v[17:18]
	v_mul_f64 v[17:18], v[19:20], v[17:18]
	v_fma_f64 v[10:11], v[19:20], v[15:16], -v[10:11]
	s_delay_alu instid0(VALU_DEP_2) | instskip(NEXT) | instid1(VALU_DEP_2)
	v_fma_f64 v[15:16], v[21:22], v[15:16], v[17:18]
	v_add_f64 v[3:4], v[3:4], v[10:11]
	s_delay_alu instid0(VALU_DEP_2)
	v_add_f64 v[1:2], v[1:2], v[15:16]
	s_and_not1_b32 exec_lo, exec_lo, s3
	s_cbranch_execnz .LBB127_139
; %bb.140:
	s_or_b32 exec_lo, exec_lo, s3
	v_mov_b32_e32 v7, 0
	ds_load_b128 v[7:10], v7 offset:448
	s_waitcnt lgkmcnt(0)
	v_mul_f64 v[11:12], v[1:2], v[9:10]
	v_mul_f64 v[15:16], v[3:4], v[9:10]
	s_delay_alu instid0(VALU_DEP_2) | instskip(NEXT) | instid1(VALU_DEP_2)
	v_fma_f64 v[9:10], v[3:4], v[7:8], -v[11:12]
	v_fma_f64 v[11:12], v[1:2], v[7:8], v[15:16]
	scratch_store_b128 off, v[9:12], off offset:448
.LBB127_141:
	s_or_b32 exec_lo, exec_lo, s2
	s_waitcnt_vscnt null, 0x0
	s_barrier
	buffer_gl0_inv
	scratch_load_b32 v1, off, off offset:1200 ; 4-byte Folded Reload
	s_mov_b32 s2, exec_lo
	s_waitcnt vmcnt(0)
	scratch_load_b128 v[1:4], v1, off
	s_waitcnt vmcnt(0)
	ds_store_b128 v5, v[1:4]
	s_waitcnt lgkmcnt(0)
	s_barrier
	buffer_gl0_inv
	v_cmpx_gt_u32_e32 29, v178
	s_cbranch_execz .LBB127_145
; %bb.142:
	v_mov_b32_e32 v1, 0
	v_dual_mov_b32 v2, 0 :: v_dual_add_nc_u32 v7, -1, v178
	v_or_b32_e32 v8, 0x400, v13
	v_or_b32_e32 v9, 8, v14
	s_mov_b32 s3, 0
	s_delay_alu instid0(VALU_DEP_3)
	v_dual_mov_b32 v4, v2 :: v_dual_mov_b32 v3, v1
	.p2align	6
.LBB127_143:                            ; =>This Inner Loop Header: Depth=1
	scratch_load_b128 v[15:18], v9, off offset:-8
	ds_load_b128 v[19:22], v8
	v_add_nc_u32_e32 v7, 1, v7
	v_add_nc_u32_e32 v8, 16, v8
	;; [unrolled: 1-line block ×3, first 2 shown]
	s_delay_alu instid0(VALU_DEP_3) | instskip(SKIP_4) | instid1(VALU_DEP_2)
	v_cmp_lt_u32_e32 vcc_lo, 27, v7
	s_or_b32 s3, vcc_lo, s3
	s_waitcnt vmcnt(0) lgkmcnt(0)
	v_mul_f64 v[10:11], v[21:22], v[17:18]
	v_mul_f64 v[17:18], v[19:20], v[17:18]
	v_fma_f64 v[10:11], v[19:20], v[15:16], -v[10:11]
	s_delay_alu instid0(VALU_DEP_2) | instskip(NEXT) | instid1(VALU_DEP_2)
	v_fma_f64 v[15:16], v[21:22], v[15:16], v[17:18]
	v_add_f64 v[3:4], v[3:4], v[10:11]
	s_delay_alu instid0(VALU_DEP_2)
	v_add_f64 v[1:2], v[1:2], v[15:16]
	s_and_not1_b32 exec_lo, exec_lo, s3
	s_cbranch_execnz .LBB127_143
; %bb.144:
	s_or_b32 exec_lo, exec_lo, s3
	v_mov_b32_e32 v7, 0
	ds_load_b128 v[7:10], v7 offset:464
	s_waitcnt lgkmcnt(0)
	v_mul_f64 v[11:12], v[1:2], v[9:10]
	v_mul_f64 v[15:16], v[3:4], v[9:10]
	s_delay_alu instid0(VALU_DEP_2) | instskip(NEXT) | instid1(VALU_DEP_2)
	v_fma_f64 v[9:10], v[3:4], v[7:8], -v[11:12]
	v_fma_f64 v[11:12], v[1:2], v[7:8], v[15:16]
	scratch_store_b128 off, v[9:12], off offset:464
.LBB127_145:
	s_or_b32 exec_lo, exec_lo, s2
	s_waitcnt_vscnt null, 0x0
	s_barrier
	buffer_gl0_inv
	scratch_load_b32 v1, off, off offset:1184 ; 4-byte Folded Reload
	s_mov_b32 s2, exec_lo
	s_waitcnt vmcnt(0)
	scratch_load_b128 v[1:4], v1, off
	s_waitcnt vmcnt(0)
	ds_store_b128 v5, v[1:4]
	s_waitcnt lgkmcnt(0)
	s_barrier
	buffer_gl0_inv
	v_cmpx_gt_u32_e32 30, v178
	s_cbranch_execz .LBB127_149
; %bb.146:
	v_mov_b32_e32 v1, 0
	v_dual_mov_b32 v2, 0 :: v_dual_add_nc_u32 v7, -1, v178
	v_or_b32_e32 v8, 0x400, v13
	v_or_b32_e32 v9, 8, v14
	s_mov_b32 s3, 0
	s_delay_alu instid0(VALU_DEP_3)
	v_dual_mov_b32 v4, v2 :: v_dual_mov_b32 v3, v1
	.p2align	6
.LBB127_147:                            ; =>This Inner Loop Header: Depth=1
	scratch_load_b128 v[15:18], v9, off offset:-8
	ds_load_b128 v[19:22], v8
	v_add_nc_u32_e32 v7, 1, v7
	v_add_nc_u32_e32 v8, 16, v8
	;; [unrolled: 1-line block ×3, first 2 shown]
	s_delay_alu instid0(VALU_DEP_3) | instskip(SKIP_4) | instid1(VALU_DEP_2)
	v_cmp_lt_u32_e32 vcc_lo, 28, v7
	s_or_b32 s3, vcc_lo, s3
	s_waitcnt vmcnt(0) lgkmcnt(0)
	v_mul_f64 v[10:11], v[21:22], v[17:18]
	v_mul_f64 v[17:18], v[19:20], v[17:18]
	v_fma_f64 v[10:11], v[19:20], v[15:16], -v[10:11]
	s_delay_alu instid0(VALU_DEP_2) | instskip(NEXT) | instid1(VALU_DEP_2)
	v_fma_f64 v[15:16], v[21:22], v[15:16], v[17:18]
	v_add_f64 v[3:4], v[3:4], v[10:11]
	s_delay_alu instid0(VALU_DEP_2)
	v_add_f64 v[1:2], v[1:2], v[15:16]
	s_and_not1_b32 exec_lo, exec_lo, s3
	s_cbranch_execnz .LBB127_147
; %bb.148:
	s_or_b32 exec_lo, exec_lo, s3
	v_mov_b32_e32 v7, 0
	ds_load_b128 v[7:10], v7 offset:480
	s_waitcnt lgkmcnt(0)
	v_mul_f64 v[11:12], v[1:2], v[9:10]
	v_mul_f64 v[15:16], v[3:4], v[9:10]
	s_delay_alu instid0(VALU_DEP_2) | instskip(NEXT) | instid1(VALU_DEP_2)
	v_fma_f64 v[9:10], v[3:4], v[7:8], -v[11:12]
	v_fma_f64 v[11:12], v[1:2], v[7:8], v[15:16]
	scratch_store_b128 off, v[9:12], off offset:480
.LBB127_149:
	s_or_b32 exec_lo, exec_lo, s2
	s_waitcnt_vscnt null, 0x0
	s_barrier
	buffer_gl0_inv
	scratch_load_b32 v1, off, off offset:1176 ; 4-byte Folded Reload
	s_mov_b32 s2, exec_lo
	s_waitcnt vmcnt(0)
	scratch_load_b128 v[1:4], v1, off
	s_waitcnt vmcnt(0)
	ds_store_b128 v5, v[1:4]
	s_waitcnt lgkmcnt(0)
	s_barrier
	buffer_gl0_inv
	v_cmpx_gt_u32_e32 31, v178
	s_cbranch_execz .LBB127_153
; %bb.150:
	v_mov_b32_e32 v1, 0
	v_dual_mov_b32 v2, 0 :: v_dual_add_nc_u32 v7, -1, v178
	v_or_b32_e32 v8, 0x400, v13
	v_or_b32_e32 v9, 8, v14
	s_mov_b32 s3, 0
	s_delay_alu instid0(VALU_DEP_3)
	v_dual_mov_b32 v4, v2 :: v_dual_mov_b32 v3, v1
	.p2align	6
.LBB127_151:                            ; =>This Inner Loop Header: Depth=1
	scratch_load_b128 v[15:18], v9, off offset:-8
	ds_load_b128 v[19:22], v8
	v_add_nc_u32_e32 v7, 1, v7
	v_add_nc_u32_e32 v8, 16, v8
	;; [unrolled: 1-line block ×3, first 2 shown]
	s_delay_alu instid0(VALU_DEP_3) | instskip(SKIP_4) | instid1(VALU_DEP_2)
	v_cmp_lt_u32_e32 vcc_lo, 29, v7
	s_or_b32 s3, vcc_lo, s3
	s_waitcnt vmcnt(0) lgkmcnt(0)
	v_mul_f64 v[10:11], v[21:22], v[17:18]
	v_mul_f64 v[17:18], v[19:20], v[17:18]
	v_fma_f64 v[10:11], v[19:20], v[15:16], -v[10:11]
	s_delay_alu instid0(VALU_DEP_2) | instskip(NEXT) | instid1(VALU_DEP_2)
	v_fma_f64 v[15:16], v[21:22], v[15:16], v[17:18]
	v_add_f64 v[3:4], v[3:4], v[10:11]
	s_delay_alu instid0(VALU_DEP_2)
	v_add_f64 v[1:2], v[1:2], v[15:16]
	s_and_not1_b32 exec_lo, exec_lo, s3
	s_cbranch_execnz .LBB127_151
; %bb.152:
	s_or_b32 exec_lo, exec_lo, s3
	v_mov_b32_e32 v7, 0
	ds_load_b128 v[7:10], v7 offset:496
	s_waitcnt lgkmcnt(0)
	v_mul_f64 v[11:12], v[1:2], v[9:10]
	v_mul_f64 v[15:16], v[3:4], v[9:10]
	s_delay_alu instid0(VALU_DEP_2) | instskip(NEXT) | instid1(VALU_DEP_2)
	v_fma_f64 v[9:10], v[3:4], v[7:8], -v[11:12]
	v_fma_f64 v[11:12], v[1:2], v[7:8], v[15:16]
	scratch_store_b128 off, v[9:12], off offset:496
.LBB127_153:
	s_or_b32 exec_lo, exec_lo, s2
	s_waitcnt_vscnt null, 0x0
	s_barrier
	buffer_gl0_inv
	scratch_load_b32 v1, off, off offset:1160 ; 4-byte Folded Reload
	s_mov_b32 s2, exec_lo
	s_waitcnt vmcnt(0)
	scratch_load_b128 v[1:4], v1, off
	s_waitcnt vmcnt(0)
	ds_store_b128 v5, v[1:4]
	s_waitcnt lgkmcnt(0)
	s_barrier
	buffer_gl0_inv
	v_cmpx_gt_u32_e32 32, v178
	s_cbranch_execz .LBB127_157
; %bb.154:
	v_mov_b32_e32 v1, 0
	v_dual_mov_b32 v2, 0 :: v_dual_add_nc_u32 v7, -1, v178
	v_or_b32_e32 v8, 0x400, v13
	v_or_b32_e32 v9, 8, v14
	s_mov_b32 s3, 0
	s_delay_alu instid0(VALU_DEP_3)
	v_dual_mov_b32 v4, v2 :: v_dual_mov_b32 v3, v1
	.p2align	6
.LBB127_155:                            ; =>This Inner Loop Header: Depth=1
	scratch_load_b128 v[15:18], v9, off offset:-8
	ds_load_b128 v[19:22], v8
	v_add_nc_u32_e32 v7, 1, v7
	v_add_nc_u32_e32 v8, 16, v8
	;; [unrolled: 1-line block ×3, first 2 shown]
	s_delay_alu instid0(VALU_DEP_3) | instskip(SKIP_4) | instid1(VALU_DEP_2)
	v_cmp_lt_u32_e32 vcc_lo, 30, v7
	s_or_b32 s3, vcc_lo, s3
	s_waitcnt vmcnt(0) lgkmcnt(0)
	v_mul_f64 v[10:11], v[21:22], v[17:18]
	v_mul_f64 v[17:18], v[19:20], v[17:18]
	v_fma_f64 v[10:11], v[19:20], v[15:16], -v[10:11]
	s_delay_alu instid0(VALU_DEP_2) | instskip(NEXT) | instid1(VALU_DEP_2)
	v_fma_f64 v[15:16], v[21:22], v[15:16], v[17:18]
	v_add_f64 v[3:4], v[3:4], v[10:11]
	s_delay_alu instid0(VALU_DEP_2)
	v_add_f64 v[1:2], v[1:2], v[15:16]
	s_and_not1_b32 exec_lo, exec_lo, s3
	s_cbranch_execnz .LBB127_155
; %bb.156:
	s_or_b32 exec_lo, exec_lo, s3
	v_mov_b32_e32 v7, 0
	ds_load_b128 v[7:10], v7 offset:512
	s_waitcnt lgkmcnt(0)
	v_mul_f64 v[11:12], v[1:2], v[9:10]
	v_mul_f64 v[15:16], v[3:4], v[9:10]
	s_delay_alu instid0(VALU_DEP_2) | instskip(NEXT) | instid1(VALU_DEP_2)
	v_fma_f64 v[9:10], v[3:4], v[7:8], -v[11:12]
	v_fma_f64 v[11:12], v[1:2], v[7:8], v[15:16]
	scratch_store_b128 off, v[9:12], off offset:512
.LBB127_157:
	s_or_b32 exec_lo, exec_lo, s2
	s_waitcnt_vscnt null, 0x0
	s_barrier
	buffer_gl0_inv
	scratch_load_b32 v1, off, off offset:1152 ; 4-byte Folded Reload
	s_mov_b32 s2, exec_lo
	s_waitcnt vmcnt(0)
	scratch_load_b128 v[1:4], v1, off
	s_waitcnt vmcnt(0)
	ds_store_b128 v5, v[1:4]
	s_waitcnt lgkmcnt(0)
	s_barrier
	buffer_gl0_inv
	v_cmpx_gt_u32_e32 33, v178
	s_cbranch_execz .LBB127_161
; %bb.158:
	v_mov_b32_e32 v1, 0
	v_dual_mov_b32 v2, 0 :: v_dual_add_nc_u32 v7, -1, v178
	v_or_b32_e32 v8, 0x400, v13
	v_or_b32_e32 v9, 8, v14
	s_mov_b32 s3, 0
	s_delay_alu instid0(VALU_DEP_3)
	v_dual_mov_b32 v4, v2 :: v_dual_mov_b32 v3, v1
	.p2align	6
.LBB127_159:                            ; =>This Inner Loop Header: Depth=1
	scratch_load_b128 v[15:18], v9, off offset:-8
	ds_load_b128 v[19:22], v8
	v_add_nc_u32_e32 v7, 1, v7
	v_add_nc_u32_e32 v8, 16, v8
	;; [unrolled: 1-line block ×3, first 2 shown]
	s_delay_alu instid0(VALU_DEP_3) | instskip(SKIP_4) | instid1(VALU_DEP_2)
	v_cmp_lt_u32_e32 vcc_lo, 31, v7
	s_or_b32 s3, vcc_lo, s3
	s_waitcnt vmcnt(0) lgkmcnt(0)
	v_mul_f64 v[10:11], v[21:22], v[17:18]
	v_mul_f64 v[17:18], v[19:20], v[17:18]
	v_fma_f64 v[10:11], v[19:20], v[15:16], -v[10:11]
	s_delay_alu instid0(VALU_DEP_2) | instskip(NEXT) | instid1(VALU_DEP_2)
	v_fma_f64 v[15:16], v[21:22], v[15:16], v[17:18]
	v_add_f64 v[3:4], v[3:4], v[10:11]
	s_delay_alu instid0(VALU_DEP_2)
	v_add_f64 v[1:2], v[1:2], v[15:16]
	s_and_not1_b32 exec_lo, exec_lo, s3
	s_cbranch_execnz .LBB127_159
; %bb.160:
	s_or_b32 exec_lo, exec_lo, s3
	v_mov_b32_e32 v7, 0
	ds_load_b128 v[7:10], v7 offset:528
	s_waitcnt lgkmcnt(0)
	v_mul_f64 v[11:12], v[1:2], v[9:10]
	v_mul_f64 v[15:16], v[3:4], v[9:10]
	s_delay_alu instid0(VALU_DEP_2) | instskip(NEXT) | instid1(VALU_DEP_2)
	v_fma_f64 v[9:10], v[3:4], v[7:8], -v[11:12]
	v_fma_f64 v[11:12], v[1:2], v[7:8], v[15:16]
	scratch_store_b128 off, v[9:12], off offset:528
.LBB127_161:
	s_or_b32 exec_lo, exec_lo, s2
	s_waitcnt_vscnt null, 0x0
	s_barrier
	buffer_gl0_inv
	scratch_load_b32 v1, off, off offset:1136 ; 4-byte Folded Reload
	s_mov_b32 s2, exec_lo
	s_waitcnt vmcnt(0)
	scratch_load_b128 v[1:4], v1, off
	s_waitcnt vmcnt(0)
	ds_store_b128 v5, v[1:4]
	s_waitcnt lgkmcnt(0)
	s_barrier
	buffer_gl0_inv
	v_cmpx_gt_u32_e32 34, v178
	s_cbranch_execz .LBB127_165
; %bb.162:
	v_mov_b32_e32 v1, 0
	v_dual_mov_b32 v2, 0 :: v_dual_add_nc_u32 v7, -1, v178
	v_or_b32_e32 v8, 0x400, v13
	v_or_b32_e32 v9, 8, v14
	s_mov_b32 s3, 0
	s_delay_alu instid0(VALU_DEP_3)
	v_dual_mov_b32 v4, v2 :: v_dual_mov_b32 v3, v1
	.p2align	6
.LBB127_163:                            ; =>This Inner Loop Header: Depth=1
	scratch_load_b128 v[15:18], v9, off offset:-8
	ds_load_b128 v[19:22], v8
	v_add_nc_u32_e32 v7, 1, v7
	v_add_nc_u32_e32 v8, 16, v8
	;; [unrolled: 1-line block ×3, first 2 shown]
	s_delay_alu instid0(VALU_DEP_3) | instskip(SKIP_4) | instid1(VALU_DEP_2)
	v_cmp_lt_u32_e32 vcc_lo, 32, v7
	s_or_b32 s3, vcc_lo, s3
	s_waitcnt vmcnt(0) lgkmcnt(0)
	v_mul_f64 v[10:11], v[21:22], v[17:18]
	v_mul_f64 v[17:18], v[19:20], v[17:18]
	v_fma_f64 v[10:11], v[19:20], v[15:16], -v[10:11]
	s_delay_alu instid0(VALU_DEP_2) | instskip(NEXT) | instid1(VALU_DEP_2)
	v_fma_f64 v[15:16], v[21:22], v[15:16], v[17:18]
	v_add_f64 v[3:4], v[3:4], v[10:11]
	s_delay_alu instid0(VALU_DEP_2)
	v_add_f64 v[1:2], v[1:2], v[15:16]
	s_and_not1_b32 exec_lo, exec_lo, s3
	s_cbranch_execnz .LBB127_163
; %bb.164:
	s_or_b32 exec_lo, exec_lo, s3
	v_mov_b32_e32 v7, 0
	ds_load_b128 v[7:10], v7 offset:544
	s_waitcnt lgkmcnt(0)
	v_mul_f64 v[11:12], v[1:2], v[9:10]
	v_mul_f64 v[15:16], v[3:4], v[9:10]
	s_delay_alu instid0(VALU_DEP_2) | instskip(NEXT) | instid1(VALU_DEP_2)
	v_fma_f64 v[9:10], v[3:4], v[7:8], -v[11:12]
	v_fma_f64 v[11:12], v[1:2], v[7:8], v[15:16]
	scratch_store_b128 off, v[9:12], off offset:544
.LBB127_165:
	s_or_b32 exec_lo, exec_lo, s2
	s_waitcnt_vscnt null, 0x0
	s_barrier
	buffer_gl0_inv
	scratch_load_b32 v1, off, off offset:1132 ; 4-byte Folded Reload
	s_mov_b32 s2, exec_lo
	s_waitcnt vmcnt(0)
	scratch_load_b128 v[1:4], v1, off
	s_waitcnt vmcnt(0)
	ds_store_b128 v5, v[1:4]
	s_waitcnt lgkmcnt(0)
	s_barrier
	buffer_gl0_inv
	v_cmpx_gt_u32_e32 35, v178
	s_cbranch_execz .LBB127_169
; %bb.166:
	v_mov_b32_e32 v1, 0
	v_dual_mov_b32 v2, 0 :: v_dual_add_nc_u32 v7, -1, v178
	v_or_b32_e32 v8, 0x400, v13
	v_or_b32_e32 v9, 8, v14
	s_mov_b32 s3, 0
	s_delay_alu instid0(VALU_DEP_3)
	v_dual_mov_b32 v4, v2 :: v_dual_mov_b32 v3, v1
	.p2align	6
.LBB127_167:                            ; =>This Inner Loop Header: Depth=1
	scratch_load_b128 v[15:18], v9, off offset:-8
	ds_load_b128 v[19:22], v8
	v_add_nc_u32_e32 v7, 1, v7
	v_add_nc_u32_e32 v8, 16, v8
	;; [unrolled: 1-line block ×3, first 2 shown]
	s_delay_alu instid0(VALU_DEP_3) | instskip(SKIP_4) | instid1(VALU_DEP_2)
	v_cmp_lt_u32_e32 vcc_lo, 33, v7
	s_or_b32 s3, vcc_lo, s3
	s_waitcnt vmcnt(0) lgkmcnt(0)
	v_mul_f64 v[10:11], v[21:22], v[17:18]
	v_mul_f64 v[17:18], v[19:20], v[17:18]
	v_fma_f64 v[10:11], v[19:20], v[15:16], -v[10:11]
	s_delay_alu instid0(VALU_DEP_2) | instskip(NEXT) | instid1(VALU_DEP_2)
	v_fma_f64 v[15:16], v[21:22], v[15:16], v[17:18]
	v_add_f64 v[3:4], v[3:4], v[10:11]
	s_delay_alu instid0(VALU_DEP_2)
	v_add_f64 v[1:2], v[1:2], v[15:16]
	s_and_not1_b32 exec_lo, exec_lo, s3
	s_cbranch_execnz .LBB127_167
; %bb.168:
	s_or_b32 exec_lo, exec_lo, s3
	v_mov_b32_e32 v7, 0
	ds_load_b128 v[7:10], v7 offset:560
	s_waitcnt lgkmcnt(0)
	v_mul_f64 v[11:12], v[1:2], v[9:10]
	v_mul_f64 v[15:16], v[3:4], v[9:10]
	s_delay_alu instid0(VALU_DEP_2) | instskip(NEXT) | instid1(VALU_DEP_2)
	v_fma_f64 v[9:10], v[3:4], v[7:8], -v[11:12]
	v_fma_f64 v[11:12], v[1:2], v[7:8], v[15:16]
	scratch_store_b128 off, v[9:12], off offset:560
.LBB127_169:
	s_or_b32 exec_lo, exec_lo, s2
	s_waitcnt_vscnt null, 0x0
	s_barrier
	buffer_gl0_inv
	scratch_load_b32 v1, off, off offset:1128 ; 4-byte Folded Reload
	s_mov_b32 s2, exec_lo
	s_waitcnt vmcnt(0)
	scratch_load_b128 v[1:4], v1, off
	s_waitcnt vmcnt(0)
	ds_store_b128 v5, v[1:4]
	s_waitcnt lgkmcnt(0)
	s_barrier
	buffer_gl0_inv
	v_cmpx_gt_u32_e32 36, v178
	s_cbranch_execz .LBB127_173
; %bb.170:
	v_mov_b32_e32 v1, 0
	v_dual_mov_b32 v2, 0 :: v_dual_add_nc_u32 v7, -1, v178
	v_or_b32_e32 v8, 0x400, v13
	v_or_b32_e32 v9, 8, v14
	s_mov_b32 s3, 0
	s_delay_alu instid0(VALU_DEP_3)
	v_dual_mov_b32 v4, v2 :: v_dual_mov_b32 v3, v1
	.p2align	6
.LBB127_171:                            ; =>This Inner Loop Header: Depth=1
	scratch_load_b128 v[15:18], v9, off offset:-8
	ds_load_b128 v[19:22], v8
	v_add_nc_u32_e32 v7, 1, v7
	v_add_nc_u32_e32 v8, 16, v8
	;; [unrolled: 1-line block ×3, first 2 shown]
	s_delay_alu instid0(VALU_DEP_3) | instskip(SKIP_4) | instid1(VALU_DEP_2)
	v_cmp_lt_u32_e32 vcc_lo, 34, v7
	s_or_b32 s3, vcc_lo, s3
	s_waitcnt vmcnt(0) lgkmcnt(0)
	v_mul_f64 v[10:11], v[21:22], v[17:18]
	v_mul_f64 v[17:18], v[19:20], v[17:18]
	v_fma_f64 v[10:11], v[19:20], v[15:16], -v[10:11]
	s_delay_alu instid0(VALU_DEP_2) | instskip(NEXT) | instid1(VALU_DEP_2)
	v_fma_f64 v[15:16], v[21:22], v[15:16], v[17:18]
	v_add_f64 v[3:4], v[3:4], v[10:11]
	s_delay_alu instid0(VALU_DEP_2)
	v_add_f64 v[1:2], v[1:2], v[15:16]
	s_and_not1_b32 exec_lo, exec_lo, s3
	s_cbranch_execnz .LBB127_171
; %bb.172:
	s_or_b32 exec_lo, exec_lo, s3
	v_mov_b32_e32 v7, 0
	ds_load_b128 v[7:10], v7 offset:576
	s_waitcnt lgkmcnt(0)
	v_mul_f64 v[11:12], v[1:2], v[9:10]
	v_mul_f64 v[15:16], v[3:4], v[9:10]
	s_delay_alu instid0(VALU_DEP_2) | instskip(NEXT) | instid1(VALU_DEP_2)
	v_fma_f64 v[9:10], v[3:4], v[7:8], -v[11:12]
	v_fma_f64 v[11:12], v[1:2], v[7:8], v[15:16]
	scratch_store_b128 off, v[9:12], off offset:576
.LBB127_173:
	s_or_b32 exec_lo, exec_lo, s2
	s_waitcnt_vscnt null, 0x0
	s_barrier
	buffer_gl0_inv
	scratch_load_b32 v1, off, off offset:1124 ; 4-byte Folded Reload
	s_mov_b32 s2, exec_lo
	s_waitcnt vmcnt(0)
	scratch_load_b128 v[1:4], v1, off
	s_waitcnt vmcnt(0)
	ds_store_b128 v5, v[1:4]
	s_waitcnt lgkmcnt(0)
	s_barrier
	buffer_gl0_inv
	v_cmpx_gt_u32_e32 37, v178
	s_cbranch_execz .LBB127_177
; %bb.174:
	v_mov_b32_e32 v1, 0
	v_dual_mov_b32 v2, 0 :: v_dual_add_nc_u32 v7, -1, v178
	v_or_b32_e32 v8, 0x400, v13
	v_or_b32_e32 v9, 8, v14
	s_mov_b32 s3, 0
	s_delay_alu instid0(VALU_DEP_3)
	v_dual_mov_b32 v4, v2 :: v_dual_mov_b32 v3, v1
	.p2align	6
.LBB127_175:                            ; =>This Inner Loop Header: Depth=1
	scratch_load_b128 v[15:18], v9, off offset:-8
	ds_load_b128 v[19:22], v8
	v_add_nc_u32_e32 v7, 1, v7
	v_add_nc_u32_e32 v8, 16, v8
	;; [unrolled: 1-line block ×3, first 2 shown]
	s_delay_alu instid0(VALU_DEP_3) | instskip(SKIP_4) | instid1(VALU_DEP_2)
	v_cmp_lt_u32_e32 vcc_lo, 35, v7
	s_or_b32 s3, vcc_lo, s3
	s_waitcnt vmcnt(0) lgkmcnt(0)
	v_mul_f64 v[10:11], v[21:22], v[17:18]
	v_mul_f64 v[17:18], v[19:20], v[17:18]
	v_fma_f64 v[10:11], v[19:20], v[15:16], -v[10:11]
	s_delay_alu instid0(VALU_DEP_2) | instskip(NEXT) | instid1(VALU_DEP_2)
	v_fma_f64 v[15:16], v[21:22], v[15:16], v[17:18]
	v_add_f64 v[3:4], v[3:4], v[10:11]
	s_delay_alu instid0(VALU_DEP_2)
	v_add_f64 v[1:2], v[1:2], v[15:16]
	s_and_not1_b32 exec_lo, exec_lo, s3
	s_cbranch_execnz .LBB127_175
; %bb.176:
	s_or_b32 exec_lo, exec_lo, s3
	v_mov_b32_e32 v7, 0
	ds_load_b128 v[7:10], v7 offset:592
	s_waitcnt lgkmcnt(0)
	v_mul_f64 v[11:12], v[1:2], v[9:10]
	v_mul_f64 v[15:16], v[3:4], v[9:10]
	s_delay_alu instid0(VALU_DEP_2) | instskip(NEXT) | instid1(VALU_DEP_2)
	v_fma_f64 v[9:10], v[3:4], v[7:8], -v[11:12]
	v_fma_f64 v[11:12], v[1:2], v[7:8], v[15:16]
	scratch_store_b128 off, v[9:12], off offset:592
.LBB127_177:
	s_or_b32 exec_lo, exec_lo, s2
	s_waitcnt_vscnt null, 0x0
	s_barrier
	buffer_gl0_inv
	scratch_load_b32 v1, off, off offset:1120 ; 4-byte Folded Reload
	s_mov_b32 s2, exec_lo
	s_waitcnt vmcnt(0)
	scratch_load_b128 v[1:4], v1, off
	s_waitcnt vmcnt(0)
	ds_store_b128 v5, v[1:4]
	s_waitcnt lgkmcnt(0)
	s_barrier
	buffer_gl0_inv
	v_cmpx_gt_u32_e32 38, v178
	s_cbranch_execz .LBB127_181
; %bb.178:
	v_mov_b32_e32 v1, 0
	v_dual_mov_b32 v2, 0 :: v_dual_add_nc_u32 v7, -1, v178
	v_or_b32_e32 v8, 0x400, v13
	v_or_b32_e32 v9, 8, v14
	s_mov_b32 s3, 0
	s_delay_alu instid0(VALU_DEP_3)
	v_dual_mov_b32 v4, v2 :: v_dual_mov_b32 v3, v1
	.p2align	6
.LBB127_179:                            ; =>This Inner Loop Header: Depth=1
	scratch_load_b128 v[15:18], v9, off offset:-8
	ds_load_b128 v[19:22], v8
	v_add_nc_u32_e32 v7, 1, v7
	v_add_nc_u32_e32 v8, 16, v8
	;; [unrolled: 1-line block ×3, first 2 shown]
	s_delay_alu instid0(VALU_DEP_3) | instskip(SKIP_4) | instid1(VALU_DEP_2)
	v_cmp_lt_u32_e32 vcc_lo, 36, v7
	s_or_b32 s3, vcc_lo, s3
	s_waitcnt vmcnt(0) lgkmcnt(0)
	v_mul_f64 v[10:11], v[21:22], v[17:18]
	v_mul_f64 v[17:18], v[19:20], v[17:18]
	v_fma_f64 v[10:11], v[19:20], v[15:16], -v[10:11]
	s_delay_alu instid0(VALU_DEP_2) | instskip(NEXT) | instid1(VALU_DEP_2)
	v_fma_f64 v[15:16], v[21:22], v[15:16], v[17:18]
	v_add_f64 v[3:4], v[3:4], v[10:11]
	s_delay_alu instid0(VALU_DEP_2)
	v_add_f64 v[1:2], v[1:2], v[15:16]
	s_and_not1_b32 exec_lo, exec_lo, s3
	s_cbranch_execnz .LBB127_179
; %bb.180:
	s_or_b32 exec_lo, exec_lo, s3
	v_mov_b32_e32 v7, 0
	ds_load_b128 v[7:10], v7 offset:608
	s_waitcnt lgkmcnt(0)
	v_mul_f64 v[11:12], v[1:2], v[9:10]
	v_mul_f64 v[15:16], v[3:4], v[9:10]
	s_delay_alu instid0(VALU_DEP_2) | instskip(NEXT) | instid1(VALU_DEP_2)
	v_fma_f64 v[9:10], v[3:4], v[7:8], -v[11:12]
	v_fma_f64 v[11:12], v[1:2], v[7:8], v[15:16]
	scratch_store_b128 off, v[9:12], off offset:608
.LBB127_181:
	s_or_b32 exec_lo, exec_lo, s2
	s_waitcnt_vscnt null, 0x0
	s_barrier
	buffer_gl0_inv
	scratch_load_b32 v1, off, off offset:1116 ; 4-byte Folded Reload
	s_mov_b32 s2, exec_lo
	s_waitcnt vmcnt(0)
	scratch_load_b128 v[1:4], v1, off
	s_waitcnt vmcnt(0)
	ds_store_b128 v5, v[1:4]
	s_waitcnt lgkmcnt(0)
	s_barrier
	buffer_gl0_inv
	v_cmpx_gt_u32_e32 39, v178
	s_cbranch_execz .LBB127_185
; %bb.182:
	v_mov_b32_e32 v1, 0
	v_dual_mov_b32 v2, 0 :: v_dual_add_nc_u32 v7, -1, v178
	v_or_b32_e32 v8, 0x400, v13
	v_or_b32_e32 v9, 8, v14
	s_mov_b32 s3, 0
	s_delay_alu instid0(VALU_DEP_3)
	v_dual_mov_b32 v4, v2 :: v_dual_mov_b32 v3, v1
	.p2align	6
.LBB127_183:                            ; =>This Inner Loop Header: Depth=1
	scratch_load_b128 v[15:18], v9, off offset:-8
	ds_load_b128 v[19:22], v8
	v_add_nc_u32_e32 v7, 1, v7
	v_add_nc_u32_e32 v8, 16, v8
	;; [unrolled: 1-line block ×3, first 2 shown]
	s_delay_alu instid0(VALU_DEP_3) | instskip(SKIP_4) | instid1(VALU_DEP_2)
	v_cmp_lt_u32_e32 vcc_lo, 37, v7
	s_or_b32 s3, vcc_lo, s3
	s_waitcnt vmcnt(0) lgkmcnt(0)
	v_mul_f64 v[10:11], v[21:22], v[17:18]
	v_mul_f64 v[17:18], v[19:20], v[17:18]
	v_fma_f64 v[10:11], v[19:20], v[15:16], -v[10:11]
	s_delay_alu instid0(VALU_DEP_2) | instskip(NEXT) | instid1(VALU_DEP_2)
	v_fma_f64 v[15:16], v[21:22], v[15:16], v[17:18]
	v_add_f64 v[3:4], v[3:4], v[10:11]
	s_delay_alu instid0(VALU_DEP_2)
	v_add_f64 v[1:2], v[1:2], v[15:16]
	s_and_not1_b32 exec_lo, exec_lo, s3
	s_cbranch_execnz .LBB127_183
; %bb.184:
	s_or_b32 exec_lo, exec_lo, s3
	v_mov_b32_e32 v7, 0
	ds_load_b128 v[7:10], v7 offset:624
	s_waitcnt lgkmcnt(0)
	v_mul_f64 v[11:12], v[1:2], v[9:10]
	v_mul_f64 v[15:16], v[3:4], v[9:10]
	s_delay_alu instid0(VALU_DEP_2) | instskip(NEXT) | instid1(VALU_DEP_2)
	v_fma_f64 v[9:10], v[3:4], v[7:8], -v[11:12]
	v_fma_f64 v[11:12], v[1:2], v[7:8], v[15:16]
	scratch_store_b128 off, v[9:12], off offset:624
.LBB127_185:
	s_or_b32 exec_lo, exec_lo, s2
	s_waitcnt_vscnt null, 0x0
	s_barrier
	buffer_gl0_inv
	scratch_load_b32 v1, off, off offset:1112 ; 4-byte Folded Reload
	s_mov_b32 s2, exec_lo
	s_waitcnt vmcnt(0)
	scratch_load_b128 v[1:4], v1, off
	s_waitcnt vmcnt(0)
	ds_store_b128 v5, v[1:4]
	s_waitcnt lgkmcnt(0)
	s_barrier
	buffer_gl0_inv
	v_cmpx_gt_u32_e32 40, v178
	s_cbranch_execz .LBB127_189
; %bb.186:
	v_mov_b32_e32 v1, 0
	v_dual_mov_b32 v2, 0 :: v_dual_add_nc_u32 v7, -1, v178
	v_or_b32_e32 v8, 0x400, v13
	v_or_b32_e32 v9, 8, v14
	s_mov_b32 s3, 0
	s_delay_alu instid0(VALU_DEP_3)
	v_dual_mov_b32 v4, v2 :: v_dual_mov_b32 v3, v1
	.p2align	6
.LBB127_187:                            ; =>This Inner Loop Header: Depth=1
	scratch_load_b128 v[15:18], v9, off offset:-8
	ds_load_b128 v[19:22], v8
	v_add_nc_u32_e32 v7, 1, v7
	v_add_nc_u32_e32 v8, 16, v8
	;; [unrolled: 1-line block ×3, first 2 shown]
	s_delay_alu instid0(VALU_DEP_3) | instskip(SKIP_4) | instid1(VALU_DEP_2)
	v_cmp_lt_u32_e32 vcc_lo, 38, v7
	s_or_b32 s3, vcc_lo, s3
	s_waitcnt vmcnt(0) lgkmcnt(0)
	v_mul_f64 v[10:11], v[21:22], v[17:18]
	v_mul_f64 v[17:18], v[19:20], v[17:18]
	v_fma_f64 v[10:11], v[19:20], v[15:16], -v[10:11]
	s_delay_alu instid0(VALU_DEP_2) | instskip(NEXT) | instid1(VALU_DEP_2)
	v_fma_f64 v[15:16], v[21:22], v[15:16], v[17:18]
	v_add_f64 v[3:4], v[3:4], v[10:11]
	s_delay_alu instid0(VALU_DEP_2)
	v_add_f64 v[1:2], v[1:2], v[15:16]
	s_and_not1_b32 exec_lo, exec_lo, s3
	s_cbranch_execnz .LBB127_187
; %bb.188:
	s_or_b32 exec_lo, exec_lo, s3
	v_mov_b32_e32 v7, 0
	ds_load_b128 v[7:10], v7 offset:640
	s_waitcnt lgkmcnt(0)
	v_mul_f64 v[11:12], v[1:2], v[9:10]
	v_mul_f64 v[15:16], v[3:4], v[9:10]
	s_delay_alu instid0(VALU_DEP_2) | instskip(NEXT) | instid1(VALU_DEP_2)
	v_fma_f64 v[9:10], v[3:4], v[7:8], -v[11:12]
	v_fma_f64 v[11:12], v[1:2], v[7:8], v[15:16]
	scratch_store_b128 off, v[9:12], off offset:640
.LBB127_189:
	s_or_b32 exec_lo, exec_lo, s2
	s_waitcnt_vscnt null, 0x0
	s_barrier
	buffer_gl0_inv
	scratch_load_b32 v1, off, off offset:1108 ; 4-byte Folded Reload
	s_mov_b32 s2, exec_lo
	s_waitcnt vmcnt(0)
	scratch_load_b128 v[1:4], v1, off
	s_waitcnt vmcnt(0)
	ds_store_b128 v5, v[1:4]
	s_waitcnt lgkmcnt(0)
	s_barrier
	buffer_gl0_inv
	v_cmpx_gt_u32_e32 41, v178
	s_cbranch_execz .LBB127_193
; %bb.190:
	v_mov_b32_e32 v1, 0
	v_dual_mov_b32 v2, 0 :: v_dual_add_nc_u32 v7, -1, v178
	v_or_b32_e32 v8, 0x400, v13
	v_or_b32_e32 v9, 8, v14
	s_mov_b32 s3, 0
	s_delay_alu instid0(VALU_DEP_3)
	v_dual_mov_b32 v4, v2 :: v_dual_mov_b32 v3, v1
	.p2align	6
.LBB127_191:                            ; =>This Inner Loop Header: Depth=1
	scratch_load_b128 v[15:18], v9, off offset:-8
	ds_load_b128 v[19:22], v8
	v_add_nc_u32_e32 v7, 1, v7
	v_add_nc_u32_e32 v8, 16, v8
	;; [unrolled: 1-line block ×3, first 2 shown]
	s_delay_alu instid0(VALU_DEP_3) | instskip(SKIP_4) | instid1(VALU_DEP_2)
	v_cmp_lt_u32_e32 vcc_lo, 39, v7
	s_or_b32 s3, vcc_lo, s3
	s_waitcnt vmcnt(0) lgkmcnt(0)
	v_mul_f64 v[10:11], v[21:22], v[17:18]
	v_mul_f64 v[17:18], v[19:20], v[17:18]
	v_fma_f64 v[10:11], v[19:20], v[15:16], -v[10:11]
	s_delay_alu instid0(VALU_DEP_2) | instskip(NEXT) | instid1(VALU_DEP_2)
	v_fma_f64 v[15:16], v[21:22], v[15:16], v[17:18]
	v_add_f64 v[3:4], v[3:4], v[10:11]
	s_delay_alu instid0(VALU_DEP_2)
	v_add_f64 v[1:2], v[1:2], v[15:16]
	s_and_not1_b32 exec_lo, exec_lo, s3
	s_cbranch_execnz .LBB127_191
; %bb.192:
	s_or_b32 exec_lo, exec_lo, s3
	v_mov_b32_e32 v7, 0
	ds_load_b128 v[7:10], v7 offset:656
	s_waitcnt lgkmcnt(0)
	v_mul_f64 v[11:12], v[1:2], v[9:10]
	v_mul_f64 v[15:16], v[3:4], v[9:10]
	s_delay_alu instid0(VALU_DEP_2) | instskip(NEXT) | instid1(VALU_DEP_2)
	v_fma_f64 v[9:10], v[3:4], v[7:8], -v[11:12]
	v_fma_f64 v[11:12], v[1:2], v[7:8], v[15:16]
	scratch_store_b128 off, v[9:12], off offset:656
.LBB127_193:
	s_or_b32 exec_lo, exec_lo, s2
	s_waitcnt_vscnt null, 0x0
	s_barrier
	buffer_gl0_inv
	scratch_load_b32 v1, off, off offset:1104 ; 4-byte Folded Reload
	s_mov_b32 s2, exec_lo
	s_waitcnt vmcnt(0)
	scratch_load_b128 v[1:4], v1, off
	s_waitcnt vmcnt(0)
	ds_store_b128 v5, v[1:4]
	s_waitcnt lgkmcnt(0)
	s_barrier
	buffer_gl0_inv
	v_cmpx_gt_u32_e32 42, v178
	s_cbranch_execz .LBB127_197
; %bb.194:
	v_mov_b32_e32 v1, 0
	v_dual_mov_b32 v2, 0 :: v_dual_add_nc_u32 v7, -1, v178
	v_or_b32_e32 v8, 0x400, v13
	v_or_b32_e32 v9, 8, v14
	s_mov_b32 s3, 0
	s_delay_alu instid0(VALU_DEP_3)
	v_dual_mov_b32 v4, v2 :: v_dual_mov_b32 v3, v1
	.p2align	6
.LBB127_195:                            ; =>This Inner Loop Header: Depth=1
	scratch_load_b128 v[15:18], v9, off offset:-8
	ds_load_b128 v[19:22], v8
	v_add_nc_u32_e32 v7, 1, v7
	v_add_nc_u32_e32 v8, 16, v8
	;; [unrolled: 1-line block ×3, first 2 shown]
	s_delay_alu instid0(VALU_DEP_3) | instskip(SKIP_4) | instid1(VALU_DEP_2)
	v_cmp_lt_u32_e32 vcc_lo, 40, v7
	s_or_b32 s3, vcc_lo, s3
	s_waitcnt vmcnt(0) lgkmcnt(0)
	v_mul_f64 v[10:11], v[21:22], v[17:18]
	v_mul_f64 v[17:18], v[19:20], v[17:18]
	v_fma_f64 v[10:11], v[19:20], v[15:16], -v[10:11]
	s_delay_alu instid0(VALU_DEP_2) | instskip(NEXT) | instid1(VALU_DEP_2)
	v_fma_f64 v[15:16], v[21:22], v[15:16], v[17:18]
	v_add_f64 v[3:4], v[3:4], v[10:11]
	s_delay_alu instid0(VALU_DEP_2)
	v_add_f64 v[1:2], v[1:2], v[15:16]
	s_and_not1_b32 exec_lo, exec_lo, s3
	s_cbranch_execnz .LBB127_195
; %bb.196:
	s_or_b32 exec_lo, exec_lo, s3
	v_mov_b32_e32 v7, 0
	ds_load_b128 v[7:10], v7 offset:672
	s_waitcnt lgkmcnt(0)
	v_mul_f64 v[11:12], v[1:2], v[9:10]
	v_mul_f64 v[15:16], v[3:4], v[9:10]
	s_delay_alu instid0(VALU_DEP_2) | instskip(NEXT) | instid1(VALU_DEP_2)
	v_fma_f64 v[9:10], v[3:4], v[7:8], -v[11:12]
	v_fma_f64 v[11:12], v[1:2], v[7:8], v[15:16]
	scratch_store_b128 off, v[9:12], off offset:672
.LBB127_197:
	s_or_b32 exec_lo, exec_lo, s2
	s_waitcnt_vscnt null, 0x0
	s_barrier
	buffer_gl0_inv
	scratch_load_b32 v1, off, off offset:1100 ; 4-byte Folded Reload
	s_mov_b32 s2, exec_lo
	s_waitcnt vmcnt(0)
	scratch_load_b128 v[1:4], v1, off
	s_waitcnt vmcnt(0)
	ds_store_b128 v5, v[1:4]
	s_waitcnt lgkmcnt(0)
	s_barrier
	buffer_gl0_inv
	v_cmpx_gt_u32_e32 43, v178
	s_cbranch_execz .LBB127_201
; %bb.198:
	v_mov_b32_e32 v1, 0
	v_dual_mov_b32 v2, 0 :: v_dual_add_nc_u32 v7, -1, v178
	v_or_b32_e32 v8, 0x400, v13
	v_or_b32_e32 v9, 8, v14
	s_mov_b32 s3, 0
	s_delay_alu instid0(VALU_DEP_3)
	v_dual_mov_b32 v4, v2 :: v_dual_mov_b32 v3, v1
	.p2align	6
.LBB127_199:                            ; =>This Inner Loop Header: Depth=1
	scratch_load_b128 v[15:18], v9, off offset:-8
	ds_load_b128 v[19:22], v8
	v_add_nc_u32_e32 v7, 1, v7
	v_add_nc_u32_e32 v8, 16, v8
	v_add_nc_u32_e32 v9, 16, v9
	s_delay_alu instid0(VALU_DEP_3) | instskip(SKIP_4) | instid1(VALU_DEP_2)
	v_cmp_lt_u32_e32 vcc_lo, 41, v7
	s_or_b32 s3, vcc_lo, s3
	s_waitcnt vmcnt(0) lgkmcnt(0)
	v_mul_f64 v[10:11], v[21:22], v[17:18]
	v_mul_f64 v[17:18], v[19:20], v[17:18]
	v_fma_f64 v[10:11], v[19:20], v[15:16], -v[10:11]
	s_delay_alu instid0(VALU_DEP_2) | instskip(NEXT) | instid1(VALU_DEP_2)
	v_fma_f64 v[15:16], v[21:22], v[15:16], v[17:18]
	v_add_f64 v[3:4], v[3:4], v[10:11]
	s_delay_alu instid0(VALU_DEP_2)
	v_add_f64 v[1:2], v[1:2], v[15:16]
	s_and_not1_b32 exec_lo, exec_lo, s3
	s_cbranch_execnz .LBB127_199
; %bb.200:
	s_or_b32 exec_lo, exec_lo, s3
	v_mov_b32_e32 v7, 0
	ds_load_b128 v[7:10], v7 offset:688
	s_waitcnt lgkmcnt(0)
	v_mul_f64 v[11:12], v[1:2], v[9:10]
	v_mul_f64 v[15:16], v[3:4], v[9:10]
	s_delay_alu instid0(VALU_DEP_2) | instskip(NEXT) | instid1(VALU_DEP_2)
	v_fma_f64 v[9:10], v[3:4], v[7:8], -v[11:12]
	v_fma_f64 v[11:12], v[1:2], v[7:8], v[15:16]
	scratch_store_b128 off, v[9:12], off offset:688
.LBB127_201:
	s_or_b32 exec_lo, exec_lo, s2
	s_waitcnt_vscnt null, 0x0
	s_barrier
	buffer_gl0_inv
	scratch_load_b32 v1, off, off offset:1096 ; 4-byte Folded Reload
	s_mov_b32 s2, exec_lo
	s_waitcnt vmcnt(0)
	scratch_load_b128 v[1:4], v1, off
	s_waitcnt vmcnt(0)
	ds_store_b128 v5, v[1:4]
	s_waitcnt lgkmcnt(0)
	s_barrier
	buffer_gl0_inv
	v_cmpx_gt_u32_e32 44, v178
	s_cbranch_execz .LBB127_205
; %bb.202:
	v_mov_b32_e32 v1, 0
	v_dual_mov_b32 v2, 0 :: v_dual_add_nc_u32 v7, -1, v178
	v_or_b32_e32 v8, 0x400, v13
	v_or_b32_e32 v9, 8, v14
	s_mov_b32 s3, 0
	s_delay_alu instid0(VALU_DEP_3)
	v_dual_mov_b32 v4, v2 :: v_dual_mov_b32 v3, v1
	.p2align	6
.LBB127_203:                            ; =>This Inner Loop Header: Depth=1
	scratch_load_b128 v[15:18], v9, off offset:-8
	ds_load_b128 v[19:22], v8
	v_add_nc_u32_e32 v7, 1, v7
	v_add_nc_u32_e32 v8, 16, v8
	;; [unrolled: 1-line block ×3, first 2 shown]
	s_delay_alu instid0(VALU_DEP_3) | instskip(SKIP_4) | instid1(VALU_DEP_2)
	v_cmp_lt_u32_e32 vcc_lo, 42, v7
	s_or_b32 s3, vcc_lo, s3
	s_waitcnt vmcnt(0) lgkmcnt(0)
	v_mul_f64 v[10:11], v[21:22], v[17:18]
	v_mul_f64 v[17:18], v[19:20], v[17:18]
	v_fma_f64 v[10:11], v[19:20], v[15:16], -v[10:11]
	s_delay_alu instid0(VALU_DEP_2) | instskip(NEXT) | instid1(VALU_DEP_2)
	v_fma_f64 v[15:16], v[21:22], v[15:16], v[17:18]
	v_add_f64 v[3:4], v[3:4], v[10:11]
	s_delay_alu instid0(VALU_DEP_2)
	v_add_f64 v[1:2], v[1:2], v[15:16]
	s_and_not1_b32 exec_lo, exec_lo, s3
	s_cbranch_execnz .LBB127_203
; %bb.204:
	s_or_b32 exec_lo, exec_lo, s3
	v_mov_b32_e32 v7, 0
	ds_load_b128 v[7:10], v7 offset:704
	s_waitcnt lgkmcnt(0)
	v_mul_f64 v[11:12], v[1:2], v[9:10]
	v_mul_f64 v[15:16], v[3:4], v[9:10]
	s_delay_alu instid0(VALU_DEP_2) | instskip(NEXT) | instid1(VALU_DEP_2)
	v_fma_f64 v[9:10], v[3:4], v[7:8], -v[11:12]
	v_fma_f64 v[11:12], v[1:2], v[7:8], v[15:16]
	scratch_store_b128 off, v[9:12], off offset:704
.LBB127_205:
	s_or_b32 exec_lo, exec_lo, s2
	s_waitcnt_vscnt null, 0x0
	s_barrier
	buffer_gl0_inv
	scratch_load_b32 v1, off, off offset:1092 ; 4-byte Folded Reload
	s_mov_b32 s2, exec_lo
	s_waitcnt vmcnt(0)
	scratch_load_b128 v[1:4], v1, off
	s_waitcnt vmcnt(0)
	ds_store_b128 v5, v[1:4]
	s_waitcnt lgkmcnt(0)
	s_barrier
	buffer_gl0_inv
	v_cmpx_gt_u32_e32 45, v178
	s_cbranch_execz .LBB127_209
; %bb.206:
	v_mov_b32_e32 v1, 0
	v_dual_mov_b32 v2, 0 :: v_dual_add_nc_u32 v7, -1, v178
	v_or_b32_e32 v8, 0x400, v13
	v_or_b32_e32 v9, 8, v14
	s_mov_b32 s3, 0
	s_delay_alu instid0(VALU_DEP_3)
	v_dual_mov_b32 v4, v2 :: v_dual_mov_b32 v3, v1
	.p2align	6
.LBB127_207:                            ; =>This Inner Loop Header: Depth=1
	scratch_load_b128 v[15:18], v9, off offset:-8
	ds_load_b128 v[19:22], v8
	v_add_nc_u32_e32 v7, 1, v7
	v_add_nc_u32_e32 v8, 16, v8
	;; [unrolled: 1-line block ×3, first 2 shown]
	s_delay_alu instid0(VALU_DEP_3) | instskip(SKIP_4) | instid1(VALU_DEP_2)
	v_cmp_lt_u32_e32 vcc_lo, 43, v7
	s_or_b32 s3, vcc_lo, s3
	s_waitcnt vmcnt(0) lgkmcnt(0)
	v_mul_f64 v[10:11], v[21:22], v[17:18]
	v_mul_f64 v[17:18], v[19:20], v[17:18]
	v_fma_f64 v[10:11], v[19:20], v[15:16], -v[10:11]
	s_delay_alu instid0(VALU_DEP_2) | instskip(NEXT) | instid1(VALU_DEP_2)
	v_fma_f64 v[15:16], v[21:22], v[15:16], v[17:18]
	v_add_f64 v[3:4], v[3:4], v[10:11]
	s_delay_alu instid0(VALU_DEP_2)
	v_add_f64 v[1:2], v[1:2], v[15:16]
	s_and_not1_b32 exec_lo, exec_lo, s3
	s_cbranch_execnz .LBB127_207
; %bb.208:
	s_or_b32 exec_lo, exec_lo, s3
	v_mov_b32_e32 v7, 0
	ds_load_b128 v[7:10], v7 offset:720
	s_waitcnt lgkmcnt(0)
	v_mul_f64 v[11:12], v[1:2], v[9:10]
	v_mul_f64 v[15:16], v[3:4], v[9:10]
	s_delay_alu instid0(VALU_DEP_2) | instskip(NEXT) | instid1(VALU_DEP_2)
	v_fma_f64 v[9:10], v[3:4], v[7:8], -v[11:12]
	v_fma_f64 v[11:12], v[1:2], v[7:8], v[15:16]
	scratch_store_b128 off, v[9:12], off offset:720
.LBB127_209:
	s_or_b32 exec_lo, exec_lo, s2
	s_waitcnt_vscnt null, 0x0
	s_barrier
	buffer_gl0_inv
	scratch_load_b32 v1, off, off offset:1088 ; 4-byte Folded Reload
	s_mov_b32 s2, exec_lo
	s_waitcnt vmcnt(0)
	scratch_load_b128 v[1:4], v1, off
	s_waitcnt vmcnt(0)
	ds_store_b128 v5, v[1:4]
	s_waitcnt lgkmcnt(0)
	s_barrier
	buffer_gl0_inv
	v_cmpx_gt_u32_e32 46, v178
	s_cbranch_execz .LBB127_213
; %bb.210:
	v_mov_b32_e32 v1, 0
	v_dual_mov_b32 v2, 0 :: v_dual_add_nc_u32 v7, -1, v178
	v_or_b32_e32 v8, 0x400, v13
	v_or_b32_e32 v9, 8, v14
	s_mov_b32 s3, 0
	s_delay_alu instid0(VALU_DEP_3)
	v_dual_mov_b32 v4, v2 :: v_dual_mov_b32 v3, v1
	.p2align	6
.LBB127_211:                            ; =>This Inner Loop Header: Depth=1
	scratch_load_b128 v[15:18], v9, off offset:-8
	ds_load_b128 v[19:22], v8
	v_add_nc_u32_e32 v7, 1, v7
	v_add_nc_u32_e32 v8, 16, v8
	;; [unrolled: 1-line block ×3, first 2 shown]
	s_delay_alu instid0(VALU_DEP_3) | instskip(SKIP_4) | instid1(VALU_DEP_2)
	v_cmp_lt_u32_e32 vcc_lo, 44, v7
	s_or_b32 s3, vcc_lo, s3
	s_waitcnt vmcnt(0) lgkmcnt(0)
	v_mul_f64 v[10:11], v[21:22], v[17:18]
	v_mul_f64 v[17:18], v[19:20], v[17:18]
	v_fma_f64 v[10:11], v[19:20], v[15:16], -v[10:11]
	s_delay_alu instid0(VALU_DEP_2) | instskip(NEXT) | instid1(VALU_DEP_2)
	v_fma_f64 v[15:16], v[21:22], v[15:16], v[17:18]
	v_add_f64 v[3:4], v[3:4], v[10:11]
	s_delay_alu instid0(VALU_DEP_2)
	v_add_f64 v[1:2], v[1:2], v[15:16]
	s_and_not1_b32 exec_lo, exec_lo, s3
	s_cbranch_execnz .LBB127_211
; %bb.212:
	s_or_b32 exec_lo, exec_lo, s3
	v_mov_b32_e32 v7, 0
	ds_load_b128 v[7:10], v7 offset:736
	s_waitcnt lgkmcnt(0)
	v_mul_f64 v[11:12], v[1:2], v[9:10]
	v_mul_f64 v[15:16], v[3:4], v[9:10]
	s_delay_alu instid0(VALU_DEP_2) | instskip(NEXT) | instid1(VALU_DEP_2)
	v_fma_f64 v[9:10], v[3:4], v[7:8], -v[11:12]
	v_fma_f64 v[11:12], v[1:2], v[7:8], v[15:16]
	scratch_store_b128 off, v[9:12], off offset:736
.LBB127_213:
	s_or_b32 exec_lo, exec_lo, s2
	s_waitcnt_vscnt null, 0x0
	s_barrier
	buffer_gl0_inv
	scratch_load_b32 v1, off, off offset:1084 ; 4-byte Folded Reload
	s_mov_b32 s2, exec_lo
	s_waitcnt vmcnt(0)
	scratch_load_b128 v[1:4], v1, off
	s_waitcnt vmcnt(0)
	ds_store_b128 v5, v[1:4]
	s_waitcnt lgkmcnt(0)
	s_barrier
	buffer_gl0_inv
	v_cmpx_gt_u32_e32 47, v178
	s_cbranch_execz .LBB127_217
; %bb.214:
	v_mov_b32_e32 v1, 0
	v_dual_mov_b32 v2, 0 :: v_dual_add_nc_u32 v7, -1, v178
	v_or_b32_e32 v8, 0x400, v13
	v_or_b32_e32 v9, 8, v14
	s_mov_b32 s3, 0
	s_delay_alu instid0(VALU_DEP_3)
	v_dual_mov_b32 v4, v2 :: v_dual_mov_b32 v3, v1
	.p2align	6
.LBB127_215:                            ; =>This Inner Loop Header: Depth=1
	scratch_load_b128 v[15:18], v9, off offset:-8
	ds_load_b128 v[19:22], v8
	v_add_nc_u32_e32 v7, 1, v7
	v_add_nc_u32_e32 v8, 16, v8
	;; [unrolled: 1-line block ×3, first 2 shown]
	s_delay_alu instid0(VALU_DEP_3) | instskip(SKIP_4) | instid1(VALU_DEP_2)
	v_cmp_lt_u32_e32 vcc_lo, 45, v7
	s_or_b32 s3, vcc_lo, s3
	s_waitcnt vmcnt(0) lgkmcnt(0)
	v_mul_f64 v[10:11], v[21:22], v[17:18]
	v_mul_f64 v[17:18], v[19:20], v[17:18]
	v_fma_f64 v[10:11], v[19:20], v[15:16], -v[10:11]
	s_delay_alu instid0(VALU_DEP_2) | instskip(NEXT) | instid1(VALU_DEP_2)
	v_fma_f64 v[15:16], v[21:22], v[15:16], v[17:18]
	v_add_f64 v[3:4], v[3:4], v[10:11]
	s_delay_alu instid0(VALU_DEP_2)
	v_add_f64 v[1:2], v[1:2], v[15:16]
	s_and_not1_b32 exec_lo, exec_lo, s3
	s_cbranch_execnz .LBB127_215
; %bb.216:
	s_or_b32 exec_lo, exec_lo, s3
	v_mov_b32_e32 v7, 0
	ds_load_b128 v[7:10], v7 offset:752
	s_waitcnt lgkmcnt(0)
	v_mul_f64 v[11:12], v[1:2], v[9:10]
	v_mul_f64 v[15:16], v[3:4], v[9:10]
	s_delay_alu instid0(VALU_DEP_2) | instskip(NEXT) | instid1(VALU_DEP_2)
	v_fma_f64 v[9:10], v[3:4], v[7:8], -v[11:12]
	v_fma_f64 v[11:12], v[1:2], v[7:8], v[15:16]
	scratch_store_b128 off, v[9:12], off offset:752
.LBB127_217:
	s_or_b32 exec_lo, exec_lo, s2
	s_waitcnt_vscnt null, 0x0
	s_barrier
	buffer_gl0_inv
	scratch_load_b32 v1, off, off offset:1080 ; 4-byte Folded Reload
	s_mov_b32 s2, exec_lo
	s_waitcnt vmcnt(0)
	scratch_load_b128 v[1:4], v1, off
	s_waitcnt vmcnt(0)
	ds_store_b128 v5, v[1:4]
	s_waitcnt lgkmcnt(0)
	s_barrier
	buffer_gl0_inv
	v_cmpx_gt_u32_e32 48, v178
	s_cbranch_execz .LBB127_221
; %bb.218:
	v_mov_b32_e32 v1, 0
	v_dual_mov_b32 v2, 0 :: v_dual_add_nc_u32 v7, -1, v178
	v_or_b32_e32 v8, 0x400, v13
	v_or_b32_e32 v9, 8, v14
	s_mov_b32 s3, 0
	s_delay_alu instid0(VALU_DEP_3)
	v_dual_mov_b32 v4, v2 :: v_dual_mov_b32 v3, v1
	.p2align	6
.LBB127_219:                            ; =>This Inner Loop Header: Depth=1
	scratch_load_b128 v[15:18], v9, off offset:-8
	ds_load_b128 v[19:22], v8
	v_add_nc_u32_e32 v7, 1, v7
	v_add_nc_u32_e32 v8, 16, v8
	;; [unrolled: 1-line block ×3, first 2 shown]
	s_delay_alu instid0(VALU_DEP_3) | instskip(SKIP_4) | instid1(VALU_DEP_2)
	v_cmp_lt_u32_e32 vcc_lo, 46, v7
	s_or_b32 s3, vcc_lo, s3
	s_waitcnt vmcnt(0) lgkmcnt(0)
	v_mul_f64 v[10:11], v[21:22], v[17:18]
	v_mul_f64 v[17:18], v[19:20], v[17:18]
	v_fma_f64 v[10:11], v[19:20], v[15:16], -v[10:11]
	s_delay_alu instid0(VALU_DEP_2) | instskip(NEXT) | instid1(VALU_DEP_2)
	v_fma_f64 v[15:16], v[21:22], v[15:16], v[17:18]
	v_add_f64 v[3:4], v[3:4], v[10:11]
	s_delay_alu instid0(VALU_DEP_2)
	v_add_f64 v[1:2], v[1:2], v[15:16]
	s_and_not1_b32 exec_lo, exec_lo, s3
	s_cbranch_execnz .LBB127_219
; %bb.220:
	s_or_b32 exec_lo, exec_lo, s3
	v_mov_b32_e32 v7, 0
	ds_load_b128 v[7:10], v7 offset:768
	s_waitcnt lgkmcnt(0)
	v_mul_f64 v[11:12], v[1:2], v[9:10]
	v_mul_f64 v[15:16], v[3:4], v[9:10]
	s_delay_alu instid0(VALU_DEP_2) | instskip(NEXT) | instid1(VALU_DEP_2)
	v_fma_f64 v[9:10], v[3:4], v[7:8], -v[11:12]
	v_fma_f64 v[11:12], v[1:2], v[7:8], v[15:16]
	scratch_store_b128 off, v[9:12], off offset:768
.LBB127_221:
	s_or_b32 exec_lo, exec_lo, s2
	s_waitcnt_vscnt null, 0x0
	s_barrier
	buffer_gl0_inv
	scratch_load_b32 v1, off, off offset:1076 ; 4-byte Folded Reload
	s_mov_b32 s2, exec_lo
	s_waitcnt vmcnt(0)
	scratch_load_b128 v[1:4], v1, off
	s_waitcnt vmcnt(0)
	ds_store_b128 v5, v[1:4]
	s_waitcnt lgkmcnt(0)
	s_barrier
	buffer_gl0_inv
	v_cmpx_gt_u32_e32 49, v178
	s_cbranch_execz .LBB127_225
; %bb.222:
	v_mov_b32_e32 v1, 0
	v_dual_mov_b32 v2, 0 :: v_dual_add_nc_u32 v7, -1, v178
	v_or_b32_e32 v8, 0x400, v13
	v_or_b32_e32 v9, 8, v14
	s_mov_b32 s3, 0
	s_delay_alu instid0(VALU_DEP_3)
	v_dual_mov_b32 v4, v2 :: v_dual_mov_b32 v3, v1
	.p2align	6
.LBB127_223:                            ; =>This Inner Loop Header: Depth=1
	scratch_load_b128 v[15:18], v9, off offset:-8
	ds_load_b128 v[19:22], v8
	v_add_nc_u32_e32 v7, 1, v7
	v_add_nc_u32_e32 v8, 16, v8
	;; [unrolled: 1-line block ×3, first 2 shown]
	s_delay_alu instid0(VALU_DEP_3) | instskip(SKIP_4) | instid1(VALU_DEP_2)
	v_cmp_lt_u32_e32 vcc_lo, 47, v7
	s_or_b32 s3, vcc_lo, s3
	s_waitcnt vmcnt(0) lgkmcnt(0)
	v_mul_f64 v[10:11], v[21:22], v[17:18]
	v_mul_f64 v[17:18], v[19:20], v[17:18]
	v_fma_f64 v[10:11], v[19:20], v[15:16], -v[10:11]
	s_delay_alu instid0(VALU_DEP_2) | instskip(NEXT) | instid1(VALU_DEP_2)
	v_fma_f64 v[15:16], v[21:22], v[15:16], v[17:18]
	v_add_f64 v[3:4], v[3:4], v[10:11]
	s_delay_alu instid0(VALU_DEP_2)
	v_add_f64 v[1:2], v[1:2], v[15:16]
	s_and_not1_b32 exec_lo, exec_lo, s3
	s_cbranch_execnz .LBB127_223
; %bb.224:
	s_or_b32 exec_lo, exec_lo, s3
	v_mov_b32_e32 v7, 0
	ds_load_b128 v[7:10], v7 offset:784
	s_waitcnt lgkmcnt(0)
	v_mul_f64 v[11:12], v[1:2], v[9:10]
	v_mul_f64 v[15:16], v[3:4], v[9:10]
	s_delay_alu instid0(VALU_DEP_2) | instskip(NEXT) | instid1(VALU_DEP_2)
	v_fma_f64 v[9:10], v[3:4], v[7:8], -v[11:12]
	v_fma_f64 v[11:12], v[1:2], v[7:8], v[15:16]
	scratch_store_b128 off, v[9:12], off offset:784
.LBB127_225:
	s_or_b32 exec_lo, exec_lo, s2
	s_waitcnt_vscnt null, 0x0
	s_barrier
	buffer_gl0_inv
	scratch_load_b32 v1, off, off offset:1072 ; 4-byte Folded Reload
	s_mov_b32 s2, exec_lo
	s_waitcnt vmcnt(0)
	scratch_load_b128 v[1:4], v1, off
	s_waitcnt vmcnt(0)
	ds_store_b128 v5, v[1:4]
	s_waitcnt lgkmcnt(0)
	s_barrier
	buffer_gl0_inv
	v_cmpx_gt_u32_e32 50, v178
	s_cbranch_execz .LBB127_229
; %bb.226:
	v_mov_b32_e32 v1, 0
	v_dual_mov_b32 v2, 0 :: v_dual_add_nc_u32 v7, -1, v178
	v_or_b32_e32 v8, 0x400, v13
	v_or_b32_e32 v9, 8, v14
	s_mov_b32 s3, 0
	s_delay_alu instid0(VALU_DEP_3)
	v_dual_mov_b32 v4, v2 :: v_dual_mov_b32 v3, v1
	.p2align	6
.LBB127_227:                            ; =>This Inner Loop Header: Depth=1
	scratch_load_b128 v[15:18], v9, off offset:-8
	ds_load_b128 v[19:22], v8
	v_add_nc_u32_e32 v7, 1, v7
	v_add_nc_u32_e32 v8, 16, v8
	;; [unrolled: 1-line block ×3, first 2 shown]
	s_delay_alu instid0(VALU_DEP_3) | instskip(SKIP_4) | instid1(VALU_DEP_2)
	v_cmp_lt_u32_e32 vcc_lo, 48, v7
	s_or_b32 s3, vcc_lo, s3
	s_waitcnt vmcnt(0) lgkmcnt(0)
	v_mul_f64 v[10:11], v[21:22], v[17:18]
	v_mul_f64 v[17:18], v[19:20], v[17:18]
	v_fma_f64 v[10:11], v[19:20], v[15:16], -v[10:11]
	s_delay_alu instid0(VALU_DEP_2) | instskip(NEXT) | instid1(VALU_DEP_2)
	v_fma_f64 v[15:16], v[21:22], v[15:16], v[17:18]
	v_add_f64 v[3:4], v[3:4], v[10:11]
	s_delay_alu instid0(VALU_DEP_2)
	v_add_f64 v[1:2], v[1:2], v[15:16]
	s_and_not1_b32 exec_lo, exec_lo, s3
	s_cbranch_execnz .LBB127_227
; %bb.228:
	s_or_b32 exec_lo, exec_lo, s3
	v_mov_b32_e32 v7, 0
	ds_load_b128 v[7:10], v7 offset:800
	s_waitcnt lgkmcnt(0)
	v_mul_f64 v[11:12], v[1:2], v[9:10]
	v_mul_f64 v[15:16], v[3:4], v[9:10]
	s_delay_alu instid0(VALU_DEP_2) | instskip(NEXT) | instid1(VALU_DEP_2)
	v_fma_f64 v[9:10], v[3:4], v[7:8], -v[11:12]
	v_fma_f64 v[11:12], v[1:2], v[7:8], v[15:16]
	scratch_store_b128 off, v[9:12], off offset:800
.LBB127_229:
	s_or_b32 exec_lo, exec_lo, s2
	s_waitcnt_vscnt null, 0x0
	s_barrier
	buffer_gl0_inv
	scratch_load_b32 v1, off, off offset:1068 ; 4-byte Folded Reload
	s_mov_b32 s2, exec_lo
	s_waitcnt vmcnt(0)
	scratch_load_b128 v[1:4], v1, off
	s_waitcnt vmcnt(0)
	ds_store_b128 v5, v[1:4]
	s_waitcnt lgkmcnt(0)
	s_barrier
	buffer_gl0_inv
	v_cmpx_gt_u32_e32 51, v178
	s_cbranch_execz .LBB127_233
; %bb.230:
	v_mov_b32_e32 v1, 0
	v_dual_mov_b32 v2, 0 :: v_dual_add_nc_u32 v7, -1, v178
	v_or_b32_e32 v8, 0x400, v13
	v_or_b32_e32 v9, 8, v14
	s_mov_b32 s3, 0
	s_delay_alu instid0(VALU_DEP_3)
	v_dual_mov_b32 v4, v2 :: v_dual_mov_b32 v3, v1
	.p2align	6
.LBB127_231:                            ; =>This Inner Loop Header: Depth=1
	scratch_load_b128 v[15:18], v9, off offset:-8
	ds_load_b128 v[19:22], v8
	v_add_nc_u32_e32 v7, 1, v7
	v_add_nc_u32_e32 v8, 16, v8
	;; [unrolled: 1-line block ×3, first 2 shown]
	s_delay_alu instid0(VALU_DEP_3) | instskip(SKIP_4) | instid1(VALU_DEP_2)
	v_cmp_lt_u32_e32 vcc_lo, 49, v7
	s_or_b32 s3, vcc_lo, s3
	s_waitcnt vmcnt(0) lgkmcnt(0)
	v_mul_f64 v[10:11], v[21:22], v[17:18]
	v_mul_f64 v[17:18], v[19:20], v[17:18]
	v_fma_f64 v[10:11], v[19:20], v[15:16], -v[10:11]
	s_delay_alu instid0(VALU_DEP_2) | instskip(NEXT) | instid1(VALU_DEP_2)
	v_fma_f64 v[15:16], v[21:22], v[15:16], v[17:18]
	v_add_f64 v[3:4], v[3:4], v[10:11]
	s_delay_alu instid0(VALU_DEP_2)
	v_add_f64 v[1:2], v[1:2], v[15:16]
	s_and_not1_b32 exec_lo, exec_lo, s3
	s_cbranch_execnz .LBB127_231
; %bb.232:
	s_or_b32 exec_lo, exec_lo, s3
	v_mov_b32_e32 v7, 0
	ds_load_b128 v[7:10], v7 offset:816
	s_waitcnt lgkmcnt(0)
	v_mul_f64 v[11:12], v[1:2], v[9:10]
	v_mul_f64 v[15:16], v[3:4], v[9:10]
	s_delay_alu instid0(VALU_DEP_2) | instskip(NEXT) | instid1(VALU_DEP_2)
	v_fma_f64 v[9:10], v[3:4], v[7:8], -v[11:12]
	v_fma_f64 v[11:12], v[1:2], v[7:8], v[15:16]
	scratch_store_b128 off, v[9:12], off offset:816
.LBB127_233:
	s_or_b32 exec_lo, exec_lo, s2
	s_waitcnt_vscnt null, 0x0
	s_barrier
	buffer_gl0_inv
	scratch_load_b32 v1, off, off offset:1064 ; 4-byte Folded Reload
	s_mov_b32 s2, exec_lo
	s_waitcnt vmcnt(0)
	scratch_load_b128 v[1:4], v1, off
	s_waitcnt vmcnt(0)
	ds_store_b128 v5, v[1:4]
	s_waitcnt lgkmcnt(0)
	s_barrier
	buffer_gl0_inv
	v_cmpx_gt_u32_e32 52, v178
	s_cbranch_execz .LBB127_237
; %bb.234:
	v_mov_b32_e32 v1, 0
	v_dual_mov_b32 v2, 0 :: v_dual_add_nc_u32 v7, -1, v178
	v_or_b32_e32 v8, 0x400, v13
	v_or_b32_e32 v9, 8, v14
	s_mov_b32 s3, 0
	s_delay_alu instid0(VALU_DEP_3)
	v_dual_mov_b32 v4, v2 :: v_dual_mov_b32 v3, v1
	.p2align	6
.LBB127_235:                            ; =>This Inner Loop Header: Depth=1
	scratch_load_b128 v[15:18], v9, off offset:-8
	ds_load_b128 v[19:22], v8
	v_add_nc_u32_e32 v7, 1, v7
	v_add_nc_u32_e32 v8, 16, v8
	;; [unrolled: 1-line block ×3, first 2 shown]
	s_delay_alu instid0(VALU_DEP_3) | instskip(SKIP_4) | instid1(VALU_DEP_2)
	v_cmp_lt_u32_e32 vcc_lo, 50, v7
	s_or_b32 s3, vcc_lo, s3
	s_waitcnt vmcnt(0) lgkmcnt(0)
	v_mul_f64 v[10:11], v[21:22], v[17:18]
	v_mul_f64 v[17:18], v[19:20], v[17:18]
	v_fma_f64 v[10:11], v[19:20], v[15:16], -v[10:11]
	s_delay_alu instid0(VALU_DEP_2) | instskip(NEXT) | instid1(VALU_DEP_2)
	v_fma_f64 v[15:16], v[21:22], v[15:16], v[17:18]
	v_add_f64 v[3:4], v[3:4], v[10:11]
	s_delay_alu instid0(VALU_DEP_2)
	v_add_f64 v[1:2], v[1:2], v[15:16]
	s_and_not1_b32 exec_lo, exec_lo, s3
	s_cbranch_execnz .LBB127_235
; %bb.236:
	s_or_b32 exec_lo, exec_lo, s3
	v_mov_b32_e32 v7, 0
	ds_load_b128 v[7:10], v7 offset:832
	s_waitcnt lgkmcnt(0)
	v_mul_f64 v[11:12], v[1:2], v[9:10]
	v_mul_f64 v[15:16], v[3:4], v[9:10]
	s_delay_alu instid0(VALU_DEP_2) | instskip(NEXT) | instid1(VALU_DEP_2)
	v_fma_f64 v[9:10], v[3:4], v[7:8], -v[11:12]
	v_fma_f64 v[11:12], v[1:2], v[7:8], v[15:16]
	scratch_store_b128 off, v[9:12], off offset:832
.LBB127_237:
	s_or_b32 exec_lo, exec_lo, s2
	s_waitcnt_vscnt null, 0x0
	s_barrier
	buffer_gl0_inv
	scratch_load_b32 v1, off, off offset:1060 ; 4-byte Folded Reload
	s_mov_b32 s2, exec_lo
	s_waitcnt vmcnt(0)
	scratch_load_b128 v[1:4], v1, off
	s_waitcnt vmcnt(0)
	ds_store_b128 v5, v[1:4]
	s_waitcnt lgkmcnt(0)
	s_barrier
	buffer_gl0_inv
	v_cmpx_gt_u32_e32 53, v178
	s_cbranch_execz .LBB127_241
; %bb.238:
	v_mov_b32_e32 v1, 0
	v_dual_mov_b32 v2, 0 :: v_dual_add_nc_u32 v7, -1, v178
	v_or_b32_e32 v8, 0x400, v13
	v_or_b32_e32 v9, 8, v14
	s_mov_b32 s3, 0
	s_delay_alu instid0(VALU_DEP_3)
	v_dual_mov_b32 v4, v2 :: v_dual_mov_b32 v3, v1
	.p2align	6
.LBB127_239:                            ; =>This Inner Loop Header: Depth=1
	scratch_load_b128 v[15:18], v9, off offset:-8
	ds_load_b128 v[19:22], v8
	v_add_nc_u32_e32 v7, 1, v7
	v_add_nc_u32_e32 v8, 16, v8
	;; [unrolled: 1-line block ×3, first 2 shown]
	s_delay_alu instid0(VALU_DEP_3) | instskip(SKIP_4) | instid1(VALU_DEP_2)
	v_cmp_lt_u32_e32 vcc_lo, 51, v7
	s_or_b32 s3, vcc_lo, s3
	s_waitcnt vmcnt(0) lgkmcnt(0)
	v_mul_f64 v[10:11], v[21:22], v[17:18]
	v_mul_f64 v[17:18], v[19:20], v[17:18]
	v_fma_f64 v[10:11], v[19:20], v[15:16], -v[10:11]
	s_delay_alu instid0(VALU_DEP_2) | instskip(NEXT) | instid1(VALU_DEP_2)
	v_fma_f64 v[15:16], v[21:22], v[15:16], v[17:18]
	v_add_f64 v[3:4], v[3:4], v[10:11]
	s_delay_alu instid0(VALU_DEP_2)
	v_add_f64 v[1:2], v[1:2], v[15:16]
	s_and_not1_b32 exec_lo, exec_lo, s3
	s_cbranch_execnz .LBB127_239
; %bb.240:
	s_or_b32 exec_lo, exec_lo, s3
	v_mov_b32_e32 v7, 0
	ds_load_b128 v[7:10], v7 offset:848
	s_waitcnt lgkmcnt(0)
	v_mul_f64 v[11:12], v[1:2], v[9:10]
	v_mul_f64 v[15:16], v[3:4], v[9:10]
	s_delay_alu instid0(VALU_DEP_2) | instskip(NEXT) | instid1(VALU_DEP_2)
	v_fma_f64 v[9:10], v[3:4], v[7:8], -v[11:12]
	v_fma_f64 v[11:12], v[1:2], v[7:8], v[15:16]
	scratch_store_b128 off, v[9:12], off offset:848
.LBB127_241:
	s_or_b32 exec_lo, exec_lo, s2
	s_waitcnt_vscnt null, 0x0
	s_barrier
	buffer_gl0_inv
	scratch_load_b32 v1, off, off offset:1056 ; 4-byte Folded Reload
	s_mov_b32 s2, exec_lo
	s_waitcnt vmcnt(0)
	scratch_load_b128 v[1:4], v1, off
	s_waitcnt vmcnt(0)
	ds_store_b128 v5, v[1:4]
	s_waitcnt lgkmcnt(0)
	s_barrier
	buffer_gl0_inv
	v_cmpx_gt_u32_e32 54, v178
	s_cbranch_execz .LBB127_245
; %bb.242:
	v_mov_b32_e32 v1, 0
	v_dual_mov_b32 v2, 0 :: v_dual_add_nc_u32 v7, -1, v178
	v_or_b32_e32 v8, 0x400, v13
	v_or_b32_e32 v9, 8, v14
	s_mov_b32 s3, 0
	s_delay_alu instid0(VALU_DEP_3)
	v_dual_mov_b32 v4, v2 :: v_dual_mov_b32 v3, v1
	.p2align	6
.LBB127_243:                            ; =>This Inner Loop Header: Depth=1
	scratch_load_b128 v[15:18], v9, off offset:-8
	ds_load_b128 v[19:22], v8
	v_add_nc_u32_e32 v7, 1, v7
	v_add_nc_u32_e32 v8, 16, v8
	;; [unrolled: 1-line block ×3, first 2 shown]
	s_delay_alu instid0(VALU_DEP_3) | instskip(SKIP_4) | instid1(VALU_DEP_2)
	v_cmp_lt_u32_e32 vcc_lo, 52, v7
	s_or_b32 s3, vcc_lo, s3
	s_waitcnt vmcnt(0) lgkmcnt(0)
	v_mul_f64 v[10:11], v[21:22], v[17:18]
	v_mul_f64 v[17:18], v[19:20], v[17:18]
	v_fma_f64 v[10:11], v[19:20], v[15:16], -v[10:11]
	s_delay_alu instid0(VALU_DEP_2) | instskip(NEXT) | instid1(VALU_DEP_2)
	v_fma_f64 v[15:16], v[21:22], v[15:16], v[17:18]
	v_add_f64 v[3:4], v[3:4], v[10:11]
	s_delay_alu instid0(VALU_DEP_2)
	v_add_f64 v[1:2], v[1:2], v[15:16]
	s_and_not1_b32 exec_lo, exec_lo, s3
	s_cbranch_execnz .LBB127_243
; %bb.244:
	s_or_b32 exec_lo, exec_lo, s3
	v_mov_b32_e32 v7, 0
	ds_load_b128 v[7:10], v7 offset:864
	s_waitcnt lgkmcnt(0)
	v_mul_f64 v[11:12], v[1:2], v[9:10]
	v_mul_f64 v[15:16], v[3:4], v[9:10]
	s_delay_alu instid0(VALU_DEP_2) | instskip(NEXT) | instid1(VALU_DEP_2)
	v_fma_f64 v[9:10], v[3:4], v[7:8], -v[11:12]
	v_fma_f64 v[11:12], v[1:2], v[7:8], v[15:16]
	scratch_store_b128 off, v[9:12], off offset:864
.LBB127_245:
	s_or_b32 exec_lo, exec_lo, s2
	s_waitcnt_vscnt null, 0x0
	s_barrier
	buffer_gl0_inv
	scratch_load_b32 v1, off, off offset:1052 ; 4-byte Folded Reload
	s_mov_b32 s2, exec_lo
	s_waitcnt vmcnt(0)
	scratch_load_b128 v[1:4], v1, off
	s_waitcnt vmcnt(0)
	ds_store_b128 v5, v[1:4]
	s_waitcnt lgkmcnt(0)
	s_barrier
	buffer_gl0_inv
	v_cmpx_gt_u32_e32 55, v178
	s_cbranch_execz .LBB127_249
; %bb.246:
	v_mov_b32_e32 v1, 0
	v_dual_mov_b32 v2, 0 :: v_dual_add_nc_u32 v7, -1, v178
	v_or_b32_e32 v8, 0x400, v13
	v_or_b32_e32 v9, 8, v14
	s_mov_b32 s3, 0
	s_delay_alu instid0(VALU_DEP_3)
	v_dual_mov_b32 v4, v2 :: v_dual_mov_b32 v3, v1
	.p2align	6
.LBB127_247:                            ; =>This Inner Loop Header: Depth=1
	scratch_load_b128 v[15:18], v9, off offset:-8
	ds_load_b128 v[19:22], v8
	v_add_nc_u32_e32 v7, 1, v7
	v_add_nc_u32_e32 v8, 16, v8
	;; [unrolled: 1-line block ×3, first 2 shown]
	s_delay_alu instid0(VALU_DEP_3) | instskip(SKIP_4) | instid1(VALU_DEP_2)
	v_cmp_lt_u32_e32 vcc_lo, 53, v7
	s_or_b32 s3, vcc_lo, s3
	s_waitcnt vmcnt(0) lgkmcnt(0)
	v_mul_f64 v[10:11], v[21:22], v[17:18]
	v_mul_f64 v[17:18], v[19:20], v[17:18]
	v_fma_f64 v[10:11], v[19:20], v[15:16], -v[10:11]
	s_delay_alu instid0(VALU_DEP_2) | instskip(NEXT) | instid1(VALU_DEP_2)
	v_fma_f64 v[15:16], v[21:22], v[15:16], v[17:18]
	v_add_f64 v[3:4], v[3:4], v[10:11]
	s_delay_alu instid0(VALU_DEP_2)
	v_add_f64 v[1:2], v[1:2], v[15:16]
	s_and_not1_b32 exec_lo, exec_lo, s3
	s_cbranch_execnz .LBB127_247
; %bb.248:
	s_or_b32 exec_lo, exec_lo, s3
	v_mov_b32_e32 v7, 0
	ds_load_b128 v[7:10], v7 offset:880
	s_waitcnt lgkmcnt(0)
	v_mul_f64 v[11:12], v[1:2], v[9:10]
	v_mul_f64 v[15:16], v[3:4], v[9:10]
	s_delay_alu instid0(VALU_DEP_2) | instskip(NEXT) | instid1(VALU_DEP_2)
	v_fma_f64 v[9:10], v[3:4], v[7:8], -v[11:12]
	v_fma_f64 v[11:12], v[1:2], v[7:8], v[15:16]
	scratch_store_b128 off, v[9:12], off offset:880
.LBB127_249:
	s_or_b32 exec_lo, exec_lo, s2
	s_waitcnt_vscnt null, 0x0
	s_barrier
	buffer_gl0_inv
	scratch_load_b32 v1, off, off offset:1048 ; 4-byte Folded Reload
	s_mov_b32 s2, exec_lo
	s_waitcnt vmcnt(0)
	scratch_load_b128 v[1:4], v1, off
	s_waitcnt vmcnt(0)
	ds_store_b128 v5, v[1:4]
	s_waitcnt lgkmcnt(0)
	s_barrier
	buffer_gl0_inv
	v_cmpx_gt_u32_e32 56, v178
	s_cbranch_execz .LBB127_253
; %bb.250:
	v_mov_b32_e32 v1, 0
	v_dual_mov_b32 v2, 0 :: v_dual_add_nc_u32 v7, -1, v178
	v_or_b32_e32 v8, 0x400, v13
	v_or_b32_e32 v9, 8, v14
	s_mov_b32 s3, 0
	s_delay_alu instid0(VALU_DEP_3)
	v_dual_mov_b32 v4, v2 :: v_dual_mov_b32 v3, v1
	.p2align	6
.LBB127_251:                            ; =>This Inner Loop Header: Depth=1
	scratch_load_b128 v[15:18], v9, off offset:-8
	ds_load_b128 v[19:22], v8
	v_add_nc_u32_e32 v7, 1, v7
	v_add_nc_u32_e32 v8, 16, v8
	;; [unrolled: 1-line block ×3, first 2 shown]
	s_delay_alu instid0(VALU_DEP_3) | instskip(SKIP_4) | instid1(VALU_DEP_2)
	v_cmp_lt_u32_e32 vcc_lo, 54, v7
	s_or_b32 s3, vcc_lo, s3
	s_waitcnt vmcnt(0) lgkmcnt(0)
	v_mul_f64 v[10:11], v[21:22], v[17:18]
	v_mul_f64 v[17:18], v[19:20], v[17:18]
	v_fma_f64 v[10:11], v[19:20], v[15:16], -v[10:11]
	s_delay_alu instid0(VALU_DEP_2) | instskip(NEXT) | instid1(VALU_DEP_2)
	v_fma_f64 v[15:16], v[21:22], v[15:16], v[17:18]
	v_add_f64 v[3:4], v[3:4], v[10:11]
	s_delay_alu instid0(VALU_DEP_2)
	v_add_f64 v[1:2], v[1:2], v[15:16]
	s_and_not1_b32 exec_lo, exec_lo, s3
	s_cbranch_execnz .LBB127_251
; %bb.252:
	s_or_b32 exec_lo, exec_lo, s3
	v_mov_b32_e32 v7, 0
	ds_load_b128 v[7:10], v7 offset:896
	s_waitcnt lgkmcnt(0)
	v_mul_f64 v[11:12], v[1:2], v[9:10]
	v_mul_f64 v[15:16], v[3:4], v[9:10]
	s_delay_alu instid0(VALU_DEP_2) | instskip(NEXT) | instid1(VALU_DEP_2)
	v_fma_f64 v[9:10], v[3:4], v[7:8], -v[11:12]
	v_fma_f64 v[11:12], v[1:2], v[7:8], v[15:16]
	scratch_store_b128 off, v[9:12], off offset:896
.LBB127_253:
	s_or_b32 exec_lo, exec_lo, s2
	s_waitcnt_vscnt null, 0x0
	s_barrier
	buffer_gl0_inv
	scratch_load_b32 v1, off, off offset:1044 ; 4-byte Folded Reload
	s_mov_b32 s2, exec_lo
	s_waitcnt vmcnt(0)
	scratch_load_b128 v[1:4], v1, off
	s_waitcnt vmcnt(0)
	ds_store_b128 v5, v[1:4]
	s_waitcnt lgkmcnt(0)
	s_barrier
	buffer_gl0_inv
	v_cmpx_gt_u32_e32 57, v178
	s_cbranch_execz .LBB127_257
; %bb.254:
	v_mov_b32_e32 v1, 0
	v_dual_mov_b32 v2, 0 :: v_dual_add_nc_u32 v7, -1, v178
	v_or_b32_e32 v8, 0x400, v13
	v_or_b32_e32 v9, 8, v14
	s_mov_b32 s3, 0
	s_delay_alu instid0(VALU_DEP_3)
	v_dual_mov_b32 v4, v2 :: v_dual_mov_b32 v3, v1
	.p2align	6
.LBB127_255:                            ; =>This Inner Loop Header: Depth=1
	scratch_load_b128 v[15:18], v9, off offset:-8
	ds_load_b128 v[19:22], v8
	v_add_nc_u32_e32 v7, 1, v7
	v_add_nc_u32_e32 v8, 16, v8
	;; [unrolled: 1-line block ×3, first 2 shown]
	s_delay_alu instid0(VALU_DEP_3) | instskip(SKIP_4) | instid1(VALU_DEP_2)
	v_cmp_lt_u32_e32 vcc_lo, 55, v7
	s_or_b32 s3, vcc_lo, s3
	s_waitcnt vmcnt(0) lgkmcnt(0)
	v_mul_f64 v[10:11], v[21:22], v[17:18]
	v_mul_f64 v[17:18], v[19:20], v[17:18]
	v_fma_f64 v[10:11], v[19:20], v[15:16], -v[10:11]
	s_delay_alu instid0(VALU_DEP_2) | instskip(NEXT) | instid1(VALU_DEP_2)
	v_fma_f64 v[15:16], v[21:22], v[15:16], v[17:18]
	v_add_f64 v[3:4], v[3:4], v[10:11]
	s_delay_alu instid0(VALU_DEP_2)
	v_add_f64 v[1:2], v[1:2], v[15:16]
	s_and_not1_b32 exec_lo, exec_lo, s3
	s_cbranch_execnz .LBB127_255
; %bb.256:
	s_or_b32 exec_lo, exec_lo, s3
	v_mov_b32_e32 v7, 0
	ds_load_b128 v[7:10], v7 offset:912
	s_waitcnt lgkmcnt(0)
	v_mul_f64 v[11:12], v[1:2], v[9:10]
	v_mul_f64 v[15:16], v[3:4], v[9:10]
	s_delay_alu instid0(VALU_DEP_2) | instskip(NEXT) | instid1(VALU_DEP_2)
	v_fma_f64 v[9:10], v[3:4], v[7:8], -v[11:12]
	v_fma_f64 v[11:12], v[1:2], v[7:8], v[15:16]
	scratch_store_b128 off, v[9:12], off offset:912
.LBB127_257:
	s_or_b32 exec_lo, exec_lo, s2
	s_waitcnt_vscnt null, 0x0
	s_barrier
	buffer_gl0_inv
	scratch_load_b32 v1, off, off offset:1040 ; 4-byte Folded Reload
	s_mov_b32 s2, exec_lo
	s_waitcnt vmcnt(0)
	scratch_load_b128 v[1:4], v1, off
	s_waitcnt vmcnt(0)
	ds_store_b128 v5, v[1:4]
	s_waitcnt lgkmcnt(0)
	s_barrier
	buffer_gl0_inv
	v_cmpx_gt_u32_e32 58, v178
	s_cbranch_execz .LBB127_261
; %bb.258:
	v_mov_b32_e32 v1, 0
	v_dual_mov_b32 v2, 0 :: v_dual_add_nc_u32 v7, -1, v178
	v_or_b32_e32 v8, 0x400, v13
	v_or_b32_e32 v9, 8, v14
	s_mov_b32 s3, 0
	s_delay_alu instid0(VALU_DEP_3)
	v_dual_mov_b32 v4, v2 :: v_dual_mov_b32 v3, v1
	.p2align	6
.LBB127_259:                            ; =>This Inner Loop Header: Depth=1
	scratch_load_b128 v[15:18], v9, off offset:-8
	ds_load_b128 v[19:22], v8
	v_add_nc_u32_e32 v7, 1, v7
	v_add_nc_u32_e32 v8, 16, v8
	;; [unrolled: 1-line block ×3, first 2 shown]
	s_delay_alu instid0(VALU_DEP_3) | instskip(SKIP_4) | instid1(VALU_DEP_2)
	v_cmp_lt_u32_e32 vcc_lo, 56, v7
	s_or_b32 s3, vcc_lo, s3
	s_waitcnt vmcnt(0) lgkmcnt(0)
	v_mul_f64 v[10:11], v[21:22], v[17:18]
	v_mul_f64 v[17:18], v[19:20], v[17:18]
	v_fma_f64 v[10:11], v[19:20], v[15:16], -v[10:11]
	s_delay_alu instid0(VALU_DEP_2) | instskip(NEXT) | instid1(VALU_DEP_2)
	v_fma_f64 v[15:16], v[21:22], v[15:16], v[17:18]
	v_add_f64 v[3:4], v[3:4], v[10:11]
	s_delay_alu instid0(VALU_DEP_2)
	v_add_f64 v[1:2], v[1:2], v[15:16]
	s_and_not1_b32 exec_lo, exec_lo, s3
	s_cbranch_execnz .LBB127_259
; %bb.260:
	s_or_b32 exec_lo, exec_lo, s3
	v_mov_b32_e32 v7, 0
	ds_load_b128 v[7:10], v7 offset:928
	s_waitcnt lgkmcnt(0)
	v_mul_f64 v[11:12], v[1:2], v[9:10]
	v_mul_f64 v[15:16], v[3:4], v[9:10]
	s_delay_alu instid0(VALU_DEP_2) | instskip(NEXT) | instid1(VALU_DEP_2)
	v_fma_f64 v[9:10], v[3:4], v[7:8], -v[11:12]
	v_fma_f64 v[11:12], v[1:2], v[7:8], v[15:16]
	scratch_store_b128 off, v[9:12], off offset:928
.LBB127_261:
	s_or_b32 exec_lo, exec_lo, s2
	s_waitcnt_vscnt null, 0x0
	s_barrier
	buffer_gl0_inv
	scratch_load_b32 v1, off, off offset:1036 ; 4-byte Folded Reload
	s_mov_b32 s2, exec_lo
	s_waitcnt vmcnt(0)
	scratch_load_b128 v[1:4], v1, off
	s_waitcnt vmcnt(0)
	ds_store_b128 v5, v[1:4]
	s_waitcnt lgkmcnt(0)
	s_barrier
	buffer_gl0_inv
	v_cmpx_gt_u32_e32 59, v178
	s_cbranch_execz .LBB127_265
; %bb.262:
	v_mov_b32_e32 v1, 0
	v_dual_mov_b32 v2, 0 :: v_dual_add_nc_u32 v7, -1, v178
	v_or_b32_e32 v8, 0x400, v13
	v_or_b32_e32 v9, 8, v14
	s_mov_b32 s3, 0
	s_delay_alu instid0(VALU_DEP_3)
	v_dual_mov_b32 v4, v2 :: v_dual_mov_b32 v3, v1
	.p2align	6
.LBB127_263:                            ; =>This Inner Loop Header: Depth=1
	scratch_load_b128 v[15:18], v9, off offset:-8
	ds_load_b128 v[19:22], v8
	v_add_nc_u32_e32 v7, 1, v7
	v_add_nc_u32_e32 v8, 16, v8
	;; [unrolled: 1-line block ×3, first 2 shown]
	s_delay_alu instid0(VALU_DEP_3) | instskip(SKIP_4) | instid1(VALU_DEP_2)
	v_cmp_lt_u32_e32 vcc_lo, 57, v7
	s_or_b32 s3, vcc_lo, s3
	s_waitcnt vmcnt(0) lgkmcnt(0)
	v_mul_f64 v[10:11], v[21:22], v[17:18]
	v_mul_f64 v[17:18], v[19:20], v[17:18]
	v_fma_f64 v[10:11], v[19:20], v[15:16], -v[10:11]
	s_delay_alu instid0(VALU_DEP_2) | instskip(NEXT) | instid1(VALU_DEP_2)
	v_fma_f64 v[15:16], v[21:22], v[15:16], v[17:18]
	v_add_f64 v[3:4], v[3:4], v[10:11]
	s_delay_alu instid0(VALU_DEP_2)
	v_add_f64 v[1:2], v[1:2], v[15:16]
	s_and_not1_b32 exec_lo, exec_lo, s3
	s_cbranch_execnz .LBB127_263
; %bb.264:
	s_or_b32 exec_lo, exec_lo, s3
	v_mov_b32_e32 v7, 0
	ds_load_b128 v[7:10], v7 offset:944
	s_waitcnt lgkmcnt(0)
	v_mul_f64 v[11:12], v[1:2], v[9:10]
	v_mul_f64 v[15:16], v[3:4], v[9:10]
	s_delay_alu instid0(VALU_DEP_2) | instskip(NEXT) | instid1(VALU_DEP_2)
	v_fma_f64 v[9:10], v[3:4], v[7:8], -v[11:12]
	v_fma_f64 v[11:12], v[1:2], v[7:8], v[15:16]
	scratch_store_b128 off, v[9:12], off offset:944
.LBB127_265:
	s_or_b32 exec_lo, exec_lo, s2
	s_waitcnt_vscnt null, 0x0
	s_barrier
	buffer_gl0_inv
	scratch_load_b32 v1, off, off offset:1032 ; 4-byte Folded Reload
	s_mov_b32 s2, exec_lo
	s_waitcnt vmcnt(0)
	scratch_load_b128 v[1:4], v1, off
	s_waitcnt vmcnt(0)
	ds_store_b128 v5, v[1:4]
	s_waitcnt lgkmcnt(0)
	s_barrier
	buffer_gl0_inv
	v_cmpx_gt_u32_e32 60, v178
	s_cbranch_execz .LBB127_269
; %bb.266:
	v_mov_b32_e32 v1, 0
	v_dual_mov_b32 v2, 0 :: v_dual_add_nc_u32 v7, -1, v178
	v_or_b32_e32 v8, 0x400, v13
	v_or_b32_e32 v9, 8, v14
	s_mov_b32 s3, 0
	s_delay_alu instid0(VALU_DEP_3)
	v_dual_mov_b32 v4, v2 :: v_dual_mov_b32 v3, v1
	.p2align	6
.LBB127_267:                            ; =>This Inner Loop Header: Depth=1
	scratch_load_b128 v[15:18], v9, off offset:-8
	ds_load_b128 v[19:22], v8
	v_add_nc_u32_e32 v7, 1, v7
	v_add_nc_u32_e32 v8, 16, v8
	;; [unrolled: 1-line block ×3, first 2 shown]
	s_delay_alu instid0(VALU_DEP_3) | instskip(SKIP_4) | instid1(VALU_DEP_2)
	v_cmp_lt_u32_e32 vcc_lo, 58, v7
	s_or_b32 s3, vcc_lo, s3
	s_waitcnt vmcnt(0) lgkmcnt(0)
	v_mul_f64 v[10:11], v[21:22], v[17:18]
	v_mul_f64 v[17:18], v[19:20], v[17:18]
	v_fma_f64 v[10:11], v[19:20], v[15:16], -v[10:11]
	s_delay_alu instid0(VALU_DEP_2) | instskip(NEXT) | instid1(VALU_DEP_2)
	v_fma_f64 v[15:16], v[21:22], v[15:16], v[17:18]
	v_add_f64 v[3:4], v[3:4], v[10:11]
	s_delay_alu instid0(VALU_DEP_2)
	v_add_f64 v[1:2], v[1:2], v[15:16]
	s_and_not1_b32 exec_lo, exec_lo, s3
	s_cbranch_execnz .LBB127_267
; %bb.268:
	s_or_b32 exec_lo, exec_lo, s3
	v_mov_b32_e32 v7, 0
	ds_load_b128 v[7:10], v7 offset:960
	s_waitcnt lgkmcnt(0)
	v_mul_f64 v[11:12], v[1:2], v[9:10]
	v_mul_f64 v[15:16], v[3:4], v[9:10]
	s_delay_alu instid0(VALU_DEP_2) | instskip(NEXT) | instid1(VALU_DEP_2)
	v_fma_f64 v[9:10], v[3:4], v[7:8], -v[11:12]
	v_fma_f64 v[11:12], v[1:2], v[7:8], v[15:16]
	scratch_store_b128 off, v[9:12], off offset:960
.LBB127_269:
	s_or_b32 exec_lo, exec_lo, s2
	s_waitcnt_vscnt null, 0x0
	s_barrier
	buffer_gl0_inv
	scratch_load_b32 v1, off, off offset:1028 ; 4-byte Folded Reload
	s_mov_b32 s2, exec_lo
	s_waitcnt vmcnt(0)
	scratch_load_b128 v[1:4], v1, off
	s_waitcnt vmcnt(0)
	ds_store_b128 v5, v[1:4]
	s_waitcnt lgkmcnt(0)
	s_barrier
	buffer_gl0_inv
	v_cmpx_gt_u32_e32 61, v178
	s_cbranch_execz .LBB127_273
; %bb.270:
	v_mov_b32_e32 v1, 0
	v_dual_mov_b32 v2, 0 :: v_dual_add_nc_u32 v7, -1, v178
	v_or_b32_e32 v8, 0x400, v13
	v_or_b32_e32 v9, 8, v14
	s_mov_b32 s3, 0
	s_delay_alu instid0(VALU_DEP_3)
	v_dual_mov_b32 v4, v2 :: v_dual_mov_b32 v3, v1
	.p2align	6
.LBB127_271:                            ; =>This Inner Loop Header: Depth=1
	scratch_load_b128 v[15:18], v9, off offset:-8
	ds_load_b128 v[19:22], v8
	v_add_nc_u32_e32 v7, 1, v7
	v_add_nc_u32_e32 v8, 16, v8
	v_add_nc_u32_e32 v9, 16, v9
	s_delay_alu instid0(VALU_DEP_3) | instskip(SKIP_4) | instid1(VALU_DEP_2)
	v_cmp_lt_u32_e32 vcc_lo, 59, v7
	s_or_b32 s3, vcc_lo, s3
	s_waitcnt vmcnt(0) lgkmcnt(0)
	v_mul_f64 v[10:11], v[21:22], v[17:18]
	v_mul_f64 v[17:18], v[19:20], v[17:18]
	v_fma_f64 v[10:11], v[19:20], v[15:16], -v[10:11]
	s_delay_alu instid0(VALU_DEP_2) | instskip(NEXT) | instid1(VALU_DEP_2)
	v_fma_f64 v[15:16], v[21:22], v[15:16], v[17:18]
	v_add_f64 v[3:4], v[3:4], v[10:11]
	s_delay_alu instid0(VALU_DEP_2)
	v_add_f64 v[1:2], v[1:2], v[15:16]
	s_and_not1_b32 exec_lo, exec_lo, s3
	s_cbranch_execnz .LBB127_271
; %bb.272:
	s_or_b32 exec_lo, exec_lo, s3
	v_mov_b32_e32 v7, 0
	ds_load_b128 v[7:10], v7 offset:976
	s_waitcnt lgkmcnt(0)
	v_mul_f64 v[11:12], v[1:2], v[9:10]
	v_mul_f64 v[15:16], v[3:4], v[9:10]
	s_delay_alu instid0(VALU_DEP_2) | instskip(NEXT) | instid1(VALU_DEP_2)
	v_fma_f64 v[9:10], v[3:4], v[7:8], -v[11:12]
	v_fma_f64 v[11:12], v[1:2], v[7:8], v[15:16]
	scratch_store_b128 off, v[9:12], off offset:976
.LBB127_273:
	s_or_b32 exec_lo, exec_lo, s2
	s_waitcnt_vscnt null, 0x0
	s_barrier
	buffer_gl0_inv
	scratch_load_b32 v1, off, off offset:1024 ; 4-byte Folded Reload
	s_mov_b32 s2, exec_lo
	s_waitcnt vmcnt(0)
	scratch_load_b128 v[1:4], v1, off
	s_waitcnt vmcnt(0)
	ds_store_b128 v5, v[1:4]
	s_waitcnt lgkmcnt(0)
	s_barrier
	buffer_gl0_inv
	v_cmpx_gt_u32_e32 62, v178
	s_cbranch_execz .LBB127_277
; %bb.274:
	v_mov_b32_e32 v1, 0
	v_dual_mov_b32 v2, 0 :: v_dual_add_nc_u32 v7, -1, v178
	v_or_b32_e32 v8, 0x400, v13
	v_or_b32_e32 v9, 8, v14
	s_mov_b32 s3, 0
	s_delay_alu instid0(VALU_DEP_3)
	v_dual_mov_b32 v4, v2 :: v_dual_mov_b32 v3, v1
	.p2align	6
.LBB127_275:                            ; =>This Inner Loop Header: Depth=1
	scratch_load_b128 v[10:13], v9, off offset:-8
	ds_load_b128 v[15:18], v8
	v_add_nc_u32_e32 v7, 1, v7
	v_add_nc_u32_e32 v8, 16, v8
	;; [unrolled: 1-line block ×3, first 2 shown]
	s_delay_alu instid0(VALU_DEP_3) | instskip(SKIP_4) | instid1(VALU_DEP_2)
	v_cmp_lt_u32_e32 vcc_lo, 60, v7
	s_or_b32 s3, vcc_lo, s3
	s_waitcnt vmcnt(0) lgkmcnt(0)
	v_mul_f64 v[19:20], v[17:18], v[12:13]
	v_mul_f64 v[12:13], v[15:16], v[12:13]
	v_fma_f64 v[15:16], v[15:16], v[10:11], -v[19:20]
	s_delay_alu instid0(VALU_DEP_2) | instskip(NEXT) | instid1(VALU_DEP_2)
	v_fma_f64 v[10:11], v[17:18], v[10:11], v[12:13]
	v_add_f64 v[3:4], v[3:4], v[15:16]
	s_delay_alu instid0(VALU_DEP_2)
	v_add_f64 v[1:2], v[1:2], v[10:11]
	s_and_not1_b32 exec_lo, exec_lo, s3
	s_cbranch_execnz .LBB127_275
; %bb.276:
	s_or_b32 exec_lo, exec_lo, s3
	v_mov_b32_e32 v7, 0
	ds_load_b128 v[7:10], v7 offset:992
	s_waitcnt lgkmcnt(0)
	v_mul_f64 v[11:12], v[1:2], v[9:10]
	v_mul_f64 v[15:16], v[3:4], v[9:10]
	s_delay_alu instid0(VALU_DEP_2) | instskip(NEXT) | instid1(VALU_DEP_2)
	v_fma_f64 v[9:10], v[3:4], v[7:8], -v[11:12]
	v_fma_f64 v[11:12], v[1:2], v[7:8], v[15:16]
	scratch_store_b128 off, v[9:12], off offset:992
.LBB127_277:
	s_or_b32 exec_lo, exec_lo, s2
	s_waitcnt_vscnt null, 0x0
	s_barrier
	buffer_gl0_inv
	scratch_load_b32 v1, off, off offset:1248 ; 4-byte Folded Reload
	s_mov_b32 s2, exec_lo
	s_waitcnt vmcnt(0)
	scratch_load_b128 v[1:4], v1, off
	s_waitcnt vmcnt(0)
	ds_store_b128 v5, v[1:4]
	s_waitcnt lgkmcnt(0)
	s_barrier
	buffer_gl0_inv
	v_cmpx_ne_u32_e32 63, v178
	s_cbranch_execz .LBB127_281
; %bb.278:
	v_mov_b32_e32 v1, 0
	v_mov_b32_e32 v2, 0
	v_or_b32_e32 v7, 8, v14
	s_mov_b32 s3, 0
	s_delay_alu instid0(VALU_DEP_2)
	v_dual_mov_b32 v4, v2 :: v_dual_mov_b32 v3, v1
	.p2align	6
.LBB127_279:                            ; =>This Inner Loop Header: Depth=1
	scratch_load_b128 v[8:11], v7, off offset:-8
	ds_load_b128 v[12:15], v5
	v_add_nc_u32_e32 v6, 1, v6
	v_add_nc_u32_e32 v5, 16, v5
	;; [unrolled: 1-line block ×3, first 2 shown]
	s_delay_alu instid0(VALU_DEP_3) | instskip(SKIP_4) | instid1(VALU_DEP_2)
	v_cmp_lt_u32_e32 vcc_lo, 61, v6
	s_or_b32 s3, vcc_lo, s3
	s_waitcnt vmcnt(0) lgkmcnt(0)
	v_mul_f64 v[16:17], v[14:15], v[10:11]
	v_mul_f64 v[10:11], v[12:13], v[10:11]
	v_fma_f64 v[12:13], v[12:13], v[8:9], -v[16:17]
	s_delay_alu instid0(VALU_DEP_2) | instskip(NEXT) | instid1(VALU_DEP_2)
	v_fma_f64 v[8:9], v[14:15], v[8:9], v[10:11]
	v_add_f64 v[3:4], v[3:4], v[12:13]
	s_delay_alu instid0(VALU_DEP_2)
	v_add_f64 v[1:2], v[1:2], v[8:9]
	s_and_not1_b32 exec_lo, exec_lo, s3
	s_cbranch_execnz .LBB127_279
; %bb.280:
	s_or_b32 exec_lo, exec_lo, s3
	v_mov_b32_e32 v5, 0
	ds_load_b128 v[5:8], v5 offset:1008
	s_waitcnt lgkmcnt(0)
	v_mul_f64 v[9:10], v[1:2], v[7:8]
	v_mul_f64 v[7:8], v[3:4], v[7:8]
	s_delay_alu instid0(VALU_DEP_2) | instskip(NEXT) | instid1(VALU_DEP_2)
	v_fma_f64 v[3:4], v[3:4], v[5:6], -v[9:10]
	v_fma_f64 v[5:6], v[1:2], v[5:6], v[7:8]
	scratch_store_b128 off, v[3:6], off offset:1008
.LBB127_281:
	s_or_b32 exec_lo, exec_lo, s2
	s_waitcnt_vscnt null, 0x0
	s_barrier
	buffer_gl0_inv
	s_cbranch_execnz .LBB127_13
	s_branch .LBB127_14
.LBB127_282:
	v_lshl_or_b32 v255, v178, 4, 0x400
	s_mov_b32 s2, exec_lo
	v_cmpx_eq_u32_e32 63, v178
	s_cbranch_execz .LBB127_284
; %bb.283:
	scratch_load_b32 v1, off, off offset:1024 ; 4-byte Folded Reload
	v_mov_b32_e32 v5, 0
	s_delay_alu instid0(VALU_DEP_1)
	v_mov_b32_e32 v6, v5
	v_mov_b32_e32 v7, v5
	;; [unrolled: 1-line block ×3, first 2 shown]
	s_waitcnt vmcnt(0)
	scratch_load_b128 v[1:4], v1, off
	scratch_store_b128 off, v[5:8], off offset:992
	s_waitcnt vmcnt(0)
	ds_store_b128 v255, v[1:4]
.LBB127_284:
	s_or_b32 exec_lo, exec_lo, s2
	s_waitcnt lgkmcnt(0)
	s_waitcnt_vscnt null, 0x0
	s_barrier
	buffer_gl0_inv
	s_clause 0x1
	scratch_load_b128 v[2:5], off, off offset:1008
	scratch_load_b128 v[6:9], off, off offset:992
	v_mov_b32_e32 v1, 0
	s_mov_b32 s2, exec_lo
	ds_load_b128 v[10:13], v1 offset:2032
	s_waitcnt vmcnt(1) lgkmcnt(0)
	v_mul_f64 v[14:15], v[12:13], v[4:5]
	v_mul_f64 v[4:5], v[10:11], v[4:5]
	s_delay_alu instid0(VALU_DEP_2) | instskip(NEXT) | instid1(VALU_DEP_2)
	v_fma_f64 v[10:11], v[10:11], v[2:3], -v[14:15]
	v_fma_f64 v[2:3], v[12:13], v[2:3], v[4:5]
	s_delay_alu instid0(VALU_DEP_2) | instskip(NEXT) | instid1(VALU_DEP_2)
	v_add_f64 v[4:5], v[10:11], 0
	v_add_f64 v[10:11], v[2:3], 0
	s_waitcnt vmcnt(0)
	s_delay_alu instid0(VALU_DEP_2) | instskip(NEXT) | instid1(VALU_DEP_2)
	v_add_f64 v[2:3], v[6:7], -v[4:5]
	v_add_f64 v[4:5], v[8:9], -v[10:11]
	scratch_store_b128 off, v[2:5], off offset:992
	v_cmpx_lt_u32_e32 61, v178
	s_cbranch_execz .LBB127_286
; %bb.285:
	scratch_load_b32 v2, off, off offset:1028 ; 4-byte Folded Reload
	v_mov_b32_e32 v3, v1
	v_mov_b32_e32 v4, v1
	s_waitcnt vmcnt(0)
	scratch_load_b128 v[5:8], v2, off
	v_mov_b32_e32 v2, v1
	scratch_store_b128 off, v[1:4], off offset:976
	s_waitcnt vmcnt(0)
	ds_store_b128 v255, v[5:8]
.LBB127_286:
	s_or_b32 exec_lo, exec_lo, s2
	s_waitcnt lgkmcnt(0)
	s_waitcnt_vscnt null, 0x0
	s_barrier
	buffer_gl0_inv
	s_clause 0x2
	scratch_load_b128 v[2:5], off, off offset:992
	scratch_load_b128 v[6:9], off, off offset:1008
	;; [unrolled: 1-line block ×3, first 2 shown]
	ds_load_b128 v[14:17], v1 offset:2016
	ds_load_b128 v[18:21], v1 offset:2032
	s_mov_b32 s2, exec_lo
	s_waitcnt vmcnt(2) lgkmcnt(1)
	v_mul_f64 v[22:23], v[16:17], v[4:5]
	v_mul_f64 v[4:5], v[14:15], v[4:5]
	s_waitcnt vmcnt(1) lgkmcnt(0)
	v_mul_f64 v[24:25], v[18:19], v[8:9]
	v_mul_f64 v[8:9], v[20:21], v[8:9]
	s_delay_alu instid0(VALU_DEP_4) | instskip(NEXT) | instid1(VALU_DEP_4)
	v_fma_f64 v[14:15], v[14:15], v[2:3], -v[22:23]
	v_fma_f64 v[1:2], v[16:17], v[2:3], v[4:5]
	s_delay_alu instid0(VALU_DEP_4) | instskip(NEXT) | instid1(VALU_DEP_4)
	v_fma_f64 v[3:4], v[20:21], v[6:7], v[24:25]
	v_fma_f64 v[5:6], v[18:19], v[6:7], -v[8:9]
	s_delay_alu instid0(VALU_DEP_4) | instskip(NEXT) | instid1(VALU_DEP_4)
	v_add_f64 v[7:8], v[14:15], 0
	v_add_f64 v[1:2], v[1:2], 0
	s_delay_alu instid0(VALU_DEP_2) | instskip(NEXT) | instid1(VALU_DEP_2)
	v_add_f64 v[5:6], v[7:8], v[5:6]
	v_add_f64 v[3:4], v[1:2], v[3:4]
	s_waitcnt vmcnt(0)
	s_delay_alu instid0(VALU_DEP_2) | instskip(NEXT) | instid1(VALU_DEP_2)
	v_add_f64 v[1:2], v[10:11], -v[5:6]
	v_add_f64 v[3:4], v[12:13], -v[3:4]
	scratch_store_b128 off, v[1:4], off offset:976
	v_cmpx_lt_u32_e32 60, v178
	s_cbranch_execz .LBB127_288
; %bb.287:
	scratch_load_b32 v1, off, off offset:1032 ; 4-byte Folded Reload
	v_mov_b32_e32 v5, 0
	s_delay_alu instid0(VALU_DEP_1)
	v_mov_b32_e32 v6, v5
	v_mov_b32_e32 v7, v5
	;; [unrolled: 1-line block ×3, first 2 shown]
	s_waitcnt vmcnt(0)
	scratch_load_b128 v[1:4], v1, off
	scratch_store_b128 off, v[5:8], off offset:960
	s_waitcnt vmcnt(0)
	ds_store_b128 v255, v[1:4]
.LBB127_288:
	s_or_b32 exec_lo, exec_lo, s2
	s_waitcnt lgkmcnt(0)
	s_waitcnt_vscnt null, 0x0
	s_barrier
	buffer_gl0_inv
	s_clause 0x3
	scratch_load_b128 v[2:5], off, off offset:976
	scratch_load_b128 v[6:9], off, off offset:992
	;; [unrolled: 1-line block ×4, first 2 shown]
	v_mov_b32_e32 v1, 0
	ds_load_b128 v[18:21], v1 offset:2000
	ds_load_b128 v[22:25], v1 offset:2016
	s_mov_b32 s2, exec_lo
	s_waitcnt vmcnt(3) lgkmcnt(1)
	v_mul_f64 v[26:27], v[20:21], v[4:5]
	v_mul_f64 v[4:5], v[18:19], v[4:5]
	s_waitcnt vmcnt(2) lgkmcnt(0)
	v_mul_f64 v[28:29], v[22:23], v[8:9]
	v_mul_f64 v[8:9], v[24:25], v[8:9]
	s_delay_alu instid0(VALU_DEP_4) | instskip(NEXT) | instid1(VALU_DEP_4)
	v_fma_f64 v[18:19], v[18:19], v[2:3], -v[26:27]
	v_fma_f64 v[20:21], v[20:21], v[2:3], v[4:5]
	ds_load_b128 v[2:5], v1 offset:2032
	v_fma_f64 v[24:25], v[24:25], v[6:7], v[28:29]
	v_fma_f64 v[6:7], v[22:23], v[6:7], -v[8:9]
	s_waitcnt vmcnt(1) lgkmcnt(0)
	v_mul_f64 v[26:27], v[2:3], v[12:13]
	v_mul_f64 v[12:13], v[4:5], v[12:13]
	v_add_f64 v[8:9], v[18:19], 0
	v_add_f64 v[18:19], v[20:21], 0
	s_delay_alu instid0(VALU_DEP_4) | instskip(NEXT) | instid1(VALU_DEP_4)
	v_fma_f64 v[4:5], v[4:5], v[10:11], v[26:27]
	v_fma_f64 v[2:3], v[2:3], v[10:11], -v[12:13]
	s_delay_alu instid0(VALU_DEP_4) | instskip(NEXT) | instid1(VALU_DEP_4)
	v_add_f64 v[6:7], v[8:9], v[6:7]
	v_add_f64 v[8:9], v[18:19], v[24:25]
	s_delay_alu instid0(VALU_DEP_2) | instskip(NEXT) | instid1(VALU_DEP_2)
	v_add_f64 v[2:3], v[6:7], v[2:3]
	v_add_f64 v[4:5], v[8:9], v[4:5]
	s_waitcnt vmcnt(0)
	s_delay_alu instid0(VALU_DEP_2) | instskip(NEXT) | instid1(VALU_DEP_2)
	v_add_f64 v[2:3], v[14:15], -v[2:3]
	v_add_f64 v[4:5], v[16:17], -v[4:5]
	scratch_store_b128 off, v[2:5], off offset:960
	v_cmpx_lt_u32_e32 59, v178
	s_cbranch_execz .LBB127_290
; %bb.289:
	scratch_load_b32 v2, off, off offset:1036 ; 4-byte Folded Reload
	v_mov_b32_e32 v3, v1
	v_mov_b32_e32 v4, v1
	s_waitcnt vmcnt(0)
	scratch_load_b128 v[5:8], v2, off
	v_mov_b32_e32 v2, v1
	scratch_store_b128 off, v[1:4], off offset:944
	s_waitcnt vmcnt(0)
	ds_store_b128 v255, v[5:8]
.LBB127_290:
	s_or_b32 exec_lo, exec_lo, s2
	s_waitcnt lgkmcnt(0)
	s_waitcnt_vscnt null, 0x0
	s_barrier
	buffer_gl0_inv
	s_clause 0x4
	scratch_load_b128 v[2:5], off, off offset:960
	scratch_load_b128 v[6:9], off, off offset:976
	;; [unrolled: 1-line block ×5, first 2 shown]
	ds_load_b128 v[22:25], v1 offset:1984
	ds_load_b128 v[26:29], v1 offset:2000
	s_mov_b32 s2, exec_lo
	s_waitcnt vmcnt(4) lgkmcnt(1)
	v_mul_f64 v[30:31], v[24:25], v[4:5]
	v_mul_f64 v[4:5], v[22:23], v[4:5]
	s_waitcnt vmcnt(3) lgkmcnt(0)
	v_mul_f64 v[32:33], v[26:27], v[8:9]
	v_mul_f64 v[8:9], v[28:29], v[8:9]
	s_delay_alu instid0(VALU_DEP_4) | instskip(NEXT) | instid1(VALU_DEP_4)
	v_fma_f64 v[30:31], v[22:23], v[2:3], -v[30:31]
	v_fma_f64 v[34:35], v[24:25], v[2:3], v[4:5]
	ds_load_b128 v[2:5], v1 offset:2016
	ds_load_b128 v[22:25], v1 offset:2032
	v_fma_f64 v[28:29], v[28:29], v[6:7], v[32:33]
	v_fma_f64 v[6:7], v[26:27], v[6:7], -v[8:9]
	s_waitcnt vmcnt(2) lgkmcnt(1)
	v_mul_f64 v[36:37], v[2:3], v[12:13]
	v_mul_f64 v[12:13], v[4:5], v[12:13]
	v_add_f64 v[8:9], v[30:31], 0
	v_add_f64 v[26:27], v[34:35], 0
	s_waitcnt vmcnt(1) lgkmcnt(0)
	v_mul_f64 v[30:31], v[22:23], v[16:17]
	v_mul_f64 v[16:17], v[24:25], v[16:17]
	v_fma_f64 v[4:5], v[4:5], v[10:11], v[36:37]
	v_fma_f64 v[1:2], v[2:3], v[10:11], -v[12:13]
	v_add_f64 v[6:7], v[8:9], v[6:7]
	v_add_f64 v[8:9], v[26:27], v[28:29]
	v_fma_f64 v[10:11], v[24:25], v[14:15], v[30:31]
	v_fma_f64 v[12:13], v[22:23], v[14:15], -v[16:17]
	s_delay_alu instid0(VALU_DEP_4) | instskip(NEXT) | instid1(VALU_DEP_4)
	v_add_f64 v[1:2], v[6:7], v[1:2]
	v_add_f64 v[3:4], v[8:9], v[4:5]
	s_delay_alu instid0(VALU_DEP_2) | instskip(NEXT) | instid1(VALU_DEP_2)
	v_add_f64 v[1:2], v[1:2], v[12:13]
	v_add_f64 v[3:4], v[3:4], v[10:11]
	s_waitcnt vmcnt(0)
	s_delay_alu instid0(VALU_DEP_2) | instskip(NEXT) | instid1(VALU_DEP_2)
	v_add_f64 v[1:2], v[18:19], -v[1:2]
	v_add_f64 v[3:4], v[20:21], -v[3:4]
	scratch_store_b128 off, v[1:4], off offset:944
	v_cmpx_lt_u32_e32 58, v178
	s_cbranch_execz .LBB127_292
; %bb.291:
	scratch_load_b32 v1, off, off offset:1040 ; 4-byte Folded Reload
	v_mov_b32_e32 v5, 0
	s_delay_alu instid0(VALU_DEP_1)
	v_mov_b32_e32 v6, v5
	v_mov_b32_e32 v7, v5
	;; [unrolled: 1-line block ×3, first 2 shown]
	s_waitcnt vmcnt(0)
	scratch_load_b128 v[1:4], v1, off
	scratch_store_b128 off, v[5:8], off offset:928
	s_waitcnt vmcnt(0)
	ds_store_b128 v255, v[1:4]
.LBB127_292:
	s_or_b32 exec_lo, exec_lo, s2
	s_waitcnt lgkmcnt(0)
	s_waitcnt_vscnt null, 0x0
	s_barrier
	buffer_gl0_inv
	s_clause 0x5
	scratch_load_b128 v[2:5], off, off offset:944
	scratch_load_b128 v[6:9], off, off offset:960
	;; [unrolled: 1-line block ×6, first 2 shown]
	v_mov_b32_e32 v1, 0
	ds_load_b128 v[26:29], v1 offset:1968
	ds_load_b128 v[30:33], v1 offset:1984
	s_mov_b32 s2, exec_lo
	s_waitcnt vmcnt(5) lgkmcnt(1)
	v_mul_f64 v[34:35], v[28:29], v[4:5]
	v_mul_f64 v[4:5], v[26:27], v[4:5]
	s_waitcnt vmcnt(4) lgkmcnt(0)
	v_mul_f64 v[36:37], v[30:31], v[8:9]
	v_mul_f64 v[8:9], v[32:33], v[8:9]
	s_delay_alu instid0(VALU_DEP_4) | instskip(NEXT) | instid1(VALU_DEP_4)
	v_fma_f64 v[34:35], v[26:27], v[2:3], -v[34:35]
	v_fma_f64 v[38:39], v[28:29], v[2:3], v[4:5]
	ds_load_b128 v[2:5], v1 offset:2000
	ds_load_b128 v[26:29], v1 offset:2016
	v_fma_f64 v[32:33], v[32:33], v[6:7], v[36:37]
	v_fma_f64 v[6:7], v[30:31], v[6:7], -v[8:9]
	s_waitcnt vmcnt(3) lgkmcnt(1)
	v_mul_f64 v[40:41], v[2:3], v[12:13]
	v_mul_f64 v[12:13], v[4:5], v[12:13]
	v_add_f64 v[8:9], v[34:35], 0
	v_add_f64 v[30:31], v[38:39], 0
	s_waitcnt vmcnt(2) lgkmcnt(0)
	v_mul_f64 v[34:35], v[26:27], v[16:17]
	v_mul_f64 v[16:17], v[28:29], v[16:17]
	v_fma_f64 v[36:37], v[4:5], v[10:11], v[40:41]
	v_fma_f64 v[10:11], v[2:3], v[10:11], -v[12:13]
	ds_load_b128 v[2:5], v1 offset:2032
	v_add_f64 v[6:7], v[8:9], v[6:7]
	v_add_f64 v[8:9], v[30:31], v[32:33]
	v_fma_f64 v[28:29], v[28:29], v[14:15], v[34:35]
	v_fma_f64 v[14:15], v[26:27], v[14:15], -v[16:17]
	s_waitcnt vmcnt(1) lgkmcnt(0)
	v_mul_f64 v[12:13], v[2:3], v[20:21]
	v_mul_f64 v[20:21], v[4:5], v[20:21]
	v_add_f64 v[6:7], v[6:7], v[10:11]
	v_add_f64 v[8:9], v[8:9], v[36:37]
	s_delay_alu instid0(VALU_DEP_4) | instskip(NEXT) | instid1(VALU_DEP_4)
	v_fma_f64 v[4:5], v[4:5], v[18:19], v[12:13]
	v_fma_f64 v[2:3], v[2:3], v[18:19], -v[20:21]
	s_delay_alu instid0(VALU_DEP_4) | instskip(NEXT) | instid1(VALU_DEP_4)
	v_add_f64 v[6:7], v[6:7], v[14:15]
	v_add_f64 v[8:9], v[8:9], v[28:29]
	s_delay_alu instid0(VALU_DEP_2) | instskip(NEXT) | instid1(VALU_DEP_2)
	v_add_f64 v[2:3], v[6:7], v[2:3]
	v_add_f64 v[4:5], v[8:9], v[4:5]
	s_waitcnt vmcnt(0)
	s_delay_alu instid0(VALU_DEP_2) | instskip(NEXT) | instid1(VALU_DEP_2)
	v_add_f64 v[2:3], v[22:23], -v[2:3]
	v_add_f64 v[4:5], v[24:25], -v[4:5]
	scratch_store_b128 off, v[2:5], off offset:928
	v_cmpx_lt_u32_e32 57, v178
	s_cbranch_execz .LBB127_294
; %bb.293:
	scratch_load_b32 v2, off, off offset:1044 ; 4-byte Folded Reload
	v_mov_b32_e32 v3, v1
	v_mov_b32_e32 v4, v1
	s_waitcnt vmcnt(0)
	scratch_load_b128 v[5:8], v2, off
	v_mov_b32_e32 v2, v1
	scratch_store_b128 off, v[1:4], off offset:912
	s_waitcnt vmcnt(0)
	ds_store_b128 v255, v[5:8]
.LBB127_294:
	s_or_b32 exec_lo, exec_lo, s2
	s_waitcnt lgkmcnt(0)
	s_waitcnt_vscnt null, 0x0
	s_barrier
	buffer_gl0_inv
	s_clause 0x5
	scratch_load_b128 v[2:5], off, off offset:928
	scratch_load_b128 v[6:9], off, off offset:944
	;; [unrolled: 1-line block ×6, first 2 shown]
	ds_load_b128 v[26:29], v1 offset:1952
	ds_load_b128 v[34:37], v1 offset:1968
	scratch_load_b128 v[30:33], off, off offset:912
	s_mov_b32 s2, exec_lo
	s_waitcnt vmcnt(6) lgkmcnt(1)
	v_mul_f64 v[38:39], v[28:29], v[4:5]
	v_mul_f64 v[4:5], v[26:27], v[4:5]
	s_waitcnt vmcnt(5) lgkmcnt(0)
	v_mul_f64 v[40:41], v[34:35], v[8:9]
	v_mul_f64 v[8:9], v[36:37], v[8:9]
	s_delay_alu instid0(VALU_DEP_4) | instskip(NEXT) | instid1(VALU_DEP_4)
	v_fma_f64 v[26:27], v[26:27], v[2:3], -v[38:39]
	v_fma_f64 v[28:29], v[28:29], v[2:3], v[4:5]
	ds_load_b128 v[2:5], v1 offset:1984
	v_fma_f64 v[36:37], v[36:37], v[6:7], v[40:41]
	v_fma_f64 v[34:35], v[34:35], v[6:7], -v[8:9]
	ds_load_b128 v[6:9], v1 offset:2000
	s_waitcnt vmcnt(4) lgkmcnt(1)
	v_mul_f64 v[38:39], v[2:3], v[12:13]
	v_mul_f64 v[12:13], v[4:5], v[12:13]
	s_waitcnt vmcnt(3) lgkmcnt(0)
	v_mul_f64 v[40:41], v[6:7], v[16:17]
	v_mul_f64 v[16:17], v[8:9], v[16:17]
	v_add_f64 v[26:27], v[26:27], 0
	v_add_f64 v[28:29], v[28:29], 0
	v_fma_f64 v[38:39], v[4:5], v[10:11], v[38:39]
	v_fma_f64 v[10:11], v[2:3], v[10:11], -v[12:13]
	ds_load_b128 v[2:5], v1 offset:2016
	v_add_f64 v[12:13], v[26:27], v[34:35]
	v_add_f64 v[26:27], v[28:29], v[36:37]
	v_fma_f64 v[34:35], v[8:9], v[14:15], v[40:41]
	v_fma_f64 v[14:15], v[6:7], v[14:15], -v[16:17]
	ds_load_b128 v[6:9], v1 offset:2032
	s_waitcnt vmcnt(2) lgkmcnt(1)
	v_mul_f64 v[28:29], v[2:3], v[20:21]
	v_mul_f64 v[20:21], v[4:5], v[20:21]
	s_waitcnt vmcnt(1) lgkmcnt(0)
	v_mul_f64 v[16:17], v[6:7], v[24:25]
	v_mul_f64 v[24:25], v[8:9], v[24:25]
	v_add_f64 v[10:11], v[12:13], v[10:11]
	v_add_f64 v[12:13], v[26:27], v[38:39]
	v_fma_f64 v[4:5], v[4:5], v[18:19], v[28:29]
	v_fma_f64 v[1:2], v[2:3], v[18:19], -v[20:21]
	v_fma_f64 v[8:9], v[8:9], v[22:23], v[16:17]
	v_fma_f64 v[6:7], v[6:7], v[22:23], -v[24:25]
	v_add_f64 v[10:11], v[10:11], v[14:15]
	v_add_f64 v[12:13], v[12:13], v[34:35]
	s_delay_alu instid0(VALU_DEP_2) | instskip(NEXT) | instid1(VALU_DEP_2)
	v_add_f64 v[1:2], v[10:11], v[1:2]
	v_add_f64 v[3:4], v[12:13], v[4:5]
	s_delay_alu instid0(VALU_DEP_2) | instskip(NEXT) | instid1(VALU_DEP_2)
	v_add_f64 v[1:2], v[1:2], v[6:7]
	v_add_f64 v[3:4], v[3:4], v[8:9]
	s_waitcnt vmcnt(0)
	s_delay_alu instid0(VALU_DEP_2) | instskip(NEXT) | instid1(VALU_DEP_2)
	v_add_f64 v[1:2], v[30:31], -v[1:2]
	v_add_f64 v[3:4], v[32:33], -v[3:4]
	scratch_store_b128 off, v[1:4], off offset:912
	v_cmpx_lt_u32_e32 56, v178
	s_cbranch_execz .LBB127_296
; %bb.295:
	scratch_load_b32 v1, off, off offset:1048 ; 4-byte Folded Reload
	v_mov_b32_e32 v5, 0
	s_delay_alu instid0(VALU_DEP_1)
	v_mov_b32_e32 v6, v5
	v_mov_b32_e32 v7, v5
	;; [unrolled: 1-line block ×3, first 2 shown]
	s_waitcnt vmcnt(0)
	scratch_load_b128 v[1:4], v1, off
	scratch_store_b128 off, v[5:8], off offset:896
	s_waitcnt vmcnt(0)
	ds_store_b128 v255, v[1:4]
.LBB127_296:
	s_or_b32 exec_lo, exec_lo, s2
	s_waitcnt lgkmcnt(0)
	s_waitcnt_vscnt null, 0x0
	s_barrier
	buffer_gl0_inv
	s_clause 0x6
	scratch_load_b128 v[2:5], off, off offset:912
	scratch_load_b128 v[6:9], off, off offset:928
	;; [unrolled: 1-line block ×7, first 2 shown]
	v_mov_b32_e32 v1, 0
	scratch_load_b128 v[38:41], off, off offset:896
	s_mov_b32 s2, exec_lo
	ds_load_b128 v[30:33], v1 offset:1936
	ds_load_b128 v[34:37], v1 offset:1952
	s_waitcnt vmcnt(7) lgkmcnt(1)
	v_mul_f64 v[42:43], v[32:33], v[4:5]
	v_mul_f64 v[4:5], v[30:31], v[4:5]
	s_waitcnt vmcnt(6) lgkmcnt(0)
	v_mul_f64 v[44:45], v[34:35], v[8:9]
	v_mul_f64 v[8:9], v[36:37], v[8:9]
	s_delay_alu instid0(VALU_DEP_4) | instskip(NEXT) | instid1(VALU_DEP_4)
	v_fma_f64 v[30:31], v[30:31], v[2:3], -v[42:43]
	v_fma_f64 v[32:33], v[32:33], v[2:3], v[4:5]
	ds_load_b128 v[2:5], v1 offset:1968
	v_fma_f64 v[36:37], v[36:37], v[6:7], v[44:45]
	v_fma_f64 v[34:35], v[34:35], v[6:7], -v[8:9]
	ds_load_b128 v[6:9], v1 offset:1984
	s_waitcnt vmcnt(5) lgkmcnt(1)
	v_mul_f64 v[42:43], v[2:3], v[12:13]
	v_mul_f64 v[12:13], v[4:5], v[12:13]
	s_waitcnt vmcnt(4) lgkmcnt(0)
	v_mul_f64 v[44:45], v[6:7], v[16:17]
	v_mul_f64 v[16:17], v[8:9], v[16:17]
	v_add_f64 v[30:31], v[30:31], 0
	v_add_f64 v[32:33], v[32:33], 0
	v_fma_f64 v[42:43], v[4:5], v[10:11], v[42:43]
	v_fma_f64 v[10:11], v[2:3], v[10:11], -v[12:13]
	ds_load_b128 v[2:5], v1 offset:2000
	v_add_f64 v[12:13], v[30:31], v[34:35]
	v_add_f64 v[30:31], v[32:33], v[36:37]
	v_fma_f64 v[34:35], v[8:9], v[14:15], v[44:45]
	v_fma_f64 v[14:15], v[6:7], v[14:15], -v[16:17]
	ds_load_b128 v[6:9], v1 offset:2016
	s_waitcnt vmcnt(3) lgkmcnt(1)
	v_mul_f64 v[32:33], v[2:3], v[20:21]
	v_mul_f64 v[20:21], v[4:5], v[20:21]
	s_waitcnt vmcnt(2) lgkmcnt(0)
	v_mul_f64 v[16:17], v[6:7], v[24:25]
	v_mul_f64 v[24:25], v[8:9], v[24:25]
	v_add_f64 v[10:11], v[12:13], v[10:11]
	v_add_f64 v[12:13], v[30:31], v[42:43]
	v_fma_f64 v[30:31], v[4:5], v[18:19], v[32:33]
	v_fma_f64 v[18:19], v[2:3], v[18:19], -v[20:21]
	ds_load_b128 v[2:5], v1 offset:2032
	v_fma_f64 v[8:9], v[8:9], v[22:23], v[16:17]
	v_fma_f64 v[6:7], v[6:7], v[22:23], -v[24:25]
	s_waitcnt vmcnt(1) lgkmcnt(0)
	v_mul_f64 v[20:21], v[4:5], v[28:29]
	v_add_f64 v[10:11], v[10:11], v[14:15]
	v_add_f64 v[12:13], v[12:13], v[34:35]
	v_mul_f64 v[14:15], v[2:3], v[28:29]
	s_delay_alu instid0(VALU_DEP_4) | instskip(NEXT) | instid1(VALU_DEP_4)
	v_fma_f64 v[2:3], v[2:3], v[26:27], -v[20:21]
	v_add_f64 v[10:11], v[10:11], v[18:19]
	s_delay_alu instid0(VALU_DEP_4) | instskip(NEXT) | instid1(VALU_DEP_4)
	v_add_f64 v[12:13], v[12:13], v[30:31]
	v_fma_f64 v[4:5], v[4:5], v[26:27], v[14:15]
	s_delay_alu instid0(VALU_DEP_3) | instskip(NEXT) | instid1(VALU_DEP_3)
	v_add_f64 v[6:7], v[10:11], v[6:7]
	v_add_f64 v[8:9], v[12:13], v[8:9]
	s_delay_alu instid0(VALU_DEP_2) | instskip(NEXT) | instid1(VALU_DEP_2)
	v_add_f64 v[2:3], v[6:7], v[2:3]
	v_add_f64 v[4:5], v[8:9], v[4:5]
	s_waitcnt vmcnt(0)
	s_delay_alu instid0(VALU_DEP_2) | instskip(NEXT) | instid1(VALU_DEP_2)
	v_add_f64 v[2:3], v[38:39], -v[2:3]
	v_add_f64 v[4:5], v[40:41], -v[4:5]
	scratch_store_b128 off, v[2:5], off offset:896
	v_cmpx_lt_u32_e32 55, v178
	s_cbranch_execz .LBB127_298
; %bb.297:
	scratch_load_b32 v2, off, off offset:1052 ; 4-byte Folded Reload
	v_mov_b32_e32 v3, v1
	v_mov_b32_e32 v4, v1
	s_waitcnt vmcnt(0)
	scratch_load_b128 v[5:8], v2, off
	v_mov_b32_e32 v2, v1
	scratch_store_b128 off, v[1:4], off offset:880
	s_waitcnt vmcnt(0)
	ds_store_b128 v255, v[5:8]
.LBB127_298:
	s_or_b32 exec_lo, exec_lo, s2
	s_waitcnt lgkmcnt(0)
	s_waitcnt_vscnt null, 0x0
	s_barrier
	buffer_gl0_inv
	s_clause 0x7
	scratch_load_b128 v[2:5], off, off offset:896
	scratch_load_b128 v[6:9], off, off offset:912
	;; [unrolled: 1-line block ×8, first 2 shown]
	ds_load_b128 v[34:37], v1 offset:1920
	ds_load_b128 v[38:41], v1 offset:1936
	scratch_load_b128 v[42:45], off, off offset:880
	s_mov_b32 s2, exec_lo
	s_waitcnt vmcnt(8) lgkmcnt(1)
	v_mul_f64 v[46:47], v[36:37], v[4:5]
	v_mul_f64 v[4:5], v[34:35], v[4:5]
	s_waitcnt vmcnt(7) lgkmcnt(0)
	v_mul_f64 v[48:49], v[38:39], v[8:9]
	v_mul_f64 v[8:9], v[40:41], v[8:9]
	s_delay_alu instid0(VALU_DEP_4) | instskip(NEXT) | instid1(VALU_DEP_4)
	v_fma_f64 v[46:47], v[34:35], v[2:3], -v[46:47]
	v_fma_f64 v[54:55], v[36:37], v[2:3], v[4:5]
	ds_load_b128 v[2:5], v1 offset:1952
	ds_load_b128 v[34:37], v1 offset:1968
	v_fma_f64 v[40:41], v[40:41], v[6:7], v[48:49]
	v_fma_f64 v[6:7], v[38:39], v[6:7], -v[8:9]
	s_waitcnt vmcnt(6) lgkmcnt(1)
	v_mul_f64 v[56:57], v[2:3], v[12:13]
	v_mul_f64 v[12:13], v[4:5], v[12:13]
	v_add_f64 v[8:9], v[46:47], 0
	v_add_f64 v[38:39], v[54:55], 0
	s_waitcnt vmcnt(5) lgkmcnt(0)
	v_mul_f64 v[46:47], v[34:35], v[16:17]
	v_mul_f64 v[16:17], v[36:37], v[16:17]
	v_fma_f64 v[48:49], v[4:5], v[10:11], v[56:57]
	v_fma_f64 v[10:11], v[2:3], v[10:11], -v[12:13]
	v_add_f64 v[12:13], v[8:9], v[6:7]
	v_add_f64 v[38:39], v[38:39], v[40:41]
	ds_load_b128 v[2:5], v1 offset:1984
	ds_load_b128 v[6:9], v1 offset:2000
	v_fma_f64 v[36:37], v[36:37], v[14:15], v[46:47]
	v_fma_f64 v[14:15], v[34:35], v[14:15], -v[16:17]
	s_waitcnt vmcnt(4) lgkmcnt(1)
	v_mul_f64 v[40:41], v[2:3], v[20:21]
	v_mul_f64 v[20:21], v[4:5], v[20:21]
	s_waitcnt vmcnt(3) lgkmcnt(0)
	v_mul_f64 v[16:17], v[6:7], v[24:25]
	v_mul_f64 v[24:25], v[8:9], v[24:25]
	v_add_f64 v[10:11], v[12:13], v[10:11]
	v_add_f64 v[12:13], v[38:39], v[48:49]
	v_fma_f64 v[34:35], v[4:5], v[18:19], v[40:41]
	v_fma_f64 v[18:19], v[2:3], v[18:19], -v[20:21]
	v_fma_f64 v[8:9], v[8:9], v[22:23], v[16:17]
	v_fma_f64 v[6:7], v[6:7], v[22:23], -v[24:25]
	v_add_f64 v[14:15], v[10:11], v[14:15]
	v_add_f64 v[20:21], v[12:13], v[36:37]
	ds_load_b128 v[2:5], v1 offset:2016
	ds_load_b128 v[10:13], v1 offset:2032
	s_waitcnt vmcnt(2) lgkmcnt(1)
	v_mul_f64 v[36:37], v[2:3], v[28:29]
	v_mul_f64 v[28:29], v[4:5], v[28:29]
	v_add_f64 v[14:15], v[14:15], v[18:19]
	v_add_f64 v[16:17], v[20:21], v[34:35]
	s_waitcnt vmcnt(1) lgkmcnt(0)
	v_mul_f64 v[18:19], v[10:11], v[32:33]
	v_mul_f64 v[20:21], v[12:13], v[32:33]
	v_fma_f64 v[4:5], v[4:5], v[26:27], v[36:37]
	v_fma_f64 v[1:2], v[2:3], v[26:27], -v[28:29]
	v_add_f64 v[6:7], v[14:15], v[6:7]
	v_add_f64 v[8:9], v[16:17], v[8:9]
	v_fma_f64 v[12:13], v[12:13], v[30:31], v[18:19]
	v_fma_f64 v[10:11], v[10:11], v[30:31], -v[20:21]
	s_delay_alu instid0(VALU_DEP_4) | instskip(NEXT) | instid1(VALU_DEP_4)
	v_add_f64 v[1:2], v[6:7], v[1:2]
	v_add_f64 v[3:4], v[8:9], v[4:5]
	s_delay_alu instid0(VALU_DEP_2) | instskip(NEXT) | instid1(VALU_DEP_2)
	v_add_f64 v[1:2], v[1:2], v[10:11]
	v_add_f64 v[3:4], v[3:4], v[12:13]
	s_waitcnt vmcnt(0)
	s_delay_alu instid0(VALU_DEP_2) | instskip(NEXT) | instid1(VALU_DEP_2)
	v_add_f64 v[1:2], v[42:43], -v[1:2]
	v_add_f64 v[3:4], v[44:45], -v[3:4]
	scratch_store_b128 off, v[1:4], off offset:880
	v_cmpx_lt_u32_e32 54, v178
	s_cbranch_execz .LBB127_300
; %bb.299:
	scratch_load_b32 v1, off, off offset:1056 ; 4-byte Folded Reload
	v_mov_b32_e32 v5, 0
	s_delay_alu instid0(VALU_DEP_1)
	v_mov_b32_e32 v6, v5
	v_mov_b32_e32 v7, v5
	;; [unrolled: 1-line block ×3, first 2 shown]
	s_waitcnt vmcnt(0)
	scratch_load_b128 v[1:4], v1, off
	scratch_store_b128 off, v[5:8], off offset:864
	s_waitcnt vmcnt(0)
	ds_store_b128 v255, v[1:4]
.LBB127_300:
	s_or_b32 exec_lo, exec_lo, s2
	s_waitcnt lgkmcnt(0)
	s_waitcnt_vscnt null, 0x0
	s_barrier
	buffer_gl0_inv
	s_clause 0x7
	scratch_load_b128 v[2:5], off, off offset:880
	scratch_load_b128 v[6:9], off, off offset:896
	;; [unrolled: 1-line block ×8, first 2 shown]
	v_mov_b32_e32 v1, 0
	s_mov_b32 s2, exec_lo
	ds_load_b128 v[34:37], v1 offset:1904
	s_clause 0x1
	scratch_load_b128 v[38:41], off, off offset:1008
	scratch_load_b128 v[42:45], off, off offset:864
	ds_load_b128 v[46:49], v1 offset:1920
	s_waitcnt vmcnt(9) lgkmcnt(1)
	v_mul_f64 v[54:55], v[36:37], v[4:5]
	v_mul_f64 v[4:5], v[34:35], v[4:5]
	s_waitcnt vmcnt(8) lgkmcnt(0)
	v_mul_f64 v[56:57], v[46:47], v[8:9]
	v_mul_f64 v[8:9], v[48:49], v[8:9]
	s_delay_alu instid0(VALU_DEP_4) | instskip(NEXT) | instid1(VALU_DEP_4)
	v_fma_f64 v[54:55], v[34:35], v[2:3], -v[54:55]
	v_fma_f64 v[58:59], v[36:37], v[2:3], v[4:5]
	ds_load_b128 v[2:5], v1 offset:1936
	ds_load_b128 v[34:37], v1 offset:1952
	v_fma_f64 v[48:49], v[48:49], v[6:7], v[56:57]
	v_fma_f64 v[6:7], v[46:47], v[6:7], -v[8:9]
	s_waitcnt vmcnt(7) lgkmcnt(1)
	v_mul_f64 v[60:61], v[2:3], v[12:13]
	v_mul_f64 v[12:13], v[4:5], v[12:13]
	v_add_f64 v[8:9], v[54:55], 0
	v_add_f64 v[46:47], v[58:59], 0
	s_waitcnt vmcnt(6) lgkmcnt(0)
	v_mul_f64 v[54:55], v[34:35], v[16:17]
	v_mul_f64 v[16:17], v[36:37], v[16:17]
	v_fma_f64 v[56:57], v[4:5], v[10:11], v[60:61]
	v_fma_f64 v[10:11], v[2:3], v[10:11], -v[12:13]
	v_add_f64 v[12:13], v[8:9], v[6:7]
	v_add_f64 v[46:47], v[46:47], v[48:49]
	ds_load_b128 v[2:5], v1 offset:1968
	ds_load_b128 v[6:9], v1 offset:1984
	v_fma_f64 v[36:37], v[36:37], v[14:15], v[54:55]
	v_fma_f64 v[14:15], v[34:35], v[14:15], -v[16:17]
	s_waitcnt vmcnt(5) lgkmcnt(1)
	v_mul_f64 v[48:49], v[2:3], v[20:21]
	v_mul_f64 v[20:21], v[4:5], v[20:21]
	s_waitcnt vmcnt(4) lgkmcnt(0)
	v_mul_f64 v[16:17], v[6:7], v[24:25]
	v_mul_f64 v[24:25], v[8:9], v[24:25]
	v_add_f64 v[10:11], v[12:13], v[10:11]
	v_add_f64 v[12:13], v[46:47], v[56:57]
	v_fma_f64 v[34:35], v[4:5], v[18:19], v[48:49]
	v_fma_f64 v[18:19], v[2:3], v[18:19], -v[20:21]
	v_fma_f64 v[8:9], v[8:9], v[22:23], v[16:17]
	v_fma_f64 v[6:7], v[6:7], v[22:23], -v[24:25]
	v_add_f64 v[14:15], v[10:11], v[14:15]
	v_add_f64 v[20:21], v[12:13], v[36:37]
	ds_load_b128 v[2:5], v1 offset:2000
	ds_load_b128 v[10:13], v1 offset:2016
	s_waitcnt vmcnt(3) lgkmcnt(1)
	v_mul_f64 v[36:37], v[2:3], v[28:29]
	v_mul_f64 v[28:29], v[4:5], v[28:29]
	v_add_f64 v[14:15], v[14:15], v[18:19]
	v_add_f64 v[16:17], v[20:21], v[34:35]
	s_waitcnt vmcnt(2) lgkmcnt(0)
	v_mul_f64 v[18:19], v[10:11], v[32:33]
	v_mul_f64 v[20:21], v[12:13], v[32:33]
	v_fma_f64 v[22:23], v[4:5], v[26:27], v[36:37]
	v_fma_f64 v[24:25], v[2:3], v[26:27], -v[28:29]
	ds_load_b128 v[2:5], v1 offset:2032
	v_add_f64 v[6:7], v[14:15], v[6:7]
	v_add_f64 v[8:9], v[16:17], v[8:9]
	v_fma_f64 v[12:13], v[12:13], v[30:31], v[18:19]
	v_fma_f64 v[10:11], v[10:11], v[30:31], -v[20:21]
	s_waitcnt vmcnt(1) lgkmcnt(0)
	v_mul_f64 v[14:15], v[2:3], v[40:41]
	v_mul_f64 v[16:17], v[4:5], v[40:41]
	v_add_f64 v[6:7], v[6:7], v[24:25]
	v_add_f64 v[8:9], v[8:9], v[22:23]
	s_delay_alu instid0(VALU_DEP_4) | instskip(NEXT) | instid1(VALU_DEP_4)
	v_fma_f64 v[4:5], v[4:5], v[38:39], v[14:15]
	v_fma_f64 v[2:3], v[2:3], v[38:39], -v[16:17]
	s_delay_alu instid0(VALU_DEP_4) | instskip(NEXT) | instid1(VALU_DEP_4)
	v_add_f64 v[6:7], v[6:7], v[10:11]
	v_add_f64 v[8:9], v[8:9], v[12:13]
	s_delay_alu instid0(VALU_DEP_2) | instskip(NEXT) | instid1(VALU_DEP_2)
	v_add_f64 v[2:3], v[6:7], v[2:3]
	v_add_f64 v[4:5], v[8:9], v[4:5]
	s_waitcnt vmcnt(0)
	s_delay_alu instid0(VALU_DEP_2) | instskip(NEXT) | instid1(VALU_DEP_2)
	v_add_f64 v[2:3], v[42:43], -v[2:3]
	v_add_f64 v[4:5], v[44:45], -v[4:5]
	scratch_store_b128 off, v[2:5], off offset:864
	v_cmpx_lt_u32_e32 53, v178
	s_cbranch_execz .LBB127_302
; %bb.301:
	scratch_load_b32 v2, off, off offset:1060 ; 4-byte Folded Reload
	v_mov_b32_e32 v3, v1
	v_mov_b32_e32 v4, v1
	s_waitcnt vmcnt(0)
	scratch_load_b128 v[5:8], v2, off
	v_mov_b32_e32 v2, v1
	scratch_store_b128 off, v[1:4], off offset:848
	s_waitcnt vmcnt(0)
	ds_store_b128 v255, v[5:8]
.LBB127_302:
	s_or_b32 exec_lo, exec_lo, s2
	s_waitcnt lgkmcnt(0)
	s_waitcnt_vscnt null, 0x0
	s_barrier
	buffer_gl0_inv
	s_clause 0x4
	scratch_load_b128 v[2:5], off, off offset:864
	scratch_load_b128 v[6:9], off, off offset:880
	;; [unrolled: 1-line block ×5, first 2 shown]
	ds_load_b128 v[22:25], v1 offset:1888
	ds_load_b128 v[26:29], v1 offset:1904
	scratch_load_b128 v[30:33], off, off offset:848
	s_mov_b32 s2, exec_lo
	s_waitcnt vmcnt(5) lgkmcnt(1)
	v_mul_f64 v[34:35], v[24:25], v[4:5]
	v_mul_f64 v[4:5], v[22:23], v[4:5]
	s_waitcnt vmcnt(4) lgkmcnt(0)
	v_mul_f64 v[36:37], v[26:27], v[8:9]
	v_mul_f64 v[8:9], v[28:29], v[8:9]
	s_delay_alu instid0(VALU_DEP_4) | instskip(NEXT) | instid1(VALU_DEP_4)
	v_fma_f64 v[22:23], v[22:23], v[2:3], -v[34:35]
	v_fma_f64 v[24:25], v[24:25], v[2:3], v[4:5]
	ds_load_b128 v[2:5], v1 offset:1920
	v_fma_f64 v[28:29], v[28:29], v[6:7], v[36:37]
	v_fma_f64 v[26:27], v[26:27], v[6:7], -v[8:9]
	ds_load_b128 v[6:9], v1 offset:1936
	s_waitcnt vmcnt(3) lgkmcnt(1)
	v_mul_f64 v[34:35], v[2:3], v[12:13]
	v_mul_f64 v[12:13], v[4:5], v[12:13]
	s_waitcnt vmcnt(2) lgkmcnt(0)
	v_mul_f64 v[36:37], v[6:7], v[16:17]
	s_delay_alu instid0(VALU_DEP_3) | instskip(NEXT) | instid1(VALU_DEP_3)
	v_fma_f64 v[34:35], v[4:5], v[10:11], v[34:35]
	v_fma_f64 v[38:39], v[2:3], v[10:11], -v[12:13]
	v_mul_f64 v[10:11], v[8:9], v[16:17]
	ds_load_b128 v[2:5], v1 offset:1952
	v_fma_f64 v[36:37], v[8:9], v[14:15], v[36:37]
	v_fma_f64 v[14:15], v[6:7], v[14:15], -v[10:11]
	ds_load_b128 v[6:9], v1 offset:1968
	s_waitcnt vmcnt(1) lgkmcnt(1)
	v_mul_f64 v[10:11], v[2:3], v[20:21]
	v_mul_f64 v[12:13], v[4:5], v[20:21]
	s_delay_alu instid0(VALU_DEP_2) | instskip(NEXT) | instid1(VALU_DEP_2)
	v_fma_f64 v[20:21], v[4:5], v[18:19], v[10:11]
	v_fma_f64 v[18:19], v[2:3], v[18:19], -v[12:13]
	s_clause 0x1
	scratch_load_b128 v[2:5], off, off offset:944
	scratch_load_b128 v[10:13], off, off offset:960
	s_waitcnt vmcnt(1) lgkmcnt(0)
	v_mul_f64 v[16:17], v[6:7], v[4:5]
	v_mul_f64 v[4:5], v[8:9], v[4:5]
	s_delay_alu instid0(VALU_DEP_2) | instskip(NEXT) | instid1(VALU_DEP_2)
	v_fma_f64 v[40:41], v[8:9], v[2:3], v[16:17]
	v_fma_f64 v[42:43], v[6:7], v[2:3], -v[4:5]
	ds_load_b128 v[2:5], v1 offset:1984
	ds_load_b128 v[6:9], v1 offset:2000
	s_waitcnt vmcnt(0) lgkmcnt(1)
	v_mul_f64 v[16:17], v[2:3], v[12:13]
	s_delay_alu instid0(VALU_DEP_1) | instskip(SKIP_1) | instid1(VALU_DEP_1)
	v_fma_f64 v[44:45], v[4:5], v[10:11], v[16:17]
	v_mul_f64 v[4:5], v[4:5], v[12:13]
	v_fma_f64 v[46:47], v[2:3], v[10:11], -v[4:5]
	v_add_f64 v[2:3], v[22:23], 0
	v_add_f64 v[10:11], v[24:25], 0
	s_delay_alu instid0(VALU_DEP_2)
	v_add_f64 v[12:13], v[2:3], v[26:27]
	scratch_load_b128 v[2:5], off, off offset:976
	v_add_f64 v[16:17], v[10:11], v[28:29]
	v_add_f64 v[22:23], v[12:13], v[38:39]
	scratch_load_b128 v[10:13], off, off offset:992
	v_add_f64 v[24:25], v[16:17], v[34:35]
	;; [unrolled: 3-line block ×3, first 2 shown]
	v_add_f64 v[18:19], v[22:23], v[18:19]
	s_delay_alu instid0(VALU_DEP_2) | instskip(NEXT) | instid1(VALU_DEP_2)
	v_add_f64 v[20:21], v[24:25], v[20:21]
	v_add_f64 v[28:29], v[18:19], v[42:43]
	s_delay_alu instid0(VALU_DEP_2)
	v_add_f64 v[34:35], v[20:21], v[40:41]
	ds_load_b128 v[18:21], v1 offset:2016
	ds_load_b128 v[22:25], v1 offset:2032
	s_waitcnt vmcnt(2) lgkmcnt(2)
	v_mul_f64 v[26:27], v[6:7], v[4:5]
	v_mul_f64 v[4:5], v[8:9], v[4:5]
	s_waitcnt vmcnt(1) lgkmcnt(1)
	v_mul_f64 v[36:37], v[18:19], v[12:13]
	s_delay_alu instid0(VALU_DEP_3) | instskip(NEXT) | instid1(VALU_DEP_3)
	v_fma_f64 v[8:9], v[8:9], v[2:3], v[26:27]
	v_fma_f64 v[1:2], v[6:7], v[2:3], -v[4:5]
	v_mul_f64 v[3:4], v[20:21], v[12:13]
	v_add_f64 v[5:6], v[28:29], v[46:47]
	v_add_f64 v[12:13], v[34:35], v[44:45]
	s_waitcnt vmcnt(0) lgkmcnt(0)
	v_mul_f64 v[26:27], v[22:23], v[16:17]
	v_mul_f64 v[16:17], v[24:25], v[16:17]
	v_fma_f64 v[20:21], v[20:21], v[10:11], v[36:37]
	v_fma_f64 v[3:4], v[18:19], v[10:11], -v[3:4]
	v_add_f64 v[1:2], v[5:6], v[1:2]
	v_add_f64 v[5:6], v[12:13], v[8:9]
	v_fma_f64 v[7:8], v[24:25], v[14:15], v[26:27]
	v_fma_f64 v[9:10], v[22:23], v[14:15], -v[16:17]
	s_delay_alu instid0(VALU_DEP_4) | instskip(NEXT) | instid1(VALU_DEP_4)
	v_add_f64 v[1:2], v[1:2], v[3:4]
	v_add_f64 v[3:4], v[5:6], v[20:21]
	s_delay_alu instid0(VALU_DEP_2) | instskip(NEXT) | instid1(VALU_DEP_2)
	v_add_f64 v[1:2], v[1:2], v[9:10]
	v_add_f64 v[3:4], v[3:4], v[7:8]
	s_delay_alu instid0(VALU_DEP_2) | instskip(NEXT) | instid1(VALU_DEP_2)
	v_add_f64 v[1:2], v[30:31], -v[1:2]
	v_add_f64 v[3:4], v[32:33], -v[3:4]
	scratch_store_b128 off, v[1:4], off offset:848
	v_cmpx_lt_u32_e32 52, v178
	s_cbranch_execz .LBB127_304
; %bb.303:
	scratch_load_b32 v1, off, off offset:1064 ; 4-byte Folded Reload
	v_mov_b32_e32 v5, 0
	s_delay_alu instid0(VALU_DEP_1)
	v_mov_b32_e32 v6, v5
	v_mov_b32_e32 v7, v5
	;; [unrolled: 1-line block ×3, first 2 shown]
	s_waitcnt vmcnt(0)
	scratch_load_b128 v[1:4], v1, off
	scratch_store_b128 off, v[5:8], off offset:832
	s_waitcnt vmcnt(0)
	ds_store_b128 v255, v[1:4]
.LBB127_304:
	s_or_b32 exec_lo, exec_lo, s2
	s_waitcnt lgkmcnt(0)
	s_waitcnt_vscnt null, 0x0
	s_barrier
	buffer_gl0_inv
	s_clause 0x4
	scratch_load_b128 v[2:5], off, off offset:848
	scratch_load_b128 v[6:9], off, off offset:864
	;; [unrolled: 1-line block ×5, first 2 shown]
	v_mov_b32_e32 v1, 0
	scratch_load_b128 v[26:29], off, off offset:832
	s_mov_b32 s2, exec_lo
	ds_load_b128 v[22:25], v1 offset:1872
	ds_load_b128 v[30:33], v1 offset:1888
	s_waitcnt vmcnt(5) lgkmcnt(1)
	v_mul_f64 v[34:35], v[24:25], v[4:5]
	v_mul_f64 v[4:5], v[22:23], v[4:5]
	s_waitcnt vmcnt(4) lgkmcnt(0)
	v_mul_f64 v[36:37], v[30:31], v[8:9]
	v_mul_f64 v[8:9], v[32:33], v[8:9]
	s_delay_alu instid0(VALU_DEP_4) | instskip(NEXT) | instid1(VALU_DEP_4)
	v_fma_f64 v[22:23], v[22:23], v[2:3], -v[34:35]
	v_fma_f64 v[24:25], v[24:25], v[2:3], v[4:5]
	ds_load_b128 v[2:5], v1 offset:1904
	v_fma_f64 v[32:33], v[32:33], v[6:7], v[36:37]
	v_fma_f64 v[30:31], v[30:31], v[6:7], -v[8:9]
	ds_load_b128 v[6:9], v1 offset:1920
	s_waitcnt vmcnt(3) lgkmcnt(1)
	v_mul_f64 v[34:35], v[2:3], v[12:13]
	v_mul_f64 v[12:13], v[4:5], v[12:13]
	s_waitcnt vmcnt(2) lgkmcnt(0)
	v_mul_f64 v[36:37], v[6:7], v[16:17]
	s_delay_alu instid0(VALU_DEP_3) | instskip(NEXT) | instid1(VALU_DEP_3)
	v_fma_f64 v[34:35], v[4:5], v[10:11], v[34:35]
	v_fma_f64 v[38:39], v[2:3], v[10:11], -v[12:13]
	v_mul_f64 v[10:11], v[8:9], v[16:17]
	ds_load_b128 v[2:5], v1 offset:1936
	v_fma_f64 v[36:37], v[8:9], v[14:15], v[36:37]
	v_fma_f64 v[14:15], v[6:7], v[14:15], -v[10:11]
	ds_load_b128 v[6:9], v1 offset:1952
	s_waitcnt vmcnt(1) lgkmcnt(1)
	v_mul_f64 v[10:11], v[2:3], v[20:21]
	v_mul_f64 v[12:13], v[4:5], v[20:21]
	s_delay_alu instid0(VALU_DEP_2) | instskip(NEXT) | instid1(VALU_DEP_2)
	v_fma_f64 v[40:41], v[4:5], v[18:19], v[10:11]
	v_fma_f64 v[18:19], v[2:3], v[18:19], -v[12:13]
	s_clause 0x1
	scratch_load_b128 v[2:5], off, off offset:928
	scratch_load_b128 v[10:13], off, off offset:944
	s_waitcnt vmcnt(1) lgkmcnt(0)
	v_mul_f64 v[16:17], v[6:7], v[4:5]
	v_mul_f64 v[4:5], v[8:9], v[4:5]
	s_delay_alu instid0(VALU_DEP_2) | instskip(NEXT) | instid1(VALU_DEP_2)
	v_fma_f64 v[42:43], v[8:9], v[2:3], v[16:17]
	v_fma_f64 v[44:45], v[6:7], v[2:3], -v[4:5]
	ds_load_b128 v[2:5], v1 offset:1968
	ds_load_b128 v[6:9], v1 offset:1984
	s_waitcnt vmcnt(0) lgkmcnt(1)
	v_mul_f64 v[16:17], v[2:3], v[12:13]
	s_delay_alu instid0(VALU_DEP_1) | instskip(SKIP_2) | instid1(VALU_DEP_2)
	v_fma_f64 v[46:47], v[4:5], v[10:11], v[16:17]
	v_mul_f64 v[4:5], v[4:5], v[12:13]
	v_add_f64 v[12:13], v[24:25], 0
	v_fma_f64 v[48:49], v[2:3], v[10:11], -v[4:5]
	v_add_f64 v[2:3], v[22:23], 0
	s_delay_alu instid0(VALU_DEP_3) | instskip(NEXT) | instid1(VALU_DEP_2)
	v_add_f64 v[16:17], v[12:13], v[32:33]
	v_add_f64 v[10:11], v[2:3], v[30:31]
	scratch_load_b128 v[2:5], off, off offset:960
	v_add_f64 v[22:23], v[16:17], v[34:35]
	v_add_f64 v[20:21], v[10:11], v[38:39]
	scratch_load_b128 v[10:13], off, off offset:976
	v_add_f64 v[22:23], v[22:23], v[36:37]
	v_add_f64 v[20:21], v[20:21], v[14:15]
	scratch_load_b128 v[14:17], off, off offset:992
	v_add_f64 v[22:23], v[22:23], v[40:41]
	v_add_f64 v[24:25], v[20:21], v[18:19]
	scratch_load_b128 v[18:21], off, off offset:1008
	v_add_f64 v[22:23], v[22:23], v[42:43]
	v_add_f64 v[24:25], v[24:25], v[44:45]
	s_delay_alu instid0(VALU_DEP_2) | instskip(NEXT) | instid1(VALU_DEP_2)
	v_add_f64 v[22:23], v[22:23], v[46:47]
	v_add_f64 v[24:25], v[24:25], v[48:49]
	s_waitcnt vmcnt(3) lgkmcnt(0)
	v_mul_f64 v[30:31], v[6:7], v[4:5]
	v_mul_f64 v[4:5], v[8:9], v[4:5]
	s_delay_alu instid0(VALU_DEP_2) | instskip(NEXT) | instid1(VALU_DEP_2)
	v_fma_f64 v[30:31], v[8:9], v[2:3], v[30:31]
	v_fma_f64 v[32:33], v[6:7], v[2:3], -v[4:5]
	ds_load_b128 v[2:5], v1 offset:2000
	ds_load_b128 v[6:9], v1 offset:2016
	s_waitcnt vmcnt(2) lgkmcnt(1)
	v_mul_f64 v[34:35], v[2:3], v[12:13]
	v_mul_f64 v[12:13], v[4:5], v[12:13]
	s_waitcnt vmcnt(1) lgkmcnt(0)
	v_mul_f64 v[36:37], v[6:7], v[16:17]
	v_add_f64 v[22:23], v[22:23], v[30:31]
	s_delay_alu instid0(VALU_DEP_4) | instskip(NEXT) | instid1(VALU_DEP_4)
	v_fma_f64 v[34:35], v[4:5], v[10:11], v[34:35]
	v_fma_f64 v[10:11], v[2:3], v[10:11], -v[12:13]
	v_mul_f64 v[12:13], v[8:9], v[16:17]
	v_add_f64 v[16:17], v[24:25], v[32:33]
	ds_load_b128 v[2:5], v1 offset:2032
	v_fma_f64 v[8:9], v[8:9], v[14:15], v[36:37]
	s_waitcnt vmcnt(0) lgkmcnt(0)
	v_mul_f64 v[24:25], v[2:3], v[20:21]
	v_mul_f64 v[20:21], v[4:5], v[20:21]
	v_fma_f64 v[6:7], v[6:7], v[14:15], -v[12:13]
	v_add_f64 v[10:11], v[16:17], v[10:11]
	v_add_f64 v[12:13], v[22:23], v[34:35]
	v_fma_f64 v[4:5], v[4:5], v[18:19], v[24:25]
	v_fma_f64 v[2:3], v[2:3], v[18:19], -v[20:21]
	s_delay_alu instid0(VALU_DEP_4) | instskip(NEXT) | instid1(VALU_DEP_4)
	v_add_f64 v[6:7], v[10:11], v[6:7]
	v_add_f64 v[8:9], v[12:13], v[8:9]
	s_delay_alu instid0(VALU_DEP_2) | instskip(NEXT) | instid1(VALU_DEP_2)
	v_add_f64 v[2:3], v[6:7], v[2:3]
	v_add_f64 v[4:5], v[8:9], v[4:5]
	s_delay_alu instid0(VALU_DEP_2) | instskip(NEXT) | instid1(VALU_DEP_2)
	v_add_f64 v[2:3], v[26:27], -v[2:3]
	v_add_f64 v[4:5], v[28:29], -v[4:5]
	scratch_store_b128 off, v[2:5], off offset:832
	v_cmpx_lt_u32_e32 51, v178
	s_cbranch_execz .LBB127_306
; %bb.305:
	scratch_load_b32 v2, off, off offset:1068 ; 4-byte Folded Reload
	v_mov_b32_e32 v3, v1
	v_mov_b32_e32 v4, v1
	s_waitcnt vmcnt(0)
	scratch_load_b128 v[5:8], v2, off
	v_mov_b32_e32 v2, v1
	scratch_store_b128 off, v[1:4], off offset:816
	s_waitcnt vmcnt(0)
	ds_store_b128 v255, v[5:8]
.LBB127_306:
	s_or_b32 exec_lo, exec_lo, s2
	s_waitcnt lgkmcnt(0)
	s_waitcnt_vscnt null, 0x0
	s_barrier
	buffer_gl0_inv
	s_clause 0x4
	scratch_load_b128 v[2:5], off, off offset:832
	scratch_load_b128 v[6:9], off, off offset:848
	;; [unrolled: 1-line block ×5, first 2 shown]
	ds_load_b128 v[22:25], v1 offset:1856
	ds_load_b128 v[26:29], v1 offset:1872
	scratch_load_b128 v[30:33], off, off offset:816
	s_mov_b32 s2, exec_lo
	s_waitcnt vmcnt(5) lgkmcnt(1)
	v_mul_f64 v[34:35], v[24:25], v[4:5]
	v_mul_f64 v[4:5], v[22:23], v[4:5]
	s_waitcnt vmcnt(4) lgkmcnt(0)
	v_mul_f64 v[36:37], v[26:27], v[8:9]
	v_mul_f64 v[8:9], v[28:29], v[8:9]
	s_delay_alu instid0(VALU_DEP_4) | instskip(NEXT) | instid1(VALU_DEP_4)
	v_fma_f64 v[22:23], v[22:23], v[2:3], -v[34:35]
	v_fma_f64 v[24:25], v[24:25], v[2:3], v[4:5]
	ds_load_b128 v[2:5], v1 offset:1888
	v_fma_f64 v[28:29], v[28:29], v[6:7], v[36:37]
	v_fma_f64 v[26:27], v[26:27], v[6:7], -v[8:9]
	ds_load_b128 v[6:9], v1 offset:1904
	s_waitcnt vmcnt(3) lgkmcnt(1)
	v_mul_f64 v[34:35], v[2:3], v[12:13]
	v_mul_f64 v[12:13], v[4:5], v[12:13]
	s_waitcnt vmcnt(2) lgkmcnt(0)
	v_mul_f64 v[36:37], v[6:7], v[16:17]
	s_delay_alu instid0(VALU_DEP_3) | instskip(NEXT) | instid1(VALU_DEP_3)
	v_fma_f64 v[34:35], v[4:5], v[10:11], v[34:35]
	v_fma_f64 v[38:39], v[2:3], v[10:11], -v[12:13]
	v_mul_f64 v[10:11], v[8:9], v[16:17]
	ds_load_b128 v[2:5], v1 offset:1920
	v_fma_f64 v[16:17], v[8:9], v[14:15], v[36:37]
	v_fma_f64 v[14:15], v[6:7], v[14:15], -v[10:11]
	ds_load_b128 v[6:9], v1 offset:1936
	s_waitcnt vmcnt(1) lgkmcnt(1)
	v_mul_f64 v[10:11], v[2:3], v[20:21]
	v_mul_f64 v[12:13], v[4:5], v[20:21]
	s_delay_alu instid0(VALU_DEP_2) | instskip(NEXT) | instid1(VALU_DEP_2)
	v_fma_f64 v[20:21], v[4:5], v[18:19], v[10:11]
	v_fma_f64 v[18:19], v[2:3], v[18:19], -v[12:13]
	s_clause 0x1
	scratch_load_b128 v[2:5], off, off offset:912
	scratch_load_b128 v[10:13], off, off offset:928
	s_waitcnt vmcnt(1) lgkmcnt(0)
	v_mul_f64 v[36:37], v[6:7], v[4:5]
	v_mul_f64 v[4:5], v[8:9], v[4:5]
	s_delay_alu instid0(VALU_DEP_2) | instskip(NEXT) | instid1(VALU_DEP_2)
	v_fma_f64 v[36:37], v[8:9], v[2:3], v[36:37]
	v_fma_f64 v[40:41], v[6:7], v[2:3], -v[4:5]
	ds_load_b128 v[2:5], v1 offset:1952
	ds_load_b128 v[6:9], v1 offset:1968
	s_waitcnt vmcnt(0) lgkmcnt(1)
	v_mul_f64 v[42:43], v[2:3], v[12:13]
	s_delay_alu instid0(VALU_DEP_1) | instskip(SKIP_1) | instid1(VALU_DEP_1)
	v_fma_f64 v[42:43], v[4:5], v[10:11], v[42:43]
	v_mul_f64 v[4:5], v[4:5], v[12:13]
	v_fma_f64 v[44:45], v[2:3], v[10:11], -v[4:5]
	s_clause 0x1
	scratch_load_b128 v[2:5], off, off offset:944
	scratch_load_b128 v[10:13], off, off offset:960
	s_waitcnt vmcnt(1) lgkmcnt(0)
	v_mul_f64 v[46:47], v[6:7], v[4:5]
	v_mul_f64 v[4:5], v[8:9], v[4:5]
	s_delay_alu instid0(VALU_DEP_2) | instskip(NEXT) | instid1(VALU_DEP_2)
	v_fma_f64 v[46:47], v[8:9], v[2:3], v[46:47]
	v_fma_f64 v[48:49], v[6:7], v[2:3], -v[4:5]
	ds_load_b128 v[2:5], v1 offset:1984
	ds_load_b128 v[6:9], v1 offset:2000
	s_waitcnt vmcnt(0) lgkmcnt(1)
	v_mul_f64 v[54:55], v[2:3], v[12:13]
	s_delay_alu instid0(VALU_DEP_1) | instskip(SKIP_1) | instid1(VALU_DEP_1)
	v_fma_f64 v[54:55], v[4:5], v[10:11], v[54:55]
	v_mul_f64 v[4:5], v[4:5], v[12:13]
	v_fma_f64 v[56:57], v[2:3], v[10:11], -v[4:5]
	v_add_f64 v[2:3], v[22:23], 0
	v_add_f64 v[4:5], v[24:25], 0
	s_delay_alu instid0(VALU_DEP_2) | instskip(NEXT) | instid1(VALU_DEP_2)
	v_add_f64 v[2:3], v[2:3], v[26:27]
	v_add_f64 v[4:5], v[4:5], v[28:29]
	s_delay_alu instid0(VALU_DEP_2) | instskip(NEXT) | instid1(VALU_DEP_2)
	v_add_f64 v[2:3], v[2:3], v[38:39]
	v_add_f64 v[10:11], v[4:5], v[34:35]
	s_delay_alu instid0(VALU_DEP_2)
	v_add_f64 v[12:13], v[2:3], v[14:15]
	scratch_load_b128 v[2:5], off, off offset:976
	v_add_f64 v[14:15], v[10:11], v[16:17]
	v_add_f64 v[16:17], v[12:13], v[18:19]
	scratch_load_b128 v[10:13], off, off offset:992
	v_add_f64 v[18:19], v[14:15], v[20:21]
	;; [unrolled: 3-line block ×3, first 2 shown]
	v_add_f64 v[20:21], v[20:21], v[44:45]
	s_delay_alu instid0(VALU_DEP_2) | instskip(NEXT) | instid1(VALU_DEP_2)
	v_add_f64 v[18:19], v[18:19], v[42:43]
	v_add_f64 v[28:29], v[20:21], v[48:49]
	s_delay_alu instid0(VALU_DEP_2)
	v_add_f64 v[34:35], v[18:19], v[46:47]
	ds_load_b128 v[18:21], v1 offset:2016
	ds_load_b128 v[22:25], v1 offset:2032
	s_waitcnt vmcnt(2) lgkmcnt(2)
	v_mul_f64 v[26:27], v[6:7], v[4:5]
	v_mul_f64 v[4:5], v[8:9], v[4:5]
	s_waitcnt vmcnt(1) lgkmcnt(1)
	v_mul_f64 v[36:37], v[18:19], v[12:13]
	s_delay_alu instid0(VALU_DEP_3) | instskip(NEXT) | instid1(VALU_DEP_3)
	v_fma_f64 v[8:9], v[8:9], v[2:3], v[26:27]
	v_fma_f64 v[1:2], v[6:7], v[2:3], -v[4:5]
	v_mul_f64 v[3:4], v[20:21], v[12:13]
	v_add_f64 v[5:6], v[28:29], v[56:57]
	v_add_f64 v[12:13], v[34:35], v[54:55]
	s_waitcnt vmcnt(0) lgkmcnt(0)
	v_mul_f64 v[26:27], v[22:23], v[16:17]
	v_mul_f64 v[16:17], v[24:25], v[16:17]
	v_fma_f64 v[20:21], v[20:21], v[10:11], v[36:37]
	v_fma_f64 v[3:4], v[18:19], v[10:11], -v[3:4]
	v_add_f64 v[1:2], v[5:6], v[1:2]
	v_add_f64 v[5:6], v[12:13], v[8:9]
	v_fma_f64 v[7:8], v[24:25], v[14:15], v[26:27]
	v_fma_f64 v[9:10], v[22:23], v[14:15], -v[16:17]
	s_delay_alu instid0(VALU_DEP_4) | instskip(NEXT) | instid1(VALU_DEP_4)
	v_add_f64 v[1:2], v[1:2], v[3:4]
	v_add_f64 v[3:4], v[5:6], v[20:21]
	s_delay_alu instid0(VALU_DEP_2) | instskip(NEXT) | instid1(VALU_DEP_2)
	v_add_f64 v[1:2], v[1:2], v[9:10]
	v_add_f64 v[3:4], v[3:4], v[7:8]
	s_delay_alu instid0(VALU_DEP_2) | instskip(NEXT) | instid1(VALU_DEP_2)
	v_add_f64 v[1:2], v[30:31], -v[1:2]
	v_add_f64 v[3:4], v[32:33], -v[3:4]
	scratch_store_b128 off, v[1:4], off offset:816
	v_cmpx_lt_u32_e32 50, v178
	s_cbranch_execz .LBB127_308
; %bb.307:
	scratch_load_b32 v1, off, off offset:1072 ; 4-byte Folded Reload
	v_mov_b32_e32 v5, 0
	s_delay_alu instid0(VALU_DEP_1)
	v_mov_b32_e32 v6, v5
	v_mov_b32_e32 v7, v5
	;; [unrolled: 1-line block ×3, first 2 shown]
	s_waitcnt vmcnt(0)
	scratch_load_b128 v[1:4], v1, off
	scratch_store_b128 off, v[5:8], off offset:800
	s_waitcnt vmcnt(0)
	ds_store_b128 v255, v[1:4]
.LBB127_308:
	s_or_b32 exec_lo, exec_lo, s2
	s_waitcnt lgkmcnt(0)
	s_waitcnt_vscnt null, 0x0
	s_barrier
	buffer_gl0_inv
	s_clause 0x4
	scratch_load_b128 v[2:5], off, off offset:816
	scratch_load_b128 v[6:9], off, off offset:832
	;; [unrolled: 1-line block ×5, first 2 shown]
	v_mov_b32_e32 v1, 0
	scratch_load_b128 v[26:29], off, off offset:800
	s_mov_b32 s2, exec_lo
	ds_load_b128 v[22:25], v1 offset:1840
	ds_load_b128 v[30:33], v1 offset:1856
	s_waitcnt vmcnt(5) lgkmcnt(1)
	v_mul_f64 v[34:35], v[24:25], v[4:5]
	v_mul_f64 v[4:5], v[22:23], v[4:5]
	s_waitcnt vmcnt(4) lgkmcnt(0)
	v_mul_f64 v[36:37], v[30:31], v[8:9]
	v_mul_f64 v[8:9], v[32:33], v[8:9]
	s_delay_alu instid0(VALU_DEP_4) | instskip(NEXT) | instid1(VALU_DEP_4)
	v_fma_f64 v[22:23], v[22:23], v[2:3], -v[34:35]
	v_fma_f64 v[24:25], v[24:25], v[2:3], v[4:5]
	ds_load_b128 v[2:5], v1 offset:1872
	v_fma_f64 v[32:33], v[32:33], v[6:7], v[36:37]
	v_fma_f64 v[30:31], v[30:31], v[6:7], -v[8:9]
	ds_load_b128 v[6:9], v1 offset:1888
	s_waitcnt vmcnt(3) lgkmcnt(1)
	v_mul_f64 v[34:35], v[2:3], v[12:13]
	v_mul_f64 v[12:13], v[4:5], v[12:13]
	s_waitcnt vmcnt(2) lgkmcnt(0)
	v_mul_f64 v[36:37], v[6:7], v[16:17]
	s_delay_alu instid0(VALU_DEP_3) | instskip(NEXT) | instid1(VALU_DEP_3)
	v_fma_f64 v[34:35], v[4:5], v[10:11], v[34:35]
	v_fma_f64 v[38:39], v[2:3], v[10:11], -v[12:13]
	v_mul_f64 v[10:11], v[8:9], v[16:17]
	ds_load_b128 v[2:5], v1 offset:1904
	v_fma_f64 v[16:17], v[8:9], v[14:15], v[36:37]
	v_fma_f64 v[14:15], v[6:7], v[14:15], -v[10:11]
	ds_load_b128 v[6:9], v1 offset:1920
	s_waitcnt vmcnt(1) lgkmcnt(1)
	v_mul_f64 v[10:11], v[2:3], v[20:21]
	v_mul_f64 v[12:13], v[4:5], v[20:21]
	s_delay_alu instid0(VALU_DEP_2) | instskip(NEXT) | instid1(VALU_DEP_2)
	v_fma_f64 v[20:21], v[4:5], v[18:19], v[10:11]
	v_fma_f64 v[18:19], v[2:3], v[18:19], -v[12:13]
	s_clause 0x1
	scratch_load_b128 v[2:5], off, off offset:896
	scratch_load_b128 v[10:13], off, off offset:912
	s_waitcnt vmcnt(1) lgkmcnt(0)
	v_mul_f64 v[36:37], v[6:7], v[4:5]
	v_mul_f64 v[4:5], v[8:9], v[4:5]
	s_delay_alu instid0(VALU_DEP_2) | instskip(NEXT) | instid1(VALU_DEP_2)
	v_fma_f64 v[36:37], v[8:9], v[2:3], v[36:37]
	v_fma_f64 v[40:41], v[6:7], v[2:3], -v[4:5]
	ds_load_b128 v[2:5], v1 offset:1936
	ds_load_b128 v[6:9], v1 offset:1952
	s_waitcnt vmcnt(0) lgkmcnt(1)
	v_mul_f64 v[42:43], v[2:3], v[12:13]
	s_delay_alu instid0(VALU_DEP_1) | instskip(SKIP_1) | instid1(VALU_DEP_1)
	v_fma_f64 v[42:43], v[4:5], v[10:11], v[42:43]
	v_mul_f64 v[4:5], v[4:5], v[12:13]
	v_fma_f64 v[44:45], v[2:3], v[10:11], -v[4:5]
	s_clause 0x1
	scratch_load_b128 v[2:5], off, off offset:928
	scratch_load_b128 v[10:13], off, off offset:944
	s_waitcnt vmcnt(1) lgkmcnt(0)
	v_mul_f64 v[46:47], v[6:7], v[4:5]
	v_mul_f64 v[4:5], v[8:9], v[4:5]
	s_delay_alu instid0(VALU_DEP_2) | instskip(NEXT) | instid1(VALU_DEP_2)
	v_fma_f64 v[46:47], v[8:9], v[2:3], v[46:47]
	v_fma_f64 v[48:49], v[6:7], v[2:3], -v[4:5]
	ds_load_b128 v[2:5], v1 offset:1968
	ds_load_b128 v[6:9], v1 offset:1984
	s_waitcnt vmcnt(0) lgkmcnt(1)
	v_mul_f64 v[54:55], v[2:3], v[12:13]
	s_delay_alu instid0(VALU_DEP_1) | instskip(SKIP_1) | instid1(VALU_DEP_1)
	v_fma_f64 v[54:55], v[4:5], v[10:11], v[54:55]
	v_mul_f64 v[4:5], v[4:5], v[12:13]
	v_fma_f64 v[56:57], v[2:3], v[10:11], -v[4:5]
	v_add_f64 v[2:3], v[22:23], 0
	v_add_f64 v[4:5], v[24:25], 0
	s_delay_alu instid0(VALU_DEP_2) | instskip(NEXT) | instid1(VALU_DEP_2)
	v_add_f64 v[2:3], v[2:3], v[30:31]
	v_add_f64 v[4:5], v[4:5], v[32:33]
	s_delay_alu instid0(VALU_DEP_2) | instskip(NEXT) | instid1(VALU_DEP_2)
	v_add_f64 v[2:3], v[2:3], v[38:39]
	v_add_f64 v[10:11], v[4:5], v[34:35]
	s_delay_alu instid0(VALU_DEP_2)
	v_add_f64 v[12:13], v[2:3], v[14:15]
	scratch_load_b128 v[2:5], off, off offset:960
	v_add_f64 v[14:15], v[10:11], v[16:17]
	v_add_f64 v[16:17], v[12:13], v[18:19]
	scratch_load_b128 v[10:13], off, off offset:976
	v_add_f64 v[18:19], v[14:15], v[20:21]
	v_add_f64 v[20:21], v[16:17], v[40:41]
	scratch_load_b128 v[14:17], off, off offset:992
	v_add_f64 v[22:23], v[18:19], v[36:37]
	v_add_f64 v[24:25], v[20:21], v[44:45]
	scratch_load_b128 v[18:21], off, off offset:1008
	v_add_f64 v[22:23], v[22:23], v[42:43]
	v_add_f64 v[24:25], v[24:25], v[48:49]
	s_delay_alu instid0(VALU_DEP_2) | instskip(NEXT) | instid1(VALU_DEP_2)
	v_add_f64 v[22:23], v[22:23], v[46:47]
	v_add_f64 v[24:25], v[24:25], v[56:57]
	s_delay_alu instid0(VALU_DEP_2) | instskip(SKIP_3) | instid1(VALU_DEP_2)
	v_add_f64 v[22:23], v[22:23], v[54:55]
	s_waitcnt vmcnt(3) lgkmcnt(0)
	v_mul_f64 v[30:31], v[6:7], v[4:5]
	v_mul_f64 v[4:5], v[8:9], v[4:5]
	v_fma_f64 v[30:31], v[8:9], v[2:3], v[30:31]
	s_delay_alu instid0(VALU_DEP_2)
	v_fma_f64 v[32:33], v[6:7], v[2:3], -v[4:5]
	ds_load_b128 v[2:5], v1 offset:2000
	ds_load_b128 v[6:9], v1 offset:2016
	s_waitcnt vmcnt(2) lgkmcnt(1)
	v_mul_f64 v[34:35], v[2:3], v[12:13]
	v_mul_f64 v[12:13], v[4:5], v[12:13]
	s_waitcnt vmcnt(1) lgkmcnt(0)
	v_mul_f64 v[36:37], v[6:7], v[16:17]
	v_add_f64 v[22:23], v[22:23], v[30:31]
	s_delay_alu instid0(VALU_DEP_4) | instskip(NEXT) | instid1(VALU_DEP_4)
	v_fma_f64 v[34:35], v[4:5], v[10:11], v[34:35]
	v_fma_f64 v[10:11], v[2:3], v[10:11], -v[12:13]
	v_mul_f64 v[12:13], v[8:9], v[16:17]
	v_add_f64 v[16:17], v[24:25], v[32:33]
	ds_load_b128 v[2:5], v1 offset:2032
	v_fma_f64 v[8:9], v[8:9], v[14:15], v[36:37]
	s_waitcnt vmcnt(0) lgkmcnt(0)
	v_mul_f64 v[24:25], v[2:3], v[20:21]
	v_mul_f64 v[20:21], v[4:5], v[20:21]
	v_fma_f64 v[6:7], v[6:7], v[14:15], -v[12:13]
	v_add_f64 v[10:11], v[16:17], v[10:11]
	v_add_f64 v[12:13], v[22:23], v[34:35]
	v_fma_f64 v[4:5], v[4:5], v[18:19], v[24:25]
	v_fma_f64 v[2:3], v[2:3], v[18:19], -v[20:21]
	s_delay_alu instid0(VALU_DEP_4) | instskip(NEXT) | instid1(VALU_DEP_4)
	v_add_f64 v[6:7], v[10:11], v[6:7]
	v_add_f64 v[8:9], v[12:13], v[8:9]
	s_delay_alu instid0(VALU_DEP_2) | instskip(NEXT) | instid1(VALU_DEP_2)
	v_add_f64 v[2:3], v[6:7], v[2:3]
	v_add_f64 v[4:5], v[8:9], v[4:5]
	s_delay_alu instid0(VALU_DEP_2) | instskip(NEXT) | instid1(VALU_DEP_2)
	v_add_f64 v[2:3], v[26:27], -v[2:3]
	v_add_f64 v[4:5], v[28:29], -v[4:5]
	scratch_store_b128 off, v[2:5], off offset:800
	v_cmpx_lt_u32_e32 49, v178
	s_cbranch_execz .LBB127_310
; %bb.309:
	scratch_load_b32 v2, off, off offset:1076 ; 4-byte Folded Reload
	v_mov_b32_e32 v3, v1
	v_mov_b32_e32 v4, v1
	s_waitcnt vmcnt(0)
	scratch_load_b128 v[5:8], v2, off
	v_mov_b32_e32 v2, v1
	scratch_store_b128 off, v[1:4], off offset:784
	s_waitcnt vmcnt(0)
	ds_store_b128 v255, v[5:8]
.LBB127_310:
	s_or_b32 exec_lo, exec_lo, s2
	s_waitcnt lgkmcnt(0)
	s_waitcnt_vscnt null, 0x0
	s_barrier
	buffer_gl0_inv
	s_clause 0x4
	scratch_load_b128 v[2:5], off, off offset:800
	scratch_load_b128 v[6:9], off, off offset:816
	;; [unrolled: 1-line block ×5, first 2 shown]
	ds_load_b128 v[22:25], v1 offset:1824
	ds_load_b128 v[26:29], v1 offset:1840
	scratch_load_b128 v[30:33], off, off offset:784
	s_mov_b32 s2, exec_lo
	s_waitcnt vmcnt(5) lgkmcnt(1)
	v_mul_f64 v[34:35], v[24:25], v[4:5]
	v_mul_f64 v[4:5], v[22:23], v[4:5]
	s_waitcnt vmcnt(4) lgkmcnt(0)
	v_mul_f64 v[36:37], v[26:27], v[8:9]
	v_mul_f64 v[8:9], v[28:29], v[8:9]
	s_delay_alu instid0(VALU_DEP_4) | instskip(NEXT) | instid1(VALU_DEP_4)
	v_fma_f64 v[22:23], v[22:23], v[2:3], -v[34:35]
	v_fma_f64 v[24:25], v[24:25], v[2:3], v[4:5]
	ds_load_b128 v[2:5], v1 offset:1856
	v_fma_f64 v[28:29], v[28:29], v[6:7], v[36:37]
	v_fma_f64 v[26:27], v[26:27], v[6:7], -v[8:9]
	ds_load_b128 v[6:9], v1 offset:1872
	s_waitcnt vmcnt(3) lgkmcnt(1)
	v_mul_f64 v[34:35], v[2:3], v[12:13]
	v_mul_f64 v[12:13], v[4:5], v[12:13]
	s_waitcnt vmcnt(2) lgkmcnt(0)
	v_mul_f64 v[36:37], v[6:7], v[16:17]
	s_delay_alu instid0(VALU_DEP_3) | instskip(NEXT) | instid1(VALU_DEP_3)
	v_fma_f64 v[34:35], v[4:5], v[10:11], v[34:35]
	v_fma_f64 v[38:39], v[2:3], v[10:11], -v[12:13]
	v_mul_f64 v[10:11], v[8:9], v[16:17]
	ds_load_b128 v[2:5], v1 offset:1888
	v_fma_f64 v[16:17], v[8:9], v[14:15], v[36:37]
	v_fma_f64 v[14:15], v[6:7], v[14:15], -v[10:11]
	ds_load_b128 v[6:9], v1 offset:1904
	s_waitcnt vmcnt(1) lgkmcnt(1)
	v_mul_f64 v[10:11], v[2:3], v[20:21]
	v_mul_f64 v[12:13], v[4:5], v[20:21]
	s_delay_alu instid0(VALU_DEP_2) | instskip(NEXT) | instid1(VALU_DEP_2)
	v_fma_f64 v[20:21], v[4:5], v[18:19], v[10:11]
	v_fma_f64 v[18:19], v[2:3], v[18:19], -v[12:13]
	s_clause 0x1
	scratch_load_b128 v[2:5], off, off offset:880
	scratch_load_b128 v[10:13], off, off offset:896
	s_waitcnt vmcnt(1) lgkmcnt(0)
	v_mul_f64 v[36:37], v[6:7], v[4:5]
	v_mul_f64 v[4:5], v[8:9], v[4:5]
	s_delay_alu instid0(VALU_DEP_2) | instskip(NEXT) | instid1(VALU_DEP_2)
	v_fma_f64 v[36:37], v[8:9], v[2:3], v[36:37]
	v_fma_f64 v[40:41], v[6:7], v[2:3], -v[4:5]
	ds_load_b128 v[2:5], v1 offset:1920
	ds_load_b128 v[6:9], v1 offset:1936
	s_waitcnt vmcnt(0) lgkmcnt(1)
	v_mul_f64 v[42:43], v[2:3], v[12:13]
	s_delay_alu instid0(VALU_DEP_1) | instskip(SKIP_1) | instid1(VALU_DEP_1)
	v_fma_f64 v[42:43], v[4:5], v[10:11], v[42:43]
	v_mul_f64 v[4:5], v[4:5], v[12:13]
	v_fma_f64 v[44:45], v[2:3], v[10:11], -v[4:5]
	s_clause 0x1
	scratch_load_b128 v[2:5], off, off offset:912
	scratch_load_b128 v[10:13], off, off offset:928
	s_waitcnt vmcnt(1) lgkmcnt(0)
	v_mul_f64 v[46:47], v[6:7], v[4:5]
	v_mul_f64 v[4:5], v[8:9], v[4:5]
	s_delay_alu instid0(VALU_DEP_2) | instskip(NEXT) | instid1(VALU_DEP_2)
	v_fma_f64 v[46:47], v[8:9], v[2:3], v[46:47]
	v_fma_f64 v[48:49], v[6:7], v[2:3], -v[4:5]
	ds_load_b128 v[2:5], v1 offset:1952
	ds_load_b128 v[6:9], v1 offset:1968
	s_waitcnt vmcnt(0) lgkmcnt(1)
	v_mul_f64 v[54:55], v[2:3], v[12:13]
	s_delay_alu instid0(VALU_DEP_1) | instskip(SKIP_1) | instid1(VALU_DEP_1)
	v_fma_f64 v[54:55], v[4:5], v[10:11], v[54:55]
	v_mul_f64 v[4:5], v[4:5], v[12:13]
	v_fma_f64 v[56:57], v[2:3], v[10:11], -v[4:5]
	s_clause 0x1
	scratch_load_b128 v[2:5], off, off offset:944
	scratch_load_b128 v[10:13], off, off offset:960
	s_waitcnt vmcnt(1) lgkmcnt(0)
	v_mul_f64 v[58:59], v[6:7], v[4:5]
	v_mul_f64 v[4:5], v[8:9], v[4:5]
	s_delay_alu instid0(VALU_DEP_2) | instskip(NEXT) | instid1(VALU_DEP_2)
	v_fma_f64 v[58:59], v[8:9], v[2:3], v[58:59]
	v_fma_f64 v[60:61], v[6:7], v[2:3], -v[4:5]
	ds_load_b128 v[2:5], v1 offset:1984
	ds_load_b128 v[6:9], v1 offset:2000
	s_waitcnt vmcnt(0) lgkmcnt(1)
	v_mul_f64 v[86:87], v[2:3], v[12:13]
	s_delay_alu instid0(VALU_DEP_1) | instskip(SKIP_1) | instid1(VALU_DEP_1)
	v_fma_f64 v[86:87], v[4:5], v[10:11], v[86:87]
	v_mul_f64 v[4:5], v[4:5], v[12:13]
	v_fma_f64 v[92:93], v[2:3], v[10:11], -v[4:5]
	v_add_f64 v[2:3], v[22:23], 0
	v_add_f64 v[4:5], v[24:25], 0
	s_delay_alu instid0(VALU_DEP_2) | instskip(NEXT) | instid1(VALU_DEP_2)
	v_add_f64 v[2:3], v[2:3], v[26:27]
	v_add_f64 v[4:5], v[4:5], v[28:29]
	s_delay_alu instid0(VALU_DEP_2) | instskip(NEXT) | instid1(VALU_DEP_2)
	v_add_f64 v[2:3], v[2:3], v[38:39]
	v_add_f64 v[4:5], v[4:5], v[34:35]
	s_delay_alu instid0(VALU_DEP_2) | instskip(NEXT) | instid1(VALU_DEP_2)
	v_add_f64 v[2:3], v[2:3], v[14:15]
	v_add_f64 v[4:5], v[4:5], v[16:17]
	s_delay_alu instid0(VALU_DEP_2) | instskip(NEXT) | instid1(VALU_DEP_2)
	v_add_f64 v[2:3], v[2:3], v[18:19]
	v_add_f64 v[10:11], v[4:5], v[20:21]
	s_delay_alu instid0(VALU_DEP_2)
	v_add_f64 v[12:13], v[2:3], v[40:41]
	scratch_load_b128 v[2:5], off, off offset:976
	v_add_f64 v[14:15], v[10:11], v[36:37]
	v_add_f64 v[16:17], v[12:13], v[44:45]
	scratch_load_b128 v[10:13], off, off offset:992
	v_add_f64 v[18:19], v[14:15], v[42:43]
	;; [unrolled: 3-line block ×3, first 2 shown]
	v_add_f64 v[20:21], v[20:21], v[56:57]
	s_delay_alu instid0(VALU_DEP_2) | instskip(NEXT) | instid1(VALU_DEP_2)
	v_add_f64 v[18:19], v[18:19], v[54:55]
	v_add_f64 v[28:29], v[20:21], v[60:61]
	s_delay_alu instid0(VALU_DEP_2)
	v_add_f64 v[34:35], v[18:19], v[58:59]
	ds_load_b128 v[18:21], v1 offset:2016
	ds_load_b128 v[22:25], v1 offset:2032
	s_waitcnt vmcnt(2) lgkmcnt(2)
	v_mul_f64 v[26:27], v[6:7], v[4:5]
	v_mul_f64 v[4:5], v[8:9], v[4:5]
	s_waitcnt vmcnt(1) lgkmcnt(1)
	v_mul_f64 v[36:37], v[18:19], v[12:13]
	s_delay_alu instid0(VALU_DEP_3) | instskip(NEXT) | instid1(VALU_DEP_3)
	v_fma_f64 v[8:9], v[8:9], v[2:3], v[26:27]
	v_fma_f64 v[1:2], v[6:7], v[2:3], -v[4:5]
	v_mul_f64 v[3:4], v[20:21], v[12:13]
	v_add_f64 v[5:6], v[28:29], v[92:93]
	v_add_f64 v[12:13], v[34:35], v[86:87]
	s_waitcnt vmcnt(0) lgkmcnt(0)
	v_mul_f64 v[26:27], v[22:23], v[16:17]
	v_mul_f64 v[16:17], v[24:25], v[16:17]
	v_fma_f64 v[20:21], v[20:21], v[10:11], v[36:37]
	v_fma_f64 v[3:4], v[18:19], v[10:11], -v[3:4]
	v_add_f64 v[1:2], v[5:6], v[1:2]
	v_add_f64 v[5:6], v[12:13], v[8:9]
	v_fma_f64 v[7:8], v[24:25], v[14:15], v[26:27]
	v_fma_f64 v[9:10], v[22:23], v[14:15], -v[16:17]
	s_delay_alu instid0(VALU_DEP_4) | instskip(NEXT) | instid1(VALU_DEP_4)
	v_add_f64 v[1:2], v[1:2], v[3:4]
	v_add_f64 v[3:4], v[5:6], v[20:21]
	s_delay_alu instid0(VALU_DEP_2) | instskip(NEXT) | instid1(VALU_DEP_2)
	v_add_f64 v[1:2], v[1:2], v[9:10]
	v_add_f64 v[3:4], v[3:4], v[7:8]
	s_delay_alu instid0(VALU_DEP_2) | instskip(NEXT) | instid1(VALU_DEP_2)
	v_add_f64 v[1:2], v[30:31], -v[1:2]
	v_add_f64 v[3:4], v[32:33], -v[3:4]
	scratch_store_b128 off, v[1:4], off offset:784
	v_cmpx_lt_u32_e32 48, v178
	s_cbranch_execz .LBB127_312
; %bb.311:
	scratch_load_b32 v1, off, off offset:1080 ; 4-byte Folded Reload
	v_mov_b32_e32 v5, 0
	s_delay_alu instid0(VALU_DEP_1)
	v_mov_b32_e32 v6, v5
	v_mov_b32_e32 v7, v5
	;; [unrolled: 1-line block ×3, first 2 shown]
	s_waitcnt vmcnt(0)
	scratch_load_b128 v[1:4], v1, off
	scratch_store_b128 off, v[5:8], off offset:768
	s_waitcnt vmcnt(0)
	ds_store_b128 v255, v[1:4]
.LBB127_312:
	s_or_b32 exec_lo, exec_lo, s2
	s_waitcnt lgkmcnt(0)
	s_waitcnt_vscnt null, 0x0
	s_barrier
	buffer_gl0_inv
	s_clause 0x4
	scratch_load_b128 v[2:5], off, off offset:784
	scratch_load_b128 v[6:9], off, off offset:800
	;; [unrolled: 1-line block ×5, first 2 shown]
	v_mov_b32_e32 v1, 0
	scratch_load_b128 v[26:29], off, off offset:768
	s_mov_b32 s2, exec_lo
	ds_load_b128 v[22:25], v1 offset:1808
	ds_load_b128 v[30:33], v1 offset:1824
	s_waitcnt vmcnt(5) lgkmcnt(1)
	v_mul_f64 v[34:35], v[24:25], v[4:5]
	v_mul_f64 v[4:5], v[22:23], v[4:5]
	s_waitcnt vmcnt(4) lgkmcnt(0)
	v_mul_f64 v[36:37], v[30:31], v[8:9]
	v_mul_f64 v[8:9], v[32:33], v[8:9]
	s_delay_alu instid0(VALU_DEP_4) | instskip(NEXT) | instid1(VALU_DEP_4)
	v_fma_f64 v[22:23], v[22:23], v[2:3], -v[34:35]
	v_fma_f64 v[24:25], v[24:25], v[2:3], v[4:5]
	ds_load_b128 v[2:5], v1 offset:1840
	v_fma_f64 v[32:33], v[32:33], v[6:7], v[36:37]
	v_fma_f64 v[30:31], v[30:31], v[6:7], -v[8:9]
	ds_load_b128 v[6:9], v1 offset:1856
	s_waitcnt vmcnt(3) lgkmcnt(1)
	v_mul_f64 v[34:35], v[2:3], v[12:13]
	v_mul_f64 v[12:13], v[4:5], v[12:13]
	s_waitcnt vmcnt(2) lgkmcnt(0)
	v_mul_f64 v[36:37], v[6:7], v[16:17]
	s_delay_alu instid0(VALU_DEP_3) | instskip(NEXT) | instid1(VALU_DEP_3)
	v_fma_f64 v[34:35], v[4:5], v[10:11], v[34:35]
	v_fma_f64 v[38:39], v[2:3], v[10:11], -v[12:13]
	v_mul_f64 v[10:11], v[8:9], v[16:17]
	ds_load_b128 v[2:5], v1 offset:1872
	v_fma_f64 v[16:17], v[8:9], v[14:15], v[36:37]
	v_fma_f64 v[14:15], v[6:7], v[14:15], -v[10:11]
	ds_load_b128 v[6:9], v1 offset:1888
	s_waitcnt vmcnt(1) lgkmcnt(1)
	v_mul_f64 v[10:11], v[2:3], v[20:21]
	v_mul_f64 v[12:13], v[4:5], v[20:21]
	s_delay_alu instid0(VALU_DEP_2) | instskip(NEXT) | instid1(VALU_DEP_2)
	v_fma_f64 v[20:21], v[4:5], v[18:19], v[10:11]
	v_fma_f64 v[18:19], v[2:3], v[18:19], -v[12:13]
	s_clause 0x1
	scratch_load_b128 v[2:5], off, off offset:864
	scratch_load_b128 v[10:13], off, off offset:880
	s_waitcnt vmcnt(1) lgkmcnt(0)
	v_mul_f64 v[36:37], v[6:7], v[4:5]
	v_mul_f64 v[4:5], v[8:9], v[4:5]
	s_delay_alu instid0(VALU_DEP_2) | instskip(NEXT) | instid1(VALU_DEP_2)
	v_fma_f64 v[36:37], v[8:9], v[2:3], v[36:37]
	v_fma_f64 v[40:41], v[6:7], v[2:3], -v[4:5]
	ds_load_b128 v[2:5], v1 offset:1904
	ds_load_b128 v[6:9], v1 offset:1920
	s_waitcnt vmcnt(0) lgkmcnt(1)
	v_mul_f64 v[42:43], v[2:3], v[12:13]
	s_delay_alu instid0(VALU_DEP_1) | instskip(SKIP_1) | instid1(VALU_DEP_1)
	v_fma_f64 v[42:43], v[4:5], v[10:11], v[42:43]
	v_mul_f64 v[4:5], v[4:5], v[12:13]
	v_fma_f64 v[44:45], v[2:3], v[10:11], -v[4:5]
	s_clause 0x1
	scratch_load_b128 v[2:5], off, off offset:896
	scratch_load_b128 v[10:13], off, off offset:912
	s_waitcnt vmcnt(1) lgkmcnt(0)
	v_mul_f64 v[46:47], v[6:7], v[4:5]
	v_mul_f64 v[4:5], v[8:9], v[4:5]
	s_delay_alu instid0(VALU_DEP_2) | instskip(NEXT) | instid1(VALU_DEP_2)
	v_fma_f64 v[46:47], v[8:9], v[2:3], v[46:47]
	v_fma_f64 v[48:49], v[6:7], v[2:3], -v[4:5]
	ds_load_b128 v[2:5], v1 offset:1936
	ds_load_b128 v[6:9], v1 offset:1952
	s_waitcnt vmcnt(0) lgkmcnt(1)
	v_mul_f64 v[54:55], v[2:3], v[12:13]
	s_delay_alu instid0(VALU_DEP_1) | instskip(SKIP_1) | instid1(VALU_DEP_1)
	v_fma_f64 v[54:55], v[4:5], v[10:11], v[54:55]
	v_mul_f64 v[4:5], v[4:5], v[12:13]
	;; [unrolled: 17-line block ×3, first 2 shown]
	v_fma_f64 v[92:93], v[2:3], v[10:11], -v[4:5]
	v_add_f64 v[2:3], v[22:23], 0
	v_add_f64 v[4:5], v[24:25], 0
	s_delay_alu instid0(VALU_DEP_2) | instskip(NEXT) | instid1(VALU_DEP_2)
	v_add_f64 v[2:3], v[2:3], v[30:31]
	v_add_f64 v[4:5], v[4:5], v[32:33]
	s_delay_alu instid0(VALU_DEP_2) | instskip(NEXT) | instid1(VALU_DEP_2)
	;; [unrolled: 3-line block ×4, first 2 shown]
	v_add_f64 v[2:3], v[2:3], v[18:19]
	v_add_f64 v[10:11], v[4:5], v[20:21]
	s_delay_alu instid0(VALU_DEP_2)
	v_add_f64 v[12:13], v[2:3], v[40:41]
	scratch_load_b128 v[2:5], off, off offset:960
	v_add_f64 v[14:15], v[10:11], v[36:37]
	v_add_f64 v[16:17], v[12:13], v[44:45]
	scratch_load_b128 v[10:13], off, off offset:976
	v_add_f64 v[18:19], v[14:15], v[42:43]
	;; [unrolled: 3-line block ×4, first 2 shown]
	v_add_f64 v[24:25], v[24:25], v[60:61]
	s_delay_alu instid0(VALU_DEP_2) | instskip(NEXT) | instid1(VALU_DEP_2)
	v_add_f64 v[22:23], v[22:23], v[58:59]
	v_add_f64 v[24:25], v[24:25], v[92:93]
	s_delay_alu instid0(VALU_DEP_2) | instskip(SKIP_3) | instid1(VALU_DEP_2)
	v_add_f64 v[22:23], v[22:23], v[86:87]
	s_waitcnt vmcnt(3) lgkmcnt(0)
	v_mul_f64 v[30:31], v[6:7], v[4:5]
	v_mul_f64 v[4:5], v[8:9], v[4:5]
	v_fma_f64 v[30:31], v[8:9], v[2:3], v[30:31]
	s_delay_alu instid0(VALU_DEP_2)
	v_fma_f64 v[32:33], v[6:7], v[2:3], -v[4:5]
	ds_load_b128 v[2:5], v1 offset:2000
	ds_load_b128 v[6:9], v1 offset:2016
	s_waitcnt vmcnt(2) lgkmcnt(1)
	v_mul_f64 v[34:35], v[2:3], v[12:13]
	v_mul_f64 v[12:13], v[4:5], v[12:13]
	s_waitcnt vmcnt(1) lgkmcnt(0)
	v_mul_f64 v[36:37], v[6:7], v[16:17]
	v_add_f64 v[22:23], v[22:23], v[30:31]
	s_delay_alu instid0(VALU_DEP_4) | instskip(NEXT) | instid1(VALU_DEP_4)
	v_fma_f64 v[34:35], v[4:5], v[10:11], v[34:35]
	v_fma_f64 v[10:11], v[2:3], v[10:11], -v[12:13]
	v_mul_f64 v[12:13], v[8:9], v[16:17]
	v_add_f64 v[16:17], v[24:25], v[32:33]
	ds_load_b128 v[2:5], v1 offset:2032
	v_fma_f64 v[8:9], v[8:9], v[14:15], v[36:37]
	s_waitcnt vmcnt(0) lgkmcnt(0)
	v_mul_f64 v[24:25], v[2:3], v[20:21]
	v_mul_f64 v[20:21], v[4:5], v[20:21]
	v_fma_f64 v[6:7], v[6:7], v[14:15], -v[12:13]
	v_add_f64 v[10:11], v[16:17], v[10:11]
	v_add_f64 v[12:13], v[22:23], v[34:35]
	v_fma_f64 v[4:5], v[4:5], v[18:19], v[24:25]
	v_fma_f64 v[2:3], v[2:3], v[18:19], -v[20:21]
	s_delay_alu instid0(VALU_DEP_4) | instskip(NEXT) | instid1(VALU_DEP_4)
	v_add_f64 v[6:7], v[10:11], v[6:7]
	v_add_f64 v[8:9], v[12:13], v[8:9]
	s_delay_alu instid0(VALU_DEP_2) | instskip(NEXT) | instid1(VALU_DEP_2)
	v_add_f64 v[2:3], v[6:7], v[2:3]
	v_add_f64 v[4:5], v[8:9], v[4:5]
	s_delay_alu instid0(VALU_DEP_2) | instskip(NEXT) | instid1(VALU_DEP_2)
	v_add_f64 v[2:3], v[26:27], -v[2:3]
	v_add_f64 v[4:5], v[28:29], -v[4:5]
	scratch_store_b128 off, v[2:5], off offset:768
	v_cmpx_lt_u32_e32 47, v178
	s_cbranch_execz .LBB127_314
; %bb.313:
	scratch_load_b32 v2, off, off offset:1084 ; 4-byte Folded Reload
	v_mov_b32_e32 v3, v1
	v_mov_b32_e32 v4, v1
	s_waitcnt vmcnt(0)
	scratch_load_b128 v[5:8], v2, off
	v_mov_b32_e32 v2, v1
	scratch_store_b128 off, v[1:4], off offset:752
	s_waitcnt vmcnt(0)
	ds_store_b128 v255, v[5:8]
.LBB127_314:
	s_or_b32 exec_lo, exec_lo, s2
	s_waitcnt lgkmcnt(0)
	s_waitcnt_vscnt null, 0x0
	s_barrier
	buffer_gl0_inv
	s_clause 0x4
	scratch_load_b128 v[2:5], off, off offset:768
	scratch_load_b128 v[6:9], off, off offset:784
	;; [unrolled: 1-line block ×5, first 2 shown]
	ds_load_b128 v[22:25], v1 offset:1792
	ds_load_b128 v[26:29], v1 offset:1808
	scratch_load_b128 v[30:33], off, off offset:752
	s_mov_b32 s2, exec_lo
	s_waitcnt vmcnt(5) lgkmcnt(1)
	v_mul_f64 v[34:35], v[24:25], v[4:5]
	v_mul_f64 v[4:5], v[22:23], v[4:5]
	s_waitcnt vmcnt(4) lgkmcnt(0)
	v_mul_f64 v[36:37], v[26:27], v[8:9]
	v_mul_f64 v[8:9], v[28:29], v[8:9]
	s_delay_alu instid0(VALU_DEP_4) | instskip(NEXT) | instid1(VALU_DEP_4)
	v_fma_f64 v[22:23], v[22:23], v[2:3], -v[34:35]
	v_fma_f64 v[24:25], v[24:25], v[2:3], v[4:5]
	ds_load_b128 v[2:5], v1 offset:1824
	v_fma_f64 v[28:29], v[28:29], v[6:7], v[36:37]
	v_fma_f64 v[26:27], v[26:27], v[6:7], -v[8:9]
	ds_load_b128 v[6:9], v1 offset:1840
	s_waitcnt vmcnt(3) lgkmcnt(1)
	v_mul_f64 v[34:35], v[2:3], v[12:13]
	v_mul_f64 v[12:13], v[4:5], v[12:13]
	s_waitcnt vmcnt(2) lgkmcnt(0)
	v_mul_f64 v[36:37], v[6:7], v[16:17]
	s_delay_alu instid0(VALU_DEP_3) | instskip(NEXT) | instid1(VALU_DEP_3)
	v_fma_f64 v[34:35], v[4:5], v[10:11], v[34:35]
	v_fma_f64 v[38:39], v[2:3], v[10:11], -v[12:13]
	v_mul_f64 v[10:11], v[8:9], v[16:17]
	ds_load_b128 v[2:5], v1 offset:1856
	v_fma_f64 v[16:17], v[8:9], v[14:15], v[36:37]
	v_fma_f64 v[14:15], v[6:7], v[14:15], -v[10:11]
	ds_load_b128 v[6:9], v1 offset:1872
	s_waitcnt vmcnt(1) lgkmcnt(1)
	v_mul_f64 v[10:11], v[2:3], v[20:21]
	v_mul_f64 v[12:13], v[4:5], v[20:21]
	s_delay_alu instid0(VALU_DEP_2) | instskip(NEXT) | instid1(VALU_DEP_2)
	v_fma_f64 v[20:21], v[4:5], v[18:19], v[10:11]
	v_fma_f64 v[18:19], v[2:3], v[18:19], -v[12:13]
	s_clause 0x1
	scratch_load_b128 v[2:5], off, off offset:848
	scratch_load_b128 v[10:13], off, off offset:864
	s_waitcnt vmcnt(1) lgkmcnt(0)
	v_mul_f64 v[36:37], v[6:7], v[4:5]
	v_mul_f64 v[4:5], v[8:9], v[4:5]
	s_delay_alu instid0(VALU_DEP_2) | instskip(NEXT) | instid1(VALU_DEP_2)
	v_fma_f64 v[36:37], v[8:9], v[2:3], v[36:37]
	v_fma_f64 v[40:41], v[6:7], v[2:3], -v[4:5]
	ds_load_b128 v[2:5], v1 offset:1888
	ds_load_b128 v[6:9], v1 offset:1904
	s_waitcnt vmcnt(0) lgkmcnt(1)
	v_mul_f64 v[42:43], v[2:3], v[12:13]
	s_delay_alu instid0(VALU_DEP_1) | instskip(SKIP_1) | instid1(VALU_DEP_1)
	v_fma_f64 v[42:43], v[4:5], v[10:11], v[42:43]
	v_mul_f64 v[4:5], v[4:5], v[12:13]
	v_fma_f64 v[44:45], v[2:3], v[10:11], -v[4:5]
	s_clause 0x1
	scratch_load_b128 v[2:5], off, off offset:880
	scratch_load_b128 v[10:13], off, off offset:896
	s_waitcnt vmcnt(1) lgkmcnt(0)
	v_mul_f64 v[46:47], v[6:7], v[4:5]
	v_mul_f64 v[4:5], v[8:9], v[4:5]
	s_delay_alu instid0(VALU_DEP_2) | instskip(NEXT) | instid1(VALU_DEP_2)
	v_fma_f64 v[46:47], v[8:9], v[2:3], v[46:47]
	v_fma_f64 v[48:49], v[6:7], v[2:3], -v[4:5]
	ds_load_b128 v[2:5], v1 offset:1920
	ds_load_b128 v[6:9], v1 offset:1936
	s_waitcnt vmcnt(0) lgkmcnt(1)
	v_mul_f64 v[54:55], v[2:3], v[12:13]
	s_delay_alu instid0(VALU_DEP_1) | instskip(SKIP_1) | instid1(VALU_DEP_1)
	v_fma_f64 v[54:55], v[4:5], v[10:11], v[54:55]
	v_mul_f64 v[4:5], v[4:5], v[12:13]
	;; [unrolled: 17-line block ×4, first 2 shown]
	v_fma_f64 v[100:101], v[2:3], v[10:11], -v[4:5]
	v_add_f64 v[2:3], v[22:23], 0
	v_add_f64 v[4:5], v[24:25], 0
	s_delay_alu instid0(VALU_DEP_2) | instskip(NEXT) | instid1(VALU_DEP_2)
	v_add_f64 v[2:3], v[2:3], v[26:27]
	v_add_f64 v[4:5], v[4:5], v[28:29]
	s_delay_alu instid0(VALU_DEP_2) | instskip(NEXT) | instid1(VALU_DEP_2)
	;; [unrolled: 3-line block ×6, first 2 shown]
	v_add_f64 v[2:3], v[2:3], v[44:45]
	v_add_f64 v[10:11], v[4:5], v[42:43]
	s_delay_alu instid0(VALU_DEP_2)
	v_add_f64 v[12:13], v[2:3], v[48:49]
	scratch_load_b128 v[2:5], off, off offset:976
	v_add_f64 v[14:15], v[10:11], v[46:47]
	v_add_f64 v[16:17], v[12:13], v[56:57]
	scratch_load_b128 v[10:13], off, off offset:992
	v_add_f64 v[18:19], v[14:15], v[54:55]
	;; [unrolled: 3-line block ×3, first 2 shown]
	v_add_f64 v[20:21], v[20:21], v[92:93]
	s_delay_alu instid0(VALU_DEP_2) | instskip(NEXT) | instid1(VALU_DEP_2)
	v_add_f64 v[18:19], v[18:19], v[86:87]
	v_add_f64 v[28:29], v[20:21], v[96:97]
	s_delay_alu instid0(VALU_DEP_2)
	v_add_f64 v[34:35], v[18:19], v[94:95]
	ds_load_b128 v[18:21], v1 offset:2016
	ds_load_b128 v[22:25], v1 offset:2032
	s_waitcnt vmcnt(2) lgkmcnt(2)
	v_mul_f64 v[26:27], v[6:7], v[4:5]
	v_mul_f64 v[4:5], v[8:9], v[4:5]
	s_waitcnt vmcnt(1) lgkmcnt(1)
	v_mul_f64 v[36:37], v[18:19], v[12:13]
	s_delay_alu instid0(VALU_DEP_3) | instskip(NEXT) | instid1(VALU_DEP_3)
	v_fma_f64 v[8:9], v[8:9], v[2:3], v[26:27]
	v_fma_f64 v[1:2], v[6:7], v[2:3], -v[4:5]
	v_mul_f64 v[3:4], v[20:21], v[12:13]
	v_add_f64 v[5:6], v[28:29], v[100:101]
	v_add_f64 v[12:13], v[34:35], v[98:99]
	s_waitcnt vmcnt(0) lgkmcnt(0)
	v_mul_f64 v[26:27], v[22:23], v[16:17]
	v_mul_f64 v[16:17], v[24:25], v[16:17]
	v_fma_f64 v[20:21], v[20:21], v[10:11], v[36:37]
	v_fma_f64 v[3:4], v[18:19], v[10:11], -v[3:4]
	v_add_f64 v[1:2], v[5:6], v[1:2]
	v_add_f64 v[5:6], v[12:13], v[8:9]
	v_fma_f64 v[7:8], v[24:25], v[14:15], v[26:27]
	v_fma_f64 v[9:10], v[22:23], v[14:15], -v[16:17]
	s_delay_alu instid0(VALU_DEP_4) | instskip(NEXT) | instid1(VALU_DEP_4)
	v_add_f64 v[1:2], v[1:2], v[3:4]
	v_add_f64 v[3:4], v[5:6], v[20:21]
	s_delay_alu instid0(VALU_DEP_2) | instskip(NEXT) | instid1(VALU_DEP_2)
	v_add_f64 v[1:2], v[1:2], v[9:10]
	v_add_f64 v[3:4], v[3:4], v[7:8]
	s_delay_alu instid0(VALU_DEP_2) | instskip(NEXT) | instid1(VALU_DEP_2)
	v_add_f64 v[1:2], v[30:31], -v[1:2]
	v_add_f64 v[3:4], v[32:33], -v[3:4]
	scratch_store_b128 off, v[1:4], off offset:752
	v_cmpx_lt_u32_e32 46, v178
	s_cbranch_execz .LBB127_316
; %bb.315:
	scratch_load_b32 v1, off, off offset:1088 ; 4-byte Folded Reload
	v_mov_b32_e32 v5, 0
	s_delay_alu instid0(VALU_DEP_1)
	v_mov_b32_e32 v6, v5
	v_mov_b32_e32 v7, v5
	;; [unrolled: 1-line block ×3, first 2 shown]
	s_waitcnt vmcnt(0)
	scratch_load_b128 v[1:4], v1, off
	scratch_store_b128 off, v[5:8], off offset:736
	s_waitcnt vmcnt(0)
	ds_store_b128 v255, v[1:4]
.LBB127_316:
	s_or_b32 exec_lo, exec_lo, s2
	s_waitcnt lgkmcnt(0)
	s_waitcnt_vscnt null, 0x0
	s_barrier
	buffer_gl0_inv
	s_clause 0x4
	scratch_load_b128 v[2:5], off, off offset:752
	scratch_load_b128 v[6:9], off, off offset:768
	;; [unrolled: 1-line block ×5, first 2 shown]
	v_mov_b32_e32 v1, 0
	scratch_load_b128 v[26:29], off, off offset:736
	s_mov_b32 s2, exec_lo
	ds_load_b128 v[22:25], v1 offset:1776
	ds_load_b128 v[30:33], v1 offset:1792
	s_waitcnt vmcnt(5) lgkmcnt(1)
	v_mul_f64 v[34:35], v[24:25], v[4:5]
	v_mul_f64 v[4:5], v[22:23], v[4:5]
	s_waitcnt vmcnt(4) lgkmcnt(0)
	v_mul_f64 v[36:37], v[30:31], v[8:9]
	v_mul_f64 v[8:9], v[32:33], v[8:9]
	s_delay_alu instid0(VALU_DEP_4) | instskip(NEXT) | instid1(VALU_DEP_4)
	v_fma_f64 v[22:23], v[22:23], v[2:3], -v[34:35]
	v_fma_f64 v[24:25], v[24:25], v[2:3], v[4:5]
	ds_load_b128 v[2:5], v1 offset:1808
	v_fma_f64 v[32:33], v[32:33], v[6:7], v[36:37]
	v_fma_f64 v[30:31], v[30:31], v[6:7], -v[8:9]
	ds_load_b128 v[6:9], v1 offset:1824
	s_waitcnt vmcnt(3) lgkmcnt(1)
	v_mul_f64 v[34:35], v[2:3], v[12:13]
	v_mul_f64 v[12:13], v[4:5], v[12:13]
	s_waitcnt vmcnt(2) lgkmcnt(0)
	v_mul_f64 v[36:37], v[6:7], v[16:17]
	s_delay_alu instid0(VALU_DEP_3) | instskip(NEXT) | instid1(VALU_DEP_3)
	v_fma_f64 v[34:35], v[4:5], v[10:11], v[34:35]
	v_fma_f64 v[38:39], v[2:3], v[10:11], -v[12:13]
	v_mul_f64 v[10:11], v[8:9], v[16:17]
	ds_load_b128 v[2:5], v1 offset:1840
	v_fma_f64 v[16:17], v[8:9], v[14:15], v[36:37]
	v_fma_f64 v[14:15], v[6:7], v[14:15], -v[10:11]
	ds_load_b128 v[6:9], v1 offset:1856
	s_waitcnt vmcnt(1) lgkmcnt(1)
	v_mul_f64 v[10:11], v[2:3], v[20:21]
	v_mul_f64 v[12:13], v[4:5], v[20:21]
	s_delay_alu instid0(VALU_DEP_2) | instskip(NEXT) | instid1(VALU_DEP_2)
	v_fma_f64 v[20:21], v[4:5], v[18:19], v[10:11]
	v_fma_f64 v[18:19], v[2:3], v[18:19], -v[12:13]
	s_clause 0x1
	scratch_load_b128 v[2:5], off, off offset:832
	scratch_load_b128 v[10:13], off, off offset:848
	s_waitcnt vmcnt(1) lgkmcnt(0)
	v_mul_f64 v[36:37], v[6:7], v[4:5]
	v_mul_f64 v[4:5], v[8:9], v[4:5]
	s_delay_alu instid0(VALU_DEP_2) | instskip(NEXT) | instid1(VALU_DEP_2)
	v_fma_f64 v[36:37], v[8:9], v[2:3], v[36:37]
	v_fma_f64 v[40:41], v[6:7], v[2:3], -v[4:5]
	ds_load_b128 v[2:5], v1 offset:1872
	ds_load_b128 v[6:9], v1 offset:1888
	s_waitcnt vmcnt(0) lgkmcnt(1)
	v_mul_f64 v[42:43], v[2:3], v[12:13]
	s_delay_alu instid0(VALU_DEP_1) | instskip(SKIP_1) | instid1(VALU_DEP_1)
	v_fma_f64 v[42:43], v[4:5], v[10:11], v[42:43]
	v_mul_f64 v[4:5], v[4:5], v[12:13]
	v_fma_f64 v[44:45], v[2:3], v[10:11], -v[4:5]
	s_clause 0x1
	scratch_load_b128 v[2:5], off, off offset:864
	scratch_load_b128 v[10:13], off, off offset:880
	s_waitcnt vmcnt(1) lgkmcnt(0)
	v_mul_f64 v[46:47], v[6:7], v[4:5]
	v_mul_f64 v[4:5], v[8:9], v[4:5]
	s_delay_alu instid0(VALU_DEP_2) | instskip(NEXT) | instid1(VALU_DEP_2)
	v_fma_f64 v[46:47], v[8:9], v[2:3], v[46:47]
	v_fma_f64 v[48:49], v[6:7], v[2:3], -v[4:5]
	ds_load_b128 v[2:5], v1 offset:1904
	ds_load_b128 v[6:9], v1 offset:1920
	s_waitcnt vmcnt(0) lgkmcnt(1)
	v_mul_f64 v[54:55], v[2:3], v[12:13]
	s_delay_alu instid0(VALU_DEP_1) | instskip(SKIP_1) | instid1(VALU_DEP_1)
	v_fma_f64 v[54:55], v[4:5], v[10:11], v[54:55]
	v_mul_f64 v[4:5], v[4:5], v[12:13]
	;; [unrolled: 17-line block ×4, first 2 shown]
	v_fma_f64 v[100:101], v[2:3], v[10:11], -v[4:5]
	v_add_f64 v[2:3], v[22:23], 0
	v_add_f64 v[4:5], v[24:25], 0
	s_delay_alu instid0(VALU_DEP_2) | instskip(NEXT) | instid1(VALU_DEP_2)
	v_add_f64 v[2:3], v[2:3], v[30:31]
	v_add_f64 v[4:5], v[4:5], v[32:33]
	s_delay_alu instid0(VALU_DEP_2) | instskip(NEXT) | instid1(VALU_DEP_2)
	;; [unrolled: 3-line block ×6, first 2 shown]
	v_add_f64 v[2:3], v[2:3], v[44:45]
	v_add_f64 v[10:11], v[4:5], v[42:43]
	s_delay_alu instid0(VALU_DEP_2)
	v_add_f64 v[12:13], v[2:3], v[48:49]
	scratch_load_b128 v[2:5], off, off offset:960
	v_add_f64 v[14:15], v[10:11], v[46:47]
	v_add_f64 v[16:17], v[12:13], v[56:57]
	scratch_load_b128 v[10:13], off, off offset:976
	v_add_f64 v[18:19], v[14:15], v[54:55]
	;; [unrolled: 3-line block ×4, first 2 shown]
	v_add_f64 v[24:25], v[24:25], v[96:97]
	s_delay_alu instid0(VALU_DEP_2) | instskip(NEXT) | instid1(VALU_DEP_2)
	v_add_f64 v[22:23], v[22:23], v[94:95]
	v_add_f64 v[24:25], v[24:25], v[100:101]
	s_delay_alu instid0(VALU_DEP_2) | instskip(SKIP_3) | instid1(VALU_DEP_2)
	v_add_f64 v[22:23], v[22:23], v[98:99]
	s_waitcnt vmcnt(3) lgkmcnt(0)
	v_mul_f64 v[30:31], v[6:7], v[4:5]
	v_mul_f64 v[4:5], v[8:9], v[4:5]
	v_fma_f64 v[30:31], v[8:9], v[2:3], v[30:31]
	s_delay_alu instid0(VALU_DEP_2)
	v_fma_f64 v[32:33], v[6:7], v[2:3], -v[4:5]
	ds_load_b128 v[2:5], v1 offset:2000
	ds_load_b128 v[6:9], v1 offset:2016
	s_waitcnt vmcnt(2) lgkmcnt(1)
	v_mul_f64 v[34:35], v[2:3], v[12:13]
	v_mul_f64 v[12:13], v[4:5], v[12:13]
	s_waitcnt vmcnt(1) lgkmcnt(0)
	v_mul_f64 v[36:37], v[6:7], v[16:17]
	v_add_f64 v[22:23], v[22:23], v[30:31]
	s_delay_alu instid0(VALU_DEP_4) | instskip(NEXT) | instid1(VALU_DEP_4)
	v_fma_f64 v[34:35], v[4:5], v[10:11], v[34:35]
	v_fma_f64 v[10:11], v[2:3], v[10:11], -v[12:13]
	v_mul_f64 v[12:13], v[8:9], v[16:17]
	v_add_f64 v[16:17], v[24:25], v[32:33]
	ds_load_b128 v[2:5], v1 offset:2032
	v_fma_f64 v[8:9], v[8:9], v[14:15], v[36:37]
	s_waitcnt vmcnt(0) lgkmcnt(0)
	v_mul_f64 v[24:25], v[2:3], v[20:21]
	v_mul_f64 v[20:21], v[4:5], v[20:21]
	v_fma_f64 v[6:7], v[6:7], v[14:15], -v[12:13]
	v_add_f64 v[10:11], v[16:17], v[10:11]
	v_add_f64 v[12:13], v[22:23], v[34:35]
	v_fma_f64 v[4:5], v[4:5], v[18:19], v[24:25]
	v_fma_f64 v[2:3], v[2:3], v[18:19], -v[20:21]
	s_delay_alu instid0(VALU_DEP_4) | instskip(NEXT) | instid1(VALU_DEP_4)
	v_add_f64 v[6:7], v[10:11], v[6:7]
	v_add_f64 v[8:9], v[12:13], v[8:9]
	s_delay_alu instid0(VALU_DEP_2) | instskip(NEXT) | instid1(VALU_DEP_2)
	v_add_f64 v[2:3], v[6:7], v[2:3]
	v_add_f64 v[4:5], v[8:9], v[4:5]
	s_delay_alu instid0(VALU_DEP_2) | instskip(NEXT) | instid1(VALU_DEP_2)
	v_add_f64 v[2:3], v[26:27], -v[2:3]
	v_add_f64 v[4:5], v[28:29], -v[4:5]
	scratch_store_b128 off, v[2:5], off offset:736
	v_cmpx_lt_u32_e32 45, v178
	s_cbranch_execz .LBB127_318
; %bb.317:
	scratch_load_b32 v2, off, off offset:1092 ; 4-byte Folded Reload
	v_mov_b32_e32 v3, v1
	v_mov_b32_e32 v4, v1
	s_waitcnt vmcnt(0)
	scratch_load_b128 v[5:8], v2, off
	v_mov_b32_e32 v2, v1
	scratch_store_b128 off, v[1:4], off offset:720
	s_waitcnt vmcnt(0)
	ds_store_b128 v255, v[5:8]
.LBB127_318:
	s_or_b32 exec_lo, exec_lo, s2
	s_waitcnt lgkmcnt(0)
	s_waitcnt_vscnt null, 0x0
	s_barrier
	buffer_gl0_inv
	s_clause 0x4
	scratch_load_b128 v[2:5], off, off offset:736
	scratch_load_b128 v[6:9], off, off offset:752
	;; [unrolled: 1-line block ×5, first 2 shown]
	ds_load_b128 v[22:25], v1 offset:1760
	ds_load_b128 v[26:29], v1 offset:1776
	scratch_load_b128 v[30:33], off, off offset:720
	s_mov_b32 s2, exec_lo
	s_waitcnt vmcnt(5) lgkmcnt(1)
	v_mul_f64 v[34:35], v[24:25], v[4:5]
	v_mul_f64 v[4:5], v[22:23], v[4:5]
	s_waitcnt vmcnt(4) lgkmcnt(0)
	v_mul_f64 v[36:37], v[26:27], v[8:9]
	v_mul_f64 v[8:9], v[28:29], v[8:9]
	s_delay_alu instid0(VALU_DEP_4) | instskip(NEXT) | instid1(VALU_DEP_4)
	v_fma_f64 v[22:23], v[22:23], v[2:3], -v[34:35]
	v_fma_f64 v[24:25], v[24:25], v[2:3], v[4:5]
	ds_load_b128 v[2:5], v1 offset:1792
	v_fma_f64 v[28:29], v[28:29], v[6:7], v[36:37]
	v_fma_f64 v[26:27], v[26:27], v[6:7], -v[8:9]
	ds_load_b128 v[6:9], v1 offset:1808
	s_waitcnt vmcnt(3) lgkmcnt(1)
	v_mul_f64 v[34:35], v[2:3], v[12:13]
	v_mul_f64 v[12:13], v[4:5], v[12:13]
	s_waitcnt vmcnt(2) lgkmcnt(0)
	v_mul_f64 v[36:37], v[6:7], v[16:17]
	s_delay_alu instid0(VALU_DEP_3) | instskip(NEXT) | instid1(VALU_DEP_3)
	v_fma_f64 v[34:35], v[4:5], v[10:11], v[34:35]
	v_fma_f64 v[38:39], v[2:3], v[10:11], -v[12:13]
	v_mul_f64 v[10:11], v[8:9], v[16:17]
	ds_load_b128 v[2:5], v1 offset:1824
	v_fma_f64 v[16:17], v[8:9], v[14:15], v[36:37]
	v_fma_f64 v[14:15], v[6:7], v[14:15], -v[10:11]
	ds_load_b128 v[6:9], v1 offset:1840
	s_waitcnt vmcnt(1) lgkmcnt(1)
	v_mul_f64 v[10:11], v[2:3], v[20:21]
	v_mul_f64 v[12:13], v[4:5], v[20:21]
	s_delay_alu instid0(VALU_DEP_2) | instskip(NEXT) | instid1(VALU_DEP_2)
	v_fma_f64 v[20:21], v[4:5], v[18:19], v[10:11]
	v_fma_f64 v[18:19], v[2:3], v[18:19], -v[12:13]
	s_clause 0x1
	scratch_load_b128 v[2:5], off, off offset:816
	scratch_load_b128 v[10:13], off, off offset:832
	s_waitcnt vmcnt(1) lgkmcnt(0)
	v_mul_f64 v[36:37], v[6:7], v[4:5]
	v_mul_f64 v[4:5], v[8:9], v[4:5]
	s_delay_alu instid0(VALU_DEP_2) | instskip(NEXT) | instid1(VALU_DEP_2)
	v_fma_f64 v[36:37], v[8:9], v[2:3], v[36:37]
	v_fma_f64 v[40:41], v[6:7], v[2:3], -v[4:5]
	ds_load_b128 v[2:5], v1 offset:1856
	ds_load_b128 v[6:9], v1 offset:1872
	s_waitcnt vmcnt(0) lgkmcnt(1)
	v_mul_f64 v[42:43], v[2:3], v[12:13]
	s_delay_alu instid0(VALU_DEP_1) | instskip(SKIP_1) | instid1(VALU_DEP_1)
	v_fma_f64 v[42:43], v[4:5], v[10:11], v[42:43]
	v_mul_f64 v[4:5], v[4:5], v[12:13]
	v_fma_f64 v[44:45], v[2:3], v[10:11], -v[4:5]
	s_clause 0x1
	scratch_load_b128 v[2:5], off, off offset:848
	scratch_load_b128 v[10:13], off, off offset:864
	s_waitcnt vmcnt(1) lgkmcnt(0)
	v_mul_f64 v[46:47], v[6:7], v[4:5]
	v_mul_f64 v[4:5], v[8:9], v[4:5]
	s_delay_alu instid0(VALU_DEP_2) | instskip(NEXT) | instid1(VALU_DEP_2)
	v_fma_f64 v[46:47], v[8:9], v[2:3], v[46:47]
	v_fma_f64 v[48:49], v[6:7], v[2:3], -v[4:5]
	ds_load_b128 v[2:5], v1 offset:1888
	ds_load_b128 v[6:9], v1 offset:1904
	s_waitcnt vmcnt(0) lgkmcnt(1)
	v_mul_f64 v[54:55], v[2:3], v[12:13]
	s_delay_alu instid0(VALU_DEP_1) | instskip(SKIP_1) | instid1(VALU_DEP_1)
	v_fma_f64 v[54:55], v[4:5], v[10:11], v[54:55]
	v_mul_f64 v[4:5], v[4:5], v[12:13]
	;; [unrolled: 17-line block ×5, first 2 shown]
	v_fma_f64 v[181:182], v[2:3], v[10:11], -v[4:5]
	v_add_f64 v[2:3], v[22:23], 0
	v_add_f64 v[4:5], v[24:25], 0
	s_delay_alu instid0(VALU_DEP_2) | instskip(NEXT) | instid1(VALU_DEP_2)
	v_add_f64 v[2:3], v[2:3], v[26:27]
	v_add_f64 v[4:5], v[4:5], v[28:29]
	s_delay_alu instid0(VALU_DEP_2) | instskip(NEXT) | instid1(VALU_DEP_2)
	;; [unrolled: 3-line block ×8, first 2 shown]
	v_add_f64 v[2:3], v[2:3], v[56:57]
	v_add_f64 v[10:11], v[4:5], v[54:55]
	s_delay_alu instid0(VALU_DEP_2)
	v_add_f64 v[12:13], v[2:3], v[60:61]
	scratch_load_b128 v[2:5], off, off offset:976
	v_add_f64 v[14:15], v[10:11], v[58:59]
	v_add_f64 v[16:17], v[12:13], v[92:93]
	scratch_load_b128 v[10:13], off, off offset:992
	v_add_f64 v[18:19], v[14:15], v[86:87]
	v_add_f64 v[20:21], v[16:17], v[96:97]
	scratch_load_b128 v[14:17], off, off offset:1008
	v_add_f64 v[18:19], v[18:19], v[94:95]
	v_add_f64 v[20:21], v[20:21], v[100:101]
	s_delay_alu instid0(VALU_DEP_2) | instskip(NEXT) | instid1(VALU_DEP_2)
	v_add_f64 v[18:19], v[18:19], v[98:99]
	v_add_f64 v[28:29], v[20:21], v[104:105]
	s_delay_alu instid0(VALU_DEP_2)
	v_add_f64 v[34:35], v[18:19], v[102:103]
	ds_load_b128 v[18:21], v1 offset:2016
	ds_load_b128 v[22:25], v1 offset:2032
	s_waitcnt vmcnt(2) lgkmcnt(2)
	v_mul_f64 v[26:27], v[6:7], v[4:5]
	v_mul_f64 v[4:5], v[8:9], v[4:5]
	s_waitcnt vmcnt(1) lgkmcnt(1)
	v_mul_f64 v[36:37], v[18:19], v[12:13]
	s_delay_alu instid0(VALU_DEP_3) | instskip(NEXT) | instid1(VALU_DEP_3)
	v_fma_f64 v[8:9], v[8:9], v[2:3], v[26:27]
	v_fma_f64 v[1:2], v[6:7], v[2:3], -v[4:5]
	v_mul_f64 v[3:4], v[20:21], v[12:13]
	v_add_f64 v[5:6], v[28:29], v[181:182]
	v_add_f64 v[12:13], v[34:35], v[179:180]
	s_waitcnt vmcnt(0) lgkmcnt(0)
	v_mul_f64 v[26:27], v[22:23], v[16:17]
	v_mul_f64 v[16:17], v[24:25], v[16:17]
	v_fma_f64 v[20:21], v[20:21], v[10:11], v[36:37]
	v_fma_f64 v[3:4], v[18:19], v[10:11], -v[3:4]
	v_add_f64 v[1:2], v[5:6], v[1:2]
	v_add_f64 v[5:6], v[12:13], v[8:9]
	v_fma_f64 v[7:8], v[24:25], v[14:15], v[26:27]
	v_fma_f64 v[9:10], v[22:23], v[14:15], -v[16:17]
	s_delay_alu instid0(VALU_DEP_4) | instskip(NEXT) | instid1(VALU_DEP_4)
	v_add_f64 v[1:2], v[1:2], v[3:4]
	v_add_f64 v[3:4], v[5:6], v[20:21]
	s_delay_alu instid0(VALU_DEP_2) | instskip(NEXT) | instid1(VALU_DEP_2)
	v_add_f64 v[1:2], v[1:2], v[9:10]
	v_add_f64 v[3:4], v[3:4], v[7:8]
	s_delay_alu instid0(VALU_DEP_2) | instskip(NEXT) | instid1(VALU_DEP_2)
	v_add_f64 v[1:2], v[30:31], -v[1:2]
	v_add_f64 v[3:4], v[32:33], -v[3:4]
	scratch_store_b128 off, v[1:4], off offset:720
	v_cmpx_lt_u32_e32 44, v178
	s_cbranch_execz .LBB127_320
; %bb.319:
	scratch_load_b32 v1, off, off offset:1096 ; 4-byte Folded Reload
	v_mov_b32_e32 v5, 0
	s_delay_alu instid0(VALU_DEP_1)
	v_mov_b32_e32 v6, v5
	v_mov_b32_e32 v7, v5
	;; [unrolled: 1-line block ×3, first 2 shown]
	s_waitcnt vmcnt(0)
	scratch_load_b128 v[1:4], v1, off
	scratch_store_b128 off, v[5:8], off offset:704
	s_waitcnt vmcnt(0)
	ds_store_b128 v255, v[1:4]
.LBB127_320:
	s_or_b32 exec_lo, exec_lo, s2
	s_waitcnt lgkmcnt(0)
	s_waitcnt_vscnt null, 0x0
	s_barrier
	buffer_gl0_inv
	s_clause 0x4
	scratch_load_b128 v[2:5], off, off offset:720
	scratch_load_b128 v[6:9], off, off offset:736
	;; [unrolled: 1-line block ×5, first 2 shown]
	v_mov_b32_e32 v1, 0
	scratch_load_b128 v[26:29], off, off offset:704
	s_mov_b32 s2, exec_lo
	ds_load_b128 v[22:25], v1 offset:1744
	ds_load_b128 v[30:33], v1 offset:1760
	s_waitcnt vmcnt(5) lgkmcnt(1)
	v_mul_f64 v[34:35], v[24:25], v[4:5]
	v_mul_f64 v[4:5], v[22:23], v[4:5]
	s_waitcnt vmcnt(4) lgkmcnt(0)
	v_mul_f64 v[36:37], v[30:31], v[8:9]
	v_mul_f64 v[8:9], v[32:33], v[8:9]
	s_delay_alu instid0(VALU_DEP_4) | instskip(NEXT) | instid1(VALU_DEP_4)
	v_fma_f64 v[22:23], v[22:23], v[2:3], -v[34:35]
	v_fma_f64 v[24:25], v[24:25], v[2:3], v[4:5]
	ds_load_b128 v[2:5], v1 offset:1776
	v_fma_f64 v[32:33], v[32:33], v[6:7], v[36:37]
	v_fma_f64 v[30:31], v[30:31], v[6:7], -v[8:9]
	ds_load_b128 v[6:9], v1 offset:1792
	s_waitcnt vmcnt(3) lgkmcnt(1)
	v_mul_f64 v[34:35], v[2:3], v[12:13]
	v_mul_f64 v[12:13], v[4:5], v[12:13]
	s_waitcnt vmcnt(2) lgkmcnt(0)
	v_mul_f64 v[36:37], v[6:7], v[16:17]
	s_delay_alu instid0(VALU_DEP_3) | instskip(NEXT) | instid1(VALU_DEP_3)
	v_fma_f64 v[34:35], v[4:5], v[10:11], v[34:35]
	v_fma_f64 v[38:39], v[2:3], v[10:11], -v[12:13]
	v_mul_f64 v[10:11], v[8:9], v[16:17]
	ds_load_b128 v[2:5], v1 offset:1808
	v_fma_f64 v[16:17], v[8:9], v[14:15], v[36:37]
	v_fma_f64 v[14:15], v[6:7], v[14:15], -v[10:11]
	ds_load_b128 v[6:9], v1 offset:1824
	s_waitcnt vmcnt(1) lgkmcnt(1)
	v_mul_f64 v[10:11], v[2:3], v[20:21]
	v_mul_f64 v[12:13], v[4:5], v[20:21]
	s_delay_alu instid0(VALU_DEP_2) | instskip(NEXT) | instid1(VALU_DEP_2)
	v_fma_f64 v[20:21], v[4:5], v[18:19], v[10:11]
	v_fma_f64 v[18:19], v[2:3], v[18:19], -v[12:13]
	s_clause 0x1
	scratch_load_b128 v[2:5], off, off offset:800
	scratch_load_b128 v[10:13], off, off offset:816
	s_waitcnt vmcnt(1) lgkmcnt(0)
	v_mul_f64 v[36:37], v[6:7], v[4:5]
	v_mul_f64 v[4:5], v[8:9], v[4:5]
	s_delay_alu instid0(VALU_DEP_2) | instskip(NEXT) | instid1(VALU_DEP_2)
	v_fma_f64 v[36:37], v[8:9], v[2:3], v[36:37]
	v_fma_f64 v[40:41], v[6:7], v[2:3], -v[4:5]
	ds_load_b128 v[2:5], v1 offset:1840
	ds_load_b128 v[6:9], v1 offset:1856
	s_waitcnt vmcnt(0) lgkmcnt(1)
	v_mul_f64 v[42:43], v[2:3], v[12:13]
	s_delay_alu instid0(VALU_DEP_1) | instskip(SKIP_1) | instid1(VALU_DEP_1)
	v_fma_f64 v[42:43], v[4:5], v[10:11], v[42:43]
	v_mul_f64 v[4:5], v[4:5], v[12:13]
	v_fma_f64 v[44:45], v[2:3], v[10:11], -v[4:5]
	s_clause 0x1
	scratch_load_b128 v[2:5], off, off offset:832
	scratch_load_b128 v[10:13], off, off offset:848
	s_waitcnt vmcnt(1) lgkmcnt(0)
	v_mul_f64 v[46:47], v[6:7], v[4:5]
	v_mul_f64 v[4:5], v[8:9], v[4:5]
	s_delay_alu instid0(VALU_DEP_2) | instskip(NEXT) | instid1(VALU_DEP_2)
	v_fma_f64 v[46:47], v[8:9], v[2:3], v[46:47]
	v_fma_f64 v[48:49], v[6:7], v[2:3], -v[4:5]
	ds_load_b128 v[2:5], v1 offset:1872
	ds_load_b128 v[6:9], v1 offset:1888
	s_waitcnt vmcnt(0) lgkmcnt(1)
	v_mul_f64 v[54:55], v[2:3], v[12:13]
	s_delay_alu instid0(VALU_DEP_1) | instskip(SKIP_1) | instid1(VALU_DEP_1)
	v_fma_f64 v[54:55], v[4:5], v[10:11], v[54:55]
	v_mul_f64 v[4:5], v[4:5], v[12:13]
	v_fma_f64 v[56:57], v[2:3], v[10:11], -v[4:5]
	s_clause 0x1
	scratch_load_b128 v[2:5], off, off offset:864
	scratch_load_b128 v[10:13], off, off offset:880
	s_waitcnt vmcnt(1) lgkmcnt(0)
	v_mul_f64 v[58:59], v[6:7], v[4:5]
	v_mul_f64 v[4:5], v[8:9], v[4:5]
	s_delay_alu instid0(VALU_DEP_2) | instskip(NEXT) | instid1(VALU_DEP_2)
	v_fma_f64 v[58:59], v[8:9], v[2:3], v[58:59]
	v_fma_f64 v[60:61], v[6:7], v[2:3], -v[4:5]
	ds_load_b128 v[2:5], v1 offset:1904
	ds_load_b128 v[6:9], v1 offset:1920
	s_waitcnt vmcnt(0) lgkmcnt(1)
	v_mul_f64 v[86:87], v[2:3], v[12:13]
	s_delay_alu instid0(VALU_DEP_1) | instskip(SKIP_1) | instid1(VALU_DEP_1)
	v_fma_f64 v[86:87], v[4:5], v[10:11], v[86:87]
	v_mul_f64 v[4:5], v[4:5], v[12:13]
	v_fma_f64 v[92:93], v[2:3], v[10:11], -v[4:5]
	s_clause 0x1
	scratch_load_b128 v[2:5], off, off offset:896
	scratch_load_b128 v[10:13], off, off offset:912
	s_waitcnt vmcnt(1) lgkmcnt(0)
	v_mul_f64 v[94:95], v[6:7], v[4:5]
	v_mul_f64 v[4:5], v[8:9], v[4:5]
	s_delay_alu instid0(VALU_DEP_2) | instskip(NEXT) | instid1(VALU_DEP_2)
	v_fma_f64 v[94:95], v[8:9], v[2:3], v[94:95]
	v_fma_f64 v[96:97], v[6:7], v[2:3], -v[4:5]
	ds_load_b128 v[2:5], v1 offset:1936
	ds_load_b128 v[6:9], v1 offset:1952
	s_waitcnt vmcnt(0) lgkmcnt(1)
	v_mul_f64 v[98:99], v[2:3], v[12:13]
	s_delay_alu instid0(VALU_DEP_1) | instskip(SKIP_1) | instid1(VALU_DEP_1)
	v_fma_f64 v[98:99], v[4:5], v[10:11], v[98:99]
	v_mul_f64 v[4:5], v[4:5], v[12:13]
	v_fma_f64 v[100:101], v[2:3], v[10:11], -v[4:5]
	s_clause 0x1
	scratch_load_b128 v[2:5], off, off offset:928
	scratch_load_b128 v[10:13], off, off offset:944
	s_waitcnt vmcnt(1) lgkmcnt(0)
	v_mul_f64 v[102:103], v[6:7], v[4:5]
	v_mul_f64 v[4:5], v[8:9], v[4:5]
	s_delay_alu instid0(VALU_DEP_2) | instskip(NEXT) | instid1(VALU_DEP_2)
	v_fma_f64 v[102:103], v[8:9], v[2:3], v[102:103]
	v_fma_f64 v[104:105], v[6:7], v[2:3], -v[4:5]
	ds_load_b128 v[2:5], v1 offset:1968
	ds_load_b128 v[6:9], v1 offset:1984
	s_waitcnt vmcnt(0) lgkmcnt(1)
	v_mul_f64 v[179:180], v[2:3], v[12:13]
	s_delay_alu instid0(VALU_DEP_1) | instskip(SKIP_1) | instid1(VALU_DEP_1)
	v_fma_f64 v[179:180], v[4:5], v[10:11], v[179:180]
	v_mul_f64 v[4:5], v[4:5], v[12:13]
	v_fma_f64 v[181:182], v[2:3], v[10:11], -v[4:5]
	v_add_f64 v[2:3], v[22:23], 0
	v_add_f64 v[4:5], v[24:25], 0
	s_delay_alu instid0(VALU_DEP_2) | instskip(NEXT) | instid1(VALU_DEP_2)
	v_add_f64 v[2:3], v[2:3], v[30:31]
	v_add_f64 v[4:5], v[4:5], v[32:33]
	s_delay_alu instid0(VALU_DEP_2) | instskip(NEXT) | instid1(VALU_DEP_2)
	;; [unrolled: 3-line block ×8, first 2 shown]
	v_add_f64 v[2:3], v[2:3], v[56:57]
	v_add_f64 v[10:11], v[4:5], v[54:55]
	s_delay_alu instid0(VALU_DEP_2)
	v_add_f64 v[12:13], v[2:3], v[60:61]
	scratch_load_b128 v[2:5], off, off offset:960
	v_add_f64 v[14:15], v[10:11], v[58:59]
	v_add_f64 v[16:17], v[12:13], v[92:93]
	scratch_load_b128 v[10:13], off, off offset:976
	v_add_f64 v[18:19], v[14:15], v[86:87]
	;; [unrolled: 3-line block ×4, first 2 shown]
	v_add_f64 v[24:25], v[24:25], v[104:105]
	s_delay_alu instid0(VALU_DEP_2) | instskip(NEXT) | instid1(VALU_DEP_2)
	v_add_f64 v[22:23], v[22:23], v[102:103]
	v_add_f64 v[24:25], v[24:25], v[181:182]
	s_delay_alu instid0(VALU_DEP_2) | instskip(SKIP_3) | instid1(VALU_DEP_2)
	v_add_f64 v[22:23], v[22:23], v[179:180]
	s_waitcnt vmcnt(3) lgkmcnt(0)
	v_mul_f64 v[30:31], v[6:7], v[4:5]
	v_mul_f64 v[4:5], v[8:9], v[4:5]
	v_fma_f64 v[30:31], v[8:9], v[2:3], v[30:31]
	s_delay_alu instid0(VALU_DEP_2)
	v_fma_f64 v[32:33], v[6:7], v[2:3], -v[4:5]
	ds_load_b128 v[2:5], v1 offset:2000
	ds_load_b128 v[6:9], v1 offset:2016
	s_waitcnt vmcnt(2) lgkmcnt(1)
	v_mul_f64 v[34:35], v[2:3], v[12:13]
	v_mul_f64 v[12:13], v[4:5], v[12:13]
	s_waitcnt vmcnt(1) lgkmcnt(0)
	v_mul_f64 v[36:37], v[6:7], v[16:17]
	v_add_f64 v[22:23], v[22:23], v[30:31]
	s_delay_alu instid0(VALU_DEP_4) | instskip(NEXT) | instid1(VALU_DEP_4)
	v_fma_f64 v[34:35], v[4:5], v[10:11], v[34:35]
	v_fma_f64 v[10:11], v[2:3], v[10:11], -v[12:13]
	v_mul_f64 v[12:13], v[8:9], v[16:17]
	v_add_f64 v[16:17], v[24:25], v[32:33]
	ds_load_b128 v[2:5], v1 offset:2032
	v_fma_f64 v[8:9], v[8:9], v[14:15], v[36:37]
	s_waitcnt vmcnt(0) lgkmcnt(0)
	v_mul_f64 v[24:25], v[2:3], v[20:21]
	v_mul_f64 v[20:21], v[4:5], v[20:21]
	v_fma_f64 v[6:7], v[6:7], v[14:15], -v[12:13]
	v_add_f64 v[10:11], v[16:17], v[10:11]
	v_add_f64 v[12:13], v[22:23], v[34:35]
	v_fma_f64 v[4:5], v[4:5], v[18:19], v[24:25]
	v_fma_f64 v[2:3], v[2:3], v[18:19], -v[20:21]
	s_delay_alu instid0(VALU_DEP_4) | instskip(NEXT) | instid1(VALU_DEP_4)
	v_add_f64 v[6:7], v[10:11], v[6:7]
	v_add_f64 v[8:9], v[12:13], v[8:9]
	s_delay_alu instid0(VALU_DEP_2) | instskip(NEXT) | instid1(VALU_DEP_2)
	v_add_f64 v[2:3], v[6:7], v[2:3]
	v_add_f64 v[4:5], v[8:9], v[4:5]
	s_delay_alu instid0(VALU_DEP_2) | instskip(NEXT) | instid1(VALU_DEP_2)
	v_add_f64 v[2:3], v[26:27], -v[2:3]
	v_add_f64 v[4:5], v[28:29], -v[4:5]
	scratch_store_b128 off, v[2:5], off offset:704
	v_cmpx_lt_u32_e32 43, v178
	s_cbranch_execz .LBB127_322
; %bb.321:
	scratch_load_b32 v2, off, off offset:1100 ; 4-byte Folded Reload
	v_mov_b32_e32 v3, v1
	v_mov_b32_e32 v4, v1
	s_waitcnt vmcnt(0)
	scratch_load_b128 v[5:8], v2, off
	v_mov_b32_e32 v2, v1
	scratch_store_b128 off, v[1:4], off offset:688
	s_waitcnt vmcnt(0)
	ds_store_b128 v255, v[5:8]
.LBB127_322:
	s_or_b32 exec_lo, exec_lo, s2
	s_waitcnt lgkmcnt(0)
	s_waitcnt_vscnt null, 0x0
	s_barrier
	buffer_gl0_inv
	s_clause 0x4
	scratch_load_b128 v[2:5], off, off offset:704
	scratch_load_b128 v[6:9], off, off offset:720
	scratch_load_b128 v[10:13], off, off offset:736
	scratch_load_b128 v[14:17], off, off offset:752
	scratch_load_b128 v[18:21], off, off offset:768
	ds_load_b128 v[22:25], v1 offset:1728
	ds_load_b128 v[26:29], v1 offset:1744
	scratch_load_b128 v[30:33], off, off offset:688
	s_mov_b32 s2, exec_lo
	s_waitcnt vmcnt(5) lgkmcnt(1)
	v_mul_f64 v[34:35], v[24:25], v[4:5]
	v_mul_f64 v[4:5], v[22:23], v[4:5]
	s_waitcnt vmcnt(4) lgkmcnt(0)
	v_mul_f64 v[36:37], v[26:27], v[8:9]
	v_mul_f64 v[8:9], v[28:29], v[8:9]
	s_delay_alu instid0(VALU_DEP_4) | instskip(NEXT) | instid1(VALU_DEP_4)
	v_fma_f64 v[22:23], v[22:23], v[2:3], -v[34:35]
	v_fma_f64 v[24:25], v[24:25], v[2:3], v[4:5]
	ds_load_b128 v[2:5], v1 offset:1760
	v_fma_f64 v[28:29], v[28:29], v[6:7], v[36:37]
	v_fma_f64 v[26:27], v[26:27], v[6:7], -v[8:9]
	ds_load_b128 v[6:9], v1 offset:1776
	s_waitcnt vmcnt(3) lgkmcnt(1)
	v_mul_f64 v[34:35], v[2:3], v[12:13]
	v_mul_f64 v[12:13], v[4:5], v[12:13]
	s_waitcnt vmcnt(2) lgkmcnt(0)
	v_mul_f64 v[36:37], v[6:7], v[16:17]
	s_delay_alu instid0(VALU_DEP_3) | instskip(NEXT) | instid1(VALU_DEP_3)
	v_fma_f64 v[34:35], v[4:5], v[10:11], v[34:35]
	v_fma_f64 v[38:39], v[2:3], v[10:11], -v[12:13]
	v_mul_f64 v[10:11], v[8:9], v[16:17]
	ds_load_b128 v[2:5], v1 offset:1792
	v_fma_f64 v[16:17], v[8:9], v[14:15], v[36:37]
	v_fma_f64 v[14:15], v[6:7], v[14:15], -v[10:11]
	ds_load_b128 v[6:9], v1 offset:1808
	s_waitcnt vmcnt(1) lgkmcnt(1)
	v_mul_f64 v[10:11], v[2:3], v[20:21]
	v_mul_f64 v[12:13], v[4:5], v[20:21]
	s_delay_alu instid0(VALU_DEP_2) | instskip(NEXT) | instid1(VALU_DEP_2)
	v_fma_f64 v[20:21], v[4:5], v[18:19], v[10:11]
	v_fma_f64 v[18:19], v[2:3], v[18:19], -v[12:13]
	s_clause 0x1
	scratch_load_b128 v[2:5], off, off offset:784
	scratch_load_b128 v[10:13], off, off offset:800
	s_waitcnt vmcnt(1) lgkmcnt(0)
	v_mul_f64 v[36:37], v[6:7], v[4:5]
	v_mul_f64 v[4:5], v[8:9], v[4:5]
	s_delay_alu instid0(VALU_DEP_2) | instskip(NEXT) | instid1(VALU_DEP_2)
	v_fma_f64 v[36:37], v[8:9], v[2:3], v[36:37]
	v_fma_f64 v[40:41], v[6:7], v[2:3], -v[4:5]
	ds_load_b128 v[2:5], v1 offset:1824
	ds_load_b128 v[6:9], v1 offset:1840
	s_waitcnt vmcnt(0) lgkmcnt(1)
	v_mul_f64 v[42:43], v[2:3], v[12:13]
	s_delay_alu instid0(VALU_DEP_1) | instskip(SKIP_1) | instid1(VALU_DEP_1)
	v_fma_f64 v[42:43], v[4:5], v[10:11], v[42:43]
	v_mul_f64 v[4:5], v[4:5], v[12:13]
	v_fma_f64 v[44:45], v[2:3], v[10:11], -v[4:5]
	s_clause 0x1
	scratch_load_b128 v[2:5], off, off offset:816
	scratch_load_b128 v[10:13], off, off offset:832
	s_waitcnt vmcnt(1) lgkmcnt(0)
	v_mul_f64 v[46:47], v[6:7], v[4:5]
	v_mul_f64 v[4:5], v[8:9], v[4:5]
	s_delay_alu instid0(VALU_DEP_2) | instskip(NEXT) | instid1(VALU_DEP_2)
	v_fma_f64 v[46:47], v[8:9], v[2:3], v[46:47]
	v_fma_f64 v[48:49], v[6:7], v[2:3], -v[4:5]
	ds_load_b128 v[2:5], v1 offset:1856
	ds_load_b128 v[6:9], v1 offset:1872
	s_waitcnt vmcnt(0) lgkmcnt(1)
	v_mul_f64 v[54:55], v[2:3], v[12:13]
	s_delay_alu instid0(VALU_DEP_1) | instskip(SKIP_1) | instid1(VALU_DEP_1)
	v_fma_f64 v[54:55], v[4:5], v[10:11], v[54:55]
	v_mul_f64 v[4:5], v[4:5], v[12:13]
	;; [unrolled: 17-line block ×6, first 2 shown]
	v_fma_f64 v[189:190], v[2:3], v[10:11], -v[4:5]
	v_add_f64 v[2:3], v[22:23], 0
	v_add_f64 v[4:5], v[24:25], 0
	s_delay_alu instid0(VALU_DEP_2) | instskip(NEXT) | instid1(VALU_DEP_2)
	v_add_f64 v[2:3], v[2:3], v[26:27]
	v_add_f64 v[4:5], v[4:5], v[28:29]
	s_delay_alu instid0(VALU_DEP_2) | instskip(NEXT) | instid1(VALU_DEP_2)
	;; [unrolled: 3-line block ×10, first 2 shown]
	v_add_f64 v[2:3], v[2:3], v[92:93]
	v_add_f64 v[10:11], v[4:5], v[86:87]
	s_delay_alu instid0(VALU_DEP_2)
	v_add_f64 v[12:13], v[2:3], v[96:97]
	scratch_load_b128 v[2:5], off, off offset:976
	v_add_f64 v[14:15], v[10:11], v[94:95]
	v_add_f64 v[16:17], v[12:13], v[100:101]
	scratch_load_b128 v[10:13], off, off offset:992
	v_add_f64 v[18:19], v[14:15], v[98:99]
	;; [unrolled: 3-line block ×3, first 2 shown]
	v_add_f64 v[20:21], v[20:21], v[181:182]
	s_delay_alu instid0(VALU_DEP_2) | instskip(NEXT) | instid1(VALU_DEP_2)
	v_add_f64 v[18:19], v[18:19], v[179:180]
	v_add_f64 v[28:29], v[20:21], v[185:186]
	s_delay_alu instid0(VALU_DEP_2)
	v_add_f64 v[34:35], v[18:19], v[183:184]
	ds_load_b128 v[18:21], v1 offset:2016
	ds_load_b128 v[22:25], v1 offset:2032
	s_waitcnt vmcnt(2) lgkmcnt(2)
	v_mul_f64 v[26:27], v[6:7], v[4:5]
	v_mul_f64 v[4:5], v[8:9], v[4:5]
	s_waitcnt vmcnt(1) lgkmcnt(1)
	v_mul_f64 v[36:37], v[18:19], v[12:13]
	s_delay_alu instid0(VALU_DEP_3) | instskip(NEXT) | instid1(VALU_DEP_3)
	v_fma_f64 v[8:9], v[8:9], v[2:3], v[26:27]
	v_fma_f64 v[1:2], v[6:7], v[2:3], -v[4:5]
	v_mul_f64 v[3:4], v[20:21], v[12:13]
	v_add_f64 v[5:6], v[28:29], v[189:190]
	v_add_f64 v[12:13], v[34:35], v[187:188]
	s_waitcnt vmcnt(0) lgkmcnt(0)
	v_mul_f64 v[26:27], v[22:23], v[16:17]
	v_mul_f64 v[16:17], v[24:25], v[16:17]
	v_fma_f64 v[20:21], v[20:21], v[10:11], v[36:37]
	v_fma_f64 v[3:4], v[18:19], v[10:11], -v[3:4]
	v_add_f64 v[1:2], v[5:6], v[1:2]
	v_add_f64 v[5:6], v[12:13], v[8:9]
	v_fma_f64 v[7:8], v[24:25], v[14:15], v[26:27]
	v_fma_f64 v[9:10], v[22:23], v[14:15], -v[16:17]
	s_delay_alu instid0(VALU_DEP_4) | instskip(NEXT) | instid1(VALU_DEP_4)
	v_add_f64 v[1:2], v[1:2], v[3:4]
	v_add_f64 v[3:4], v[5:6], v[20:21]
	s_delay_alu instid0(VALU_DEP_2) | instskip(NEXT) | instid1(VALU_DEP_2)
	v_add_f64 v[1:2], v[1:2], v[9:10]
	v_add_f64 v[3:4], v[3:4], v[7:8]
	s_delay_alu instid0(VALU_DEP_2) | instskip(NEXT) | instid1(VALU_DEP_2)
	v_add_f64 v[1:2], v[30:31], -v[1:2]
	v_add_f64 v[3:4], v[32:33], -v[3:4]
	scratch_store_b128 off, v[1:4], off offset:688
	v_cmpx_lt_u32_e32 42, v178
	s_cbranch_execz .LBB127_324
; %bb.323:
	scratch_load_b32 v1, off, off offset:1104 ; 4-byte Folded Reload
	v_mov_b32_e32 v5, 0
	s_delay_alu instid0(VALU_DEP_1)
	v_mov_b32_e32 v6, v5
	v_mov_b32_e32 v7, v5
	;; [unrolled: 1-line block ×3, first 2 shown]
	s_waitcnt vmcnt(0)
	scratch_load_b128 v[1:4], v1, off
	scratch_store_b128 off, v[5:8], off offset:672
	s_waitcnt vmcnt(0)
	ds_store_b128 v255, v[1:4]
.LBB127_324:
	s_or_b32 exec_lo, exec_lo, s2
	s_waitcnt lgkmcnt(0)
	s_waitcnt_vscnt null, 0x0
	s_barrier
	buffer_gl0_inv
	s_clause 0x4
	scratch_load_b128 v[2:5], off, off offset:688
	scratch_load_b128 v[6:9], off, off offset:704
	;; [unrolled: 1-line block ×5, first 2 shown]
	v_mov_b32_e32 v1, 0
	scratch_load_b128 v[26:29], off, off offset:672
	s_mov_b32 s2, exec_lo
	ds_load_b128 v[22:25], v1 offset:1712
	ds_load_b128 v[30:33], v1 offset:1728
	s_waitcnt vmcnt(5) lgkmcnt(1)
	v_mul_f64 v[34:35], v[24:25], v[4:5]
	v_mul_f64 v[4:5], v[22:23], v[4:5]
	s_waitcnt vmcnt(4) lgkmcnt(0)
	v_mul_f64 v[36:37], v[30:31], v[8:9]
	v_mul_f64 v[8:9], v[32:33], v[8:9]
	s_delay_alu instid0(VALU_DEP_4) | instskip(NEXT) | instid1(VALU_DEP_4)
	v_fma_f64 v[22:23], v[22:23], v[2:3], -v[34:35]
	v_fma_f64 v[24:25], v[24:25], v[2:3], v[4:5]
	ds_load_b128 v[2:5], v1 offset:1744
	v_fma_f64 v[32:33], v[32:33], v[6:7], v[36:37]
	v_fma_f64 v[30:31], v[30:31], v[6:7], -v[8:9]
	ds_load_b128 v[6:9], v1 offset:1760
	s_waitcnt vmcnt(3) lgkmcnt(1)
	v_mul_f64 v[34:35], v[2:3], v[12:13]
	v_mul_f64 v[12:13], v[4:5], v[12:13]
	s_waitcnt vmcnt(2) lgkmcnt(0)
	v_mul_f64 v[36:37], v[6:7], v[16:17]
	s_delay_alu instid0(VALU_DEP_3) | instskip(NEXT) | instid1(VALU_DEP_3)
	v_fma_f64 v[34:35], v[4:5], v[10:11], v[34:35]
	v_fma_f64 v[38:39], v[2:3], v[10:11], -v[12:13]
	v_mul_f64 v[10:11], v[8:9], v[16:17]
	ds_load_b128 v[2:5], v1 offset:1776
	v_fma_f64 v[16:17], v[8:9], v[14:15], v[36:37]
	v_fma_f64 v[14:15], v[6:7], v[14:15], -v[10:11]
	ds_load_b128 v[6:9], v1 offset:1792
	s_waitcnt vmcnt(1) lgkmcnt(1)
	v_mul_f64 v[10:11], v[2:3], v[20:21]
	v_mul_f64 v[12:13], v[4:5], v[20:21]
	s_delay_alu instid0(VALU_DEP_2) | instskip(NEXT) | instid1(VALU_DEP_2)
	v_fma_f64 v[20:21], v[4:5], v[18:19], v[10:11]
	v_fma_f64 v[18:19], v[2:3], v[18:19], -v[12:13]
	s_clause 0x1
	scratch_load_b128 v[2:5], off, off offset:768
	scratch_load_b128 v[10:13], off, off offset:784
	s_waitcnt vmcnt(1) lgkmcnt(0)
	v_mul_f64 v[36:37], v[6:7], v[4:5]
	v_mul_f64 v[4:5], v[8:9], v[4:5]
	s_delay_alu instid0(VALU_DEP_2) | instskip(NEXT) | instid1(VALU_DEP_2)
	v_fma_f64 v[36:37], v[8:9], v[2:3], v[36:37]
	v_fma_f64 v[40:41], v[6:7], v[2:3], -v[4:5]
	ds_load_b128 v[2:5], v1 offset:1808
	ds_load_b128 v[6:9], v1 offset:1824
	s_waitcnt vmcnt(0) lgkmcnt(1)
	v_mul_f64 v[42:43], v[2:3], v[12:13]
	s_delay_alu instid0(VALU_DEP_1) | instskip(SKIP_1) | instid1(VALU_DEP_1)
	v_fma_f64 v[42:43], v[4:5], v[10:11], v[42:43]
	v_mul_f64 v[4:5], v[4:5], v[12:13]
	v_fma_f64 v[44:45], v[2:3], v[10:11], -v[4:5]
	s_clause 0x1
	scratch_load_b128 v[2:5], off, off offset:800
	scratch_load_b128 v[10:13], off, off offset:816
	s_waitcnt vmcnt(1) lgkmcnt(0)
	v_mul_f64 v[46:47], v[6:7], v[4:5]
	v_mul_f64 v[4:5], v[8:9], v[4:5]
	s_delay_alu instid0(VALU_DEP_2) | instskip(NEXT) | instid1(VALU_DEP_2)
	v_fma_f64 v[46:47], v[8:9], v[2:3], v[46:47]
	v_fma_f64 v[48:49], v[6:7], v[2:3], -v[4:5]
	ds_load_b128 v[2:5], v1 offset:1840
	ds_load_b128 v[6:9], v1 offset:1856
	s_waitcnt vmcnt(0) lgkmcnt(1)
	v_mul_f64 v[54:55], v[2:3], v[12:13]
	s_delay_alu instid0(VALU_DEP_1) | instskip(SKIP_1) | instid1(VALU_DEP_1)
	v_fma_f64 v[54:55], v[4:5], v[10:11], v[54:55]
	v_mul_f64 v[4:5], v[4:5], v[12:13]
	;; [unrolled: 17-line block ×6, first 2 shown]
	v_fma_f64 v[189:190], v[2:3], v[10:11], -v[4:5]
	v_add_f64 v[2:3], v[22:23], 0
	v_add_f64 v[4:5], v[24:25], 0
	s_delay_alu instid0(VALU_DEP_2) | instskip(NEXT) | instid1(VALU_DEP_2)
	v_add_f64 v[2:3], v[2:3], v[30:31]
	v_add_f64 v[4:5], v[4:5], v[32:33]
	s_delay_alu instid0(VALU_DEP_2) | instskip(NEXT) | instid1(VALU_DEP_2)
	;; [unrolled: 3-line block ×10, first 2 shown]
	v_add_f64 v[2:3], v[2:3], v[92:93]
	v_add_f64 v[10:11], v[4:5], v[86:87]
	s_delay_alu instid0(VALU_DEP_2)
	v_add_f64 v[12:13], v[2:3], v[96:97]
	scratch_load_b128 v[2:5], off, off offset:960
	v_add_f64 v[14:15], v[10:11], v[94:95]
	v_add_f64 v[16:17], v[12:13], v[100:101]
	scratch_load_b128 v[10:13], off, off offset:976
	v_add_f64 v[18:19], v[14:15], v[98:99]
	;; [unrolled: 3-line block ×4, first 2 shown]
	v_add_f64 v[24:25], v[24:25], v[185:186]
	s_delay_alu instid0(VALU_DEP_2) | instskip(NEXT) | instid1(VALU_DEP_2)
	v_add_f64 v[22:23], v[22:23], v[183:184]
	v_add_f64 v[24:25], v[24:25], v[189:190]
	s_delay_alu instid0(VALU_DEP_2) | instskip(SKIP_3) | instid1(VALU_DEP_2)
	v_add_f64 v[22:23], v[22:23], v[187:188]
	s_waitcnt vmcnt(3) lgkmcnt(0)
	v_mul_f64 v[30:31], v[6:7], v[4:5]
	v_mul_f64 v[4:5], v[8:9], v[4:5]
	v_fma_f64 v[30:31], v[8:9], v[2:3], v[30:31]
	s_delay_alu instid0(VALU_DEP_2)
	v_fma_f64 v[32:33], v[6:7], v[2:3], -v[4:5]
	ds_load_b128 v[2:5], v1 offset:2000
	ds_load_b128 v[6:9], v1 offset:2016
	s_waitcnt vmcnt(2) lgkmcnt(1)
	v_mul_f64 v[34:35], v[2:3], v[12:13]
	v_mul_f64 v[12:13], v[4:5], v[12:13]
	s_waitcnt vmcnt(1) lgkmcnt(0)
	v_mul_f64 v[36:37], v[6:7], v[16:17]
	v_add_f64 v[22:23], v[22:23], v[30:31]
	s_delay_alu instid0(VALU_DEP_4) | instskip(NEXT) | instid1(VALU_DEP_4)
	v_fma_f64 v[34:35], v[4:5], v[10:11], v[34:35]
	v_fma_f64 v[10:11], v[2:3], v[10:11], -v[12:13]
	v_mul_f64 v[12:13], v[8:9], v[16:17]
	v_add_f64 v[16:17], v[24:25], v[32:33]
	ds_load_b128 v[2:5], v1 offset:2032
	v_fma_f64 v[8:9], v[8:9], v[14:15], v[36:37]
	s_waitcnt vmcnt(0) lgkmcnt(0)
	v_mul_f64 v[24:25], v[2:3], v[20:21]
	v_mul_f64 v[20:21], v[4:5], v[20:21]
	v_fma_f64 v[6:7], v[6:7], v[14:15], -v[12:13]
	v_add_f64 v[10:11], v[16:17], v[10:11]
	v_add_f64 v[12:13], v[22:23], v[34:35]
	v_fma_f64 v[4:5], v[4:5], v[18:19], v[24:25]
	v_fma_f64 v[2:3], v[2:3], v[18:19], -v[20:21]
	s_delay_alu instid0(VALU_DEP_4) | instskip(NEXT) | instid1(VALU_DEP_4)
	v_add_f64 v[6:7], v[10:11], v[6:7]
	v_add_f64 v[8:9], v[12:13], v[8:9]
	s_delay_alu instid0(VALU_DEP_2) | instskip(NEXT) | instid1(VALU_DEP_2)
	v_add_f64 v[2:3], v[6:7], v[2:3]
	v_add_f64 v[4:5], v[8:9], v[4:5]
	s_delay_alu instid0(VALU_DEP_2) | instskip(NEXT) | instid1(VALU_DEP_2)
	v_add_f64 v[2:3], v[26:27], -v[2:3]
	v_add_f64 v[4:5], v[28:29], -v[4:5]
	scratch_store_b128 off, v[2:5], off offset:672
	v_cmpx_lt_u32_e32 41, v178
	s_cbranch_execz .LBB127_326
; %bb.325:
	scratch_load_b32 v2, off, off offset:1108 ; 4-byte Folded Reload
	v_mov_b32_e32 v3, v1
	v_mov_b32_e32 v4, v1
	s_waitcnt vmcnt(0)
	scratch_load_b128 v[5:8], v2, off
	v_mov_b32_e32 v2, v1
	scratch_store_b128 off, v[1:4], off offset:656
	s_waitcnt vmcnt(0)
	ds_store_b128 v255, v[5:8]
.LBB127_326:
	s_or_b32 exec_lo, exec_lo, s2
	s_waitcnt lgkmcnt(0)
	s_waitcnt_vscnt null, 0x0
	s_barrier
	buffer_gl0_inv
	s_clause 0x4
	scratch_load_b128 v[2:5], off, off offset:672
	scratch_load_b128 v[6:9], off, off offset:688
	;; [unrolled: 1-line block ×5, first 2 shown]
	ds_load_b128 v[22:25], v1 offset:1696
	ds_load_b128 v[26:29], v1 offset:1712
	scratch_load_b128 v[30:33], off, off offset:656
	s_mov_b32 s2, exec_lo
	s_waitcnt vmcnt(5) lgkmcnt(1)
	v_mul_f64 v[34:35], v[24:25], v[4:5]
	v_mul_f64 v[4:5], v[22:23], v[4:5]
	s_waitcnt vmcnt(4) lgkmcnt(0)
	v_mul_f64 v[36:37], v[26:27], v[8:9]
	v_mul_f64 v[8:9], v[28:29], v[8:9]
	s_delay_alu instid0(VALU_DEP_4) | instskip(NEXT) | instid1(VALU_DEP_4)
	v_fma_f64 v[22:23], v[22:23], v[2:3], -v[34:35]
	v_fma_f64 v[24:25], v[24:25], v[2:3], v[4:5]
	ds_load_b128 v[2:5], v1 offset:1728
	v_fma_f64 v[28:29], v[28:29], v[6:7], v[36:37]
	v_fma_f64 v[26:27], v[26:27], v[6:7], -v[8:9]
	ds_load_b128 v[6:9], v1 offset:1744
	s_waitcnt vmcnt(3) lgkmcnt(1)
	v_mul_f64 v[34:35], v[2:3], v[12:13]
	v_mul_f64 v[12:13], v[4:5], v[12:13]
	s_waitcnt vmcnt(2) lgkmcnt(0)
	v_mul_f64 v[36:37], v[6:7], v[16:17]
	s_delay_alu instid0(VALU_DEP_3) | instskip(NEXT) | instid1(VALU_DEP_3)
	v_fma_f64 v[34:35], v[4:5], v[10:11], v[34:35]
	v_fma_f64 v[38:39], v[2:3], v[10:11], -v[12:13]
	v_mul_f64 v[10:11], v[8:9], v[16:17]
	ds_load_b128 v[2:5], v1 offset:1760
	v_fma_f64 v[16:17], v[8:9], v[14:15], v[36:37]
	v_fma_f64 v[14:15], v[6:7], v[14:15], -v[10:11]
	ds_load_b128 v[6:9], v1 offset:1776
	s_waitcnt vmcnt(1) lgkmcnt(1)
	v_mul_f64 v[10:11], v[2:3], v[20:21]
	v_mul_f64 v[12:13], v[4:5], v[20:21]
	s_delay_alu instid0(VALU_DEP_2) | instskip(NEXT) | instid1(VALU_DEP_2)
	v_fma_f64 v[20:21], v[4:5], v[18:19], v[10:11]
	v_fma_f64 v[18:19], v[2:3], v[18:19], -v[12:13]
	s_clause 0x1
	scratch_load_b128 v[2:5], off, off offset:752
	scratch_load_b128 v[10:13], off, off offset:768
	s_waitcnt vmcnt(1) lgkmcnt(0)
	v_mul_f64 v[36:37], v[6:7], v[4:5]
	v_mul_f64 v[4:5], v[8:9], v[4:5]
	s_delay_alu instid0(VALU_DEP_2) | instskip(NEXT) | instid1(VALU_DEP_2)
	v_fma_f64 v[36:37], v[8:9], v[2:3], v[36:37]
	v_fma_f64 v[40:41], v[6:7], v[2:3], -v[4:5]
	ds_load_b128 v[2:5], v1 offset:1792
	ds_load_b128 v[6:9], v1 offset:1808
	s_waitcnt vmcnt(0) lgkmcnt(1)
	v_mul_f64 v[42:43], v[2:3], v[12:13]
	s_delay_alu instid0(VALU_DEP_1) | instskip(SKIP_1) | instid1(VALU_DEP_1)
	v_fma_f64 v[42:43], v[4:5], v[10:11], v[42:43]
	v_mul_f64 v[4:5], v[4:5], v[12:13]
	v_fma_f64 v[44:45], v[2:3], v[10:11], -v[4:5]
	s_clause 0x1
	scratch_load_b128 v[2:5], off, off offset:784
	scratch_load_b128 v[10:13], off, off offset:800
	s_waitcnt vmcnt(1) lgkmcnt(0)
	v_mul_f64 v[46:47], v[6:7], v[4:5]
	v_mul_f64 v[4:5], v[8:9], v[4:5]
	s_delay_alu instid0(VALU_DEP_2) | instskip(NEXT) | instid1(VALU_DEP_2)
	v_fma_f64 v[46:47], v[8:9], v[2:3], v[46:47]
	v_fma_f64 v[48:49], v[6:7], v[2:3], -v[4:5]
	ds_load_b128 v[2:5], v1 offset:1824
	ds_load_b128 v[6:9], v1 offset:1840
	s_waitcnt vmcnt(0) lgkmcnt(1)
	v_mul_f64 v[54:55], v[2:3], v[12:13]
	s_delay_alu instid0(VALU_DEP_1) | instskip(SKIP_1) | instid1(VALU_DEP_1)
	v_fma_f64 v[54:55], v[4:5], v[10:11], v[54:55]
	v_mul_f64 v[4:5], v[4:5], v[12:13]
	;; [unrolled: 17-line block ×7, first 2 shown]
	v_fma_f64 v[210:211], v[2:3], v[10:11], -v[4:5]
	v_add_f64 v[2:3], v[22:23], 0
	v_add_f64 v[4:5], v[24:25], 0
	s_delay_alu instid0(VALU_DEP_2) | instskip(NEXT) | instid1(VALU_DEP_2)
	v_add_f64 v[2:3], v[2:3], v[26:27]
	v_add_f64 v[4:5], v[4:5], v[28:29]
	s_delay_alu instid0(VALU_DEP_2) | instskip(NEXT) | instid1(VALU_DEP_2)
	;; [unrolled: 3-line block ×12, first 2 shown]
	v_add_f64 v[2:3], v[2:3], v[100:101]
	v_add_f64 v[10:11], v[4:5], v[98:99]
	s_delay_alu instid0(VALU_DEP_2)
	v_add_f64 v[12:13], v[2:3], v[104:105]
	scratch_load_b128 v[2:5], off, off offset:976
	v_add_f64 v[14:15], v[10:11], v[102:103]
	v_add_f64 v[16:17], v[12:13], v[181:182]
	scratch_load_b128 v[10:13], off, off offset:992
	v_add_f64 v[18:19], v[14:15], v[179:180]
	;; [unrolled: 3-line block ×3, first 2 shown]
	v_add_f64 v[20:21], v[20:21], v[189:190]
	s_delay_alu instid0(VALU_DEP_2) | instskip(NEXT) | instid1(VALU_DEP_2)
	v_add_f64 v[18:19], v[18:19], v[187:188]
	v_add_f64 v[28:29], v[20:21], v[193:194]
	s_delay_alu instid0(VALU_DEP_2)
	v_add_f64 v[34:35], v[18:19], v[191:192]
	ds_load_b128 v[18:21], v1 offset:2016
	ds_load_b128 v[22:25], v1 offset:2032
	s_waitcnt vmcnt(2) lgkmcnt(2)
	v_mul_f64 v[26:27], v[6:7], v[4:5]
	v_mul_f64 v[4:5], v[8:9], v[4:5]
	s_waitcnt vmcnt(1) lgkmcnt(1)
	v_mul_f64 v[36:37], v[18:19], v[12:13]
	s_delay_alu instid0(VALU_DEP_3) | instskip(NEXT) | instid1(VALU_DEP_3)
	v_fma_f64 v[8:9], v[8:9], v[2:3], v[26:27]
	v_fma_f64 v[1:2], v[6:7], v[2:3], -v[4:5]
	v_mul_f64 v[3:4], v[20:21], v[12:13]
	v_add_f64 v[5:6], v[28:29], v[210:211]
	v_add_f64 v[12:13], v[34:35], v[195:196]
	s_waitcnt vmcnt(0) lgkmcnt(0)
	v_mul_f64 v[26:27], v[22:23], v[16:17]
	v_mul_f64 v[16:17], v[24:25], v[16:17]
	v_fma_f64 v[20:21], v[20:21], v[10:11], v[36:37]
	v_fma_f64 v[3:4], v[18:19], v[10:11], -v[3:4]
	v_add_f64 v[1:2], v[5:6], v[1:2]
	v_add_f64 v[5:6], v[12:13], v[8:9]
	v_fma_f64 v[7:8], v[24:25], v[14:15], v[26:27]
	v_fma_f64 v[9:10], v[22:23], v[14:15], -v[16:17]
	s_delay_alu instid0(VALU_DEP_4) | instskip(NEXT) | instid1(VALU_DEP_4)
	v_add_f64 v[1:2], v[1:2], v[3:4]
	v_add_f64 v[3:4], v[5:6], v[20:21]
	s_delay_alu instid0(VALU_DEP_2) | instskip(NEXT) | instid1(VALU_DEP_2)
	v_add_f64 v[1:2], v[1:2], v[9:10]
	v_add_f64 v[3:4], v[3:4], v[7:8]
	s_delay_alu instid0(VALU_DEP_2) | instskip(NEXT) | instid1(VALU_DEP_2)
	v_add_f64 v[1:2], v[30:31], -v[1:2]
	v_add_f64 v[3:4], v[32:33], -v[3:4]
	scratch_store_b128 off, v[1:4], off offset:656
	v_cmpx_lt_u32_e32 40, v178
	s_cbranch_execz .LBB127_328
; %bb.327:
	scratch_load_b32 v1, off, off offset:1112 ; 4-byte Folded Reload
	v_mov_b32_e32 v5, 0
	s_delay_alu instid0(VALU_DEP_1)
	v_mov_b32_e32 v6, v5
	v_mov_b32_e32 v7, v5
	;; [unrolled: 1-line block ×3, first 2 shown]
	s_waitcnt vmcnt(0)
	scratch_load_b128 v[1:4], v1, off
	scratch_store_b128 off, v[5:8], off offset:640
	s_waitcnt vmcnt(0)
	ds_store_b128 v255, v[1:4]
.LBB127_328:
	s_or_b32 exec_lo, exec_lo, s2
	s_waitcnt lgkmcnt(0)
	s_waitcnt_vscnt null, 0x0
	s_barrier
	buffer_gl0_inv
	s_clause 0x4
	scratch_load_b128 v[2:5], off, off offset:656
	scratch_load_b128 v[6:9], off, off offset:672
	;; [unrolled: 1-line block ×5, first 2 shown]
	v_mov_b32_e32 v1, 0
	scratch_load_b128 v[26:29], off, off offset:640
	s_mov_b32 s2, exec_lo
	ds_load_b128 v[22:25], v1 offset:1680
	ds_load_b128 v[30:33], v1 offset:1696
	s_waitcnt vmcnt(5) lgkmcnt(1)
	v_mul_f64 v[34:35], v[24:25], v[4:5]
	v_mul_f64 v[4:5], v[22:23], v[4:5]
	s_waitcnt vmcnt(4) lgkmcnt(0)
	v_mul_f64 v[36:37], v[30:31], v[8:9]
	v_mul_f64 v[8:9], v[32:33], v[8:9]
	s_delay_alu instid0(VALU_DEP_4) | instskip(NEXT) | instid1(VALU_DEP_4)
	v_fma_f64 v[22:23], v[22:23], v[2:3], -v[34:35]
	v_fma_f64 v[24:25], v[24:25], v[2:3], v[4:5]
	ds_load_b128 v[2:5], v1 offset:1712
	v_fma_f64 v[32:33], v[32:33], v[6:7], v[36:37]
	v_fma_f64 v[30:31], v[30:31], v[6:7], -v[8:9]
	ds_load_b128 v[6:9], v1 offset:1728
	s_waitcnt vmcnt(3) lgkmcnt(1)
	v_mul_f64 v[34:35], v[2:3], v[12:13]
	v_mul_f64 v[12:13], v[4:5], v[12:13]
	s_waitcnt vmcnt(2) lgkmcnt(0)
	v_mul_f64 v[36:37], v[6:7], v[16:17]
	s_delay_alu instid0(VALU_DEP_3) | instskip(NEXT) | instid1(VALU_DEP_3)
	v_fma_f64 v[34:35], v[4:5], v[10:11], v[34:35]
	v_fma_f64 v[38:39], v[2:3], v[10:11], -v[12:13]
	v_mul_f64 v[10:11], v[8:9], v[16:17]
	ds_load_b128 v[2:5], v1 offset:1744
	v_fma_f64 v[16:17], v[8:9], v[14:15], v[36:37]
	v_fma_f64 v[14:15], v[6:7], v[14:15], -v[10:11]
	ds_load_b128 v[6:9], v1 offset:1760
	s_waitcnt vmcnt(1) lgkmcnt(1)
	v_mul_f64 v[10:11], v[2:3], v[20:21]
	v_mul_f64 v[12:13], v[4:5], v[20:21]
	s_delay_alu instid0(VALU_DEP_2) | instskip(NEXT) | instid1(VALU_DEP_2)
	v_fma_f64 v[20:21], v[4:5], v[18:19], v[10:11]
	v_fma_f64 v[18:19], v[2:3], v[18:19], -v[12:13]
	s_clause 0x1
	scratch_load_b128 v[2:5], off, off offset:736
	scratch_load_b128 v[10:13], off, off offset:752
	s_waitcnt vmcnt(1) lgkmcnt(0)
	v_mul_f64 v[36:37], v[6:7], v[4:5]
	v_mul_f64 v[4:5], v[8:9], v[4:5]
	s_delay_alu instid0(VALU_DEP_2) | instskip(NEXT) | instid1(VALU_DEP_2)
	v_fma_f64 v[36:37], v[8:9], v[2:3], v[36:37]
	v_fma_f64 v[40:41], v[6:7], v[2:3], -v[4:5]
	ds_load_b128 v[2:5], v1 offset:1776
	ds_load_b128 v[6:9], v1 offset:1792
	s_waitcnt vmcnt(0) lgkmcnt(1)
	v_mul_f64 v[42:43], v[2:3], v[12:13]
	s_delay_alu instid0(VALU_DEP_1) | instskip(SKIP_1) | instid1(VALU_DEP_1)
	v_fma_f64 v[42:43], v[4:5], v[10:11], v[42:43]
	v_mul_f64 v[4:5], v[4:5], v[12:13]
	v_fma_f64 v[44:45], v[2:3], v[10:11], -v[4:5]
	s_clause 0x1
	scratch_load_b128 v[2:5], off, off offset:768
	scratch_load_b128 v[10:13], off, off offset:784
	s_waitcnt vmcnt(1) lgkmcnt(0)
	v_mul_f64 v[46:47], v[6:7], v[4:5]
	v_mul_f64 v[4:5], v[8:9], v[4:5]
	s_delay_alu instid0(VALU_DEP_2) | instskip(NEXT) | instid1(VALU_DEP_2)
	v_fma_f64 v[46:47], v[8:9], v[2:3], v[46:47]
	v_fma_f64 v[48:49], v[6:7], v[2:3], -v[4:5]
	ds_load_b128 v[2:5], v1 offset:1808
	ds_load_b128 v[6:9], v1 offset:1824
	s_waitcnt vmcnt(0) lgkmcnt(1)
	v_mul_f64 v[54:55], v[2:3], v[12:13]
	s_delay_alu instid0(VALU_DEP_1) | instskip(SKIP_1) | instid1(VALU_DEP_1)
	v_fma_f64 v[54:55], v[4:5], v[10:11], v[54:55]
	v_mul_f64 v[4:5], v[4:5], v[12:13]
	;; [unrolled: 17-line block ×7, first 2 shown]
	v_fma_f64 v[210:211], v[2:3], v[10:11], -v[4:5]
	v_add_f64 v[2:3], v[22:23], 0
	v_add_f64 v[4:5], v[24:25], 0
	s_delay_alu instid0(VALU_DEP_2) | instskip(NEXT) | instid1(VALU_DEP_2)
	v_add_f64 v[2:3], v[2:3], v[30:31]
	v_add_f64 v[4:5], v[4:5], v[32:33]
	s_delay_alu instid0(VALU_DEP_2) | instskip(NEXT) | instid1(VALU_DEP_2)
	;; [unrolled: 3-line block ×12, first 2 shown]
	v_add_f64 v[2:3], v[2:3], v[100:101]
	v_add_f64 v[10:11], v[4:5], v[98:99]
	s_delay_alu instid0(VALU_DEP_2)
	v_add_f64 v[12:13], v[2:3], v[104:105]
	scratch_load_b128 v[2:5], off, off offset:960
	v_add_f64 v[14:15], v[10:11], v[102:103]
	v_add_f64 v[16:17], v[12:13], v[181:182]
	scratch_load_b128 v[10:13], off, off offset:976
	v_add_f64 v[18:19], v[14:15], v[179:180]
	;; [unrolled: 3-line block ×4, first 2 shown]
	v_add_f64 v[24:25], v[24:25], v[193:194]
	s_delay_alu instid0(VALU_DEP_2) | instskip(NEXT) | instid1(VALU_DEP_2)
	v_add_f64 v[22:23], v[22:23], v[191:192]
	v_add_f64 v[24:25], v[24:25], v[210:211]
	s_delay_alu instid0(VALU_DEP_2) | instskip(SKIP_3) | instid1(VALU_DEP_2)
	v_add_f64 v[22:23], v[22:23], v[195:196]
	s_waitcnt vmcnt(3) lgkmcnt(0)
	v_mul_f64 v[30:31], v[6:7], v[4:5]
	v_mul_f64 v[4:5], v[8:9], v[4:5]
	v_fma_f64 v[30:31], v[8:9], v[2:3], v[30:31]
	s_delay_alu instid0(VALU_DEP_2)
	v_fma_f64 v[32:33], v[6:7], v[2:3], -v[4:5]
	ds_load_b128 v[2:5], v1 offset:2000
	ds_load_b128 v[6:9], v1 offset:2016
	s_waitcnt vmcnt(2) lgkmcnt(1)
	v_mul_f64 v[34:35], v[2:3], v[12:13]
	v_mul_f64 v[12:13], v[4:5], v[12:13]
	s_waitcnt vmcnt(1) lgkmcnt(0)
	v_mul_f64 v[36:37], v[6:7], v[16:17]
	v_add_f64 v[22:23], v[22:23], v[30:31]
	s_delay_alu instid0(VALU_DEP_4) | instskip(NEXT) | instid1(VALU_DEP_4)
	v_fma_f64 v[34:35], v[4:5], v[10:11], v[34:35]
	v_fma_f64 v[10:11], v[2:3], v[10:11], -v[12:13]
	v_mul_f64 v[12:13], v[8:9], v[16:17]
	v_add_f64 v[16:17], v[24:25], v[32:33]
	ds_load_b128 v[2:5], v1 offset:2032
	v_fma_f64 v[8:9], v[8:9], v[14:15], v[36:37]
	s_waitcnt vmcnt(0) lgkmcnt(0)
	v_mul_f64 v[24:25], v[2:3], v[20:21]
	v_mul_f64 v[20:21], v[4:5], v[20:21]
	v_fma_f64 v[6:7], v[6:7], v[14:15], -v[12:13]
	v_add_f64 v[10:11], v[16:17], v[10:11]
	v_add_f64 v[12:13], v[22:23], v[34:35]
	v_fma_f64 v[4:5], v[4:5], v[18:19], v[24:25]
	v_fma_f64 v[2:3], v[2:3], v[18:19], -v[20:21]
	s_delay_alu instid0(VALU_DEP_4) | instskip(NEXT) | instid1(VALU_DEP_4)
	v_add_f64 v[6:7], v[10:11], v[6:7]
	v_add_f64 v[8:9], v[12:13], v[8:9]
	s_delay_alu instid0(VALU_DEP_2) | instskip(NEXT) | instid1(VALU_DEP_2)
	v_add_f64 v[2:3], v[6:7], v[2:3]
	v_add_f64 v[4:5], v[8:9], v[4:5]
	s_delay_alu instid0(VALU_DEP_2) | instskip(NEXT) | instid1(VALU_DEP_2)
	v_add_f64 v[2:3], v[26:27], -v[2:3]
	v_add_f64 v[4:5], v[28:29], -v[4:5]
	scratch_store_b128 off, v[2:5], off offset:640
	v_cmpx_lt_u32_e32 39, v178
	s_cbranch_execz .LBB127_330
; %bb.329:
	scratch_load_b32 v2, off, off offset:1116 ; 4-byte Folded Reload
	v_mov_b32_e32 v3, v1
	v_mov_b32_e32 v4, v1
	s_waitcnt vmcnt(0)
	scratch_load_b128 v[5:8], v2, off
	v_mov_b32_e32 v2, v1
	scratch_store_b128 off, v[1:4], off offset:624
	s_waitcnt vmcnt(0)
	ds_store_b128 v255, v[5:8]
.LBB127_330:
	s_or_b32 exec_lo, exec_lo, s2
	s_waitcnt lgkmcnt(0)
	s_waitcnt_vscnt null, 0x0
	s_barrier
	buffer_gl0_inv
	s_clause 0x4
	scratch_load_b128 v[2:5], off, off offset:640
	scratch_load_b128 v[6:9], off, off offset:656
	;; [unrolled: 1-line block ×5, first 2 shown]
	ds_load_b128 v[22:25], v1 offset:1664
	ds_load_b128 v[26:29], v1 offset:1680
	scratch_load_b128 v[30:33], off, off offset:624
	s_mov_b32 s2, exec_lo
	s_waitcnt vmcnt(5) lgkmcnt(1)
	v_mul_f64 v[34:35], v[24:25], v[4:5]
	v_mul_f64 v[4:5], v[22:23], v[4:5]
	s_waitcnt vmcnt(4) lgkmcnt(0)
	v_mul_f64 v[36:37], v[26:27], v[8:9]
	v_mul_f64 v[8:9], v[28:29], v[8:9]
	s_delay_alu instid0(VALU_DEP_4) | instskip(NEXT) | instid1(VALU_DEP_4)
	v_fma_f64 v[22:23], v[22:23], v[2:3], -v[34:35]
	v_fma_f64 v[24:25], v[24:25], v[2:3], v[4:5]
	ds_load_b128 v[2:5], v1 offset:1696
	v_fma_f64 v[28:29], v[28:29], v[6:7], v[36:37]
	v_fma_f64 v[26:27], v[26:27], v[6:7], -v[8:9]
	ds_load_b128 v[6:9], v1 offset:1712
	s_waitcnt vmcnt(3) lgkmcnt(1)
	v_mul_f64 v[34:35], v[2:3], v[12:13]
	v_mul_f64 v[12:13], v[4:5], v[12:13]
	s_waitcnt vmcnt(2) lgkmcnt(0)
	v_mul_f64 v[36:37], v[6:7], v[16:17]
	s_delay_alu instid0(VALU_DEP_3) | instskip(NEXT) | instid1(VALU_DEP_3)
	v_fma_f64 v[34:35], v[4:5], v[10:11], v[34:35]
	v_fma_f64 v[38:39], v[2:3], v[10:11], -v[12:13]
	v_mul_f64 v[10:11], v[8:9], v[16:17]
	ds_load_b128 v[2:5], v1 offset:1728
	v_fma_f64 v[16:17], v[8:9], v[14:15], v[36:37]
	v_fma_f64 v[14:15], v[6:7], v[14:15], -v[10:11]
	ds_load_b128 v[6:9], v1 offset:1744
	s_waitcnt vmcnt(1) lgkmcnt(1)
	v_mul_f64 v[10:11], v[2:3], v[20:21]
	v_mul_f64 v[12:13], v[4:5], v[20:21]
	s_delay_alu instid0(VALU_DEP_2) | instskip(NEXT) | instid1(VALU_DEP_2)
	v_fma_f64 v[20:21], v[4:5], v[18:19], v[10:11]
	v_fma_f64 v[18:19], v[2:3], v[18:19], -v[12:13]
	s_clause 0x1
	scratch_load_b128 v[2:5], off, off offset:720
	scratch_load_b128 v[10:13], off, off offset:736
	s_waitcnt vmcnt(1) lgkmcnt(0)
	v_mul_f64 v[36:37], v[6:7], v[4:5]
	v_mul_f64 v[4:5], v[8:9], v[4:5]
	s_delay_alu instid0(VALU_DEP_2) | instskip(NEXT) | instid1(VALU_DEP_2)
	v_fma_f64 v[36:37], v[8:9], v[2:3], v[36:37]
	v_fma_f64 v[40:41], v[6:7], v[2:3], -v[4:5]
	ds_load_b128 v[2:5], v1 offset:1760
	ds_load_b128 v[6:9], v1 offset:1776
	s_waitcnt vmcnt(0) lgkmcnt(1)
	v_mul_f64 v[42:43], v[2:3], v[12:13]
	s_delay_alu instid0(VALU_DEP_1) | instskip(SKIP_1) | instid1(VALU_DEP_1)
	v_fma_f64 v[42:43], v[4:5], v[10:11], v[42:43]
	v_mul_f64 v[4:5], v[4:5], v[12:13]
	v_fma_f64 v[44:45], v[2:3], v[10:11], -v[4:5]
	s_clause 0x1
	scratch_load_b128 v[2:5], off, off offset:752
	scratch_load_b128 v[10:13], off, off offset:768
	s_waitcnt vmcnt(1) lgkmcnt(0)
	v_mul_f64 v[46:47], v[6:7], v[4:5]
	v_mul_f64 v[4:5], v[8:9], v[4:5]
	s_delay_alu instid0(VALU_DEP_2) | instskip(NEXT) | instid1(VALU_DEP_2)
	v_fma_f64 v[46:47], v[8:9], v[2:3], v[46:47]
	v_fma_f64 v[48:49], v[6:7], v[2:3], -v[4:5]
	ds_load_b128 v[2:5], v1 offset:1792
	ds_load_b128 v[6:9], v1 offset:1808
	s_waitcnt vmcnt(0) lgkmcnt(1)
	v_mul_f64 v[54:55], v[2:3], v[12:13]
	s_delay_alu instid0(VALU_DEP_1) | instskip(SKIP_1) | instid1(VALU_DEP_1)
	v_fma_f64 v[54:55], v[4:5], v[10:11], v[54:55]
	v_mul_f64 v[4:5], v[4:5], v[12:13]
	;; [unrolled: 17-line block ×8, first 2 shown]
	v_fma_f64 v[243:244], v[2:3], v[10:11], -v[4:5]
	v_add_f64 v[2:3], v[22:23], 0
	v_add_f64 v[4:5], v[24:25], 0
	s_delay_alu instid0(VALU_DEP_2) | instskip(NEXT) | instid1(VALU_DEP_2)
	v_add_f64 v[2:3], v[2:3], v[26:27]
	v_add_f64 v[4:5], v[4:5], v[28:29]
	s_delay_alu instid0(VALU_DEP_2) | instskip(NEXT) | instid1(VALU_DEP_2)
	v_add_f64 v[2:3], v[2:3], v[38:39]
	v_add_f64 v[4:5], v[4:5], v[34:35]
	s_delay_alu instid0(VALU_DEP_2) | instskip(NEXT) | instid1(VALU_DEP_2)
	v_add_f64 v[2:3], v[2:3], v[14:15]
	v_add_f64 v[4:5], v[4:5], v[16:17]
	s_delay_alu instid0(VALU_DEP_2) | instskip(NEXT) | instid1(VALU_DEP_2)
	v_add_f64 v[2:3], v[2:3], v[18:19]
	v_add_f64 v[4:5], v[4:5], v[20:21]
	s_delay_alu instid0(VALU_DEP_2) | instskip(NEXT) | instid1(VALU_DEP_2)
	v_add_f64 v[2:3], v[2:3], v[40:41]
	v_add_f64 v[4:5], v[4:5], v[36:37]
	s_delay_alu instid0(VALU_DEP_2) | instskip(NEXT) | instid1(VALU_DEP_2)
	v_add_f64 v[2:3], v[2:3], v[44:45]
	v_add_f64 v[4:5], v[4:5], v[42:43]
	s_delay_alu instid0(VALU_DEP_2) | instskip(NEXT) | instid1(VALU_DEP_2)
	v_add_f64 v[2:3], v[2:3], v[48:49]
	v_add_f64 v[4:5], v[4:5], v[46:47]
	s_delay_alu instid0(VALU_DEP_2) | instskip(NEXT) | instid1(VALU_DEP_2)
	v_add_f64 v[2:3], v[2:3], v[56:57]
	v_add_f64 v[4:5], v[4:5], v[54:55]
	s_delay_alu instid0(VALU_DEP_2) | instskip(NEXT) | instid1(VALU_DEP_2)
	v_add_f64 v[2:3], v[2:3], v[60:61]
	v_add_f64 v[4:5], v[4:5], v[58:59]
	s_delay_alu instid0(VALU_DEP_2) | instskip(NEXT) | instid1(VALU_DEP_2)
	v_add_f64 v[2:3], v[2:3], v[92:93]
	v_add_f64 v[4:5], v[4:5], v[86:87]
	s_delay_alu instid0(VALU_DEP_2) | instskip(NEXT) | instid1(VALU_DEP_2)
	v_add_f64 v[2:3], v[2:3], v[96:97]
	v_add_f64 v[4:5], v[4:5], v[94:95]
	s_delay_alu instid0(VALU_DEP_2) | instskip(NEXT) | instid1(VALU_DEP_2)
	v_add_f64 v[2:3], v[2:3], v[100:101]
	v_add_f64 v[4:5], v[4:5], v[98:99]
	s_delay_alu instid0(VALU_DEP_2) | instskip(NEXT) | instid1(VALU_DEP_2)
	v_add_f64 v[2:3], v[2:3], v[104:105]
	v_add_f64 v[4:5], v[4:5], v[102:103]
	s_delay_alu instid0(VALU_DEP_2) | instskip(NEXT) | instid1(VALU_DEP_2)
	v_add_f64 v[2:3], v[2:3], v[181:182]
	v_add_f64 v[10:11], v[4:5], v[179:180]
	s_delay_alu instid0(VALU_DEP_2)
	v_add_f64 v[12:13], v[2:3], v[185:186]
	scratch_load_b128 v[2:5], off, off offset:976
	v_add_f64 v[14:15], v[10:11], v[183:184]
	v_add_f64 v[16:17], v[12:13], v[189:190]
	scratch_load_b128 v[10:13], off, off offset:992
	v_add_f64 v[18:19], v[14:15], v[187:188]
	;; [unrolled: 3-line block ×3, first 2 shown]
	v_add_f64 v[20:21], v[20:21], v[210:211]
	s_delay_alu instid0(VALU_DEP_2) | instskip(NEXT) | instid1(VALU_DEP_2)
	v_add_f64 v[18:19], v[18:19], v[195:196]
	v_add_f64 v[28:29], v[20:21], v[221:222]
	s_delay_alu instid0(VALU_DEP_2)
	v_add_f64 v[34:35], v[18:19], v[215:216]
	ds_load_b128 v[18:21], v1 offset:2016
	ds_load_b128 v[22:25], v1 offset:2032
	s_waitcnt vmcnt(2) lgkmcnt(2)
	v_mul_f64 v[26:27], v[6:7], v[4:5]
	v_mul_f64 v[4:5], v[8:9], v[4:5]
	s_waitcnt vmcnt(1) lgkmcnt(1)
	v_mul_f64 v[36:37], v[18:19], v[12:13]
	s_delay_alu instid0(VALU_DEP_3) | instskip(NEXT) | instid1(VALU_DEP_3)
	v_fma_f64 v[8:9], v[8:9], v[2:3], v[26:27]
	v_fma_f64 v[1:2], v[6:7], v[2:3], -v[4:5]
	v_mul_f64 v[3:4], v[20:21], v[12:13]
	v_add_f64 v[5:6], v[28:29], v[243:244]
	v_add_f64 v[12:13], v[34:35], v[227:228]
	s_waitcnt vmcnt(0) lgkmcnt(0)
	v_mul_f64 v[26:27], v[22:23], v[16:17]
	v_mul_f64 v[16:17], v[24:25], v[16:17]
	v_fma_f64 v[20:21], v[20:21], v[10:11], v[36:37]
	v_fma_f64 v[3:4], v[18:19], v[10:11], -v[3:4]
	v_add_f64 v[1:2], v[5:6], v[1:2]
	v_add_f64 v[5:6], v[12:13], v[8:9]
	v_fma_f64 v[7:8], v[24:25], v[14:15], v[26:27]
	v_fma_f64 v[9:10], v[22:23], v[14:15], -v[16:17]
	s_delay_alu instid0(VALU_DEP_4) | instskip(NEXT) | instid1(VALU_DEP_4)
	v_add_f64 v[1:2], v[1:2], v[3:4]
	v_add_f64 v[3:4], v[5:6], v[20:21]
	s_delay_alu instid0(VALU_DEP_2) | instskip(NEXT) | instid1(VALU_DEP_2)
	v_add_f64 v[1:2], v[1:2], v[9:10]
	v_add_f64 v[3:4], v[3:4], v[7:8]
	s_delay_alu instid0(VALU_DEP_2) | instskip(NEXT) | instid1(VALU_DEP_2)
	v_add_f64 v[1:2], v[30:31], -v[1:2]
	v_add_f64 v[3:4], v[32:33], -v[3:4]
	scratch_store_b128 off, v[1:4], off offset:624
	v_cmpx_lt_u32_e32 38, v178
	s_cbranch_execz .LBB127_332
; %bb.331:
	scratch_load_b32 v1, off, off offset:1120 ; 4-byte Folded Reload
	v_mov_b32_e32 v5, 0
	s_delay_alu instid0(VALU_DEP_1)
	v_mov_b32_e32 v6, v5
	v_mov_b32_e32 v7, v5
	;; [unrolled: 1-line block ×3, first 2 shown]
	s_waitcnt vmcnt(0)
	scratch_load_b128 v[1:4], v1, off
	scratch_store_b128 off, v[5:8], off offset:608
	s_waitcnt vmcnt(0)
	ds_store_b128 v255, v[1:4]
.LBB127_332:
	s_or_b32 exec_lo, exec_lo, s2
	s_waitcnt lgkmcnt(0)
	s_waitcnt_vscnt null, 0x0
	s_barrier
	buffer_gl0_inv
	s_clause 0x4
	scratch_load_b128 v[2:5], off, off offset:624
	scratch_load_b128 v[6:9], off, off offset:640
	;; [unrolled: 1-line block ×5, first 2 shown]
	v_mov_b32_e32 v1, 0
	scratch_load_b128 v[26:29], off, off offset:608
	s_mov_b32 s2, exec_lo
	ds_load_b128 v[22:25], v1 offset:1648
	ds_load_b128 v[30:33], v1 offset:1664
	s_waitcnt vmcnt(5) lgkmcnt(1)
	v_mul_f64 v[34:35], v[24:25], v[4:5]
	v_mul_f64 v[4:5], v[22:23], v[4:5]
	s_waitcnt vmcnt(4) lgkmcnt(0)
	v_mul_f64 v[36:37], v[30:31], v[8:9]
	v_mul_f64 v[8:9], v[32:33], v[8:9]
	s_delay_alu instid0(VALU_DEP_4) | instskip(NEXT) | instid1(VALU_DEP_4)
	v_fma_f64 v[22:23], v[22:23], v[2:3], -v[34:35]
	v_fma_f64 v[24:25], v[24:25], v[2:3], v[4:5]
	ds_load_b128 v[2:5], v1 offset:1680
	v_fma_f64 v[32:33], v[32:33], v[6:7], v[36:37]
	v_fma_f64 v[30:31], v[30:31], v[6:7], -v[8:9]
	ds_load_b128 v[6:9], v1 offset:1696
	s_waitcnt vmcnt(3) lgkmcnt(1)
	v_mul_f64 v[34:35], v[2:3], v[12:13]
	v_mul_f64 v[12:13], v[4:5], v[12:13]
	s_waitcnt vmcnt(2) lgkmcnt(0)
	v_mul_f64 v[36:37], v[6:7], v[16:17]
	s_delay_alu instid0(VALU_DEP_3) | instskip(NEXT) | instid1(VALU_DEP_3)
	v_fma_f64 v[34:35], v[4:5], v[10:11], v[34:35]
	v_fma_f64 v[38:39], v[2:3], v[10:11], -v[12:13]
	v_mul_f64 v[10:11], v[8:9], v[16:17]
	ds_load_b128 v[2:5], v1 offset:1712
	v_fma_f64 v[16:17], v[8:9], v[14:15], v[36:37]
	v_fma_f64 v[14:15], v[6:7], v[14:15], -v[10:11]
	ds_load_b128 v[6:9], v1 offset:1728
	s_waitcnt vmcnt(1) lgkmcnt(1)
	v_mul_f64 v[10:11], v[2:3], v[20:21]
	v_mul_f64 v[12:13], v[4:5], v[20:21]
	s_delay_alu instid0(VALU_DEP_2) | instskip(NEXT) | instid1(VALU_DEP_2)
	v_fma_f64 v[20:21], v[4:5], v[18:19], v[10:11]
	v_fma_f64 v[18:19], v[2:3], v[18:19], -v[12:13]
	s_clause 0x1
	scratch_load_b128 v[2:5], off, off offset:704
	scratch_load_b128 v[10:13], off, off offset:720
	s_waitcnt vmcnt(1) lgkmcnt(0)
	v_mul_f64 v[36:37], v[6:7], v[4:5]
	v_mul_f64 v[4:5], v[8:9], v[4:5]
	s_delay_alu instid0(VALU_DEP_2) | instskip(NEXT) | instid1(VALU_DEP_2)
	v_fma_f64 v[36:37], v[8:9], v[2:3], v[36:37]
	v_fma_f64 v[40:41], v[6:7], v[2:3], -v[4:5]
	ds_load_b128 v[2:5], v1 offset:1744
	ds_load_b128 v[6:9], v1 offset:1760
	s_waitcnt vmcnt(0) lgkmcnt(1)
	v_mul_f64 v[42:43], v[2:3], v[12:13]
	s_delay_alu instid0(VALU_DEP_1) | instskip(SKIP_1) | instid1(VALU_DEP_1)
	v_fma_f64 v[42:43], v[4:5], v[10:11], v[42:43]
	v_mul_f64 v[4:5], v[4:5], v[12:13]
	v_fma_f64 v[44:45], v[2:3], v[10:11], -v[4:5]
	s_clause 0x1
	scratch_load_b128 v[2:5], off, off offset:736
	scratch_load_b128 v[10:13], off, off offset:752
	s_waitcnt vmcnt(1) lgkmcnt(0)
	v_mul_f64 v[46:47], v[6:7], v[4:5]
	v_mul_f64 v[4:5], v[8:9], v[4:5]
	s_delay_alu instid0(VALU_DEP_2) | instskip(NEXT) | instid1(VALU_DEP_2)
	v_fma_f64 v[46:47], v[8:9], v[2:3], v[46:47]
	v_fma_f64 v[48:49], v[6:7], v[2:3], -v[4:5]
	ds_load_b128 v[2:5], v1 offset:1776
	ds_load_b128 v[6:9], v1 offset:1792
	s_waitcnt vmcnt(0) lgkmcnt(1)
	v_mul_f64 v[54:55], v[2:3], v[12:13]
	s_delay_alu instid0(VALU_DEP_1) | instskip(SKIP_1) | instid1(VALU_DEP_1)
	v_fma_f64 v[54:55], v[4:5], v[10:11], v[54:55]
	v_mul_f64 v[4:5], v[4:5], v[12:13]
	;; [unrolled: 17-line block ×8, first 2 shown]
	v_fma_f64 v[243:244], v[2:3], v[10:11], -v[4:5]
	v_add_f64 v[2:3], v[22:23], 0
	v_add_f64 v[4:5], v[24:25], 0
	s_delay_alu instid0(VALU_DEP_2) | instskip(NEXT) | instid1(VALU_DEP_2)
	v_add_f64 v[2:3], v[2:3], v[30:31]
	v_add_f64 v[4:5], v[4:5], v[32:33]
	s_delay_alu instid0(VALU_DEP_2) | instskip(NEXT) | instid1(VALU_DEP_2)
	;; [unrolled: 3-line block ×14, first 2 shown]
	v_add_f64 v[2:3], v[2:3], v[181:182]
	v_add_f64 v[10:11], v[4:5], v[179:180]
	s_delay_alu instid0(VALU_DEP_2)
	v_add_f64 v[12:13], v[2:3], v[185:186]
	scratch_load_b128 v[2:5], off, off offset:960
	v_add_f64 v[14:15], v[10:11], v[183:184]
	v_add_f64 v[16:17], v[12:13], v[189:190]
	scratch_load_b128 v[10:13], off, off offset:976
	v_add_f64 v[18:19], v[14:15], v[187:188]
	;; [unrolled: 3-line block ×4, first 2 shown]
	v_add_f64 v[24:25], v[24:25], v[221:222]
	s_delay_alu instid0(VALU_DEP_2) | instskip(NEXT) | instid1(VALU_DEP_2)
	v_add_f64 v[22:23], v[22:23], v[215:216]
	v_add_f64 v[24:25], v[24:25], v[243:244]
	s_delay_alu instid0(VALU_DEP_2) | instskip(SKIP_3) | instid1(VALU_DEP_2)
	v_add_f64 v[22:23], v[22:23], v[227:228]
	s_waitcnt vmcnt(3) lgkmcnt(0)
	v_mul_f64 v[30:31], v[6:7], v[4:5]
	v_mul_f64 v[4:5], v[8:9], v[4:5]
	v_fma_f64 v[30:31], v[8:9], v[2:3], v[30:31]
	s_delay_alu instid0(VALU_DEP_2)
	v_fma_f64 v[32:33], v[6:7], v[2:3], -v[4:5]
	ds_load_b128 v[2:5], v1 offset:2000
	ds_load_b128 v[6:9], v1 offset:2016
	s_waitcnt vmcnt(2) lgkmcnt(1)
	v_mul_f64 v[34:35], v[2:3], v[12:13]
	v_mul_f64 v[12:13], v[4:5], v[12:13]
	s_waitcnt vmcnt(1) lgkmcnt(0)
	v_mul_f64 v[36:37], v[6:7], v[16:17]
	v_add_f64 v[22:23], v[22:23], v[30:31]
	s_delay_alu instid0(VALU_DEP_4) | instskip(NEXT) | instid1(VALU_DEP_4)
	v_fma_f64 v[34:35], v[4:5], v[10:11], v[34:35]
	v_fma_f64 v[10:11], v[2:3], v[10:11], -v[12:13]
	v_mul_f64 v[12:13], v[8:9], v[16:17]
	v_add_f64 v[16:17], v[24:25], v[32:33]
	ds_load_b128 v[2:5], v1 offset:2032
	v_fma_f64 v[8:9], v[8:9], v[14:15], v[36:37]
	s_waitcnt vmcnt(0) lgkmcnt(0)
	v_mul_f64 v[24:25], v[2:3], v[20:21]
	v_mul_f64 v[20:21], v[4:5], v[20:21]
	v_fma_f64 v[6:7], v[6:7], v[14:15], -v[12:13]
	v_add_f64 v[10:11], v[16:17], v[10:11]
	v_add_f64 v[12:13], v[22:23], v[34:35]
	v_fma_f64 v[4:5], v[4:5], v[18:19], v[24:25]
	v_fma_f64 v[2:3], v[2:3], v[18:19], -v[20:21]
	s_delay_alu instid0(VALU_DEP_4) | instskip(NEXT) | instid1(VALU_DEP_4)
	v_add_f64 v[6:7], v[10:11], v[6:7]
	v_add_f64 v[8:9], v[12:13], v[8:9]
	s_delay_alu instid0(VALU_DEP_2) | instskip(NEXT) | instid1(VALU_DEP_2)
	v_add_f64 v[2:3], v[6:7], v[2:3]
	v_add_f64 v[4:5], v[8:9], v[4:5]
	s_delay_alu instid0(VALU_DEP_2) | instskip(NEXT) | instid1(VALU_DEP_2)
	v_add_f64 v[2:3], v[26:27], -v[2:3]
	v_add_f64 v[4:5], v[28:29], -v[4:5]
	scratch_store_b128 off, v[2:5], off offset:608
	v_cmpx_lt_u32_e32 37, v178
	s_cbranch_execz .LBB127_334
; %bb.333:
	scratch_load_b32 v2, off, off offset:1124 ; 4-byte Folded Reload
	v_mov_b32_e32 v3, v1
	v_mov_b32_e32 v4, v1
	s_waitcnt vmcnt(0)
	scratch_load_b128 v[5:8], v2, off
	v_mov_b32_e32 v2, v1
	scratch_store_b128 off, v[1:4], off offset:592
	s_waitcnt vmcnt(0)
	ds_store_b128 v255, v[5:8]
.LBB127_334:
	s_or_b32 exec_lo, exec_lo, s2
	s_waitcnt lgkmcnt(0)
	s_waitcnt_vscnt null, 0x0
	s_barrier
	buffer_gl0_inv
	s_clause 0x4
	scratch_load_b128 v[2:5], off, off offset:608
	scratch_load_b128 v[6:9], off, off offset:624
	;; [unrolled: 1-line block ×5, first 2 shown]
	ds_load_b128 v[22:25], v1 offset:1632
	ds_load_b128 v[26:29], v1 offset:1648
	scratch_load_b128 v[30:33], off, off offset:592
	s_mov_b32 s2, exec_lo
	s_waitcnt vmcnt(5) lgkmcnt(1)
	v_mul_f64 v[34:35], v[24:25], v[4:5]
	v_mul_f64 v[4:5], v[22:23], v[4:5]
	s_waitcnt vmcnt(4) lgkmcnt(0)
	v_mul_f64 v[36:37], v[26:27], v[8:9]
	v_mul_f64 v[8:9], v[28:29], v[8:9]
	s_delay_alu instid0(VALU_DEP_4) | instskip(NEXT) | instid1(VALU_DEP_4)
	v_fma_f64 v[22:23], v[22:23], v[2:3], -v[34:35]
	v_fma_f64 v[24:25], v[24:25], v[2:3], v[4:5]
	ds_load_b128 v[2:5], v1 offset:1664
	v_fma_f64 v[28:29], v[28:29], v[6:7], v[36:37]
	v_fma_f64 v[26:27], v[26:27], v[6:7], -v[8:9]
	ds_load_b128 v[6:9], v1 offset:1680
	s_waitcnt vmcnt(3) lgkmcnt(1)
	v_mul_f64 v[34:35], v[2:3], v[12:13]
	v_mul_f64 v[12:13], v[4:5], v[12:13]
	s_waitcnt vmcnt(2) lgkmcnt(0)
	v_mul_f64 v[36:37], v[6:7], v[16:17]
	s_delay_alu instid0(VALU_DEP_3) | instskip(NEXT) | instid1(VALU_DEP_3)
	v_fma_f64 v[34:35], v[4:5], v[10:11], v[34:35]
	v_fma_f64 v[38:39], v[2:3], v[10:11], -v[12:13]
	v_mul_f64 v[10:11], v[8:9], v[16:17]
	ds_load_b128 v[2:5], v1 offset:1696
	v_fma_f64 v[16:17], v[8:9], v[14:15], v[36:37]
	v_fma_f64 v[14:15], v[6:7], v[14:15], -v[10:11]
	ds_load_b128 v[6:9], v1 offset:1712
	s_waitcnt vmcnt(1) lgkmcnt(1)
	v_mul_f64 v[10:11], v[2:3], v[20:21]
	v_mul_f64 v[12:13], v[4:5], v[20:21]
	s_delay_alu instid0(VALU_DEP_2) | instskip(NEXT) | instid1(VALU_DEP_2)
	v_fma_f64 v[20:21], v[4:5], v[18:19], v[10:11]
	v_fma_f64 v[18:19], v[2:3], v[18:19], -v[12:13]
	s_clause 0x1
	scratch_load_b128 v[2:5], off, off offset:688
	scratch_load_b128 v[10:13], off, off offset:704
	s_waitcnt vmcnt(1) lgkmcnt(0)
	v_mul_f64 v[36:37], v[6:7], v[4:5]
	v_mul_f64 v[4:5], v[8:9], v[4:5]
	s_delay_alu instid0(VALU_DEP_2) | instskip(NEXT) | instid1(VALU_DEP_2)
	v_fma_f64 v[36:37], v[8:9], v[2:3], v[36:37]
	v_fma_f64 v[40:41], v[6:7], v[2:3], -v[4:5]
	ds_load_b128 v[2:5], v1 offset:1728
	ds_load_b128 v[6:9], v1 offset:1744
	s_waitcnt vmcnt(0) lgkmcnt(1)
	v_mul_f64 v[42:43], v[2:3], v[12:13]
	s_delay_alu instid0(VALU_DEP_1) | instskip(SKIP_1) | instid1(VALU_DEP_1)
	v_fma_f64 v[42:43], v[4:5], v[10:11], v[42:43]
	v_mul_f64 v[4:5], v[4:5], v[12:13]
	v_fma_f64 v[44:45], v[2:3], v[10:11], -v[4:5]
	s_clause 0x1
	scratch_load_b128 v[2:5], off, off offset:720
	scratch_load_b128 v[10:13], off, off offset:736
	s_waitcnt vmcnt(1) lgkmcnt(0)
	v_mul_f64 v[46:47], v[6:7], v[4:5]
	v_mul_f64 v[4:5], v[8:9], v[4:5]
	s_delay_alu instid0(VALU_DEP_2) | instskip(NEXT) | instid1(VALU_DEP_2)
	v_fma_f64 v[46:47], v[8:9], v[2:3], v[46:47]
	v_fma_f64 v[48:49], v[6:7], v[2:3], -v[4:5]
	ds_load_b128 v[2:5], v1 offset:1760
	ds_load_b128 v[6:9], v1 offset:1776
	s_waitcnt vmcnt(0) lgkmcnt(1)
	v_mul_f64 v[54:55], v[2:3], v[12:13]
	s_delay_alu instid0(VALU_DEP_1) | instskip(SKIP_1) | instid1(VALU_DEP_1)
	v_fma_f64 v[54:55], v[4:5], v[10:11], v[54:55]
	v_mul_f64 v[4:5], v[4:5], v[12:13]
	;; [unrolled: 17-line block ×9, first 2 shown]
	v_fma_f64 v[251:252], v[2:3], v[10:11], -v[4:5]
	v_add_f64 v[2:3], v[22:23], 0
	v_add_f64 v[4:5], v[24:25], 0
	s_delay_alu instid0(VALU_DEP_2) | instskip(NEXT) | instid1(VALU_DEP_2)
	v_add_f64 v[2:3], v[2:3], v[26:27]
	v_add_f64 v[4:5], v[4:5], v[28:29]
	s_delay_alu instid0(VALU_DEP_2) | instskip(NEXT) | instid1(VALU_DEP_2)
	;; [unrolled: 3-line block ×16, first 2 shown]
	v_add_f64 v[2:3], v[2:3], v[189:190]
	v_add_f64 v[10:11], v[4:5], v[187:188]
	s_delay_alu instid0(VALU_DEP_2)
	v_add_f64 v[12:13], v[2:3], v[193:194]
	scratch_load_b128 v[2:5], off, off offset:976
	v_add_f64 v[14:15], v[10:11], v[191:192]
	v_add_f64 v[16:17], v[12:13], v[210:211]
	scratch_load_b128 v[10:13], off, off offset:992
	v_add_f64 v[18:19], v[14:15], v[195:196]
	;; [unrolled: 3-line block ×3, first 2 shown]
	v_add_f64 v[20:21], v[20:21], v[243:244]
	s_delay_alu instid0(VALU_DEP_2) | instskip(NEXT) | instid1(VALU_DEP_2)
	v_add_f64 v[18:19], v[18:19], v[227:228]
	v_add_f64 v[28:29], v[20:21], v[247:248]
	s_delay_alu instid0(VALU_DEP_2)
	v_add_f64 v[34:35], v[18:19], v[245:246]
	ds_load_b128 v[18:21], v1 offset:2016
	ds_load_b128 v[22:25], v1 offset:2032
	s_waitcnt vmcnt(2) lgkmcnt(2)
	v_mul_f64 v[26:27], v[6:7], v[4:5]
	v_mul_f64 v[4:5], v[8:9], v[4:5]
	s_waitcnt vmcnt(1) lgkmcnt(1)
	v_mul_f64 v[36:37], v[18:19], v[12:13]
	s_delay_alu instid0(VALU_DEP_3) | instskip(NEXT) | instid1(VALU_DEP_3)
	v_fma_f64 v[8:9], v[8:9], v[2:3], v[26:27]
	v_fma_f64 v[1:2], v[6:7], v[2:3], -v[4:5]
	v_mul_f64 v[3:4], v[20:21], v[12:13]
	v_add_f64 v[5:6], v[28:29], v[251:252]
	v_add_f64 v[12:13], v[34:35], v[249:250]
	s_waitcnt vmcnt(0) lgkmcnt(0)
	v_mul_f64 v[26:27], v[22:23], v[16:17]
	v_mul_f64 v[16:17], v[24:25], v[16:17]
	v_fma_f64 v[20:21], v[20:21], v[10:11], v[36:37]
	v_fma_f64 v[3:4], v[18:19], v[10:11], -v[3:4]
	v_add_f64 v[1:2], v[5:6], v[1:2]
	v_add_f64 v[5:6], v[12:13], v[8:9]
	v_fma_f64 v[7:8], v[24:25], v[14:15], v[26:27]
	v_fma_f64 v[9:10], v[22:23], v[14:15], -v[16:17]
	s_delay_alu instid0(VALU_DEP_4) | instskip(NEXT) | instid1(VALU_DEP_4)
	v_add_f64 v[1:2], v[1:2], v[3:4]
	v_add_f64 v[3:4], v[5:6], v[20:21]
	s_delay_alu instid0(VALU_DEP_2) | instskip(NEXT) | instid1(VALU_DEP_2)
	v_add_f64 v[1:2], v[1:2], v[9:10]
	v_add_f64 v[3:4], v[3:4], v[7:8]
	s_delay_alu instid0(VALU_DEP_2) | instskip(NEXT) | instid1(VALU_DEP_2)
	v_add_f64 v[1:2], v[30:31], -v[1:2]
	v_add_f64 v[3:4], v[32:33], -v[3:4]
	scratch_store_b128 off, v[1:4], off offset:592
	v_cmpx_lt_u32_e32 36, v178
	s_cbranch_execz .LBB127_336
; %bb.335:
	scratch_load_b32 v1, off, off offset:1128 ; 4-byte Folded Reload
	v_mov_b32_e32 v5, 0
	s_delay_alu instid0(VALU_DEP_1)
	v_mov_b32_e32 v6, v5
	v_mov_b32_e32 v7, v5
	;; [unrolled: 1-line block ×3, first 2 shown]
	s_waitcnt vmcnt(0)
	scratch_load_b128 v[1:4], v1, off
	scratch_store_b128 off, v[5:8], off offset:576
	s_waitcnt vmcnt(0)
	ds_store_b128 v255, v[1:4]
.LBB127_336:
	s_or_b32 exec_lo, exec_lo, s2
	s_waitcnt lgkmcnt(0)
	s_waitcnt_vscnt null, 0x0
	s_barrier
	buffer_gl0_inv
	s_clause 0x4
	scratch_load_b128 v[2:5], off, off offset:592
	scratch_load_b128 v[6:9], off, off offset:608
	;; [unrolled: 1-line block ×5, first 2 shown]
	v_mov_b32_e32 v1, 0
	scratch_load_b128 v[26:29], off, off offset:576
	s_mov_b32 s2, exec_lo
	ds_load_b128 v[22:25], v1 offset:1616
	ds_load_b128 v[30:33], v1 offset:1632
	s_waitcnt vmcnt(5) lgkmcnt(1)
	v_mul_f64 v[34:35], v[24:25], v[4:5]
	v_mul_f64 v[4:5], v[22:23], v[4:5]
	s_waitcnt vmcnt(4) lgkmcnt(0)
	v_mul_f64 v[36:37], v[30:31], v[8:9]
	v_mul_f64 v[8:9], v[32:33], v[8:9]
	s_delay_alu instid0(VALU_DEP_4) | instskip(NEXT) | instid1(VALU_DEP_4)
	v_fma_f64 v[22:23], v[22:23], v[2:3], -v[34:35]
	v_fma_f64 v[24:25], v[24:25], v[2:3], v[4:5]
	ds_load_b128 v[2:5], v1 offset:1648
	v_fma_f64 v[32:33], v[32:33], v[6:7], v[36:37]
	v_fma_f64 v[30:31], v[30:31], v[6:7], -v[8:9]
	ds_load_b128 v[6:9], v1 offset:1664
	s_waitcnt vmcnt(3) lgkmcnt(1)
	v_mul_f64 v[34:35], v[2:3], v[12:13]
	v_mul_f64 v[12:13], v[4:5], v[12:13]
	s_waitcnt vmcnt(2) lgkmcnt(0)
	v_mul_f64 v[36:37], v[6:7], v[16:17]
	s_delay_alu instid0(VALU_DEP_3) | instskip(NEXT) | instid1(VALU_DEP_3)
	v_fma_f64 v[34:35], v[4:5], v[10:11], v[34:35]
	v_fma_f64 v[38:39], v[2:3], v[10:11], -v[12:13]
	v_mul_f64 v[10:11], v[8:9], v[16:17]
	ds_load_b128 v[2:5], v1 offset:1680
	v_fma_f64 v[16:17], v[8:9], v[14:15], v[36:37]
	v_fma_f64 v[14:15], v[6:7], v[14:15], -v[10:11]
	ds_load_b128 v[6:9], v1 offset:1696
	s_waitcnt vmcnt(1) lgkmcnt(1)
	v_mul_f64 v[10:11], v[2:3], v[20:21]
	v_mul_f64 v[12:13], v[4:5], v[20:21]
	s_delay_alu instid0(VALU_DEP_2) | instskip(NEXT) | instid1(VALU_DEP_2)
	v_fma_f64 v[20:21], v[4:5], v[18:19], v[10:11]
	v_fma_f64 v[18:19], v[2:3], v[18:19], -v[12:13]
	s_clause 0x1
	scratch_load_b128 v[2:5], off, off offset:672
	scratch_load_b128 v[10:13], off, off offset:688
	s_waitcnt vmcnt(1) lgkmcnt(0)
	v_mul_f64 v[36:37], v[6:7], v[4:5]
	v_mul_f64 v[4:5], v[8:9], v[4:5]
	s_delay_alu instid0(VALU_DEP_2) | instskip(NEXT) | instid1(VALU_DEP_2)
	v_fma_f64 v[36:37], v[8:9], v[2:3], v[36:37]
	v_fma_f64 v[40:41], v[6:7], v[2:3], -v[4:5]
	ds_load_b128 v[2:5], v1 offset:1712
	ds_load_b128 v[6:9], v1 offset:1728
	s_waitcnt vmcnt(0) lgkmcnt(1)
	v_mul_f64 v[42:43], v[2:3], v[12:13]
	s_delay_alu instid0(VALU_DEP_1) | instskip(SKIP_1) | instid1(VALU_DEP_1)
	v_fma_f64 v[42:43], v[4:5], v[10:11], v[42:43]
	v_mul_f64 v[4:5], v[4:5], v[12:13]
	v_fma_f64 v[44:45], v[2:3], v[10:11], -v[4:5]
	s_clause 0x1
	scratch_load_b128 v[2:5], off, off offset:704
	scratch_load_b128 v[10:13], off, off offset:720
	s_waitcnt vmcnt(1) lgkmcnt(0)
	v_mul_f64 v[46:47], v[6:7], v[4:5]
	v_mul_f64 v[4:5], v[8:9], v[4:5]
	s_delay_alu instid0(VALU_DEP_2) | instskip(NEXT) | instid1(VALU_DEP_2)
	v_fma_f64 v[46:47], v[8:9], v[2:3], v[46:47]
	v_fma_f64 v[48:49], v[6:7], v[2:3], -v[4:5]
	ds_load_b128 v[2:5], v1 offset:1744
	ds_load_b128 v[6:9], v1 offset:1760
	s_waitcnt vmcnt(0) lgkmcnt(1)
	v_mul_f64 v[54:55], v[2:3], v[12:13]
	s_delay_alu instid0(VALU_DEP_1) | instskip(SKIP_1) | instid1(VALU_DEP_1)
	v_fma_f64 v[54:55], v[4:5], v[10:11], v[54:55]
	v_mul_f64 v[4:5], v[4:5], v[12:13]
	;; [unrolled: 17-line block ×9, first 2 shown]
	v_fma_f64 v[251:252], v[2:3], v[10:11], -v[4:5]
	v_add_f64 v[2:3], v[22:23], 0
	v_add_f64 v[4:5], v[24:25], 0
	s_delay_alu instid0(VALU_DEP_2) | instskip(NEXT) | instid1(VALU_DEP_2)
	v_add_f64 v[2:3], v[2:3], v[30:31]
	v_add_f64 v[4:5], v[4:5], v[32:33]
	s_delay_alu instid0(VALU_DEP_2) | instskip(NEXT) | instid1(VALU_DEP_2)
	;; [unrolled: 3-line block ×16, first 2 shown]
	v_add_f64 v[2:3], v[2:3], v[189:190]
	v_add_f64 v[10:11], v[4:5], v[187:188]
	s_delay_alu instid0(VALU_DEP_2)
	v_add_f64 v[12:13], v[2:3], v[193:194]
	scratch_load_b128 v[2:5], off, off offset:960
	v_add_f64 v[14:15], v[10:11], v[191:192]
	v_add_f64 v[16:17], v[12:13], v[210:211]
	scratch_load_b128 v[10:13], off, off offset:976
	v_add_f64 v[18:19], v[14:15], v[195:196]
	;; [unrolled: 3-line block ×4, first 2 shown]
	v_add_f64 v[24:25], v[24:25], v[247:248]
	s_delay_alu instid0(VALU_DEP_2) | instskip(NEXT) | instid1(VALU_DEP_2)
	v_add_f64 v[22:23], v[22:23], v[245:246]
	v_add_f64 v[24:25], v[24:25], v[251:252]
	s_delay_alu instid0(VALU_DEP_2) | instskip(SKIP_3) | instid1(VALU_DEP_2)
	v_add_f64 v[22:23], v[22:23], v[249:250]
	s_waitcnt vmcnt(3) lgkmcnt(0)
	v_mul_f64 v[30:31], v[6:7], v[4:5]
	v_mul_f64 v[4:5], v[8:9], v[4:5]
	v_fma_f64 v[30:31], v[8:9], v[2:3], v[30:31]
	s_delay_alu instid0(VALU_DEP_2)
	v_fma_f64 v[32:33], v[6:7], v[2:3], -v[4:5]
	ds_load_b128 v[2:5], v1 offset:2000
	ds_load_b128 v[6:9], v1 offset:2016
	s_waitcnt vmcnt(2) lgkmcnt(1)
	v_mul_f64 v[34:35], v[2:3], v[12:13]
	v_mul_f64 v[12:13], v[4:5], v[12:13]
	s_waitcnt vmcnt(1) lgkmcnt(0)
	v_mul_f64 v[36:37], v[6:7], v[16:17]
	v_add_f64 v[22:23], v[22:23], v[30:31]
	s_delay_alu instid0(VALU_DEP_4) | instskip(NEXT) | instid1(VALU_DEP_4)
	v_fma_f64 v[34:35], v[4:5], v[10:11], v[34:35]
	v_fma_f64 v[10:11], v[2:3], v[10:11], -v[12:13]
	v_mul_f64 v[12:13], v[8:9], v[16:17]
	v_add_f64 v[16:17], v[24:25], v[32:33]
	ds_load_b128 v[2:5], v1 offset:2032
	v_fma_f64 v[8:9], v[8:9], v[14:15], v[36:37]
	s_waitcnt vmcnt(0) lgkmcnt(0)
	v_mul_f64 v[24:25], v[2:3], v[20:21]
	v_mul_f64 v[20:21], v[4:5], v[20:21]
	v_fma_f64 v[6:7], v[6:7], v[14:15], -v[12:13]
	v_add_f64 v[10:11], v[16:17], v[10:11]
	v_add_f64 v[12:13], v[22:23], v[34:35]
	v_fma_f64 v[4:5], v[4:5], v[18:19], v[24:25]
	v_fma_f64 v[2:3], v[2:3], v[18:19], -v[20:21]
	s_delay_alu instid0(VALU_DEP_4) | instskip(NEXT) | instid1(VALU_DEP_4)
	v_add_f64 v[6:7], v[10:11], v[6:7]
	v_add_f64 v[8:9], v[12:13], v[8:9]
	s_delay_alu instid0(VALU_DEP_2) | instskip(NEXT) | instid1(VALU_DEP_2)
	v_add_f64 v[2:3], v[6:7], v[2:3]
	v_add_f64 v[4:5], v[8:9], v[4:5]
	s_delay_alu instid0(VALU_DEP_2) | instskip(NEXT) | instid1(VALU_DEP_2)
	v_add_f64 v[2:3], v[26:27], -v[2:3]
	v_add_f64 v[4:5], v[28:29], -v[4:5]
	scratch_store_b128 off, v[2:5], off offset:576
	v_cmpx_lt_u32_e32 35, v178
	s_cbranch_execz .LBB127_338
; %bb.337:
	scratch_load_b32 v2, off, off offset:1132 ; 4-byte Folded Reload
	v_mov_b32_e32 v3, v1
	v_mov_b32_e32 v4, v1
	s_waitcnt vmcnt(0)
	scratch_load_b128 v[5:8], v2, off
	v_mov_b32_e32 v2, v1
	scratch_store_b128 off, v[1:4], off offset:560
	s_waitcnt vmcnt(0)
	ds_store_b128 v255, v[5:8]
.LBB127_338:
	s_or_b32 exec_lo, exec_lo, s2
	s_waitcnt lgkmcnt(0)
	s_waitcnt_vscnt null, 0x0
	s_barrier
	buffer_gl0_inv
	s_clause 0x4
	scratch_load_b128 v[2:5], off, off offset:576
	scratch_load_b128 v[6:9], off, off offset:592
	scratch_load_b128 v[10:13], off, off offset:608
	scratch_load_b128 v[14:17], off, off offset:624
	scratch_load_b128 v[18:21], off, off offset:640
	ds_load_b128 v[22:25], v1 offset:1600
	ds_load_b128 v[26:29], v1 offset:1616
	scratch_load_b128 v[30:33], off, off offset:560
	s_mov_b32 s2, exec_lo
	s_waitcnt vmcnt(5) lgkmcnt(1)
	v_mul_f64 v[34:35], v[24:25], v[4:5]
	v_mul_f64 v[4:5], v[22:23], v[4:5]
	s_waitcnt vmcnt(4) lgkmcnt(0)
	v_mul_f64 v[36:37], v[26:27], v[8:9]
	v_mul_f64 v[8:9], v[28:29], v[8:9]
	s_delay_alu instid0(VALU_DEP_4) | instskip(NEXT) | instid1(VALU_DEP_4)
	v_fma_f64 v[22:23], v[22:23], v[2:3], -v[34:35]
	v_fma_f64 v[24:25], v[24:25], v[2:3], v[4:5]
	ds_load_b128 v[2:5], v1 offset:1632
	v_fma_f64 v[28:29], v[28:29], v[6:7], v[36:37]
	v_fma_f64 v[26:27], v[26:27], v[6:7], -v[8:9]
	ds_load_b128 v[6:9], v1 offset:1648
	s_waitcnt vmcnt(3) lgkmcnt(1)
	v_mul_f64 v[34:35], v[2:3], v[12:13]
	v_mul_f64 v[12:13], v[4:5], v[12:13]
	s_waitcnt vmcnt(2) lgkmcnt(0)
	v_mul_f64 v[36:37], v[6:7], v[16:17]
	s_delay_alu instid0(VALU_DEP_3) | instskip(NEXT) | instid1(VALU_DEP_3)
	v_fma_f64 v[34:35], v[4:5], v[10:11], v[34:35]
	v_fma_f64 v[38:39], v[2:3], v[10:11], -v[12:13]
	v_mul_f64 v[10:11], v[8:9], v[16:17]
	ds_load_b128 v[2:5], v1 offset:1664
	v_fma_f64 v[16:17], v[8:9], v[14:15], v[36:37]
	v_fma_f64 v[14:15], v[6:7], v[14:15], -v[10:11]
	ds_load_b128 v[6:9], v1 offset:1680
	s_waitcnt vmcnt(1) lgkmcnt(1)
	v_mul_f64 v[10:11], v[2:3], v[20:21]
	v_mul_f64 v[12:13], v[4:5], v[20:21]
	s_delay_alu instid0(VALU_DEP_2) | instskip(NEXT) | instid1(VALU_DEP_2)
	v_fma_f64 v[20:21], v[4:5], v[18:19], v[10:11]
	v_fma_f64 v[18:19], v[2:3], v[18:19], -v[12:13]
	s_clause 0x1
	scratch_load_b128 v[2:5], off, off offset:656
	scratch_load_b128 v[10:13], off, off offset:672
	s_waitcnt vmcnt(1) lgkmcnt(0)
	v_mul_f64 v[36:37], v[6:7], v[4:5]
	v_mul_f64 v[4:5], v[8:9], v[4:5]
	s_delay_alu instid0(VALU_DEP_2) | instskip(NEXT) | instid1(VALU_DEP_2)
	v_fma_f64 v[36:37], v[8:9], v[2:3], v[36:37]
	v_fma_f64 v[40:41], v[6:7], v[2:3], -v[4:5]
	ds_load_b128 v[2:5], v1 offset:1696
	ds_load_b128 v[6:9], v1 offset:1712
	s_waitcnt vmcnt(0) lgkmcnt(1)
	v_mul_f64 v[42:43], v[2:3], v[12:13]
	s_delay_alu instid0(VALU_DEP_1) | instskip(SKIP_1) | instid1(VALU_DEP_1)
	v_fma_f64 v[42:43], v[4:5], v[10:11], v[42:43]
	v_mul_f64 v[4:5], v[4:5], v[12:13]
	v_fma_f64 v[44:45], v[2:3], v[10:11], -v[4:5]
	s_clause 0x1
	scratch_load_b128 v[2:5], off, off offset:688
	scratch_load_b128 v[10:13], off, off offset:704
	s_waitcnt vmcnt(1) lgkmcnt(0)
	v_mul_f64 v[46:47], v[6:7], v[4:5]
	v_mul_f64 v[4:5], v[8:9], v[4:5]
	s_delay_alu instid0(VALU_DEP_2) | instskip(NEXT) | instid1(VALU_DEP_2)
	v_fma_f64 v[46:47], v[8:9], v[2:3], v[46:47]
	v_fma_f64 v[48:49], v[6:7], v[2:3], -v[4:5]
	ds_load_b128 v[2:5], v1 offset:1728
	ds_load_b128 v[6:9], v1 offset:1744
	s_waitcnt vmcnt(0) lgkmcnt(1)
	v_mul_f64 v[54:55], v[2:3], v[12:13]
	s_delay_alu instid0(VALU_DEP_1) | instskip(SKIP_1) | instid1(VALU_DEP_1)
	v_fma_f64 v[54:55], v[4:5], v[10:11], v[54:55]
	v_mul_f64 v[4:5], v[4:5], v[12:13]
	v_fma_f64 v[56:57], v[2:3], v[10:11], -v[4:5]
	s_clause 0x1
	scratch_load_b128 v[2:5], off, off offset:720
	scratch_load_b128 v[10:13], off, off offset:736
	s_waitcnt vmcnt(1) lgkmcnt(0)
	v_mul_f64 v[58:59], v[6:7], v[4:5]
	v_mul_f64 v[4:5], v[8:9], v[4:5]
	s_delay_alu instid0(VALU_DEP_2) | instskip(NEXT) | instid1(VALU_DEP_2)
	v_fma_f64 v[58:59], v[8:9], v[2:3], v[58:59]
	v_fma_f64 v[60:61], v[6:7], v[2:3], -v[4:5]
	ds_load_b128 v[2:5], v1 offset:1760
	ds_load_b128 v[6:9], v1 offset:1776
	s_waitcnt vmcnt(0) lgkmcnt(1)
	v_mul_f64 v[86:87], v[2:3], v[12:13]
	s_delay_alu instid0(VALU_DEP_1) | instskip(SKIP_1) | instid1(VALU_DEP_1)
	v_fma_f64 v[86:87], v[4:5], v[10:11], v[86:87]
	v_mul_f64 v[4:5], v[4:5], v[12:13]
	v_fma_f64 v[92:93], v[2:3], v[10:11], -v[4:5]
	s_clause 0x1
	scratch_load_b128 v[2:5], off, off offset:752
	scratch_load_b128 v[10:13], off, off offset:768
	s_waitcnt vmcnt(1) lgkmcnt(0)
	v_mul_f64 v[94:95], v[6:7], v[4:5]
	v_mul_f64 v[4:5], v[8:9], v[4:5]
	s_delay_alu instid0(VALU_DEP_2) | instskip(NEXT) | instid1(VALU_DEP_2)
	v_fma_f64 v[94:95], v[8:9], v[2:3], v[94:95]
	v_fma_f64 v[96:97], v[6:7], v[2:3], -v[4:5]
	ds_load_b128 v[2:5], v1 offset:1792
	ds_load_b128 v[6:9], v1 offset:1808
	s_waitcnt vmcnt(0) lgkmcnt(1)
	v_mul_f64 v[98:99], v[2:3], v[12:13]
	s_delay_alu instid0(VALU_DEP_1) | instskip(SKIP_1) | instid1(VALU_DEP_1)
	v_fma_f64 v[98:99], v[4:5], v[10:11], v[98:99]
	v_mul_f64 v[4:5], v[4:5], v[12:13]
	v_fma_f64 v[100:101], v[2:3], v[10:11], -v[4:5]
	s_clause 0x1
	scratch_load_b128 v[2:5], off, off offset:784
	scratch_load_b128 v[10:13], off, off offset:800
	s_waitcnt vmcnt(1) lgkmcnt(0)
	v_mul_f64 v[102:103], v[6:7], v[4:5]
	v_mul_f64 v[4:5], v[8:9], v[4:5]
	s_delay_alu instid0(VALU_DEP_2) | instskip(NEXT) | instid1(VALU_DEP_2)
	v_fma_f64 v[102:103], v[8:9], v[2:3], v[102:103]
	v_fma_f64 v[104:105], v[6:7], v[2:3], -v[4:5]
	ds_load_b128 v[2:5], v1 offset:1824
	ds_load_b128 v[6:9], v1 offset:1840
	s_waitcnt vmcnt(0) lgkmcnt(1)
	v_mul_f64 v[179:180], v[2:3], v[12:13]
	s_delay_alu instid0(VALU_DEP_1) | instskip(SKIP_1) | instid1(VALU_DEP_1)
	v_fma_f64 v[179:180], v[4:5], v[10:11], v[179:180]
	v_mul_f64 v[4:5], v[4:5], v[12:13]
	v_fma_f64 v[181:182], v[2:3], v[10:11], -v[4:5]
	s_clause 0x1
	scratch_load_b128 v[2:5], off, off offset:816
	scratch_load_b128 v[10:13], off, off offset:832
	s_waitcnt vmcnt(1) lgkmcnt(0)
	v_mul_f64 v[183:184], v[6:7], v[4:5]
	v_mul_f64 v[4:5], v[8:9], v[4:5]
	s_delay_alu instid0(VALU_DEP_2) | instskip(NEXT) | instid1(VALU_DEP_2)
	v_fma_f64 v[183:184], v[8:9], v[2:3], v[183:184]
	v_fma_f64 v[185:186], v[6:7], v[2:3], -v[4:5]
	ds_load_b128 v[2:5], v1 offset:1856
	ds_load_b128 v[6:9], v1 offset:1872
	s_waitcnt vmcnt(0) lgkmcnt(1)
	v_mul_f64 v[187:188], v[2:3], v[12:13]
	s_delay_alu instid0(VALU_DEP_1) | instskip(SKIP_1) | instid1(VALU_DEP_1)
	v_fma_f64 v[187:188], v[4:5], v[10:11], v[187:188]
	v_mul_f64 v[4:5], v[4:5], v[12:13]
	v_fma_f64 v[189:190], v[2:3], v[10:11], -v[4:5]
	s_clause 0x1
	scratch_load_b128 v[2:5], off, off offset:848
	scratch_load_b128 v[10:13], off, off offset:864
	s_waitcnt vmcnt(1) lgkmcnt(0)
	v_mul_f64 v[191:192], v[6:7], v[4:5]
	v_mul_f64 v[4:5], v[8:9], v[4:5]
	s_delay_alu instid0(VALU_DEP_2) | instskip(NEXT) | instid1(VALU_DEP_2)
	v_fma_f64 v[191:192], v[8:9], v[2:3], v[191:192]
	v_fma_f64 v[193:194], v[6:7], v[2:3], -v[4:5]
	ds_load_b128 v[2:5], v1 offset:1888
	ds_load_b128 v[6:9], v1 offset:1904
	s_waitcnt vmcnt(0) lgkmcnt(1)
	v_mul_f64 v[195:196], v[2:3], v[12:13]
	s_delay_alu instid0(VALU_DEP_1) | instskip(SKIP_1) | instid1(VALU_DEP_1)
	v_fma_f64 v[195:196], v[4:5], v[10:11], v[195:196]
	v_mul_f64 v[4:5], v[4:5], v[12:13]
	v_fma_f64 v[210:211], v[2:3], v[10:11], -v[4:5]
	s_clause 0x1
	scratch_load_b128 v[2:5], off, off offset:880
	scratch_load_b128 v[10:13], off, off offset:896
	s_waitcnt vmcnt(1) lgkmcnt(0)
	v_mul_f64 v[215:216], v[6:7], v[4:5]
	v_mul_f64 v[4:5], v[8:9], v[4:5]
	s_delay_alu instid0(VALU_DEP_2) | instskip(NEXT) | instid1(VALU_DEP_2)
	v_fma_f64 v[215:216], v[8:9], v[2:3], v[215:216]
	v_fma_f64 v[221:222], v[6:7], v[2:3], -v[4:5]
	ds_load_b128 v[2:5], v1 offset:1920
	ds_load_b128 v[6:9], v1 offset:1936
	s_waitcnt vmcnt(0) lgkmcnt(1)
	v_mul_f64 v[227:228], v[2:3], v[12:13]
	s_delay_alu instid0(VALU_DEP_1) | instskip(SKIP_1) | instid1(VALU_DEP_1)
	v_fma_f64 v[227:228], v[4:5], v[10:11], v[227:228]
	v_mul_f64 v[4:5], v[4:5], v[12:13]
	v_fma_f64 v[243:244], v[2:3], v[10:11], -v[4:5]
	s_clause 0x1
	scratch_load_b128 v[2:5], off, off offset:912
	scratch_load_b128 v[10:13], off, off offset:928
	s_waitcnt vmcnt(1) lgkmcnt(0)
	v_mul_f64 v[245:246], v[6:7], v[4:5]
	v_mul_f64 v[4:5], v[8:9], v[4:5]
	s_delay_alu instid0(VALU_DEP_2) | instskip(NEXT) | instid1(VALU_DEP_2)
	v_fma_f64 v[245:246], v[8:9], v[2:3], v[245:246]
	v_fma_f64 v[247:248], v[6:7], v[2:3], -v[4:5]
	ds_load_b128 v[2:5], v1 offset:1952
	ds_load_b128 v[6:9], v1 offset:1968
	s_waitcnt vmcnt(0) lgkmcnt(1)
	v_mul_f64 v[249:250], v[2:3], v[12:13]
	s_delay_alu instid0(VALU_DEP_1) | instskip(SKIP_1) | instid1(VALU_DEP_1)
	v_fma_f64 v[249:250], v[4:5], v[10:11], v[249:250]
	v_mul_f64 v[4:5], v[4:5], v[12:13]
	v_fma_f64 v[251:252], v[2:3], v[10:11], -v[4:5]
	s_clause 0x1
	scratch_load_b128 v[2:5], off, off offset:944
	scratch_load_b128 v[10:13], off, off offset:960
	s_waitcnt vmcnt(1) lgkmcnt(0)
	v_mul_f64 v[233:234], v[6:7], v[4:5]
	v_mul_f64 v[4:5], v[8:9], v[4:5]
	s_delay_alu instid0(VALU_DEP_2) | instskip(NEXT) | instid1(VALU_DEP_2)
	v_fma_f64 v[233:234], v[8:9], v[2:3], v[233:234]
	v_fma_f64 v[197:198], v[6:7], v[2:3], -v[4:5]
	ds_load_b128 v[2:5], v1 offset:1984
	ds_load_b128 v[6:9], v1 offset:2000
	s_waitcnt vmcnt(0) lgkmcnt(1)
	v_mul_f64 v[199:200], v[2:3], v[12:13]
	s_delay_alu instid0(VALU_DEP_1) | instskip(SKIP_1) | instid1(VALU_DEP_1)
	v_fma_f64 v[199:200], v[4:5], v[10:11], v[199:200]
	v_mul_f64 v[4:5], v[4:5], v[12:13]
	v_fma_f64 v[201:202], v[2:3], v[10:11], -v[4:5]
	v_add_f64 v[2:3], v[22:23], 0
	v_add_f64 v[4:5], v[24:25], 0
	s_delay_alu instid0(VALU_DEP_2) | instskip(NEXT) | instid1(VALU_DEP_2)
	v_add_f64 v[2:3], v[2:3], v[26:27]
	v_add_f64 v[4:5], v[4:5], v[28:29]
	s_delay_alu instid0(VALU_DEP_2) | instskip(NEXT) | instid1(VALU_DEP_2)
	v_add_f64 v[2:3], v[2:3], v[38:39]
	v_add_f64 v[4:5], v[4:5], v[34:35]
	s_delay_alu instid0(VALU_DEP_2) | instskip(NEXT) | instid1(VALU_DEP_2)
	v_add_f64 v[2:3], v[2:3], v[14:15]
	v_add_f64 v[4:5], v[4:5], v[16:17]
	s_delay_alu instid0(VALU_DEP_2) | instskip(NEXT) | instid1(VALU_DEP_2)
	v_add_f64 v[2:3], v[2:3], v[18:19]
	v_add_f64 v[4:5], v[4:5], v[20:21]
	s_delay_alu instid0(VALU_DEP_2) | instskip(NEXT) | instid1(VALU_DEP_2)
	v_add_f64 v[2:3], v[2:3], v[40:41]
	v_add_f64 v[4:5], v[4:5], v[36:37]
	s_delay_alu instid0(VALU_DEP_2) | instskip(NEXT) | instid1(VALU_DEP_2)
	v_add_f64 v[2:3], v[2:3], v[44:45]
	v_add_f64 v[4:5], v[4:5], v[42:43]
	s_delay_alu instid0(VALU_DEP_2) | instskip(NEXT) | instid1(VALU_DEP_2)
	v_add_f64 v[2:3], v[2:3], v[48:49]
	v_add_f64 v[4:5], v[4:5], v[46:47]
	s_delay_alu instid0(VALU_DEP_2) | instskip(NEXT) | instid1(VALU_DEP_2)
	v_add_f64 v[2:3], v[2:3], v[56:57]
	v_add_f64 v[4:5], v[4:5], v[54:55]
	s_delay_alu instid0(VALU_DEP_2) | instskip(NEXT) | instid1(VALU_DEP_2)
	v_add_f64 v[2:3], v[2:3], v[60:61]
	v_add_f64 v[4:5], v[4:5], v[58:59]
	s_delay_alu instid0(VALU_DEP_2) | instskip(NEXT) | instid1(VALU_DEP_2)
	v_add_f64 v[2:3], v[2:3], v[92:93]
	v_add_f64 v[4:5], v[4:5], v[86:87]
	s_delay_alu instid0(VALU_DEP_2) | instskip(NEXT) | instid1(VALU_DEP_2)
	v_add_f64 v[2:3], v[2:3], v[96:97]
	v_add_f64 v[4:5], v[4:5], v[94:95]
	s_delay_alu instid0(VALU_DEP_2) | instskip(NEXT) | instid1(VALU_DEP_2)
	v_add_f64 v[2:3], v[2:3], v[100:101]
	v_add_f64 v[4:5], v[4:5], v[98:99]
	s_delay_alu instid0(VALU_DEP_2) | instskip(NEXT) | instid1(VALU_DEP_2)
	v_add_f64 v[2:3], v[2:3], v[104:105]
	v_add_f64 v[4:5], v[4:5], v[102:103]
	s_delay_alu instid0(VALU_DEP_2) | instskip(NEXT) | instid1(VALU_DEP_2)
	v_add_f64 v[2:3], v[2:3], v[181:182]
	v_add_f64 v[4:5], v[4:5], v[179:180]
	s_delay_alu instid0(VALU_DEP_2) | instskip(NEXT) | instid1(VALU_DEP_2)
	v_add_f64 v[2:3], v[2:3], v[185:186]
	v_add_f64 v[4:5], v[4:5], v[183:184]
	s_delay_alu instid0(VALU_DEP_2) | instskip(NEXT) | instid1(VALU_DEP_2)
	v_add_f64 v[2:3], v[2:3], v[189:190]
	v_add_f64 v[4:5], v[4:5], v[187:188]
	s_delay_alu instid0(VALU_DEP_2) | instskip(NEXT) | instid1(VALU_DEP_2)
	v_add_f64 v[2:3], v[2:3], v[193:194]
	v_add_f64 v[4:5], v[4:5], v[191:192]
	s_delay_alu instid0(VALU_DEP_2) | instskip(NEXT) | instid1(VALU_DEP_2)
	v_add_f64 v[2:3], v[2:3], v[210:211]
	v_add_f64 v[10:11], v[4:5], v[195:196]
	s_delay_alu instid0(VALU_DEP_2)
	v_add_f64 v[12:13], v[2:3], v[221:222]
	scratch_load_b128 v[2:5], off, off offset:976
	v_add_f64 v[14:15], v[10:11], v[215:216]
	v_add_f64 v[16:17], v[12:13], v[243:244]
	scratch_load_b128 v[10:13], off, off offset:992
	v_add_f64 v[18:19], v[14:15], v[227:228]
	;; [unrolled: 3-line block ×3, first 2 shown]
	v_add_f64 v[20:21], v[20:21], v[251:252]
	s_delay_alu instid0(VALU_DEP_2) | instskip(NEXT) | instid1(VALU_DEP_2)
	v_add_f64 v[18:19], v[18:19], v[249:250]
	v_add_f64 v[28:29], v[20:21], v[197:198]
	s_delay_alu instid0(VALU_DEP_2)
	v_add_f64 v[34:35], v[18:19], v[233:234]
	ds_load_b128 v[18:21], v1 offset:2016
	ds_load_b128 v[22:25], v1 offset:2032
	s_waitcnt vmcnt(2) lgkmcnt(2)
	v_mul_f64 v[26:27], v[6:7], v[4:5]
	v_mul_f64 v[4:5], v[8:9], v[4:5]
	s_waitcnt vmcnt(1) lgkmcnt(1)
	v_mul_f64 v[36:37], v[18:19], v[12:13]
	s_delay_alu instid0(VALU_DEP_3) | instskip(NEXT) | instid1(VALU_DEP_3)
	v_fma_f64 v[8:9], v[8:9], v[2:3], v[26:27]
	v_fma_f64 v[1:2], v[6:7], v[2:3], -v[4:5]
	v_mul_f64 v[3:4], v[20:21], v[12:13]
	v_add_f64 v[5:6], v[28:29], v[201:202]
	v_add_f64 v[12:13], v[34:35], v[199:200]
	s_waitcnt vmcnt(0) lgkmcnt(0)
	v_mul_f64 v[26:27], v[22:23], v[16:17]
	v_mul_f64 v[16:17], v[24:25], v[16:17]
	v_fma_f64 v[20:21], v[20:21], v[10:11], v[36:37]
	v_fma_f64 v[3:4], v[18:19], v[10:11], -v[3:4]
	v_add_f64 v[1:2], v[5:6], v[1:2]
	v_add_f64 v[5:6], v[12:13], v[8:9]
	v_fma_f64 v[7:8], v[24:25], v[14:15], v[26:27]
	v_fma_f64 v[9:10], v[22:23], v[14:15], -v[16:17]
	s_delay_alu instid0(VALU_DEP_4) | instskip(NEXT) | instid1(VALU_DEP_4)
	v_add_f64 v[1:2], v[1:2], v[3:4]
	v_add_f64 v[3:4], v[5:6], v[20:21]
	s_delay_alu instid0(VALU_DEP_2) | instskip(NEXT) | instid1(VALU_DEP_2)
	v_add_f64 v[1:2], v[1:2], v[9:10]
	v_add_f64 v[3:4], v[3:4], v[7:8]
	s_delay_alu instid0(VALU_DEP_2) | instskip(NEXT) | instid1(VALU_DEP_2)
	v_add_f64 v[1:2], v[30:31], -v[1:2]
	v_add_f64 v[3:4], v[32:33], -v[3:4]
	scratch_store_b128 off, v[1:4], off offset:560
	v_cmpx_lt_u32_e32 34, v178
	s_cbranch_execz .LBB127_340
; %bb.339:
	scratch_load_b32 v1, off, off offset:1136 ; 4-byte Folded Reload
	v_mov_b32_e32 v5, 0
	s_delay_alu instid0(VALU_DEP_1)
	v_mov_b32_e32 v6, v5
	v_mov_b32_e32 v7, v5
	;; [unrolled: 1-line block ×3, first 2 shown]
	s_waitcnt vmcnt(0)
	scratch_load_b128 v[1:4], v1, off
	scratch_store_b128 off, v[5:8], off offset:544
	s_waitcnt vmcnt(0)
	ds_store_b128 v255, v[1:4]
.LBB127_340:
	s_or_b32 exec_lo, exec_lo, s2
	s_waitcnt lgkmcnt(0)
	s_waitcnt_vscnt null, 0x0
	s_barrier
	buffer_gl0_inv
	s_clause 0x4
	scratch_load_b128 v[2:5], off, off offset:560
	scratch_load_b128 v[6:9], off, off offset:576
	;; [unrolled: 1-line block ×5, first 2 shown]
	v_mov_b32_e32 v1, 0
	scratch_load_b128 v[26:29], off, off offset:544
	s_mov_b32 s2, exec_lo
	ds_load_b128 v[22:25], v1 offset:1584
	ds_load_b128 v[30:33], v1 offset:1600
	s_waitcnt vmcnt(5) lgkmcnt(1)
	v_mul_f64 v[34:35], v[24:25], v[4:5]
	v_mul_f64 v[4:5], v[22:23], v[4:5]
	s_waitcnt vmcnt(4) lgkmcnt(0)
	v_mul_f64 v[36:37], v[30:31], v[8:9]
	v_mul_f64 v[8:9], v[32:33], v[8:9]
	s_delay_alu instid0(VALU_DEP_4) | instskip(NEXT) | instid1(VALU_DEP_4)
	v_fma_f64 v[22:23], v[22:23], v[2:3], -v[34:35]
	v_fma_f64 v[24:25], v[24:25], v[2:3], v[4:5]
	ds_load_b128 v[2:5], v1 offset:1616
	v_fma_f64 v[32:33], v[32:33], v[6:7], v[36:37]
	v_fma_f64 v[30:31], v[30:31], v[6:7], -v[8:9]
	ds_load_b128 v[6:9], v1 offset:1632
	s_waitcnt vmcnt(3) lgkmcnt(1)
	v_mul_f64 v[34:35], v[2:3], v[12:13]
	v_mul_f64 v[12:13], v[4:5], v[12:13]
	s_waitcnt vmcnt(2) lgkmcnt(0)
	v_mul_f64 v[36:37], v[6:7], v[16:17]
	s_delay_alu instid0(VALU_DEP_3) | instskip(NEXT) | instid1(VALU_DEP_3)
	v_fma_f64 v[34:35], v[4:5], v[10:11], v[34:35]
	v_fma_f64 v[38:39], v[2:3], v[10:11], -v[12:13]
	v_mul_f64 v[10:11], v[8:9], v[16:17]
	ds_load_b128 v[2:5], v1 offset:1648
	v_fma_f64 v[16:17], v[8:9], v[14:15], v[36:37]
	v_fma_f64 v[14:15], v[6:7], v[14:15], -v[10:11]
	ds_load_b128 v[6:9], v1 offset:1664
	s_waitcnt vmcnt(1) lgkmcnt(1)
	v_mul_f64 v[10:11], v[2:3], v[20:21]
	v_mul_f64 v[12:13], v[4:5], v[20:21]
	s_delay_alu instid0(VALU_DEP_2) | instskip(NEXT) | instid1(VALU_DEP_2)
	v_fma_f64 v[20:21], v[4:5], v[18:19], v[10:11]
	v_fma_f64 v[18:19], v[2:3], v[18:19], -v[12:13]
	s_clause 0x1
	scratch_load_b128 v[2:5], off, off offset:640
	scratch_load_b128 v[10:13], off, off offset:656
	s_waitcnt vmcnt(1) lgkmcnt(0)
	v_mul_f64 v[36:37], v[6:7], v[4:5]
	v_mul_f64 v[4:5], v[8:9], v[4:5]
	s_delay_alu instid0(VALU_DEP_2) | instskip(NEXT) | instid1(VALU_DEP_2)
	v_fma_f64 v[36:37], v[8:9], v[2:3], v[36:37]
	v_fma_f64 v[40:41], v[6:7], v[2:3], -v[4:5]
	ds_load_b128 v[2:5], v1 offset:1680
	ds_load_b128 v[6:9], v1 offset:1696
	s_waitcnt vmcnt(0) lgkmcnt(1)
	v_mul_f64 v[42:43], v[2:3], v[12:13]
	s_delay_alu instid0(VALU_DEP_1) | instskip(SKIP_1) | instid1(VALU_DEP_1)
	v_fma_f64 v[42:43], v[4:5], v[10:11], v[42:43]
	v_mul_f64 v[4:5], v[4:5], v[12:13]
	v_fma_f64 v[44:45], v[2:3], v[10:11], -v[4:5]
	s_clause 0x1
	scratch_load_b128 v[2:5], off, off offset:672
	scratch_load_b128 v[10:13], off, off offset:688
	s_waitcnt vmcnt(1) lgkmcnt(0)
	v_mul_f64 v[46:47], v[6:7], v[4:5]
	v_mul_f64 v[4:5], v[8:9], v[4:5]
	s_delay_alu instid0(VALU_DEP_2) | instskip(NEXT) | instid1(VALU_DEP_2)
	v_fma_f64 v[46:47], v[8:9], v[2:3], v[46:47]
	v_fma_f64 v[48:49], v[6:7], v[2:3], -v[4:5]
	ds_load_b128 v[2:5], v1 offset:1712
	ds_load_b128 v[6:9], v1 offset:1728
	s_waitcnt vmcnt(0) lgkmcnt(1)
	v_mul_f64 v[54:55], v[2:3], v[12:13]
	s_delay_alu instid0(VALU_DEP_1) | instskip(SKIP_1) | instid1(VALU_DEP_1)
	v_fma_f64 v[54:55], v[4:5], v[10:11], v[54:55]
	v_mul_f64 v[4:5], v[4:5], v[12:13]
	;; [unrolled: 17-line block ×10, first 2 shown]
	v_fma_f64 v[251:252], v[2:3], v[10:11], -v[4:5]
	v_add_f64 v[2:3], v[22:23], 0
	v_add_f64 v[4:5], v[24:25], 0
	s_delay_alu instid0(VALU_DEP_2) | instskip(NEXT) | instid1(VALU_DEP_2)
	v_add_f64 v[2:3], v[2:3], v[30:31]
	v_add_f64 v[4:5], v[4:5], v[32:33]
	s_delay_alu instid0(VALU_DEP_2) | instskip(NEXT) | instid1(VALU_DEP_2)
	;; [unrolled: 3-line block ×18, first 2 shown]
	v_add_f64 v[2:3], v[2:3], v[197:198]
	v_add_f64 v[10:11], v[4:5], v[195:196]
	s_delay_alu instid0(VALU_DEP_2)
	v_add_f64 v[12:13], v[2:3], v[201:202]
	scratch_load_b128 v[2:5], off, off offset:960
	v_add_f64 v[14:15], v[10:11], v[199:200]
	v_add_f64 v[16:17], v[12:13], v[215:216]
	scratch_load_b128 v[10:13], off, off offset:976
	v_add_f64 v[18:19], v[14:15], v[210:211]
	v_add_f64 v[20:21], v[16:17], v[227:228]
	scratch_load_b128 v[14:17], off, off offset:992
	v_add_f64 v[22:23], v[18:19], v[221:222]
	v_add_f64 v[24:25], v[20:21], v[243:244]
	scratch_load_b128 v[18:21], off, off offset:1008
	v_add_f64 v[22:23], v[22:23], v[233:234]
	v_add_f64 v[24:25], v[24:25], v[247:248]
	s_delay_alu instid0(VALU_DEP_2) | instskip(NEXT) | instid1(VALU_DEP_2)
	v_add_f64 v[22:23], v[22:23], v[245:246]
	v_add_f64 v[24:25], v[24:25], v[251:252]
	s_delay_alu instid0(VALU_DEP_2) | instskip(SKIP_3) | instid1(VALU_DEP_2)
	v_add_f64 v[22:23], v[22:23], v[249:250]
	s_waitcnt vmcnt(3) lgkmcnt(0)
	v_mul_f64 v[30:31], v[6:7], v[4:5]
	v_mul_f64 v[4:5], v[8:9], v[4:5]
	v_fma_f64 v[30:31], v[8:9], v[2:3], v[30:31]
	s_delay_alu instid0(VALU_DEP_2)
	v_fma_f64 v[32:33], v[6:7], v[2:3], -v[4:5]
	ds_load_b128 v[2:5], v1 offset:2000
	ds_load_b128 v[6:9], v1 offset:2016
	s_waitcnt vmcnt(2) lgkmcnt(1)
	v_mul_f64 v[34:35], v[2:3], v[12:13]
	v_mul_f64 v[12:13], v[4:5], v[12:13]
	s_waitcnt vmcnt(1) lgkmcnt(0)
	v_mul_f64 v[36:37], v[6:7], v[16:17]
	v_add_f64 v[22:23], v[22:23], v[30:31]
	s_delay_alu instid0(VALU_DEP_4) | instskip(NEXT) | instid1(VALU_DEP_4)
	v_fma_f64 v[34:35], v[4:5], v[10:11], v[34:35]
	v_fma_f64 v[10:11], v[2:3], v[10:11], -v[12:13]
	v_mul_f64 v[12:13], v[8:9], v[16:17]
	v_add_f64 v[16:17], v[24:25], v[32:33]
	ds_load_b128 v[2:5], v1 offset:2032
	v_fma_f64 v[8:9], v[8:9], v[14:15], v[36:37]
	s_waitcnt vmcnt(0) lgkmcnt(0)
	v_mul_f64 v[24:25], v[2:3], v[20:21]
	v_mul_f64 v[20:21], v[4:5], v[20:21]
	v_fma_f64 v[6:7], v[6:7], v[14:15], -v[12:13]
	v_add_f64 v[10:11], v[16:17], v[10:11]
	v_add_f64 v[12:13], v[22:23], v[34:35]
	v_fma_f64 v[4:5], v[4:5], v[18:19], v[24:25]
	v_fma_f64 v[2:3], v[2:3], v[18:19], -v[20:21]
	s_delay_alu instid0(VALU_DEP_4) | instskip(NEXT) | instid1(VALU_DEP_4)
	v_add_f64 v[6:7], v[10:11], v[6:7]
	v_add_f64 v[8:9], v[12:13], v[8:9]
	s_delay_alu instid0(VALU_DEP_2) | instskip(NEXT) | instid1(VALU_DEP_2)
	v_add_f64 v[2:3], v[6:7], v[2:3]
	v_add_f64 v[4:5], v[8:9], v[4:5]
	s_delay_alu instid0(VALU_DEP_2) | instskip(NEXT) | instid1(VALU_DEP_2)
	v_add_f64 v[2:3], v[26:27], -v[2:3]
	v_add_f64 v[4:5], v[28:29], -v[4:5]
	scratch_store_b128 off, v[2:5], off offset:544
	v_cmpx_lt_u32_e32 33, v178
	s_cbranch_execz .LBB127_342
; %bb.341:
	scratch_load_b32 v2, off, off offset:1152 ; 4-byte Folded Reload
	v_mov_b32_e32 v3, v1
	v_mov_b32_e32 v4, v1
	s_waitcnt vmcnt(0)
	scratch_load_b128 v[5:8], v2, off
	v_mov_b32_e32 v2, v1
	scratch_store_b128 off, v[1:4], off offset:528
	s_waitcnt vmcnt(0)
	ds_store_b128 v255, v[5:8]
.LBB127_342:
	s_or_b32 exec_lo, exec_lo, s2
	s_waitcnt lgkmcnt(0)
	s_waitcnt_vscnt null, 0x0
	s_barrier
	buffer_gl0_inv
	s_clause 0x4
	scratch_load_b128 v[2:5], off, off offset:544
	scratch_load_b128 v[6:9], off, off offset:560
	scratch_load_b128 v[10:13], off, off offset:576
	scratch_load_b128 v[14:17], off, off offset:592
	scratch_load_b128 v[18:21], off, off offset:608
	ds_load_b128 v[22:25], v1 offset:1568
	ds_load_b128 v[26:29], v1 offset:1584
	scratch_load_b128 v[30:33], off, off offset:528
	s_mov_b32 s2, exec_lo
	s_waitcnt vmcnt(5) lgkmcnt(1)
	v_mul_f64 v[34:35], v[24:25], v[4:5]
	v_mul_f64 v[4:5], v[22:23], v[4:5]
	s_waitcnt vmcnt(4) lgkmcnt(0)
	v_mul_f64 v[36:37], v[26:27], v[8:9]
	v_mul_f64 v[8:9], v[28:29], v[8:9]
	s_delay_alu instid0(VALU_DEP_4) | instskip(NEXT) | instid1(VALU_DEP_4)
	v_fma_f64 v[22:23], v[22:23], v[2:3], -v[34:35]
	v_fma_f64 v[24:25], v[24:25], v[2:3], v[4:5]
	ds_load_b128 v[2:5], v1 offset:1600
	v_fma_f64 v[28:29], v[28:29], v[6:7], v[36:37]
	v_fma_f64 v[26:27], v[26:27], v[6:7], -v[8:9]
	ds_load_b128 v[6:9], v1 offset:1616
	s_waitcnt vmcnt(3) lgkmcnt(1)
	v_mul_f64 v[34:35], v[2:3], v[12:13]
	v_mul_f64 v[12:13], v[4:5], v[12:13]
	s_waitcnt vmcnt(2) lgkmcnt(0)
	v_mul_f64 v[36:37], v[6:7], v[16:17]
	s_delay_alu instid0(VALU_DEP_3) | instskip(NEXT) | instid1(VALU_DEP_3)
	v_fma_f64 v[34:35], v[4:5], v[10:11], v[34:35]
	v_fma_f64 v[38:39], v[2:3], v[10:11], -v[12:13]
	v_mul_f64 v[10:11], v[8:9], v[16:17]
	ds_load_b128 v[2:5], v1 offset:1632
	v_fma_f64 v[16:17], v[8:9], v[14:15], v[36:37]
	v_fma_f64 v[14:15], v[6:7], v[14:15], -v[10:11]
	ds_load_b128 v[6:9], v1 offset:1648
	s_waitcnt vmcnt(1) lgkmcnt(1)
	v_mul_f64 v[10:11], v[2:3], v[20:21]
	v_mul_f64 v[12:13], v[4:5], v[20:21]
	s_delay_alu instid0(VALU_DEP_2) | instskip(NEXT) | instid1(VALU_DEP_2)
	v_fma_f64 v[20:21], v[4:5], v[18:19], v[10:11]
	v_fma_f64 v[18:19], v[2:3], v[18:19], -v[12:13]
	s_clause 0x1
	scratch_load_b128 v[2:5], off, off offset:624
	scratch_load_b128 v[10:13], off, off offset:640
	s_waitcnt vmcnt(1) lgkmcnt(0)
	v_mul_f64 v[36:37], v[6:7], v[4:5]
	v_mul_f64 v[4:5], v[8:9], v[4:5]
	s_delay_alu instid0(VALU_DEP_2) | instskip(NEXT) | instid1(VALU_DEP_2)
	v_fma_f64 v[36:37], v[8:9], v[2:3], v[36:37]
	v_fma_f64 v[40:41], v[6:7], v[2:3], -v[4:5]
	ds_load_b128 v[2:5], v1 offset:1664
	ds_load_b128 v[6:9], v1 offset:1680
	s_waitcnt vmcnt(0) lgkmcnt(1)
	v_mul_f64 v[42:43], v[2:3], v[12:13]
	s_delay_alu instid0(VALU_DEP_1) | instskip(SKIP_1) | instid1(VALU_DEP_1)
	v_fma_f64 v[42:43], v[4:5], v[10:11], v[42:43]
	v_mul_f64 v[4:5], v[4:5], v[12:13]
	v_fma_f64 v[44:45], v[2:3], v[10:11], -v[4:5]
	s_clause 0x1
	scratch_load_b128 v[2:5], off, off offset:656
	scratch_load_b128 v[10:13], off, off offset:672
	s_waitcnt vmcnt(1) lgkmcnt(0)
	v_mul_f64 v[46:47], v[6:7], v[4:5]
	v_mul_f64 v[4:5], v[8:9], v[4:5]
	s_delay_alu instid0(VALU_DEP_2) | instskip(NEXT) | instid1(VALU_DEP_2)
	v_fma_f64 v[46:47], v[8:9], v[2:3], v[46:47]
	v_fma_f64 v[48:49], v[6:7], v[2:3], -v[4:5]
	ds_load_b128 v[2:5], v1 offset:1696
	ds_load_b128 v[6:9], v1 offset:1712
	s_waitcnt vmcnt(0) lgkmcnt(1)
	v_mul_f64 v[54:55], v[2:3], v[12:13]
	s_delay_alu instid0(VALU_DEP_1) | instskip(SKIP_1) | instid1(VALU_DEP_1)
	v_fma_f64 v[54:55], v[4:5], v[10:11], v[54:55]
	v_mul_f64 v[4:5], v[4:5], v[12:13]
	;; [unrolled: 17-line block ×11, first 2 shown]
	v_fma_f64 v[212:213], v[2:3], v[10:11], -v[4:5]
	v_add_f64 v[2:3], v[22:23], 0
	v_add_f64 v[4:5], v[24:25], 0
	s_delay_alu instid0(VALU_DEP_2) | instskip(NEXT) | instid1(VALU_DEP_2)
	v_add_f64 v[2:3], v[2:3], v[26:27]
	v_add_f64 v[4:5], v[4:5], v[28:29]
	s_delay_alu instid0(VALU_DEP_2) | instskip(NEXT) | instid1(VALU_DEP_2)
	;; [unrolled: 3-line block ×20, first 2 shown]
	v_add_f64 v[2:3], v[2:3], v[215:216]
	v_add_f64 v[10:11], v[4:5], v[210:211]
	s_delay_alu instid0(VALU_DEP_2)
	v_add_f64 v[12:13], v[2:3], v[227:228]
	scratch_load_b128 v[2:5], off, off offset:976
	v_add_f64 v[14:15], v[10:11], v[221:222]
	v_add_f64 v[16:17], v[12:13], v[243:244]
	scratch_load_b128 v[10:13], off, off offset:992
	v_add_f64 v[18:19], v[14:15], v[233:234]
	;; [unrolled: 3-line block ×3, first 2 shown]
	v_add_f64 v[20:21], v[20:21], v[251:252]
	s_delay_alu instid0(VALU_DEP_2) | instskip(NEXT) | instid1(VALU_DEP_2)
	v_add_f64 v[18:19], v[18:19], v[249:250]
	v_add_f64 v[28:29], v[20:21], v[205:206]
	s_delay_alu instid0(VALU_DEP_2)
	v_add_f64 v[34:35], v[18:19], v[203:204]
	ds_load_b128 v[18:21], v1 offset:2016
	ds_load_b128 v[22:25], v1 offset:2032
	s_waitcnt vmcnt(2) lgkmcnt(2)
	v_mul_f64 v[26:27], v[6:7], v[4:5]
	v_mul_f64 v[4:5], v[8:9], v[4:5]
	s_waitcnt vmcnt(1) lgkmcnt(1)
	v_mul_f64 v[36:37], v[18:19], v[12:13]
	s_delay_alu instid0(VALU_DEP_3) | instskip(NEXT) | instid1(VALU_DEP_3)
	v_fma_f64 v[8:9], v[8:9], v[2:3], v[26:27]
	v_fma_f64 v[1:2], v[6:7], v[2:3], -v[4:5]
	v_mul_f64 v[3:4], v[20:21], v[12:13]
	v_add_f64 v[5:6], v[28:29], v[212:213]
	v_add_f64 v[12:13], v[34:35], v[207:208]
	s_waitcnt vmcnt(0) lgkmcnt(0)
	v_mul_f64 v[26:27], v[22:23], v[16:17]
	v_mul_f64 v[16:17], v[24:25], v[16:17]
	v_fma_f64 v[20:21], v[20:21], v[10:11], v[36:37]
	v_fma_f64 v[3:4], v[18:19], v[10:11], -v[3:4]
	v_add_f64 v[1:2], v[5:6], v[1:2]
	v_add_f64 v[5:6], v[12:13], v[8:9]
	v_fma_f64 v[7:8], v[24:25], v[14:15], v[26:27]
	v_fma_f64 v[9:10], v[22:23], v[14:15], -v[16:17]
	s_delay_alu instid0(VALU_DEP_4) | instskip(NEXT) | instid1(VALU_DEP_4)
	v_add_f64 v[1:2], v[1:2], v[3:4]
	v_add_f64 v[3:4], v[5:6], v[20:21]
	s_delay_alu instid0(VALU_DEP_2) | instskip(NEXT) | instid1(VALU_DEP_2)
	v_add_f64 v[1:2], v[1:2], v[9:10]
	v_add_f64 v[3:4], v[3:4], v[7:8]
	s_delay_alu instid0(VALU_DEP_2) | instskip(NEXT) | instid1(VALU_DEP_2)
	v_add_f64 v[1:2], v[30:31], -v[1:2]
	v_add_f64 v[3:4], v[32:33], -v[3:4]
	scratch_store_b128 off, v[1:4], off offset:528
	v_cmpx_lt_u32_e32 32, v178
	s_cbranch_execz .LBB127_344
; %bb.343:
	scratch_load_b32 v1, off, off offset:1160 ; 4-byte Folded Reload
	v_mov_b32_e32 v5, 0
	s_delay_alu instid0(VALU_DEP_1)
	v_mov_b32_e32 v6, v5
	v_mov_b32_e32 v7, v5
	;; [unrolled: 1-line block ×3, first 2 shown]
	s_waitcnt vmcnt(0)
	scratch_load_b128 v[1:4], v1, off
	scratch_store_b128 off, v[5:8], off offset:512
	s_waitcnt vmcnt(0)
	ds_store_b128 v255, v[1:4]
.LBB127_344:
	s_or_b32 exec_lo, exec_lo, s2
	s_waitcnt lgkmcnt(0)
	s_waitcnt_vscnt null, 0x0
	s_barrier
	buffer_gl0_inv
	s_clause 0x4
	scratch_load_b128 v[2:5], off, off offset:528
	scratch_load_b128 v[6:9], off, off offset:544
	;; [unrolled: 1-line block ×5, first 2 shown]
	v_mov_b32_e32 v1, 0
	scratch_load_b128 v[26:29], off, off offset:512
	s_mov_b32 s2, exec_lo
	ds_load_b128 v[22:25], v1 offset:1552
	ds_load_b128 v[30:33], v1 offset:1568
	s_waitcnt vmcnt(5) lgkmcnt(1)
	v_mul_f64 v[34:35], v[24:25], v[4:5]
	v_mul_f64 v[4:5], v[22:23], v[4:5]
	s_waitcnt vmcnt(4) lgkmcnt(0)
	v_mul_f64 v[36:37], v[30:31], v[8:9]
	v_mul_f64 v[8:9], v[32:33], v[8:9]
	s_delay_alu instid0(VALU_DEP_4) | instskip(NEXT) | instid1(VALU_DEP_4)
	v_fma_f64 v[22:23], v[22:23], v[2:3], -v[34:35]
	v_fma_f64 v[24:25], v[24:25], v[2:3], v[4:5]
	ds_load_b128 v[2:5], v1 offset:1584
	v_fma_f64 v[32:33], v[32:33], v[6:7], v[36:37]
	v_fma_f64 v[30:31], v[30:31], v[6:7], -v[8:9]
	ds_load_b128 v[6:9], v1 offset:1600
	s_waitcnt vmcnt(3) lgkmcnt(1)
	v_mul_f64 v[34:35], v[2:3], v[12:13]
	v_mul_f64 v[12:13], v[4:5], v[12:13]
	s_waitcnt vmcnt(2) lgkmcnt(0)
	v_mul_f64 v[36:37], v[6:7], v[16:17]
	s_delay_alu instid0(VALU_DEP_3) | instskip(NEXT) | instid1(VALU_DEP_3)
	v_fma_f64 v[34:35], v[4:5], v[10:11], v[34:35]
	v_fma_f64 v[38:39], v[2:3], v[10:11], -v[12:13]
	v_mul_f64 v[10:11], v[8:9], v[16:17]
	ds_load_b128 v[2:5], v1 offset:1616
	v_fma_f64 v[16:17], v[8:9], v[14:15], v[36:37]
	v_fma_f64 v[14:15], v[6:7], v[14:15], -v[10:11]
	ds_load_b128 v[6:9], v1 offset:1632
	s_waitcnt vmcnt(1) lgkmcnt(1)
	v_mul_f64 v[10:11], v[2:3], v[20:21]
	v_mul_f64 v[12:13], v[4:5], v[20:21]
	s_delay_alu instid0(VALU_DEP_2) | instskip(NEXT) | instid1(VALU_DEP_2)
	v_fma_f64 v[20:21], v[4:5], v[18:19], v[10:11]
	v_fma_f64 v[18:19], v[2:3], v[18:19], -v[12:13]
	s_clause 0x1
	scratch_load_b128 v[2:5], off, off offset:608
	scratch_load_b128 v[10:13], off, off offset:624
	s_waitcnt vmcnt(1) lgkmcnt(0)
	v_mul_f64 v[36:37], v[6:7], v[4:5]
	v_mul_f64 v[4:5], v[8:9], v[4:5]
	s_delay_alu instid0(VALU_DEP_2) | instskip(NEXT) | instid1(VALU_DEP_2)
	v_fma_f64 v[36:37], v[8:9], v[2:3], v[36:37]
	v_fma_f64 v[40:41], v[6:7], v[2:3], -v[4:5]
	ds_load_b128 v[2:5], v1 offset:1648
	ds_load_b128 v[6:9], v1 offset:1664
	s_waitcnt vmcnt(0) lgkmcnt(1)
	v_mul_f64 v[42:43], v[2:3], v[12:13]
	s_delay_alu instid0(VALU_DEP_1) | instskip(SKIP_1) | instid1(VALU_DEP_1)
	v_fma_f64 v[42:43], v[4:5], v[10:11], v[42:43]
	v_mul_f64 v[4:5], v[4:5], v[12:13]
	v_fma_f64 v[44:45], v[2:3], v[10:11], -v[4:5]
	s_clause 0x1
	scratch_load_b128 v[2:5], off, off offset:640
	scratch_load_b128 v[10:13], off, off offset:656
	s_waitcnt vmcnt(1) lgkmcnt(0)
	v_mul_f64 v[46:47], v[6:7], v[4:5]
	v_mul_f64 v[4:5], v[8:9], v[4:5]
	s_delay_alu instid0(VALU_DEP_2) | instskip(NEXT) | instid1(VALU_DEP_2)
	v_fma_f64 v[46:47], v[8:9], v[2:3], v[46:47]
	v_fma_f64 v[48:49], v[6:7], v[2:3], -v[4:5]
	ds_load_b128 v[2:5], v1 offset:1680
	ds_load_b128 v[6:9], v1 offset:1696
	s_waitcnt vmcnt(0) lgkmcnt(1)
	v_mul_f64 v[54:55], v[2:3], v[12:13]
	s_delay_alu instid0(VALU_DEP_1) | instskip(SKIP_1) | instid1(VALU_DEP_1)
	v_fma_f64 v[54:55], v[4:5], v[10:11], v[54:55]
	v_mul_f64 v[4:5], v[4:5], v[12:13]
	;; [unrolled: 17-line block ×11, first 2 shown]
	v_fma_f64 v[251:252], v[2:3], v[10:11], -v[4:5]
	v_add_f64 v[2:3], v[22:23], 0
	v_add_f64 v[4:5], v[24:25], 0
	s_delay_alu instid0(VALU_DEP_2) | instskip(NEXT) | instid1(VALU_DEP_2)
	v_add_f64 v[2:3], v[2:3], v[30:31]
	v_add_f64 v[4:5], v[4:5], v[32:33]
	s_delay_alu instid0(VALU_DEP_2) | instskip(NEXT) | instid1(VALU_DEP_2)
	;; [unrolled: 3-line block ×20, first 2 shown]
	v_add_f64 v[2:3], v[2:3], v[205:206]
	v_add_f64 v[10:11], v[4:5], v[203:204]
	s_delay_alu instid0(VALU_DEP_2)
	v_add_f64 v[12:13], v[2:3], v[210:211]
	scratch_load_b128 v[2:5], off, off offset:960
	v_add_f64 v[14:15], v[10:11], v[207:208]
	v_add_f64 v[16:17], v[12:13], v[215:216]
	scratch_load_b128 v[10:13], off, off offset:976
	v_add_f64 v[18:19], v[14:15], v[212:213]
	;; [unrolled: 3-line block ×4, first 2 shown]
	v_add_f64 v[24:25], v[24:25], v[247:248]
	s_delay_alu instid0(VALU_DEP_2) | instskip(NEXT) | instid1(VALU_DEP_2)
	v_add_f64 v[22:23], v[22:23], v[245:246]
	v_add_f64 v[24:25], v[24:25], v[251:252]
	s_delay_alu instid0(VALU_DEP_2) | instskip(SKIP_3) | instid1(VALU_DEP_2)
	v_add_f64 v[22:23], v[22:23], v[249:250]
	s_waitcnt vmcnt(3) lgkmcnt(0)
	v_mul_f64 v[30:31], v[6:7], v[4:5]
	v_mul_f64 v[4:5], v[8:9], v[4:5]
	v_fma_f64 v[30:31], v[8:9], v[2:3], v[30:31]
	s_delay_alu instid0(VALU_DEP_2)
	v_fma_f64 v[32:33], v[6:7], v[2:3], -v[4:5]
	ds_load_b128 v[2:5], v1 offset:2000
	ds_load_b128 v[6:9], v1 offset:2016
	s_waitcnt vmcnt(2) lgkmcnt(1)
	v_mul_f64 v[34:35], v[2:3], v[12:13]
	v_mul_f64 v[12:13], v[4:5], v[12:13]
	s_waitcnt vmcnt(1) lgkmcnt(0)
	v_mul_f64 v[36:37], v[6:7], v[16:17]
	v_add_f64 v[22:23], v[22:23], v[30:31]
	s_delay_alu instid0(VALU_DEP_4) | instskip(NEXT) | instid1(VALU_DEP_4)
	v_fma_f64 v[34:35], v[4:5], v[10:11], v[34:35]
	v_fma_f64 v[10:11], v[2:3], v[10:11], -v[12:13]
	v_mul_f64 v[12:13], v[8:9], v[16:17]
	v_add_f64 v[16:17], v[24:25], v[32:33]
	ds_load_b128 v[2:5], v1 offset:2032
	v_fma_f64 v[8:9], v[8:9], v[14:15], v[36:37]
	s_waitcnt vmcnt(0) lgkmcnt(0)
	v_mul_f64 v[24:25], v[2:3], v[20:21]
	v_mul_f64 v[20:21], v[4:5], v[20:21]
	v_fma_f64 v[6:7], v[6:7], v[14:15], -v[12:13]
	v_add_f64 v[10:11], v[16:17], v[10:11]
	v_add_f64 v[12:13], v[22:23], v[34:35]
	v_fma_f64 v[4:5], v[4:5], v[18:19], v[24:25]
	v_fma_f64 v[2:3], v[2:3], v[18:19], -v[20:21]
	s_delay_alu instid0(VALU_DEP_4) | instskip(NEXT) | instid1(VALU_DEP_4)
	v_add_f64 v[6:7], v[10:11], v[6:7]
	v_add_f64 v[8:9], v[12:13], v[8:9]
	s_delay_alu instid0(VALU_DEP_2) | instskip(NEXT) | instid1(VALU_DEP_2)
	v_add_f64 v[2:3], v[6:7], v[2:3]
	v_add_f64 v[4:5], v[8:9], v[4:5]
	s_delay_alu instid0(VALU_DEP_2) | instskip(NEXT) | instid1(VALU_DEP_2)
	v_add_f64 v[2:3], v[26:27], -v[2:3]
	v_add_f64 v[4:5], v[28:29], -v[4:5]
	scratch_store_b128 off, v[2:5], off offset:512
	v_cmpx_lt_u32_e32 31, v178
	s_cbranch_execz .LBB127_346
; %bb.345:
	scratch_load_b32 v2, off, off offset:1176 ; 4-byte Folded Reload
	v_mov_b32_e32 v3, v1
	v_mov_b32_e32 v4, v1
	s_waitcnt vmcnt(0)
	scratch_load_b128 v[5:8], v2, off
	v_mov_b32_e32 v2, v1
	scratch_store_b128 off, v[1:4], off offset:496
	s_waitcnt vmcnt(0)
	ds_store_b128 v255, v[5:8]
.LBB127_346:
	s_or_b32 exec_lo, exec_lo, s2
	s_waitcnt lgkmcnt(0)
	s_waitcnt_vscnt null, 0x0
	s_barrier
	buffer_gl0_inv
	s_clause 0x4
	scratch_load_b128 v[2:5], off, off offset:512
	scratch_load_b128 v[6:9], off, off offset:528
	;; [unrolled: 1-line block ×5, first 2 shown]
	ds_load_b128 v[22:25], v1 offset:1536
	ds_load_b128 v[26:29], v1 offset:1552
	scratch_load_b128 v[30:33], off, off offset:496
	s_mov_b32 s2, exec_lo
	s_waitcnt vmcnt(5) lgkmcnt(1)
	v_mul_f64 v[34:35], v[24:25], v[4:5]
	v_mul_f64 v[4:5], v[22:23], v[4:5]
	s_waitcnt vmcnt(4) lgkmcnt(0)
	v_mul_f64 v[36:37], v[26:27], v[8:9]
	v_mul_f64 v[8:9], v[28:29], v[8:9]
	s_delay_alu instid0(VALU_DEP_4) | instskip(NEXT) | instid1(VALU_DEP_4)
	v_fma_f64 v[22:23], v[22:23], v[2:3], -v[34:35]
	v_fma_f64 v[24:25], v[24:25], v[2:3], v[4:5]
	ds_load_b128 v[2:5], v1 offset:1568
	v_fma_f64 v[28:29], v[28:29], v[6:7], v[36:37]
	v_fma_f64 v[26:27], v[26:27], v[6:7], -v[8:9]
	ds_load_b128 v[6:9], v1 offset:1584
	s_waitcnt vmcnt(3) lgkmcnt(1)
	v_mul_f64 v[34:35], v[2:3], v[12:13]
	v_mul_f64 v[12:13], v[4:5], v[12:13]
	s_waitcnt vmcnt(2) lgkmcnt(0)
	v_mul_f64 v[36:37], v[6:7], v[16:17]
	s_delay_alu instid0(VALU_DEP_3) | instskip(NEXT) | instid1(VALU_DEP_3)
	v_fma_f64 v[34:35], v[4:5], v[10:11], v[34:35]
	v_fma_f64 v[38:39], v[2:3], v[10:11], -v[12:13]
	v_mul_f64 v[10:11], v[8:9], v[16:17]
	ds_load_b128 v[2:5], v1 offset:1600
	v_fma_f64 v[16:17], v[8:9], v[14:15], v[36:37]
	v_fma_f64 v[14:15], v[6:7], v[14:15], -v[10:11]
	ds_load_b128 v[6:9], v1 offset:1616
	s_waitcnt vmcnt(1) lgkmcnt(1)
	v_mul_f64 v[10:11], v[2:3], v[20:21]
	v_mul_f64 v[12:13], v[4:5], v[20:21]
	s_delay_alu instid0(VALU_DEP_2) | instskip(NEXT) | instid1(VALU_DEP_2)
	v_fma_f64 v[20:21], v[4:5], v[18:19], v[10:11]
	v_fma_f64 v[18:19], v[2:3], v[18:19], -v[12:13]
	s_clause 0x1
	scratch_load_b128 v[2:5], off, off offset:592
	scratch_load_b128 v[10:13], off, off offset:608
	s_waitcnt vmcnt(1) lgkmcnt(0)
	v_mul_f64 v[36:37], v[6:7], v[4:5]
	v_mul_f64 v[4:5], v[8:9], v[4:5]
	s_delay_alu instid0(VALU_DEP_2) | instskip(NEXT) | instid1(VALU_DEP_2)
	v_fma_f64 v[36:37], v[8:9], v[2:3], v[36:37]
	v_fma_f64 v[40:41], v[6:7], v[2:3], -v[4:5]
	ds_load_b128 v[2:5], v1 offset:1632
	ds_load_b128 v[6:9], v1 offset:1648
	s_waitcnt vmcnt(0) lgkmcnt(1)
	v_mul_f64 v[42:43], v[2:3], v[12:13]
	s_delay_alu instid0(VALU_DEP_1) | instskip(SKIP_1) | instid1(VALU_DEP_1)
	v_fma_f64 v[42:43], v[4:5], v[10:11], v[42:43]
	v_mul_f64 v[4:5], v[4:5], v[12:13]
	v_fma_f64 v[44:45], v[2:3], v[10:11], -v[4:5]
	s_clause 0x1
	scratch_load_b128 v[2:5], off, off offset:624
	scratch_load_b128 v[10:13], off, off offset:640
	s_waitcnt vmcnt(1) lgkmcnt(0)
	v_mul_f64 v[46:47], v[6:7], v[4:5]
	v_mul_f64 v[4:5], v[8:9], v[4:5]
	s_delay_alu instid0(VALU_DEP_2) | instskip(NEXT) | instid1(VALU_DEP_2)
	v_fma_f64 v[46:47], v[8:9], v[2:3], v[46:47]
	v_fma_f64 v[48:49], v[6:7], v[2:3], -v[4:5]
	ds_load_b128 v[2:5], v1 offset:1664
	ds_load_b128 v[6:9], v1 offset:1680
	s_waitcnt vmcnt(0) lgkmcnt(1)
	v_mul_f64 v[54:55], v[2:3], v[12:13]
	s_delay_alu instid0(VALU_DEP_1) | instskip(SKIP_1) | instid1(VALU_DEP_1)
	v_fma_f64 v[54:55], v[4:5], v[10:11], v[54:55]
	v_mul_f64 v[4:5], v[4:5], v[12:13]
	;; [unrolled: 17-line block ×12, first 2 shown]
	v_fma_f64 v[225:226], v[2:3], v[10:11], -v[4:5]
	v_add_f64 v[2:3], v[22:23], 0
	v_add_f64 v[4:5], v[24:25], 0
	s_delay_alu instid0(VALU_DEP_2) | instskip(NEXT) | instid1(VALU_DEP_2)
	v_add_f64 v[2:3], v[2:3], v[26:27]
	v_add_f64 v[4:5], v[4:5], v[28:29]
	s_delay_alu instid0(VALU_DEP_2) | instskip(NEXT) | instid1(VALU_DEP_2)
	;; [unrolled: 3-line block ×22, first 2 shown]
	v_add_f64 v[2:3], v[2:3], v[215:216]
	v_add_f64 v[10:11], v[4:5], v[212:213]
	s_delay_alu instid0(VALU_DEP_2)
	v_add_f64 v[12:13], v[2:3], v[227:228]
	scratch_load_b128 v[2:5], off, off offset:976
	v_add_f64 v[14:15], v[10:11], v[221:222]
	v_add_f64 v[16:17], v[12:13], v[243:244]
	scratch_load_b128 v[10:13], off, off offset:992
	v_add_f64 v[18:19], v[14:15], v[233:234]
	;; [unrolled: 3-line block ×3, first 2 shown]
	v_add_f64 v[20:21], v[20:21], v[251:252]
	s_delay_alu instid0(VALU_DEP_2) | instskip(NEXT) | instid1(VALU_DEP_2)
	v_add_f64 v[18:19], v[18:19], v[249:250]
	v_add_f64 v[28:29], v[20:21], v[219:220]
	s_delay_alu instid0(VALU_DEP_2)
	v_add_f64 v[34:35], v[18:19], v[217:218]
	ds_load_b128 v[18:21], v1 offset:2016
	ds_load_b128 v[22:25], v1 offset:2032
	s_waitcnt vmcnt(2) lgkmcnt(2)
	v_mul_f64 v[26:27], v[6:7], v[4:5]
	v_mul_f64 v[4:5], v[8:9], v[4:5]
	s_waitcnt vmcnt(1) lgkmcnt(1)
	v_mul_f64 v[36:37], v[18:19], v[12:13]
	s_delay_alu instid0(VALU_DEP_3) | instskip(NEXT) | instid1(VALU_DEP_3)
	v_fma_f64 v[8:9], v[8:9], v[2:3], v[26:27]
	v_fma_f64 v[1:2], v[6:7], v[2:3], -v[4:5]
	v_mul_f64 v[3:4], v[20:21], v[12:13]
	v_add_f64 v[5:6], v[28:29], v[225:226]
	v_add_f64 v[12:13], v[34:35], v[223:224]
	s_waitcnt vmcnt(0) lgkmcnt(0)
	v_mul_f64 v[26:27], v[22:23], v[16:17]
	v_mul_f64 v[16:17], v[24:25], v[16:17]
	v_fma_f64 v[20:21], v[20:21], v[10:11], v[36:37]
	v_fma_f64 v[3:4], v[18:19], v[10:11], -v[3:4]
	v_add_f64 v[1:2], v[5:6], v[1:2]
	v_add_f64 v[5:6], v[12:13], v[8:9]
	v_fma_f64 v[7:8], v[24:25], v[14:15], v[26:27]
	v_fma_f64 v[9:10], v[22:23], v[14:15], -v[16:17]
	s_delay_alu instid0(VALU_DEP_4) | instskip(NEXT) | instid1(VALU_DEP_4)
	v_add_f64 v[1:2], v[1:2], v[3:4]
	v_add_f64 v[3:4], v[5:6], v[20:21]
	s_delay_alu instid0(VALU_DEP_2) | instskip(NEXT) | instid1(VALU_DEP_2)
	v_add_f64 v[1:2], v[1:2], v[9:10]
	v_add_f64 v[3:4], v[3:4], v[7:8]
	s_delay_alu instid0(VALU_DEP_2) | instskip(NEXT) | instid1(VALU_DEP_2)
	v_add_f64 v[1:2], v[30:31], -v[1:2]
	v_add_f64 v[3:4], v[32:33], -v[3:4]
	scratch_store_b128 off, v[1:4], off offset:496
	v_cmpx_lt_u32_e32 30, v178
	s_cbranch_execz .LBB127_348
; %bb.347:
	scratch_load_b32 v1, off, off offset:1184 ; 4-byte Folded Reload
	v_mov_b32_e32 v5, 0
	s_delay_alu instid0(VALU_DEP_1)
	v_mov_b32_e32 v6, v5
	v_mov_b32_e32 v7, v5
	;; [unrolled: 1-line block ×3, first 2 shown]
	s_waitcnt vmcnt(0)
	scratch_load_b128 v[1:4], v1, off
	scratch_store_b128 off, v[5:8], off offset:480
	s_waitcnt vmcnt(0)
	ds_store_b128 v255, v[1:4]
.LBB127_348:
	s_or_b32 exec_lo, exec_lo, s2
	s_waitcnt lgkmcnt(0)
	s_waitcnt_vscnt null, 0x0
	s_barrier
	buffer_gl0_inv
	s_clause 0x4
	scratch_load_b128 v[2:5], off, off offset:496
	scratch_load_b128 v[6:9], off, off offset:512
	;; [unrolled: 1-line block ×5, first 2 shown]
	v_mov_b32_e32 v1, 0
	scratch_load_b128 v[26:29], off, off offset:480
	s_mov_b32 s2, exec_lo
	ds_load_b128 v[22:25], v1 offset:1520
	ds_load_b128 v[30:33], v1 offset:1536
	s_waitcnt vmcnt(5) lgkmcnt(1)
	v_mul_f64 v[34:35], v[24:25], v[4:5]
	v_mul_f64 v[4:5], v[22:23], v[4:5]
	s_waitcnt vmcnt(4) lgkmcnt(0)
	v_mul_f64 v[36:37], v[30:31], v[8:9]
	v_mul_f64 v[8:9], v[32:33], v[8:9]
	s_delay_alu instid0(VALU_DEP_4) | instskip(NEXT) | instid1(VALU_DEP_4)
	v_fma_f64 v[22:23], v[22:23], v[2:3], -v[34:35]
	v_fma_f64 v[24:25], v[24:25], v[2:3], v[4:5]
	ds_load_b128 v[2:5], v1 offset:1552
	v_fma_f64 v[32:33], v[32:33], v[6:7], v[36:37]
	v_fma_f64 v[30:31], v[30:31], v[6:7], -v[8:9]
	ds_load_b128 v[6:9], v1 offset:1568
	s_waitcnt vmcnt(3) lgkmcnt(1)
	v_mul_f64 v[34:35], v[2:3], v[12:13]
	v_mul_f64 v[12:13], v[4:5], v[12:13]
	s_waitcnt vmcnt(2) lgkmcnt(0)
	v_mul_f64 v[36:37], v[6:7], v[16:17]
	s_delay_alu instid0(VALU_DEP_3) | instskip(NEXT) | instid1(VALU_DEP_3)
	v_fma_f64 v[34:35], v[4:5], v[10:11], v[34:35]
	v_fma_f64 v[38:39], v[2:3], v[10:11], -v[12:13]
	v_mul_f64 v[10:11], v[8:9], v[16:17]
	ds_load_b128 v[2:5], v1 offset:1584
	v_fma_f64 v[16:17], v[8:9], v[14:15], v[36:37]
	v_fma_f64 v[14:15], v[6:7], v[14:15], -v[10:11]
	ds_load_b128 v[6:9], v1 offset:1600
	s_waitcnt vmcnt(1) lgkmcnt(1)
	v_mul_f64 v[10:11], v[2:3], v[20:21]
	v_mul_f64 v[12:13], v[4:5], v[20:21]
	s_delay_alu instid0(VALU_DEP_2) | instskip(NEXT) | instid1(VALU_DEP_2)
	v_fma_f64 v[20:21], v[4:5], v[18:19], v[10:11]
	v_fma_f64 v[18:19], v[2:3], v[18:19], -v[12:13]
	s_clause 0x1
	scratch_load_b128 v[2:5], off, off offset:576
	scratch_load_b128 v[10:13], off, off offset:592
	s_waitcnt vmcnt(1) lgkmcnt(0)
	v_mul_f64 v[36:37], v[6:7], v[4:5]
	v_mul_f64 v[4:5], v[8:9], v[4:5]
	s_delay_alu instid0(VALU_DEP_2) | instskip(NEXT) | instid1(VALU_DEP_2)
	v_fma_f64 v[36:37], v[8:9], v[2:3], v[36:37]
	v_fma_f64 v[40:41], v[6:7], v[2:3], -v[4:5]
	ds_load_b128 v[2:5], v1 offset:1616
	ds_load_b128 v[6:9], v1 offset:1632
	s_waitcnt vmcnt(0) lgkmcnt(1)
	v_mul_f64 v[42:43], v[2:3], v[12:13]
	s_delay_alu instid0(VALU_DEP_1) | instskip(SKIP_1) | instid1(VALU_DEP_1)
	v_fma_f64 v[42:43], v[4:5], v[10:11], v[42:43]
	v_mul_f64 v[4:5], v[4:5], v[12:13]
	v_fma_f64 v[44:45], v[2:3], v[10:11], -v[4:5]
	s_clause 0x1
	scratch_load_b128 v[2:5], off, off offset:608
	scratch_load_b128 v[10:13], off, off offset:624
	s_waitcnt vmcnt(1) lgkmcnt(0)
	v_mul_f64 v[46:47], v[6:7], v[4:5]
	v_mul_f64 v[4:5], v[8:9], v[4:5]
	s_delay_alu instid0(VALU_DEP_2) | instskip(NEXT) | instid1(VALU_DEP_2)
	v_fma_f64 v[46:47], v[8:9], v[2:3], v[46:47]
	v_fma_f64 v[48:49], v[6:7], v[2:3], -v[4:5]
	ds_load_b128 v[2:5], v1 offset:1648
	ds_load_b128 v[6:9], v1 offset:1664
	s_waitcnt vmcnt(0) lgkmcnt(1)
	v_mul_f64 v[54:55], v[2:3], v[12:13]
	s_delay_alu instid0(VALU_DEP_1) | instskip(SKIP_1) | instid1(VALU_DEP_1)
	v_fma_f64 v[54:55], v[4:5], v[10:11], v[54:55]
	v_mul_f64 v[4:5], v[4:5], v[12:13]
	;; [unrolled: 17-line block ×12, first 2 shown]
	v_fma_f64 v[251:252], v[2:3], v[10:11], -v[4:5]
	v_add_f64 v[2:3], v[22:23], 0
	v_add_f64 v[4:5], v[24:25], 0
	s_delay_alu instid0(VALU_DEP_2) | instskip(NEXT) | instid1(VALU_DEP_2)
	v_add_f64 v[2:3], v[2:3], v[30:31]
	v_add_f64 v[4:5], v[4:5], v[32:33]
	s_delay_alu instid0(VALU_DEP_2) | instskip(NEXT) | instid1(VALU_DEP_2)
	;; [unrolled: 3-line block ×22, first 2 shown]
	v_add_f64 v[2:3], v[2:3], v[215:216]
	v_add_f64 v[10:11], v[4:5], v[212:213]
	s_delay_alu instid0(VALU_DEP_2)
	v_add_f64 v[12:13], v[2:3], v[219:220]
	scratch_load_b128 v[2:5], off, off offset:960
	v_add_f64 v[14:15], v[10:11], v[217:218]
	v_add_f64 v[16:17], v[12:13], v[223:224]
	scratch_load_b128 v[10:13], off, off offset:976
	v_add_f64 v[18:19], v[14:15], v[221:222]
	;; [unrolled: 3-line block ×4, first 2 shown]
	v_add_f64 v[24:25], v[24:25], v[247:248]
	s_delay_alu instid0(VALU_DEP_2) | instskip(NEXT) | instid1(VALU_DEP_2)
	v_add_f64 v[22:23], v[22:23], v[245:246]
	v_add_f64 v[24:25], v[24:25], v[251:252]
	s_delay_alu instid0(VALU_DEP_2) | instskip(SKIP_3) | instid1(VALU_DEP_2)
	v_add_f64 v[22:23], v[22:23], v[249:250]
	s_waitcnt vmcnt(3) lgkmcnt(0)
	v_mul_f64 v[30:31], v[6:7], v[4:5]
	v_mul_f64 v[4:5], v[8:9], v[4:5]
	v_fma_f64 v[30:31], v[8:9], v[2:3], v[30:31]
	s_delay_alu instid0(VALU_DEP_2)
	v_fma_f64 v[32:33], v[6:7], v[2:3], -v[4:5]
	ds_load_b128 v[2:5], v1 offset:2000
	ds_load_b128 v[6:9], v1 offset:2016
	s_waitcnt vmcnt(2) lgkmcnt(1)
	v_mul_f64 v[34:35], v[2:3], v[12:13]
	v_mul_f64 v[12:13], v[4:5], v[12:13]
	s_waitcnt vmcnt(1) lgkmcnt(0)
	v_mul_f64 v[36:37], v[6:7], v[16:17]
	v_add_f64 v[22:23], v[22:23], v[30:31]
	s_delay_alu instid0(VALU_DEP_4) | instskip(NEXT) | instid1(VALU_DEP_4)
	v_fma_f64 v[34:35], v[4:5], v[10:11], v[34:35]
	v_fma_f64 v[10:11], v[2:3], v[10:11], -v[12:13]
	v_mul_f64 v[12:13], v[8:9], v[16:17]
	v_add_f64 v[16:17], v[24:25], v[32:33]
	ds_load_b128 v[2:5], v1 offset:2032
	v_fma_f64 v[8:9], v[8:9], v[14:15], v[36:37]
	s_waitcnt vmcnt(0) lgkmcnt(0)
	v_mul_f64 v[24:25], v[2:3], v[20:21]
	v_mul_f64 v[20:21], v[4:5], v[20:21]
	v_fma_f64 v[6:7], v[6:7], v[14:15], -v[12:13]
	v_add_f64 v[10:11], v[16:17], v[10:11]
	v_add_f64 v[12:13], v[22:23], v[34:35]
	v_fma_f64 v[4:5], v[4:5], v[18:19], v[24:25]
	v_fma_f64 v[2:3], v[2:3], v[18:19], -v[20:21]
	s_delay_alu instid0(VALU_DEP_4) | instskip(NEXT) | instid1(VALU_DEP_4)
	v_add_f64 v[6:7], v[10:11], v[6:7]
	v_add_f64 v[8:9], v[12:13], v[8:9]
	s_delay_alu instid0(VALU_DEP_2) | instskip(NEXT) | instid1(VALU_DEP_2)
	v_add_f64 v[2:3], v[6:7], v[2:3]
	v_add_f64 v[4:5], v[8:9], v[4:5]
	s_delay_alu instid0(VALU_DEP_2) | instskip(NEXT) | instid1(VALU_DEP_2)
	v_add_f64 v[2:3], v[26:27], -v[2:3]
	v_add_f64 v[4:5], v[28:29], -v[4:5]
	scratch_store_b128 off, v[2:5], off offset:480
	v_cmpx_lt_u32_e32 29, v178
	s_cbranch_execz .LBB127_350
; %bb.349:
	scratch_load_b32 v2, off, off offset:1200 ; 4-byte Folded Reload
	v_mov_b32_e32 v3, v1
	v_mov_b32_e32 v4, v1
	s_waitcnt vmcnt(0)
	scratch_load_b128 v[5:8], v2, off
	v_mov_b32_e32 v2, v1
	scratch_store_b128 off, v[1:4], off offset:464
	s_waitcnt vmcnt(0)
	ds_store_b128 v255, v[5:8]
.LBB127_350:
	s_or_b32 exec_lo, exec_lo, s2
	s_waitcnt lgkmcnt(0)
	s_waitcnt_vscnt null, 0x0
	s_barrier
	buffer_gl0_inv
	s_clause 0x4
	scratch_load_b128 v[2:5], off, off offset:480
	scratch_load_b128 v[6:9], off, off offset:496
	;; [unrolled: 1-line block ×5, first 2 shown]
	ds_load_b128 v[22:25], v1 offset:1504
	ds_load_b128 v[26:29], v1 offset:1520
	scratch_load_b128 v[30:33], off, off offset:464
	s_mov_b32 s2, exec_lo
	s_waitcnt vmcnt(5) lgkmcnt(1)
	v_mul_f64 v[34:35], v[24:25], v[4:5]
	v_mul_f64 v[4:5], v[22:23], v[4:5]
	s_waitcnt vmcnt(4) lgkmcnt(0)
	v_mul_f64 v[36:37], v[26:27], v[8:9]
	v_mul_f64 v[8:9], v[28:29], v[8:9]
	s_delay_alu instid0(VALU_DEP_4) | instskip(NEXT) | instid1(VALU_DEP_4)
	v_fma_f64 v[22:23], v[22:23], v[2:3], -v[34:35]
	v_fma_f64 v[24:25], v[24:25], v[2:3], v[4:5]
	ds_load_b128 v[2:5], v1 offset:1536
	v_fma_f64 v[28:29], v[28:29], v[6:7], v[36:37]
	v_fma_f64 v[26:27], v[26:27], v[6:7], -v[8:9]
	ds_load_b128 v[6:9], v1 offset:1552
	s_waitcnt vmcnt(3) lgkmcnt(1)
	v_mul_f64 v[34:35], v[2:3], v[12:13]
	v_mul_f64 v[12:13], v[4:5], v[12:13]
	s_waitcnt vmcnt(2) lgkmcnt(0)
	v_mul_f64 v[36:37], v[6:7], v[16:17]
	s_delay_alu instid0(VALU_DEP_3) | instskip(NEXT) | instid1(VALU_DEP_3)
	v_fma_f64 v[34:35], v[4:5], v[10:11], v[34:35]
	v_fma_f64 v[38:39], v[2:3], v[10:11], -v[12:13]
	v_mul_f64 v[10:11], v[8:9], v[16:17]
	ds_load_b128 v[2:5], v1 offset:1568
	v_fma_f64 v[16:17], v[8:9], v[14:15], v[36:37]
	v_fma_f64 v[14:15], v[6:7], v[14:15], -v[10:11]
	ds_load_b128 v[6:9], v1 offset:1584
	s_waitcnt vmcnt(1) lgkmcnt(1)
	v_mul_f64 v[10:11], v[2:3], v[20:21]
	v_mul_f64 v[12:13], v[4:5], v[20:21]
	s_delay_alu instid0(VALU_DEP_2) | instskip(NEXT) | instid1(VALU_DEP_2)
	v_fma_f64 v[20:21], v[4:5], v[18:19], v[10:11]
	v_fma_f64 v[18:19], v[2:3], v[18:19], -v[12:13]
	s_clause 0x1
	scratch_load_b128 v[2:5], off, off offset:560
	scratch_load_b128 v[10:13], off, off offset:576
	s_waitcnt vmcnt(1) lgkmcnt(0)
	v_mul_f64 v[36:37], v[6:7], v[4:5]
	v_mul_f64 v[4:5], v[8:9], v[4:5]
	s_delay_alu instid0(VALU_DEP_2) | instskip(NEXT) | instid1(VALU_DEP_2)
	v_fma_f64 v[36:37], v[8:9], v[2:3], v[36:37]
	v_fma_f64 v[40:41], v[6:7], v[2:3], -v[4:5]
	ds_load_b128 v[2:5], v1 offset:1600
	ds_load_b128 v[6:9], v1 offset:1616
	s_waitcnt vmcnt(0) lgkmcnt(1)
	v_mul_f64 v[42:43], v[2:3], v[12:13]
	s_delay_alu instid0(VALU_DEP_1) | instskip(SKIP_1) | instid1(VALU_DEP_1)
	v_fma_f64 v[42:43], v[4:5], v[10:11], v[42:43]
	v_mul_f64 v[4:5], v[4:5], v[12:13]
	v_fma_f64 v[44:45], v[2:3], v[10:11], -v[4:5]
	s_clause 0x1
	scratch_load_b128 v[2:5], off, off offset:592
	scratch_load_b128 v[10:13], off, off offset:608
	s_waitcnt vmcnt(1) lgkmcnt(0)
	v_mul_f64 v[46:47], v[6:7], v[4:5]
	v_mul_f64 v[4:5], v[8:9], v[4:5]
	s_delay_alu instid0(VALU_DEP_2) | instskip(NEXT) | instid1(VALU_DEP_2)
	v_fma_f64 v[46:47], v[8:9], v[2:3], v[46:47]
	v_fma_f64 v[48:49], v[6:7], v[2:3], -v[4:5]
	ds_load_b128 v[2:5], v1 offset:1632
	ds_load_b128 v[6:9], v1 offset:1648
	s_waitcnt vmcnt(0) lgkmcnt(1)
	v_mul_f64 v[54:55], v[2:3], v[12:13]
	s_delay_alu instid0(VALU_DEP_1) | instskip(SKIP_1) | instid1(VALU_DEP_1)
	v_fma_f64 v[54:55], v[4:5], v[10:11], v[54:55]
	v_mul_f64 v[4:5], v[4:5], v[12:13]
	;; [unrolled: 17-line block ×13, first 2 shown]
	v_fma_f64 v[235:236], v[2:3], v[10:11], -v[4:5]
	v_add_f64 v[2:3], v[22:23], 0
	v_add_f64 v[4:5], v[24:25], 0
	s_delay_alu instid0(VALU_DEP_2) | instskip(NEXT) | instid1(VALU_DEP_2)
	v_add_f64 v[2:3], v[2:3], v[26:27]
	v_add_f64 v[4:5], v[4:5], v[28:29]
	s_delay_alu instid0(VALU_DEP_2) | instskip(NEXT) | instid1(VALU_DEP_2)
	;; [unrolled: 3-line block ×24, first 2 shown]
	v_add_f64 v[2:3], v[2:3], v[223:224]
	v_add_f64 v[10:11], v[4:5], v[221:222]
	s_delay_alu instid0(VALU_DEP_2)
	v_add_f64 v[12:13], v[2:3], v[227:228]
	scratch_load_b128 v[2:5], off, off offset:976
	v_add_f64 v[14:15], v[10:11], v[225:226]
	v_add_f64 v[16:17], v[12:13], v[243:244]
	scratch_load_b128 v[10:13], off, off offset:992
	v_add_f64 v[18:19], v[14:15], v[233:234]
	;; [unrolled: 3-line block ×3, first 2 shown]
	v_add_f64 v[20:21], v[20:21], v[251:252]
	s_delay_alu instid0(VALU_DEP_2) | instskip(NEXT) | instid1(VALU_DEP_2)
	v_add_f64 v[18:19], v[18:19], v[249:250]
	v_add_f64 v[28:29], v[20:21], v[84:85]
	s_delay_alu instid0(VALU_DEP_2)
	v_add_f64 v[34:35], v[18:19], v[229:230]
	ds_load_b128 v[18:21], v1 offset:2016
	ds_load_b128 v[22:25], v1 offset:2032
	s_waitcnt vmcnt(2) lgkmcnt(2)
	v_mul_f64 v[26:27], v[6:7], v[4:5]
	v_mul_f64 v[4:5], v[8:9], v[4:5]
	s_waitcnt vmcnt(1) lgkmcnt(1)
	v_mul_f64 v[36:37], v[18:19], v[12:13]
	s_delay_alu instid0(VALU_DEP_3) | instskip(NEXT) | instid1(VALU_DEP_3)
	v_fma_f64 v[8:9], v[8:9], v[2:3], v[26:27]
	v_fma_f64 v[1:2], v[6:7], v[2:3], -v[4:5]
	v_mul_f64 v[3:4], v[20:21], v[12:13]
	v_add_f64 v[5:6], v[28:29], v[235:236]
	v_add_f64 v[12:13], v[34:35], v[231:232]
	s_waitcnt vmcnt(0) lgkmcnt(0)
	v_mul_f64 v[26:27], v[22:23], v[16:17]
	v_mul_f64 v[16:17], v[24:25], v[16:17]
	v_fma_f64 v[20:21], v[20:21], v[10:11], v[36:37]
	v_fma_f64 v[3:4], v[18:19], v[10:11], -v[3:4]
	v_add_f64 v[1:2], v[5:6], v[1:2]
	v_add_f64 v[5:6], v[12:13], v[8:9]
	v_fma_f64 v[7:8], v[24:25], v[14:15], v[26:27]
	v_fma_f64 v[9:10], v[22:23], v[14:15], -v[16:17]
	s_delay_alu instid0(VALU_DEP_4) | instskip(NEXT) | instid1(VALU_DEP_4)
	v_add_f64 v[1:2], v[1:2], v[3:4]
	v_add_f64 v[3:4], v[5:6], v[20:21]
	s_delay_alu instid0(VALU_DEP_2) | instskip(NEXT) | instid1(VALU_DEP_2)
	v_add_f64 v[1:2], v[1:2], v[9:10]
	v_add_f64 v[3:4], v[3:4], v[7:8]
	s_delay_alu instid0(VALU_DEP_2) | instskip(NEXT) | instid1(VALU_DEP_2)
	v_add_f64 v[1:2], v[30:31], -v[1:2]
	v_add_f64 v[3:4], v[32:33], -v[3:4]
	scratch_store_b128 off, v[1:4], off offset:464
	v_cmpx_lt_u32_e32 28, v178
	s_cbranch_execz .LBB127_352
; %bb.351:
	scratch_load_b32 v1, off, off offset:1208 ; 4-byte Folded Reload
	v_mov_b32_e32 v5, 0
	s_delay_alu instid0(VALU_DEP_1)
	v_mov_b32_e32 v6, v5
	v_mov_b32_e32 v7, v5
	;; [unrolled: 1-line block ×3, first 2 shown]
	s_waitcnt vmcnt(0)
	scratch_load_b128 v[1:4], v1, off
	scratch_store_b128 off, v[5:8], off offset:448
	s_waitcnt vmcnt(0)
	ds_store_b128 v255, v[1:4]
.LBB127_352:
	s_or_b32 exec_lo, exec_lo, s2
	s_waitcnt lgkmcnt(0)
	s_waitcnt_vscnt null, 0x0
	s_barrier
	buffer_gl0_inv
	s_clause 0x4
	scratch_load_b128 v[2:5], off, off offset:464
	scratch_load_b128 v[6:9], off, off offset:480
	;; [unrolled: 1-line block ×5, first 2 shown]
	v_mov_b32_e32 v1, 0
	scratch_load_b128 v[26:29], off, off offset:448
	s_mov_b32 s2, exec_lo
	ds_load_b128 v[22:25], v1 offset:1488
	ds_load_b128 v[30:33], v1 offset:1504
	s_waitcnt vmcnt(5) lgkmcnt(1)
	v_mul_f64 v[34:35], v[24:25], v[4:5]
	v_mul_f64 v[4:5], v[22:23], v[4:5]
	s_waitcnt vmcnt(4) lgkmcnt(0)
	v_mul_f64 v[36:37], v[30:31], v[8:9]
	v_mul_f64 v[8:9], v[32:33], v[8:9]
	s_delay_alu instid0(VALU_DEP_4) | instskip(NEXT) | instid1(VALU_DEP_4)
	v_fma_f64 v[22:23], v[22:23], v[2:3], -v[34:35]
	v_fma_f64 v[24:25], v[24:25], v[2:3], v[4:5]
	ds_load_b128 v[2:5], v1 offset:1520
	v_fma_f64 v[32:33], v[32:33], v[6:7], v[36:37]
	v_fma_f64 v[30:31], v[30:31], v[6:7], -v[8:9]
	ds_load_b128 v[6:9], v1 offset:1536
	s_waitcnt vmcnt(3) lgkmcnt(1)
	v_mul_f64 v[34:35], v[2:3], v[12:13]
	v_mul_f64 v[12:13], v[4:5], v[12:13]
	s_waitcnt vmcnt(2) lgkmcnt(0)
	v_mul_f64 v[36:37], v[6:7], v[16:17]
	s_delay_alu instid0(VALU_DEP_3) | instskip(NEXT) | instid1(VALU_DEP_3)
	v_fma_f64 v[34:35], v[4:5], v[10:11], v[34:35]
	v_fma_f64 v[38:39], v[2:3], v[10:11], -v[12:13]
	v_mul_f64 v[10:11], v[8:9], v[16:17]
	ds_load_b128 v[2:5], v1 offset:1552
	v_fma_f64 v[16:17], v[8:9], v[14:15], v[36:37]
	v_fma_f64 v[14:15], v[6:7], v[14:15], -v[10:11]
	ds_load_b128 v[6:9], v1 offset:1568
	s_waitcnt vmcnt(1) lgkmcnt(1)
	v_mul_f64 v[10:11], v[2:3], v[20:21]
	v_mul_f64 v[12:13], v[4:5], v[20:21]
	s_delay_alu instid0(VALU_DEP_2) | instskip(NEXT) | instid1(VALU_DEP_2)
	v_fma_f64 v[20:21], v[4:5], v[18:19], v[10:11]
	v_fma_f64 v[18:19], v[2:3], v[18:19], -v[12:13]
	s_clause 0x1
	scratch_load_b128 v[2:5], off, off offset:544
	scratch_load_b128 v[10:13], off, off offset:560
	s_waitcnt vmcnt(1) lgkmcnt(0)
	v_mul_f64 v[36:37], v[6:7], v[4:5]
	v_mul_f64 v[4:5], v[8:9], v[4:5]
	s_delay_alu instid0(VALU_DEP_2) | instskip(NEXT) | instid1(VALU_DEP_2)
	v_fma_f64 v[36:37], v[8:9], v[2:3], v[36:37]
	v_fma_f64 v[40:41], v[6:7], v[2:3], -v[4:5]
	ds_load_b128 v[2:5], v1 offset:1584
	ds_load_b128 v[6:9], v1 offset:1600
	s_waitcnt vmcnt(0) lgkmcnt(1)
	v_mul_f64 v[42:43], v[2:3], v[12:13]
	s_delay_alu instid0(VALU_DEP_1) | instskip(SKIP_1) | instid1(VALU_DEP_1)
	v_fma_f64 v[42:43], v[4:5], v[10:11], v[42:43]
	v_mul_f64 v[4:5], v[4:5], v[12:13]
	v_fma_f64 v[44:45], v[2:3], v[10:11], -v[4:5]
	s_clause 0x1
	scratch_load_b128 v[2:5], off, off offset:576
	scratch_load_b128 v[10:13], off, off offset:592
	s_waitcnt vmcnt(1) lgkmcnt(0)
	v_mul_f64 v[46:47], v[6:7], v[4:5]
	v_mul_f64 v[4:5], v[8:9], v[4:5]
	s_delay_alu instid0(VALU_DEP_2) | instskip(NEXT) | instid1(VALU_DEP_2)
	v_fma_f64 v[46:47], v[8:9], v[2:3], v[46:47]
	v_fma_f64 v[48:49], v[6:7], v[2:3], -v[4:5]
	ds_load_b128 v[2:5], v1 offset:1616
	ds_load_b128 v[6:9], v1 offset:1632
	s_waitcnt vmcnt(0) lgkmcnt(1)
	v_mul_f64 v[54:55], v[2:3], v[12:13]
	s_delay_alu instid0(VALU_DEP_1) | instskip(SKIP_1) | instid1(VALU_DEP_1)
	v_fma_f64 v[54:55], v[4:5], v[10:11], v[54:55]
	v_mul_f64 v[4:5], v[4:5], v[12:13]
	v_fma_f64 v[56:57], v[2:3], v[10:11], -v[4:5]
	s_clause 0x1
	scratch_load_b128 v[2:5], off, off offset:608
	scratch_load_b128 v[10:13], off, off offset:624
	s_waitcnt vmcnt(1) lgkmcnt(0)
	v_mul_f64 v[58:59], v[6:7], v[4:5]
	v_mul_f64 v[4:5], v[8:9], v[4:5]
	s_delay_alu instid0(VALU_DEP_2) | instskip(NEXT) | instid1(VALU_DEP_2)
	v_fma_f64 v[58:59], v[8:9], v[2:3], v[58:59]
	v_fma_f64 v[60:61], v[6:7], v[2:3], -v[4:5]
	ds_load_b128 v[2:5], v1 offset:1648
	ds_load_b128 v[6:9], v1 offset:1664
	s_waitcnt vmcnt(0) lgkmcnt(1)
	v_mul_f64 v[84:85], v[2:3], v[12:13]
	s_delay_alu instid0(VALU_DEP_1) | instskip(SKIP_1) | instid1(VALU_DEP_1)
	v_fma_f64 v[84:85], v[4:5], v[10:11], v[84:85]
	v_mul_f64 v[4:5], v[4:5], v[12:13]
	v_fma_f64 v[86:87], v[2:3], v[10:11], -v[4:5]
	s_clause 0x1
	scratch_load_b128 v[2:5], off, off offset:640
	scratch_load_b128 v[10:13], off, off offset:656
	s_waitcnt vmcnt(1) lgkmcnt(0)
	v_mul_f64 v[92:93], v[6:7], v[4:5]
	v_mul_f64 v[4:5], v[8:9], v[4:5]
	s_delay_alu instid0(VALU_DEP_2) | instskip(NEXT) | instid1(VALU_DEP_2)
	v_fma_f64 v[92:93], v[8:9], v[2:3], v[92:93]
	v_fma_f64 v[94:95], v[6:7], v[2:3], -v[4:5]
	ds_load_b128 v[2:5], v1 offset:1680
	ds_load_b128 v[6:9], v1 offset:1696
	s_waitcnt vmcnt(0) lgkmcnt(1)
	v_mul_f64 v[96:97], v[2:3], v[12:13]
	s_delay_alu instid0(VALU_DEP_1) | instskip(SKIP_1) | instid1(VALU_DEP_1)
	v_fma_f64 v[96:97], v[4:5], v[10:11], v[96:97]
	v_mul_f64 v[4:5], v[4:5], v[12:13]
	v_fma_f64 v[98:99], v[2:3], v[10:11], -v[4:5]
	s_clause 0x1
	scratch_load_b128 v[2:5], off, off offset:672
	scratch_load_b128 v[10:13], off, off offset:688
	s_waitcnt vmcnt(1) lgkmcnt(0)
	v_mul_f64 v[100:101], v[6:7], v[4:5]
	v_mul_f64 v[4:5], v[8:9], v[4:5]
	s_delay_alu instid0(VALU_DEP_2) | instskip(NEXT) | instid1(VALU_DEP_2)
	v_fma_f64 v[100:101], v[8:9], v[2:3], v[100:101]
	v_fma_f64 v[102:103], v[6:7], v[2:3], -v[4:5]
	ds_load_b128 v[2:5], v1 offset:1712
	ds_load_b128 v[6:9], v1 offset:1728
	s_waitcnt vmcnt(0) lgkmcnt(1)
	v_mul_f64 v[104:105], v[2:3], v[12:13]
	s_delay_alu instid0(VALU_DEP_1) | instskip(SKIP_1) | instid1(VALU_DEP_1)
	v_fma_f64 v[104:105], v[4:5], v[10:11], v[104:105]
	v_mul_f64 v[4:5], v[4:5], v[12:13]
	v_fma_f64 v[179:180], v[2:3], v[10:11], -v[4:5]
	s_clause 0x1
	scratch_load_b128 v[2:5], off, off offset:704
	scratch_load_b128 v[10:13], off, off offset:720
	s_waitcnt vmcnt(1) lgkmcnt(0)
	v_mul_f64 v[181:182], v[6:7], v[4:5]
	v_mul_f64 v[4:5], v[8:9], v[4:5]
	s_delay_alu instid0(VALU_DEP_2) | instskip(NEXT) | instid1(VALU_DEP_2)
	v_fma_f64 v[181:182], v[8:9], v[2:3], v[181:182]
	v_fma_f64 v[183:184], v[6:7], v[2:3], -v[4:5]
	ds_load_b128 v[2:5], v1 offset:1744
	ds_load_b128 v[6:9], v1 offset:1760
	s_waitcnt vmcnt(0) lgkmcnt(1)
	v_mul_f64 v[185:186], v[2:3], v[12:13]
	s_delay_alu instid0(VALU_DEP_1) | instskip(SKIP_1) | instid1(VALU_DEP_1)
	v_fma_f64 v[185:186], v[4:5], v[10:11], v[185:186]
	v_mul_f64 v[4:5], v[4:5], v[12:13]
	v_fma_f64 v[187:188], v[2:3], v[10:11], -v[4:5]
	s_clause 0x1
	scratch_load_b128 v[2:5], off, off offset:736
	scratch_load_b128 v[10:13], off, off offset:752
	s_waitcnt vmcnt(1) lgkmcnt(0)
	v_mul_f64 v[189:190], v[6:7], v[4:5]
	v_mul_f64 v[4:5], v[8:9], v[4:5]
	s_delay_alu instid0(VALU_DEP_2) | instskip(NEXT) | instid1(VALU_DEP_2)
	v_fma_f64 v[189:190], v[8:9], v[2:3], v[189:190]
	v_fma_f64 v[191:192], v[6:7], v[2:3], -v[4:5]
	ds_load_b128 v[2:5], v1 offset:1776
	ds_load_b128 v[6:9], v1 offset:1792
	s_waitcnt vmcnt(0) lgkmcnt(1)
	v_mul_f64 v[193:194], v[2:3], v[12:13]
	s_delay_alu instid0(VALU_DEP_1) | instskip(SKIP_1) | instid1(VALU_DEP_1)
	v_fma_f64 v[193:194], v[4:5], v[10:11], v[193:194]
	v_mul_f64 v[4:5], v[4:5], v[12:13]
	v_fma_f64 v[195:196], v[2:3], v[10:11], -v[4:5]
	s_clause 0x1
	scratch_load_b128 v[2:5], off, off offset:768
	scratch_load_b128 v[10:13], off, off offset:784
	s_waitcnt vmcnt(1) lgkmcnt(0)
	v_mul_f64 v[197:198], v[6:7], v[4:5]
	v_mul_f64 v[4:5], v[8:9], v[4:5]
	s_delay_alu instid0(VALU_DEP_2) | instskip(NEXT) | instid1(VALU_DEP_2)
	v_fma_f64 v[197:198], v[8:9], v[2:3], v[197:198]
	v_fma_f64 v[199:200], v[6:7], v[2:3], -v[4:5]
	ds_load_b128 v[2:5], v1 offset:1808
	ds_load_b128 v[6:9], v1 offset:1824
	s_waitcnt vmcnt(0) lgkmcnt(1)
	v_mul_f64 v[201:202], v[2:3], v[12:13]
	s_delay_alu instid0(VALU_DEP_1) | instskip(SKIP_1) | instid1(VALU_DEP_1)
	v_fma_f64 v[201:202], v[4:5], v[10:11], v[201:202]
	v_mul_f64 v[4:5], v[4:5], v[12:13]
	v_fma_f64 v[203:204], v[2:3], v[10:11], -v[4:5]
	s_clause 0x1
	scratch_load_b128 v[2:5], off, off offset:800
	scratch_load_b128 v[10:13], off, off offset:816
	s_waitcnt vmcnt(1) lgkmcnt(0)
	v_mul_f64 v[205:206], v[6:7], v[4:5]
	v_mul_f64 v[4:5], v[8:9], v[4:5]
	s_delay_alu instid0(VALU_DEP_2) | instskip(NEXT) | instid1(VALU_DEP_2)
	v_fma_f64 v[205:206], v[8:9], v[2:3], v[205:206]
	v_fma_f64 v[207:208], v[6:7], v[2:3], -v[4:5]
	ds_load_b128 v[2:5], v1 offset:1840
	ds_load_b128 v[6:9], v1 offset:1856
	s_waitcnt vmcnt(0) lgkmcnt(1)
	v_mul_f64 v[210:211], v[2:3], v[12:13]
	s_delay_alu instid0(VALU_DEP_1) | instskip(SKIP_1) | instid1(VALU_DEP_1)
	v_fma_f64 v[210:211], v[4:5], v[10:11], v[210:211]
	v_mul_f64 v[4:5], v[4:5], v[12:13]
	v_fma_f64 v[212:213], v[2:3], v[10:11], -v[4:5]
	s_clause 0x1
	scratch_load_b128 v[2:5], off, off offset:832
	scratch_load_b128 v[10:13], off, off offset:848
	s_waitcnt vmcnt(1) lgkmcnt(0)
	v_mul_f64 v[215:216], v[6:7], v[4:5]
	v_mul_f64 v[4:5], v[8:9], v[4:5]
	s_delay_alu instid0(VALU_DEP_2) | instskip(NEXT) | instid1(VALU_DEP_2)
	v_fma_f64 v[215:216], v[8:9], v[2:3], v[215:216]
	v_fma_f64 v[217:218], v[6:7], v[2:3], -v[4:5]
	ds_load_b128 v[2:5], v1 offset:1872
	ds_load_b128 v[6:9], v1 offset:1888
	s_waitcnt vmcnt(0) lgkmcnt(1)
	v_mul_f64 v[219:220], v[2:3], v[12:13]
	s_delay_alu instid0(VALU_DEP_1) | instskip(SKIP_1) | instid1(VALU_DEP_1)
	v_fma_f64 v[219:220], v[4:5], v[10:11], v[219:220]
	v_mul_f64 v[4:5], v[4:5], v[12:13]
	v_fma_f64 v[221:222], v[2:3], v[10:11], -v[4:5]
	s_clause 0x1
	scratch_load_b128 v[2:5], off, off offset:864
	scratch_load_b128 v[10:13], off, off offset:880
	s_waitcnt vmcnt(1) lgkmcnt(0)
	v_mul_f64 v[223:224], v[6:7], v[4:5]
	v_mul_f64 v[4:5], v[8:9], v[4:5]
	s_delay_alu instid0(VALU_DEP_2) | instskip(NEXT) | instid1(VALU_DEP_2)
	v_fma_f64 v[223:224], v[8:9], v[2:3], v[223:224]
	v_fma_f64 v[225:226], v[6:7], v[2:3], -v[4:5]
	ds_load_b128 v[2:5], v1 offset:1904
	ds_load_b128 v[6:9], v1 offset:1920
	s_waitcnt vmcnt(0) lgkmcnt(1)
	v_mul_f64 v[227:228], v[2:3], v[12:13]
	s_delay_alu instid0(VALU_DEP_1) | instskip(SKIP_1) | instid1(VALU_DEP_1)
	v_fma_f64 v[227:228], v[4:5], v[10:11], v[227:228]
	v_mul_f64 v[4:5], v[4:5], v[12:13]
	v_fma_f64 v[229:230], v[2:3], v[10:11], -v[4:5]
	s_clause 0x1
	scratch_load_b128 v[2:5], off, off offset:896
	scratch_load_b128 v[10:13], off, off offset:912
	s_waitcnt vmcnt(1) lgkmcnt(0)
	v_mul_f64 v[231:232], v[6:7], v[4:5]
	v_mul_f64 v[4:5], v[8:9], v[4:5]
	s_delay_alu instid0(VALU_DEP_2) | instskip(NEXT) | instid1(VALU_DEP_2)
	v_fma_f64 v[231:232], v[8:9], v[2:3], v[231:232]
	v_fma_f64 v[233:234], v[6:7], v[2:3], -v[4:5]
	ds_load_b128 v[2:5], v1 offset:1936
	ds_load_b128 v[6:9], v1 offset:1952
	s_waitcnt vmcnt(0) lgkmcnt(1)
	v_mul_f64 v[235:236], v[2:3], v[12:13]
	s_delay_alu instid0(VALU_DEP_1) | instskip(SKIP_1) | instid1(VALU_DEP_1)
	v_fma_f64 v[235:236], v[4:5], v[10:11], v[235:236]
	v_mul_f64 v[4:5], v[4:5], v[12:13]
	v_fma_f64 v[243:244], v[2:3], v[10:11], -v[4:5]
	s_clause 0x1
	scratch_load_b128 v[2:5], off, off offset:928
	scratch_load_b128 v[10:13], off, off offset:944
	s_waitcnt vmcnt(1) lgkmcnt(0)
	v_mul_f64 v[245:246], v[6:7], v[4:5]
	v_mul_f64 v[4:5], v[8:9], v[4:5]
	s_delay_alu instid0(VALU_DEP_2) | instskip(NEXT) | instid1(VALU_DEP_2)
	v_fma_f64 v[245:246], v[8:9], v[2:3], v[245:246]
	v_fma_f64 v[247:248], v[6:7], v[2:3], -v[4:5]
	ds_load_b128 v[2:5], v1 offset:1968
	ds_load_b128 v[6:9], v1 offset:1984
	s_waitcnt vmcnt(0) lgkmcnt(1)
	v_mul_f64 v[249:250], v[2:3], v[12:13]
	s_delay_alu instid0(VALU_DEP_1) | instskip(SKIP_1) | instid1(VALU_DEP_1)
	v_fma_f64 v[249:250], v[4:5], v[10:11], v[249:250]
	v_mul_f64 v[4:5], v[4:5], v[12:13]
	v_fma_f64 v[251:252], v[2:3], v[10:11], -v[4:5]
	v_add_f64 v[2:3], v[22:23], 0
	v_add_f64 v[4:5], v[24:25], 0
	s_delay_alu instid0(VALU_DEP_2) | instskip(NEXT) | instid1(VALU_DEP_2)
	v_add_f64 v[2:3], v[2:3], v[30:31]
	v_add_f64 v[4:5], v[4:5], v[32:33]
	s_delay_alu instid0(VALU_DEP_2) | instskip(NEXT) | instid1(VALU_DEP_2)
	;; [unrolled: 3-line block ×24, first 2 shown]
	v_add_f64 v[2:3], v[2:3], v[221:222]
	v_add_f64 v[10:11], v[4:5], v[219:220]
	s_delay_alu instid0(VALU_DEP_2)
	v_add_f64 v[12:13], v[2:3], v[225:226]
	scratch_load_b128 v[2:5], off, off offset:960
	v_add_f64 v[14:15], v[10:11], v[223:224]
	v_add_f64 v[16:17], v[12:13], v[229:230]
	scratch_load_b128 v[10:13], off, off offset:976
	v_add_f64 v[18:19], v[14:15], v[227:228]
	;; [unrolled: 3-line block ×4, first 2 shown]
	v_add_f64 v[24:25], v[24:25], v[247:248]
	s_delay_alu instid0(VALU_DEP_2) | instskip(NEXT) | instid1(VALU_DEP_2)
	v_add_f64 v[22:23], v[22:23], v[245:246]
	v_add_f64 v[24:25], v[24:25], v[251:252]
	s_delay_alu instid0(VALU_DEP_2) | instskip(SKIP_3) | instid1(VALU_DEP_2)
	v_add_f64 v[22:23], v[22:23], v[249:250]
	s_waitcnt vmcnt(3) lgkmcnt(0)
	v_mul_f64 v[30:31], v[6:7], v[4:5]
	v_mul_f64 v[4:5], v[8:9], v[4:5]
	v_fma_f64 v[30:31], v[8:9], v[2:3], v[30:31]
	s_delay_alu instid0(VALU_DEP_2)
	v_fma_f64 v[32:33], v[6:7], v[2:3], -v[4:5]
	ds_load_b128 v[2:5], v1 offset:2000
	ds_load_b128 v[6:9], v1 offset:2016
	s_waitcnt vmcnt(2) lgkmcnt(1)
	v_mul_f64 v[34:35], v[2:3], v[12:13]
	v_mul_f64 v[12:13], v[4:5], v[12:13]
	s_waitcnt vmcnt(1) lgkmcnt(0)
	v_mul_f64 v[36:37], v[6:7], v[16:17]
	v_add_f64 v[22:23], v[22:23], v[30:31]
	s_delay_alu instid0(VALU_DEP_4) | instskip(NEXT) | instid1(VALU_DEP_4)
	v_fma_f64 v[34:35], v[4:5], v[10:11], v[34:35]
	v_fma_f64 v[10:11], v[2:3], v[10:11], -v[12:13]
	v_mul_f64 v[12:13], v[8:9], v[16:17]
	v_add_f64 v[16:17], v[24:25], v[32:33]
	ds_load_b128 v[2:5], v1 offset:2032
	v_fma_f64 v[8:9], v[8:9], v[14:15], v[36:37]
	s_waitcnt vmcnt(0) lgkmcnt(0)
	v_mul_f64 v[24:25], v[2:3], v[20:21]
	v_mul_f64 v[20:21], v[4:5], v[20:21]
	v_fma_f64 v[6:7], v[6:7], v[14:15], -v[12:13]
	v_add_f64 v[10:11], v[16:17], v[10:11]
	v_add_f64 v[12:13], v[22:23], v[34:35]
	v_fma_f64 v[4:5], v[4:5], v[18:19], v[24:25]
	v_fma_f64 v[2:3], v[2:3], v[18:19], -v[20:21]
	s_delay_alu instid0(VALU_DEP_4) | instskip(NEXT) | instid1(VALU_DEP_4)
	v_add_f64 v[6:7], v[10:11], v[6:7]
	v_add_f64 v[8:9], v[12:13], v[8:9]
	s_delay_alu instid0(VALU_DEP_2) | instskip(NEXT) | instid1(VALU_DEP_2)
	v_add_f64 v[2:3], v[6:7], v[2:3]
	v_add_f64 v[4:5], v[8:9], v[4:5]
	s_delay_alu instid0(VALU_DEP_2) | instskip(NEXT) | instid1(VALU_DEP_2)
	v_add_f64 v[2:3], v[26:27], -v[2:3]
	v_add_f64 v[4:5], v[28:29], -v[4:5]
	scratch_store_b128 off, v[2:5], off offset:448
	v_cmpx_lt_u32_e32 27, v178
	s_cbranch_execz .LBB127_354
; %bb.353:
	scratch_load_b32 v2, off, off offset:1224 ; 4-byte Folded Reload
	v_mov_b32_e32 v3, v1
	v_mov_b32_e32 v4, v1
	s_waitcnt vmcnt(0)
	scratch_load_b128 v[5:8], v2, off
	v_mov_b32_e32 v2, v1
	scratch_store_b128 off, v[1:4], off offset:432
	s_waitcnt vmcnt(0)
	ds_store_b128 v255, v[5:8]
.LBB127_354:
	s_or_b32 exec_lo, exec_lo, s2
	s_waitcnt lgkmcnt(0)
	s_waitcnt_vscnt null, 0x0
	s_barrier
	buffer_gl0_inv
	s_clause 0x4
	scratch_load_b128 v[2:5], off, off offset:448
	scratch_load_b128 v[6:9], off, off offset:464
	;; [unrolled: 1-line block ×5, first 2 shown]
	ds_load_b128 v[22:25], v1 offset:1472
	ds_load_b128 v[26:29], v1 offset:1488
	scratch_load_b128 v[30:33], off, off offset:432
	s_mov_b32 s2, exec_lo
	s_waitcnt vmcnt(5) lgkmcnt(1)
	v_mul_f64 v[34:35], v[24:25], v[4:5]
	v_mul_f64 v[4:5], v[22:23], v[4:5]
	s_waitcnt vmcnt(4) lgkmcnt(0)
	v_mul_f64 v[36:37], v[26:27], v[8:9]
	v_mul_f64 v[8:9], v[28:29], v[8:9]
	s_delay_alu instid0(VALU_DEP_4) | instskip(NEXT) | instid1(VALU_DEP_4)
	v_fma_f64 v[22:23], v[22:23], v[2:3], -v[34:35]
	v_fma_f64 v[24:25], v[24:25], v[2:3], v[4:5]
	ds_load_b128 v[2:5], v1 offset:1504
	v_fma_f64 v[28:29], v[28:29], v[6:7], v[36:37]
	v_fma_f64 v[26:27], v[26:27], v[6:7], -v[8:9]
	ds_load_b128 v[6:9], v1 offset:1520
	s_waitcnt vmcnt(3) lgkmcnt(1)
	v_mul_f64 v[34:35], v[2:3], v[12:13]
	v_mul_f64 v[12:13], v[4:5], v[12:13]
	s_waitcnt vmcnt(2) lgkmcnt(0)
	v_mul_f64 v[36:37], v[6:7], v[16:17]
	s_delay_alu instid0(VALU_DEP_3) | instskip(NEXT) | instid1(VALU_DEP_3)
	v_fma_f64 v[34:35], v[4:5], v[10:11], v[34:35]
	v_fma_f64 v[38:39], v[2:3], v[10:11], -v[12:13]
	v_mul_f64 v[10:11], v[8:9], v[16:17]
	ds_load_b128 v[2:5], v1 offset:1536
	v_fma_f64 v[16:17], v[8:9], v[14:15], v[36:37]
	v_fma_f64 v[14:15], v[6:7], v[14:15], -v[10:11]
	ds_load_b128 v[6:9], v1 offset:1552
	s_waitcnt vmcnt(1) lgkmcnt(1)
	v_mul_f64 v[10:11], v[2:3], v[20:21]
	v_mul_f64 v[12:13], v[4:5], v[20:21]
	s_delay_alu instid0(VALU_DEP_2) | instskip(NEXT) | instid1(VALU_DEP_2)
	v_fma_f64 v[20:21], v[4:5], v[18:19], v[10:11]
	v_fma_f64 v[18:19], v[2:3], v[18:19], -v[12:13]
	s_clause 0x1
	scratch_load_b128 v[2:5], off, off offset:528
	scratch_load_b128 v[10:13], off, off offset:544
	s_waitcnt vmcnt(1) lgkmcnt(0)
	v_mul_f64 v[36:37], v[6:7], v[4:5]
	v_mul_f64 v[4:5], v[8:9], v[4:5]
	s_delay_alu instid0(VALU_DEP_2) | instskip(NEXT) | instid1(VALU_DEP_2)
	v_fma_f64 v[36:37], v[8:9], v[2:3], v[36:37]
	v_fma_f64 v[40:41], v[6:7], v[2:3], -v[4:5]
	ds_load_b128 v[2:5], v1 offset:1568
	ds_load_b128 v[6:9], v1 offset:1584
	s_waitcnt vmcnt(0) lgkmcnt(1)
	v_mul_f64 v[42:43], v[2:3], v[12:13]
	s_delay_alu instid0(VALU_DEP_1) | instskip(SKIP_1) | instid1(VALU_DEP_1)
	v_fma_f64 v[42:43], v[4:5], v[10:11], v[42:43]
	v_mul_f64 v[4:5], v[4:5], v[12:13]
	v_fma_f64 v[44:45], v[2:3], v[10:11], -v[4:5]
	s_clause 0x1
	scratch_load_b128 v[2:5], off, off offset:560
	scratch_load_b128 v[10:13], off, off offset:576
	s_waitcnt vmcnt(1) lgkmcnt(0)
	v_mul_f64 v[46:47], v[6:7], v[4:5]
	v_mul_f64 v[4:5], v[8:9], v[4:5]
	s_delay_alu instid0(VALU_DEP_2) | instskip(NEXT) | instid1(VALU_DEP_2)
	v_fma_f64 v[46:47], v[8:9], v[2:3], v[46:47]
	v_fma_f64 v[48:49], v[6:7], v[2:3], -v[4:5]
	ds_load_b128 v[2:5], v1 offset:1600
	ds_load_b128 v[6:9], v1 offset:1616
	s_waitcnt vmcnt(0) lgkmcnt(1)
	v_mul_f64 v[54:55], v[2:3], v[12:13]
	s_delay_alu instid0(VALU_DEP_1) | instskip(SKIP_1) | instid1(VALU_DEP_1)
	v_fma_f64 v[54:55], v[4:5], v[10:11], v[54:55]
	v_mul_f64 v[4:5], v[4:5], v[12:13]
	;; [unrolled: 17-line block ×14, first 2 shown]
	v_fma_f64 v[62:63], v[2:3], v[10:11], -v[4:5]
	v_add_f64 v[2:3], v[22:23], 0
	v_add_f64 v[4:5], v[24:25], 0
	s_delay_alu instid0(VALU_DEP_2) | instskip(NEXT) | instid1(VALU_DEP_2)
	v_add_f64 v[2:3], v[2:3], v[26:27]
	v_add_f64 v[4:5], v[4:5], v[28:29]
	s_delay_alu instid0(VALU_DEP_2) | instskip(NEXT) | instid1(VALU_DEP_2)
	;; [unrolled: 3-line block ×26, first 2 shown]
	v_add_f64 v[2:3], v[2:3], v[229:230]
	v_add_f64 v[10:11], v[4:5], v[227:228]
	s_delay_alu instid0(VALU_DEP_2)
	v_add_f64 v[12:13], v[2:3], v[233:234]
	scratch_load_b128 v[2:5], off, off offset:976
	v_add_f64 v[14:15], v[10:11], v[231:232]
	v_add_f64 v[16:17], v[12:13], v[243:244]
	scratch_load_b128 v[10:13], off, off offset:992
	v_add_f64 v[18:19], v[14:15], v[235:236]
	;; [unrolled: 3-line block ×3, first 2 shown]
	v_add_f64 v[20:21], v[20:21], v[251:252]
	s_delay_alu instid0(VALU_DEP_2) | instskip(NEXT) | instid1(VALU_DEP_2)
	v_add_f64 v[18:19], v[18:19], v[249:250]
	v_add_f64 v[28:29], v[20:21], v[239:240]
	s_delay_alu instid0(VALU_DEP_2)
	v_add_f64 v[34:35], v[18:19], v[237:238]
	ds_load_b128 v[18:21], v1 offset:2016
	ds_load_b128 v[22:25], v1 offset:2032
	s_waitcnt vmcnt(2) lgkmcnt(2)
	v_mul_f64 v[26:27], v[6:7], v[4:5]
	v_mul_f64 v[4:5], v[8:9], v[4:5]
	s_waitcnt vmcnt(1) lgkmcnt(1)
	v_mul_f64 v[36:37], v[18:19], v[12:13]
	s_delay_alu instid0(VALU_DEP_3) | instskip(NEXT) | instid1(VALU_DEP_3)
	v_fma_f64 v[8:9], v[8:9], v[2:3], v[26:27]
	v_fma_f64 v[1:2], v[6:7], v[2:3], -v[4:5]
	v_mul_f64 v[3:4], v[20:21], v[12:13]
	v_add_f64 v[5:6], v[28:29], v[62:63]
	v_add_f64 v[12:13], v[34:35], v[241:242]
	s_waitcnt vmcnt(0) lgkmcnt(0)
	v_mul_f64 v[26:27], v[22:23], v[16:17]
	v_mul_f64 v[16:17], v[24:25], v[16:17]
	v_fma_f64 v[20:21], v[20:21], v[10:11], v[36:37]
	v_fma_f64 v[3:4], v[18:19], v[10:11], -v[3:4]
	v_add_f64 v[1:2], v[5:6], v[1:2]
	v_add_f64 v[5:6], v[12:13], v[8:9]
	v_fma_f64 v[7:8], v[24:25], v[14:15], v[26:27]
	v_fma_f64 v[9:10], v[22:23], v[14:15], -v[16:17]
	s_delay_alu instid0(VALU_DEP_4) | instskip(NEXT) | instid1(VALU_DEP_4)
	v_add_f64 v[1:2], v[1:2], v[3:4]
	v_add_f64 v[3:4], v[5:6], v[20:21]
	s_delay_alu instid0(VALU_DEP_2) | instskip(NEXT) | instid1(VALU_DEP_2)
	v_add_f64 v[1:2], v[1:2], v[9:10]
	v_add_f64 v[3:4], v[3:4], v[7:8]
	s_delay_alu instid0(VALU_DEP_2) | instskip(NEXT) | instid1(VALU_DEP_2)
	v_add_f64 v[1:2], v[30:31], -v[1:2]
	v_add_f64 v[3:4], v[32:33], -v[3:4]
	scratch_store_b128 off, v[1:4], off offset:432
	v_cmpx_lt_u32_e32 26, v178
	s_cbranch_execz .LBB127_356
; %bb.355:
	scratch_load_b32 v1, off, off offset:1228 ; 4-byte Folded Reload
	v_mov_b32_e32 v5, 0
	s_delay_alu instid0(VALU_DEP_1)
	v_mov_b32_e32 v6, v5
	v_mov_b32_e32 v7, v5
	;; [unrolled: 1-line block ×3, first 2 shown]
	s_waitcnt vmcnt(0)
	scratch_load_b128 v[1:4], v1, off
	scratch_store_b128 off, v[5:8], off offset:416
	s_waitcnt vmcnt(0)
	ds_store_b128 v255, v[1:4]
.LBB127_356:
	s_or_b32 exec_lo, exec_lo, s2
	s_waitcnt lgkmcnt(0)
	s_waitcnt_vscnt null, 0x0
	s_barrier
	buffer_gl0_inv
	s_clause 0x4
	scratch_load_b128 v[2:5], off, off offset:432
	scratch_load_b128 v[6:9], off, off offset:448
	;; [unrolled: 1-line block ×5, first 2 shown]
	v_mov_b32_e32 v1, 0
	scratch_load_b128 v[26:29], off, off offset:416
	s_mov_b32 s2, exec_lo
	ds_load_b128 v[22:25], v1 offset:1456
	ds_load_b128 v[30:33], v1 offset:1472
	s_waitcnt vmcnt(5) lgkmcnt(1)
	v_mul_f64 v[34:35], v[24:25], v[4:5]
	v_mul_f64 v[4:5], v[22:23], v[4:5]
	s_waitcnt vmcnt(4) lgkmcnt(0)
	v_mul_f64 v[36:37], v[30:31], v[8:9]
	v_mul_f64 v[8:9], v[32:33], v[8:9]
	s_delay_alu instid0(VALU_DEP_4) | instskip(NEXT) | instid1(VALU_DEP_4)
	v_fma_f64 v[22:23], v[22:23], v[2:3], -v[34:35]
	v_fma_f64 v[24:25], v[24:25], v[2:3], v[4:5]
	ds_load_b128 v[2:5], v1 offset:1488
	v_fma_f64 v[32:33], v[32:33], v[6:7], v[36:37]
	v_fma_f64 v[30:31], v[30:31], v[6:7], -v[8:9]
	ds_load_b128 v[6:9], v1 offset:1504
	s_waitcnt vmcnt(3) lgkmcnt(1)
	v_mul_f64 v[34:35], v[2:3], v[12:13]
	v_mul_f64 v[12:13], v[4:5], v[12:13]
	s_waitcnt vmcnt(2) lgkmcnt(0)
	v_mul_f64 v[36:37], v[6:7], v[16:17]
	s_delay_alu instid0(VALU_DEP_3) | instskip(NEXT) | instid1(VALU_DEP_3)
	v_fma_f64 v[34:35], v[4:5], v[10:11], v[34:35]
	v_fma_f64 v[38:39], v[2:3], v[10:11], -v[12:13]
	v_mul_f64 v[10:11], v[8:9], v[16:17]
	ds_load_b128 v[2:5], v1 offset:1520
	v_fma_f64 v[16:17], v[8:9], v[14:15], v[36:37]
	v_fma_f64 v[14:15], v[6:7], v[14:15], -v[10:11]
	ds_load_b128 v[6:9], v1 offset:1536
	s_waitcnt vmcnt(1) lgkmcnt(1)
	v_mul_f64 v[10:11], v[2:3], v[20:21]
	v_mul_f64 v[12:13], v[4:5], v[20:21]
	s_delay_alu instid0(VALU_DEP_2) | instskip(NEXT) | instid1(VALU_DEP_2)
	v_fma_f64 v[20:21], v[4:5], v[18:19], v[10:11]
	v_fma_f64 v[18:19], v[2:3], v[18:19], -v[12:13]
	s_clause 0x1
	scratch_load_b128 v[2:5], off, off offset:512
	scratch_load_b128 v[10:13], off, off offset:528
	s_waitcnt vmcnt(1) lgkmcnt(0)
	v_mul_f64 v[36:37], v[6:7], v[4:5]
	v_mul_f64 v[4:5], v[8:9], v[4:5]
	s_delay_alu instid0(VALU_DEP_2) | instskip(NEXT) | instid1(VALU_DEP_2)
	v_fma_f64 v[36:37], v[8:9], v[2:3], v[36:37]
	v_fma_f64 v[40:41], v[6:7], v[2:3], -v[4:5]
	ds_load_b128 v[2:5], v1 offset:1552
	ds_load_b128 v[6:9], v1 offset:1568
	s_waitcnt vmcnt(0) lgkmcnt(1)
	v_mul_f64 v[42:43], v[2:3], v[12:13]
	s_delay_alu instid0(VALU_DEP_1) | instskip(SKIP_1) | instid1(VALU_DEP_1)
	v_fma_f64 v[42:43], v[4:5], v[10:11], v[42:43]
	v_mul_f64 v[4:5], v[4:5], v[12:13]
	v_fma_f64 v[44:45], v[2:3], v[10:11], -v[4:5]
	s_clause 0x1
	scratch_load_b128 v[2:5], off, off offset:544
	scratch_load_b128 v[10:13], off, off offset:560
	s_waitcnt vmcnt(1) lgkmcnt(0)
	v_mul_f64 v[46:47], v[6:7], v[4:5]
	v_mul_f64 v[4:5], v[8:9], v[4:5]
	s_delay_alu instid0(VALU_DEP_2) | instskip(NEXT) | instid1(VALU_DEP_2)
	v_fma_f64 v[46:47], v[8:9], v[2:3], v[46:47]
	v_fma_f64 v[48:49], v[6:7], v[2:3], -v[4:5]
	ds_load_b128 v[2:5], v1 offset:1584
	ds_load_b128 v[6:9], v1 offset:1600
	s_waitcnt vmcnt(0) lgkmcnt(1)
	v_mul_f64 v[54:55], v[2:3], v[12:13]
	s_delay_alu instid0(VALU_DEP_1) | instskip(SKIP_1) | instid1(VALU_DEP_1)
	v_fma_f64 v[54:55], v[4:5], v[10:11], v[54:55]
	v_mul_f64 v[4:5], v[4:5], v[12:13]
	;; [unrolled: 17-line block ×14, first 2 shown]
	v_fma_f64 v[251:252], v[2:3], v[10:11], -v[4:5]
	v_add_f64 v[2:3], v[22:23], 0
	v_add_f64 v[4:5], v[24:25], 0
	s_delay_alu instid0(VALU_DEP_2) | instskip(NEXT) | instid1(VALU_DEP_2)
	v_add_f64 v[2:3], v[2:3], v[30:31]
	v_add_f64 v[4:5], v[4:5], v[32:33]
	s_delay_alu instid0(VALU_DEP_2) | instskip(NEXT) | instid1(VALU_DEP_2)
	;; [unrolled: 3-line block ×26, first 2 shown]
	v_add_f64 v[2:3], v[2:3], v[227:228]
	v_add_f64 v[10:11], v[4:5], v[225:226]
	s_delay_alu instid0(VALU_DEP_2)
	v_add_f64 v[12:13], v[2:3], v[231:232]
	scratch_load_b128 v[2:5], off, off offset:960
	v_add_f64 v[14:15], v[10:11], v[229:230]
	v_add_f64 v[16:17], v[12:13], v[235:236]
	scratch_load_b128 v[10:13], off, off offset:976
	v_add_f64 v[18:19], v[14:15], v[233:234]
	;; [unrolled: 3-line block ×4, first 2 shown]
	v_add_f64 v[24:25], v[24:25], v[247:248]
	s_delay_alu instid0(VALU_DEP_2) | instskip(NEXT) | instid1(VALU_DEP_2)
	v_add_f64 v[22:23], v[22:23], v[245:246]
	v_add_f64 v[24:25], v[24:25], v[251:252]
	s_delay_alu instid0(VALU_DEP_2) | instskip(SKIP_3) | instid1(VALU_DEP_2)
	v_add_f64 v[22:23], v[22:23], v[249:250]
	s_waitcnt vmcnt(3) lgkmcnt(0)
	v_mul_f64 v[30:31], v[6:7], v[4:5]
	v_mul_f64 v[4:5], v[8:9], v[4:5]
	v_fma_f64 v[30:31], v[8:9], v[2:3], v[30:31]
	s_delay_alu instid0(VALU_DEP_2)
	v_fma_f64 v[32:33], v[6:7], v[2:3], -v[4:5]
	ds_load_b128 v[2:5], v1 offset:2000
	ds_load_b128 v[6:9], v1 offset:2016
	s_waitcnt vmcnt(2) lgkmcnt(1)
	v_mul_f64 v[34:35], v[2:3], v[12:13]
	v_mul_f64 v[12:13], v[4:5], v[12:13]
	s_waitcnt vmcnt(1) lgkmcnt(0)
	v_mul_f64 v[36:37], v[6:7], v[16:17]
	v_add_f64 v[22:23], v[22:23], v[30:31]
	s_delay_alu instid0(VALU_DEP_4) | instskip(NEXT) | instid1(VALU_DEP_4)
	v_fma_f64 v[34:35], v[4:5], v[10:11], v[34:35]
	v_fma_f64 v[10:11], v[2:3], v[10:11], -v[12:13]
	v_mul_f64 v[12:13], v[8:9], v[16:17]
	v_add_f64 v[16:17], v[24:25], v[32:33]
	ds_load_b128 v[2:5], v1 offset:2032
	v_fma_f64 v[8:9], v[8:9], v[14:15], v[36:37]
	s_waitcnt vmcnt(0) lgkmcnt(0)
	v_mul_f64 v[24:25], v[2:3], v[20:21]
	v_mul_f64 v[20:21], v[4:5], v[20:21]
	v_fma_f64 v[6:7], v[6:7], v[14:15], -v[12:13]
	v_add_f64 v[10:11], v[16:17], v[10:11]
	v_add_f64 v[12:13], v[22:23], v[34:35]
	v_fma_f64 v[4:5], v[4:5], v[18:19], v[24:25]
	v_fma_f64 v[2:3], v[2:3], v[18:19], -v[20:21]
	s_delay_alu instid0(VALU_DEP_4) | instskip(NEXT) | instid1(VALU_DEP_4)
	v_add_f64 v[6:7], v[10:11], v[6:7]
	v_add_f64 v[8:9], v[12:13], v[8:9]
	s_delay_alu instid0(VALU_DEP_2) | instskip(NEXT) | instid1(VALU_DEP_2)
	v_add_f64 v[2:3], v[6:7], v[2:3]
	v_add_f64 v[4:5], v[8:9], v[4:5]
	s_delay_alu instid0(VALU_DEP_2) | instskip(NEXT) | instid1(VALU_DEP_2)
	v_add_f64 v[2:3], v[26:27], -v[2:3]
	v_add_f64 v[4:5], v[28:29], -v[4:5]
	scratch_store_b128 off, v[2:5], off offset:416
	v_cmpx_lt_u32_e32 25, v178
	s_cbranch_execz .LBB127_358
; %bb.357:
	scratch_load_b32 v2, off, off offset:1232 ; 4-byte Folded Reload
	v_mov_b32_e32 v3, v1
	v_mov_b32_e32 v4, v1
	s_waitcnt vmcnt(0)
	scratch_load_b128 v[5:8], v2, off
	v_mov_b32_e32 v2, v1
	scratch_store_b128 off, v[1:4], off offset:400
	s_waitcnt vmcnt(0)
	ds_store_b128 v255, v[5:8]
.LBB127_358:
	s_or_b32 exec_lo, exec_lo, s2
	s_waitcnt lgkmcnt(0)
	s_waitcnt_vscnt null, 0x0
	s_barrier
	buffer_gl0_inv
	s_clause 0x4
	scratch_load_b128 v[2:5], off, off offset:416
	scratch_load_b128 v[6:9], off, off offset:432
	;; [unrolled: 1-line block ×5, first 2 shown]
	ds_load_b128 v[22:25], v1 offset:1440
	ds_load_b128 v[26:29], v1 offset:1456
	scratch_load_b128 v[30:33], off, off offset:400
	s_mov_b32 s2, exec_lo
	s_waitcnt vmcnt(5) lgkmcnt(1)
	v_mul_f64 v[34:35], v[24:25], v[4:5]
	v_mul_f64 v[4:5], v[22:23], v[4:5]
	s_waitcnt vmcnt(4) lgkmcnt(0)
	v_mul_f64 v[36:37], v[26:27], v[8:9]
	v_mul_f64 v[8:9], v[28:29], v[8:9]
	s_delay_alu instid0(VALU_DEP_4) | instskip(NEXT) | instid1(VALU_DEP_4)
	v_fma_f64 v[22:23], v[22:23], v[2:3], -v[34:35]
	v_fma_f64 v[24:25], v[24:25], v[2:3], v[4:5]
	ds_load_b128 v[2:5], v1 offset:1472
	v_fma_f64 v[28:29], v[28:29], v[6:7], v[36:37]
	v_fma_f64 v[26:27], v[26:27], v[6:7], -v[8:9]
	ds_load_b128 v[6:9], v1 offset:1488
	s_waitcnt vmcnt(3) lgkmcnt(1)
	v_mul_f64 v[34:35], v[2:3], v[12:13]
	v_mul_f64 v[12:13], v[4:5], v[12:13]
	s_waitcnt vmcnt(2) lgkmcnt(0)
	v_mul_f64 v[36:37], v[6:7], v[16:17]
	s_delay_alu instid0(VALU_DEP_3) | instskip(NEXT) | instid1(VALU_DEP_3)
	v_fma_f64 v[34:35], v[4:5], v[10:11], v[34:35]
	v_fma_f64 v[38:39], v[2:3], v[10:11], -v[12:13]
	v_mul_f64 v[10:11], v[8:9], v[16:17]
	ds_load_b128 v[2:5], v1 offset:1504
	v_fma_f64 v[16:17], v[8:9], v[14:15], v[36:37]
	v_fma_f64 v[14:15], v[6:7], v[14:15], -v[10:11]
	ds_load_b128 v[6:9], v1 offset:1520
	s_waitcnt vmcnt(1) lgkmcnt(1)
	v_mul_f64 v[10:11], v[2:3], v[20:21]
	v_mul_f64 v[12:13], v[4:5], v[20:21]
	s_delay_alu instid0(VALU_DEP_2) | instskip(NEXT) | instid1(VALU_DEP_2)
	v_fma_f64 v[20:21], v[4:5], v[18:19], v[10:11]
	v_fma_f64 v[18:19], v[2:3], v[18:19], -v[12:13]
	s_clause 0x1
	scratch_load_b128 v[2:5], off, off offset:496
	scratch_load_b128 v[10:13], off, off offset:512
	s_waitcnt vmcnt(1) lgkmcnt(0)
	v_mul_f64 v[36:37], v[6:7], v[4:5]
	v_mul_f64 v[4:5], v[8:9], v[4:5]
	s_delay_alu instid0(VALU_DEP_2) | instskip(NEXT) | instid1(VALU_DEP_2)
	v_fma_f64 v[36:37], v[8:9], v[2:3], v[36:37]
	v_fma_f64 v[40:41], v[6:7], v[2:3], -v[4:5]
	ds_load_b128 v[2:5], v1 offset:1536
	ds_load_b128 v[6:9], v1 offset:1552
	s_waitcnt vmcnt(0) lgkmcnt(1)
	v_mul_f64 v[42:43], v[2:3], v[12:13]
	s_delay_alu instid0(VALU_DEP_1) | instskip(SKIP_1) | instid1(VALU_DEP_1)
	v_fma_f64 v[42:43], v[4:5], v[10:11], v[42:43]
	v_mul_f64 v[4:5], v[4:5], v[12:13]
	v_fma_f64 v[44:45], v[2:3], v[10:11], -v[4:5]
	s_clause 0x1
	scratch_load_b128 v[2:5], off, off offset:528
	scratch_load_b128 v[10:13], off, off offset:544
	s_waitcnt vmcnt(1) lgkmcnt(0)
	v_mul_f64 v[46:47], v[6:7], v[4:5]
	v_mul_f64 v[4:5], v[8:9], v[4:5]
	s_delay_alu instid0(VALU_DEP_2) | instskip(NEXT) | instid1(VALU_DEP_2)
	v_fma_f64 v[46:47], v[8:9], v[2:3], v[46:47]
	v_fma_f64 v[48:49], v[6:7], v[2:3], -v[4:5]
	ds_load_b128 v[2:5], v1 offset:1568
	ds_load_b128 v[6:9], v1 offset:1584
	s_waitcnt vmcnt(0) lgkmcnt(1)
	v_mul_f64 v[54:55], v[2:3], v[12:13]
	s_delay_alu instid0(VALU_DEP_1) | instskip(SKIP_1) | instid1(VALU_DEP_1)
	v_fma_f64 v[54:55], v[4:5], v[10:11], v[54:55]
	v_mul_f64 v[4:5], v[4:5], v[12:13]
	v_fma_f64 v[56:57], v[2:3], v[10:11], -v[4:5]
	s_clause 0x1
	scratch_load_b128 v[2:5], off, off offset:560
	scratch_load_b128 v[10:13], off, off offset:576
	s_waitcnt vmcnt(1) lgkmcnt(0)
	v_mul_f64 v[58:59], v[6:7], v[4:5]
	v_mul_f64 v[4:5], v[8:9], v[4:5]
	s_delay_alu instid0(VALU_DEP_2) | instskip(NEXT) | instid1(VALU_DEP_2)
	v_fma_f64 v[58:59], v[8:9], v[2:3], v[58:59]
	v_fma_f64 v[60:61], v[6:7], v[2:3], -v[4:5]
	ds_load_b128 v[2:5], v1 offset:1600
	ds_load_b128 v[6:9], v1 offset:1616
	s_waitcnt vmcnt(0) lgkmcnt(1)
	v_mul_f64 v[62:63], v[2:3], v[12:13]
	s_delay_alu instid0(VALU_DEP_1) | instskip(SKIP_1) | instid1(VALU_DEP_1)
	v_fma_f64 v[62:63], v[4:5], v[10:11], v[62:63]
	v_mul_f64 v[4:5], v[4:5], v[12:13]
	v_fma_f64 v[84:85], v[2:3], v[10:11], -v[4:5]
	s_clause 0x1
	scratch_load_b128 v[2:5], off, off offset:592
	scratch_load_b128 v[10:13], off, off offset:608
	s_waitcnt vmcnt(1) lgkmcnt(0)
	v_mul_f64 v[86:87], v[6:7], v[4:5]
	v_mul_f64 v[4:5], v[8:9], v[4:5]
	s_delay_alu instid0(VALU_DEP_2) | instskip(NEXT) | instid1(VALU_DEP_2)
	v_fma_f64 v[86:87], v[8:9], v[2:3], v[86:87]
	v_fma_f64 v[92:93], v[6:7], v[2:3], -v[4:5]
	ds_load_b128 v[2:5], v1 offset:1632
	ds_load_b128 v[6:9], v1 offset:1648
	s_waitcnt vmcnt(0) lgkmcnt(1)
	v_mul_f64 v[94:95], v[2:3], v[12:13]
	s_delay_alu instid0(VALU_DEP_1) | instskip(SKIP_1) | instid1(VALU_DEP_1)
	v_fma_f64 v[94:95], v[4:5], v[10:11], v[94:95]
	v_mul_f64 v[4:5], v[4:5], v[12:13]
	v_fma_f64 v[96:97], v[2:3], v[10:11], -v[4:5]
	s_clause 0x1
	scratch_load_b128 v[2:5], off, off offset:624
	scratch_load_b128 v[10:13], off, off offset:640
	s_waitcnt vmcnt(1) lgkmcnt(0)
	v_mul_f64 v[98:99], v[6:7], v[4:5]
	v_mul_f64 v[4:5], v[8:9], v[4:5]
	s_delay_alu instid0(VALU_DEP_2) | instskip(NEXT) | instid1(VALU_DEP_2)
	v_fma_f64 v[98:99], v[8:9], v[2:3], v[98:99]
	v_fma_f64 v[100:101], v[6:7], v[2:3], -v[4:5]
	ds_load_b128 v[2:5], v1 offset:1664
	ds_load_b128 v[6:9], v1 offset:1680
	s_waitcnt vmcnt(0) lgkmcnt(1)
	v_mul_f64 v[102:103], v[2:3], v[12:13]
	s_delay_alu instid0(VALU_DEP_1) | instskip(SKIP_1) | instid1(VALU_DEP_1)
	v_fma_f64 v[102:103], v[4:5], v[10:11], v[102:103]
	v_mul_f64 v[4:5], v[4:5], v[12:13]
	v_fma_f64 v[104:105], v[2:3], v[10:11], -v[4:5]
	s_clause 0x1
	scratch_load_b128 v[2:5], off, off offset:656
	scratch_load_b128 v[10:13], off, off offset:672
	s_waitcnt vmcnt(1) lgkmcnt(0)
	v_mul_f64 v[179:180], v[6:7], v[4:5]
	v_mul_f64 v[4:5], v[8:9], v[4:5]
	s_delay_alu instid0(VALU_DEP_2) | instskip(NEXT) | instid1(VALU_DEP_2)
	v_fma_f64 v[179:180], v[8:9], v[2:3], v[179:180]
	v_fma_f64 v[181:182], v[6:7], v[2:3], -v[4:5]
	ds_load_b128 v[2:5], v1 offset:1696
	ds_load_b128 v[6:9], v1 offset:1712
	s_waitcnt vmcnt(0) lgkmcnt(1)
	v_mul_f64 v[183:184], v[2:3], v[12:13]
	s_delay_alu instid0(VALU_DEP_1) | instskip(SKIP_1) | instid1(VALU_DEP_1)
	v_fma_f64 v[183:184], v[4:5], v[10:11], v[183:184]
	v_mul_f64 v[4:5], v[4:5], v[12:13]
	v_fma_f64 v[185:186], v[2:3], v[10:11], -v[4:5]
	s_clause 0x1
	scratch_load_b128 v[2:5], off, off offset:688
	scratch_load_b128 v[10:13], off, off offset:704
	s_waitcnt vmcnt(1) lgkmcnt(0)
	v_mul_f64 v[187:188], v[6:7], v[4:5]
	v_mul_f64 v[4:5], v[8:9], v[4:5]
	s_delay_alu instid0(VALU_DEP_2) | instskip(NEXT) | instid1(VALU_DEP_2)
	v_fma_f64 v[187:188], v[8:9], v[2:3], v[187:188]
	v_fma_f64 v[189:190], v[6:7], v[2:3], -v[4:5]
	ds_load_b128 v[2:5], v1 offset:1728
	ds_load_b128 v[6:9], v1 offset:1744
	s_waitcnt vmcnt(0) lgkmcnt(1)
	v_mul_f64 v[191:192], v[2:3], v[12:13]
	s_delay_alu instid0(VALU_DEP_1) | instskip(SKIP_1) | instid1(VALU_DEP_1)
	v_fma_f64 v[191:192], v[4:5], v[10:11], v[191:192]
	v_mul_f64 v[4:5], v[4:5], v[12:13]
	v_fma_f64 v[193:194], v[2:3], v[10:11], -v[4:5]
	s_clause 0x1
	scratch_load_b128 v[2:5], off, off offset:720
	scratch_load_b128 v[10:13], off, off offset:736
	s_waitcnt vmcnt(1) lgkmcnt(0)
	v_mul_f64 v[195:196], v[6:7], v[4:5]
	v_mul_f64 v[4:5], v[8:9], v[4:5]
	s_delay_alu instid0(VALU_DEP_2) | instskip(NEXT) | instid1(VALU_DEP_2)
	v_fma_f64 v[195:196], v[8:9], v[2:3], v[195:196]
	v_fma_f64 v[197:198], v[6:7], v[2:3], -v[4:5]
	ds_load_b128 v[2:5], v1 offset:1760
	ds_load_b128 v[6:9], v1 offset:1776
	s_waitcnt vmcnt(0) lgkmcnt(1)
	v_mul_f64 v[199:200], v[2:3], v[12:13]
	s_delay_alu instid0(VALU_DEP_1) | instskip(SKIP_1) | instid1(VALU_DEP_1)
	v_fma_f64 v[199:200], v[4:5], v[10:11], v[199:200]
	v_mul_f64 v[4:5], v[4:5], v[12:13]
	v_fma_f64 v[201:202], v[2:3], v[10:11], -v[4:5]
	s_clause 0x1
	scratch_load_b128 v[2:5], off, off offset:752
	scratch_load_b128 v[10:13], off, off offset:768
	s_waitcnt vmcnt(1) lgkmcnt(0)
	v_mul_f64 v[203:204], v[6:7], v[4:5]
	v_mul_f64 v[4:5], v[8:9], v[4:5]
	s_delay_alu instid0(VALU_DEP_2) | instskip(NEXT) | instid1(VALU_DEP_2)
	v_fma_f64 v[203:204], v[8:9], v[2:3], v[203:204]
	v_fma_f64 v[205:206], v[6:7], v[2:3], -v[4:5]
	ds_load_b128 v[2:5], v1 offset:1792
	ds_load_b128 v[6:9], v1 offset:1808
	s_waitcnt vmcnt(0) lgkmcnt(1)
	v_mul_f64 v[207:208], v[2:3], v[12:13]
	s_delay_alu instid0(VALU_DEP_1) | instskip(SKIP_1) | instid1(VALU_DEP_1)
	v_fma_f64 v[207:208], v[4:5], v[10:11], v[207:208]
	v_mul_f64 v[4:5], v[4:5], v[12:13]
	v_fma_f64 v[210:211], v[2:3], v[10:11], -v[4:5]
	s_clause 0x1
	scratch_load_b128 v[2:5], off, off offset:784
	scratch_load_b128 v[10:13], off, off offset:800
	s_waitcnt vmcnt(1) lgkmcnt(0)
	v_mul_f64 v[212:213], v[6:7], v[4:5]
	v_mul_f64 v[4:5], v[8:9], v[4:5]
	s_delay_alu instid0(VALU_DEP_2) | instskip(NEXT) | instid1(VALU_DEP_2)
	v_fma_f64 v[212:213], v[8:9], v[2:3], v[212:213]
	v_fma_f64 v[215:216], v[6:7], v[2:3], -v[4:5]
	ds_load_b128 v[2:5], v1 offset:1824
	ds_load_b128 v[6:9], v1 offset:1840
	s_waitcnt vmcnt(0) lgkmcnt(1)
	v_mul_f64 v[217:218], v[2:3], v[12:13]
	s_delay_alu instid0(VALU_DEP_1) | instskip(SKIP_1) | instid1(VALU_DEP_1)
	v_fma_f64 v[217:218], v[4:5], v[10:11], v[217:218]
	v_mul_f64 v[4:5], v[4:5], v[12:13]
	v_fma_f64 v[219:220], v[2:3], v[10:11], -v[4:5]
	s_clause 0x1
	scratch_load_b128 v[2:5], off, off offset:816
	scratch_load_b128 v[10:13], off, off offset:832
	s_waitcnt vmcnt(1) lgkmcnt(0)
	v_mul_f64 v[221:222], v[6:7], v[4:5]
	v_mul_f64 v[4:5], v[8:9], v[4:5]
	s_delay_alu instid0(VALU_DEP_2) | instskip(NEXT) | instid1(VALU_DEP_2)
	v_fma_f64 v[221:222], v[8:9], v[2:3], v[221:222]
	v_fma_f64 v[223:224], v[6:7], v[2:3], -v[4:5]
	ds_load_b128 v[2:5], v1 offset:1856
	ds_load_b128 v[6:9], v1 offset:1872
	s_waitcnt vmcnt(0) lgkmcnt(1)
	v_mul_f64 v[225:226], v[2:3], v[12:13]
	s_delay_alu instid0(VALU_DEP_1) | instskip(SKIP_1) | instid1(VALU_DEP_1)
	v_fma_f64 v[225:226], v[4:5], v[10:11], v[225:226]
	v_mul_f64 v[4:5], v[4:5], v[12:13]
	v_fma_f64 v[227:228], v[2:3], v[10:11], -v[4:5]
	s_clause 0x1
	scratch_load_b128 v[2:5], off, off offset:848
	scratch_load_b128 v[10:13], off, off offset:864
	s_waitcnt vmcnt(1) lgkmcnt(0)
	v_mul_f64 v[229:230], v[6:7], v[4:5]
	v_mul_f64 v[4:5], v[8:9], v[4:5]
	s_delay_alu instid0(VALU_DEP_2) | instskip(NEXT) | instid1(VALU_DEP_2)
	v_fma_f64 v[229:230], v[8:9], v[2:3], v[229:230]
	v_fma_f64 v[231:232], v[6:7], v[2:3], -v[4:5]
	ds_load_b128 v[2:5], v1 offset:1888
	ds_load_b128 v[6:9], v1 offset:1904
	s_waitcnt vmcnt(0) lgkmcnt(1)
	v_mul_f64 v[233:234], v[2:3], v[12:13]
	s_delay_alu instid0(VALU_DEP_1) | instskip(SKIP_1) | instid1(VALU_DEP_1)
	v_fma_f64 v[233:234], v[4:5], v[10:11], v[233:234]
	v_mul_f64 v[4:5], v[4:5], v[12:13]
	v_fma_f64 v[235:236], v[2:3], v[10:11], -v[4:5]
	s_clause 0x1
	scratch_load_b128 v[2:5], off, off offset:880
	scratch_load_b128 v[10:13], off, off offset:896
	s_waitcnt vmcnt(1) lgkmcnt(0)
	v_mul_f64 v[237:238], v[6:7], v[4:5]
	v_mul_f64 v[4:5], v[8:9], v[4:5]
	s_delay_alu instid0(VALU_DEP_2) | instskip(NEXT) | instid1(VALU_DEP_2)
	v_fma_f64 v[237:238], v[8:9], v[2:3], v[237:238]
	v_fma_f64 v[239:240], v[6:7], v[2:3], -v[4:5]
	ds_load_b128 v[2:5], v1 offset:1920
	ds_load_b128 v[6:9], v1 offset:1936
	s_waitcnt vmcnt(0) lgkmcnt(1)
	v_mul_f64 v[241:242], v[2:3], v[12:13]
	s_delay_alu instid0(VALU_DEP_1) | instskip(SKIP_1) | instid1(VALU_DEP_1)
	v_fma_f64 v[241:242], v[4:5], v[10:11], v[241:242]
	v_mul_f64 v[4:5], v[4:5], v[12:13]
	v_fma_f64 v[243:244], v[2:3], v[10:11], -v[4:5]
	s_clause 0x1
	scratch_load_b128 v[2:5], off, off offset:912
	scratch_load_b128 v[10:13], off, off offset:928
	s_waitcnt vmcnt(1) lgkmcnt(0)
	v_mul_f64 v[245:246], v[6:7], v[4:5]
	v_mul_f64 v[4:5], v[8:9], v[4:5]
	s_delay_alu instid0(VALU_DEP_2) | instskip(NEXT) | instid1(VALU_DEP_2)
	v_fma_f64 v[245:246], v[8:9], v[2:3], v[245:246]
	v_fma_f64 v[247:248], v[6:7], v[2:3], -v[4:5]
	ds_load_b128 v[2:5], v1 offset:1952
	ds_load_b128 v[6:9], v1 offset:1968
	s_waitcnt vmcnt(0) lgkmcnt(1)
	v_mul_f64 v[249:250], v[2:3], v[12:13]
	s_delay_alu instid0(VALU_DEP_1) | instskip(SKIP_1) | instid1(VALU_DEP_1)
	v_fma_f64 v[249:250], v[4:5], v[10:11], v[249:250]
	v_mul_f64 v[4:5], v[4:5], v[12:13]
	v_fma_f64 v[251:252], v[2:3], v[10:11], -v[4:5]
	s_clause 0x1
	scratch_load_b128 v[2:5], off, off offset:944
	scratch_load_b128 v[10:13], off, off offset:960
	s_waitcnt vmcnt(1) lgkmcnt(0)
	v_mul_f64 v[64:65], v[6:7], v[4:5]
	v_mul_f64 v[4:5], v[8:9], v[4:5]
	s_delay_alu instid0(VALU_DEP_2) | instskip(NEXT) | instid1(VALU_DEP_2)
	v_fma_f64 v[64:65], v[8:9], v[2:3], v[64:65]
	v_fma_f64 v[66:67], v[6:7], v[2:3], -v[4:5]
	ds_load_b128 v[2:5], v1 offset:1984
	ds_load_b128 v[6:9], v1 offset:2000
	s_waitcnt vmcnt(0) lgkmcnt(1)
	v_mul_f64 v[68:69], v[2:3], v[12:13]
	s_delay_alu instid0(VALU_DEP_1) | instskip(SKIP_1) | instid1(VALU_DEP_1)
	v_fma_f64 v[68:69], v[4:5], v[10:11], v[68:69]
	v_mul_f64 v[4:5], v[4:5], v[12:13]
	v_fma_f64 v[70:71], v[2:3], v[10:11], -v[4:5]
	v_add_f64 v[2:3], v[22:23], 0
	v_add_f64 v[4:5], v[24:25], 0
	s_delay_alu instid0(VALU_DEP_2) | instskip(NEXT) | instid1(VALU_DEP_2)
	v_add_f64 v[2:3], v[2:3], v[26:27]
	v_add_f64 v[4:5], v[4:5], v[28:29]
	s_delay_alu instid0(VALU_DEP_2) | instskip(NEXT) | instid1(VALU_DEP_2)
	;; [unrolled: 3-line block ×28, first 2 shown]
	v_add_f64 v[2:3], v[2:3], v[235:236]
	v_add_f64 v[10:11], v[4:5], v[233:234]
	s_delay_alu instid0(VALU_DEP_2)
	v_add_f64 v[12:13], v[2:3], v[239:240]
	scratch_load_b128 v[2:5], off, off offset:976
	v_add_f64 v[14:15], v[10:11], v[237:238]
	v_add_f64 v[16:17], v[12:13], v[243:244]
	scratch_load_b128 v[10:13], off, off offset:992
	v_add_f64 v[18:19], v[14:15], v[241:242]
	;; [unrolled: 3-line block ×3, first 2 shown]
	v_add_f64 v[20:21], v[20:21], v[251:252]
	s_delay_alu instid0(VALU_DEP_2) | instskip(NEXT) | instid1(VALU_DEP_2)
	v_add_f64 v[18:19], v[18:19], v[249:250]
	v_add_f64 v[28:29], v[20:21], v[66:67]
	s_delay_alu instid0(VALU_DEP_2)
	v_add_f64 v[34:35], v[18:19], v[64:65]
	ds_load_b128 v[18:21], v1 offset:2016
	ds_load_b128 v[22:25], v1 offset:2032
	s_waitcnt vmcnt(2) lgkmcnt(2)
	v_mul_f64 v[26:27], v[6:7], v[4:5]
	v_mul_f64 v[4:5], v[8:9], v[4:5]
	s_waitcnt vmcnt(1) lgkmcnt(1)
	v_mul_f64 v[36:37], v[18:19], v[12:13]
	s_delay_alu instid0(VALU_DEP_3) | instskip(NEXT) | instid1(VALU_DEP_3)
	v_fma_f64 v[8:9], v[8:9], v[2:3], v[26:27]
	v_fma_f64 v[1:2], v[6:7], v[2:3], -v[4:5]
	v_mul_f64 v[3:4], v[20:21], v[12:13]
	v_add_f64 v[5:6], v[28:29], v[70:71]
	v_add_f64 v[12:13], v[34:35], v[68:69]
	s_waitcnt vmcnt(0) lgkmcnt(0)
	v_mul_f64 v[26:27], v[22:23], v[16:17]
	v_mul_f64 v[16:17], v[24:25], v[16:17]
	v_fma_f64 v[20:21], v[20:21], v[10:11], v[36:37]
	v_fma_f64 v[3:4], v[18:19], v[10:11], -v[3:4]
	v_add_f64 v[1:2], v[5:6], v[1:2]
	v_add_f64 v[5:6], v[12:13], v[8:9]
	v_fma_f64 v[7:8], v[24:25], v[14:15], v[26:27]
	v_fma_f64 v[9:10], v[22:23], v[14:15], -v[16:17]
	s_delay_alu instid0(VALU_DEP_4) | instskip(NEXT) | instid1(VALU_DEP_4)
	v_add_f64 v[1:2], v[1:2], v[3:4]
	v_add_f64 v[3:4], v[5:6], v[20:21]
	s_delay_alu instid0(VALU_DEP_2) | instskip(NEXT) | instid1(VALU_DEP_2)
	v_add_f64 v[1:2], v[1:2], v[9:10]
	v_add_f64 v[3:4], v[3:4], v[7:8]
	s_delay_alu instid0(VALU_DEP_2) | instskip(NEXT) | instid1(VALU_DEP_2)
	v_add_f64 v[1:2], v[30:31], -v[1:2]
	v_add_f64 v[3:4], v[32:33], -v[3:4]
	scratch_store_b128 off, v[1:4], off offset:400
	v_cmpx_lt_u32_e32 24, v178
	s_cbranch_execz .LBB127_360
; %bb.359:
	scratch_load_b32 v1, off, off offset:1236 ; 4-byte Folded Reload
	v_mov_b32_e32 v5, 0
	s_delay_alu instid0(VALU_DEP_1)
	v_mov_b32_e32 v6, v5
	v_mov_b32_e32 v7, v5
	;; [unrolled: 1-line block ×3, first 2 shown]
	s_waitcnt vmcnt(0)
	scratch_load_b128 v[1:4], v1, off
	scratch_store_b128 off, v[5:8], off offset:384
	s_waitcnt vmcnt(0)
	ds_store_b128 v255, v[1:4]
.LBB127_360:
	s_or_b32 exec_lo, exec_lo, s2
	s_waitcnt lgkmcnt(0)
	s_waitcnt_vscnt null, 0x0
	s_barrier
	buffer_gl0_inv
	s_clause 0x4
	scratch_load_b128 v[2:5], off, off offset:400
	scratch_load_b128 v[6:9], off, off offset:416
	;; [unrolled: 1-line block ×5, first 2 shown]
	v_mov_b32_e32 v1, 0
	scratch_load_b128 v[26:29], off, off offset:384
	s_mov_b32 s2, exec_lo
	ds_load_b128 v[22:25], v1 offset:1424
	ds_load_b128 v[30:33], v1 offset:1440
	s_waitcnt vmcnt(5) lgkmcnt(1)
	v_mul_f64 v[34:35], v[24:25], v[4:5]
	v_mul_f64 v[4:5], v[22:23], v[4:5]
	s_waitcnt vmcnt(4) lgkmcnt(0)
	v_mul_f64 v[36:37], v[30:31], v[8:9]
	v_mul_f64 v[8:9], v[32:33], v[8:9]
	s_delay_alu instid0(VALU_DEP_4) | instskip(NEXT) | instid1(VALU_DEP_4)
	v_fma_f64 v[22:23], v[22:23], v[2:3], -v[34:35]
	v_fma_f64 v[24:25], v[24:25], v[2:3], v[4:5]
	ds_load_b128 v[2:5], v1 offset:1456
	v_fma_f64 v[32:33], v[32:33], v[6:7], v[36:37]
	v_fma_f64 v[30:31], v[30:31], v[6:7], -v[8:9]
	ds_load_b128 v[6:9], v1 offset:1472
	s_waitcnt vmcnt(3) lgkmcnt(1)
	v_mul_f64 v[34:35], v[2:3], v[12:13]
	v_mul_f64 v[12:13], v[4:5], v[12:13]
	s_waitcnt vmcnt(2) lgkmcnt(0)
	v_mul_f64 v[36:37], v[6:7], v[16:17]
	s_delay_alu instid0(VALU_DEP_3) | instskip(NEXT) | instid1(VALU_DEP_3)
	v_fma_f64 v[34:35], v[4:5], v[10:11], v[34:35]
	v_fma_f64 v[38:39], v[2:3], v[10:11], -v[12:13]
	v_mul_f64 v[10:11], v[8:9], v[16:17]
	ds_load_b128 v[2:5], v1 offset:1488
	v_fma_f64 v[16:17], v[8:9], v[14:15], v[36:37]
	v_fma_f64 v[14:15], v[6:7], v[14:15], -v[10:11]
	ds_load_b128 v[6:9], v1 offset:1504
	s_waitcnt vmcnt(1) lgkmcnt(1)
	v_mul_f64 v[10:11], v[2:3], v[20:21]
	v_mul_f64 v[12:13], v[4:5], v[20:21]
	s_delay_alu instid0(VALU_DEP_2) | instskip(NEXT) | instid1(VALU_DEP_2)
	v_fma_f64 v[20:21], v[4:5], v[18:19], v[10:11]
	v_fma_f64 v[18:19], v[2:3], v[18:19], -v[12:13]
	s_clause 0x1
	scratch_load_b128 v[2:5], off, off offset:480
	scratch_load_b128 v[10:13], off, off offset:496
	s_waitcnt vmcnt(1) lgkmcnt(0)
	v_mul_f64 v[36:37], v[6:7], v[4:5]
	v_mul_f64 v[4:5], v[8:9], v[4:5]
	s_delay_alu instid0(VALU_DEP_2) | instskip(NEXT) | instid1(VALU_DEP_2)
	v_fma_f64 v[36:37], v[8:9], v[2:3], v[36:37]
	v_fma_f64 v[40:41], v[6:7], v[2:3], -v[4:5]
	ds_load_b128 v[2:5], v1 offset:1520
	ds_load_b128 v[6:9], v1 offset:1536
	s_waitcnt vmcnt(0) lgkmcnt(1)
	v_mul_f64 v[42:43], v[2:3], v[12:13]
	s_delay_alu instid0(VALU_DEP_1) | instskip(SKIP_1) | instid1(VALU_DEP_1)
	v_fma_f64 v[42:43], v[4:5], v[10:11], v[42:43]
	v_mul_f64 v[4:5], v[4:5], v[12:13]
	v_fma_f64 v[44:45], v[2:3], v[10:11], -v[4:5]
	s_clause 0x1
	scratch_load_b128 v[2:5], off, off offset:512
	scratch_load_b128 v[10:13], off, off offset:528
	s_waitcnt vmcnt(1) lgkmcnt(0)
	v_mul_f64 v[46:47], v[6:7], v[4:5]
	v_mul_f64 v[4:5], v[8:9], v[4:5]
	s_delay_alu instid0(VALU_DEP_2) | instskip(NEXT) | instid1(VALU_DEP_2)
	v_fma_f64 v[46:47], v[8:9], v[2:3], v[46:47]
	v_fma_f64 v[48:49], v[6:7], v[2:3], -v[4:5]
	ds_load_b128 v[2:5], v1 offset:1552
	ds_load_b128 v[6:9], v1 offset:1568
	s_waitcnt vmcnt(0) lgkmcnt(1)
	v_mul_f64 v[54:55], v[2:3], v[12:13]
	s_delay_alu instid0(VALU_DEP_1) | instskip(SKIP_1) | instid1(VALU_DEP_1)
	v_fma_f64 v[54:55], v[4:5], v[10:11], v[54:55]
	v_mul_f64 v[4:5], v[4:5], v[12:13]
	;; [unrolled: 17-line block ×15, first 2 shown]
	v_fma_f64 v[251:252], v[2:3], v[10:11], -v[4:5]
	v_add_f64 v[2:3], v[22:23], 0
	v_add_f64 v[4:5], v[24:25], 0
	s_delay_alu instid0(VALU_DEP_2) | instskip(NEXT) | instid1(VALU_DEP_2)
	v_add_f64 v[2:3], v[2:3], v[30:31]
	v_add_f64 v[4:5], v[4:5], v[32:33]
	s_delay_alu instid0(VALU_DEP_2) | instskip(NEXT) | instid1(VALU_DEP_2)
	;; [unrolled: 3-line block ×28, first 2 shown]
	v_add_f64 v[2:3], v[2:3], v[227:228]
	v_add_f64 v[10:11], v[4:5], v[225:226]
	s_delay_alu instid0(VALU_DEP_2)
	v_add_f64 v[12:13], v[2:3], v[231:232]
	scratch_load_b128 v[2:5], off, off offset:960
	v_add_f64 v[14:15], v[10:11], v[229:230]
	v_add_f64 v[16:17], v[12:13], v[235:236]
	scratch_load_b128 v[10:13], off, off offset:976
	v_add_f64 v[18:19], v[14:15], v[233:234]
	;; [unrolled: 3-line block ×4, first 2 shown]
	v_add_f64 v[24:25], v[24:25], v[247:248]
	s_delay_alu instid0(VALU_DEP_2) | instskip(NEXT) | instid1(VALU_DEP_2)
	v_add_f64 v[22:23], v[22:23], v[245:246]
	v_add_f64 v[24:25], v[24:25], v[251:252]
	s_delay_alu instid0(VALU_DEP_2) | instskip(SKIP_3) | instid1(VALU_DEP_2)
	v_add_f64 v[22:23], v[22:23], v[249:250]
	s_waitcnt vmcnt(3) lgkmcnt(0)
	v_mul_f64 v[30:31], v[6:7], v[4:5]
	v_mul_f64 v[4:5], v[8:9], v[4:5]
	v_fma_f64 v[30:31], v[8:9], v[2:3], v[30:31]
	s_delay_alu instid0(VALU_DEP_2)
	v_fma_f64 v[32:33], v[6:7], v[2:3], -v[4:5]
	ds_load_b128 v[2:5], v1 offset:2000
	ds_load_b128 v[6:9], v1 offset:2016
	s_waitcnt vmcnt(2) lgkmcnt(1)
	v_mul_f64 v[34:35], v[2:3], v[12:13]
	v_mul_f64 v[12:13], v[4:5], v[12:13]
	s_waitcnt vmcnt(1) lgkmcnt(0)
	v_mul_f64 v[36:37], v[6:7], v[16:17]
	v_add_f64 v[22:23], v[22:23], v[30:31]
	s_delay_alu instid0(VALU_DEP_4) | instskip(NEXT) | instid1(VALU_DEP_4)
	v_fma_f64 v[34:35], v[4:5], v[10:11], v[34:35]
	v_fma_f64 v[10:11], v[2:3], v[10:11], -v[12:13]
	v_mul_f64 v[12:13], v[8:9], v[16:17]
	v_add_f64 v[16:17], v[24:25], v[32:33]
	ds_load_b128 v[2:5], v1 offset:2032
	v_fma_f64 v[8:9], v[8:9], v[14:15], v[36:37]
	s_waitcnt vmcnt(0) lgkmcnt(0)
	v_mul_f64 v[24:25], v[2:3], v[20:21]
	v_mul_f64 v[20:21], v[4:5], v[20:21]
	v_fma_f64 v[6:7], v[6:7], v[14:15], -v[12:13]
	v_add_f64 v[10:11], v[16:17], v[10:11]
	v_add_f64 v[12:13], v[22:23], v[34:35]
	v_fma_f64 v[4:5], v[4:5], v[18:19], v[24:25]
	v_fma_f64 v[2:3], v[2:3], v[18:19], -v[20:21]
	s_delay_alu instid0(VALU_DEP_4) | instskip(NEXT) | instid1(VALU_DEP_4)
	v_add_f64 v[6:7], v[10:11], v[6:7]
	v_add_f64 v[8:9], v[12:13], v[8:9]
	s_delay_alu instid0(VALU_DEP_2) | instskip(NEXT) | instid1(VALU_DEP_2)
	v_add_f64 v[2:3], v[6:7], v[2:3]
	v_add_f64 v[4:5], v[8:9], v[4:5]
	s_delay_alu instid0(VALU_DEP_2) | instskip(NEXT) | instid1(VALU_DEP_2)
	v_add_f64 v[2:3], v[26:27], -v[2:3]
	v_add_f64 v[4:5], v[28:29], -v[4:5]
	scratch_store_b128 off, v[2:5], off offset:384
	v_cmpx_lt_u32_e32 23, v178
	s_cbranch_execz .LBB127_362
; %bb.361:
	scratch_load_b32 v2, off, off offset:1240 ; 4-byte Folded Reload
	v_mov_b32_e32 v3, v1
	v_mov_b32_e32 v4, v1
	s_waitcnt vmcnt(0)
	scratch_load_b128 v[5:8], v2, off
	v_mov_b32_e32 v2, v1
	scratch_store_b128 off, v[1:4], off offset:368
	s_waitcnt vmcnt(0)
	ds_store_b128 v255, v[5:8]
.LBB127_362:
	s_or_b32 exec_lo, exec_lo, s2
	s_waitcnt lgkmcnt(0)
	s_waitcnt_vscnt null, 0x0
	s_barrier
	buffer_gl0_inv
	s_clause 0x4
	scratch_load_b128 v[2:5], off, off offset:384
	scratch_load_b128 v[6:9], off, off offset:400
	;; [unrolled: 1-line block ×5, first 2 shown]
	ds_load_b128 v[22:25], v1 offset:1408
	ds_load_b128 v[26:29], v1 offset:1424
	scratch_load_b128 v[30:33], off, off offset:368
	s_mov_b32 s2, exec_lo
	s_waitcnt vmcnt(5) lgkmcnt(1)
	v_mul_f64 v[34:35], v[24:25], v[4:5]
	v_mul_f64 v[4:5], v[22:23], v[4:5]
	s_waitcnt vmcnt(4) lgkmcnt(0)
	v_mul_f64 v[36:37], v[26:27], v[8:9]
	v_mul_f64 v[8:9], v[28:29], v[8:9]
	s_delay_alu instid0(VALU_DEP_4) | instskip(NEXT) | instid1(VALU_DEP_4)
	v_fma_f64 v[22:23], v[22:23], v[2:3], -v[34:35]
	v_fma_f64 v[24:25], v[24:25], v[2:3], v[4:5]
	ds_load_b128 v[2:5], v1 offset:1440
	v_fma_f64 v[28:29], v[28:29], v[6:7], v[36:37]
	v_fma_f64 v[26:27], v[26:27], v[6:7], -v[8:9]
	ds_load_b128 v[6:9], v1 offset:1456
	s_waitcnt vmcnt(3) lgkmcnt(1)
	v_mul_f64 v[34:35], v[2:3], v[12:13]
	v_mul_f64 v[12:13], v[4:5], v[12:13]
	s_waitcnt vmcnt(2) lgkmcnt(0)
	v_mul_f64 v[36:37], v[6:7], v[16:17]
	s_delay_alu instid0(VALU_DEP_3) | instskip(NEXT) | instid1(VALU_DEP_3)
	v_fma_f64 v[34:35], v[4:5], v[10:11], v[34:35]
	v_fma_f64 v[38:39], v[2:3], v[10:11], -v[12:13]
	v_mul_f64 v[10:11], v[8:9], v[16:17]
	ds_load_b128 v[2:5], v1 offset:1472
	v_fma_f64 v[16:17], v[8:9], v[14:15], v[36:37]
	v_fma_f64 v[14:15], v[6:7], v[14:15], -v[10:11]
	ds_load_b128 v[6:9], v1 offset:1488
	s_waitcnt vmcnt(1) lgkmcnt(1)
	v_mul_f64 v[10:11], v[2:3], v[20:21]
	v_mul_f64 v[12:13], v[4:5], v[20:21]
	s_delay_alu instid0(VALU_DEP_2) | instskip(NEXT) | instid1(VALU_DEP_2)
	v_fma_f64 v[20:21], v[4:5], v[18:19], v[10:11]
	v_fma_f64 v[18:19], v[2:3], v[18:19], -v[12:13]
	s_clause 0x1
	scratch_load_b128 v[2:5], off, off offset:464
	scratch_load_b128 v[10:13], off, off offset:480
	s_waitcnt vmcnt(1) lgkmcnt(0)
	v_mul_f64 v[36:37], v[6:7], v[4:5]
	v_mul_f64 v[4:5], v[8:9], v[4:5]
	s_delay_alu instid0(VALU_DEP_2) | instskip(NEXT) | instid1(VALU_DEP_2)
	v_fma_f64 v[36:37], v[8:9], v[2:3], v[36:37]
	v_fma_f64 v[40:41], v[6:7], v[2:3], -v[4:5]
	ds_load_b128 v[2:5], v1 offset:1504
	ds_load_b128 v[6:9], v1 offset:1520
	s_waitcnt vmcnt(0) lgkmcnt(1)
	v_mul_f64 v[42:43], v[2:3], v[12:13]
	s_delay_alu instid0(VALU_DEP_1) | instskip(SKIP_1) | instid1(VALU_DEP_1)
	v_fma_f64 v[42:43], v[4:5], v[10:11], v[42:43]
	v_mul_f64 v[4:5], v[4:5], v[12:13]
	v_fma_f64 v[44:45], v[2:3], v[10:11], -v[4:5]
	s_clause 0x1
	scratch_load_b128 v[2:5], off, off offset:496
	scratch_load_b128 v[10:13], off, off offset:512
	s_waitcnt vmcnt(1) lgkmcnt(0)
	v_mul_f64 v[46:47], v[6:7], v[4:5]
	v_mul_f64 v[4:5], v[8:9], v[4:5]
	s_delay_alu instid0(VALU_DEP_2) | instskip(NEXT) | instid1(VALU_DEP_2)
	v_fma_f64 v[46:47], v[8:9], v[2:3], v[46:47]
	v_fma_f64 v[48:49], v[6:7], v[2:3], -v[4:5]
	ds_load_b128 v[2:5], v1 offset:1536
	ds_load_b128 v[6:9], v1 offset:1552
	s_waitcnt vmcnt(0) lgkmcnt(1)
	v_mul_f64 v[54:55], v[2:3], v[12:13]
	s_delay_alu instid0(VALU_DEP_1) | instskip(SKIP_1) | instid1(VALU_DEP_1)
	v_fma_f64 v[54:55], v[4:5], v[10:11], v[54:55]
	v_mul_f64 v[4:5], v[4:5], v[12:13]
	;; [unrolled: 17-line block ×16, first 2 shown]
	v_fma_f64 v[78:79], v[2:3], v[10:11], -v[4:5]
	v_add_f64 v[2:3], v[22:23], 0
	v_add_f64 v[4:5], v[24:25], 0
	s_delay_alu instid0(VALU_DEP_2) | instskip(NEXT) | instid1(VALU_DEP_2)
	v_add_f64 v[2:3], v[2:3], v[26:27]
	v_add_f64 v[4:5], v[4:5], v[28:29]
	s_delay_alu instid0(VALU_DEP_2) | instskip(NEXT) | instid1(VALU_DEP_2)
	;; [unrolled: 3-line block ×30, first 2 shown]
	v_add_f64 v[2:3], v[2:3], v[235:236]
	v_add_f64 v[10:11], v[4:5], v[233:234]
	s_delay_alu instid0(VALU_DEP_2)
	v_add_f64 v[12:13], v[2:3], v[239:240]
	scratch_load_b128 v[2:5], off, off offset:976
	v_add_f64 v[14:15], v[10:11], v[237:238]
	v_add_f64 v[16:17], v[12:13], v[243:244]
	scratch_load_b128 v[10:13], off, off offset:992
	v_add_f64 v[18:19], v[14:15], v[241:242]
	;; [unrolled: 3-line block ×3, first 2 shown]
	v_add_f64 v[20:21], v[20:21], v[251:252]
	s_delay_alu instid0(VALU_DEP_2) | instskip(NEXT) | instid1(VALU_DEP_2)
	v_add_f64 v[18:19], v[18:19], v[249:250]
	v_add_f64 v[28:29], v[20:21], v[74:75]
	s_delay_alu instid0(VALU_DEP_2)
	v_add_f64 v[34:35], v[18:19], v[72:73]
	ds_load_b128 v[18:21], v1 offset:2016
	ds_load_b128 v[22:25], v1 offset:2032
	s_waitcnt vmcnt(2) lgkmcnt(2)
	v_mul_f64 v[26:27], v[6:7], v[4:5]
	v_mul_f64 v[4:5], v[8:9], v[4:5]
	s_waitcnt vmcnt(1) lgkmcnt(1)
	v_mul_f64 v[36:37], v[18:19], v[12:13]
	s_delay_alu instid0(VALU_DEP_3) | instskip(NEXT) | instid1(VALU_DEP_3)
	v_fma_f64 v[8:9], v[8:9], v[2:3], v[26:27]
	v_fma_f64 v[1:2], v[6:7], v[2:3], -v[4:5]
	v_mul_f64 v[3:4], v[20:21], v[12:13]
	v_add_f64 v[5:6], v[28:29], v[78:79]
	v_add_f64 v[12:13], v[34:35], v[76:77]
	s_waitcnt vmcnt(0) lgkmcnt(0)
	v_mul_f64 v[26:27], v[22:23], v[16:17]
	v_mul_f64 v[16:17], v[24:25], v[16:17]
	v_fma_f64 v[20:21], v[20:21], v[10:11], v[36:37]
	v_fma_f64 v[3:4], v[18:19], v[10:11], -v[3:4]
	v_add_f64 v[1:2], v[5:6], v[1:2]
	v_add_f64 v[5:6], v[12:13], v[8:9]
	v_fma_f64 v[7:8], v[24:25], v[14:15], v[26:27]
	v_fma_f64 v[9:10], v[22:23], v[14:15], -v[16:17]
	s_delay_alu instid0(VALU_DEP_4) | instskip(NEXT) | instid1(VALU_DEP_4)
	v_add_f64 v[1:2], v[1:2], v[3:4]
	v_add_f64 v[3:4], v[5:6], v[20:21]
	s_delay_alu instid0(VALU_DEP_2) | instskip(NEXT) | instid1(VALU_DEP_2)
	v_add_f64 v[1:2], v[1:2], v[9:10]
	v_add_f64 v[3:4], v[3:4], v[7:8]
	s_delay_alu instid0(VALU_DEP_2) | instskip(NEXT) | instid1(VALU_DEP_2)
	v_add_f64 v[1:2], v[30:31], -v[1:2]
	v_add_f64 v[3:4], v[32:33], -v[3:4]
	scratch_store_b128 off, v[1:4], off offset:368
	v_cmpx_lt_u32_e32 22, v178
	s_cbranch_execz .LBB127_364
; %bb.363:
	scratch_load_b32 v1, off, off offset:1244 ; 4-byte Folded Reload
	v_mov_b32_e32 v5, 0
	s_delay_alu instid0(VALU_DEP_1)
	v_mov_b32_e32 v6, v5
	v_mov_b32_e32 v7, v5
	;; [unrolled: 1-line block ×3, first 2 shown]
	s_waitcnt vmcnt(0)
	scratch_load_b128 v[1:4], v1, off
	scratch_store_b128 off, v[5:8], off offset:352
	s_waitcnt vmcnt(0)
	ds_store_b128 v255, v[1:4]
.LBB127_364:
	s_or_b32 exec_lo, exec_lo, s2
	s_waitcnt lgkmcnt(0)
	s_waitcnt_vscnt null, 0x0
	s_barrier
	buffer_gl0_inv
	s_clause 0x4
	scratch_load_b128 v[2:5], off, off offset:368
	scratch_load_b128 v[6:9], off, off offset:384
	;; [unrolled: 1-line block ×5, first 2 shown]
	v_mov_b32_e32 v1, 0
	scratch_load_b128 v[26:29], off, off offset:352
	s_mov_b32 s2, exec_lo
	ds_load_b128 v[22:25], v1 offset:1392
	ds_load_b128 v[30:33], v1 offset:1408
	s_waitcnt vmcnt(5) lgkmcnt(1)
	v_mul_f64 v[34:35], v[24:25], v[4:5]
	v_mul_f64 v[4:5], v[22:23], v[4:5]
	s_waitcnt vmcnt(4) lgkmcnt(0)
	v_mul_f64 v[36:37], v[30:31], v[8:9]
	v_mul_f64 v[8:9], v[32:33], v[8:9]
	s_delay_alu instid0(VALU_DEP_4) | instskip(NEXT) | instid1(VALU_DEP_4)
	v_fma_f64 v[22:23], v[22:23], v[2:3], -v[34:35]
	v_fma_f64 v[24:25], v[24:25], v[2:3], v[4:5]
	ds_load_b128 v[2:5], v1 offset:1424
	v_fma_f64 v[32:33], v[32:33], v[6:7], v[36:37]
	v_fma_f64 v[30:31], v[30:31], v[6:7], -v[8:9]
	ds_load_b128 v[6:9], v1 offset:1440
	s_waitcnt vmcnt(3) lgkmcnt(1)
	v_mul_f64 v[34:35], v[2:3], v[12:13]
	v_mul_f64 v[12:13], v[4:5], v[12:13]
	s_waitcnt vmcnt(2) lgkmcnt(0)
	v_mul_f64 v[36:37], v[6:7], v[16:17]
	s_delay_alu instid0(VALU_DEP_3) | instskip(NEXT) | instid1(VALU_DEP_3)
	v_fma_f64 v[34:35], v[4:5], v[10:11], v[34:35]
	v_fma_f64 v[38:39], v[2:3], v[10:11], -v[12:13]
	v_mul_f64 v[10:11], v[8:9], v[16:17]
	ds_load_b128 v[2:5], v1 offset:1456
	v_fma_f64 v[16:17], v[8:9], v[14:15], v[36:37]
	v_fma_f64 v[14:15], v[6:7], v[14:15], -v[10:11]
	ds_load_b128 v[6:9], v1 offset:1472
	s_waitcnt vmcnt(1) lgkmcnt(1)
	v_mul_f64 v[10:11], v[2:3], v[20:21]
	v_mul_f64 v[12:13], v[4:5], v[20:21]
	s_delay_alu instid0(VALU_DEP_2) | instskip(NEXT) | instid1(VALU_DEP_2)
	v_fma_f64 v[20:21], v[4:5], v[18:19], v[10:11]
	v_fma_f64 v[18:19], v[2:3], v[18:19], -v[12:13]
	s_clause 0x1
	scratch_load_b128 v[2:5], off, off offset:448
	scratch_load_b128 v[10:13], off, off offset:464
	s_waitcnt vmcnt(1) lgkmcnt(0)
	v_mul_f64 v[36:37], v[6:7], v[4:5]
	v_mul_f64 v[4:5], v[8:9], v[4:5]
	s_delay_alu instid0(VALU_DEP_2) | instskip(NEXT) | instid1(VALU_DEP_2)
	v_fma_f64 v[36:37], v[8:9], v[2:3], v[36:37]
	v_fma_f64 v[40:41], v[6:7], v[2:3], -v[4:5]
	ds_load_b128 v[2:5], v1 offset:1488
	ds_load_b128 v[6:9], v1 offset:1504
	s_waitcnt vmcnt(0) lgkmcnt(1)
	v_mul_f64 v[42:43], v[2:3], v[12:13]
	s_delay_alu instid0(VALU_DEP_1) | instskip(SKIP_1) | instid1(VALU_DEP_1)
	v_fma_f64 v[42:43], v[4:5], v[10:11], v[42:43]
	v_mul_f64 v[4:5], v[4:5], v[12:13]
	v_fma_f64 v[44:45], v[2:3], v[10:11], -v[4:5]
	s_clause 0x1
	scratch_load_b128 v[2:5], off, off offset:480
	scratch_load_b128 v[10:13], off, off offset:496
	s_waitcnt vmcnt(1) lgkmcnt(0)
	v_mul_f64 v[46:47], v[6:7], v[4:5]
	v_mul_f64 v[4:5], v[8:9], v[4:5]
	s_delay_alu instid0(VALU_DEP_2) | instskip(NEXT) | instid1(VALU_DEP_2)
	v_fma_f64 v[46:47], v[8:9], v[2:3], v[46:47]
	v_fma_f64 v[48:49], v[6:7], v[2:3], -v[4:5]
	ds_load_b128 v[2:5], v1 offset:1520
	ds_load_b128 v[6:9], v1 offset:1536
	s_waitcnt vmcnt(0) lgkmcnt(1)
	v_mul_f64 v[54:55], v[2:3], v[12:13]
	s_delay_alu instid0(VALU_DEP_1) | instskip(SKIP_1) | instid1(VALU_DEP_1)
	v_fma_f64 v[54:55], v[4:5], v[10:11], v[54:55]
	v_mul_f64 v[4:5], v[4:5], v[12:13]
	;; [unrolled: 17-line block ×16, first 2 shown]
	v_fma_f64 v[251:252], v[2:3], v[10:11], -v[4:5]
	v_add_f64 v[2:3], v[22:23], 0
	v_add_f64 v[4:5], v[24:25], 0
	s_delay_alu instid0(VALU_DEP_2) | instskip(NEXT) | instid1(VALU_DEP_2)
	v_add_f64 v[2:3], v[2:3], v[30:31]
	v_add_f64 v[4:5], v[4:5], v[32:33]
	s_delay_alu instid0(VALU_DEP_2) | instskip(NEXT) | instid1(VALU_DEP_2)
	;; [unrolled: 3-line block ×30, first 2 shown]
	v_add_f64 v[2:3], v[2:3], v[227:228]
	v_add_f64 v[10:11], v[4:5], v[225:226]
	s_delay_alu instid0(VALU_DEP_2)
	v_add_f64 v[12:13], v[2:3], v[231:232]
	scratch_load_b128 v[2:5], off, off offset:960
	v_add_f64 v[14:15], v[10:11], v[229:230]
	v_add_f64 v[16:17], v[12:13], v[235:236]
	scratch_load_b128 v[10:13], off, off offset:976
	v_add_f64 v[18:19], v[14:15], v[233:234]
	;; [unrolled: 3-line block ×4, first 2 shown]
	v_add_f64 v[24:25], v[24:25], v[247:248]
	s_delay_alu instid0(VALU_DEP_2) | instskip(NEXT) | instid1(VALU_DEP_2)
	v_add_f64 v[22:23], v[22:23], v[245:246]
	v_add_f64 v[24:25], v[24:25], v[251:252]
	s_delay_alu instid0(VALU_DEP_2) | instskip(SKIP_3) | instid1(VALU_DEP_2)
	v_add_f64 v[22:23], v[22:23], v[249:250]
	s_waitcnt vmcnt(3) lgkmcnt(0)
	v_mul_f64 v[30:31], v[6:7], v[4:5]
	v_mul_f64 v[4:5], v[8:9], v[4:5]
	v_fma_f64 v[30:31], v[8:9], v[2:3], v[30:31]
	s_delay_alu instid0(VALU_DEP_2)
	v_fma_f64 v[32:33], v[6:7], v[2:3], -v[4:5]
	ds_load_b128 v[2:5], v1 offset:2000
	ds_load_b128 v[6:9], v1 offset:2016
	s_waitcnt vmcnt(2) lgkmcnt(1)
	v_mul_f64 v[34:35], v[2:3], v[12:13]
	v_mul_f64 v[12:13], v[4:5], v[12:13]
	s_waitcnt vmcnt(1) lgkmcnt(0)
	v_mul_f64 v[36:37], v[6:7], v[16:17]
	v_add_f64 v[22:23], v[22:23], v[30:31]
	s_delay_alu instid0(VALU_DEP_4) | instskip(NEXT) | instid1(VALU_DEP_4)
	v_fma_f64 v[34:35], v[4:5], v[10:11], v[34:35]
	v_fma_f64 v[10:11], v[2:3], v[10:11], -v[12:13]
	v_mul_f64 v[12:13], v[8:9], v[16:17]
	v_add_f64 v[16:17], v[24:25], v[32:33]
	ds_load_b128 v[2:5], v1 offset:2032
	v_fma_f64 v[8:9], v[8:9], v[14:15], v[36:37]
	s_waitcnt vmcnt(0) lgkmcnt(0)
	v_mul_f64 v[24:25], v[2:3], v[20:21]
	v_mul_f64 v[20:21], v[4:5], v[20:21]
	v_fma_f64 v[6:7], v[6:7], v[14:15], -v[12:13]
	v_add_f64 v[10:11], v[16:17], v[10:11]
	v_add_f64 v[12:13], v[22:23], v[34:35]
	v_fma_f64 v[4:5], v[4:5], v[18:19], v[24:25]
	v_fma_f64 v[2:3], v[2:3], v[18:19], -v[20:21]
	s_delay_alu instid0(VALU_DEP_4) | instskip(NEXT) | instid1(VALU_DEP_4)
	v_add_f64 v[6:7], v[10:11], v[6:7]
	v_add_f64 v[8:9], v[12:13], v[8:9]
	s_delay_alu instid0(VALU_DEP_2) | instskip(NEXT) | instid1(VALU_DEP_2)
	v_add_f64 v[2:3], v[6:7], v[2:3]
	v_add_f64 v[4:5], v[8:9], v[4:5]
	s_delay_alu instid0(VALU_DEP_2) | instskip(NEXT) | instid1(VALU_DEP_2)
	v_add_f64 v[2:3], v[26:27], -v[2:3]
	v_add_f64 v[4:5], v[28:29], -v[4:5]
	scratch_store_b128 off, v[2:5], off offset:352
	v_cmpx_lt_u32_e32 21, v178
	s_cbranch_execz .LBB127_366
; %bb.365:
	scratch_load_b128 v[5:8], v209, off
	v_mov_b32_e32 v2, v1
	v_mov_b32_e32 v3, v1
	;; [unrolled: 1-line block ×3, first 2 shown]
	scratch_store_b128 off, v[1:4], off offset:336
	s_waitcnt vmcnt(0)
	ds_store_b128 v255, v[5:8]
.LBB127_366:
	s_or_b32 exec_lo, exec_lo, s2
	s_waitcnt lgkmcnt(0)
	s_waitcnt_vscnt null, 0x0
	s_barrier
	buffer_gl0_inv
	s_clause 0x4
	scratch_load_b128 v[2:5], off, off offset:352
	scratch_load_b128 v[6:9], off, off offset:368
	;; [unrolled: 1-line block ×5, first 2 shown]
	ds_load_b128 v[22:25], v1 offset:1376
	ds_load_b128 v[26:29], v1 offset:1392
	scratch_load_b128 v[30:33], off, off offset:336
	s_mov_b32 s2, exec_lo
	s_waitcnt vmcnt(5) lgkmcnt(1)
	v_mul_f64 v[34:35], v[24:25], v[4:5]
	v_mul_f64 v[4:5], v[22:23], v[4:5]
	s_waitcnt vmcnt(4) lgkmcnt(0)
	v_mul_f64 v[36:37], v[26:27], v[8:9]
	v_mul_f64 v[8:9], v[28:29], v[8:9]
	s_delay_alu instid0(VALU_DEP_4) | instskip(NEXT) | instid1(VALU_DEP_4)
	v_fma_f64 v[22:23], v[22:23], v[2:3], -v[34:35]
	v_fma_f64 v[24:25], v[24:25], v[2:3], v[4:5]
	ds_load_b128 v[2:5], v1 offset:1408
	v_fma_f64 v[28:29], v[28:29], v[6:7], v[36:37]
	v_fma_f64 v[26:27], v[26:27], v[6:7], -v[8:9]
	ds_load_b128 v[6:9], v1 offset:1424
	s_waitcnt vmcnt(3) lgkmcnt(1)
	v_mul_f64 v[34:35], v[2:3], v[12:13]
	v_mul_f64 v[12:13], v[4:5], v[12:13]
	s_waitcnt vmcnt(2) lgkmcnt(0)
	v_mul_f64 v[36:37], v[6:7], v[16:17]
	s_delay_alu instid0(VALU_DEP_3) | instskip(NEXT) | instid1(VALU_DEP_3)
	v_fma_f64 v[34:35], v[4:5], v[10:11], v[34:35]
	v_fma_f64 v[38:39], v[2:3], v[10:11], -v[12:13]
	v_mul_f64 v[10:11], v[8:9], v[16:17]
	ds_load_b128 v[2:5], v1 offset:1440
	v_fma_f64 v[16:17], v[8:9], v[14:15], v[36:37]
	v_fma_f64 v[14:15], v[6:7], v[14:15], -v[10:11]
	ds_load_b128 v[6:9], v1 offset:1456
	s_waitcnt vmcnt(1) lgkmcnt(1)
	v_mul_f64 v[10:11], v[2:3], v[20:21]
	v_mul_f64 v[12:13], v[4:5], v[20:21]
	s_delay_alu instid0(VALU_DEP_2) | instskip(NEXT) | instid1(VALU_DEP_2)
	v_fma_f64 v[20:21], v[4:5], v[18:19], v[10:11]
	v_fma_f64 v[18:19], v[2:3], v[18:19], -v[12:13]
	s_clause 0x1
	scratch_load_b128 v[2:5], off, off offset:432
	scratch_load_b128 v[10:13], off, off offset:448
	s_waitcnt vmcnt(1) lgkmcnt(0)
	v_mul_f64 v[36:37], v[6:7], v[4:5]
	v_mul_f64 v[4:5], v[8:9], v[4:5]
	s_delay_alu instid0(VALU_DEP_2) | instskip(NEXT) | instid1(VALU_DEP_2)
	v_fma_f64 v[36:37], v[8:9], v[2:3], v[36:37]
	v_fma_f64 v[40:41], v[6:7], v[2:3], -v[4:5]
	ds_load_b128 v[2:5], v1 offset:1472
	ds_load_b128 v[6:9], v1 offset:1488
	s_waitcnt vmcnt(0) lgkmcnt(1)
	v_mul_f64 v[42:43], v[2:3], v[12:13]
	s_delay_alu instid0(VALU_DEP_1) | instskip(SKIP_1) | instid1(VALU_DEP_1)
	v_fma_f64 v[42:43], v[4:5], v[10:11], v[42:43]
	v_mul_f64 v[4:5], v[4:5], v[12:13]
	v_fma_f64 v[44:45], v[2:3], v[10:11], -v[4:5]
	s_clause 0x1
	scratch_load_b128 v[2:5], off, off offset:464
	scratch_load_b128 v[10:13], off, off offset:480
	s_waitcnt vmcnt(1) lgkmcnt(0)
	v_mul_f64 v[46:47], v[6:7], v[4:5]
	v_mul_f64 v[4:5], v[8:9], v[4:5]
	s_delay_alu instid0(VALU_DEP_2) | instskip(NEXT) | instid1(VALU_DEP_2)
	v_fma_f64 v[46:47], v[8:9], v[2:3], v[46:47]
	v_fma_f64 v[48:49], v[6:7], v[2:3], -v[4:5]
	ds_load_b128 v[2:5], v1 offset:1504
	ds_load_b128 v[6:9], v1 offset:1520
	s_waitcnt vmcnt(0) lgkmcnt(1)
	v_mul_f64 v[54:55], v[2:3], v[12:13]
	s_delay_alu instid0(VALU_DEP_1) | instskip(SKIP_1) | instid1(VALU_DEP_1)
	v_fma_f64 v[54:55], v[4:5], v[10:11], v[54:55]
	v_mul_f64 v[4:5], v[4:5], v[12:13]
	;; [unrolled: 17-line block ×17, first 2 shown]
	v_fma_f64 v[90:91], v[2:3], v[10:11], -v[4:5]
	v_add_f64 v[2:3], v[22:23], 0
	v_add_f64 v[4:5], v[24:25], 0
	s_delay_alu instid0(VALU_DEP_2) | instskip(NEXT) | instid1(VALU_DEP_2)
	v_add_f64 v[2:3], v[2:3], v[26:27]
	v_add_f64 v[4:5], v[4:5], v[28:29]
	s_delay_alu instid0(VALU_DEP_2) | instskip(NEXT) | instid1(VALU_DEP_2)
	;; [unrolled: 3-line block ×32, first 2 shown]
	v_add_f64 v[2:3], v[2:3], v[235:236]
	v_add_f64 v[10:11], v[4:5], v[233:234]
	s_delay_alu instid0(VALU_DEP_2)
	v_add_f64 v[12:13], v[2:3], v[239:240]
	scratch_load_b128 v[2:5], off, off offset:976
	v_add_f64 v[14:15], v[10:11], v[237:238]
	v_add_f64 v[16:17], v[12:13], v[243:244]
	scratch_load_b128 v[10:13], off, off offset:992
	v_add_f64 v[18:19], v[14:15], v[241:242]
	v_add_f64 v[20:21], v[16:17], v[247:248]
	scratch_load_b128 v[14:17], off, off offset:1008
	v_add_f64 v[18:19], v[18:19], v[245:246]
	v_add_f64 v[20:21], v[20:21], v[251:252]
	s_delay_alu instid0(VALU_DEP_2) | instskip(NEXT) | instid1(VALU_DEP_2)
	v_add_f64 v[18:19], v[18:19], v[249:250]
	v_add_f64 v[28:29], v[20:21], v[82:83]
	s_delay_alu instid0(VALU_DEP_2)
	v_add_f64 v[34:35], v[18:19], v[80:81]
	ds_load_b128 v[18:21], v1 offset:2016
	ds_load_b128 v[22:25], v1 offset:2032
	s_waitcnt vmcnt(2) lgkmcnt(2)
	v_mul_f64 v[26:27], v[6:7], v[4:5]
	v_mul_f64 v[4:5], v[8:9], v[4:5]
	s_waitcnt vmcnt(1) lgkmcnt(1)
	v_mul_f64 v[36:37], v[18:19], v[12:13]
	s_delay_alu instid0(VALU_DEP_3) | instskip(NEXT) | instid1(VALU_DEP_3)
	v_fma_f64 v[8:9], v[8:9], v[2:3], v[26:27]
	v_fma_f64 v[1:2], v[6:7], v[2:3], -v[4:5]
	v_mul_f64 v[3:4], v[20:21], v[12:13]
	v_add_f64 v[5:6], v[28:29], v[90:91]
	v_add_f64 v[12:13], v[34:35], v[88:89]
	s_waitcnt vmcnt(0) lgkmcnt(0)
	v_mul_f64 v[26:27], v[22:23], v[16:17]
	v_mul_f64 v[16:17], v[24:25], v[16:17]
	v_fma_f64 v[20:21], v[20:21], v[10:11], v[36:37]
	v_fma_f64 v[3:4], v[18:19], v[10:11], -v[3:4]
	v_add_f64 v[1:2], v[5:6], v[1:2]
	v_add_f64 v[5:6], v[12:13], v[8:9]
	v_fma_f64 v[7:8], v[24:25], v[14:15], v[26:27]
	v_fma_f64 v[9:10], v[22:23], v[14:15], -v[16:17]
	s_delay_alu instid0(VALU_DEP_4) | instskip(NEXT) | instid1(VALU_DEP_4)
	v_add_f64 v[1:2], v[1:2], v[3:4]
	v_add_f64 v[3:4], v[5:6], v[20:21]
	s_delay_alu instid0(VALU_DEP_2) | instskip(NEXT) | instid1(VALU_DEP_2)
	v_add_f64 v[1:2], v[1:2], v[9:10]
	v_add_f64 v[3:4], v[3:4], v[7:8]
	s_delay_alu instid0(VALU_DEP_2) | instskip(NEXT) | instid1(VALU_DEP_2)
	v_add_f64 v[1:2], v[30:31], -v[1:2]
	v_add_f64 v[3:4], v[32:33], -v[3:4]
	scratch_store_b128 off, v[1:4], off offset:336
	v_cmpx_lt_u32_e32 20, v178
	s_cbranch_execz .LBB127_368
; %bb.367:
	scratch_load_b128 v[1:4], v214, off
	v_mov_b32_e32 v5, 0
	s_delay_alu instid0(VALU_DEP_1)
	v_mov_b32_e32 v6, v5
	v_mov_b32_e32 v7, v5
	;; [unrolled: 1-line block ×3, first 2 shown]
	scratch_store_b128 off, v[5:8], off offset:320
	s_waitcnt vmcnt(0)
	ds_store_b128 v255, v[1:4]
.LBB127_368:
	s_or_b32 exec_lo, exec_lo, s2
	s_waitcnt lgkmcnt(0)
	s_waitcnt_vscnt null, 0x0
	s_barrier
	buffer_gl0_inv
	s_clause 0x4
	scratch_load_b128 v[2:5], off, off offset:336
	scratch_load_b128 v[6:9], off, off offset:352
	;; [unrolled: 1-line block ×5, first 2 shown]
	v_mov_b32_e32 v1, 0
	scratch_load_b128 v[26:29], off, off offset:320
	s_mov_b32 s2, exec_lo
	ds_load_b128 v[22:25], v1 offset:1360
	ds_load_b128 v[30:33], v1 offset:1376
	s_waitcnt vmcnt(5) lgkmcnt(1)
	v_mul_f64 v[34:35], v[24:25], v[4:5]
	v_mul_f64 v[4:5], v[22:23], v[4:5]
	s_waitcnt vmcnt(4) lgkmcnt(0)
	v_mul_f64 v[36:37], v[30:31], v[8:9]
	v_mul_f64 v[8:9], v[32:33], v[8:9]
	s_delay_alu instid0(VALU_DEP_4) | instskip(NEXT) | instid1(VALU_DEP_4)
	v_fma_f64 v[22:23], v[22:23], v[2:3], -v[34:35]
	v_fma_f64 v[24:25], v[24:25], v[2:3], v[4:5]
	ds_load_b128 v[2:5], v1 offset:1392
	v_fma_f64 v[32:33], v[32:33], v[6:7], v[36:37]
	v_fma_f64 v[30:31], v[30:31], v[6:7], -v[8:9]
	ds_load_b128 v[6:9], v1 offset:1408
	s_waitcnt vmcnt(3) lgkmcnt(1)
	v_mul_f64 v[34:35], v[2:3], v[12:13]
	v_mul_f64 v[12:13], v[4:5], v[12:13]
	s_waitcnt vmcnt(2) lgkmcnt(0)
	v_mul_f64 v[36:37], v[6:7], v[16:17]
	s_delay_alu instid0(VALU_DEP_3) | instskip(NEXT) | instid1(VALU_DEP_3)
	v_fma_f64 v[34:35], v[4:5], v[10:11], v[34:35]
	v_fma_f64 v[38:39], v[2:3], v[10:11], -v[12:13]
	v_mul_f64 v[10:11], v[8:9], v[16:17]
	ds_load_b128 v[2:5], v1 offset:1424
	v_fma_f64 v[16:17], v[8:9], v[14:15], v[36:37]
	v_fma_f64 v[14:15], v[6:7], v[14:15], -v[10:11]
	ds_load_b128 v[6:9], v1 offset:1440
	s_waitcnt vmcnt(1) lgkmcnt(1)
	v_mul_f64 v[10:11], v[2:3], v[20:21]
	v_mul_f64 v[12:13], v[4:5], v[20:21]
	s_delay_alu instid0(VALU_DEP_2) | instskip(NEXT) | instid1(VALU_DEP_2)
	v_fma_f64 v[20:21], v[4:5], v[18:19], v[10:11]
	v_fma_f64 v[18:19], v[2:3], v[18:19], -v[12:13]
	s_clause 0x1
	scratch_load_b128 v[2:5], off, off offset:416
	scratch_load_b128 v[10:13], off, off offset:432
	s_waitcnt vmcnt(1) lgkmcnt(0)
	v_mul_f64 v[36:37], v[6:7], v[4:5]
	v_mul_f64 v[4:5], v[8:9], v[4:5]
	s_delay_alu instid0(VALU_DEP_2) | instskip(NEXT) | instid1(VALU_DEP_2)
	v_fma_f64 v[36:37], v[8:9], v[2:3], v[36:37]
	v_fma_f64 v[40:41], v[6:7], v[2:3], -v[4:5]
	ds_load_b128 v[2:5], v1 offset:1456
	ds_load_b128 v[6:9], v1 offset:1472
	s_waitcnt vmcnt(0) lgkmcnt(1)
	v_mul_f64 v[42:43], v[2:3], v[12:13]
	s_delay_alu instid0(VALU_DEP_1) | instskip(SKIP_1) | instid1(VALU_DEP_1)
	v_fma_f64 v[42:43], v[4:5], v[10:11], v[42:43]
	v_mul_f64 v[4:5], v[4:5], v[12:13]
	v_fma_f64 v[44:45], v[2:3], v[10:11], -v[4:5]
	s_clause 0x1
	scratch_load_b128 v[2:5], off, off offset:448
	scratch_load_b128 v[10:13], off, off offset:464
	s_waitcnt vmcnt(1) lgkmcnt(0)
	v_mul_f64 v[46:47], v[6:7], v[4:5]
	v_mul_f64 v[4:5], v[8:9], v[4:5]
	s_delay_alu instid0(VALU_DEP_2) | instskip(NEXT) | instid1(VALU_DEP_2)
	v_fma_f64 v[46:47], v[8:9], v[2:3], v[46:47]
	v_fma_f64 v[48:49], v[6:7], v[2:3], -v[4:5]
	ds_load_b128 v[2:5], v1 offset:1488
	ds_load_b128 v[6:9], v1 offset:1504
	s_waitcnt vmcnt(0) lgkmcnt(1)
	v_mul_f64 v[54:55], v[2:3], v[12:13]
	s_delay_alu instid0(VALU_DEP_1) | instskip(SKIP_1) | instid1(VALU_DEP_1)
	v_fma_f64 v[54:55], v[4:5], v[10:11], v[54:55]
	v_mul_f64 v[4:5], v[4:5], v[12:13]
	v_fma_f64 v[56:57], v[2:3], v[10:11], -v[4:5]
	s_clause 0x1
	scratch_load_b128 v[2:5], off, off offset:480
	scratch_load_b128 v[10:13], off, off offset:496
	s_waitcnt vmcnt(1) lgkmcnt(0)
	v_mul_f64 v[58:59], v[6:7], v[4:5]
	v_mul_f64 v[4:5], v[8:9], v[4:5]
	s_delay_alu instid0(VALU_DEP_2) | instskip(NEXT) | instid1(VALU_DEP_2)
	v_fma_f64 v[58:59], v[8:9], v[2:3], v[58:59]
	v_fma_f64 v[60:61], v[6:7], v[2:3], -v[4:5]
	ds_load_b128 v[2:5], v1 offset:1520
	ds_load_b128 v[6:9], v1 offset:1536
	s_waitcnt vmcnt(0) lgkmcnt(1)
	v_mul_f64 v[62:63], v[2:3], v[12:13]
	s_delay_alu instid0(VALU_DEP_1) | instskip(SKIP_1) | instid1(VALU_DEP_1)
	v_fma_f64 v[62:63], v[4:5], v[10:11], v[62:63]
	v_mul_f64 v[4:5], v[4:5], v[12:13]
	v_fma_f64 v[64:65], v[2:3], v[10:11], -v[4:5]
	s_clause 0x1
	scratch_load_b128 v[2:5], off, off offset:512
	scratch_load_b128 v[10:13], off, off offset:528
	s_waitcnt vmcnt(1) lgkmcnt(0)
	v_mul_f64 v[66:67], v[6:7], v[4:5]
	v_mul_f64 v[4:5], v[8:9], v[4:5]
	s_delay_alu instid0(VALU_DEP_2) | instskip(NEXT) | instid1(VALU_DEP_2)
	v_fma_f64 v[66:67], v[8:9], v[2:3], v[66:67]
	v_fma_f64 v[68:69], v[6:7], v[2:3], -v[4:5]
	ds_load_b128 v[2:5], v1 offset:1552
	ds_load_b128 v[6:9], v1 offset:1568
	s_waitcnt vmcnt(0) lgkmcnt(1)
	v_mul_f64 v[70:71], v[2:3], v[12:13]
	s_delay_alu instid0(VALU_DEP_1) | instskip(SKIP_1) | instid1(VALU_DEP_1)
	v_fma_f64 v[70:71], v[4:5], v[10:11], v[70:71]
	v_mul_f64 v[4:5], v[4:5], v[12:13]
	v_fma_f64 v[72:73], v[2:3], v[10:11], -v[4:5]
	s_clause 0x1
	scratch_load_b128 v[2:5], off, off offset:544
	scratch_load_b128 v[10:13], off, off offset:560
	s_waitcnt vmcnt(1) lgkmcnt(0)
	v_mul_f64 v[74:75], v[6:7], v[4:5]
	v_mul_f64 v[4:5], v[8:9], v[4:5]
	s_delay_alu instid0(VALU_DEP_2) | instskip(NEXT) | instid1(VALU_DEP_2)
	v_fma_f64 v[74:75], v[8:9], v[2:3], v[74:75]
	v_fma_f64 v[76:77], v[6:7], v[2:3], -v[4:5]
	ds_load_b128 v[2:5], v1 offset:1584
	ds_load_b128 v[6:9], v1 offset:1600
	s_waitcnt vmcnt(0) lgkmcnt(1)
	v_mul_f64 v[78:79], v[2:3], v[12:13]
	s_delay_alu instid0(VALU_DEP_1) | instskip(SKIP_1) | instid1(VALU_DEP_1)
	v_fma_f64 v[78:79], v[4:5], v[10:11], v[78:79]
	v_mul_f64 v[4:5], v[4:5], v[12:13]
	v_fma_f64 v[80:81], v[2:3], v[10:11], -v[4:5]
	s_clause 0x1
	scratch_load_b128 v[2:5], off, off offset:576
	scratch_load_b128 v[10:13], off, off offset:592
	s_waitcnt vmcnt(1) lgkmcnt(0)
	v_mul_f64 v[82:83], v[6:7], v[4:5]
	v_mul_f64 v[4:5], v[8:9], v[4:5]
	s_delay_alu instid0(VALU_DEP_2) | instskip(NEXT) | instid1(VALU_DEP_2)
	v_fma_f64 v[82:83], v[8:9], v[2:3], v[82:83]
	v_fma_f64 v[84:85], v[6:7], v[2:3], -v[4:5]
	ds_load_b128 v[2:5], v1 offset:1616
	ds_load_b128 v[6:9], v1 offset:1632
	s_waitcnt vmcnt(0) lgkmcnt(1)
	v_mul_f64 v[86:87], v[2:3], v[12:13]
	s_delay_alu instid0(VALU_DEP_1) | instskip(SKIP_1) | instid1(VALU_DEP_1)
	v_fma_f64 v[86:87], v[4:5], v[10:11], v[86:87]
	v_mul_f64 v[4:5], v[4:5], v[12:13]
	v_fma_f64 v[88:89], v[2:3], v[10:11], -v[4:5]
	s_clause 0x1
	scratch_load_b128 v[2:5], off, off offset:608
	scratch_load_b128 v[10:13], off, off offset:624
	s_waitcnt vmcnt(1) lgkmcnt(0)
	v_mul_f64 v[90:91], v[6:7], v[4:5]
	v_mul_f64 v[4:5], v[8:9], v[4:5]
	s_delay_alu instid0(VALU_DEP_2) | instskip(NEXT) | instid1(VALU_DEP_2)
	v_fma_f64 v[90:91], v[8:9], v[2:3], v[90:91]
	v_fma_f64 v[92:93], v[6:7], v[2:3], -v[4:5]
	ds_load_b128 v[2:5], v1 offset:1648
	ds_load_b128 v[6:9], v1 offset:1664
	s_waitcnt vmcnt(0) lgkmcnt(1)
	v_mul_f64 v[94:95], v[2:3], v[12:13]
	s_delay_alu instid0(VALU_DEP_1) | instskip(SKIP_1) | instid1(VALU_DEP_1)
	v_fma_f64 v[94:95], v[4:5], v[10:11], v[94:95]
	v_mul_f64 v[4:5], v[4:5], v[12:13]
	v_fma_f64 v[96:97], v[2:3], v[10:11], -v[4:5]
	s_clause 0x1
	scratch_load_b128 v[2:5], off, off offset:640
	scratch_load_b128 v[10:13], off, off offset:656
	s_waitcnt vmcnt(1) lgkmcnt(0)
	v_mul_f64 v[98:99], v[6:7], v[4:5]
	v_mul_f64 v[4:5], v[8:9], v[4:5]
	s_delay_alu instid0(VALU_DEP_2) | instskip(NEXT) | instid1(VALU_DEP_2)
	v_fma_f64 v[98:99], v[8:9], v[2:3], v[98:99]
	v_fma_f64 v[100:101], v[6:7], v[2:3], -v[4:5]
	ds_load_b128 v[2:5], v1 offset:1680
	ds_load_b128 v[6:9], v1 offset:1696
	s_waitcnt vmcnt(0) lgkmcnt(1)
	v_mul_f64 v[102:103], v[2:3], v[12:13]
	s_delay_alu instid0(VALU_DEP_1) | instskip(SKIP_1) | instid1(VALU_DEP_1)
	v_fma_f64 v[102:103], v[4:5], v[10:11], v[102:103]
	v_mul_f64 v[4:5], v[4:5], v[12:13]
	v_fma_f64 v[104:105], v[2:3], v[10:11], -v[4:5]
	s_clause 0x1
	scratch_load_b128 v[2:5], off, off offset:672
	scratch_load_b128 v[10:13], off, off offset:688
	s_waitcnt vmcnt(1) lgkmcnt(0)
	v_mul_f64 v[179:180], v[6:7], v[4:5]
	v_mul_f64 v[4:5], v[8:9], v[4:5]
	s_delay_alu instid0(VALU_DEP_2) | instskip(NEXT) | instid1(VALU_DEP_2)
	v_fma_f64 v[179:180], v[8:9], v[2:3], v[179:180]
	v_fma_f64 v[181:182], v[6:7], v[2:3], -v[4:5]
	ds_load_b128 v[2:5], v1 offset:1712
	ds_load_b128 v[6:9], v1 offset:1728
	s_waitcnt vmcnt(0) lgkmcnt(1)
	v_mul_f64 v[183:184], v[2:3], v[12:13]
	s_delay_alu instid0(VALU_DEP_1) | instskip(SKIP_1) | instid1(VALU_DEP_1)
	v_fma_f64 v[183:184], v[4:5], v[10:11], v[183:184]
	v_mul_f64 v[4:5], v[4:5], v[12:13]
	v_fma_f64 v[185:186], v[2:3], v[10:11], -v[4:5]
	s_clause 0x1
	scratch_load_b128 v[2:5], off, off offset:704
	scratch_load_b128 v[10:13], off, off offset:720
	s_waitcnt vmcnt(1) lgkmcnt(0)
	v_mul_f64 v[187:188], v[6:7], v[4:5]
	v_mul_f64 v[4:5], v[8:9], v[4:5]
	s_delay_alu instid0(VALU_DEP_2) | instskip(NEXT) | instid1(VALU_DEP_2)
	v_fma_f64 v[187:188], v[8:9], v[2:3], v[187:188]
	v_fma_f64 v[189:190], v[6:7], v[2:3], -v[4:5]
	ds_load_b128 v[2:5], v1 offset:1744
	ds_load_b128 v[6:9], v1 offset:1760
	s_waitcnt vmcnt(0) lgkmcnt(1)
	v_mul_f64 v[191:192], v[2:3], v[12:13]
	s_delay_alu instid0(VALU_DEP_1) | instskip(SKIP_1) | instid1(VALU_DEP_1)
	v_fma_f64 v[191:192], v[4:5], v[10:11], v[191:192]
	v_mul_f64 v[4:5], v[4:5], v[12:13]
	v_fma_f64 v[193:194], v[2:3], v[10:11], -v[4:5]
	s_clause 0x1
	scratch_load_b128 v[2:5], off, off offset:736
	scratch_load_b128 v[10:13], off, off offset:752
	s_waitcnt vmcnt(1) lgkmcnt(0)
	v_mul_f64 v[195:196], v[6:7], v[4:5]
	v_mul_f64 v[4:5], v[8:9], v[4:5]
	s_delay_alu instid0(VALU_DEP_2) | instskip(NEXT) | instid1(VALU_DEP_2)
	v_fma_f64 v[195:196], v[8:9], v[2:3], v[195:196]
	v_fma_f64 v[197:198], v[6:7], v[2:3], -v[4:5]
	ds_load_b128 v[2:5], v1 offset:1776
	ds_load_b128 v[6:9], v1 offset:1792
	s_waitcnt vmcnt(0) lgkmcnt(1)
	v_mul_f64 v[199:200], v[2:3], v[12:13]
	s_delay_alu instid0(VALU_DEP_1) | instskip(SKIP_1) | instid1(VALU_DEP_1)
	v_fma_f64 v[199:200], v[4:5], v[10:11], v[199:200]
	v_mul_f64 v[4:5], v[4:5], v[12:13]
	v_fma_f64 v[201:202], v[2:3], v[10:11], -v[4:5]
	s_clause 0x1
	scratch_load_b128 v[2:5], off, off offset:768
	scratch_load_b128 v[10:13], off, off offset:784
	s_waitcnt vmcnt(1) lgkmcnt(0)
	v_mul_f64 v[203:204], v[6:7], v[4:5]
	v_mul_f64 v[4:5], v[8:9], v[4:5]
	s_delay_alu instid0(VALU_DEP_2) | instskip(NEXT) | instid1(VALU_DEP_2)
	v_fma_f64 v[203:204], v[8:9], v[2:3], v[203:204]
	v_fma_f64 v[205:206], v[6:7], v[2:3], -v[4:5]
	ds_load_b128 v[2:5], v1 offset:1808
	ds_load_b128 v[6:9], v1 offset:1824
	s_waitcnt vmcnt(0) lgkmcnt(1)
	v_mul_f64 v[207:208], v[2:3], v[12:13]
	s_delay_alu instid0(VALU_DEP_1) | instskip(SKIP_1) | instid1(VALU_DEP_1)
	v_fma_f64 v[207:208], v[4:5], v[10:11], v[207:208]
	v_mul_f64 v[4:5], v[4:5], v[12:13]
	v_fma_f64 v[210:211], v[2:3], v[10:11], -v[4:5]
	s_clause 0x1
	scratch_load_b128 v[2:5], off, off offset:800
	scratch_load_b128 v[10:13], off, off offset:816
	s_waitcnt vmcnt(1) lgkmcnt(0)
	v_mul_f64 v[212:213], v[6:7], v[4:5]
	v_mul_f64 v[4:5], v[8:9], v[4:5]
	s_delay_alu instid0(VALU_DEP_2) | instskip(NEXT) | instid1(VALU_DEP_2)
	v_fma_f64 v[212:213], v[8:9], v[2:3], v[212:213]
	v_fma_f64 v[215:216], v[6:7], v[2:3], -v[4:5]
	ds_load_b128 v[2:5], v1 offset:1840
	ds_load_b128 v[6:9], v1 offset:1856
	s_waitcnt vmcnt(0) lgkmcnt(1)
	v_mul_f64 v[217:218], v[2:3], v[12:13]
	s_delay_alu instid0(VALU_DEP_1) | instskip(SKIP_1) | instid1(VALU_DEP_1)
	v_fma_f64 v[217:218], v[4:5], v[10:11], v[217:218]
	v_mul_f64 v[4:5], v[4:5], v[12:13]
	v_fma_f64 v[219:220], v[2:3], v[10:11], -v[4:5]
	s_clause 0x1
	scratch_load_b128 v[2:5], off, off offset:832
	scratch_load_b128 v[10:13], off, off offset:848
	s_waitcnt vmcnt(1) lgkmcnt(0)
	v_mul_f64 v[221:222], v[6:7], v[4:5]
	v_mul_f64 v[4:5], v[8:9], v[4:5]
	s_delay_alu instid0(VALU_DEP_2) | instskip(NEXT) | instid1(VALU_DEP_2)
	v_fma_f64 v[221:222], v[8:9], v[2:3], v[221:222]
	v_fma_f64 v[223:224], v[6:7], v[2:3], -v[4:5]
	ds_load_b128 v[2:5], v1 offset:1872
	ds_load_b128 v[6:9], v1 offset:1888
	s_waitcnt vmcnt(0) lgkmcnt(1)
	v_mul_f64 v[225:226], v[2:3], v[12:13]
	s_delay_alu instid0(VALU_DEP_1) | instskip(SKIP_1) | instid1(VALU_DEP_1)
	v_fma_f64 v[225:226], v[4:5], v[10:11], v[225:226]
	v_mul_f64 v[4:5], v[4:5], v[12:13]
	v_fma_f64 v[227:228], v[2:3], v[10:11], -v[4:5]
	s_clause 0x1
	scratch_load_b128 v[2:5], off, off offset:864
	scratch_load_b128 v[10:13], off, off offset:880
	s_waitcnt vmcnt(1) lgkmcnt(0)
	v_mul_f64 v[229:230], v[6:7], v[4:5]
	v_mul_f64 v[4:5], v[8:9], v[4:5]
	s_delay_alu instid0(VALU_DEP_2) | instskip(NEXT) | instid1(VALU_DEP_2)
	v_fma_f64 v[229:230], v[8:9], v[2:3], v[229:230]
	v_fma_f64 v[231:232], v[6:7], v[2:3], -v[4:5]
	ds_load_b128 v[2:5], v1 offset:1904
	ds_load_b128 v[6:9], v1 offset:1920
	s_waitcnt vmcnt(0) lgkmcnt(1)
	v_mul_f64 v[233:234], v[2:3], v[12:13]
	s_delay_alu instid0(VALU_DEP_1) | instskip(SKIP_1) | instid1(VALU_DEP_1)
	v_fma_f64 v[233:234], v[4:5], v[10:11], v[233:234]
	v_mul_f64 v[4:5], v[4:5], v[12:13]
	v_fma_f64 v[235:236], v[2:3], v[10:11], -v[4:5]
	s_clause 0x1
	scratch_load_b128 v[2:5], off, off offset:896
	scratch_load_b128 v[10:13], off, off offset:912
	s_waitcnt vmcnt(1) lgkmcnt(0)
	v_mul_f64 v[237:238], v[6:7], v[4:5]
	v_mul_f64 v[4:5], v[8:9], v[4:5]
	s_delay_alu instid0(VALU_DEP_2) | instskip(NEXT) | instid1(VALU_DEP_2)
	v_fma_f64 v[237:238], v[8:9], v[2:3], v[237:238]
	v_fma_f64 v[239:240], v[6:7], v[2:3], -v[4:5]
	ds_load_b128 v[2:5], v1 offset:1936
	ds_load_b128 v[6:9], v1 offset:1952
	s_waitcnt vmcnt(0) lgkmcnt(1)
	v_mul_f64 v[241:242], v[2:3], v[12:13]
	s_delay_alu instid0(VALU_DEP_1) | instskip(SKIP_1) | instid1(VALU_DEP_1)
	v_fma_f64 v[241:242], v[4:5], v[10:11], v[241:242]
	v_mul_f64 v[4:5], v[4:5], v[12:13]
	v_fma_f64 v[243:244], v[2:3], v[10:11], -v[4:5]
	s_clause 0x1
	scratch_load_b128 v[2:5], off, off offset:928
	scratch_load_b128 v[10:13], off, off offset:944
	s_waitcnt vmcnt(1) lgkmcnt(0)
	v_mul_f64 v[245:246], v[6:7], v[4:5]
	v_mul_f64 v[4:5], v[8:9], v[4:5]
	s_delay_alu instid0(VALU_DEP_2) | instskip(NEXT) | instid1(VALU_DEP_2)
	v_fma_f64 v[245:246], v[8:9], v[2:3], v[245:246]
	v_fma_f64 v[247:248], v[6:7], v[2:3], -v[4:5]
	ds_load_b128 v[2:5], v1 offset:1968
	ds_load_b128 v[6:9], v1 offset:1984
	s_waitcnt vmcnt(0) lgkmcnt(1)
	v_mul_f64 v[249:250], v[2:3], v[12:13]
	s_delay_alu instid0(VALU_DEP_1) | instskip(SKIP_1) | instid1(VALU_DEP_1)
	v_fma_f64 v[249:250], v[4:5], v[10:11], v[249:250]
	v_mul_f64 v[4:5], v[4:5], v[12:13]
	v_fma_f64 v[251:252], v[2:3], v[10:11], -v[4:5]
	v_add_f64 v[2:3], v[22:23], 0
	v_add_f64 v[4:5], v[24:25], 0
	s_delay_alu instid0(VALU_DEP_2) | instskip(NEXT) | instid1(VALU_DEP_2)
	v_add_f64 v[2:3], v[2:3], v[30:31]
	v_add_f64 v[4:5], v[4:5], v[32:33]
	s_delay_alu instid0(VALU_DEP_2) | instskip(NEXT) | instid1(VALU_DEP_2)
	;; [unrolled: 3-line block ×32, first 2 shown]
	v_add_f64 v[2:3], v[2:3], v[227:228]
	v_add_f64 v[10:11], v[4:5], v[225:226]
	s_delay_alu instid0(VALU_DEP_2)
	v_add_f64 v[12:13], v[2:3], v[231:232]
	scratch_load_b128 v[2:5], off, off offset:960
	v_add_f64 v[14:15], v[10:11], v[229:230]
	v_add_f64 v[16:17], v[12:13], v[235:236]
	scratch_load_b128 v[10:13], off, off offset:976
	v_add_f64 v[18:19], v[14:15], v[233:234]
	;; [unrolled: 3-line block ×4, first 2 shown]
	v_add_f64 v[24:25], v[24:25], v[247:248]
	s_delay_alu instid0(VALU_DEP_2) | instskip(NEXT) | instid1(VALU_DEP_2)
	v_add_f64 v[22:23], v[22:23], v[245:246]
	v_add_f64 v[24:25], v[24:25], v[251:252]
	s_delay_alu instid0(VALU_DEP_2) | instskip(SKIP_3) | instid1(VALU_DEP_2)
	v_add_f64 v[22:23], v[22:23], v[249:250]
	s_waitcnt vmcnt(3) lgkmcnt(0)
	v_mul_f64 v[30:31], v[6:7], v[4:5]
	v_mul_f64 v[4:5], v[8:9], v[4:5]
	v_fma_f64 v[30:31], v[8:9], v[2:3], v[30:31]
	s_delay_alu instid0(VALU_DEP_2)
	v_fma_f64 v[32:33], v[6:7], v[2:3], -v[4:5]
	ds_load_b128 v[2:5], v1 offset:2000
	ds_load_b128 v[6:9], v1 offset:2016
	s_waitcnt vmcnt(2) lgkmcnt(1)
	v_mul_f64 v[34:35], v[2:3], v[12:13]
	v_mul_f64 v[12:13], v[4:5], v[12:13]
	s_waitcnt vmcnt(1) lgkmcnt(0)
	v_mul_f64 v[36:37], v[6:7], v[16:17]
	v_add_f64 v[22:23], v[22:23], v[30:31]
	s_delay_alu instid0(VALU_DEP_4) | instskip(NEXT) | instid1(VALU_DEP_4)
	v_fma_f64 v[34:35], v[4:5], v[10:11], v[34:35]
	v_fma_f64 v[10:11], v[2:3], v[10:11], -v[12:13]
	v_mul_f64 v[12:13], v[8:9], v[16:17]
	v_add_f64 v[16:17], v[24:25], v[32:33]
	ds_load_b128 v[2:5], v1 offset:2032
	v_fma_f64 v[8:9], v[8:9], v[14:15], v[36:37]
	s_waitcnt vmcnt(0) lgkmcnt(0)
	v_mul_f64 v[24:25], v[2:3], v[20:21]
	v_mul_f64 v[20:21], v[4:5], v[20:21]
	v_fma_f64 v[6:7], v[6:7], v[14:15], -v[12:13]
	v_add_f64 v[10:11], v[16:17], v[10:11]
	v_add_f64 v[12:13], v[22:23], v[34:35]
	v_fma_f64 v[4:5], v[4:5], v[18:19], v[24:25]
	v_fma_f64 v[2:3], v[2:3], v[18:19], -v[20:21]
	s_delay_alu instid0(VALU_DEP_4) | instskip(NEXT) | instid1(VALU_DEP_4)
	v_add_f64 v[6:7], v[10:11], v[6:7]
	v_add_f64 v[8:9], v[12:13], v[8:9]
	s_delay_alu instid0(VALU_DEP_2) | instskip(NEXT) | instid1(VALU_DEP_2)
	v_add_f64 v[2:3], v[6:7], v[2:3]
	v_add_f64 v[4:5], v[8:9], v[4:5]
	s_delay_alu instid0(VALU_DEP_2) | instskip(NEXT) | instid1(VALU_DEP_2)
	v_add_f64 v[2:3], v[26:27], -v[2:3]
	v_add_f64 v[4:5], v[28:29], -v[4:5]
	scratch_store_b128 off, v[2:5], off offset:320
	v_cmpx_lt_u32_e32 19, v178
	s_cbranch_execz .LBB127_370
; %bb.369:
	scratch_load_b32 v2, off, off offset:1140 ; 4-byte Folded Reload
	v_mov_b32_e32 v3, v1
	v_mov_b32_e32 v4, v1
	s_waitcnt vmcnt(0)
	scratch_load_b128 v[5:8], v2, off
	v_mov_b32_e32 v2, v1
	scratch_store_b128 off, v[1:4], off offset:304
	s_waitcnt vmcnt(0)
	ds_store_b128 v255, v[5:8]
.LBB127_370:
	s_or_b32 exec_lo, exec_lo, s2
	s_waitcnt lgkmcnt(0)
	s_waitcnt_vscnt null, 0x0
	s_barrier
	buffer_gl0_inv
	s_clause 0x4
	scratch_load_b128 v[2:5], off, off offset:320
	scratch_load_b128 v[6:9], off, off offset:336
	;; [unrolled: 1-line block ×5, first 2 shown]
	ds_load_b128 v[22:25], v1 offset:1344
	ds_load_b128 v[26:29], v1 offset:1360
	scratch_load_b128 v[30:33], off, off offset:304
	s_mov_b32 s2, exec_lo
	s_waitcnt vmcnt(5) lgkmcnt(1)
	v_mul_f64 v[34:35], v[24:25], v[4:5]
	v_mul_f64 v[4:5], v[22:23], v[4:5]
	s_waitcnt vmcnt(4) lgkmcnt(0)
	v_mul_f64 v[36:37], v[26:27], v[8:9]
	v_mul_f64 v[8:9], v[28:29], v[8:9]
	s_delay_alu instid0(VALU_DEP_4) | instskip(NEXT) | instid1(VALU_DEP_4)
	v_fma_f64 v[22:23], v[22:23], v[2:3], -v[34:35]
	v_fma_f64 v[24:25], v[24:25], v[2:3], v[4:5]
	ds_load_b128 v[2:5], v1 offset:1376
	v_fma_f64 v[28:29], v[28:29], v[6:7], v[36:37]
	v_fma_f64 v[26:27], v[26:27], v[6:7], -v[8:9]
	ds_load_b128 v[6:9], v1 offset:1392
	s_waitcnt vmcnt(3) lgkmcnt(1)
	v_mul_f64 v[34:35], v[2:3], v[12:13]
	v_mul_f64 v[12:13], v[4:5], v[12:13]
	s_waitcnt vmcnt(2) lgkmcnt(0)
	v_mul_f64 v[36:37], v[6:7], v[16:17]
	s_delay_alu instid0(VALU_DEP_3) | instskip(NEXT) | instid1(VALU_DEP_3)
	v_fma_f64 v[34:35], v[4:5], v[10:11], v[34:35]
	v_fma_f64 v[38:39], v[2:3], v[10:11], -v[12:13]
	v_mul_f64 v[10:11], v[8:9], v[16:17]
	ds_load_b128 v[2:5], v1 offset:1408
	v_fma_f64 v[16:17], v[8:9], v[14:15], v[36:37]
	v_fma_f64 v[14:15], v[6:7], v[14:15], -v[10:11]
	ds_load_b128 v[6:9], v1 offset:1424
	s_waitcnt vmcnt(1) lgkmcnt(1)
	v_mul_f64 v[10:11], v[2:3], v[20:21]
	v_mul_f64 v[12:13], v[4:5], v[20:21]
	s_delay_alu instid0(VALU_DEP_2) | instskip(NEXT) | instid1(VALU_DEP_2)
	v_fma_f64 v[20:21], v[4:5], v[18:19], v[10:11]
	v_fma_f64 v[18:19], v[2:3], v[18:19], -v[12:13]
	s_clause 0x1
	scratch_load_b128 v[2:5], off, off offset:400
	scratch_load_b128 v[10:13], off, off offset:416
	s_waitcnt vmcnt(1) lgkmcnt(0)
	v_mul_f64 v[36:37], v[6:7], v[4:5]
	v_mul_f64 v[4:5], v[8:9], v[4:5]
	s_delay_alu instid0(VALU_DEP_2) | instskip(NEXT) | instid1(VALU_DEP_2)
	v_fma_f64 v[36:37], v[8:9], v[2:3], v[36:37]
	v_fma_f64 v[40:41], v[6:7], v[2:3], -v[4:5]
	ds_load_b128 v[2:5], v1 offset:1440
	ds_load_b128 v[6:9], v1 offset:1456
	s_waitcnt vmcnt(0) lgkmcnt(1)
	v_mul_f64 v[42:43], v[2:3], v[12:13]
	s_delay_alu instid0(VALU_DEP_1) | instskip(SKIP_1) | instid1(VALU_DEP_1)
	v_fma_f64 v[42:43], v[4:5], v[10:11], v[42:43]
	v_mul_f64 v[4:5], v[4:5], v[12:13]
	v_fma_f64 v[44:45], v[2:3], v[10:11], -v[4:5]
	s_clause 0x1
	scratch_load_b128 v[2:5], off, off offset:432
	scratch_load_b128 v[10:13], off, off offset:448
	s_waitcnt vmcnt(1) lgkmcnt(0)
	v_mul_f64 v[46:47], v[6:7], v[4:5]
	v_mul_f64 v[4:5], v[8:9], v[4:5]
	s_delay_alu instid0(VALU_DEP_2) | instskip(NEXT) | instid1(VALU_DEP_2)
	v_fma_f64 v[46:47], v[8:9], v[2:3], v[46:47]
	v_fma_f64 v[48:49], v[6:7], v[2:3], -v[4:5]
	ds_load_b128 v[2:5], v1 offset:1472
	ds_load_b128 v[6:9], v1 offset:1488
	s_waitcnt vmcnt(0) lgkmcnt(1)
	v_mul_f64 v[54:55], v[2:3], v[12:13]
	s_delay_alu instid0(VALU_DEP_1) | instskip(SKIP_1) | instid1(VALU_DEP_1)
	v_fma_f64 v[54:55], v[4:5], v[10:11], v[54:55]
	v_mul_f64 v[4:5], v[4:5], v[12:13]
	;; [unrolled: 17-line block ×18, first 2 shown]
	v_fma_f64 v[108:109], v[2:3], v[10:11], -v[4:5]
	v_add_f64 v[2:3], v[22:23], 0
	v_add_f64 v[4:5], v[24:25], 0
	s_delay_alu instid0(VALU_DEP_2) | instskip(NEXT) | instid1(VALU_DEP_2)
	v_add_f64 v[2:3], v[2:3], v[26:27]
	v_add_f64 v[4:5], v[4:5], v[28:29]
	s_delay_alu instid0(VALU_DEP_2) | instskip(NEXT) | instid1(VALU_DEP_2)
	;; [unrolled: 3-line block ×34, first 2 shown]
	v_add_f64 v[2:3], v[2:3], v[235:236]
	v_add_f64 v[10:11], v[4:5], v[233:234]
	s_delay_alu instid0(VALU_DEP_2)
	v_add_f64 v[12:13], v[2:3], v[239:240]
	scratch_load_b128 v[2:5], off, off offset:976
	v_add_f64 v[14:15], v[10:11], v[237:238]
	v_add_f64 v[16:17], v[12:13], v[243:244]
	scratch_load_b128 v[10:13], off, off offset:992
	v_add_f64 v[18:19], v[14:15], v[241:242]
	;; [unrolled: 3-line block ×3, first 2 shown]
	v_add_f64 v[20:21], v[20:21], v[251:252]
	s_delay_alu instid0(VALU_DEP_2) | instskip(NEXT) | instid1(VALU_DEP_2)
	v_add_f64 v[18:19], v[18:19], v[249:250]
	v_add_f64 v[28:29], v[20:21], v[253:254]
	s_delay_alu instid0(VALU_DEP_2)
	v_add_f64 v[34:35], v[18:19], v[52:53]
	ds_load_b128 v[18:21], v1 offset:2016
	ds_load_b128 v[22:25], v1 offset:2032
	s_waitcnt vmcnt(2) lgkmcnt(2)
	v_mul_f64 v[26:27], v[6:7], v[4:5]
	v_mul_f64 v[4:5], v[8:9], v[4:5]
	s_waitcnt vmcnt(1) lgkmcnt(1)
	v_mul_f64 v[36:37], v[18:19], v[12:13]
	s_delay_alu instid0(VALU_DEP_3) | instskip(NEXT) | instid1(VALU_DEP_3)
	v_fma_f64 v[8:9], v[8:9], v[2:3], v[26:27]
	v_fma_f64 v[1:2], v[6:7], v[2:3], -v[4:5]
	v_mul_f64 v[3:4], v[20:21], v[12:13]
	v_add_f64 v[5:6], v[28:29], v[108:109]
	v_add_f64 v[12:13], v[34:35], v[106:107]
	s_waitcnt vmcnt(0) lgkmcnt(0)
	v_mul_f64 v[26:27], v[22:23], v[16:17]
	v_mul_f64 v[16:17], v[24:25], v[16:17]
	v_fma_f64 v[20:21], v[20:21], v[10:11], v[36:37]
	v_fma_f64 v[3:4], v[18:19], v[10:11], -v[3:4]
	v_add_f64 v[1:2], v[5:6], v[1:2]
	v_add_f64 v[5:6], v[12:13], v[8:9]
	v_fma_f64 v[7:8], v[24:25], v[14:15], v[26:27]
	v_fma_f64 v[9:10], v[22:23], v[14:15], -v[16:17]
	s_delay_alu instid0(VALU_DEP_4) | instskip(NEXT) | instid1(VALU_DEP_4)
	v_add_f64 v[1:2], v[1:2], v[3:4]
	v_add_f64 v[3:4], v[5:6], v[20:21]
	s_delay_alu instid0(VALU_DEP_2) | instskip(NEXT) | instid1(VALU_DEP_2)
	v_add_f64 v[1:2], v[1:2], v[9:10]
	v_add_f64 v[3:4], v[3:4], v[7:8]
	s_delay_alu instid0(VALU_DEP_2) | instskip(NEXT) | instid1(VALU_DEP_2)
	v_add_f64 v[1:2], v[30:31], -v[1:2]
	v_add_f64 v[3:4], v[32:33], -v[3:4]
	scratch_store_b128 off, v[1:4], off offset:304
	v_cmpx_lt_u32_e32 18, v178
	s_cbranch_execz .LBB127_372
; %bb.371:
	scratch_load_b32 v1, off, off offset:1144 ; 4-byte Folded Reload
	v_mov_b32_e32 v5, 0
	s_delay_alu instid0(VALU_DEP_1)
	v_mov_b32_e32 v6, v5
	v_mov_b32_e32 v7, v5
	;; [unrolled: 1-line block ×3, first 2 shown]
	s_waitcnt vmcnt(0)
	scratch_load_b128 v[1:4], v1, off
	scratch_store_b128 off, v[5:8], off offset:288
	s_waitcnt vmcnt(0)
	ds_store_b128 v255, v[1:4]
.LBB127_372:
	s_or_b32 exec_lo, exec_lo, s2
	s_waitcnt lgkmcnt(0)
	s_waitcnt_vscnt null, 0x0
	s_barrier
	buffer_gl0_inv
	s_clause 0x4
	scratch_load_b128 v[2:5], off, off offset:304
	scratch_load_b128 v[6:9], off, off offset:320
	;; [unrolled: 1-line block ×5, first 2 shown]
	v_mov_b32_e32 v1, 0
	scratch_load_b128 v[26:29], off, off offset:288
	s_mov_b32 s2, exec_lo
	ds_load_b128 v[22:25], v1 offset:1328
	ds_load_b128 v[30:33], v1 offset:1344
	s_waitcnt vmcnt(5) lgkmcnt(1)
	v_mul_f64 v[34:35], v[24:25], v[4:5]
	v_mul_f64 v[4:5], v[22:23], v[4:5]
	s_waitcnt vmcnt(4) lgkmcnt(0)
	v_mul_f64 v[36:37], v[30:31], v[8:9]
	v_mul_f64 v[8:9], v[32:33], v[8:9]
	s_delay_alu instid0(VALU_DEP_4) | instskip(NEXT) | instid1(VALU_DEP_4)
	v_fma_f64 v[22:23], v[22:23], v[2:3], -v[34:35]
	v_fma_f64 v[24:25], v[24:25], v[2:3], v[4:5]
	ds_load_b128 v[2:5], v1 offset:1360
	v_fma_f64 v[32:33], v[32:33], v[6:7], v[36:37]
	v_fma_f64 v[30:31], v[30:31], v[6:7], -v[8:9]
	ds_load_b128 v[6:9], v1 offset:1376
	s_waitcnt vmcnt(3) lgkmcnt(1)
	v_mul_f64 v[34:35], v[2:3], v[12:13]
	v_mul_f64 v[12:13], v[4:5], v[12:13]
	s_waitcnt vmcnt(2) lgkmcnt(0)
	v_mul_f64 v[36:37], v[6:7], v[16:17]
	s_delay_alu instid0(VALU_DEP_3) | instskip(NEXT) | instid1(VALU_DEP_3)
	v_fma_f64 v[34:35], v[4:5], v[10:11], v[34:35]
	v_fma_f64 v[38:39], v[2:3], v[10:11], -v[12:13]
	v_mul_f64 v[10:11], v[8:9], v[16:17]
	ds_load_b128 v[2:5], v1 offset:1392
	v_fma_f64 v[16:17], v[8:9], v[14:15], v[36:37]
	v_fma_f64 v[14:15], v[6:7], v[14:15], -v[10:11]
	ds_load_b128 v[6:9], v1 offset:1408
	s_waitcnt vmcnt(1) lgkmcnt(1)
	v_mul_f64 v[10:11], v[2:3], v[20:21]
	v_mul_f64 v[12:13], v[4:5], v[20:21]
	s_delay_alu instid0(VALU_DEP_2) | instskip(NEXT) | instid1(VALU_DEP_2)
	v_fma_f64 v[20:21], v[4:5], v[18:19], v[10:11]
	v_fma_f64 v[18:19], v[2:3], v[18:19], -v[12:13]
	s_clause 0x1
	scratch_load_b128 v[2:5], off, off offset:384
	scratch_load_b128 v[10:13], off, off offset:400
	s_waitcnt vmcnt(1) lgkmcnt(0)
	v_mul_f64 v[36:37], v[6:7], v[4:5]
	v_mul_f64 v[4:5], v[8:9], v[4:5]
	s_delay_alu instid0(VALU_DEP_2) | instskip(NEXT) | instid1(VALU_DEP_2)
	v_fma_f64 v[36:37], v[8:9], v[2:3], v[36:37]
	v_fma_f64 v[40:41], v[6:7], v[2:3], -v[4:5]
	ds_load_b128 v[2:5], v1 offset:1424
	ds_load_b128 v[6:9], v1 offset:1440
	s_waitcnt vmcnt(0) lgkmcnt(1)
	v_mul_f64 v[42:43], v[2:3], v[12:13]
	s_delay_alu instid0(VALU_DEP_1) | instskip(SKIP_1) | instid1(VALU_DEP_1)
	v_fma_f64 v[42:43], v[4:5], v[10:11], v[42:43]
	v_mul_f64 v[4:5], v[4:5], v[12:13]
	v_fma_f64 v[44:45], v[2:3], v[10:11], -v[4:5]
	s_clause 0x1
	scratch_load_b128 v[2:5], off, off offset:416
	scratch_load_b128 v[10:13], off, off offset:432
	s_waitcnt vmcnt(1) lgkmcnt(0)
	v_mul_f64 v[46:47], v[6:7], v[4:5]
	v_mul_f64 v[4:5], v[8:9], v[4:5]
	s_delay_alu instid0(VALU_DEP_2) | instskip(NEXT) | instid1(VALU_DEP_2)
	v_fma_f64 v[46:47], v[8:9], v[2:3], v[46:47]
	v_fma_f64 v[48:49], v[6:7], v[2:3], -v[4:5]
	ds_load_b128 v[2:5], v1 offset:1456
	ds_load_b128 v[6:9], v1 offset:1472
	s_waitcnt vmcnt(0) lgkmcnt(1)
	v_mul_f64 v[52:53], v[2:3], v[12:13]
	s_delay_alu instid0(VALU_DEP_1) | instskip(SKIP_1) | instid1(VALU_DEP_1)
	v_fma_f64 v[52:53], v[4:5], v[10:11], v[52:53]
	v_mul_f64 v[4:5], v[4:5], v[12:13]
	;; [unrolled: 17-line block ×18, first 2 shown]
	v_fma_f64 v[253:254], v[2:3], v[10:11], -v[4:5]
	v_add_f64 v[2:3], v[22:23], 0
	v_add_f64 v[4:5], v[24:25], 0
	s_delay_alu instid0(VALU_DEP_2) | instskip(NEXT) | instid1(VALU_DEP_2)
	v_add_f64 v[2:3], v[2:3], v[30:31]
	v_add_f64 v[4:5], v[4:5], v[32:33]
	s_delay_alu instid0(VALU_DEP_2) | instskip(NEXT) | instid1(VALU_DEP_2)
	;; [unrolled: 3-line block ×34, first 2 shown]
	v_add_f64 v[2:3], v[2:3], v[229:230]
	v_add_f64 v[10:11], v[4:5], v[227:228]
	s_delay_alu instid0(VALU_DEP_2)
	v_add_f64 v[12:13], v[2:3], v[233:234]
	scratch_load_b128 v[2:5], off, off offset:960
	v_add_f64 v[14:15], v[10:11], v[231:232]
	v_add_f64 v[16:17], v[12:13], v[237:238]
	scratch_load_b128 v[10:13], off, off offset:976
	v_add_f64 v[18:19], v[14:15], v[235:236]
	;; [unrolled: 3-line block ×4, first 2 shown]
	v_add_f64 v[24:25], v[24:25], v[249:250]
	s_delay_alu instid0(VALU_DEP_2) | instskip(NEXT) | instid1(VALU_DEP_2)
	v_add_f64 v[22:23], v[22:23], v[247:248]
	v_add_f64 v[24:25], v[24:25], v[253:254]
	s_delay_alu instid0(VALU_DEP_2) | instskip(SKIP_3) | instid1(VALU_DEP_2)
	v_add_f64 v[22:23], v[22:23], v[251:252]
	s_waitcnt vmcnt(3) lgkmcnt(0)
	v_mul_f64 v[30:31], v[6:7], v[4:5]
	v_mul_f64 v[4:5], v[8:9], v[4:5]
	v_fma_f64 v[30:31], v[8:9], v[2:3], v[30:31]
	s_delay_alu instid0(VALU_DEP_2)
	v_fma_f64 v[32:33], v[6:7], v[2:3], -v[4:5]
	ds_load_b128 v[2:5], v1 offset:2000
	ds_load_b128 v[6:9], v1 offset:2016
	s_waitcnt vmcnt(2) lgkmcnt(1)
	v_mul_f64 v[34:35], v[2:3], v[12:13]
	v_mul_f64 v[12:13], v[4:5], v[12:13]
	s_waitcnt vmcnt(1) lgkmcnt(0)
	v_mul_f64 v[36:37], v[6:7], v[16:17]
	v_add_f64 v[22:23], v[22:23], v[30:31]
	s_delay_alu instid0(VALU_DEP_4) | instskip(NEXT) | instid1(VALU_DEP_4)
	v_fma_f64 v[34:35], v[4:5], v[10:11], v[34:35]
	v_fma_f64 v[10:11], v[2:3], v[10:11], -v[12:13]
	v_mul_f64 v[12:13], v[8:9], v[16:17]
	v_add_f64 v[16:17], v[24:25], v[32:33]
	ds_load_b128 v[2:5], v1 offset:2032
	v_fma_f64 v[8:9], v[8:9], v[14:15], v[36:37]
	s_waitcnt vmcnt(0) lgkmcnt(0)
	v_mul_f64 v[24:25], v[2:3], v[20:21]
	v_mul_f64 v[20:21], v[4:5], v[20:21]
	v_fma_f64 v[6:7], v[6:7], v[14:15], -v[12:13]
	v_add_f64 v[10:11], v[16:17], v[10:11]
	v_add_f64 v[12:13], v[22:23], v[34:35]
	v_fma_f64 v[4:5], v[4:5], v[18:19], v[24:25]
	v_fma_f64 v[2:3], v[2:3], v[18:19], -v[20:21]
	s_delay_alu instid0(VALU_DEP_4) | instskip(NEXT) | instid1(VALU_DEP_4)
	v_add_f64 v[6:7], v[10:11], v[6:7]
	v_add_f64 v[8:9], v[12:13], v[8:9]
	s_delay_alu instid0(VALU_DEP_2) | instskip(NEXT) | instid1(VALU_DEP_2)
	v_add_f64 v[2:3], v[6:7], v[2:3]
	v_add_f64 v[4:5], v[8:9], v[4:5]
	s_delay_alu instid0(VALU_DEP_2) | instskip(NEXT) | instid1(VALU_DEP_2)
	v_add_f64 v[2:3], v[26:27], -v[2:3]
	v_add_f64 v[4:5], v[28:29], -v[4:5]
	scratch_store_b128 off, v[2:5], off offset:288
	v_cmpx_lt_u32_e32 17, v178
	s_cbranch_execz .LBB127_374
; %bb.373:
	scratch_load_b32 v2, off, off offset:1148 ; 4-byte Folded Reload
	v_mov_b32_e32 v3, v1
	v_mov_b32_e32 v4, v1
	s_waitcnt vmcnt(0)
	scratch_load_b128 v[5:8], v2, off
	v_mov_b32_e32 v2, v1
	scratch_store_b128 off, v[1:4], off offset:272
	s_waitcnt vmcnt(0)
	ds_store_b128 v255, v[5:8]
.LBB127_374:
	s_or_b32 exec_lo, exec_lo, s2
	s_waitcnt lgkmcnt(0)
	s_waitcnt_vscnt null, 0x0
	s_barrier
	buffer_gl0_inv
	s_clause 0x4
	scratch_load_b128 v[2:5], off, off offset:288
	scratch_load_b128 v[6:9], off, off offset:304
	;; [unrolled: 1-line block ×5, first 2 shown]
	ds_load_b128 v[22:25], v1 offset:1312
	ds_load_b128 v[26:29], v1 offset:1328
	scratch_load_b128 v[30:33], off, off offset:272
	s_mov_b32 s2, exec_lo
	s_waitcnt vmcnt(5) lgkmcnt(1)
	v_mul_f64 v[34:35], v[24:25], v[4:5]
	v_mul_f64 v[4:5], v[22:23], v[4:5]
	s_waitcnt vmcnt(4) lgkmcnt(0)
	v_mul_f64 v[36:37], v[26:27], v[8:9]
	v_mul_f64 v[8:9], v[28:29], v[8:9]
	s_delay_alu instid0(VALU_DEP_4) | instskip(NEXT) | instid1(VALU_DEP_4)
	v_fma_f64 v[22:23], v[22:23], v[2:3], -v[34:35]
	v_fma_f64 v[24:25], v[24:25], v[2:3], v[4:5]
	ds_load_b128 v[2:5], v1 offset:1344
	v_fma_f64 v[28:29], v[28:29], v[6:7], v[36:37]
	v_fma_f64 v[26:27], v[26:27], v[6:7], -v[8:9]
	ds_load_b128 v[6:9], v1 offset:1360
	s_waitcnt vmcnt(3) lgkmcnt(1)
	v_mul_f64 v[34:35], v[2:3], v[12:13]
	v_mul_f64 v[12:13], v[4:5], v[12:13]
	s_waitcnt vmcnt(2) lgkmcnt(0)
	v_mul_f64 v[36:37], v[6:7], v[16:17]
	s_delay_alu instid0(VALU_DEP_3) | instskip(NEXT) | instid1(VALU_DEP_3)
	v_fma_f64 v[34:35], v[4:5], v[10:11], v[34:35]
	v_fma_f64 v[38:39], v[2:3], v[10:11], -v[12:13]
	v_mul_f64 v[10:11], v[8:9], v[16:17]
	ds_load_b128 v[2:5], v1 offset:1376
	v_fma_f64 v[16:17], v[8:9], v[14:15], v[36:37]
	v_fma_f64 v[14:15], v[6:7], v[14:15], -v[10:11]
	ds_load_b128 v[6:9], v1 offset:1392
	s_waitcnt vmcnt(1) lgkmcnt(1)
	v_mul_f64 v[10:11], v[2:3], v[20:21]
	v_mul_f64 v[12:13], v[4:5], v[20:21]
	s_delay_alu instid0(VALU_DEP_2) | instskip(NEXT) | instid1(VALU_DEP_2)
	v_fma_f64 v[20:21], v[4:5], v[18:19], v[10:11]
	v_fma_f64 v[18:19], v[2:3], v[18:19], -v[12:13]
	s_clause 0x1
	scratch_load_b128 v[2:5], off, off offset:368
	scratch_load_b128 v[10:13], off, off offset:384
	s_waitcnt vmcnt(1) lgkmcnt(0)
	v_mul_f64 v[36:37], v[6:7], v[4:5]
	v_mul_f64 v[4:5], v[8:9], v[4:5]
	s_delay_alu instid0(VALU_DEP_2) | instskip(NEXT) | instid1(VALU_DEP_2)
	v_fma_f64 v[36:37], v[8:9], v[2:3], v[36:37]
	v_fma_f64 v[40:41], v[6:7], v[2:3], -v[4:5]
	ds_load_b128 v[2:5], v1 offset:1408
	ds_load_b128 v[6:9], v1 offset:1424
	s_waitcnt vmcnt(0) lgkmcnt(1)
	v_mul_f64 v[42:43], v[2:3], v[12:13]
	s_delay_alu instid0(VALU_DEP_1) | instskip(SKIP_1) | instid1(VALU_DEP_1)
	v_fma_f64 v[42:43], v[4:5], v[10:11], v[42:43]
	v_mul_f64 v[4:5], v[4:5], v[12:13]
	v_fma_f64 v[44:45], v[2:3], v[10:11], -v[4:5]
	s_clause 0x1
	scratch_load_b128 v[2:5], off, off offset:400
	scratch_load_b128 v[10:13], off, off offset:416
	s_waitcnt vmcnt(1) lgkmcnt(0)
	v_mul_f64 v[46:47], v[6:7], v[4:5]
	v_mul_f64 v[4:5], v[8:9], v[4:5]
	s_delay_alu instid0(VALU_DEP_2) | instskip(NEXT) | instid1(VALU_DEP_2)
	v_fma_f64 v[46:47], v[8:9], v[2:3], v[46:47]
	v_fma_f64 v[48:49], v[6:7], v[2:3], -v[4:5]
	ds_load_b128 v[2:5], v1 offset:1440
	ds_load_b128 v[6:9], v1 offset:1456
	s_waitcnt vmcnt(0) lgkmcnt(1)
	v_mul_f64 v[52:53], v[2:3], v[12:13]
	s_delay_alu instid0(VALU_DEP_1) | instskip(SKIP_1) | instid1(VALU_DEP_1)
	v_fma_f64 v[52:53], v[4:5], v[10:11], v[52:53]
	v_mul_f64 v[4:5], v[4:5], v[12:13]
	;; [unrolled: 17-line block ×19, first 2 shown]
	v_fma_f64 v[116:117], v[2:3], v[10:11], -v[4:5]
	v_add_f64 v[2:3], v[22:23], 0
	v_add_f64 v[4:5], v[24:25], 0
	s_delay_alu instid0(VALU_DEP_2) | instskip(NEXT) | instid1(VALU_DEP_2)
	v_add_f64 v[2:3], v[2:3], v[26:27]
	v_add_f64 v[4:5], v[4:5], v[28:29]
	s_delay_alu instid0(VALU_DEP_2) | instskip(NEXT) | instid1(VALU_DEP_2)
	;; [unrolled: 3-line block ×36, first 2 shown]
	v_add_f64 v[2:3], v[2:3], v[237:238]
	v_add_f64 v[10:11], v[4:5], v[235:236]
	s_delay_alu instid0(VALU_DEP_2)
	v_add_f64 v[12:13], v[2:3], v[241:242]
	scratch_load_b128 v[2:5], off, off offset:976
	v_add_f64 v[14:15], v[10:11], v[239:240]
	v_add_f64 v[16:17], v[12:13], v[245:246]
	scratch_load_b128 v[10:13], off, off offset:992
	v_add_f64 v[18:19], v[14:15], v[243:244]
	;; [unrolled: 3-line block ×3, first 2 shown]
	v_add_f64 v[20:21], v[20:21], v[253:254]
	s_delay_alu instid0(VALU_DEP_2) | instskip(NEXT) | instid1(VALU_DEP_2)
	v_add_f64 v[18:19], v[18:19], v[251:252]
	v_add_f64 v[28:29], v[20:21], v[112:113]
	s_delay_alu instid0(VALU_DEP_2)
	v_add_f64 v[34:35], v[18:19], v[110:111]
	ds_load_b128 v[18:21], v1 offset:2016
	ds_load_b128 v[22:25], v1 offset:2032
	s_waitcnt vmcnt(2) lgkmcnt(2)
	v_mul_f64 v[26:27], v[6:7], v[4:5]
	v_mul_f64 v[4:5], v[8:9], v[4:5]
	s_waitcnt vmcnt(1) lgkmcnt(1)
	v_mul_f64 v[36:37], v[18:19], v[12:13]
	s_delay_alu instid0(VALU_DEP_3) | instskip(NEXT) | instid1(VALU_DEP_3)
	v_fma_f64 v[8:9], v[8:9], v[2:3], v[26:27]
	v_fma_f64 v[1:2], v[6:7], v[2:3], -v[4:5]
	v_mul_f64 v[3:4], v[20:21], v[12:13]
	v_add_f64 v[5:6], v[28:29], v[116:117]
	v_add_f64 v[12:13], v[34:35], v[114:115]
	s_waitcnt vmcnt(0) lgkmcnt(0)
	v_mul_f64 v[26:27], v[22:23], v[16:17]
	v_mul_f64 v[16:17], v[24:25], v[16:17]
	v_fma_f64 v[20:21], v[20:21], v[10:11], v[36:37]
	v_fma_f64 v[3:4], v[18:19], v[10:11], -v[3:4]
	v_add_f64 v[1:2], v[5:6], v[1:2]
	v_add_f64 v[5:6], v[12:13], v[8:9]
	v_fma_f64 v[7:8], v[24:25], v[14:15], v[26:27]
	v_fma_f64 v[9:10], v[22:23], v[14:15], -v[16:17]
	s_delay_alu instid0(VALU_DEP_4) | instskip(NEXT) | instid1(VALU_DEP_4)
	v_add_f64 v[1:2], v[1:2], v[3:4]
	v_add_f64 v[3:4], v[5:6], v[20:21]
	s_delay_alu instid0(VALU_DEP_2) | instskip(NEXT) | instid1(VALU_DEP_2)
	v_add_f64 v[1:2], v[1:2], v[9:10]
	v_add_f64 v[3:4], v[3:4], v[7:8]
	s_delay_alu instid0(VALU_DEP_2) | instskip(NEXT) | instid1(VALU_DEP_2)
	v_add_f64 v[1:2], v[30:31], -v[1:2]
	v_add_f64 v[3:4], v[32:33], -v[3:4]
	scratch_store_b128 off, v[1:4], off offset:272
	v_cmpx_lt_u32_e32 16, v178
	s_cbranch_execz .LBB127_376
; %bb.375:
	scratch_load_b32 v1, off, off offset:1156 ; 4-byte Folded Reload
	v_mov_b32_e32 v5, 0
	s_delay_alu instid0(VALU_DEP_1)
	v_mov_b32_e32 v6, v5
	v_mov_b32_e32 v7, v5
	v_mov_b32_e32 v8, v5
	s_waitcnt vmcnt(0)
	scratch_load_b128 v[1:4], v1, off
	scratch_store_b128 off, v[5:8], off offset:256
	s_waitcnt vmcnt(0)
	ds_store_b128 v255, v[1:4]
.LBB127_376:
	s_or_b32 exec_lo, exec_lo, s2
	s_waitcnt lgkmcnt(0)
	s_waitcnt_vscnt null, 0x0
	s_barrier
	buffer_gl0_inv
	s_clause 0x4
	scratch_load_b128 v[2:5], off, off offset:272
	scratch_load_b128 v[6:9], off, off offset:288
	;; [unrolled: 1-line block ×5, first 2 shown]
	v_mov_b32_e32 v1, 0
	scratch_load_b128 v[26:29], off, off offset:256
	s_mov_b32 s2, exec_lo
	ds_load_b128 v[22:25], v1 offset:1296
	ds_load_b128 v[30:33], v1 offset:1312
	s_waitcnt vmcnt(5) lgkmcnt(1)
	v_mul_f64 v[34:35], v[24:25], v[4:5]
	v_mul_f64 v[4:5], v[22:23], v[4:5]
	s_waitcnt vmcnt(4) lgkmcnt(0)
	v_mul_f64 v[36:37], v[30:31], v[8:9]
	v_mul_f64 v[8:9], v[32:33], v[8:9]
	s_delay_alu instid0(VALU_DEP_4) | instskip(NEXT) | instid1(VALU_DEP_4)
	v_fma_f64 v[22:23], v[22:23], v[2:3], -v[34:35]
	v_fma_f64 v[24:25], v[24:25], v[2:3], v[4:5]
	ds_load_b128 v[2:5], v1 offset:1328
	v_fma_f64 v[32:33], v[32:33], v[6:7], v[36:37]
	v_fma_f64 v[30:31], v[30:31], v[6:7], -v[8:9]
	ds_load_b128 v[6:9], v1 offset:1344
	s_waitcnt vmcnt(3) lgkmcnt(1)
	v_mul_f64 v[34:35], v[2:3], v[12:13]
	v_mul_f64 v[12:13], v[4:5], v[12:13]
	s_waitcnt vmcnt(2) lgkmcnt(0)
	v_mul_f64 v[36:37], v[6:7], v[16:17]
	s_delay_alu instid0(VALU_DEP_3) | instskip(NEXT) | instid1(VALU_DEP_3)
	v_fma_f64 v[34:35], v[4:5], v[10:11], v[34:35]
	v_fma_f64 v[38:39], v[2:3], v[10:11], -v[12:13]
	v_mul_f64 v[10:11], v[8:9], v[16:17]
	ds_load_b128 v[2:5], v1 offset:1360
	v_fma_f64 v[16:17], v[8:9], v[14:15], v[36:37]
	v_fma_f64 v[14:15], v[6:7], v[14:15], -v[10:11]
	ds_load_b128 v[6:9], v1 offset:1376
	s_waitcnt vmcnt(1) lgkmcnt(1)
	v_mul_f64 v[10:11], v[2:3], v[20:21]
	v_mul_f64 v[12:13], v[4:5], v[20:21]
	s_delay_alu instid0(VALU_DEP_2) | instskip(NEXT) | instid1(VALU_DEP_2)
	v_fma_f64 v[20:21], v[4:5], v[18:19], v[10:11]
	v_fma_f64 v[18:19], v[2:3], v[18:19], -v[12:13]
	s_clause 0x1
	scratch_load_b128 v[2:5], off, off offset:352
	scratch_load_b128 v[10:13], off, off offset:368
	s_waitcnt vmcnt(1) lgkmcnt(0)
	v_mul_f64 v[36:37], v[6:7], v[4:5]
	v_mul_f64 v[4:5], v[8:9], v[4:5]
	s_delay_alu instid0(VALU_DEP_2) | instskip(NEXT) | instid1(VALU_DEP_2)
	v_fma_f64 v[36:37], v[8:9], v[2:3], v[36:37]
	v_fma_f64 v[40:41], v[6:7], v[2:3], -v[4:5]
	ds_load_b128 v[2:5], v1 offset:1392
	ds_load_b128 v[6:9], v1 offset:1408
	s_waitcnt vmcnt(0) lgkmcnt(1)
	v_mul_f64 v[42:43], v[2:3], v[12:13]
	s_delay_alu instid0(VALU_DEP_1) | instskip(SKIP_1) | instid1(VALU_DEP_1)
	v_fma_f64 v[42:43], v[4:5], v[10:11], v[42:43]
	v_mul_f64 v[4:5], v[4:5], v[12:13]
	v_fma_f64 v[44:45], v[2:3], v[10:11], -v[4:5]
	s_clause 0x1
	scratch_load_b128 v[2:5], off, off offset:384
	scratch_load_b128 v[10:13], off, off offset:400
	s_waitcnt vmcnt(1) lgkmcnt(0)
	v_mul_f64 v[46:47], v[6:7], v[4:5]
	v_mul_f64 v[4:5], v[8:9], v[4:5]
	s_delay_alu instid0(VALU_DEP_2) | instskip(NEXT) | instid1(VALU_DEP_2)
	v_fma_f64 v[46:47], v[8:9], v[2:3], v[46:47]
	v_fma_f64 v[48:49], v[6:7], v[2:3], -v[4:5]
	ds_load_b128 v[2:5], v1 offset:1424
	ds_load_b128 v[6:9], v1 offset:1440
	s_waitcnt vmcnt(0) lgkmcnt(1)
	v_mul_f64 v[52:53], v[2:3], v[12:13]
	s_delay_alu instid0(VALU_DEP_1) | instskip(SKIP_1) | instid1(VALU_DEP_1)
	v_fma_f64 v[52:53], v[4:5], v[10:11], v[52:53]
	v_mul_f64 v[4:5], v[4:5], v[12:13]
	;; [unrolled: 17-line block ×19, first 2 shown]
	v_fma_f64 v[253:254], v[2:3], v[10:11], -v[4:5]
	v_add_f64 v[2:3], v[22:23], 0
	v_add_f64 v[4:5], v[24:25], 0
	s_delay_alu instid0(VALU_DEP_2) | instskip(NEXT) | instid1(VALU_DEP_2)
	v_add_f64 v[2:3], v[2:3], v[30:31]
	v_add_f64 v[4:5], v[4:5], v[32:33]
	s_delay_alu instid0(VALU_DEP_2) | instskip(NEXT) | instid1(VALU_DEP_2)
	v_add_f64 v[2:3], v[2:3], v[38:39]
	v_add_f64 v[4:5], v[4:5], v[34:35]
	s_delay_alu instid0(VALU_DEP_2) | instskip(NEXT) | instid1(VALU_DEP_2)
	v_add_f64 v[2:3], v[2:3], v[14:15]
	v_add_f64 v[4:5], v[4:5], v[16:17]
	s_delay_alu instid0(VALU_DEP_2) | instskip(NEXT) | instid1(VALU_DEP_2)
	v_add_f64 v[2:3], v[2:3], v[18:19]
	v_add_f64 v[4:5], v[4:5], v[20:21]
	s_delay_alu instid0(VALU_DEP_2) | instskip(NEXT) | instid1(VALU_DEP_2)
	v_add_f64 v[2:3], v[2:3], v[40:41]
	v_add_f64 v[4:5], v[4:5], v[36:37]
	s_delay_alu instid0(VALU_DEP_2) | instskip(NEXT) | instid1(VALU_DEP_2)
	v_add_f64 v[2:3], v[2:3], v[44:45]
	v_add_f64 v[4:5], v[4:5], v[42:43]
	s_delay_alu instid0(VALU_DEP_2) | instskip(NEXT) | instid1(VALU_DEP_2)
	v_add_f64 v[2:3], v[2:3], v[48:49]
	v_add_f64 v[4:5], v[4:5], v[46:47]
	s_delay_alu instid0(VALU_DEP_2) | instskip(NEXT) | instid1(VALU_DEP_2)
	v_add_f64 v[2:3], v[2:3], v[54:55]
	v_add_f64 v[4:5], v[4:5], v[52:53]
	s_delay_alu instid0(VALU_DEP_2) | instskip(NEXT) | instid1(VALU_DEP_2)
	v_add_f64 v[2:3], v[2:3], v[58:59]
	v_add_f64 v[4:5], v[4:5], v[56:57]
	s_delay_alu instid0(VALU_DEP_2) | instskip(NEXT) | instid1(VALU_DEP_2)
	v_add_f64 v[2:3], v[2:3], v[62:63]
	v_add_f64 v[4:5], v[4:5], v[60:61]
	s_delay_alu instid0(VALU_DEP_2) | instskip(NEXT) | instid1(VALU_DEP_2)
	v_add_f64 v[2:3], v[2:3], v[66:67]
	v_add_f64 v[4:5], v[4:5], v[64:65]
	s_delay_alu instid0(VALU_DEP_2) | instskip(NEXT) | instid1(VALU_DEP_2)
	v_add_f64 v[2:3], v[2:3], v[70:71]
	v_add_f64 v[4:5], v[4:5], v[68:69]
	s_delay_alu instid0(VALU_DEP_2) | instskip(NEXT) | instid1(VALU_DEP_2)
	v_add_f64 v[2:3], v[2:3], v[74:75]
	v_add_f64 v[4:5], v[4:5], v[72:73]
	s_delay_alu instid0(VALU_DEP_2) | instskip(NEXT) | instid1(VALU_DEP_2)
	v_add_f64 v[2:3], v[2:3], v[78:79]
	v_add_f64 v[4:5], v[4:5], v[76:77]
	s_delay_alu instid0(VALU_DEP_2) | instskip(NEXT) | instid1(VALU_DEP_2)
	v_add_f64 v[2:3], v[2:3], v[82:83]
	v_add_f64 v[4:5], v[4:5], v[80:81]
	s_delay_alu instid0(VALU_DEP_2) | instskip(NEXT) | instid1(VALU_DEP_2)
	v_add_f64 v[2:3], v[2:3], v[86:87]
	v_add_f64 v[4:5], v[4:5], v[84:85]
	s_delay_alu instid0(VALU_DEP_2) | instskip(NEXT) | instid1(VALU_DEP_2)
	v_add_f64 v[2:3], v[2:3], v[90:91]
	v_add_f64 v[4:5], v[4:5], v[88:89]
	s_delay_alu instid0(VALU_DEP_2) | instskip(NEXT) | instid1(VALU_DEP_2)
	v_add_f64 v[2:3], v[2:3], v[94:95]
	v_add_f64 v[4:5], v[4:5], v[92:93]
	s_delay_alu instid0(VALU_DEP_2) | instskip(NEXT) | instid1(VALU_DEP_2)
	v_add_f64 v[2:3], v[2:3], v[98:99]
	v_add_f64 v[4:5], v[4:5], v[96:97]
	s_delay_alu instid0(VALU_DEP_2) | instskip(NEXT) | instid1(VALU_DEP_2)
	v_add_f64 v[2:3], v[2:3], v[102:103]
	v_add_f64 v[4:5], v[4:5], v[100:101]
	s_delay_alu instid0(VALU_DEP_2) | instskip(NEXT) | instid1(VALU_DEP_2)
	v_add_f64 v[2:3], v[2:3], v[106:107]
	v_add_f64 v[4:5], v[4:5], v[104:105]
	s_delay_alu instid0(VALU_DEP_2) | instskip(NEXT) | instid1(VALU_DEP_2)
	v_add_f64 v[2:3], v[2:3], v[110:111]
	v_add_f64 v[4:5], v[4:5], v[108:109]
	s_delay_alu instid0(VALU_DEP_2) | instskip(NEXT) | instid1(VALU_DEP_2)
	v_add_f64 v[2:3], v[2:3], v[114:115]
	v_add_f64 v[4:5], v[4:5], v[112:113]
	s_delay_alu instid0(VALU_DEP_2) | instskip(NEXT) | instid1(VALU_DEP_2)
	v_add_f64 v[2:3], v[2:3], v[179:180]
	v_add_f64 v[4:5], v[4:5], v[116:117]
	s_delay_alu instid0(VALU_DEP_2) | instskip(NEXT) | instid1(VALU_DEP_2)
	v_add_f64 v[2:3], v[2:3], v[183:184]
	v_add_f64 v[4:5], v[4:5], v[181:182]
	s_delay_alu instid0(VALU_DEP_2) | instskip(NEXT) | instid1(VALU_DEP_2)
	v_add_f64 v[2:3], v[2:3], v[187:188]
	v_add_f64 v[4:5], v[4:5], v[185:186]
	s_delay_alu instid0(VALU_DEP_2) | instskip(NEXT) | instid1(VALU_DEP_2)
	v_add_f64 v[2:3], v[2:3], v[191:192]
	v_add_f64 v[4:5], v[4:5], v[189:190]
	s_delay_alu instid0(VALU_DEP_2) | instskip(NEXT) | instid1(VALU_DEP_2)
	v_add_f64 v[2:3], v[2:3], v[195:196]
	v_add_f64 v[4:5], v[4:5], v[193:194]
	s_delay_alu instid0(VALU_DEP_2) | instskip(NEXT) | instid1(VALU_DEP_2)
	v_add_f64 v[2:3], v[2:3], v[199:200]
	v_add_f64 v[4:5], v[4:5], v[197:198]
	s_delay_alu instid0(VALU_DEP_2) | instskip(NEXT) | instid1(VALU_DEP_2)
	v_add_f64 v[2:3], v[2:3], v[203:204]
	v_add_f64 v[4:5], v[4:5], v[201:202]
	s_delay_alu instid0(VALU_DEP_2) | instskip(NEXT) | instid1(VALU_DEP_2)
	v_add_f64 v[2:3], v[2:3], v[207:208]
	v_add_f64 v[4:5], v[4:5], v[205:206]
	s_delay_alu instid0(VALU_DEP_2) | instskip(NEXT) | instid1(VALU_DEP_2)
	v_add_f64 v[2:3], v[2:3], v[212:213]
	v_add_f64 v[4:5], v[4:5], v[210:211]
	s_delay_alu instid0(VALU_DEP_2) | instskip(NEXT) | instid1(VALU_DEP_2)
	v_add_f64 v[2:3], v[2:3], v[217:218]
	v_add_f64 v[4:5], v[4:5], v[215:216]
	s_delay_alu instid0(VALU_DEP_2) | instskip(NEXT) | instid1(VALU_DEP_2)
	v_add_f64 v[2:3], v[2:3], v[221:222]
	v_add_f64 v[4:5], v[4:5], v[219:220]
	s_delay_alu instid0(VALU_DEP_2) | instskip(NEXT) | instid1(VALU_DEP_2)
	v_add_f64 v[2:3], v[2:3], v[225:226]
	v_add_f64 v[4:5], v[4:5], v[223:224]
	s_delay_alu instid0(VALU_DEP_2) | instskip(NEXT) | instid1(VALU_DEP_2)
	v_add_f64 v[2:3], v[2:3], v[229:230]
	v_add_f64 v[10:11], v[4:5], v[227:228]
	s_delay_alu instid0(VALU_DEP_2)
	v_add_f64 v[12:13], v[2:3], v[233:234]
	scratch_load_b128 v[2:5], off, off offset:960
	v_add_f64 v[14:15], v[10:11], v[231:232]
	v_add_f64 v[16:17], v[12:13], v[237:238]
	scratch_load_b128 v[10:13], off, off offset:976
	v_add_f64 v[18:19], v[14:15], v[235:236]
	;; [unrolled: 3-line block ×4, first 2 shown]
	v_add_f64 v[24:25], v[24:25], v[249:250]
	s_delay_alu instid0(VALU_DEP_2) | instskip(NEXT) | instid1(VALU_DEP_2)
	v_add_f64 v[22:23], v[22:23], v[247:248]
	v_add_f64 v[24:25], v[24:25], v[253:254]
	s_delay_alu instid0(VALU_DEP_2) | instskip(SKIP_3) | instid1(VALU_DEP_2)
	v_add_f64 v[22:23], v[22:23], v[251:252]
	s_waitcnt vmcnt(3) lgkmcnt(0)
	v_mul_f64 v[30:31], v[6:7], v[4:5]
	v_mul_f64 v[4:5], v[8:9], v[4:5]
	v_fma_f64 v[30:31], v[8:9], v[2:3], v[30:31]
	s_delay_alu instid0(VALU_DEP_2)
	v_fma_f64 v[32:33], v[6:7], v[2:3], -v[4:5]
	ds_load_b128 v[2:5], v1 offset:2000
	ds_load_b128 v[6:9], v1 offset:2016
	s_waitcnt vmcnt(2) lgkmcnt(1)
	v_mul_f64 v[34:35], v[2:3], v[12:13]
	v_mul_f64 v[12:13], v[4:5], v[12:13]
	s_waitcnt vmcnt(1) lgkmcnt(0)
	v_mul_f64 v[36:37], v[6:7], v[16:17]
	v_add_f64 v[22:23], v[22:23], v[30:31]
	s_delay_alu instid0(VALU_DEP_4) | instskip(NEXT) | instid1(VALU_DEP_4)
	v_fma_f64 v[34:35], v[4:5], v[10:11], v[34:35]
	v_fma_f64 v[10:11], v[2:3], v[10:11], -v[12:13]
	v_mul_f64 v[12:13], v[8:9], v[16:17]
	v_add_f64 v[16:17], v[24:25], v[32:33]
	ds_load_b128 v[2:5], v1 offset:2032
	v_fma_f64 v[8:9], v[8:9], v[14:15], v[36:37]
	s_waitcnt vmcnt(0) lgkmcnt(0)
	v_mul_f64 v[24:25], v[2:3], v[20:21]
	v_mul_f64 v[20:21], v[4:5], v[20:21]
	v_fma_f64 v[6:7], v[6:7], v[14:15], -v[12:13]
	v_add_f64 v[10:11], v[16:17], v[10:11]
	v_add_f64 v[12:13], v[22:23], v[34:35]
	v_fma_f64 v[4:5], v[4:5], v[18:19], v[24:25]
	v_fma_f64 v[2:3], v[2:3], v[18:19], -v[20:21]
	s_delay_alu instid0(VALU_DEP_4) | instskip(NEXT) | instid1(VALU_DEP_4)
	v_add_f64 v[6:7], v[10:11], v[6:7]
	v_add_f64 v[8:9], v[12:13], v[8:9]
	s_delay_alu instid0(VALU_DEP_2) | instskip(NEXT) | instid1(VALU_DEP_2)
	v_add_f64 v[2:3], v[6:7], v[2:3]
	v_add_f64 v[4:5], v[8:9], v[4:5]
	s_delay_alu instid0(VALU_DEP_2) | instskip(NEXT) | instid1(VALU_DEP_2)
	v_add_f64 v[2:3], v[26:27], -v[2:3]
	v_add_f64 v[4:5], v[28:29], -v[4:5]
	scratch_store_b128 off, v[2:5], off offset:256
	v_cmpx_lt_u32_e32 15, v178
	s_cbranch_execz .LBB127_378
; %bb.377:
	scratch_load_b32 v2, off, off offset:1164 ; 4-byte Folded Reload
	v_mov_b32_e32 v3, v1
	v_mov_b32_e32 v4, v1
	s_waitcnt vmcnt(0)
	scratch_load_b128 v[5:8], v2, off
	v_mov_b32_e32 v2, v1
	scratch_store_b128 off, v[1:4], off offset:240
	s_waitcnt vmcnt(0)
	ds_store_b128 v255, v[5:8]
.LBB127_378:
	s_or_b32 exec_lo, exec_lo, s2
	s_waitcnt lgkmcnt(0)
	s_waitcnt_vscnt null, 0x0
	s_barrier
	buffer_gl0_inv
	s_clause 0x5
	scratch_load_b128 v[22:25], off, off offset:256
	scratch_load_b128 v[2:5], off, off offset:272
	scratch_load_b128 v[6:9], off, off offset:288
	scratch_load_b128 v[10:13], off, off offset:304
	scratch_load_b128 v[18:21], off, off offset:320
	scratch_load_b128 v[14:17], off, off offset:336
	ds_load_b128 v[26:29], v1 offset:1280
	s_mov_b32 s2, exec_lo
	s_waitcnt vmcnt(5) lgkmcnt(0)
	v_mul_f64 v[30:31], v[28:29], v[24:25]
	v_mul_f64 v[32:33], v[26:27], v[24:25]
	s_delay_alu instid0(VALU_DEP_2) | instskip(NEXT) | instid1(VALU_DEP_2)
	v_fma_f64 v[24:25], v[26:27], v[22:23], -v[30:31]
	v_fma_f64 v[22:23], v[28:29], v[22:23], v[32:33]
	ds_load_b128 v[26:29], v1 offset:1296
	s_waitcnt vmcnt(4) lgkmcnt(0)
	v_mul_f64 v[30:31], v[26:27], v[4:5]
	v_mul_f64 v[4:5], v[28:29], v[4:5]
	s_delay_alu instid0(VALU_DEP_2) | instskip(NEXT) | instid1(VALU_DEP_2)
	v_fma_f64 v[30:31], v[28:29], v[2:3], v[30:31]
	v_fma_f64 v[32:33], v[26:27], v[2:3], -v[4:5]
	ds_load_b128 v[2:5], v1 offset:1312
	s_waitcnt vmcnt(3) lgkmcnt(0)
	v_mul_f64 v[26:27], v[2:3], v[8:9]
	v_mul_f64 v[8:9], v[4:5], v[8:9]
	s_delay_alu instid0(VALU_DEP_2) | instskip(NEXT) | instid1(VALU_DEP_2)
	v_fma_f64 v[34:35], v[4:5], v[6:7], v[26:27]
	v_fma_f64 v[36:37], v[2:3], v[6:7], -v[8:9]
	;; [unrolled: 7-line block ×5, first 2 shown]
	scratch_load_b128 v[2:5], off, off offset:352
	ds_load_b128 v[6:9], v1 offset:1376
	s_waitcnt vmcnt(0) lgkmcnt(0)
	v_mul_f64 v[14:15], v[6:7], v[4:5]
	v_mul_f64 v[4:5], v[8:9], v[4:5]
	s_delay_alu instid0(VALU_DEP_2) | instskip(NEXT) | instid1(VALU_DEP_2)
	v_fma_f64 v[46:47], v[8:9], v[2:3], v[14:15]
	v_fma_f64 v[48:49], v[6:7], v[2:3], -v[4:5]
	scratch_load_b128 v[2:5], off, off offset:368
	ds_load_b128 v[6:9], v1 offset:1392
	s_waitcnt vmcnt(0) lgkmcnt(0)
	v_mul_f64 v[14:15], v[6:7], v[4:5]
	v_mul_f64 v[4:5], v[8:9], v[4:5]
	s_delay_alu instid0(VALU_DEP_2) | instskip(NEXT) | instid1(VALU_DEP_2)
	v_fma_f64 v[52:53], v[8:9], v[2:3], v[14:15]
	v_fma_f64 v[54:55], v[6:7], v[2:3], -v[4:5]
	;; [unrolled: 8-line block ×39, first 2 shown]
	v_add_f64 v[2:3], v[24:25], 0
	v_add_f64 v[4:5], v[22:23], 0
	scratch_load_b128 v[6:9], off, off offset:992
	v_add_f64 v[2:3], v[2:3], v[32:33]
	v_add_f64 v[4:5], v[4:5], v[30:31]
	s_delay_alu instid0(VALU_DEP_2) | instskip(NEXT) | instid1(VALU_DEP_2)
	v_add_f64 v[2:3], v[2:3], v[36:37]
	v_add_f64 v[4:5], v[4:5], v[34:35]
	s_delay_alu instid0(VALU_DEP_2) | instskip(NEXT) | instid1(VALU_DEP_2)
	v_add_f64 v[2:3], v[2:3], v[10:11]
	v_add_f64 v[4:5], v[4:5], v[12:13]
	scratch_load_b128 v[10:13], off, off offset:976
	v_add_f64 v[2:3], v[2:3], v[40:41]
	v_add_f64 v[4:5], v[4:5], v[38:39]
	s_delay_alu instid0(VALU_DEP_2) | instskip(NEXT) | instid1(VALU_DEP_2)
	v_add_f64 v[2:3], v[2:3], v[44:45]
	v_add_f64 v[4:5], v[4:5], v[42:43]
	s_delay_alu instid0(VALU_DEP_2) | instskip(NEXT) | instid1(VALU_DEP_2)
	;; [unrolled: 3-line block ×36, first 2 shown]
	v_add_f64 v[22:23], v[2:3], v[249:250]
	v_add_f64 v[30:31], v[4:5], v[247:248]
	scratch_load_b128 v[2:5], off, off offset:1008
	v_add_f64 v[24:25], v[22:23], v[253:254]
	v_add_f64 v[22:23], v[30:31], v[251:252]
	scratch_load_b128 v[30:33], off, off offset:240
	v_add_f64 v[28:29], v[24:25], v[28:29]
	v_add_f64 v[26:27], v[22:23], v[26:27]
	ds_load_b128 v[22:25], v1 offset:2000
	v_add_f64 v[20:21], v[28:29], v[20:21]
	v_add_f64 v[18:19], v[26:27], v[18:19]
	s_delay_alu instid0(VALU_DEP_2) | instskip(NEXT) | instid1(VALU_DEP_2)
	v_add_f64 v[20:21], v[20:21], v[16:17]
	v_add_f64 v[18:19], v[18:19], v[14:15]
	ds_load_b128 v[14:17], v1 offset:2032
	s_waitcnt vmcnt(2) lgkmcnt(1)
	v_mul_f64 v[28:29], v[22:23], v[12:13]
	v_mul_f64 v[12:13], v[24:25], v[12:13]
	s_delay_alu instid0(VALU_DEP_2) | instskip(NEXT) | instid1(VALU_DEP_2)
	v_fma_f64 v[24:25], v[24:25], v[10:11], v[28:29]
	v_fma_f64 v[22:23], v[22:23], v[10:11], -v[12:13]
	ds_load_b128 v[10:13], v1 offset:2016
	s_waitcnt lgkmcnt(0)
	v_mul_f64 v[26:27], v[10:11], v[8:9]
	v_mul_f64 v[8:9], v[12:13], v[8:9]
	s_delay_alu instid0(VALU_DEP_2) | instskip(NEXT) | instid1(VALU_DEP_2)
	v_fma_f64 v[12:13], v[12:13], v[6:7], v[26:27]
	v_fma_f64 v[6:7], v[10:11], v[6:7], -v[8:9]
	v_add_f64 v[8:9], v[20:21], v[22:23]
	v_add_f64 v[10:11], v[18:19], v[24:25]
	s_waitcnt vmcnt(1)
	v_mul_f64 v[28:29], v[14:15], v[4:5]
	v_mul_f64 v[4:5], v[16:17], v[4:5]
	s_delay_alu instid0(VALU_DEP_2) | instskip(NEXT) | instid1(VALU_DEP_2)
	v_fma_f64 v[16:17], v[16:17], v[2:3], v[28:29]
	v_fma_f64 v[1:2], v[14:15], v[2:3], -v[4:5]
	v_add_f64 v[3:4], v[8:9], v[6:7]
	v_add_f64 v[5:6], v[10:11], v[12:13]
	s_delay_alu instid0(VALU_DEP_2) | instskip(NEXT) | instid1(VALU_DEP_2)
	v_add_f64 v[1:2], v[3:4], v[1:2]
	v_add_f64 v[3:4], v[5:6], v[16:17]
	s_waitcnt vmcnt(0)
	s_delay_alu instid0(VALU_DEP_2) | instskip(NEXT) | instid1(VALU_DEP_2)
	v_add_f64 v[1:2], v[30:31], -v[1:2]
	v_add_f64 v[3:4], v[32:33], -v[3:4]
	scratch_store_b128 off, v[1:4], off offset:240
	v_cmpx_lt_u32_e32 14, v178
	s_cbranch_execz .LBB127_380
; %bb.379:
	scratch_load_b32 v1, off, off offset:1168 ; 4-byte Folded Reload
	v_mov_b32_e32 v5, 0
	s_delay_alu instid0(VALU_DEP_1)
	v_mov_b32_e32 v6, v5
	v_mov_b32_e32 v7, v5
	;; [unrolled: 1-line block ×3, first 2 shown]
	s_waitcnt vmcnt(0)
	scratch_load_b128 v[1:4], v1, off
	scratch_store_b128 off, v[5:8], off offset:224
	s_waitcnt vmcnt(0)
	ds_store_b128 v255, v[1:4]
.LBB127_380:
	s_or_b32 exec_lo, exec_lo, s2
	s_waitcnt lgkmcnt(0)
	s_waitcnt_vscnt null, 0x0
	s_barrier
	buffer_gl0_inv
	s_clause 0x7
	scratch_load_b128 v[34:37], off, off offset:240
	scratch_load_b128 v[38:41], off, off offset:256
	;; [unrolled: 1-line block ×8, first 2 shown]
	v_mov_b32_e32 v1, 0
	s_mov_b32 s2, exec_lo
	ds_load_b128 v[46:49], v1 offset:1264
	s_clause 0x2
	scratch_load_b128 v[14:17], off, off offset:368
	scratch_load_b128 v[2:5], off, off offset:224
	;; [unrolled: 1-line block ×3, first 2 shown]
	ds_load_b128 v[42:45], v1 offset:1280
	ds_load_b128 v[247:250], v1 offset:1312
	;; [unrolled: 1-line block ×3, first 2 shown]
	s_waitcnt vmcnt(10) lgkmcnt(3)
	v_mul_f64 v[52:53], v[48:49], v[36:37]
	v_mul_f64 v[36:37], v[46:47], v[36:37]
	s_delay_alu instid0(VALU_DEP_2) | instskip(NEXT) | instid1(VALU_DEP_2)
	v_fma_f64 v[52:53], v[46:47], v[34:35], -v[52:53]
	v_fma_f64 v[56:57], v[48:49], v[34:35], v[36:37]
	ds_load_b128 v[34:37], v1 offset:1296
	s_waitcnt vmcnt(9) lgkmcnt(3)
	v_mul_f64 v[54:55], v[42:43], v[40:41]
	v_mul_f64 v[40:41], v[44:45], v[40:41]
	scratch_load_b128 v[46:49], off, off offset:400
	s_waitcnt vmcnt(9) lgkmcnt(0)
	v_mul_f64 v[58:59], v[34:35], v[32:33]
	v_mul_f64 v[32:33], v[36:37], v[32:33]
	v_add_f64 v[52:53], v[52:53], 0
	v_fma_f64 v[44:45], v[44:45], v[38:39], v[54:55]
	v_fma_f64 v[42:43], v[42:43], v[38:39], -v[40:41]
	v_add_f64 v[54:55], v[56:57], 0
	scratch_load_b128 v[38:41], off, off offset:416
	v_fma_f64 v[36:37], v[36:37], v[30:31], v[58:59]
	v_fma_f64 v[58:59], v[34:35], v[30:31], -v[32:33]
	scratch_load_b128 v[32:35], off, off offset:432
	v_add_f64 v[52:53], v[52:53], v[42:43]
	v_add_f64 v[54:55], v[54:55], v[44:45]
	ds_load_b128 v[42:45], v1 offset:1344
	s_waitcnt vmcnt(10)
	v_mul_f64 v[56:57], v[247:248], v[28:29]
	v_mul_f64 v[60:61], v[249:250], v[28:29]
	ds_load_b128 v[28:31], v1 offset:1328
	v_add_f64 v[52:53], v[52:53], v[58:59]
	v_add_f64 v[36:37], v[54:55], v[36:37]
	s_waitcnt vmcnt(8) lgkmcnt(1)
	v_mul_f64 v[54:55], v[42:43], v[20:21]
	v_fma_f64 v[56:57], v[249:250], v[26:27], v[56:57]
	v_fma_f64 v[60:61], v[247:248], v[26:27], -v[60:61]
	ds_load_b128 v[247:250], v1 offset:1376
	s_waitcnt lgkmcnt(1)
	v_mul_f64 v[62:63], v[28:29], v[24:25]
	v_mul_f64 v[64:65], v[30:31], v[24:25]
	scratch_load_b128 v[24:27], off, off offset:448
	v_mul_f64 v[58:59], v[44:45], v[20:21]
	v_fma_f64 v[54:55], v[44:45], v[18:19], v[54:55]
	v_add_f64 v[36:37], v[36:37], v[56:57]
	v_add_f64 v[52:53], v[52:53], v[60:61]
	s_waitcnt vmcnt(7) lgkmcnt(0)
	v_mul_f64 v[60:61], v[249:250], v[8:9]
	v_fma_f64 v[62:63], v[30:31], v[22:23], v[62:63]
	v_fma_f64 v[64:65], v[28:29], v[22:23], -v[64:65]
	scratch_load_b128 v[28:31], off, off offset:464
	ds_load_b128 v[20:23], v1 offset:1360
	v_fma_f64 v[18:19], v[42:43], v[18:19], -v[58:59]
	v_mul_f64 v[58:59], v[247:248], v[8:9]
	scratch_load_b128 v[42:45], off, off offset:480
	s_waitcnt lgkmcnt(0)
	v_mul_f64 v[56:57], v[20:21], v[12:13]
	v_mul_f64 v[12:13], v[22:23], v[12:13]
	v_add_f64 v[36:37], v[36:37], v[62:63]
	v_add_f64 v[52:53], v[52:53], v[64:65]
	s_delay_alu instid0(VALU_DEP_4) | instskip(NEXT) | instid1(VALU_DEP_4)
	v_fma_f64 v[22:23], v[22:23], v[10:11], v[56:57]
	v_fma_f64 v[12:13], v[20:21], v[10:11], -v[12:13]
	ds_load_b128 v[8:11], v1 offset:1392
	v_fma_f64 v[56:57], v[249:250], v[6:7], v[58:59]
	v_fma_f64 v[6:7], v[247:248], v[6:7], -v[60:61]
	scratch_load_b128 v[247:250], off, off offset:512
	v_add_f64 v[36:37], v[36:37], v[54:55]
	v_add_f64 v[52:53], v[52:53], v[18:19]
	scratch_load_b128 v[18:21], off, off offset:496
	v_add_f64 v[22:23], v[36:37], v[22:23]
	v_add_f64 v[12:13], v[52:53], v[12:13]
	s_waitcnt vmcnt(8)
	v_mul_f64 v[36:37], v[179:180], v[245:246]
	v_mul_f64 v[52:53], v[181:182], v[245:246]
	s_delay_alu instid0(VALU_DEP_4) | instskip(NEXT) | instid1(VALU_DEP_4)
	v_add_f64 v[22:23], v[22:23], v[56:57]
	v_add_f64 v[60:61], v[12:13], v[6:7]
	s_delay_alu instid0(VALU_DEP_4) | instskip(NEXT) | instid1(VALU_DEP_4)
	v_fma_f64 v[36:37], v[181:182], v[243:244], v[36:37]
	v_fma_f64 v[52:53], v[179:180], v[243:244], -v[52:53]
	ds_load_b128 v[243:246], v1 offset:1472
	s_waitcnt lgkmcnt(1)
	v_mul_f64 v[54:55], v[8:9], v[16:17]
	v_mul_f64 v[16:17], v[10:11], v[16:17]
	scratch_load_b128 v[179:182], off, off offset:544
	v_fma_f64 v[54:55], v[10:11], v[14:15], v[54:55]
	v_fma_f64 v[58:59], v[8:9], v[14:15], -v[16:17]
	ds_load_b128 v[6:9], v1 offset:1424
	ds_load_b128 v[14:17], v1 offset:1440
	scratch_load_b128 v[10:13], off, off offset:528
	s_waitcnt vmcnt(9) lgkmcnt(1)
	v_mul_f64 v[56:57], v[6:7], v[48:49]
	v_mul_f64 v[48:49], v[8:9], v[48:49]
	v_add_f64 v[22:23], v[22:23], v[54:55]
	v_add_f64 v[58:59], v[60:61], v[58:59]
	s_waitcnt vmcnt(8) lgkmcnt(0)
	v_mul_f64 v[54:55], v[14:15], v[40:41]
	v_mul_f64 v[40:41], v[16:17], v[40:41]
	v_fma_f64 v[56:57], v[8:9], v[46:47], v[56:57]
	v_fma_f64 v[60:61], v[6:7], v[46:47], -v[48:49]
	ds_load_b128 v[6:9], v1 offset:1456
	scratch_load_b128 v[46:49], off, off offset:560
	v_add_f64 v[22:23], v[22:23], v[36:37]
	v_add_f64 v[52:53], v[58:59], v[52:53]
	v_fma_f64 v[54:55], v[16:17], v[38:39], v[54:55]
	v_fma_f64 v[38:39], v[14:15], v[38:39], -v[40:41]
	scratch_load_b128 v[14:17], off, off offset:576
	v_add_f64 v[22:23], v[22:23], v[56:57]
	v_add_f64 v[40:41], v[52:53], v[60:61]
	s_waitcnt vmcnt(8)
	v_mul_f64 v[52:53], v[243:244], v[26:27]
	v_mul_f64 v[26:27], v[245:246], v[26:27]
	s_delay_alu instid0(VALU_DEP_4) | instskip(NEXT) | instid1(VALU_DEP_4)
	v_add_f64 v[22:23], v[22:23], v[54:55]
	v_add_f64 v[40:41], v[40:41], v[38:39]
	s_delay_alu instid0(VALU_DEP_4) | instskip(NEXT) | instid1(VALU_DEP_4)
	v_fma_f64 v[52:53], v[245:246], v[24:25], v[52:53]
	v_fma_f64 v[26:27], v[243:244], v[24:25], -v[26:27]
	ds_load_b128 v[243:246], v1 offset:1536
	s_waitcnt lgkmcnt(1)
	v_mul_f64 v[36:37], v[6:7], v[34:35]
	v_mul_f64 v[34:35], v[8:9], v[34:35]
	s_delay_alu instid0(VALU_DEP_2) | instskip(NEXT) | instid1(VALU_DEP_2)
	v_fma_f64 v[56:57], v[8:9], v[32:33], v[36:37]
	v_fma_f64 v[58:59], v[6:7], v[32:33], -v[34:35]
	scratch_load_b128 v[32:35], off, off offset:592
	ds_load_b128 v[6:9], v1 offset:1488
	ds_load_b128 v[36:39], v1 offset:1504
	s_waitcnt vmcnt(8) lgkmcnt(1)
	v_mul_f64 v[54:55], v[6:7], v[30:31]
	v_mul_f64 v[30:31], v[8:9], v[30:31]
	v_add_f64 v[56:57], v[22:23], v[56:57]
	v_add_f64 v[40:41], v[40:41], v[58:59]
	s_waitcnt vmcnt(7) lgkmcnt(0)
	v_mul_f64 v[58:59], v[36:37], v[44:45]
	v_mul_f64 v[44:45], v[38:39], v[44:45]
	scratch_load_b128 v[22:25], off, off offset:608
	v_fma_f64 v[54:55], v[8:9], v[28:29], v[54:55]
	v_fma_f64 v[30:31], v[6:7], v[28:29], -v[30:31]
	ds_load_b128 v[6:9], v1 offset:1520
	v_add_f64 v[52:53], v[56:57], v[52:53]
	v_add_f64 v[40:41], v[40:41], v[26:27]
	v_fma_f64 v[58:59], v[38:39], v[42:43], v[58:59]
	v_fma_f64 v[42:43], v[36:37], v[42:43], -v[44:45]
	s_clause 0x1
	scratch_load_b128 v[26:29], off, off offset:624
	scratch_load_b128 v[36:39], off, off offset:640
	s_waitcnt vmcnt(9)
	v_mul_f64 v[44:45], v[243:244], v[249:250]
	v_add_f64 v[30:31], v[40:41], v[30:31]
	v_add_f64 v[40:41], v[52:53], v[54:55]
	v_mul_f64 v[52:53], v[245:246], v[249:250]
	s_delay_alu instid0(VALU_DEP_4) | instskip(NEXT) | instid1(VALU_DEP_4)
	v_fma_f64 v[44:45], v[245:246], v[247:248], v[44:45]
	v_add_f64 v[30:31], v[30:31], v[42:43]
	s_delay_alu instid0(VALU_DEP_4)
	v_add_f64 v[58:59], v[40:41], v[58:59]
	ds_load_b128 v[40:43], v1 offset:1568
	s_waitcnt vmcnt(8) lgkmcnt(1)
	v_mul_f64 v[56:57], v[6:7], v[20:21]
	v_mul_f64 v[20:21], v[8:9], v[20:21]
	v_fma_f64 v[52:53], v[243:244], v[247:248], -v[52:53]
	scratch_load_b128 v[243:246], off, off offset:672
	ds_load_b128 v[247:250], v1 offset:1600
	v_fma_f64 v[54:55], v[8:9], v[18:19], v[56:57]
	v_fma_f64 v[56:57], v[6:7], v[18:19], -v[20:21]
	ds_load_b128 v[6:9], v1 offset:1552
	scratch_load_b128 v[18:21], off, off offset:656
	s_waitcnt vmcnt(8) lgkmcnt(0)
	v_mul_f64 v[60:61], v[6:7], v[12:13]
	v_mul_f64 v[12:13], v[8:9], v[12:13]
	v_add_f64 v[54:55], v[58:59], v[54:55]
	v_add_f64 v[30:31], v[30:31], v[56:57]
	v_mul_f64 v[56:57], v[40:41], v[181:182]
	v_mul_f64 v[58:59], v[42:43], v[181:182]
	v_fma_f64 v[60:61], v[8:9], v[10:11], v[60:61]
	v_fma_f64 v[62:63], v[6:7], v[10:11], -v[12:13]
	ds_load_b128 v[6:9], v1 offset:1584
	scratch_load_b128 v[10:13], off, off offset:688
	v_add_f64 v[44:45], v[54:55], v[44:45]
	v_add_f64 v[30:31], v[30:31], v[52:53]
	v_fma_f64 v[54:55], v[42:43], v[179:180], v[56:57]
	v_fma_f64 v[56:57], v[40:41], v[179:180], -v[58:59]
	ds_load_b128 v[179:182], v1 offset:1632
	scratch_load_b128 v[40:43], off, off offset:704
	s_waitcnt vmcnt(9) lgkmcnt(1)
	v_mul_f64 v[52:53], v[6:7], v[48:49]
	v_mul_f64 v[48:49], v[8:9], v[48:49]
	s_waitcnt vmcnt(8)
	v_mul_f64 v[58:59], v[247:248], v[16:17]
	v_mul_f64 v[16:17], v[249:250], v[16:17]
	v_add_f64 v[44:45], v[44:45], v[60:61]
	v_add_f64 v[30:31], v[30:31], v[62:63]
	v_fma_f64 v[52:53], v[8:9], v[46:47], v[52:53]
	v_fma_f64 v[48:49], v[6:7], v[46:47], -v[48:49]
	ds_load_b128 v[6:9], v1 offset:1616
	v_fma_f64 v[58:59], v[249:250], v[14:15], v[58:59]
	v_fma_f64 v[60:61], v[247:248], v[14:15], -v[16:17]
	ds_load_b128 v[247:250], v1 offset:1664
	scratch_load_b128 v[14:17], off, off offset:736
	v_add_f64 v[54:55], v[44:45], v[54:55]
	v_add_f64 v[30:31], v[30:31], v[56:57]
	scratch_load_b128 v[44:47], off, off offset:720
	s_waitcnt vmcnt(9) lgkmcnt(1)
	v_mul_f64 v[56:57], v[6:7], v[34:35]
	v_mul_f64 v[34:35], v[8:9], v[34:35]
	v_add_f64 v[30:31], v[30:31], v[48:49]
	v_add_f64 v[48:49], v[54:55], v[52:53]
	s_waitcnt vmcnt(8)
	v_mul_f64 v[52:53], v[179:180], v[24:25]
	v_mul_f64 v[24:25], v[181:182], v[24:25]
	v_fma_f64 v[54:55], v[8:9], v[32:33], v[56:57]
	v_fma_f64 v[34:35], v[6:7], v[32:33], -v[34:35]
	ds_load_b128 v[6:9], v1 offset:1648
	v_add_f64 v[56:57], v[30:31], v[60:61]
	v_add_f64 v[48:49], v[48:49], v[58:59]
	scratch_load_b128 v[30:33], off, off offset:752
	v_fma_f64 v[52:53], v[181:182], v[22:23], v[52:53]
	v_fma_f64 v[60:61], v[179:180], v[22:23], -v[24:25]
	ds_load_b128 v[179:182], v1 offset:1696
	s_waitcnt vmcnt(8) lgkmcnt(1)
	v_mul_f64 v[58:59], v[6:7], v[28:29]
	v_mul_f64 v[28:29], v[8:9], v[28:29]
	scratch_load_b128 v[22:25], off, off offset:768
	v_add_f64 v[34:35], v[56:57], v[34:35]
	v_add_f64 v[48:49], v[48:49], v[54:55]
	s_waitcnt vmcnt(8)
	v_mul_f64 v[54:55], v[247:248], v[38:39]
	v_mul_f64 v[38:39], v[249:250], v[38:39]
	v_fma_f64 v[56:57], v[8:9], v[26:27], v[58:59]
	v_fma_f64 v[58:59], v[6:7], v[26:27], -v[28:29]
	scratch_load_b128 v[26:29], off, off offset:784
	ds_load_b128 v[6:9], v1 offset:1680
	v_add_f64 v[34:35], v[34:35], v[60:61]
	v_add_f64 v[48:49], v[48:49], v[52:53]
	v_fma_f64 v[54:55], v[249:250], v[36:37], v[54:55]
	v_fma_f64 v[38:39], v[247:248], v[36:37], -v[38:39]
	s_waitcnt vmcnt(8) lgkmcnt(1)
	v_mul_f64 v[60:61], v[181:182], v[245:246]
	ds_load_b128 v[249:252], v1 offset:1760
	v_add_f64 v[58:59], v[34:35], v[58:59]
	v_add_f64 v[48:49], v[48:49], v[56:57]
	v_mul_f64 v[56:57], v[179:180], v[245:246]
	ds_load_b128 v[245:248], v1 offset:1728
	s_waitcnt vmcnt(7) lgkmcnt(2)
	v_mul_f64 v[52:53], v[6:7], v[20:21]
	v_mul_f64 v[20:21], v[8:9], v[20:21]
	scratch_load_b128 v[34:37], off, off offset:800
	v_add_f64 v[38:39], v[58:59], v[38:39]
	v_add_f64 v[48:49], v[48:49], v[54:55]
	v_fma_f64 v[56:57], v[181:182], v[243:244], v[56:57]
	v_fma_f64 v[58:59], v[179:180], v[243:244], -v[60:61]
	v_fma_f64 v[52:53], v[8:9], v[18:19], v[52:53]
	v_fma_f64 v[62:63], v[6:7], v[18:19], -v[20:21]
	scratch_load_b128 v[18:21], off, off offset:816
	ds_load_b128 v[6:9], v1 offset:1712
	scratch_load_b128 v[179:182], off, off offset:832
	s_waitcnt vmcnt(9) lgkmcnt(0)
	v_mul_f64 v[54:55], v[6:7], v[12:13]
	v_mul_f64 v[12:13], v[8:9], v[12:13]
	v_add_f64 v[48:49], v[48:49], v[52:53]
	v_add_f64 v[38:39], v[38:39], v[62:63]
	s_waitcnt vmcnt(8)
	v_mul_f64 v[52:53], v[245:246], v[42:43]
	v_mul_f64 v[42:43], v[247:248], v[42:43]
	v_fma_f64 v[54:55], v[8:9], v[10:11], v[54:55]
	v_fma_f64 v[60:61], v[6:7], v[10:11], -v[12:13]
	scratch_load_b128 v[10:13], off, off offset:848
	ds_load_b128 v[6:9], v1 offset:1744
	v_add_f64 v[48:49], v[48:49], v[56:57]
	v_add_f64 v[38:39], v[38:39], v[58:59]
	v_fma_f64 v[52:53], v[247:248], v[40:41], v[52:53]
	v_fma_f64 v[42:43], v[245:246], v[40:41], -v[42:43]
	ds_load_b128 v[243:246], v1 offset:1824
	s_waitcnt vmcnt(7) lgkmcnt(1)
	v_mul_f64 v[56:57], v[6:7], v[46:47]
	v_mul_f64 v[46:47], v[8:9], v[46:47]
	v_add_f64 v[48:49], v[48:49], v[54:55]
	v_add_f64 v[58:59], v[38:39], v[60:61]
	v_mul_f64 v[54:55], v[249:250], v[16:17]
	v_mul_f64 v[16:17], v[251:252], v[16:17]
	scratch_load_b128 v[38:41], off, off offset:864
	v_fma_f64 v[56:57], v[8:9], v[44:45], v[56:57]
	v_fma_f64 v[60:61], v[6:7], v[44:45], -v[46:47]
	ds_load_b128 v[6:9], v1 offset:1776
	v_add_f64 v[52:53], v[48:49], v[52:53]
	ds_load_b128 v[46:49], v1 offset:1792
	v_add_f64 v[58:59], v[58:59], v[42:43]
	v_fma_f64 v[54:55], v[251:252], v[14:15], v[54:55]
	v_fma_f64 v[64:65], v[249:250], v[14:15], -v[16:17]
	s_clause 0x1
	scratch_load_b128 v[42:45], off, off offset:880
	scratch_load_b128 v[14:17], off, off offset:896
	s_waitcnt vmcnt(9) lgkmcnt(1)
	v_mul_f64 v[62:63], v[6:7], v[32:33]
	v_mul_f64 v[32:33], v[8:9], v[32:33]
	v_add_f64 v[52:53], v[52:53], v[56:57]
	s_waitcnt vmcnt(8) lgkmcnt(0)
	v_mul_f64 v[56:57], v[46:47], v[24:25]
	v_add_f64 v[58:59], v[58:59], v[60:61]
	v_mul_f64 v[24:25], v[48:49], v[24:25]
	v_fma_f64 v[60:61], v[8:9], v[30:31], v[62:63]
	v_fma_f64 v[62:63], v[6:7], v[30:31], -v[32:33]
	scratch_load_b128 v[30:33], off, off offset:912
	ds_load_b128 v[6:9], v1 offset:1808
	v_add_f64 v[52:53], v[52:53], v[54:55]
	v_fma_f64 v[48:49], v[48:49], v[22:23], v[56:57]
	v_add_f64 v[58:59], v[58:59], v[64:65]
	v_fma_f64 v[46:47], v[46:47], v[22:23], -v[24:25]
	scratch_load_b128 v[22:25], off, off offset:928
	v_add_f64 v[52:53], v[52:53], v[60:61]
	v_add_f64 v[56:57], v[58:59], v[62:63]
	s_waitcnt vmcnt(8)
	v_mul_f64 v[58:59], v[243:244], v[36:37]
	v_mul_f64 v[36:37], v[245:246], v[36:37]
	s_delay_alu instid0(VALU_DEP_4) | instskip(NEXT) | instid1(VALU_DEP_4)
	v_add_f64 v[52:53], v[52:53], v[48:49]
	v_add_f64 v[56:57], v[56:57], v[46:47]
	ds_load_b128 v[46:49], v1 offset:1856
	s_waitcnt lgkmcnt(1)
	v_mul_f64 v[54:55], v[6:7], v[28:29]
	v_mul_f64 v[28:29], v[8:9], v[28:29]
	v_fma_f64 v[58:59], v[245:246], v[34:35], v[58:59]
	v_fma_f64 v[64:65], v[243:244], v[34:35], -v[36:37]
	ds_load_b128 v[243:246], v1 offset:1888
	scratch_load_b128 v[34:37], off, off offset:960
	v_fma_f64 v[54:55], v[8:9], v[26:27], v[54:55]
	v_fma_f64 v[60:61], v[6:7], v[26:27], -v[28:29]
	ds_load_b128 v[6:9], v1 offset:1840
	scratch_load_b128 v[26:29], off, off offset:944
	s_waitcnt vmcnt(9) lgkmcnt(0)
	v_mul_f64 v[62:63], v[6:7], v[20:21]
	v_mul_f64 v[20:21], v[8:9], v[20:21]
	v_add_f64 v[52:53], v[52:53], v[54:55]
	v_add_f64 v[56:57], v[56:57], v[60:61]
	s_waitcnt vmcnt(8)
	v_mul_f64 v[54:55], v[46:47], v[181:182]
	v_mul_f64 v[60:61], v[48:49], v[181:182]
	v_fma_f64 v[62:63], v[8:9], v[18:19], v[62:63]
	v_fma_f64 v[66:67], v[6:7], v[18:19], -v[20:21]
	ds_load_b128 v[6:9], v1 offset:1872
	scratch_load_b128 v[18:21], off, off offset:976
	v_add_f64 v[52:53], v[52:53], v[58:59]
	v_add_f64 v[56:57], v[56:57], v[64:65]
	v_fma_f64 v[54:55], v[48:49], v[179:180], v[54:55]
	v_fma_f64 v[60:61], v[46:47], v[179:180], -v[60:61]
	ds_load_b128 v[179:182], v1 offset:1920
	scratch_load_b128 v[46:49], off, off offset:992
	s_waitcnt vmcnt(9) lgkmcnt(1)
	v_mul_f64 v[58:59], v[6:7], v[12:13]
	v_mul_f64 v[12:13], v[8:9], v[12:13]
	v_add_f64 v[52:53], v[52:53], v[62:63]
	v_add_f64 v[56:57], v[56:57], v[66:67]
	s_waitcnt vmcnt(8)
	v_mul_f64 v[62:63], v[243:244], v[40:41]
	v_mul_f64 v[40:41], v[245:246], v[40:41]
	v_fma_f64 v[58:59], v[8:9], v[10:11], v[58:59]
	v_fma_f64 v[64:65], v[6:7], v[10:11], -v[12:13]
	scratch_load_b128 v[10:13], off, off offset:1008
	ds_load_b128 v[6:9], v1 offset:1904
	v_add_f64 v[52:53], v[52:53], v[54:55]
	v_add_f64 v[56:57], v[56:57], v[60:61]
	s_waitcnt vmcnt(8) lgkmcnt(0)
	v_mul_f64 v[54:55], v[6:7], v[44:45]
	v_mul_f64 v[44:45], v[8:9], v[44:45]
	v_fma_f64 v[60:61], v[245:246], v[38:39], v[62:63]
	v_fma_f64 v[38:39], v[243:244], v[38:39], -v[40:41]
	v_add_f64 v[52:53], v[52:53], v[58:59]
	v_add_f64 v[40:41], v[56:57], v[64:65]
	s_waitcnt vmcnt(7)
	v_mul_f64 v[56:57], v[179:180], v[16:17]
	v_mul_f64 v[16:17], v[181:182], v[16:17]
	v_fma_f64 v[54:55], v[8:9], v[42:43], v[54:55]
	v_fma_f64 v[42:43], v[6:7], v[42:43], -v[44:45]
	v_add_f64 v[52:53], v[52:53], v[60:61]
	v_add_f64 v[44:45], v[40:41], v[38:39]
	ds_load_b128 v[6:9], v1 offset:1936
	ds_load_b128 v[38:41], v1 offset:1952
	v_fma_f64 v[56:57], v[181:182], v[14:15], v[56:57]
	v_fma_f64 v[14:15], v[179:180], v[14:15], -v[16:17]
	s_waitcnt vmcnt(6) lgkmcnt(1)
	v_mul_f64 v[58:59], v[6:7], v[32:33]
	v_mul_f64 v[32:33], v[8:9], v[32:33]
	v_add_f64 v[16:17], v[44:45], v[42:43]
	v_add_f64 v[42:43], v[52:53], v[54:55]
	s_waitcnt vmcnt(5) lgkmcnt(0)
	v_mul_f64 v[44:45], v[38:39], v[24:25]
	v_mul_f64 v[24:25], v[40:41], v[24:25]
	v_fma_f64 v[52:53], v[8:9], v[30:31], v[58:59]
	v_fma_f64 v[30:31], v[6:7], v[30:31], -v[32:33]
	v_add_f64 v[32:33], v[16:17], v[14:15]
	v_add_f64 v[42:43], v[42:43], v[56:57]
	ds_load_b128 v[6:9], v1 offset:1968
	ds_load_b128 v[14:17], v1 offset:1984
	v_fma_f64 v[40:41], v[40:41], v[22:23], v[44:45]
	v_fma_f64 v[22:23], v[38:39], v[22:23], -v[24:25]
	s_waitcnt vmcnt(3) lgkmcnt(1)
	v_mul_f64 v[54:55], v[6:7], v[28:29]
	v_mul_f64 v[28:29], v[8:9], v[28:29]
	v_add_f64 v[24:25], v[32:33], v[30:31]
	v_add_f64 v[30:31], v[42:43], v[52:53]
	s_waitcnt lgkmcnt(0)
	v_mul_f64 v[32:33], v[14:15], v[36:37]
	v_mul_f64 v[36:37], v[16:17], v[36:37]
	v_fma_f64 v[38:39], v[8:9], v[26:27], v[54:55]
	v_fma_f64 v[26:27], v[6:7], v[26:27], -v[28:29]
	v_add_f64 v[28:29], v[24:25], v[22:23]
	v_add_f64 v[30:31], v[30:31], v[40:41]
	ds_load_b128 v[6:9], v1 offset:2000
	ds_load_b128 v[22:25], v1 offset:2016
	v_fma_f64 v[16:17], v[16:17], v[34:35], v[32:33]
	v_fma_f64 v[14:15], v[14:15], v[34:35], -v[36:37]
	s_waitcnt vmcnt(2) lgkmcnt(1)
	v_mul_f64 v[40:41], v[6:7], v[20:21]
	v_mul_f64 v[20:21], v[8:9], v[20:21]
	s_waitcnt vmcnt(1) lgkmcnt(0)
	v_mul_f64 v[32:33], v[24:25], v[48:49]
	v_add_f64 v[26:27], v[28:29], v[26:27]
	v_add_f64 v[28:29], v[30:31], v[38:39]
	v_mul_f64 v[30:31], v[22:23], v[48:49]
	v_fma_f64 v[34:35], v[8:9], v[18:19], v[40:41]
	v_fma_f64 v[18:19], v[6:7], v[18:19], -v[20:21]
	ds_load_b128 v[6:9], v1 offset:2032
	v_fma_f64 v[22:23], v[22:23], v[46:47], -v[32:33]
	v_add_f64 v[14:15], v[26:27], v[14:15]
	v_add_f64 v[16:17], v[28:29], v[16:17]
	v_fma_f64 v[24:25], v[24:25], v[46:47], v[30:31]
	s_waitcnt vmcnt(0) lgkmcnt(0)
	v_mul_f64 v[20:21], v[6:7], v[12:13]
	v_mul_f64 v[12:13], v[8:9], v[12:13]
	v_add_f64 v[14:15], v[14:15], v[18:19]
	v_add_f64 v[16:17], v[16:17], v[34:35]
	s_delay_alu instid0(VALU_DEP_4) | instskip(NEXT) | instid1(VALU_DEP_4)
	v_fma_f64 v[8:9], v[8:9], v[10:11], v[20:21]
	v_fma_f64 v[6:7], v[6:7], v[10:11], -v[12:13]
	s_delay_alu instid0(VALU_DEP_4) | instskip(NEXT) | instid1(VALU_DEP_4)
	v_add_f64 v[10:11], v[14:15], v[22:23]
	v_add_f64 v[12:13], v[16:17], v[24:25]
	s_delay_alu instid0(VALU_DEP_2) | instskip(NEXT) | instid1(VALU_DEP_2)
	v_add_f64 v[6:7], v[10:11], v[6:7]
	v_add_f64 v[8:9], v[12:13], v[8:9]
	s_delay_alu instid0(VALU_DEP_2) | instskip(NEXT) | instid1(VALU_DEP_2)
	v_add_f64 v[2:3], v[2:3], -v[6:7]
	v_add_f64 v[4:5], v[4:5], -v[8:9]
	scratch_store_b128 off, v[2:5], off offset:224
	v_cmpx_lt_u32_e32 13, v178
	s_cbranch_execz .LBB127_382
; %bb.381:
	scratch_load_b32 v2, off, off offset:1172 ; 4-byte Folded Reload
	v_mov_b32_e32 v3, v1
	v_mov_b32_e32 v4, v1
	s_waitcnt vmcnt(0)
	scratch_load_b128 v[5:8], v2, off
	v_mov_b32_e32 v2, v1
	scratch_store_b128 off, v[1:4], off offset:208
	s_waitcnt vmcnt(0)
	ds_store_b128 v255, v[5:8]
.LBB127_382:
	s_or_b32 exec_lo, exec_lo, s2
	s_waitcnt lgkmcnt(0)
	s_waitcnt_vscnt null, 0x0
	s_barrier
	buffer_gl0_inv
	s_clause 0x8
	scratch_load_b128 v[34:37], off, off offset:224
	scratch_load_b128 v[38:41], off, off offset:240
	;; [unrolled: 1-line block ×9, first 2 shown]
	ds_load_b128 v[46:49], v1 offset:1248
	ds_load_b128 v[42:45], v1 offset:1264
	s_clause 0x1
	scratch_load_b128 v[2:5], off, off offset:208
	scratch_load_b128 v[179:182], off, off offset:368
	s_mov_b32 s2, exec_lo
	ds_load_b128 v[243:246], v1 offset:1296
	ds_load_b128 v[247:250], v1 offset:1424
	s_waitcnt vmcnt(10) lgkmcnt(3)
	v_mul_f64 v[52:53], v[48:49], v[36:37]
	v_mul_f64 v[36:37], v[46:47], v[36:37]
	s_waitcnt vmcnt(9) lgkmcnt(2)
	v_mul_f64 v[54:55], v[42:43], v[40:41]
	v_mul_f64 v[40:41], v[44:45], v[40:41]
	s_waitcnt vmcnt(7) lgkmcnt(1)
	v_mul_f64 v[60:61], v[245:246], v[28:29]
	v_fma_f64 v[52:53], v[46:47], v[34:35], -v[52:53]
	v_fma_f64 v[56:57], v[48:49], v[34:35], v[36:37]
	ds_load_b128 v[34:37], v1 offset:1280
	scratch_load_b128 v[46:49], off, off offset:384
	v_fma_f64 v[44:45], v[44:45], v[38:39], v[54:55]
	v_fma_f64 v[42:43], v[42:43], v[38:39], -v[40:41]
	scratch_load_b128 v[38:41], off, off offset:400
	v_fma_f64 v[60:61], v[243:244], v[26:27], -v[60:61]
	s_waitcnt lgkmcnt(0)
	v_mul_f64 v[58:59], v[34:35], v[32:33]
	v_mul_f64 v[32:33], v[36:37], v[32:33]
	v_add_f64 v[52:53], v[52:53], 0
	v_add_f64 v[54:55], v[56:57], 0
	v_mul_f64 v[56:57], v[243:244], v[28:29]
	v_fma_f64 v[36:37], v[36:37], v[30:31], v[58:59]
	v_fma_f64 v[58:59], v[34:35], v[30:31], -v[32:33]
	ds_load_b128 v[28:31], v1 offset:1312
	scratch_load_b128 v[32:35], off, off offset:416
	v_add_f64 v[52:53], v[52:53], v[42:43]
	v_add_f64 v[54:55], v[54:55], v[44:45]
	ds_load_b128 v[42:45], v1 offset:1328
	v_fma_f64 v[56:57], v[245:246], v[26:27], v[56:57]
	ds_load_b128 v[243:246], v1 offset:1360
	s_waitcnt vmcnt(9) lgkmcnt(2)
	v_mul_f64 v[62:63], v[28:29], v[24:25]
	v_mul_f64 v[64:65], v[30:31], v[24:25]
	scratch_load_b128 v[24:27], off, off offset:432
	v_add_f64 v[52:53], v[52:53], v[58:59]
	v_add_f64 v[36:37], v[54:55], v[36:37]
	s_waitcnt vmcnt(9) lgkmcnt(1)
	v_mul_f64 v[54:55], v[42:43], v[20:21]
	v_mul_f64 v[58:59], v[44:45], v[20:21]
	v_fma_f64 v[62:63], v[30:31], v[22:23], v[62:63]
	v_fma_f64 v[64:65], v[28:29], v[22:23], -v[64:65]
	ds_load_b128 v[20:23], v1 offset:1344
	scratch_load_b128 v[28:31], off, off offset:448
	v_add_f64 v[52:53], v[52:53], v[60:61]
	v_add_f64 v[36:37], v[36:37], v[56:57]
	s_waitcnt vmcnt(9) lgkmcnt(0)
	v_mul_f64 v[56:57], v[20:21], v[16:17]
	v_mul_f64 v[60:61], v[22:23], v[16:17]
	v_fma_f64 v[44:45], v[44:45], v[18:19], v[54:55]
	v_fma_f64 v[42:43], v[42:43], v[18:19], -v[58:59]
	scratch_load_b128 v[16:19], off, off offset:464
	s_waitcnt vmcnt(9)
	v_mul_f64 v[54:55], v[243:244], v[12:13]
	v_mul_f64 v[58:59], v[245:246], v[12:13]
	v_add_f64 v[52:53], v[52:53], v[64:65]
	v_add_f64 v[36:37], v[36:37], v[62:63]
	v_fma_f64 v[56:57], v[22:23], v[14:15], v[56:57]
	v_fma_f64 v[60:61], v[20:21], v[14:15], -v[60:61]
	ds_load_b128 v[12:15], v1 offset:1376
	scratch_load_b128 v[20:23], off, off offset:480
	v_fma_f64 v[54:55], v[245:246], v[10:11], v[54:55]
	v_fma_f64 v[58:59], v[243:244], v[10:11], -v[58:59]
	scratch_load_b128 v[243:246], off, off offset:512
	v_add_f64 v[52:53], v[52:53], v[42:43]
	v_add_f64 v[36:37], v[36:37], v[44:45]
	ds_load_b128 v[42:45], v1 offset:1392
	s_waitcnt vmcnt(10) lgkmcnt(1)
	v_mul_f64 v[62:63], v[12:13], v[8:9]
	v_mul_f64 v[64:65], v[14:15], v[8:9]
	scratch_load_b128 v[8:11], off, off offset:496
	v_add_f64 v[52:53], v[52:53], v[60:61]
	v_add_f64 v[36:37], v[36:37], v[56:57]
	s_waitcnt vmcnt(9) lgkmcnt(0)
	v_mul_f64 v[56:57], v[42:43], v[181:182]
	v_mul_f64 v[60:61], v[44:45], v[181:182]
	v_fma_f64 v[62:63], v[14:15], v[6:7], v[62:63]
	v_fma_f64 v[6:7], v[12:13], v[6:7], -v[64:65]
	ds_load_b128 v[12:15], v1 offset:1408
	v_add_f64 v[52:53], v[52:53], v[58:59]
	v_add_f64 v[36:37], v[36:37], v[54:55]
	v_fma_f64 v[56:57], v[44:45], v[179:180], v[56:57]
	v_fma_f64 v[58:59], v[42:43], v[179:180], -v[60:61]
	scratch_load_b128 v[42:45], off, off offset:528
	ds_load_b128 v[179:182], v1 offset:1456
	s_waitcnt vmcnt(9) lgkmcnt(1)
	v_mul_f64 v[54:55], v[12:13], v[48:49]
	v_mul_f64 v[48:49], v[14:15], v[48:49]
	v_add_f64 v[6:7], v[52:53], v[6:7]
	v_add_f64 v[36:37], v[36:37], v[62:63]
	s_waitcnt vmcnt(8)
	v_mul_f64 v[52:53], v[247:248], v[40:41]
	v_mul_f64 v[40:41], v[249:250], v[40:41]
	v_fma_f64 v[54:55], v[14:15], v[46:47], v[54:55]
	v_fma_f64 v[60:61], v[12:13], v[46:47], -v[48:49]
	ds_load_b128 v[12:15], v1 offset:1440
	scratch_load_b128 v[46:49], off, off offset:544
	v_add_f64 v[6:7], v[6:7], v[58:59]
	v_add_f64 v[36:37], v[36:37], v[56:57]
	v_fma_f64 v[52:53], v[249:250], v[38:39], v[52:53]
	s_waitcnt vmcnt(8) lgkmcnt(0)
	v_mul_f64 v[56:57], v[12:13], v[34:35]
	v_mul_f64 v[58:59], v[14:15], v[34:35]
	v_fma_f64 v[38:39], v[247:248], v[38:39], -v[40:41]
	ds_load_b128 v[247:250], v1 offset:1488
	v_add_f64 v[6:7], v[6:7], v[60:61]
	v_add_f64 v[40:41], v[36:37], v[54:55]
	scratch_load_b128 v[34:37], off, off offset:560
	s_waitcnt vmcnt(8)
	v_mul_f64 v[54:55], v[179:180], v[26:27]
	v_mul_f64 v[26:27], v[181:182], v[26:27]
	v_fma_f64 v[56:57], v[14:15], v[32:33], v[56:57]
	v_fma_f64 v[32:33], v[12:13], v[32:33], -v[58:59]
	ds_load_b128 v[12:15], v1 offset:1472
	s_waitcnt vmcnt(7) lgkmcnt(0)
	v_mul_f64 v[58:59], v[12:13], v[30:31]
	v_mul_f64 v[30:31], v[14:15], v[30:31]
	v_add_f64 v[6:7], v[6:7], v[38:39]
	v_add_f64 v[52:53], v[40:41], v[52:53]
	scratch_load_b128 v[38:41], off, off offset:576
	v_fma_f64 v[54:55], v[181:182], v[24:25], v[54:55]
	v_fma_f64 v[60:61], v[179:180], v[24:25], -v[26:27]
	scratch_load_b128 v[24:27], off, off offset:592
	ds_load_b128 v[179:182], v1 offset:1520
	v_add_f64 v[6:7], v[6:7], v[32:33]
	v_add_f64 v[32:33], v[52:53], v[56:57]
	s_waitcnt vmcnt(8)
	v_mul_f64 v[52:53], v[247:248], v[18:19]
	v_mul_f64 v[18:19], v[249:250], v[18:19]
	v_fma_f64 v[56:57], v[14:15], v[28:29], v[58:59]
	v_fma_f64 v[58:59], v[12:13], v[28:29], -v[30:31]
	ds_load_b128 v[12:15], v1 offset:1504
	scratch_load_b128 v[28:31], off, off offset:608
	v_add_f64 v[6:7], v[6:7], v[60:61]
	v_add_f64 v[32:33], v[32:33], v[54:55]
	s_waitcnt vmcnt(8) lgkmcnt(0)
	v_mul_f64 v[54:55], v[12:13], v[22:23]
	v_mul_f64 v[22:23], v[14:15], v[22:23]
	v_fma_f64 v[52:53], v[249:250], v[16:17], v[52:53]
	v_fma_f64 v[60:61], v[247:248], v[16:17], -v[18:19]
	scratch_load_b128 v[16:19], off, off offset:624
	ds_load_b128 v[247:250], v1 offset:1552
	v_add_f64 v[6:7], v[6:7], v[58:59]
	v_add_f64 v[32:33], v[32:33], v[56:57]
	s_waitcnt vmcnt(7)
	v_mul_f64 v[56:57], v[179:180], v[10:11]
	v_mul_f64 v[58:59], v[181:182], v[10:11]
	v_fma_f64 v[14:15], v[14:15], v[20:21], v[54:55]
	v_fma_f64 v[54:55], v[12:13], v[20:21], -v[22:23]
	ds_load_b128 v[10:13], v1 offset:1536
	scratch_load_b128 v[20:23], off, off offset:640
	v_add_f64 v[6:7], v[6:7], v[60:61]
	v_add_f64 v[32:33], v[32:33], v[52:53]
	s_waitcnt lgkmcnt(0)
	v_mul_f64 v[52:53], v[10:11], v[245:246]
	v_mul_f64 v[60:61], v[12:13], v[245:246]
	v_fma_f64 v[56:57], v[181:182], v[8:9], v[56:57]
	v_fma_f64 v[58:59], v[179:180], v[8:9], -v[58:59]
	scratch_load_b128 v[179:182], off, off offset:672
	v_add_f64 v[54:55], v[6:7], v[54:55]
	v_add_f64 v[14:15], v[32:33], v[14:15]
	scratch_load_b128 v[6:9], off, off offset:656
	s_waitcnt vmcnt(9)
	v_mul_f64 v[32:33], v[247:248], v[44:45]
	v_mul_f64 v[44:45], v[249:250], v[44:45]
	v_fma_f64 v[52:53], v[12:13], v[243:244], v[52:53]
	v_fma_f64 v[60:61], v[10:11], v[243:244], -v[60:61]
	ds_load_b128 v[10:13], v1 offset:1568
	ds_load_b128 v[243:246], v1 offset:1584
	v_add_f64 v[54:55], v[54:55], v[58:59]
	v_add_f64 v[14:15], v[14:15], v[56:57]
	s_waitcnt vmcnt(8) lgkmcnt(1)
	v_mul_f64 v[56:57], v[10:11], v[48:49]
	v_mul_f64 v[48:49], v[12:13], v[48:49]
	v_fma_f64 v[32:33], v[249:250], v[42:43], v[32:33]
	v_fma_f64 v[58:59], v[247:248], v[42:43], -v[44:45]
	scratch_load_b128 v[42:45], off, off offset:688
	ds_load_b128 v[247:250], v1 offset:1616
	v_add_f64 v[54:55], v[54:55], v[60:61]
	v_add_f64 v[14:15], v[14:15], v[52:53]
	v_fma_f64 v[56:57], v[12:13], v[46:47], v[56:57]
	v_fma_f64 v[60:61], v[10:11], v[46:47], -v[48:49]
	ds_load_b128 v[10:13], v1 offset:1600
	scratch_load_b128 v[46:49], off, off offset:704
	s_waitcnt vmcnt(9) lgkmcnt(2)
	v_mul_f64 v[52:53], v[243:244], v[36:37]
	v_mul_f64 v[36:37], v[245:246], v[36:37]
	v_add_f64 v[54:55], v[54:55], v[58:59]
	v_add_f64 v[14:15], v[14:15], v[32:33]
	s_waitcnt vmcnt(8) lgkmcnt(0)
	v_mul_f64 v[58:59], v[10:11], v[40:41]
	v_mul_f64 v[40:41], v[12:13], v[40:41]
	v_fma_f64 v[52:53], v[245:246], v[34:35], v[52:53]
	v_fma_f64 v[36:37], v[243:244], v[34:35], -v[36:37]
	scratch_load_b128 v[32:35], off, off offset:720
	ds_load_b128 v[243:246], v1 offset:1648
	v_add_f64 v[54:55], v[54:55], v[60:61]
	v_add_f64 v[14:15], v[14:15], v[56:57]
	s_waitcnt vmcnt(8)
	v_mul_f64 v[56:57], v[247:248], v[26:27]
	v_mul_f64 v[26:27], v[249:250], v[26:27]
	v_fma_f64 v[58:59], v[12:13], v[38:39], v[58:59]
	v_fma_f64 v[40:41], v[10:11], v[38:39], -v[40:41]
	ds_load_b128 v[10:13], v1 offset:1632
	v_add_f64 v[54:55], v[54:55], v[36:37]
	v_add_f64 v[14:15], v[14:15], v[52:53]
	scratch_load_b128 v[36:39], off, off offset:736
	s_waitcnt vmcnt(8) lgkmcnt(0)
	v_mul_f64 v[52:53], v[10:11], v[30:31]
	v_mul_f64 v[30:31], v[12:13], v[30:31]
	v_fma_f64 v[56:57], v[249:250], v[24:25], v[56:57]
	v_fma_f64 v[60:61], v[247:248], v[24:25], -v[26:27]
	scratch_load_b128 v[24:27], off, off offset:752
	ds_load_b128 v[247:250], v1 offset:1680
	v_add_f64 v[40:41], v[54:55], v[40:41]
	v_add_f64 v[14:15], v[14:15], v[58:59]
	s_waitcnt vmcnt(8)
	v_mul_f64 v[54:55], v[243:244], v[18:19]
	v_mul_f64 v[18:19], v[245:246], v[18:19]
	v_fma_f64 v[52:53], v[12:13], v[28:29], v[52:53]
	v_fma_f64 v[58:59], v[10:11], v[28:29], -v[30:31]
	ds_load_b128 v[10:13], v1 offset:1664
	scratch_load_b128 v[28:31], off, off offset:768
	v_add_f64 v[40:41], v[40:41], v[60:61]
	v_add_f64 v[14:15], v[14:15], v[56:57]
	s_waitcnt vmcnt(8) lgkmcnt(0)
	v_mul_f64 v[56:57], v[10:11], v[22:23]
	v_mul_f64 v[22:23], v[12:13], v[22:23]
	v_fma_f64 v[54:55], v[245:246], v[16:17], v[54:55]
	v_fma_f64 v[18:19], v[243:244], v[16:17], -v[18:19]
	ds_load_b128 v[243:246], v1 offset:1712
	v_add_f64 v[40:41], v[40:41], v[58:59]
	v_add_f64 v[52:53], v[14:15], v[52:53]
	scratch_load_b128 v[14:17], off, off offset:784
	v_fma_f64 v[12:13], v[12:13], v[20:21], v[56:57]
	v_fma_f64 v[22:23], v[10:11], v[20:21], -v[22:23]
	s_waitcnt vmcnt(7)
	v_mul_f64 v[58:59], v[247:248], v[8:9]
	v_mul_f64 v[60:61], v[249:250], v[8:9]
	ds_load_b128 v[8:11], v1 offset:1696
	v_add_f64 v[40:41], v[40:41], v[18:19]
	v_add_f64 v[52:53], v[52:53], v[54:55]
	scratch_load_b128 v[18:21], off, off offset:800
	s_waitcnt lgkmcnt(0)
	v_mul_f64 v[54:55], v[8:9], v[181:182]
	v_mul_f64 v[56:57], v[10:11], v[181:182]
	v_fma_f64 v[58:59], v[249:250], v[6:7], v[58:59]
	v_fma_f64 v[6:7], v[247:248], v[6:7], -v[60:61]
	scratch_load_b128 v[247:250], off, off offset:816
	v_add_f64 v[22:23], v[40:41], v[22:23]
	v_add_f64 v[12:13], v[52:53], v[12:13]
	s_waitcnt vmcnt(8)
	v_mul_f64 v[40:41], v[243:244], v[44:45]
	v_mul_f64 v[44:45], v[245:246], v[44:45]
	v_fma_f64 v[52:53], v[10:11], v[179:180], v[54:55]
	v_fma_f64 v[54:55], v[8:9], v[179:180], -v[56:57]
	ds_load_b128 v[179:182], v1 offset:1744
	v_add_f64 v[22:23], v[22:23], v[6:7]
	v_add_f64 v[56:57], v[12:13], v[58:59]
	ds_load_b128 v[6:9], v1 offset:1728
	scratch_load_b128 v[10:13], off, off offset:832
	v_fma_f64 v[60:61], v[245:246], v[42:43], v[40:41]
	v_fma_f64 v[44:45], v[243:244], v[42:43], -v[44:45]
	scratch_load_b128 v[40:43], off, off offset:848
	ds_load_b128 v[243:246], v1 offset:1776
	s_waitcnt vmcnt(9) lgkmcnt(1)
	v_mul_f64 v[58:59], v[6:7], v[48:49]
	v_mul_f64 v[48:49], v[8:9], v[48:49]
	v_add_f64 v[22:23], v[22:23], v[54:55]
	v_add_f64 v[52:53], v[56:57], v[52:53]
	s_waitcnt vmcnt(8)
	v_mul_f64 v[54:55], v[179:180], v[34:35]
	v_mul_f64 v[34:35], v[181:182], v[34:35]
	v_fma_f64 v[56:57], v[8:9], v[46:47], v[58:59]
	v_fma_f64 v[48:49], v[6:7], v[46:47], -v[48:49]
	ds_load_b128 v[6:9], v1 offset:1760
	v_add_f64 v[22:23], v[22:23], v[44:45]
	v_add_f64 v[52:53], v[52:53], v[60:61]
	scratch_load_b128 v[44:47], off, off offset:864
	v_fma_f64 v[54:55], v[181:182], v[32:33], v[54:55]
	v_fma_f64 v[60:61], v[179:180], v[32:33], -v[34:35]
	scratch_load_b128 v[32:35], off, off offset:880
	ds_load_b128 v[179:182], v1 offset:1808
	s_waitcnt vmcnt(9) lgkmcnt(1)
	v_mul_f64 v[58:59], v[6:7], v[38:39]
	v_mul_f64 v[38:39], v[8:9], v[38:39]
	v_add_f64 v[22:23], v[22:23], v[48:49]
	v_add_f64 v[48:49], v[52:53], v[56:57]
	s_waitcnt vmcnt(8)
	v_mul_f64 v[52:53], v[243:244], v[26:27]
	v_mul_f64 v[26:27], v[245:246], v[26:27]
	v_fma_f64 v[56:57], v[8:9], v[36:37], v[58:59]
	v_fma_f64 v[58:59], v[6:7], v[36:37], -v[38:39]
	ds_load_b128 v[6:9], v1 offset:1792
	scratch_load_b128 v[36:39], off, off offset:896
	v_add_f64 v[22:23], v[22:23], v[60:61]
	v_add_f64 v[48:49], v[48:49], v[54:55]
	s_waitcnt vmcnt(8) lgkmcnt(0)
	v_mul_f64 v[54:55], v[6:7], v[30:31]
	v_mul_f64 v[30:31], v[8:9], v[30:31]
	v_fma_f64 v[52:53], v[245:246], v[24:25], v[52:53]
	v_fma_f64 v[26:27], v[243:244], v[24:25], -v[26:27]
	ds_load_b128 v[243:246], v1 offset:1840
	v_add_f64 v[58:59], v[22:23], v[58:59]
	scratch_load_b128 v[22:25], off, off offset:912
	v_add_f64 v[48:49], v[48:49], v[56:57]
	v_fma_f64 v[54:55], v[8:9], v[28:29], v[54:55]
	v_fma_f64 v[30:31], v[6:7], v[28:29], -v[30:31]
	ds_load_b128 v[6:9], v1 offset:1824
	s_waitcnt vmcnt(8)
	v_mul_f64 v[56:57], v[179:180], v[16:17]
	v_mul_f64 v[16:17], v[181:182], v[16:17]
	v_add_f64 v[58:59], v[58:59], v[26:27]
	scratch_load_b128 v[26:29], off, off offset:928
	v_add_f64 v[48:49], v[48:49], v[52:53]
	s_waitcnt vmcnt(8) lgkmcnt(0)
	v_mul_f64 v[52:53], v[6:7], v[20:21]
	v_mul_f64 v[20:21], v[8:9], v[20:21]
	v_fma_f64 v[56:57], v[181:182], v[14:15], v[56:57]
	v_fma_f64 v[60:61], v[179:180], v[14:15], -v[16:17]
	scratch_load_b128 v[14:17], off, off offset:944
	ds_load_b128 v[179:182], v1 offset:1872
	v_add_f64 v[30:31], v[58:59], v[30:31]
	s_waitcnt vmcnt(8)
	v_mul_f64 v[58:59], v[245:246], v[249:250]
	v_add_f64 v[48:49], v[48:49], v[54:55]
	v_mul_f64 v[54:55], v[243:244], v[249:250]
	v_fma_f64 v[52:53], v[8:9], v[18:19], v[52:53]
	v_fma_f64 v[62:63], v[6:7], v[18:19], -v[20:21]
	ds_load_b128 v[6:9], v1 offset:1856
	scratch_load_b128 v[18:21], off, off offset:960
	v_add_f64 v[30:31], v[30:31], v[60:61]
	v_fma_f64 v[58:59], v[243:244], v[247:248], -v[58:59]
	v_add_f64 v[48:49], v[48:49], v[56:57]
	v_fma_f64 v[54:55], v[245:246], v[247:248], v[54:55]
	scratch_load_b128 v[243:246], off, off offset:976
	ds_load_b128 v[247:250], v1 offset:1904
	s_waitcnt vmcnt(9) lgkmcnt(1)
	v_mul_f64 v[56:57], v[6:7], v[12:13]
	v_mul_f64 v[12:13], v[8:9], v[12:13]
	v_add_f64 v[30:31], v[30:31], v[62:63]
	v_add_f64 v[48:49], v[48:49], v[52:53]
	s_waitcnt vmcnt(8)
	v_mul_f64 v[52:53], v[179:180], v[42:43]
	v_mul_f64 v[42:43], v[181:182], v[42:43]
	v_fma_f64 v[56:57], v[8:9], v[10:11], v[56:57]
	v_fma_f64 v[60:61], v[6:7], v[10:11], -v[12:13]
	ds_load_b128 v[6:9], v1 offset:1888
	scratch_load_b128 v[10:13], off, off offset:992
	v_add_f64 v[30:31], v[30:31], v[58:59]
	v_add_f64 v[48:49], v[48:49], v[54:55]
	v_fma_f64 v[52:53], v[181:182], v[40:41], v[52:53]
	v_fma_f64 v[58:59], v[179:180], v[40:41], -v[42:43]
	scratch_load_b128 v[40:43], off, off offset:1008
	s_waitcnt vmcnt(9) lgkmcnt(0)
	v_mul_f64 v[54:55], v[6:7], v[46:47]
	v_mul_f64 v[46:47], v[8:9], v[46:47]
	v_add_f64 v[30:31], v[30:31], v[60:61]
	v_add_f64 v[48:49], v[48:49], v[56:57]
	s_waitcnt vmcnt(8)
	v_mul_f64 v[56:57], v[247:248], v[34:35]
	v_mul_f64 v[34:35], v[249:250], v[34:35]
	v_fma_f64 v[54:55], v[8:9], v[44:45], v[54:55]
	v_fma_f64 v[60:61], v[6:7], v[44:45], -v[46:47]
	ds_load_b128 v[6:9], v1 offset:1920
	ds_load_b128 v[44:47], v1 offset:1936
	v_add_f64 v[30:31], v[30:31], v[58:59]
	v_add_f64 v[48:49], v[48:49], v[52:53]
	s_waitcnt vmcnt(7) lgkmcnt(1)
	v_mul_f64 v[52:53], v[6:7], v[38:39]
	v_mul_f64 v[38:39], v[8:9], v[38:39]
	v_fma_f64 v[56:57], v[249:250], v[32:33], v[56:57]
	v_fma_f64 v[32:33], v[247:248], v[32:33], -v[34:35]
	v_add_f64 v[30:31], v[30:31], v[60:61]
	v_add_f64 v[34:35], v[48:49], v[54:55]
	v_fma_f64 v[52:53], v[8:9], v[36:37], v[52:53]
	v_fma_f64 v[36:37], v[6:7], v[36:37], -v[38:39]
	s_waitcnt vmcnt(6) lgkmcnt(0)
	v_mul_f64 v[48:49], v[44:45], v[24:25]
	v_mul_f64 v[24:25], v[46:47], v[24:25]
	v_add_f64 v[38:39], v[30:31], v[32:33]
	ds_load_b128 v[6:9], v1 offset:1952
	ds_load_b128 v[30:33], v1 offset:1968
	v_add_f64 v[34:35], v[34:35], v[56:57]
	v_fma_f64 v[46:47], v[46:47], v[22:23], v[48:49]
	v_fma_f64 v[22:23], v[44:45], v[22:23], -v[24:25]
	s_waitcnt vmcnt(5) lgkmcnt(1)
	v_mul_f64 v[54:55], v[6:7], v[28:29]
	v_mul_f64 v[28:29], v[8:9], v[28:29]
	v_add_f64 v[24:25], v[38:39], v[36:37]
	s_waitcnt vmcnt(4) lgkmcnt(0)
	v_mul_f64 v[36:37], v[30:31], v[16:17]
	v_add_f64 v[34:35], v[34:35], v[52:53]
	v_mul_f64 v[16:17], v[32:33], v[16:17]
	v_fma_f64 v[38:39], v[8:9], v[26:27], v[54:55]
	v_fma_f64 v[26:27], v[6:7], v[26:27], -v[28:29]
	v_add_f64 v[28:29], v[24:25], v[22:23]
	ds_load_b128 v[6:9], v1 offset:1984
	ds_load_b128 v[22:25], v1 offset:2000
	v_add_f64 v[34:35], v[34:35], v[46:47]
	v_fma_f64 v[32:33], v[32:33], v[14:15], v[36:37]
	v_fma_f64 v[14:15], v[30:31], v[14:15], -v[16:17]
	s_waitcnt vmcnt(3) lgkmcnt(1)
	v_mul_f64 v[44:45], v[6:7], v[20:21]
	v_mul_f64 v[20:21], v[8:9], v[20:21]
	s_waitcnt vmcnt(2) lgkmcnt(0)
	v_mul_f64 v[30:31], v[24:25], v[245:246]
	v_add_f64 v[16:17], v[28:29], v[26:27]
	v_mul_f64 v[28:29], v[22:23], v[245:246]
	v_add_f64 v[26:27], v[34:35], v[38:39]
	v_fma_f64 v[34:35], v[8:9], v[18:19], v[44:45]
	v_fma_f64 v[18:19], v[6:7], v[18:19], -v[20:21]
	v_fma_f64 v[22:23], v[22:23], v[243:244], -v[30:31]
	v_add_f64 v[20:21], v[16:17], v[14:15]
	ds_load_b128 v[6:9], v1 offset:2016
	ds_load_b128 v[14:17], v1 offset:2032
	v_add_f64 v[26:27], v[26:27], v[32:33]
	v_fma_f64 v[24:25], v[24:25], v[243:244], v[28:29]
	s_waitcnt vmcnt(1) lgkmcnt(1)
	v_mul_f64 v[32:33], v[6:7], v[12:13]
	v_mul_f64 v[12:13], v[8:9], v[12:13]
	s_waitcnt vmcnt(0) lgkmcnt(0)
	v_mul_f64 v[28:29], v[16:17], v[42:43]
	v_add_f64 v[18:19], v[20:21], v[18:19]
	v_add_f64 v[20:21], v[26:27], v[34:35]
	v_mul_f64 v[26:27], v[14:15], v[42:43]
	v_fma_f64 v[8:9], v[8:9], v[10:11], v[32:33]
	v_fma_f64 v[6:7], v[6:7], v[10:11], -v[12:13]
	v_fma_f64 v[14:15], v[14:15], v[40:41], -v[28:29]
	v_add_f64 v[10:11], v[18:19], v[22:23]
	v_add_f64 v[12:13], v[20:21], v[24:25]
	v_fma_f64 v[16:17], v[16:17], v[40:41], v[26:27]
	s_delay_alu instid0(VALU_DEP_3) | instskip(NEXT) | instid1(VALU_DEP_3)
	v_add_f64 v[6:7], v[10:11], v[6:7]
	v_add_f64 v[8:9], v[12:13], v[8:9]
	s_delay_alu instid0(VALU_DEP_2) | instskip(NEXT) | instid1(VALU_DEP_2)
	v_add_f64 v[6:7], v[6:7], v[14:15]
	v_add_f64 v[8:9], v[8:9], v[16:17]
	s_delay_alu instid0(VALU_DEP_2) | instskip(NEXT) | instid1(VALU_DEP_2)
	v_add_f64 v[1:2], v[2:3], -v[6:7]
	v_add_f64 v[3:4], v[4:5], -v[8:9]
	scratch_store_b128 off, v[1:4], off offset:208
	v_cmpx_lt_u32_e32 12, v178
	s_cbranch_execz .LBB127_384
; %bb.383:
	scratch_load_b32 v1, off, off offset:1180 ; 4-byte Folded Reload
	v_mov_b32_e32 v5, 0
	s_delay_alu instid0(VALU_DEP_1)
	v_mov_b32_e32 v6, v5
	v_mov_b32_e32 v7, v5
	;; [unrolled: 1-line block ×3, first 2 shown]
	s_waitcnt vmcnt(0)
	scratch_load_b128 v[1:4], v1, off
	scratch_store_b128 off, v[5:8], off offset:192
	s_waitcnt vmcnt(0)
	ds_store_b128 v255, v[1:4]
.LBB127_384:
	s_or_b32 exec_lo, exec_lo, s2
	s_waitcnt lgkmcnt(0)
	s_waitcnt_vscnt null, 0x0
	s_barrier
	buffer_gl0_inv
	s_clause 0x7
	scratch_load_b128 v[34:37], off, off offset:208
	scratch_load_b128 v[38:41], off, off offset:224
	;; [unrolled: 1-line block ×8, first 2 shown]
	v_mov_b32_e32 v1, 0
	s_mov_b32 s2, exec_lo
	ds_load_b128 v[46:49], v1 offset:1232
	s_clause 0x2
	scratch_load_b128 v[14:17], off, off offset:336
	scratch_load_b128 v[2:5], off, off offset:192
	;; [unrolled: 1-line block ×3, first 2 shown]
	ds_load_b128 v[42:45], v1 offset:1248
	ds_load_b128 v[243:246], v1 offset:1280
	;; [unrolled: 1-line block ×3, first 2 shown]
	s_waitcnt vmcnt(10) lgkmcnt(3)
	v_mul_f64 v[52:53], v[48:49], v[36:37]
	v_mul_f64 v[36:37], v[46:47], v[36:37]
	s_delay_alu instid0(VALU_DEP_2) | instskip(NEXT) | instid1(VALU_DEP_2)
	v_fma_f64 v[52:53], v[46:47], v[34:35], -v[52:53]
	v_fma_f64 v[56:57], v[48:49], v[34:35], v[36:37]
	ds_load_b128 v[34:37], v1 offset:1264
	s_waitcnt vmcnt(9) lgkmcnt(3)
	v_mul_f64 v[54:55], v[42:43], v[40:41]
	v_mul_f64 v[40:41], v[44:45], v[40:41]
	scratch_load_b128 v[46:49], off, off offset:368
	s_waitcnt vmcnt(9) lgkmcnt(0)
	v_mul_f64 v[58:59], v[34:35], v[32:33]
	v_mul_f64 v[32:33], v[36:37], v[32:33]
	v_add_f64 v[52:53], v[52:53], 0
	v_fma_f64 v[44:45], v[44:45], v[38:39], v[54:55]
	v_fma_f64 v[42:43], v[42:43], v[38:39], -v[40:41]
	v_add_f64 v[54:55], v[56:57], 0
	scratch_load_b128 v[38:41], off, off offset:384
	v_fma_f64 v[36:37], v[36:37], v[30:31], v[58:59]
	v_fma_f64 v[58:59], v[34:35], v[30:31], -v[32:33]
	scratch_load_b128 v[32:35], off, off offset:400
	v_add_f64 v[52:53], v[52:53], v[42:43]
	v_add_f64 v[54:55], v[54:55], v[44:45]
	ds_load_b128 v[42:45], v1 offset:1312
	s_waitcnt vmcnt(10)
	v_mul_f64 v[56:57], v[243:244], v[28:29]
	v_mul_f64 v[60:61], v[245:246], v[28:29]
	ds_load_b128 v[28:31], v1 offset:1296
	v_add_f64 v[52:53], v[52:53], v[58:59]
	v_add_f64 v[36:37], v[54:55], v[36:37]
	s_waitcnt vmcnt(8) lgkmcnt(1)
	v_mul_f64 v[54:55], v[42:43], v[20:21]
	v_fma_f64 v[56:57], v[245:246], v[26:27], v[56:57]
	v_fma_f64 v[60:61], v[243:244], v[26:27], -v[60:61]
	ds_load_b128 v[243:246], v1 offset:1344
	s_waitcnt lgkmcnt(1)
	v_mul_f64 v[62:63], v[28:29], v[24:25]
	v_mul_f64 v[64:65], v[30:31], v[24:25]
	scratch_load_b128 v[24:27], off, off offset:416
	v_mul_f64 v[58:59], v[44:45], v[20:21]
	v_fma_f64 v[54:55], v[44:45], v[18:19], v[54:55]
	v_add_f64 v[36:37], v[36:37], v[56:57]
	v_add_f64 v[52:53], v[52:53], v[60:61]
	s_waitcnt vmcnt(7) lgkmcnt(0)
	v_mul_f64 v[60:61], v[245:246], v[8:9]
	v_fma_f64 v[62:63], v[30:31], v[22:23], v[62:63]
	v_fma_f64 v[64:65], v[28:29], v[22:23], -v[64:65]
	scratch_load_b128 v[28:31], off, off offset:432
	ds_load_b128 v[20:23], v1 offset:1328
	v_fma_f64 v[18:19], v[42:43], v[18:19], -v[58:59]
	v_mul_f64 v[58:59], v[243:244], v[8:9]
	scratch_load_b128 v[42:45], off, off offset:448
	s_waitcnt lgkmcnt(0)
	v_mul_f64 v[56:57], v[20:21], v[12:13]
	v_mul_f64 v[12:13], v[22:23], v[12:13]
	v_add_f64 v[36:37], v[36:37], v[62:63]
	v_add_f64 v[52:53], v[52:53], v[64:65]
	s_delay_alu instid0(VALU_DEP_4) | instskip(NEXT) | instid1(VALU_DEP_4)
	v_fma_f64 v[22:23], v[22:23], v[10:11], v[56:57]
	v_fma_f64 v[12:13], v[20:21], v[10:11], -v[12:13]
	ds_load_b128 v[8:11], v1 offset:1360
	v_fma_f64 v[56:57], v[245:246], v[6:7], v[58:59]
	v_fma_f64 v[6:7], v[243:244], v[6:7], -v[60:61]
	scratch_load_b128 v[243:246], off, off offset:480
	v_add_f64 v[36:37], v[36:37], v[54:55]
	v_add_f64 v[52:53], v[52:53], v[18:19]
	scratch_load_b128 v[18:21], off, off offset:464
	v_add_f64 v[22:23], v[36:37], v[22:23]
	v_add_f64 v[12:13], v[52:53], v[12:13]
	s_waitcnt vmcnt(8)
	v_mul_f64 v[36:37], v[247:248], v[181:182]
	v_mul_f64 v[52:53], v[249:250], v[181:182]
	s_delay_alu instid0(VALU_DEP_4) | instskip(NEXT) | instid1(VALU_DEP_4)
	v_add_f64 v[22:23], v[22:23], v[56:57]
	v_add_f64 v[60:61], v[12:13], v[6:7]
	s_delay_alu instid0(VALU_DEP_4) | instskip(NEXT) | instid1(VALU_DEP_4)
	v_fma_f64 v[36:37], v[249:250], v[179:180], v[36:37]
	v_fma_f64 v[52:53], v[247:248], v[179:180], -v[52:53]
	ds_load_b128 v[247:250], v1 offset:1440
	s_waitcnt lgkmcnt(1)
	v_mul_f64 v[54:55], v[8:9], v[16:17]
	v_mul_f64 v[16:17], v[10:11], v[16:17]
	scratch_load_b128 v[179:182], off, off offset:512
	v_fma_f64 v[54:55], v[10:11], v[14:15], v[54:55]
	v_fma_f64 v[58:59], v[8:9], v[14:15], -v[16:17]
	ds_load_b128 v[6:9], v1 offset:1392
	ds_load_b128 v[14:17], v1 offset:1408
	scratch_load_b128 v[10:13], off, off offset:496
	s_waitcnt vmcnt(9) lgkmcnt(1)
	v_mul_f64 v[56:57], v[6:7], v[48:49]
	v_mul_f64 v[48:49], v[8:9], v[48:49]
	v_add_f64 v[22:23], v[22:23], v[54:55]
	v_add_f64 v[58:59], v[60:61], v[58:59]
	s_waitcnt vmcnt(8) lgkmcnt(0)
	v_mul_f64 v[54:55], v[14:15], v[40:41]
	v_mul_f64 v[40:41], v[16:17], v[40:41]
	v_fma_f64 v[56:57], v[8:9], v[46:47], v[56:57]
	v_fma_f64 v[60:61], v[6:7], v[46:47], -v[48:49]
	ds_load_b128 v[6:9], v1 offset:1424
	scratch_load_b128 v[46:49], off, off offset:528
	v_add_f64 v[22:23], v[22:23], v[36:37]
	v_add_f64 v[52:53], v[58:59], v[52:53]
	v_fma_f64 v[54:55], v[16:17], v[38:39], v[54:55]
	v_fma_f64 v[38:39], v[14:15], v[38:39], -v[40:41]
	scratch_load_b128 v[14:17], off, off offset:544
	v_add_f64 v[22:23], v[22:23], v[56:57]
	v_add_f64 v[40:41], v[52:53], v[60:61]
	s_waitcnt vmcnt(8)
	v_mul_f64 v[52:53], v[247:248], v[26:27]
	v_mul_f64 v[26:27], v[249:250], v[26:27]
	s_delay_alu instid0(VALU_DEP_4) | instskip(NEXT) | instid1(VALU_DEP_4)
	v_add_f64 v[22:23], v[22:23], v[54:55]
	v_add_f64 v[40:41], v[40:41], v[38:39]
	s_delay_alu instid0(VALU_DEP_4) | instskip(NEXT) | instid1(VALU_DEP_4)
	v_fma_f64 v[52:53], v[249:250], v[24:25], v[52:53]
	v_fma_f64 v[26:27], v[247:248], v[24:25], -v[26:27]
	ds_load_b128 v[247:250], v1 offset:1504
	s_waitcnt lgkmcnt(1)
	v_mul_f64 v[36:37], v[6:7], v[34:35]
	v_mul_f64 v[34:35], v[8:9], v[34:35]
	s_delay_alu instid0(VALU_DEP_2) | instskip(NEXT) | instid1(VALU_DEP_2)
	v_fma_f64 v[56:57], v[8:9], v[32:33], v[36:37]
	v_fma_f64 v[58:59], v[6:7], v[32:33], -v[34:35]
	scratch_load_b128 v[32:35], off, off offset:560
	ds_load_b128 v[6:9], v1 offset:1456
	ds_load_b128 v[36:39], v1 offset:1472
	s_waitcnt vmcnt(8) lgkmcnt(1)
	v_mul_f64 v[54:55], v[6:7], v[30:31]
	v_mul_f64 v[30:31], v[8:9], v[30:31]
	v_add_f64 v[56:57], v[22:23], v[56:57]
	v_add_f64 v[40:41], v[40:41], v[58:59]
	s_waitcnt vmcnt(7) lgkmcnt(0)
	v_mul_f64 v[58:59], v[36:37], v[44:45]
	v_mul_f64 v[44:45], v[38:39], v[44:45]
	scratch_load_b128 v[22:25], off, off offset:576
	v_fma_f64 v[54:55], v[8:9], v[28:29], v[54:55]
	v_fma_f64 v[30:31], v[6:7], v[28:29], -v[30:31]
	ds_load_b128 v[6:9], v1 offset:1488
	v_add_f64 v[52:53], v[56:57], v[52:53]
	v_add_f64 v[40:41], v[40:41], v[26:27]
	v_fma_f64 v[58:59], v[38:39], v[42:43], v[58:59]
	v_fma_f64 v[42:43], v[36:37], v[42:43], -v[44:45]
	s_clause 0x1
	scratch_load_b128 v[26:29], off, off offset:592
	scratch_load_b128 v[36:39], off, off offset:608
	s_waitcnt vmcnt(9)
	v_mul_f64 v[44:45], v[247:248], v[245:246]
	v_add_f64 v[30:31], v[40:41], v[30:31]
	v_add_f64 v[40:41], v[52:53], v[54:55]
	v_mul_f64 v[52:53], v[249:250], v[245:246]
	s_delay_alu instid0(VALU_DEP_4) | instskip(NEXT) | instid1(VALU_DEP_4)
	v_fma_f64 v[44:45], v[249:250], v[243:244], v[44:45]
	v_add_f64 v[30:31], v[30:31], v[42:43]
	s_delay_alu instid0(VALU_DEP_4)
	v_add_f64 v[58:59], v[40:41], v[58:59]
	ds_load_b128 v[40:43], v1 offset:1536
	s_waitcnt vmcnt(8) lgkmcnt(1)
	v_mul_f64 v[56:57], v[6:7], v[20:21]
	v_mul_f64 v[20:21], v[8:9], v[20:21]
	v_fma_f64 v[52:53], v[247:248], v[243:244], -v[52:53]
	scratch_load_b128 v[243:246], off, off offset:640
	ds_load_b128 v[247:250], v1 offset:1568
	v_fma_f64 v[54:55], v[8:9], v[18:19], v[56:57]
	v_fma_f64 v[56:57], v[6:7], v[18:19], -v[20:21]
	ds_load_b128 v[6:9], v1 offset:1520
	scratch_load_b128 v[18:21], off, off offset:624
	s_waitcnt vmcnt(8) lgkmcnt(0)
	v_mul_f64 v[60:61], v[6:7], v[12:13]
	v_mul_f64 v[12:13], v[8:9], v[12:13]
	v_add_f64 v[54:55], v[58:59], v[54:55]
	v_add_f64 v[30:31], v[30:31], v[56:57]
	v_mul_f64 v[56:57], v[40:41], v[181:182]
	v_mul_f64 v[58:59], v[42:43], v[181:182]
	v_fma_f64 v[60:61], v[8:9], v[10:11], v[60:61]
	v_fma_f64 v[62:63], v[6:7], v[10:11], -v[12:13]
	ds_load_b128 v[6:9], v1 offset:1552
	scratch_load_b128 v[10:13], off, off offset:656
	v_add_f64 v[44:45], v[54:55], v[44:45]
	v_add_f64 v[30:31], v[30:31], v[52:53]
	v_fma_f64 v[54:55], v[42:43], v[179:180], v[56:57]
	v_fma_f64 v[56:57], v[40:41], v[179:180], -v[58:59]
	ds_load_b128 v[179:182], v1 offset:1600
	scratch_load_b128 v[40:43], off, off offset:672
	s_waitcnt vmcnt(9) lgkmcnt(1)
	v_mul_f64 v[52:53], v[6:7], v[48:49]
	v_mul_f64 v[48:49], v[8:9], v[48:49]
	s_waitcnt vmcnt(8)
	v_mul_f64 v[58:59], v[247:248], v[16:17]
	v_mul_f64 v[16:17], v[249:250], v[16:17]
	v_add_f64 v[44:45], v[44:45], v[60:61]
	v_add_f64 v[30:31], v[30:31], v[62:63]
	v_fma_f64 v[52:53], v[8:9], v[46:47], v[52:53]
	v_fma_f64 v[48:49], v[6:7], v[46:47], -v[48:49]
	ds_load_b128 v[6:9], v1 offset:1584
	v_fma_f64 v[58:59], v[249:250], v[14:15], v[58:59]
	v_fma_f64 v[60:61], v[247:248], v[14:15], -v[16:17]
	ds_load_b128 v[247:250], v1 offset:1632
	scratch_load_b128 v[14:17], off, off offset:704
	v_add_f64 v[54:55], v[44:45], v[54:55]
	v_add_f64 v[30:31], v[30:31], v[56:57]
	scratch_load_b128 v[44:47], off, off offset:688
	s_waitcnt vmcnt(9) lgkmcnt(1)
	v_mul_f64 v[56:57], v[6:7], v[34:35]
	v_mul_f64 v[34:35], v[8:9], v[34:35]
	v_add_f64 v[30:31], v[30:31], v[48:49]
	v_add_f64 v[48:49], v[54:55], v[52:53]
	s_waitcnt vmcnt(8)
	v_mul_f64 v[52:53], v[179:180], v[24:25]
	v_mul_f64 v[24:25], v[181:182], v[24:25]
	v_fma_f64 v[54:55], v[8:9], v[32:33], v[56:57]
	v_fma_f64 v[34:35], v[6:7], v[32:33], -v[34:35]
	ds_load_b128 v[6:9], v1 offset:1616
	v_add_f64 v[56:57], v[30:31], v[60:61]
	v_add_f64 v[48:49], v[48:49], v[58:59]
	scratch_load_b128 v[30:33], off, off offset:720
	v_fma_f64 v[52:53], v[181:182], v[22:23], v[52:53]
	v_fma_f64 v[60:61], v[179:180], v[22:23], -v[24:25]
	ds_load_b128 v[179:182], v1 offset:1664
	s_waitcnt vmcnt(8) lgkmcnt(1)
	v_mul_f64 v[58:59], v[6:7], v[28:29]
	v_mul_f64 v[28:29], v[8:9], v[28:29]
	scratch_load_b128 v[22:25], off, off offset:736
	v_add_f64 v[34:35], v[56:57], v[34:35]
	v_add_f64 v[48:49], v[48:49], v[54:55]
	s_waitcnt vmcnt(8)
	v_mul_f64 v[54:55], v[247:248], v[38:39]
	v_mul_f64 v[38:39], v[249:250], v[38:39]
	v_fma_f64 v[56:57], v[8:9], v[26:27], v[58:59]
	v_fma_f64 v[58:59], v[6:7], v[26:27], -v[28:29]
	scratch_load_b128 v[26:29], off, off offset:752
	ds_load_b128 v[6:9], v1 offset:1648
	v_add_f64 v[34:35], v[34:35], v[60:61]
	v_add_f64 v[48:49], v[48:49], v[52:53]
	v_fma_f64 v[54:55], v[249:250], v[36:37], v[54:55]
	v_fma_f64 v[38:39], v[247:248], v[36:37], -v[38:39]
	s_waitcnt vmcnt(8) lgkmcnt(1)
	v_mul_f64 v[60:61], v[181:182], v[245:246]
	ds_load_b128 v[249:252], v1 offset:1728
	v_add_f64 v[58:59], v[34:35], v[58:59]
	v_add_f64 v[48:49], v[48:49], v[56:57]
	v_mul_f64 v[56:57], v[179:180], v[245:246]
	ds_load_b128 v[245:248], v1 offset:1696
	s_waitcnt vmcnt(7) lgkmcnt(2)
	v_mul_f64 v[52:53], v[6:7], v[20:21]
	v_mul_f64 v[20:21], v[8:9], v[20:21]
	scratch_load_b128 v[34:37], off, off offset:768
	v_add_f64 v[38:39], v[58:59], v[38:39]
	v_add_f64 v[48:49], v[48:49], v[54:55]
	v_fma_f64 v[56:57], v[181:182], v[243:244], v[56:57]
	v_fma_f64 v[58:59], v[179:180], v[243:244], -v[60:61]
	v_fma_f64 v[52:53], v[8:9], v[18:19], v[52:53]
	v_fma_f64 v[62:63], v[6:7], v[18:19], -v[20:21]
	scratch_load_b128 v[18:21], off, off offset:784
	ds_load_b128 v[6:9], v1 offset:1680
	scratch_load_b128 v[179:182], off, off offset:800
	s_waitcnt vmcnt(9) lgkmcnt(0)
	v_mul_f64 v[54:55], v[6:7], v[12:13]
	v_mul_f64 v[12:13], v[8:9], v[12:13]
	v_add_f64 v[48:49], v[48:49], v[52:53]
	v_add_f64 v[38:39], v[38:39], v[62:63]
	s_waitcnt vmcnt(8)
	v_mul_f64 v[52:53], v[245:246], v[42:43]
	v_mul_f64 v[42:43], v[247:248], v[42:43]
	v_fma_f64 v[54:55], v[8:9], v[10:11], v[54:55]
	v_fma_f64 v[60:61], v[6:7], v[10:11], -v[12:13]
	scratch_load_b128 v[10:13], off, off offset:816
	ds_load_b128 v[6:9], v1 offset:1712
	v_add_f64 v[48:49], v[48:49], v[56:57]
	v_add_f64 v[38:39], v[38:39], v[58:59]
	v_fma_f64 v[52:53], v[247:248], v[40:41], v[52:53]
	v_fma_f64 v[42:43], v[245:246], v[40:41], -v[42:43]
	ds_load_b128 v[243:246], v1 offset:1792
	s_waitcnt vmcnt(7) lgkmcnt(1)
	v_mul_f64 v[56:57], v[6:7], v[46:47]
	v_mul_f64 v[46:47], v[8:9], v[46:47]
	v_add_f64 v[48:49], v[48:49], v[54:55]
	v_add_f64 v[58:59], v[38:39], v[60:61]
	v_mul_f64 v[54:55], v[249:250], v[16:17]
	v_mul_f64 v[16:17], v[251:252], v[16:17]
	scratch_load_b128 v[38:41], off, off offset:832
	v_fma_f64 v[56:57], v[8:9], v[44:45], v[56:57]
	v_fma_f64 v[60:61], v[6:7], v[44:45], -v[46:47]
	ds_load_b128 v[6:9], v1 offset:1744
	v_add_f64 v[52:53], v[48:49], v[52:53]
	ds_load_b128 v[46:49], v1 offset:1760
	v_add_f64 v[58:59], v[58:59], v[42:43]
	v_fma_f64 v[54:55], v[251:252], v[14:15], v[54:55]
	v_fma_f64 v[64:65], v[249:250], v[14:15], -v[16:17]
	s_clause 0x1
	scratch_load_b128 v[42:45], off, off offset:848
	scratch_load_b128 v[14:17], off, off offset:864
	s_waitcnt vmcnt(9) lgkmcnt(1)
	v_mul_f64 v[62:63], v[6:7], v[32:33]
	v_mul_f64 v[32:33], v[8:9], v[32:33]
	v_add_f64 v[52:53], v[52:53], v[56:57]
	s_waitcnt vmcnt(8) lgkmcnt(0)
	v_mul_f64 v[56:57], v[46:47], v[24:25]
	v_add_f64 v[58:59], v[58:59], v[60:61]
	v_mul_f64 v[24:25], v[48:49], v[24:25]
	v_fma_f64 v[60:61], v[8:9], v[30:31], v[62:63]
	v_fma_f64 v[62:63], v[6:7], v[30:31], -v[32:33]
	scratch_load_b128 v[30:33], off, off offset:880
	ds_load_b128 v[6:9], v1 offset:1776
	v_add_f64 v[52:53], v[52:53], v[54:55]
	v_fma_f64 v[48:49], v[48:49], v[22:23], v[56:57]
	v_add_f64 v[58:59], v[58:59], v[64:65]
	v_fma_f64 v[46:47], v[46:47], v[22:23], -v[24:25]
	scratch_load_b128 v[22:25], off, off offset:896
	v_add_f64 v[52:53], v[52:53], v[60:61]
	v_add_f64 v[56:57], v[58:59], v[62:63]
	s_waitcnt vmcnt(8)
	v_mul_f64 v[58:59], v[243:244], v[36:37]
	v_mul_f64 v[36:37], v[245:246], v[36:37]
	s_delay_alu instid0(VALU_DEP_4) | instskip(NEXT) | instid1(VALU_DEP_4)
	v_add_f64 v[52:53], v[52:53], v[48:49]
	v_add_f64 v[56:57], v[56:57], v[46:47]
	ds_load_b128 v[46:49], v1 offset:1824
	s_waitcnt lgkmcnt(1)
	v_mul_f64 v[54:55], v[6:7], v[28:29]
	v_mul_f64 v[28:29], v[8:9], v[28:29]
	v_fma_f64 v[58:59], v[245:246], v[34:35], v[58:59]
	v_fma_f64 v[64:65], v[243:244], v[34:35], -v[36:37]
	ds_load_b128 v[243:246], v1 offset:1856
	scratch_load_b128 v[34:37], off, off offset:928
	v_fma_f64 v[54:55], v[8:9], v[26:27], v[54:55]
	v_fma_f64 v[60:61], v[6:7], v[26:27], -v[28:29]
	ds_load_b128 v[6:9], v1 offset:1808
	scratch_load_b128 v[26:29], off, off offset:912
	s_waitcnt vmcnt(9) lgkmcnt(0)
	v_mul_f64 v[62:63], v[6:7], v[20:21]
	v_mul_f64 v[20:21], v[8:9], v[20:21]
	v_add_f64 v[52:53], v[52:53], v[54:55]
	v_add_f64 v[56:57], v[56:57], v[60:61]
	s_waitcnt vmcnt(8)
	v_mul_f64 v[54:55], v[46:47], v[181:182]
	v_mul_f64 v[60:61], v[48:49], v[181:182]
	v_fma_f64 v[62:63], v[8:9], v[18:19], v[62:63]
	v_fma_f64 v[66:67], v[6:7], v[18:19], -v[20:21]
	ds_load_b128 v[6:9], v1 offset:1840
	scratch_load_b128 v[18:21], off, off offset:944
	v_add_f64 v[52:53], v[52:53], v[58:59]
	v_add_f64 v[56:57], v[56:57], v[64:65]
	v_fma_f64 v[54:55], v[48:49], v[179:180], v[54:55]
	v_fma_f64 v[60:61], v[46:47], v[179:180], -v[60:61]
	ds_load_b128 v[179:182], v1 offset:1888
	scratch_load_b128 v[46:49], off, off offset:960
	s_waitcnt vmcnt(9) lgkmcnt(1)
	v_mul_f64 v[58:59], v[6:7], v[12:13]
	v_mul_f64 v[12:13], v[8:9], v[12:13]
	v_add_f64 v[52:53], v[52:53], v[62:63]
	v_add_f64 v[56:57], v[56:57], v[66:67]
	s_waitcnt vmcnt(8)
	v_mul_f64 v[62:63], v[243:244], v[40:41]
	v_mul_f64 v[40:41], v[245:246], v[40:41]
	v_fma_f64 v[58:59], v[8:9], v[10:11], v[58:59]
	v_fma_f64 v[64:65], v[6:7], v[10:11], -v[12:13]
	scratch_load_b128 v[10:13], off, off offset:976
	ds_load_b128 v[6:9], v1 offset:1872
	v_add_f64 v[52:53], v[52:53], v[54:55]
	v_add_f64 v[56:57], v[56:57], v[60:61]
	v_fma_f64 v[60:61], v[245:246], v[38:39], v[62:63]
	v_fma_f64 v[62:63], v[243:244], v[38:39], -v[40:41]
	ds_load_b128 v[243:246], v1 offset:1920
	s_waitcnt vmcnt(8) lgkmcnt(1)
	v_mul_f64 v[54:55], v[6:7], v[44:45]
	v_mul_f64 v[44:45], v[8:9], v[44:45]
	scratch_load_b128 v[38:41], off, off offset:992
	v_add_f64 v[52:53], v[52:53], v[58:59]
	v_add_f64 v[56:57], v[56:57], v[64:65]
	s_waitcnt vmcnt(8)
	v_mul_f64 v[58:59], v[179:180], v[16:17]
	v_mul_f64 v[16:17], v[181:182], v[16:17]
	v_fma_f64 v[54:55], v[8:9], v[42:43], v[54:55]
	v_fma_f64 v[64:65], v[6:7], v[42:43], -v[44:45]
	scratch_load_b128 v[42:45], off, off offset:1008
	ds_load_b128 v[6:9], v1 offset:1904
	v_add_f64 v[52:53], v[52:53], v[60:61]
	v_add_f64 v[56:57], v[56:57], v[62:63]
	s_waitcnt vmcnt(8) lgkmcnt(0)
	v_mul_f64 v[60:61], v[6:7], v[32:33]
	v_mul_f64 v[32:33], v[8:9], v[32:33]
	v_fma_f64 v[58:59], v[181:182], v[14:15], v[58:59]
	v_fma_f64 v[14:15], v[179:180], v[14:15], -v[16:17]
	v_add_f64 v[52:53], v[52:53], v[54:55]
	v_add_f64 v[16:17], v[56:57], v[64:65]
	s_waitcnt vmcnt(7)
	v_mul_f64 v[54:55], v[243:244], v[24:25]
	v_mul_f64 v[24:25], v[245:246], v[24:25]
	v_fma_f64 v[56:57], v[8:9], v[30:31], v[60:61]
	v_fma_f64 v[30:31], v[6:7], v[30:31], -v[32:33]
	v_add_f64 v[52:53], v[52:53], v[58:59]
	v_add_f64 v[32:33], v[16:17], v[14:15]
	ds_load_b128 v[6:9], v1 offset:1936
	ds_load_b128 v[14:17], v1 offset:1952
	v_fma_f64 v[54:55], v[245:246], v[22:23], v[54:55]
	v_fma_f64 v[22:23], v[243:244], v[22:23], -v[24:25]
	s_waitcnt vmcnt(5) lgkmcnt(1)
	v_mul_f64 v[58:59], v[6:7], v[28:29]
	v_mul_f64 v[28:29], v[8:9], v[28:29]
	v_add_f64 v[24:25], v[32:33], v[30:31]
	v_add_f64 v[30:31], v[52:53], v[56:57]
	s_waitcnt lgkmcnt(0)
	v_mul_f64 v[32:33], v[14:15], v[36:37]
	v_mul_f64 v[36:37], v[16:17], v[36:37]
	v_fma_f64 v[52:53], v[8:9], v[26:27], v[58:59]
	v_fma_f64 v[26:27], v[6:7], v[26:27], -v[28:29]
	v_add_f64 v[28:29], v[24:25], v[22:23]
	v_add_f64 v[30:31], v[30:31], v[54:55]
	ds_load_b128 v[6:9], v1 offset:1968
	ds_load_b128 v[22:25], v1 offset:1984
	v_fma_f64 v[16:17], v[16:17], v[34:35], v[32:33]
	v_fma_f64 v[14:15], v[14:15], v[34:35], -v[36:37]
	s_waitcnt vmcnt(4) lgkmcnt(1)
	v_mul_f64 v[54:55], v[6:7], v[20:21]
	v_mul_f64 v[20:21], v[8:9], v[20:21]
	s_waitcnt vmcnt(3) lgkmcnt(0)
	v_mul_f64 v[32:33], v[24:25], v[48:49]
	v_add_f64 v[26:27], v[28:29], v[26:27]
	v_add_f64 v[28:29], v[30:31], v[52:53]
	v_mul_f64 v[30:31], v[22:23], v[48:49]
	v_fma_f64 v[34:35], v[8:9], v[18:19], v[54:55]
	v_fma_f64 v[18:19], v[6:7], v[18:19], -v[20:21]
	v_fma_f64 v[22:23], v[22:23], v[46:47], -v[32:33]
	v_add_f64 v[20:21], v[26:27], v[14:15]
	v_add_f64 v[26:27], v[28:29], v[16:17]
	ds_load_b128 v[6:9], v1 offset:2000
	ds_load_b128 v[14:17], v1 offset:2016
	v_fma_f64 v[24:25], v[24:25], v[46:47], v[30:31]
	s_waitcnt vmcnt(2) lgkmcnt(1)
	v_mul_f64 v[28:29], v[6:7], v[12:13]
	v_mul_f64 v[12:13], v[8:9], v[12:13]
	s_waitcnt vmcnt(1) lgkmcnt(0)
	v_mul_f64 v[30:31], v[16:17], v[40:41]
	v_add_f64 v[18:19], v[20:21], v[18:19]
	v_add_f64 v[20:21], v[26:27], v[34:35]
	v_mul_f64 v[26:27], v[14:15], v[40:41]
	v_fma_f64 v[28:29], v[8:9], v[10:11], v[28:29]
	v_fma_f64 v[10:11], v[6:7], v[10:11], -v[12:13]
	ds_load_b128 v[6:9], v1 offset:2032
	v_fma_f64 v[14:15], v[14:15], v[38:39], -v[30:31]
	v_add_f64 v[12:13], v[18:19], v[22:23]
	v_add_f64 v[18:19], v[20:21], v[24:25]
	v_fma_f64 v[16:17], v[16:17], v[38:39], v[26:27]
	s_waitcnt vmcnt(0) lgkmcnt(0)
	v_mul_f64 v[20:21], v[6:7], v[44:45]
	v_mul_f64 v[22:23], v[8:9], v[44:45]
	v_add_f64 v[10:11], v[12:13], v[10:11]
	v_add_f64 v[12:13], v[18:19], v[28:29]
	s_delay_alu instid0(VALU_DEP_4) | instskip(NEXT) | instid1(VALU_DEP_4)
	v_fma_f64 v[8:9], v[8:9], v[42:43], v[20:21]
	v_fma_f64 v[6:7], v[6:7], v[42:43], -v[22:23]
	s_delay_alu instid0(VALU_DEP_4) | instskip(NEXT) | instid1(VALU_DEP_4)
	v_add_f64 v[10:11], v[10:11], v[14:15]
	v_add_f64 v[12:13], v[12:13], v[16:17]
	s_delay_alu instid0(VALU_DEP_2) | instskip(NEXT) | instid1(VALU_DEP_2)
	v_add_f64 v[6:7], v[10:11], v[6:7]
	v_add_f64 v[8:9], v[12:13], v[8:9]
	s_delay_alu instid0(VALU_DEP_2) | instskip(NEXT) | instid1(VALU_DEP_2)
	v_add_f64 v[2:3], v[2:3], -v[6:7]
	v_add_f64 v[4:5], v[4:5], -v[8:9]
	scratch_store_b128 off, v[2:5], off offset:192
	v_cmpx_lt_u32_e32 11, v178
	s_cbranch_execz .LBB127_386
; %bb.385:
	scratch_load_b32 v2, off, off offset:1188 ; 4-byte Folded Reload
	v_mov_b32_e32 v3, v1
	v_mov_b32_e32 v4, v1
	s_waitcnt vmcnt(0)
	scratch_load_b128 v[5:8], v2, off
	v_mov_b32_e32 v2, v1
	scratch_store_b128 off, v[1:4], off offset:176
	s_waitcnt vmcnt(0)
	ds_store_b128 v255, v[5:8]
.LBB127_386:
	s_or_b32 exec_lo, exec_lo, s2
	s_waitcnt lgkmcnt(0)
	s_waitcnt_vscnt null, 0x0
	s_barrier
	buffer_gl0_inv
	s_clause 0x8
	scratch_load_b128 v[34:37], off, off offset:192
	scratch_load_b128 v[38:41], off, off offset:208
	;; [unrolled: 1-line block ×9, first 2 shown]
	ds_load_b128 v[46:49], v1 offset:1216
	ds_load_b128 v[42:45], v1 offset:1232
	s_clause 0x1
	scratch_load_b128 v[2:5], off, off offset:176
	scratch_load_b128 v[179:182], off, off offset:336
	s_mov_b32 s2, exec_lo
	ds_load_b128 v[243:246], v1 offset:1264
	ds_load_b128 v[247:250], v1 offset:1392
	s_waitcnt vmcnt(10) lgkmcnt(3)
	v_mul_f64 v[52:53], v[48:49], v[36:37]
	v_mul_f64 v[36:37], v[46:47], v[36:37]
	s_waitcnt vmcnt(9) lgkmcnt(2)
	v_mul_f64 v[54:55], v[42:43], v[40:41]
	v_mul_f64 v[40:41], v[44:45], v[40:41]
	s_waitcnt vmcnt(7) lgkmcnt(1)
	v_mul_f64 v[60:61], v[245:246], v[28:29]
	v_fma_f64 v[52:53], v[46:47], v[34:35], -v[52:53]
	v_fma_f64 v[56:57], v[48:49], v[34:35], v[36:37]
	ds_load_b128 v[34:37], v1 offset:1248
	scratch_load_b128 v[46:49], off, off offset:352
	v_fma_f64 v[44:45], v[44:45], v[38:39], v[54:55]
	v_fma_f64 v[42:43], v[42:43], v[38:39], -v[40:41]
	scratch_load_b128 v[38:41], off, off offset:368
	v_fma_f64 v[60:61], v[243:244], v[26:27], -v[60:61]
	s_waitcnt lgkmcnt(0)
	v_mul_f64 v[58:59], v[34:35], v[32:33]
	v_mul_f64 v[32:33], v[36:37], v[32:33]
	v_add_f64 v[52:53], v[52:53], 0
	v_add_f64 v[54:55], v[56:57], 0
	v_mul_f64 v[56:57], v[243:244], v[28:29]
	v_fma_f64 v[36:37], v[36:37], v[30:31], v[58:59]
	v_fma_f64 v[58:59], v[34:35], v[30:31], -v[32:33]
	ds_load_b128 v[28:31], v1 offset:1280
	scratch_load_b128 v[32:35], off, off offset:384
	v_add_f64 v[52:53], v[52:53], v[42:43]
	v_add_f64 v[54:55], v[54:55], v[44:45]
	ds_load_b128 v[42:45], v1 offset:1296
	v_fma_f64 v[56:57], v[245:246], v[26:27], v[56:57]
	ds_load_b128 v[243:246], v1 offset:1328
	s_waitcnt vmcnt(9) lgkmcnt(2)
	v_mul_f64 v[62:63], v[28:29], v[24:25]
	v_mul_f64 v[64:65], v[30:31], v[24:25]
	scratch_load_b128 v[24:27], off, off offset:400
	v_add_f64 v[52:53], v[52:53], v[58:59]
	v_add_f64 v[36:37], v[54:55], v[36:37]
	s_waitcnt vmcnt(9) lgkmcnt(1)
	v_mul_f64 v[54:55], v[42:43], v[20:21]
	v_mul_f64 v[58:59], v[44:45], v[20:21]
	v_fma_f64 v[62:63], v[30:31], v[22:23], v[62:63]
	v_fma_f64 v[64:65], v[28:29], v[22:23], -v[64:65]
	ds_load_b128 v[20:23], v1 offset:1312
	scratch_load_b128 v[28:31], off, off offset:416
	v_add_f64 v[52:53], v[52:53], v[60:61]
	v_add_f64 v[36:37], v[36:37], v[56:57]
	s_waitcnt vmcnt(9) lgkmcnt(0)
	v_mul_f64 v[56:57], v[20:21], v[16:17]
	v_mul_f64 v[60:61], v[22:23], v[16:17]
	v_fma_f64 v[44:45], v[44:45], v[18:19], v[54:55]
	v_fma_f64 v[42:43], v[42:43], v[18:19], -v[58:59]
	scratch_load_b128 v[16:19], off, off offset:432
	s_waitcnt vmcnt(9)
	v_mul_f64 v[54:55], v[243:244], v[12:13]
	v_mul_f64 v[58:59], v[245:246], v[12:13]
	v_add_f64 v[52:53], v[52:53], v[64:65]
	v_add_f64 v[36:37], v[36:37], v[62:63]
	v_fma_f64 v[56:57], v[22:23], v[14:15], v[56:57]
	v_fma_f64 v[60:61], v[20:21], v[14:15], -v[60:61]
	ds_load_b128 v[12:15], v1 offset:1344
	scratch_load_b128 v[20:23], off, off offset:448
	v_fma_f64 v[54:55], v[245:246], v[10:11], v[54:55]
	v_fma_f64 v[58:59], v[243:244], v[10:11], -v[58:59]
	scratch_load_b128 v[243:246], off, off offset:480
	v_add_f64 v[52:53], v[52:53], v[42:43]
	v_add_f64 v[36:37], v[36:37], v[44:45]
	ds_load_b128 v[42:45], v1 offset:1360
	s_waitcnt vmcnt(10) lgkmcnt(1)
	v_mul_f64 v[62:63], v[12:13], v[8:9]
	v_mul_f64 v[64:65], v[14:15], v[8:9]
	scratch_load_b128 v[8:11], off, off offset:464
	v_add_f64 v[52:53], v[52:53], v[60:61]
	v_add_f64 v[36:37], v[36:37], v[56:57]
	s_waitcnt vmcnt(9) lgkmcnt(0)
	v_mul_f64 v[56:57], v[42:43], v[181:182]
	v_mul_f64 v[60:61], v[44:45], v[181:182]
	v_fma_f64 v[62:63], v[14:15], v[6:7], v[62:63]
	v_fma_f64 v[6:7], v[12:13], v[6:7], -v[64:65]
	ds_load_b128 v[12:15], v1 offset:1376
	v_add_f64 v[52:53], v[52:53], v[58:59]
	v_add_f64 v[36:37], v[36:37], v[54:55]
	v_fma_f64 v[56:57], v[44:45], v[179:180], v[56:57]
	v_fma_f64 v[58:59], v[42:43], v[179:180], -v[60:61]
	scratch_load_b128 v[42:45], off, off offset:496
	ds_load_b128 v[179:182], v1 offset:1424
	s_waitcnt vmcnt(9) lgkmcnt(1)
	v_mul_f64 v[54:55], v[12:13], v[48:49]
	v_mul_f64 v[48:49], v[14:15], v[48:49]
	v_add_f64 v[6:7], v[52:53], v[6:7]
	v_add_f64 v[36:37], v[36:37], v[62:63]
	s_waitcnt vmcnt(8)
	v_mul_f64 v[52:53], v[247:248], v[40:41]
	v_mul_f64 v[40:41], v[249:250], v[40:41]
	v_fma_f64 v[54:55], v[14:15], v[46:47], v[54:55]
	v_fma_f64 v[60:61], v[12:13], v[46:47], -v[48:49]
	ds_load_b128 v[12:15], v1 offset:1408
	scratch_load_b128 v[46:49], off, off offset:512
	v_add_f64 v[6:7], v[6:7], v[58:59]
	v_add_f64 v[36:37], v[36:37], v[56:57]
	v_fma_f64 v[52:53], v[249:250], v[38:39], v[52:53]
	s_waitcnt vmcnt(8) lgkmcnt(0)
	v_mul_f64 v[56:57], v[12:13], v[34:35]
	v_mul_f64 v[58:59], v[14:15], v[34:35]
	v_fma_f64 v[38:39], v[247:248], v[38:39], -v[40:41]
	ds_load_b128 v[247:250], v1 offset:1456
	v_add_f64 v[6:7], v[6:7], v[60:61]
	v_add_f64 v[40:41], v[36:37], v[54:55]
	scratch_load_b128 v[34:37], off, off offset:528
	s_waitcnt vmcnt(8)
	v_mul_f64 v[54:55], v[179:180], v[26:27]
	v_mul_f64 v[26:27], v[181:182], v[26:27]
	v_fma_f64 v[56:57], v[14:15], v[32:33], v[56:57]
	v_fma_f64 v[32:33], v[12:13], v[32:33], -v[58:59]
	ds_load_b128 v[12:15], v1 offset:1440
	s_waitcnt vmcnt(7) lgkmcnt(0)
	v_mul_f64 v[58:59], v[12:13], v[30:31]
	v_mul_f64 v[30:31], v[14:15], v[30:31]
	v_add_f64 v[6:7], v[6:7], v[38:39]
	v_add_f64 v[52:53], v[40:41], v[52:53]
	scratch_load_b128 v[38:41], off, off offset:544
	v_fma_f64 v[54:55], v[181:182], v[24:25], v[54:55]
	v_fma_f64 v[60:61], v[179:180], v[24:25], -v[26:27]
	scratch_load_b128 v[24:27], off, off offset:560
	ds_load_b128 v[179:182], v1 offset:1488
	v_add_f64 v[6:7], v[6:7], v[32:33]
	v_add_f64 v[32:33], v[52:53], v[56:57]
	s_waitcnt vmcnt(8)
	v_mul_f64 v[52:53], v[247:248], v[18:19]
	v_mul_f64 v[18:19], v[249:250], v[18:19]
	v_fma_f64 v[56:57], v[14:15], v[28:29], v[58:59]
	v_fma_f64 v[58:59], v[12:13], v[28:29], -v[30:31]
	ds_load_b128 v[12:15], v1 offset:1472
	scratch_load_b128 v[28:31], off, off offset:576
	v_add_f64 v[6:7], v[6:7], v[60:61]
	v_add_f64 v[32:33], v[32:33], v[54:55]
	s_waitcnt vmcnt(8) lgkmcnt(0)
	v_mul_f64 v[54:55], v[12:13], v[22:23]
	v_mul_f64 v[22:23], v[14:15], v[22:23]
	v_fma_f64 v[52:53], v[249:250], v[16:17], v[52:53]
	v_fma_f64 v[60:61], v[247:248], v[16:17], -v[18:19]
	scratch_load_b128 v[16:19], off, off offset:592
	ds_load_b128 v[247:250], v1 offset:1520
	v_add_f64 v[6:7], v[6:7], v[58:59]
	v_add_f64 v[32:33], v[32:33], v[56:57]
	s_waitcnt vmcnt(7)
	v_mul_f64 v[56:57], v[179:180], v[10:11]
	v_mul_f64 v[58:59], v[181:182], v[10:11]
	v_fma_f64 v[14:15], v[14:15], v[20:21], v[54:55]
	v_fma_f64 v[54:55], v[12:13], v[20:21], -v[22:23]
	ds_load_b128 v[10:13], v1 offset:1504
	scratch_load_b128 v[20:23], off, off offset:608
	v_add_f64 v[6:7], v[6:7], v[60:61]
	v_add_f64 v[32:33], v[32:33], v[52:53]
	s_waitcnt lgkmcnt(0)
	v_mul_f64 v[52:53], v[10:11], v[245:246]
	v_mul_f64 v[60:61], v[12:13], v[245:246]
	v_fma_f64 v[56:57], v[181:182], v[8:9], v[56:57]
	v_fma_f64 v[58:59], v[179:180], v[8:9], -v[58:59]
	scratch_load_b128 v[179:182], off, off offset:640
	v_add_f64 v[54:55], v[6:7], v[54:55]
	v_add_f64 v[14:15], v[32:33], v[14:15]
	scratch_load_b128 v[6:9], off, off offset:624
	s_waitcnt vmcnt(9)
	v_mul_f64 v[32:33], v[247:248], v[44:45]
	v_mul_f64 v[44:45], v[249:250], v[44:45]
	v_fma_f64 v[52:53], v[12:13], v[243:244], v[52:53]
	v_fma_f64 v[60:61], v[10:11], v[243:244], -v[60:61]
	ds_load_b128 v[10:13], v1 offset:1536
	ds_load_b128 v[243:246], v1 offset:1552
	v_add_f64 v[54:55], v[54:55], v[58:59]
	v_add_f64 v[14:15], v[14:15], v[56:57]
	s_waitcnt vmcnt(8) lgkmcnt(1)
	v_mul_f64 v[56:57], v[10:11], v[48:49]
	v_mul_f64 v[48:49], v[12:13], v[48:49]
	v_fma_f64 v[32:33], v[249:250], v[42:43], v[32:33]
	v_fma_f64 v[58:59], v[247:248], v[42:43], -v[44:45]
	scratch_load_b128 v[42:45], off, off offset:656
	ds_load_b128 v[247:250], v1 offset:1584
	v_add_f64 v[54:55], v[54:55], v[60:61]
	v_add_f64 v[14:15], v[14:15], v[52:53]
	v_fma_f64 v[56:57], v[12:13], v[46:47], v[56:57]
	v_fma_f64 v[60:61], v[10:11], v[46:47], -v[48:49]
	ds_load_b128 v[10:13], v1 offset:1568
	scratch_load_b128 v[46:49], off, off offset:672
	s_waitcnt vmcnt(9) lgkmcnt(2)
	v_mul_f64 v[52:53], v[243:244], v[36:37]
	v_mul_f64 v[36:37], v[245:246], v[36:37]
	v_add_f64 v[54:55], v[54:55], v[58:59]
	v_add_f64 v[14:15], v[14:15], v[32:33]
	s_waitcnt vmcnt(8) lgkmcnt(0)
	v_mul_f64 v[58:59], v[10:11], v[40:41]
	v_mul_f64 v[40:41], v[12:13], v[40:41]
	v_fma_f64 v[52:53], v[245:246], v[34:35], v[52:53]
	v_fma_f64 v[36:37], v[243:244], v[34:35], -v[36:37]
	scratch_load_b128 v[32:35], off, off offset:688
	ds_load_b128 v[243:246], v1 offset:1616
	v_add_f64 v[54:55], v[54:55], v[60:61]
	v_add_f64 v[14:15], v[14:15], v[56:57]
	s_waitcnt vmcnt(8)
	v_mul_f64 v[56:57], v[247:248], v[26:27]
	v_mul_f64 v[26:27], v[249:250], v[26:27]
	v_fma_f64 v[58:59], v[12:13], v[38:39], v[58:59]
	v_fma_f64 v[40:41], v[10:11], v[38:39], -v[40:41]
	ds_load_b128 v[10:13], v1 offset:1600
	v_add_f64 v[54:55], v[54:55], v[36:37]
	v_add_f64 v[14:15], v[14:15], v[52:53]
	scratch_load_b128 v[36:39], off, off offset:704
	s_waitcnt vmcnt(8) lgkmcnt(0)
	v_mul_f64 v[52:53], v[10:11], v[30:31]
	v_mul_f64 v[30:31], v[12:13], v[30:31]
	v_fma_f64 v[56:57], v[249:250], v[24:25], v[56:57]
	v_fma_f64 v[60:61], v[247:248], v[24:25], -v[26:27]
	scratch_load_b128 v[24:27], off, off offset:720
	ds_load_b128 v[247:250], v1 offset:1648
	v_add_f64 v[40:41], v[54:55], v[40:41]
	v_add_f64 v[14:15], v[14:15], v[58:59]
	s_waitcnt vmcnt(8)
	v_mul_f64 v[54:55], v[243:244], v[18:19]
	v_mul_f64 v[18:19], v[245:246], v[18:19]
	v_fma_f64 v[52:53], v[12:13], v[28:29], v[52:53]
	v_fma_f64 v[58:59], v[10:11], v[28:29], -v[30:31]
	ds_load_b128 v[10:13], v1 offset:1632
	scratch_load_b128 v[28:31], off, off offset:736
	v_add_f64 v[40:41], v[40:41], v[60:61]
	v_add_f64 v[14:15], v[14:15], v[56:57]
	s_waitcnt vmcnt(8) lgkmcnt(0)
	v_mul_f64 v[56:57], v[10:11], v[22:23]
	v_mul_f64 v[22:23], v[12:13], v[22:23]
	v_fma_f64 v[54:55], v[245:246], v[16:17], v[54:55]
	v_fma_f64 v[18:19], v[243:244], v[16:17], -v[18:19]
	ds_load_b128 v[243:246], v1 offset:1680
	v_add_f64 v[40:41], v[40:41], v[58:59]
	v_add_f64 v[52:53], v[14:15], v[52:53]
	scratch_load_b128 v[14:17], off, off offset:752
	v_fma_f64 v[12:13], v[12:13], v[20:21], v[56:57]
	v_fma_f64 v[22:23], v[10:11], v[20:21], -v[22:23]
	s_waitcnt vmcnt(7)
	v_mul_f64 v[58:59], v[247:248], v[8:9]
	v_mul_f64 v[60:61], v[249:250], v[8:9]
	ds_load_b128 v[8:11], v1 offset:1664
	v_add_f64 v[40:41], v[40:41], v[18:19]
	v_add_f64 v[52:53], v[52:53], v[54:55]
	scratch_load_b128 v[18:21], off, off offset:768
	s_waitcnt lgkmcnt(0)
	v_mul_f64 v[54:55], v[8:9], v[181:182]
	v_mul_f64 v[56:57], v[10:11], v[181:182]
	v_fma_f64 v[58:59], v[249:250], v[6:7], v[58:59]
	v_fma_f64 v[6:7], v[247:248], v[6:7], -v[60:61]
	scratch_load_b128 v[247:250], off, off offset:784
	v_add_f64 v[22:23], v[40:41], v[22:23]
	v_add_f64 v[12:13], v[52:53], v[12:13]
	s_waitcnt vmcnt(8)
	v_mul_f64 v[40:41], v[243:244], v[44:45]
	v_mul_f64 v[44:45], v[245:246], v[44:45]
	v_fma_f64 v[52:53], v[10:11], v[179:180], v[54:55]
	v_fma_f64 v[54:55], v[8:9], v[179:180], -v[56:57]
	ds_load_b128 v[179:182], v1 offset:1712
	v_add_f64 v[22:23], v[22:23], v[6:7]
	v_add_f64 v[56:57], v[12:13], v[58:59]
	ds_load_b128 v[6:9], v1 offset:1696
	scratch_load_b128 v[10:13], off, off offset:800
	v_fma_f64 v[60:61], v[245:246], v[42:43], v[40:41]
	v_fma_f64 v[44:45], v[243:244], v[42:43], -v[44:45]
	scratch_load_b128 v[40:43], off, off offset:816
	ds_load_b128 v[243:246], v1 offset:1744
	s_waitcnt vmcnt(9) lgkmcnt(1)
	v_mul_f64 v[58:59], v[6:7], v[48:49]
	v_mul_f64 v[48:49], v[8:9], v[48:49]
	v_add_f64 v[22:23], v[22:23], v[54:55]
	v_add_f64 v[52:53], v[56:57], v[52:53]
	s_waitcnt vmcnt(8)
	v_mul_f64 v[54:55], v[179:180], v[34:35]
	v_mul_f64 v[34:35], v[181:182], v[34:35]
	v_fma_f64 v[56:57], v[8:9], v[46:47], v[58:59]
	v_fma_f64 v[48:49], v[6:7], v[46:47], -v[48:49]
	ds_load_b128 v[6:9], v1 offset:1728
	v_add_f64 v[22:23], v[22:23], v[44:45]
	v_add_f64 v[52:53], v[52:53], v[60:61]
	scratch_load_b128 v[44:47], off, off offset:832
	v_fma_f64 v[54:55], v[181:182], v[32:33], v[54:55]
	v_fma_f64 v[60:61], v[179:180], v[32:33], -v[34:35]
	scratch_load_b128 v[32:35], off, off offset:848
	ds_load_b128 v[179:182], v1 offset:1776
	s_waitcnt vmcnt(9) lgkmcnt(1)
	v_mul_f64 v[58:59], v[6:7], v[38:39]
	v_mul_f64 v[38:39], v[8:9], v[38:39]
	v_add_f64 v[22:23], v[22:23], v[48:49]
	v_add_f64 v[48:49], v[52:53], v[56:57]
	s_waitcnt vmcnt(8)
	v_mul_f64 v[52:53], v[243:244], v[26:27]
	v_mul_f64 v[26:27], v[245:246], v[26:27]
	v_fma_f64 v[56:57], v[8:9], v[36:37], v[58:59]
	v_fma_f64 v[58:59], v[6:7], v[36:37], -v[38:39]
	ds_load_b128 v[6:9], v1 offset:1760
	scratch_load_b128 v[36:39], off, off offset:864
	v_add_f64 v[22:23], v[22:23], v[60:61]
	v_add_f64 v[48:49], v[48:49], v[54:55]
	s_waitcnt vmcnt(8) lgkmcnt(0)
	v_mul_f64 v[54:55], v[6:7], v[30:31]
	v_mul_f64 v[30:31], v[8:9], v[30:31]
	v_fma_f64 v[52:53], v[245:246], v[24:25], v[52:53]
	v_fma_f64 v[26:27], v[243:244], v[24:25], -v[26:27]
	ds_load_b128 v[243:246], v1 offset:1808
	v_add_f64 v[58:59], v[22:23], v[58:59]
	scratch_load_b128 v[22:25], off, off offset:880
	v_add_f64 v[48:49], v[48:49], v[56:57]
	v_fma_f64 v[54:55], v[8:9], v[28:29], v[54:55]
	v_fma_f64 v[30:31], v[6:7], v[28:29], -v[30:31]
	ds_load_b128 v[6:9], v1 offset:1792
	s_waitcnt vmcnt(8)
	v_mul_f64 v[56:57], v[179:180], v[16:17]
	v_mul_f64 v[16:17], v[181:182], v[16:17]
	v_add_f64 v[58:59], v[58:59], v[26:27]
	scratch_load_b128 v[26:29], off, off offset:896
	v_add_f64 v[48:49], v[48:49], v[52:53]
	s_waitcnt vmcnt(8) lgkmcnt(0)
	v_mul_f64 v[52:53], v[6:7], v[20:21]
	v_mul_f64 v[20:21], v[8:9], v[20:21]
	v_fma_f64 v[56:57], v[181:182], v[14:15], v[56:57]
	v_fma_f64 v[60:61], v[179:180], v[14:15], -v[16:17]
	scratch_load_b128 v[14:17], off, off offset:912
	ds_load_b128 v[179:182], v1 offset:1840
	v_add_f64 v[30:31], v[58:59], v[30:31]
	s_waitcnt vmcnt(8)
	v_mul_f64 v[58:59], v[245:246], v[249:250]
	v_add_f64 v[48:49], v[48:49], v[54:55]
	v_mul_f64 v[54:55], v[243:244], v[249:250]
	v_fma_f64 v[52:53], v[8:9], v[18:19], v[52:53]
	v_fma_f64 v[62:63], v[6:7], v[18:19], -v[20:21]
	ds_load_b128 v[6:9], v1 offset:1824
	scratch_load_b128 v[18:21], off, off offset:928
	v_add_f64 v[30:31], v[30:31], v[60:61]
	v_fma_f64 v[58:59], v[243:244], v[247:248], -v[58:59]
	v_add_f64 v[48:49], v[48:49], v[56:57]
	v_fma_f64 v[54:55], v[245:246], v[247:248], v[54:55]
	scratch_load_b128 v[243:246], off, off offset:944
	ds_load_b128 v[247:250], v1 offset:1872
	s_waitcnt vmcnt(9) lgkmcnt(1)
	v_mul_f64 v[56:57], v[6:7], v[12:13]
	v_mul_f64 v[12:13], v[8:9], v[12:13]
	v_add_f64 v[30:31], v[30:31], v[62:63]
	v_add_f64 v[48:49], v[48:49], v[52:53]
	s_waitcnt vmcnt(8)
	v_mul_f64 v[52:53], v[179:180], v[42:43]
	v_mul_f64 v[42:43], v[181:182], v[42:43]
	v_fma_f64 v[56:57], v[8:9], v[10:11], v[56:57]
	v_fma_f64 v[60:61], v[6:7], v[10:11], -v[12:13]
	ds_load_b128 v[6:9], v1 offset:1856
	scratch_load_b128 v[10:13], off, off offset:960
	v_add_f64 v[30:31], v[30:31], v[58:59]
	v_add_f64 v[48:49], v[48:49], v[54:55]
	v_fma_f64 v[52:53], v[181:182], v[40:41], v[52:53]
	v_fma_f64 v[58:59], v[179:180], v[40:41], -v[42:43]
	scratch_load_b128 v[40:43], off, off offset:976
	ds_load_b128 v[179:182], v1 offset:1904
	s_waitcnt vmcnt(9) lgkmcnt(1)
	v_mul_f64 v[54:55], v[6:7], v[46:47]
	v_mul_f64 v[46:47], v[8:9], v[46:47]
	v_add_f64 v[30:31], v[30:31], v[60:61]
	v_add_f64 v[48:49], v[48:49], v[56:57]
	s_waitcnt vmcnt(8)
	v_mul_f64 v[56:57], v[247:248], v[34:35]
	v_mul_f64 v[34:35], v[249:250], v[34:35]
	v_fma_f64 v[54:55], v[8:9], v[44:45], v[54:55]
	v_fma_f64 v[60:61], v[6:7], v[44:45], -v[46:47]
	ds_load_b128 v[6:9], v1 offset:1888
	scratch_load_b128 v[44:47], off, off offset:992
	v_add_f64 v[30:31], v[30:31], v[58:59]
	v_add_f64 v[48:49], v[48:49], v[52:53]
	s_waitcnt vmcnt(8) lgkmcnt(0)
	v_mul_f64 v[52:53], v[6:7], v[38:39]
	v_mul_f64 v[38:39], v[8:9], v[38:39]
	v_fma_f64 v[56:57], v[249:250], v[32:33], v[56:57]
	v_fma_f64 v[34:35], v[247:248], v[32:33], -v[34:35]
	v_add_f64 v[58:59], v[30:31], v[60:61]
	scratch_load_b128 v[30:33], off, off offset:1008
	v_add_f64 v[48:49], v[48:49], v[54:55]
	v_fma_f64 v[52:53], v[8:9], v[36:37], v[52:53]
	v_fma_f64 v[38:39], v[6:7], v[36:37], -v[38:39]
	s_waitcnt vmcnt(8)
	v_mul_f64 v[54:55], v[179:180], v[24:25]
	v_mul_f64 v[24:25], v[181:182], v[24:25]
	v_add_f64 v[58:59], v[58:59], v[34:35]
	ds_load_b128 v[6:9], v1 offset:1920
	ds_load_b128 v[34:37], v1 offset:1936
	v_add_f64 v[48:49], v[48:49], v[56:57]
	v_fma_f64 v[54:55], v[181:182], v[22:23], v[54:55]
	v_fma_f64 v[22:23], v[179:180], v[22:23], -v[24:25]
	s_waitcnt vmcnt(7) lgkmcnt(1)
	v_mul_f64 v[56:57], v[6:7], v[28:29]
	v_mul_f64 v[28:29], v[8:9], v[28:29]
	v_add_f64 v[24:25], v[58:59], v[38:39]
	v_add_f64 v[38:39], v[48:49], v[52:53]
	s_waitcnt vmcnt(6) lgkmcnt(0)
	v_mul_f64 v[48:49], v[34:35], v[16:17]
	v_mul_f64 v[16:17], v[36:37], v[16:17]
	v_fma_f64 v[52:53], v[8:9], v[26:27], v[56:57]
	v_fma_f64 v[26:27], v[6:7], v[26:27], -v[28:29]
	v_add_f64 v[28:29], v[24:25], v[22:23]
	ds_load_b128 v[6:9], v1 offset:1952
	ds_load_b128 v[22:25], v1 offset:1968
	v_add_f64 v[38:39], v[38:39], v[54:55]
	v_fma_f64 v[36:37], v[36:37], v[14:15], v[48:49]
	v_fma_f64 v[14:15], v[34:35], v[14:15], -v[16:17]
	s_waitcnt vmcnt(5) lgkmcnt(1)
	v_mul_f64 v[54:55], v[6:7], v[20:21]
	v_mul_f64 v[20:21], v[8:9], v[20:21]
	s_waitcnt vmcnt(4) lgkmcnt(0)
	v_mul_f64 v[34:35], v[24:25], v[245:246]
	v_add_f64 v[16:17], v[28:29], v[26:27]
	v_mul_f64 v[28:29], v[22:23], v[245:246]
	v_add_f64 v[26:27], v[38:39], v[52:53]
	v_fma_f64 v[38:39], v[8:9], v[18:19], v[54:55]
	v_fma_f64 v[18:19], v[6:7], v[18:19], -v[20:21]
	v_fma_f64 v[22:23], v[22:23], v[243:244], -v[34:35]
	v_add_f64 v[20:21], v[16:17], v[14:15]
	ds_load_b128 v[6:9], v1 offset:1984
	ds_load_b128 v[14:17], v1 offset:2000
	v_add_f64 v[26:27], v[26:27], v[36:37]
	v_fma_f64 v[24:25], v[24:25], v[243:244], v[28:29]
	s_waitcnt vmcnt(3) lgkmcnt(1)
	v_mul_f64 v[36:37], v[6:7], v[12:13]
	v_mul_f64 v[12:13], v[8:9], v[12:13]
	s_waitcnt vmcnt(2) lgkmcnt(0)
	v_mul_f64 v[28:29], v[16:17], v[42:43]
	v_add_f64 v[18:19], v[20:21], v[18:19]
	v_add_f64 v[20:21], v[26:27], v[38:39]
	v_mul_f64 v[26:27], v[14:15], v[42:43]
	v_fma_f64 v[34:35], v[8:9], v[10:11], v[36:37]
	v_fma_f64 v[36:37], v[6:7], v[10:11], -v[12:13]
	ds_load_b128 v[6:9], v1 offset:2016
	ds_load_b128 v[10:13], v1 offset:2032
	v_fma_f64 v[14:15], v[14:15], v[40:41], -v[28:29]
	v_add_f64 v[18:19], v[18:19], v[22:23]
	v_add_f64 v[20:21], v[20:21], v[24:25]
	s_waitcnt vmcnt(1) lgkmcnt(1)
	v_mul_f64 v[22:23], v[6:7], v[46:47]
	v_mul_f64 v[24:25], v[8:9], v[46:47]
	v_fma_f64 v[16:17], v[16:17], v[40:41], v[26:27]
	v_add_f64 v[18:19], v[18:19], v[36:37]
	v_add_f64 v[20:21], v[20:21], v[34:35]
	v_fma_f64 v[8:9], v[8:9], v[44:45], v[22:23]
	v_fma_f64 v[6:7], v[6:7], v[44:45], -v[24:25]
	s_waitcnt vmcnt(0) lgkmcnt(0)
	v_mul_f64 v[26:27], v[10:11], v[32:33]
	v_mul_f64 v[28:29], v[12:13], v[32:33]
	v_add_f64 v[14:15], v[18:19], v[14:15]
	v_add_f64 v[16:17], v[20:21], v[16:17]
	s_delay_alu instid0(VALU_DEP_4) | instskip(NEXT) | instid1(VALU_DEP_4)
	v_fma_f64 v[12:13], v[12:13], v[30:31], v[26:27]
	v_fma_f64 v[10:11], v[10:11], v[30:31], -v[28:29]
	s_delay_alu instid0(VALU_DEP_4) | instskip(NEXT) | instid1(VALU_DEP_4)
	v_add_f64 v[6:7], v[14:15], v[6:7]
	v_add_f64 v[8:9], v[16:17], v[8:9]
	s_delay_alu instid0(VALU_DEP_2) | instskip(NEXT) | instid1(VALU_DEP_2)
	v_add_f64 v[6:7], v[6:7], v[10:11]
	v_add_f64 v[8:9], v[8:9], v[12:13]
	s_delay_alu instid0(VALU_DEP_2) | instskip(NEXT) | instid1(VALU_DEP_2)
	v_add_f64 v[1:2], v[2:3], -v[6:7]
	v_add_f64 v[3:4], v[4:5], -v[8:9]
	scratch_store_b128 off, v[1:4], off offset:176
	v_cmpx_lt_u32_e32 10, v178
	s_cbranch_execz .LBB127_388
; %bb.387:
	scratch_load_b32 v1, off, off offset:1192 ; 4-byte Folded Reload
	v_mov_b32_e32 v5, 0
	s_delay_alu instid0(VALU_DEP_1)
	v_mov_b32_e32 v6, v5
	v_mov_b32_e32 v7, v5
	;; [unrolled: 1-line block ×3, first 2 shown]
	s_waitcnt vmcnt(0)
	scratch_load_b128 v[1:4], v1, off
	scratch_store_b128 off, v[5:8], off offset:160
	s_waitcnt vmcnt(0)
	ds_store_b128 v255, v[1:4]
.LBB127_388:
	s_or_b32 exec_lo, exec_lo, s2
	s_waitcnt lgkmcnt(0)
	s_waitcnt_vscnt null, 0x0
	s_barrier
	buffer_gl0_inv
	s_clause 0x7
	scratch_load_b128 v[34:37], off, off offset:176
	scratch_load_b128 v[38:41], off, off offset:192
	;; [unrolled: 1-line block ×8, first 2 shown]
	v_mov_b32_e32 v1, 0
	s_mov_b32 s2, exec_lo
	ds_load_b128 v[46:49], v1 offset:1200
	s_clause 0x2
	scratch_load_b128 v[14:17], off, off offset:304
	scratch_load_b128 v[2:5], off, off offset:160
	;; [unrolled: 1-line block ×3, first 2 shown]
	ds_load_b128 v[42:45], v1 offset:1216
	ds_load_b128 v[243:246], v1 offset:1248
	;; [unrolled: 1-line block ×3, first 2 shown]
	s_waitcnt vmcnt(10) lgkmcnt(3)
	v_mul_f64 v[52:53], v[48:49], v[36:37]
	v_mul_f64 v[36:37], v[46:47], v[36:37]
	s_delay_alu instid0(VALU_DEP_2) | instskip(NEXT) | instid1(VALU_DEP_2)
	v_fma_f64 v[52:53], v[46:47], v[34:35], -v[52:53]
	v_fma_f64 v[56:57], v[48:49], v[34:35], v[36:37]
	ds_load_b128 v[34:37], v1 offset:1232
	s_waitcnt vmcnt(9) lgkmcnt(3)
	v_mul_f64 v[54:55], v[42:43], v[40:41]
	v_mul_f64 v[40:41], v[44:45], v[40:41]
	scratch_load_b128 v[46:49], off, off offset:336
	s_waitcnt vmcnt(9) lgkmcnt(0)
	v_mul_f64 v[58:59], v[34:35], v[32:33]
	v_mul_f64 v[32:33], v[36:37], v[32:33]
	v_add_f64 v[52:53], v[52:53], 0
	v_fma_f64 v[44:45], v[44:45], v[38:39], v[54:55]
	v_fma_f64 v[42:43], v[42:43], v[38:39], -v[40:41]
	v_add_f64 v[54:55], v[56:57], 0
	scratch_load_b128 v[38:41], off, off offset:352
	v_fma_f64 v[36:37], v[36:37], v[30:31], v[58:59]
	v_fma_f64 v[58:59], v[34:35], v[30:31], -v[32:33]
	scratch_load_b128 v[32:35], off, off offset:368
	v_add_f64 v[52:53], v[52:53], v[42:43]
	v_add_f64 v[54:55], v[54:55], v[44:45]
	ds_load_b128 v[42:45], v1 offset:1280
	s_waitcnt vmcnt(10)
	v_mul_f64 v[56:57], v[243:244], v[28:29]
	v_mul_f64 v[60:61], v[245:246], v[28:29]
	ds_load_b128 v[28:31], v1 offset:1264
	v_add_f64 v[52:53], v[52:53], v[58:59]
	v_add_f64 v[36:37], v[54:55], v[36:37]
	s_waitcnt vmcnt(8) lgkmcnt(1)
	v_mul_f64 v[54:55], v[42:43], v[20:21]
	v_fma_f64 v[56:57], v[245:246], v[26:27], v[56:57]
	v_fma_f64 v[60:61], v[243:244], v[26:27], -v[60:61]
	ds_load_b128 v[243:246], v1 offset:1312
	s_waitcnt lgkmcnt(1)
	v_mul_f64 v[62:63], v[28:29], v[24:25]
	v_mul_f64 v[64:65], v[30:31], v[24:25]
	scratch_load_b128 v[24:27], off, off offset:384
	v_mul_f64 v[58:59], v[44:45], v[20:21]
	v_fma_f64 v[54:55], v[44:45], v[18:19], v[54:55]
	v_add_f64 v[36:37], v[36:37], v[56:57]
	v_add_f64 v[52:53], v[52:53], v[60:61]
	s_waitcnt vmcnt(7) lgkmcnt(0)
	v_mul_f64 v[60:61], v[245:246], v[8:9]
	v_fma_f64 v[62:63], v[30:31], v[22:23], v[62:63]
	v_fma_f64 v[64:65], v[28:29], v[22:23], -v[64:65]
	scratch_load_b128 v[28:31], off, off offset:400
	ds_load_b128 v[20:23], v1 offset:1296
	v_fma_f64 v[18:19], v[42:43], v[18:19], -v[58:59]
	v_mul_f64 v[58:59], v[243:244], v[8:9]
	scratch_load_b128 v[42:45], off, off offset:416
	s_waitcnt lgkmcnt(0)
	v_mul_f64 v[56:57], v[20:21], v[12:13]
	v_mul_f64 v[12:13], v[22:23], v[12:13]
	v_add_f64 v[36:37], v[36:37], v[62:63]
	v_add_f64 v[52:53], v[52:53], v[64:65]
	s_delay_alu instid0(VALU_DEP_4) | instskip(NEXT) | instid1(VALU_DEP_4)
	v_fma_f64 v[22:23], v[22:23], v[10:11], v[56:57]
	v_fma_f64 v[12:13], v[20:21], v[10:11], -v[12:13]
	ds_load_b128 v[8:11], v1 offset:1328
	v_fma_f64 v[56:57], v[245:246], v[6:7], v[58:59]
	v_fma_f64 v[6:7], v[243:244], v[6:7], -v[60:61]
	scratch_load_b128 v[243:246], off, off offset:448
	v_add_f64 v[36:37], v[36:37], v[54:55]
	v_add_f64 v[52:53], v[52:53], v[18:19]
	scratch_load_b128 v[18:21], off, off offset:432
	v_add_f64 v[22:23], v[36:37], v[22:23]
	v_add_f64 v[12:13], v[52:53], v[12:13]
	s_waitcnt vmcnt(8)
	v_mul_f64 v[36:37], v[247:248], v[181:182]
	v_mul_f64 v[52:53], v[249:250], v[181:182]
	s_delay_alu instid0(VALU_DEP_4) | instskip(NEXT) | instid1(VALU_DEP_4)
	v_add_f64 v[22:23], v[22:23], v[56:57]
	v_add_f64 v[60:61], v[12:13], v[6:7]
	s_delay_alu instid0(VALU_DEP_4) | instskip(NEXT) | instid1(VALU_DEP_4)
	v_fma_f64 v[36:37], v[249:250], v[179:180], v[36:37]
	v_fma_f64 v[52:53], v[247:248], v[179:180], -v[52:53]
	ds_load_b128 v[247:250], v1 offset:1408
	s_waitcnt lgkmcnt(1)
	v_mul_f64 v[54:55], v[8:9], v[16:17]
	v_mul_f64 v[16:17], v[10:11], v[16:17]
	scratch_load_b128 v[179:182], off, off offset:480
	v_fma_f64 v[54:55], v[10:11], v[14:15], v[54:55]
	v_fma_f64 v[58:59], v[8:9], v[14:15], -v[16:17]
	ds_load_b128 v[6:9], v1 offset:1360
	ds_load_b128 v[14:17], v1 offset:1376
	scratch_load_b128 v[10:13], off, off offset:464
	s_waitcnt vmcnt(9) lgkmcnt(1)
	v_mul_f64 v[56:57], v[6:7], v[48:49]
	v_mul_f64 v[48:49], v[8:9], v[48:49]
	v_add_f64 v[22:23], v[22:23], v[54:55]
	v_add_f64 v[58:59], v[60:61], v[58:59]
	s_waitcnt vmcnt(8) lgkmcnt(0)
	v_mul_f64 v[54:55], v[14:15], v[40:41]
	v_mul_f64 v[40:41], v[16:17], v[40:41]
	v_fma_f64 v[56:57], v[8:9], v[46:47], v[56:57]
	v_fma_f64 v[60:61], v[6:7], v[46:47], -v[48:49]
	ds_load_b128 v[6:9], v1 offset:1392
	scratch_load_b128 v[46:49], off, off offset:496
	v_add_f64 v[22:23], v[22:23], v[36:37]
	v_add_f64 v[52:53], v[58:59], v[52:53]
	v_fma_f64 v[54:55], v[16:17], v[38:39], v[54:55]
	v_fma_f64 v[38:39], v[14:15], v[38:39], -v[40:41]
	scratch_load_b128 v[14:17], off, off offset:512
	v_add_f64 v[22:23], v[22:23], v[56:57]
	v_add_f64 v[40:41], v[52:53], v[60:61]
	s_waitcnt vmcnt(8)
	v_mul_f64 v[52:53], v[247:248], v[26:27]
	v_mul_f64 v[26:27], v[249:250], v[26:27]
	s_delay_alu instid0(VALU_DEP_4) | instskip(NEXT) | instid1(VALU_DEP_4)
	v_add_f64 v[22:23], v[22:23], v[54:55]
	v_add_f64 v[40:41], v[40:41], v[38:39]
	s_delay_alu instid0(VALU_DEP_4) | instskip(NEXT) | instid1(VALU_DEP_4)
	v_fma_f64 v[52:53], v[249:250], v[24:25], v[52:53]
	v_fma_f64 v[26:27], v[247:248], v[24:25], -v[26:27]
	ds_load_b128 v[247:250], v1 offset:1472
	s_waitcnt lgkmcnt(1)
	v_mul_f64 v[36:37], v[6:7], v[34:35]
	v_mul_f64 v[34:35], v[8:9], v[34:35]
	s_delay_alu instid0(VALU_DEP_2) | instskip(NEXT) | instid1(VALU_DEP_2)
	v_fma_f64 v[56:57], v[8:9], v[32:33], v[36:37]
	v_fma_f64 v[58:59], v[6:7], v[32:33], -v[34:35]
	scratch_load_b128 v[32:35], off, off offset:528
	ds_load_b128 v[6:9], v1 offset:1424
	ds_load_b128 v[36:39], v1 offset:1440
	s_waitcnt vmcnt(8) lgkmcnt(1)
	v_mul_f64 v[54:55], v[6:7], v[30:31]
	v_mul_f64 v[30:31], v[8:9], v[30:31]
	v_add_f64 v[56:57], v[22:23], v[56:57]
	v_add_f64 v[40:41], v[40:41], v[58:59]
	s_waitcnt vmcnt(7) lgkmcnt(0)
	v_mul_f64 v[58:59], v[36:37], v[44:45]
	v_mul_f64 v[44:45], v[38:39], v[44:45]
	scratch_load_b128 v[22:25], off, off offset:544
	v_fma_f64 v[54:55], v[8:9], v[28:29], v[54:55]
	v_fma_f64 v[30:31], v[6:7], v[28:29], -v[30:31]
	ds_load_b128 v[6:9], v1 offset:1456
	v_add_f64 v[52:53], v[56:57], v[52:53]
	v_add_f64 v[40:41], v[40:41], v[26:27]
	v_fma_f64 v[58:59], v[38:39], v[42:43], v[58:59]
	v_fma_f64 v[42:43], v[36:37], v[42:43], -v[44:45]
	s_clause 0x1
	scratch_load_b128 v[26:29], off, off offset:560
	scratch_load_b128 v[36:39], off, off offset:576
	s_waitcnt vmcnt(9)
	v_mul_f64 v[44:45], v[247:248], v[245:246]
	v_add_f64 v[30:31], v[40:41], v[30:31]
	v_add_f64 v[40:41], v[52:53], v[54:55]
	v_mul_f64 v[52:53], v[249:250], v[245:246]
	s_delay_alu instid0(VALU_DEP_4) | instskip(NEXT) | instid1(VALU_DEP_4)
	v_fma_f64 v[44:45], v[249:250], v[243:244], v[44:45]
	v_add_f64 v[30:31], v[30:31], v[42:43]
	s_delay_alu instid0(VALU_DEP_4)
	v_add_f64 v[58:59], v[40:41], v[58:59]
	ds_load_b128 v[40:43], v1 offset:1504
	s_waitcnt vmcnt(8) lgkmcnt(1)
	v_mul_f64 v[56:57], v[6:7], v[20:21]
	v_mul_f64 v[20:21], v[8:9], v[20:21]
	v_fma_f64 v[52:53], v[247:248], v[243:244], -v[52:53]
	scratch_load_b128 v[243:246], off, off offset:608
	ds_load_b128 v[247:250], v1 offset:1536
	v_fma_f64 v[54:55], v[8:9], v[18:19], v[56:57]
	v_fma_f64 v[56:57], v[6:7], v[18:19], -v[20:21]
	ds_load_b128 v[6:9], v1 offset:1488
	scratch_load_b128 v[18:21], off, off offset:592
	s_waitcnt vmcnt(8) lgkmcnt(0)
	v_mul_f64 v[60:61], v[6:7], v[12:13]
	v_mul_f64 v[12:13], v[8:9], v[12:13]
	v_add_f64 v[54:55], v[58:59], v[54:55]
	v_add_f64 v[30:31], v[30:31], v[56:57]
	v_mul_f64 v[56:57], v[40:41], v[181:182]
	v_mul_f64 v[58:59], v[42:43], v[181:182]
	v_fma_f64 v[60:61], v[8:9], v[10:11], v[60:61]
	v_fma_f64 v[62:63], v[6:7], v[10:11], -v[12:13]
	ds_load_b128 v[6:9], v1 offset:1520
	scratch_load_b128 v[10:13], off, off offset:624
	v_add_f64 v[44:45], v[54:55], v[44:45]
	v_add_f64 v[30:31], v[30:31], v[52:53]
	v_fma_f64 v[54:55], v[42:43], v[179:180], v[56:57]
	v_fma_f64 v[56:57], v[40:41], v[179:180], -v[58:59]
	ds_load_b128 v[179:182], v1 offset:1568
	scratch_load_b128 v[40:43], off, off offset:640
	s_waitcnt vmcnt(9) lgkmcnt(1)
	v_mul_f64 v[52:53], v[6:7], v[48:49]
	v_mul_f64 v[48:49], v[8:9], v[48:49]
	s_waitcnt vmcnt(8)
	v_mul_f64 v[58:59], v[247:248], v[16:17]
	v_mul_f64 v[16:17], v[249:250], v[16:17]
	v_add_f64 v[44:45], v[44:45], v[60:61]
	v_add_f64 v[30:31], v[30:31], v[62:63]
	v_fma_f64 v[52:53], v[8:9], v[46:47], v[52:53]
	v_fma_f64 v[48:49], v[6:7], v[46:47], -v[48:49]
	ds_load_b128 v[6:9], v1 offset:1552
	v_fma_f64 v[58:59], v[249:250], v[14:15], v[58:59]
	v_fma_f64 v[60:61], v[247:248], v[14:15], -v[16:17]
	ds_load_b128 v[247:250], v1 offset:1600
	scratch_load_b128 v[14:17], off, off offset:672
	v_add_f64 v[54:55], v[44:45], v[54:55]
	v_add_f64 v[30:31], v[30:31], v[56:57]
	scratch_load_b128 v[44:47], off, off offset:656
	s_waitcnt vmcnt(9) lgkmcnt(1)
	v_mul_f64 v[56:57], v[6:7], v[34:35]
	v_mul_f64 v[34:35], v[8:9], v[34:35]
	v_add_f64 v[30:31], v[30:31], v[48:49]
	v_add_f64 v[48:49], v[54:55], v[52:53]
	s_waitcnt vmcnt(8)
	v_mul_f64 v[52:53], v[179:180], v[24:25]
	v_mul_f64 v[24:25], v[181:182], v[24:25]
	v_fma_f64 v[54:55], v[8:9], v[32:33], v[56:57]
	v_fma_f64 v[34:35], v[6:7], v[32:33], -v[34:35]
	ds_load_b128 v[6:9], v1 offset:1584
	v_add_f64 v[56:57], v[30:31], v[60:61]
	v_add_f64 v[48:49], v[48:49], v[58:59]
	scratch_load_b128 v[30:33], off, off offset:688
	v_fma_f64 v[52:53], v[181:182], v[22:23], v[52:53]
	v_fma_f64 v[60:61], v[179:180], v[22:23], -v[24:25]
	ds_load_b128 v[179:182], v1 offset:1632
	s_waitcnt vmcnt(8) lgkmcnt(1)
	v_mul_f64 v[58:59], v[6:7], v[28:29]
	v_mul_f64 v[28:29], v[8:9], v[28:29]
	scratch_load_b128 v[22:25], off, off offset:704
	v_add_f64 v[34:35], v[56:57], v[34:35]
	v_add_f64 v[48:49], v[48:49], v[54:55]
	s_waitcnt vmcnt(8)
	v_mul_f64 v[54:55], v[247:248], v[38:39]
	v_mul_f64 v[38:39], v[249:250], v[38:39]
	v_fma_f64 v[56:57], v[8:9], v[26:27], v[58:59]
	v_fma_f64 v[58:59], v[6:7], v[26:27], -v[28:29]
	scratch_load_b128 v[26:29], off, off offset:720
	ds_load_b128 v[6:9], v1 offset:1616
	v_add_f64 v[34:35], v[34:35], v[60:61]
	v_add_f64 v[48:49], v[48:49], v[52:53]
	v_fma_f64 v[54:55], v[249:250], v[36:37], v[54:55]
	v_fma_f64 v[38:39], v[247:248], v[36:37], -v[38:39]
	s_waitcnt vmcnt(8) lgkmcnt(1)
	v_mul_f64 v[60:61], v[181:182], v[245:246]
	ds_load_b128 v[249:252], v1 offset:1696
	v_add_f64 v[58:59], v[34:35], v[58:59]
	v_add_f64 v[48:49], v[48:49], v[56:57]
	v_mul_f64 v[56:57], v[179:180], v[245:246]
	ds_load_b128 v[245:248], v1 offset:1664
	s_waitcnt vmcnt(7) lgkmcnt(2)
	v_mul_f64 v[52:53], v[6:7], v[20:21]
	v_mul_f64 v[20:21], v[8:9], v[20:21]
	scratch_load_b128 v[34:37], off, off offset:736
	v_add_f64 v[38:39], v[58:59], v[38:39]
	v_add_f64 v[48:49], v[48:49], v[54:55]
	v_fma_f64 v[56:57], v[181:182], v[243:244], v[56:57]
	v_fma_f64 v[58:59], v[179:180], v[243:244], -v[60:61]
	v_fma_f64 v[52:53], v[8:9], v[18:19], v[52:53]
	v_fma_f64 v[62:63], v[6:7], v[18:19], -v[20:21]
	scratch_load_b128 v[18:21], off, off offset:752
	ds_load_b128 v[6:9], v1 offset:1648
	scratch_load_b128 v[179:182], off, off offset:768
	s_waitcnt vmcnt(9) lgkmcnt(0)
	v_mul_f64 v[54:55], v[6:7], v[12:13]
	v_mul_f64 v[12:13], v[8:9], v[12:13]
	v_add_f64 v[48:49], v[48:49], v[52:53]
	v_add_f64 v[38:39], v[38:39], v[62:63]
	s_waitcnt vmcnt(8)
	v_mul_f64 v[52:53], v[245:246], v[42:43]
	v_mul_f64 v[42:43], v[247:248], v[42:43]
	v_fma_f64 v[54:55], v[8:9], v[10:11], v[54:55]
	v_fma_f64 v[60:61], v[6:7], v[10:11], -v[12:13]
	scratch_load_b128 v[10:13], off, off offset:784
	ds_load_b128 v[6:9], v1 offset:1680
	v_add_f64 v[48:49], v[48:49], v[56:57]
	v_add_f64 v[38:39], v[38:39], v[58:59]
	v_fma_f64 v[52:53], v[247:248], v[40:41], v[52:53]
	v_fma_f64 v[42:43], v[245:246], v[40:41], -v[42:43]
	ds_load_b128 v[243:246], v1 offset:1760
	s_waitcnt vmcnt(7) lgkmcnt(1)
	v_mul_f64 v[56:57], v[6:7], v[46:47]
	v_mul_f64 v[46:47], v[8:9], v[46:47]
	v_add_f64 v[48:49], v[48:49], v[54:55]
	v_add_f64 v[58:59], v[38:39], v[60:61]
	v_mul_f64 v[54:55], v[249:250], v[16:17]
	v_mul_f64 v[16:17], v[251:252], v[16:17]
	scratch_load_b128 v[38:41], off, off offset:800
	v_fma_f64 v[56:57], v[8:9], v[44:45], v[56:57]
	v_fma_f64 v[60:61], v[6:7], v[44:45], -v[46:47]
	ds_load_b128 v[6:9], v1 offset:1712
	v_add_f64 v[52:53], v[48:49], v[52:53]
	ds_load_b128 v[46:49], v1 offset:1728
	v_add_f64 v[58:59], v[58:59], v[42:43]
	v_fma_f64 v[54:55], v[251:252], v[14:15], v[54:55]
	v_fma_f64 v[64:65], v[249:250], v[14:15], -v[16:17]
	s_clause 0x1
	scratch_load_b128 v[42:45], off, off offset:816
	scratch_load_b128 v[14:17], off, off offset:832
	s_waitcnt vmcnt(9) lgkmcnt(1)
	v_mul_f64 v[62:63], v[6:7], v[32:33]
	v_mul_f64 v[32:33], v[8:9], v[32:33]
	v_add_f64 v[52:53], v[52:53], v[56:57]
	s_waitcnt vmcnt(8) lgkmcnt(0)
	v_mul_f64 v[56:57], v[46:47], v[24:25]
	v_add_f64 v[58:59], v[58:59], v[60:61]
	v_mul_f64 v[24:25], v[48:49], v[24:25]
	v_fma_f64 v[60:61], v[8:9], v[30:31], v[62:63]
	v_fma_f64 v[62:63], v[6:7], v[30:31], -v[32:33]
	scratch_load_b128 v[30:33], off, off offset:848
	ds_load_b128 v[6:9], v1 offset:1744
	v_add_f64 v[52:53], v[52:53], v[54:55]
	v_fma_f64 v[48:49], v[48:49], v[22:23], v[56:57]
	v_add_f64 v[58:59], v[58:59], v[64:65]
	v_fma_f64 v[46:47], v[46:47], v[22:23], -v[24:25]
	scratch_load_b128 v[22:25], off, off offset:864
	v_add_f64 v[52:53], v[52:53], v[60:61]
	v_add_f64 v[56:57], v[58:59], v[62:63]
	s_waitcnt vmcnt(8)
	v_mul_f64 v[58:59], v[243:244], v[36:37]
	v_mul_f64 v[36:37], v[245:246], v[36:37]
	s_delay_alu instid0(VALU_DEP_4) | instskip(NEXT) | instid1(VALU_DEP_4)
	v_add_f64 v[52:53], v[52:53], v[48:49]
	v_add_f64 v[56:57], v[56:57], v[46:47]
	ds_load_b128 v[46:49], v1 offset:1792
	s_waitcnt lgkmcnt(1)
	v_mul_f64 v[54:55], v[6:7], v[28:29]
	v_mul_f64 v[28:29], v[8:9], v[28:29]
	v_fma_f64 v[58:59], v[245:246], v[34:35], v[58:59]
	v_fma_f64 v[64:65], v[243:244], v[34:35], -v[36:37]
	ds_load_b128 v[243:246], v1 offset:1824
	scratch_load_b128 v[34:37], off, off offset:896
	v_fma_f64 v[54:55], v[8:9], v[26:27], v[54:55]
	v_fma_f64 v[60:61], v[6:7], v[26:27], -v[28:29]
	ds_load_b128 v[6:9], v1 offset:1776
	scratch_load_b128 v[26:29], off, off offset:880
	s_waitcnt vmcnt(9) lgkmcnt(0)
	v_mul_f64 v[62:63], v[6:7], v[20:21]
	v_mul_f64 v[20:21], v[8:9], v[20:21]
	v_add_f64 v[52:53], v[52:53], v[54:55]
	v_add_f64 v[56:57], v[56:57], v[60:61]
	s_waitcnt vmcnt(8)
	v_mul_f64 v[54:55], v[46:47], v[181:182]
	v_mul_f64 v[60:61], v[48:49], v[181:182]
	v_fma_f64 v[62:63], v[8:9], v[18:19], v[62:63]
	v_fma_f64 v[66:67], v[6:7], v[18:19], -v[20:21]
	ds_load_b128 v[6:9], v1 offset:1808
	scratch_load_b128 v[18:21], off, off offset:912
	v_add_f64 v[52:53], v[52:53], v[58:59]
	v_add_f64 v[56:57], v[56:57], v[64:65]
	v_fma_f64 v[54:55], v[48:49], v[179:180], v[54:55]
	v_fma_f64 v[60:61], v[46:47], v[179:180], -v[60:61]
	ds_load_b128 v[179:182], v1 offset:1856
	scratch_load_b128 v[46:49], off, off offset:928
	s_waitcnt vmcnt(9) lgkmcnt(1)
	v_mul_f64 v[58:59], v[6:7], v[12:13]
	v_mul_f64 v[12:13], v[8:9], v[12:13]
	v_add_f64 v[52:53], v[52:53], v[62:63]
	v_add_f64 v[56:57], v[56:57], v[66:67]
	s_waitcnt vmcnt(8)
	v_mul_f64 v[62:63], v[243:244], v[40:41]
	v_mul_f64 v[40:41], v[245:246], v[40:41]
	v_fma_f64 v[58:59], v[8:9], v[10:11], v[58:59]
	v_fma_f64 v[64:65], v[6:7], v[10:11], -v[12:13]
	scratch_load_b128 v[10:13], off, off offset:944
	ds_load_b128 v[6:9], v1 offset:1840
	v_add_f64 v[52:53], v[52:53], v[54:55]
	v_add_f64 v[56:57], v[56:57], v[60:61]
	v_fma_f64 v[60:61], v[245:246], v[38:39], v[62:63]
	v_fma_f64 v[62:63], v[243:244], v[38:39], -v[40:41]
	ds_load_b128 v[243:246], v1 offset:1888
	s_waitcnt vmcnt(8) lgkmcnt(1)
	v_mul_f64 v[54:55], v[6:7], v[44:45]
	v_mul_f64 v[44:45], v[8:9], v[44:45]
	scratch_load_b128 v[38:41], off, off offset:960
	v_add_f64 v[52:53], v[52:53], v[58:59]
	v_add_f64 v[56:57], v[56:57], v[64:65]
	s_waitcnt vmcnt(8)
	v_mul_f64 v[58:59], v[179:180], v[16:17]
	v_mul_f64 v[16:17], v[181:182], v[16:17]
	v_fma_f64 v[54:55], v[8:9], v[42:43], v[54:55]
	v_fma_f64 v[64:65], v[6:7], v[42:43], -v[44:45]
	scratch_load_b128 v[42:45], off, off offset:976
	ds_load_b128 v[6:9], v1 offset:1872
	v_add_f64 v[52:53], v[52:53], v[60:61]
	v_add_f64 v[56:57], v[56:57], v[62:63]
	v_fma_f64 v[58:59], v[181:182], v[14:15], v[58:59]
	v_fma_f64 v[62:63], v[179:180], v[14:15], -v[16:17]
	ds_load_b128 v[179:182], v1 offset:1920
	s_waitcnt vmcnt(8) lgkmcnt(1)
	v_mul_f64 v[60:61], v[6:7], v[32:33]
	v_mul_f64 v[32:33], v[8:9], v[32:33]
	scratch_load_b128 v[14:17], off, off offset:992
	v_add_f64 v[52:53], v[52:53], v[54:55]
	v_add_f64 v[56:57], v[56:57], v[64:65]
	s_waitcnt vmcnt(8)
	v_mul_f64 v[54:55], v[243:244], v[24:25]
	v_mul_f64 v[24:25], v[245:246], v[24:25]
	v_fma_f64 v[60:61], v[8:9], v[30:31], v[60:61]
	v_fma_f64 v[64:65], v[6:7], v[30:31], -v[32:33]
	scratch_load_b128 v[30:33], off, off offset:1008
	ds_load_b128 v[6:9], v1 offset:1904
	v_add_f64 v[52:53], v[52:53], v[58:59]
	v_add_f64 v[56:57], v[56:57], v[62:63]
	v_fma_f64 v[54:55], v[245:246], v[22:23], v[54:55]
	v_fma_f64 v[22:23], v[243:244], v[22:23], -v[24:25]
	s_waitcnt vmcnt(7) lgkmcnt(0)
	v_mul_f64 v[58:59], v[6:7], v[28:29]
	v_mul_f64 v[28:29], v[8:9], v[28:29]
	v_add_f64 v[52:53], v[52:53], v[60:61]
	v_add_f64 v[24:25], v[56:57], v[64:65]
	v_mul_f64 v[56:57], v[179:180], v[36:37]
	v_mul_f64 v[36:37], v[181:182], v[36:37]
	v_fma_f64 v[58:59], v[8:9], v[26:27], v[58:59]
	v_fma_f64 v[26:27], v[6:7], v[26:27], -v[28:29]
	v_add_f64 v[52:53], v[52:53], v[54:55]
	v_add_f64 v[28:29], v[24:25], v[22:23]
	ds_load_b128 v[6:9], v1 offset:1936
	ds_load_b128 v[22:25], v1 offset:1952
	v_fma_f64 v[56:57], v[181:182], v[34:35], v[56:57]
	v_fma_f64 v[34:35], v[179:180], v[34:35], -v[36:37]
	s_waitcnt vmcnt(6) lgkmcnt(1)
	v_mul_f64 v[54:55], v[6:7], v[20:21]
	v_mul_f64 v[20:21], v[8:9], v[20:21]
	s_waitcnt vmcnt(5) lgkmcnt(0)
	v_mul_f64 v[36:37], v[22:23], v[48:49]
	v_mul_f64 v[48:49], v[24:25], v[48:49]
	v_add_f64 v[26:27], v[28:29], v[26:27]
	v_add_f64 v[28:29], v[52:53], v[58:59]
	v_fma_f64 v[52:53], v[8:9], v[18:19], v[54:55]
	v_fma_f64 v[54:55], v[6:7], v[18:19], -v[20:21]
	ds_load_b128 v[6:9], v1 offset:1968
	ds_load_b128 v[18:21], v1 offset:1984
	v_fma_f64 v[24:25], v[24:25], v[46:47], v[36:37]
	v_fma_f64 v[22:23], v[22:23], v[46:47], -v[48:49]
	v_add_f64 v[26:27], v[26:27], v[34:35]
	v_add_f64 v[28:29], v[28:29], v[56:57]
	s_waitcnt vmcnt(4) lgkmcnt(1)
	v_mul_f64 v[34:35], v[6:7], v[12:13]
	v_mul_f64 v[12:13], v[8:9], v[12:13]
	s_waitcnt vmcnt(3) lgkmcnt(0)
	v_mul_f64 v[36:37], v[18:19], v[40:41]
	v_mul_f64 v[40:41], v[20:21], v[40:41]
	v_add_f64 v[26:27], v[26:27], v[54:55]
	v_add_f64 v[28:29], v[28:29], v[52:53]
	v_fma_f64 v[34:35], v[8:9], v[10:11], v[34:35]
	v_fma_f64 v[46:47], v[6:7], v[10:11], -v[12:13]
	ds_load_b128 v[6:9], v1 offset:2000
	ds_load_b128 v[10:13], v1 offset:2016
	v_fma_f64 v[20:21], v[20:21], v[38:39], v[36:37]
	v_fma_f64 v[18:19], v[18:19], v[38:39], -v[40:41]
	v_add_f64 v[22:23], v[26:27], v[22:23]
	v_add_f64 v[24:25], v[28:29], v[24:25]
	s_waitcnt vmcnt(2) lgkmcnt(1)
	v_mul_f64 v[26:27], v[6:7], v[44:45]
	v_mul_f64 v[28:29], v[8:9], v[44:45]
	s_delay_alu instid0(VALU_DEP_4) | instskip(NEXT) | instid1(VALU_DEP_4)
	v_add_f64 v[22:23], v[22:23], v[46:47]
	v_add_f64 v[24:25], v[24:25], v[34:35]
	s_waitcnt vmcnt(1) lgkmcnt(0)
	v_mul_f64 v[34:35], v[10:11], v[16:17]
	v_mul_f64 v[16:17], v[12:13], v[16:17]
	v_fma_f64 v[26:27], v[8:9], v[42:43], v[26:27]
	v_fma_f64 v[28:29], v[6:7], v[42:43], -v[28:29]
	ds_load_b128 v[6:9], v1 offset:2032
	v_add_f64 v[18:19], v[22:23], v[18:19]
	v_add_f64 v[20:21], v[24:25], v[20:21]
	s_waitcnt vmcnt(0) lgkmcnt(0)
	v_mul_f64 v[22:23], v[6:7], v[32:33]
	v_mul_f64 v[24:25], v[8:9], v[32:33]
	v_fma_f64 v[12:13], v[12:13], v[14:15], v[34:35]
	v_fma_f64 v[10:11], v[10:11], v[14:15], -v[16:17]
	v_add_f64 v[14:15], v[18:19], v[28:29]
	v_add_f64 v[16:17], v[20:21], v[26:27]
	v_fma_f64 v[8:9], v[8:9], v[30:31], v[22:23]
	v_fma_f64 v[6:7], v[6:7], v[30:31], -v[24:25]
	s_delay_alu instid0(VALU_DEP_4) | instskip(NEXT) | instid1(VALU_DEP_4)
	v_add_f64 v[10:11], v[14:15], v[10:11]
	v_add_f64 v[12:13], v[16:17], v[12:13]
	s_delay_alu instid0(VALU_DEP_2) | instskip(NEXT) | instid1(VALU_DEP_2)
	v_add_f64 v[6:7], v[10:11], v[6:7]
	v_add_f64 v[8:9], v[12:13], v[8:9]
	s_delay_alu instid0(VALU_DEP_2) | instskip(NEXT) | instid1(VALU_DEP_2)
	v_add_f64 v[2:3], v[2:3], -v[6:7]
	v_add_f64 v[4:5], v[4:5], -v[8:9]
	scratch_store_b128 off, v[2:5], off offset:160
	v_cmpx_lt_u32_e32 9, v178
	s_cbranch_execz .LBB127_390
; %bb.389:
	scratch_load_b32 v2, off, off offset:1196 ; 4-byte Folded Reload
	v_mov_b32_e32 v3, v1
	v_mov_b32_e32 v4, v1
	s_waitcnt vmcnt(0)
	scratch_load_b128 v[5:8], v2, off
	v_mov_b32_e32 v2, v1
	scratch_store_b128 off, v[1:4], off offset:144
	s_waitcnt vmcnt(0)
	ds_store_b128 v255, v[5:8]
.LBB127_390:
	s_or_b32 exec_lo, exec_lo, s2
	s_waitcnt lgkmcnt(0)
	s_waitcnt_vscnt null, 0x0
	s_barrier
	buffer_gl0_inv
	s_clause 0x8
	scratch_load_b128 v[34:37], off, off offset:160
	scratch_load_b128 v[38:41], off, off offset:176
	;; [unrolled: 1-line block ×9, first 2 shown]
	ds_load_b128 v[46:49], v1 offset:1184
	ds_load_b128 v[42:45], v1 offset:1200
	s_clause 0x1
	scratch_load_b128 v[2:5], off, off offset:144
	scratch_load_b128 v[179:182], off, off offset:304
	s_mov_b32 s2, exec_lo
	ds_load_b128 v[243:246], v1 offset:1232
	ds_load_b128 v[247:250], v1 offset:1360
	s_waitcnt vmcnt(10) lgkmcnt(3)
	v_mul_f64 v[52:53], v[48:49], v[36:37]
	v_mul_f64 v[36:37], v[46:47], v[36:37]
	s_waitcnt vmcnt(9) lgkmcnt(2)
	v_mul_f64 v[54:55], v[42:43], v[40:41]
	v_mul_f64 v[40:41], v[44:45], v[40:41]
	s_waitcnt vmcnt(7) lgkmcnt(1)
	v_mul_f64 v[60:61], v[245:246], v[28:29]
	v_fma_f64 v[52:53], v[46:47], v[34:35], -v[52:53]
	v_fma_f64 v[56:57], v[48:49], v[34:35], v[36:37]
	ds_load_b128 v[34:37], v1 offset:1216
	scratch_load_b128 v[46:49], off, off offset:320
	v_fma_f64 v[44:45], v[44:45], v[38:39], v[54:55]
	v_fma_f64 v[42:43], v[42:43], v[38:39], -v[40:41]
	scratch_load_b128 v[38:41], off, off offset:336
	v_fma_f64 v[60:61], v[243:244], v[26:27], -v[60:61]
	s_waitcnt lgkmcnt(0)
	v_mul_f64 v[58:59], v[34:35], v[32:33]
	v_mul_f64 v[32:33], v[36:37], v[32:33]
	v_add_f64 v[52:53], v[52:53], 0
	v_add_f64 v[54:55], v[56:57], 0
	v_mul_f64 v[56:57], v[243:244], v[28:29]
	v_fma_f64 v[36:37], v[36:37], v[30:31], v[58:59]
	v_fma_f64 v[58:59], v[34:35], v[30:31], -v[32:33]
	ds_load_b128 v[28:31], v1 offset:1248
	scratch_load_b128 v[32:35], off, off offset:352
	v_add_f64 v[52:53], v[52:53], v[42:43]
	v_add_f64 v[54:55], v[54:55], v[44:45]
	ds_load_b128 v[42:45], v1 offset:1264
	v_fma_f64 v[56:57], v[245:246], v[26:27], v[56:57]
	ds_load_b128 v[243:246], v1 offset:1296
	s_waitcnt vmcnt(9) lgkmcnt(2)
	v_mul_f64 v[62:63], v[28:29], v[24:25]
	v_mul_f64 v[64:65], v[30:31], v[24:25]
	scratch_load_b128 v[24:27], off, off offset:368
	v_add_f64 v[52:53], v[52:53], v[58:59]
	v_add_f64 v[36:37], v[54:55], v[36:37]
	s_waitcnt vmcnt(9) lgkmcnt(1)
	v_mul_f64 v[54:55], v[42:43], v[20:21]
	v_mul_f64 v[58:59], v[44:45], v[20:21]
	v_fma_f64 v[62:63], v[30:31], v[22:23], v[62:63]
	v_fma_f64 v[64:65], v[28:29], v[22:23], -v[64:65]
	ds_load_b128 v[20:23], v1 offset:1280
	scratch_load_b128 v[28:31], off, off offset:384
	v_add_f64 v[52:53], v[52:53], v[60:61]
	v_add_f64 v[36:37], v[36:37], v[56:57]
	s_waitcnt vmcnt(9) lgkmcnt(0)
	v_mul_f64 v[56:57], v[20:21], v[16:17]
	v_mul_f64 v[60:61], v[22:23], v[16:17]
	v_fma_f64 v[44:45], v[44:45], v[18:19], v[54:55]
	v_fma_f64 v[42:43], v[42:43], v[18:19], -v[58:59]
	scratch_load_b128 v[16:19], off, off offset:400
	s_waitcnt vmcnt(9)
	v_mul_f64 v[54:55], v[243:244], v[12:13]
	v_mul_f64 v[58:59], v[245:246], v[12:13]
	v_add_f64 v[52:53], v[52:53], v[64:65]
	v_add_f64 v[36:37], v[36:37], v[62:63]
	v_fma_f64 v[56:57], v[22:23], v[14:15], v[56:57]
	v_fma_f64 v[60:61], v[20:21], v[14:15], -v[60:61]
	ds_load_b128 v[12:15], v1 offset:1312
	scratch_load_b128 v[20:23], off, off offset:416
	v_fma_f64 v[54:55], v[245:246], v[10:11], v[54:55]
	v_fma_f64 v[58:59], v[243:244], v[10:11], -v[58:59]
	scratch_load_b128 v[243:246], off, off offset:448
	v_add_f64 v[52:53], v[52:53], v[42:43]
	v_add_f64 v[36:37], v[36:37], v[44:45]
	ds_load_b128 v[42:45], v1 offset:1328
	s_waitcnt vmcnt(10) lgkmcnt(1)
	v_mul_f64 v[62:63], v[12:13], v[8:9]
	v_mul_f64 v[64:65], v[14:15], v[8:9]
	scratch_load_b128 v[8:11], off, off offset:432
	v_add_f64 v[52:53], v[52:53], v[60:61]
	v_add_f64 v[36:37], v[36:37], v[56:57]
	s_waitcnt vmcnt(9) lgkmcnt(0)
	v_mul_f64 v[56:57], v[42:43], v[181:182]
	v_mul_f64 v[60:61], v[44:45], v[181:182]
	v_fma_f64 v[62:63], v[14:15], v[6:7], v[62:63]
	v_fma_f64 v[6:7], v[12:13], v[6:7], -v[64:65]
	ds_load_b128 v[12:15], v1 offset:1344
	v_add_f64 v[52:53], v[52:53], v[58:59]
	v_add_f64 v[36:37], v[36:37], v[54:55]
	v_fma_f64 v[56:57], v[44:45], v[179:180], v[56:57]
	v_fma_f64 v[58:59], v[42:43], v[179:180], -v[60:61]
	scratch_load_b128 v[42:45], off, off offset:464
	ds_load_b128 v[179:182], v1 offset:1392
	s_waitcnt vmcnt(9) lgkmcnt(1)
	v_mul_f64 v[54:55], v[12:13], v[48:49]
	v_mul_f64 v[48:49], v[14:15], v[48:49]
	v_add_f64 v[6:7], v[52:53], v[6:7]
	v_add_f64 v[36:37], v[36:37], v[62:63]
	s_waitcnt vmcnt(8)
	v_mul_f64 v[52:53], v[247:248], v[40:41]
	v_mul_f64 v[40:41], v[249:250], v[40:41]
	v_fma_f64 v[54:55], v[14:15], v[46:47], v[54:55]
	v_fma_f64 v[60:61], v[12:13], v[46:47], -v[48:49]
	ds_load_b128 v[12:15], v1 offset:1376
	scratch_load_b128 v[46:49], off, off offset:480
	v_add_f64 v[6:7], v[6:7], v[58:59]
	v_add_f64 v[36:37], v[36:37], v[56:57]
	v_fma_f64 v[52:53], v[249:250], v[38:39], v[52:53]
	s_waitcnt vmcnt(8) lgkmcnt(0)
	v_mul_f64 v[56:57], v[12:13], v[34:35]
	v_mul_f64 v[58:59], v[14:15], v[34:35]
	v_fma_f64 v[38:39], v[247:248], v[38:39], -v[40:41]
	ds_load_b128 v[247:250], v1 offset:1424
	v_add_f64 v[6:7], v[6:7], v[60:61]
	v_add_f64 v[40:41], v[36:37], v[54:55]
	scratch_load_b128 v[34:37], off, off offset:496
	s_waitcnt vmcnt(8)
	v_mul_f64 v[54:55], v[179:180], v[26:27]
	v_mul_f64 v[26:27], v[181:182], v[26:27]
	v_fma_f64 v[56:57], v[14:15], v[32:33], v[56:57]
	v_fma_f64 v[32:33], v[12:13], v[32:33], -v[58:59]
	ds_load_b128 v[12:15], v1 offset:1408
	s_waitcnt vmcnt(7) lgkmcnt(0)
	v_mul_f64 v[58:59], v[12:13], v[30:31]
	v_mul_f64 v[30:31], v[14:15], v[30:31]
	v_add_f64 v[6:7], v[6:7], v[38:39]
	v_add_f64 v[52:53], v[40:41], v[52:53]
	scratch_load_b128 v[38:41], off, off offset:512
	v_fma_f64 v[54:55], v[181:182], v[24:25], v[54:55]
	v_fma_f64 v[60:61], v[179:180], v[24:25], -v[26:27]
	scratch_load_b128 v[24:27], off, off offset:528
	ds_load_b128 v[179:182], v1 offset:1456
	v_add_f64 v[6:7], v[6:7], v[32:33]
	v_add_f64 v[32:33], v[52:53], v[56:57]
	s_waitcnt vmcnt(8)
	v_mul_f64 v[52:53], v[247:248], v[18:19]
	v_mul_f64 v[18:19], v[249:250], v[18:19]
	v_fma_f64 v[56:57], v[14:15], v[28:29], v[58:59]
	v_fma_f64 v[58:59], v[12:13], v[28:29], -v[30:31]
	ds_load_b128 v[12:15], v1 offset:1440
	scratch_load_b128 v[28:31], off, off offset:544
	v_add_f64 v[6:7], v[6:7], v[60:61]
	v_add_f64 v[32:33], v[32:33], v[54:55]
	s_waitcnt vmcnt(8) lgkmcnt(0)
	v_mul_f64 v[54:55], v[12:13], v[22:23]
	v_mul_f64 v[22:23], v[14:15], v[22:23]
	v_fma_f64 v[52:53], v[249:250], v[16:17], v[52:53]
	v_fma_f64 v[60:61], v[247:248], v[16:17], -v[18:19]
	scratch_load_b128 v[16:19], off, off offset:560
	ds_load_b128 v[247:250], v1 offset:1488
	v_add_f64 v[6:7], v[6:7], v[58:59]
	v_add_f64 v[32:33], v[32:33], v[56:57]
	s_waitcnt vmcnt(7)
	v_mul_f64 v[56:57], v[179:180], v[10:11]
	v_mul_f64 v[58:59], v[181:182], v[10:11]
	v_fma_f64 v[14:15], v[14:15], v[20:21], v[54:55]
	v_fma_f64 v[54:55], v[12:13], v[20:21], -v[22:23]
	ds_load_b128 v[10:13], v1 offset:1472
	scratch_load_b128 v[20:23], off, off offset:576
	v_add_f64 v[6:7], v[6:7], v[60:61]
	v_add_f64 v[32:33], v[32:33], v[52:53]
	s_waitcnt lgkmcnt(0)
	v_mul_f64 v[52:53], v[10:11], v[245:246]
	v_mul_f64 v[60:61], v[12:13], v[245:246]
	v_fma_f64 v[56:57], v[181:182], v[8:9], v[56:57]
	v_fma_f64 v[58:59], v[179:180], v[8:9], -v[58:59]
	scratch_load_b128 v[179:182], off, off offset:608
	v_add_f64 v[54:55], v[6:7], v[54:55]
	v_add_f64 v[14:15], v[32:33], v[14:15]
	scratch_load_b128 v[6:9], off, off offset:592
	s_waitcnt vmcnt(9)
	v_mul_f64 v[32:33], v[247:248], v[44:45]
	v_mul_f64 v[44:45], v[249:250], v[44:45]
	v_fma_f64 v[52:53], v[12:13], v[243:244], v[52:53]
	v_fma_f64 v[60:61], v[10:11], v[243:244], -v[60:61]
	ds_load_b128 v[10:13], v1 offset:1504
	ds_load_b128 v[243:246], v1 offset:1520
	v_add_f64 v[54:55], v[54:55], v[58:59]
	v_add_f64 v[14:15], v[14:15], v[56:57]
	s_waitcnt vmcnt(8) lgkmcnt(1)
	v_mul_f64 v[56:57], v[10:11], v[48:49]
	v_mul_f64 v[48:49], v[12:13], v[48:49]
	v_fma_f64 v[32:33], v[249:250], v[42:43], v[32:33]
	v_fma_f64 v[58:59], v[247:248], v[42:43], -v[44:45]
	scratch_load_b128 v[42:45], off, off offset:624
	ds_load_b128 v[247:250], v1 offset:1552
	v_add_f64 v[54:55], v[54:55], v[60:61]
	v_add_f64 v[14:15], v[14:15], v[52:53]
	v_fma_f64 v[56:57], v[12:13], v[46:47], v[56:57]
	v_fma_f64 v[60:61], v[10:11], v[46:47], -v[48:49]
	ds_load_b128 v[10:13], v1 offset:1536
	scratch_load_b128 v[46:49], off, off offset:640
	s_waitcnt vmcnt(9) lgkmcnt(2)
	v_mul_f64 v[52:53], v[243:244], v[36:37]
	v_mul_f64 v[36:37], v[245:246], v[36:37]
	v_add_f64 v[54:55], v[54:55], v[58:59]
	v_add_f64 v[14:15], v[14:15], v[32:33]
	s_waitcnt vmcnt(8) lgkmcnt(0)
	v_mul_f64 v[58:59], v[10:11], v[40:41]
	v_mul_f64 v[40:41], v[12:13], v[40:41]
	v_fma_f64 v[52:53], v[245:246], v[34:35], v[52:53]
	v_fma_f64 v[36:37], v[243:244], v[34:35], -v[36:37]
	scratch_load_b128 v[32:35], off, off offset:656
	ds_load_b128 v[243:246], v1 offset:1584
	v_add_f64 v[54:55], v[54:55], v[60:61]
	v_add_f64 v[14:15], v[14:15], v[56:57]
	s_waitcnt vmcnt(8)
	v_mul_f64 v[56:57], v[247:248], v[26:27]
	v_mul_f64 v[26:27], v[249:250], v[26:27]
	v_fma_f64 v[58:59], v[12:13], v[38:39], v[58:59]
	v_fma_f64 v[40:41], v[10:11], v[38:39], -v[40:41]
	ds_load_b128 v[10:13], v1 offset:1568
	v_add_f64 v[54:55], v[54:55], v[36:37]
	v_add_f64 v[14:15], v[14:15], v[52:53]
	scratch_load_b128 v[36:39], off, off offset:672
	s_waitcnt vmcnt(8) lgkmcnt(0)
	v_mul_f64 v[52:53], v[10:11], v[30:31]
	v_mul_f64 v[30:31], v[12:13], v[30:31]
	v_fma_f64 v[56:57], v[249:250], v[24:25], v[56:57]
	v_fma_f64 v[60:61], v[247:248], v[24:25], -v[26:27]
	scratch_load_b128 v[24:27], off, off offset:688
	ds_load_b128 v[247:250], v1 offset:1616
	v_add_f64 v[40:41], v[54:55], v[40:41]
	v_add_f64 v[14:15], v[14:15], v[58:59]
	s_waitcnt vmcnt(8)
	v_mul_f64 v[54:55], v[243:244], v[18:19]
	v_mul_f64 v[18:19], v[245:246], v[18:19]
	v_fma_f64 v[52:53], v[12:13], v[28:29], v[52:53]
	v_fma_f64 v[58:59], v[10:11], v[28:29], -v[30:31]
	ds_load_b128 v[10:13], v1 offset:1600
	scratch_load_b128 v[28:31], off, off offset:704
	v_add_f64 v[40:41], v[40:41], v[60:61]
	v_add_f64 v[14:15], v[14:15], v[56:57]
	s_waitcnt vmcnt(8) lgkmcnt(0)
	v_mul_f64 v[56:57], v[10:11], v[22:23]
	v_mul_f64 v[22:23], v[12:13], v[22:23]
	v_fma_f64 v[54:55], v[245:246], v[16:17], v[54:55]
	v_fma_f64 v[18:19], v[243:244], v[16:17], -v[18:19]
	ds_load_b128 v[243:246], v1 offset:1648
	v_add_f64 v[40:41], v[40:41], v[58:59]
	v_add_f64 v[52:53], v[14:15], v[52:53]
	scratch_load_b128 v[14:17], off, off offset:720
	v_fma_f64 v[12:13], v[12:13], v[20:21], v[56:57]
	v_fma_f64 v[22:23], v[10:11], v[20:21], -v[22:23]
	s_waitcnt vmcnt(7)
	v_mul_f64 v[58:59], v[247:248], v[8:9]
	v_mul_f64 v[60:61], v[249:250], v[8:9]
	ds_load_b128 v[8:11], v1 offset:1632
	v_add_f64 v[40:41], v[40:41], v[18:19]
	v_add_f64 v[52:53], v[52:53], v[54:55]
	scratch_load_b128 v[18:21], off, off offset:736
	s_waitcnt lgkmcnt(0)
	v_mul_f64 v[54:55], v[8:9], v[181:182]
	v_mul_f64 v[56:57], v[10:11], v[181:182]
	v_fma_f64 v[58:59], v[249:250], v[6:7], v[58:59]
	v_fma_f64 v[6:7], v[247:248], v[6:7], -v[60:61]
	scratch_load_b128 v[247:250], off, off offset:752
	v_add_f64 v[22:23], v[40:41], v[22:23]
	v_add_f64 v[12:13], v[52:53], v[12:13]
	s_waitcnt vmcnt(8)
	v_mul_f64 v[40:41], v[243:244], v[44:45]
	v_mul_f64 v[44:45], v[245:246], v[44:45]
	v_fma_f64 v[52:53], v[10:11], v[179:180], v[54:55]
	v_fma_f64 v[54:55], v[8:9], v[179:180], -v[56:57]
	ds_load_b128 v[179:182], v1 offset:1680
	v_add_f64 v[22:23], v[22:23], v[6:7]
	v_add_f64 v[56:57], v[12:13], v[58:59]
	ds_load_b128 v[6:9], v1 offset:1664
	scratch_load_b128 v[10:13], off, off offset:768
	v_fma_f64 v[60:61], v[245:246], v[42:43], v[40:41]
	v_fma_f64 v[44:45], v[243:244], v[42:43], -v[44:45]
	scratch_load_b128 v[40:43], off, off offset:784
	ds_load_b128 v[243:246], v1 offset:1712
	s_waitcnt vmcnt(9) lgkmcnt(1)
	v_mul_f64 v[58:59], v[6:7], v[48:49]
	v_mul_f64 v[48:49], v[8:9], v[48:49]
	v_add_f64 v[22:23], v[22:23], v[54:55]
	v_add_f64 v[52:53], v[56:57], v[52:53]
	s_waitcnt vmcnt(8)
	v_mul_f64 v[54:55], v[179:180], v[34:35]
	v_mul_f64 v[34:35], v[181:182], v[34:35]
	v_fma_f64 v[56:57], v[8:9], v[46:47], v[58:59]
	v_fma_f64 v[48:49], v[6:7], v[46:47], -v[48:49]
	ds_load_b128 v[6:9], v1 offset:1696
	v_add_f64 v[22:23], v[22:23], v[44:45]
	v_add_f64 v[52:53], v[52:53], v[60:61]
	scratch_load_b128 v[44:47], off, off offset:800
	v_fma_f64 v[54:55], v[181:182], v[32:33], v[54:55]
	v_fma_f64 v[60:61], v[179:180], v[32:33], -v[34:35]
	scratch_load_b128 v[32:35], off, off offset:816
	ds_load_b128 v[179:182], v1 offset:1744
	s_waitcnt vmcnt(9) lgkmcnt(1)
	v_mul_f64 v[58:59], v[6:7], v[38:39]
	v_mul_f64 v[38:39], v[8:9], v[38:39]
	v_add_f64 v[22:23], v[22:23], v[48:49]
	v_add_f64 v[48:49], v[52:53], v[56:57]
	s_waitcnt vmcnt(8)
	v_mul_f64 v[52:53], v[243:244], v[26:27]
	v_mul_f64 v[26:27], v[245:246], v[26:27]
	v_fma_f64 v[56:57], v[8:9], v[36:37], v[58:59]
	v_fma_f64 v[58:59], v[6:7], v[36:37], -v[38:39]
	ds_load_b128 v[6:9], v1 offset:1728
	scratch_load_b128 v[36:39], off, off offset:832
	v_add_f64 v[22:23], v[22:23], v[60:61]
	v_add_f64 v[48:49], v[48:49], v[54:55]
	s_waitcnt vmcnt(8) lgkmcnt(0)
	v_mul_f64 v[54:55], v[6:7], v[30:31]
	v_mul_f64 v[30:31], v[8:9], v[30:31]
	v_fma_f64 v[52:53], v[245:246], v[24:25], v[52:53]
	v_fma_f64 v[26:27], v[243:244], v[24:25], -v[26:27]
	ds_load_b128 v[243:246], v1 offset:1776
	v_add_f64 v[58:59], v[22:23], v[58:59]
	scratch_load_b128 v[22:25], off, off offset:848
	v_add_f64 v[48:49], v[48:49], v[56:57]
	v_fma_f64 v[54:55], v[8:9], v[28:29], v[54:55]
	v_fma_f64 v[30:31], v[6:7], v[28:29], -v[30:31]
	ds_load_b128 v[6:9], v1 offset:1760
	s_waitcnt vmcnt(8)
	v_mul_f64 v[56:57], v[179:180], v[16:17]
	v_mul_f64 v[16:17], v[181:182], v[16:17]
	v_add_f64 v[58:59], v[58:59], v[26:27]
	scratch_load_b128 v[26:29], off, off offset:864
	v_add_f64 v[48:49], v[48:49], v[52:53]
	s_waitcnt vmcnt(8) lgkmcnt(0)
	v_mul_f64 v[52:53], v[6:7], v[20:21]
	v_mul_f64 v[20:21], v[8:9], v[20:21]
	v_fma_f64 v[56:57], v[181:182], v[14:15], v[56:57]
	v_fma_f64 v[60:61], v[179:180], v[14:15], -v[16:17]
	scratch_load_b128 v[14:17], off, off offset:880
	ds_load_b128 v[179:182], v1 offset:1808
	v_add_f64 v[30:31], v[58:59], v[30:31]
	s_waitcnt vmcnt(8)
	v_mul_f64 v[58:59], v[245:246], v[249:250]
	v_add_f64 v[48:49], v[48:49], v[54:55]
	v_mul_f64 v[54:55], v[243:244], v[249:250]
	v_fma_f64 v[52:53], v[8:9], v[18:19], v[52:53]
	v_fma_f64 v[62:63], v[6:7], v[18:19], -v[20:21]
	ds_load_b128 v[6:9], v1 offset:1792
	scratch_load_b128 v[18:21], off, off offset:896
	v_add_f64 v[30:31], v[30:31], v[60:61]
	v_fma_f64 v[58:59], v[243:244], v[247:248], -v[58:59]
	v_add_f64 v[48:49], v[48:49], v[56:57]
	v_fma_f64 v[54:55], v[245:246], v[247:248], v[54:55]
	scratch_load_b128 v[243:246], off, off offset:912
	ds_load_b128 v[247:250], v1 offset:1840
	s_waitcnt vmcnt(9) lgkmcnt(1)
	v_mul_f64 v[56:57], v[6:7], v[12:13]
	v_mul_f64 v[12:13], v[8:9], v[12:13]
	v_add_f64 v[30:31], v[30:31], v[62:63]
	v_add_f64 v[48:49], v[48:49], v[52:53]
	s_waitcnt vmcnt(8)
	v_mul_f64 v[52:53], v[179:180], v[42:43]
	v_mul_f64 v[42:43], v[181:182], v[42:43]
	v_fma_f64 v[56:57], v[8:9], v[10:11], v[56:57]
	v_fma_f64 v[60:61], v[6:7], v[10:11], -v[12:13]
	ds_load_b128 v[6:9], v1 offset:1824
	scratch_load_b128 v[10:13], off, off offset:928
	v_add_f64 v[30:31], v[30:31], v[58:59]
	v_add_f64 v[48:49], v[48:49], v[54:55]
	v_fma_f64 v[52:53], v[181:182], v[40:41], v[52:53]
	v_fma_f64 v[58:59], v[179:180], v[40:41], -v[42:43]
	scratch_load_b128 v[40:43], off, off offset:944
	ds_load_b128 v[179:182], v1 offset:1872
	s_waitcnt vmcnt(9) lgkmcnt(1)
	v_mul_f64 v[54:55], v[6:7], v[46:47]
	v_mul_f64 v[46:47], v[8:9], v[46:47]
	v_add_f64 v[30:31], v[30:31], v[60:61]
	v_add_f64 v[48:49], v[48:49], v[56:57]
	s_waitcnt vmcnt(8)
	v_mul_f64 v[56:57], v[247:248], v[34:35]
	v_mul_f64 v[34:35], v[249:250], v[34:35]
	v_fma_f64 v[54:55], v[8:9], v[44:45], v[54:55]
	v_fma_f64 v[60:61], v[6:7], v[44:45], -v[46:47]
	ds_load_b128 v[6:9], v1 offset:1856
	scratch_load_b128 v[44:47], off, off offset:960
	v_add_f64 v[30:31], v[30:31], v[58:59]
	v_add_f64 v[48:49], v[48:49], v[52:53]
	s_waitcnt vmcnt(8) lgkmcnt(0)
	v_mul_f64 v[52:53], v[6:7], v[38:39]
	v_mul_f64 v[38:39], v[8:9], v[38:39]
	v_fma_f64 v[56:57], v[249:250], v[32:33], v[56:57]
	v_fma_f64 v[34:35], v[247:248], v[32:33], -v[34:35]
	ds_load_b128 v[247:250], v1 offset:1904
	v_add_f64 v[58:59], v[30:31], v[60:61]
	scratch_load_b128 v[30:33], off, off offset:976
	v_add_f64 v[48:49], v[48:49], v[54:55]
	v_fma_f64 v[52:53], v[8:9], v[36:37], v[52:53]
	v_fma_f64 v[38:39], v[6:7], v[36:37], -v[38:39]
	ds_load_b128 v[6:9], v1 offset:1888
	s_waitcnt vmcnt(8)
	v_mul_f64 v[54:55], v[179:180], v[24:25]
	v_mul_f64 v[24:25], v[181:182], v[24:25]
	v_add_f64 v[58:59], v[58:59], v[34:35]
	scratch_load_b128 v[34:37], off, off offset:992
	v_add_f64 v[48:49], v[48:49], v[56:57]
	s_waitcnt vmcnt(8) lgkmcnt(0)
	v_mul_f64 v[56:57], v[6:7], v[28:29]
	v_mul_f64 v[28:29], v[8:9], v[28:29]
	v_fma_f64 v[54:55], v[181:182], v[22:23], v[54:55]
	v_fma_f64 v[60:61], v[179:180], v[22:23], -v[24:25]
	scratch_load_b128 v[22:25], off, off offset:1008
	v_add_f64 v[38:39], v[58:59], v[38:39]
	v_add_f64 v[48:49], v[48:49], v[52:53]
	s_waitcnt vmcnt(8)
	v_mul_f64 v[52:53], v[247:248], v[16:17]
	v_mul_f64 v[16:17], v[249:250], v[16:17]
	v_fma_f64 v[56:57], v[8:9], v[26:27], v[56:57]
	v_fma_f64 v[58:59], v[6:7], v[26:27], -v[28:29]
	ds_load_b128 v[6:9], v1 offset:1920
	ds_load_b128 v[26:29], v1 offset:1936
	v_add_f64 v[38:39], v[38:39], v[60:61]
	v_add_f64 v[48:49], v[48:49], v[54:55]
	s_waitcnt vmcnt(7) lgkmcnt(1)
	v_mul_f64 v[54:55], v[6:7], v[20:21]
	v_mul_f64 v[20:21], v[8:9], v[20:21]
	v_fma_f64 v[52:53], v[249:250], v[14:15], v[52:53]
	v_fma_f64 v[14:15], v[247:248], v[14:15], -v[16:17]
	v_add_f64 v[16:17], v[38:39], v[58:59]
	v_add_f64 v[38:39], v[48:49], v[56:57]
	s_waitcnt vmcnt(6) lgkmcnt(0)
	v_mul_f64 v[48:49], v[26:27], v[245:246]
	v_mul_f64 v[56:57], v[28:29], v[245:246]
	v_fma_f64 v[54:55], v[8:9], v[18:19], v[54:55]
	v_fma_f64 v[18:19], v[6:7], v[18:19], -v[20:21]
	v_add_f64 v[20:21], v[16:17], v[14:15]
	ds_load_b128 v[6:9], v1 offset:1952
	ds_load_b128 v[14:17], v1 offset:1968
	v_add_f64 v[38:39], v[38:39], v[52:53]
	v_fma_f64 v[28:29], v[28:29], v[243:244], v[48:49]
	v_fma_f64 v[26:27], v[26:27], v[243:244], -v[56:57]
	s_waitcnt vmcnt(5) lgkmcnt(1)
	v_mul_f64 v[52:53], v[6:7], v[12:13]
	v_mul_f64 v[12:13], v[8:9], v[12:13]
	v_add_f64 v[18:19], v[20:21], v[18:19]
	v_add_f64 v[20:21], v[38:39], v[54:55]
	s_waitcnt vmcnt(4) lgkmcnt(0)
	v_mul_f64 v[38:39], v[14:15], v[42:43]
	v_mul_f64 v[42:43], v[16:17], v[42:43]
	v_fma_f64 v[48:49], v[8:9], v[10:11], v[52:53]
	v_fma_f64 v[52:53], v[6:7], v[10:11], -v[12:13]
	ds_load_b128 v[6:9], v1 offset:1984
	ds_load_b128 v[10:13], v1 offset:2000
	v_add_f64 v[18:19], v[18:19], v[26:27]
	v_add_f64 v[20:21], v[20:21], v[28:29]
	s_waitcnt vmcnt(3) lgkmcnt(1)
	v_mul_f64 v[26:27], v[6:7], v[46:47]
	v_mul_f64 v[28:29], v[8:9], v[46:47]
	v_fma_f64 v[16:17], v[16:17], v[40:41], v[38:39]
	v_fma_f64 v[14:15], v[14:15], v[40:41], -v[42:43]
	v_add_f64 v[18:19], v[18:19], v[52:53]
	v_add_f64 v[20:21], v[20:21], v[48:49]
	v_fma_f64 v[26:27], v[8:9], v[44:45], v[26:27]
	v_fma_f64 v[28:29], v[6:7], v[44:45], -v[28:29]
	s_waitcnt vmcnt(2) lgkmcnt(0)
	v_mul_f64 v[38:39], v[10:11], v[32:33]
	v_mul_f64 v[32:33], v[12:13], v[32:33]
	v_add_f64 v[18:19], v[18:19], v[14:15]
	v_add_f64 v[20:21], v[20:21], v[16:17]
	ds_load_b128 v[6:9], v1 offset:2016
	ds_load_b128 v[14:17], v1 offset:2032
	v_fma_f64 v[12:13], v[12:13], v[30:31], v[38:39]
	v_fma_f64 v[10:11], v[10:11], v[30:31], -v[32:33]
	s_waitcnt vmcnt(1) lgkmcnt(1)
	v_mul_f64 v[40:41], v[6:7], v[36:37]
	v_mul_f64 v[36:37], v[8:9], v[36:37]
	v_add_f64 v[18:19], v[18:19], v[28:29]
	v_add_f64 v[20:21], v[20:21], v[26:27]
	s_waitcnt vmcnt(0) lgkmcnt(0)
	v_mul_f64 v[26:27], v[14:15], v[24:25]
	v_mul_f64 v[24:25], v[16:17], v[24:25]
	v_fma_f64 v[8:9], v[8:9], v[34:35], v[40:41]
	v_fma_f64 v[6:7], v[6:7], v[34:35], -v[36:37]
	v_add_f64 v[10:11], v[18:19], v[10:11]
	v_add_f64 v[12:13], v[20:21], v[12:13]
	v_fma_f64 v[16:17], v[16:17], v[22:23], v[26:27]
	v_fma_f64 v[14:15], v[14:15], v[22:23], -v[24:25]
	s_delay_alu instid0(VALU_DEP_4) | instskip(NEXT) | instid1(VALU_DEP_4)
	v_add_f64 v[6:7], v[10:11], v[6:7]
	v_add_f64 v[8:9], v[12:13], v[8:9]
	s_delay_alu instid0(VALU_DEP_2) | instskip(NEXT) | instid1(VALU_DEP_2)
	v_add_f64 v[6:7], v[6:7], v[14:15]
	v_add_f64 v[8:9], v[8:9], v[16:17]
	s_delay_alu instid0(VALU_DEP_2) | instskip(NEXT) | instid1(VALU_DEP_2)
	v_add_f64 v[1:2], v[2:3], -v[6:7]
	v_add_f64 v[3:4], v[4:5], -v[8:9]
	scratch_store_b128 off, v[1:4], off offset:144
	v_cmpx_lt_u32_e32 8, v178
	s_cbranch_execz .LBB127_392
; %bb.391:
	scratch_load_b32 v1, off, off offset:1204 ; 4-byte Folded Reload
	v_mov_b32_e32 v5, 0
	s_delay_alu instid0(VALU_DEP_1)
	v_mov_b32_e32 v6, v5
	v_mov_b32_e32 v7, v5
	v_mov_b32_e32 v8, v5
	s_waitcnt vmcnt(0)
	scratch_load_b128 v[1:4], v1, off
	scratch_store_b128 off, v[5:8], off offset:128
	s_waitcnt vmcnt(0)
	ds_store_b128 v255, v[1:4]
.LBB127_392:
	s_or_b32 exec_lo, exec_lo, s2
	s_waitcnt lgkmcnt(0)
	s_waitcnt_vscnt null, 0x0
	s_barrier
	buffer_gl0_inv
	s_clause 0x7
	scratch_load_b128 v[34:37], off, off offset:144
	scratch_load_b128 v[38:41], off, off offset:160
	;; [unrolled: 1-line block ×8, first 2 shown]
	v_mov_b32_e32 v1, 0
	s_mov_b32 s2, exec_lo
	ds_load_b128 v[46:49], v1 offset:1168
	s_clause 0x2
	scratch_load_b128 v[14:17], off, off offset:272
	scratch_load_b128 v[2:5], off, off offset:128
	;; [unrolled: 1-line block ×3, first 2 shown]
	ds_load_b128 v[42:45], v1 offset:1184
	ds_load_b128 v[243:246], v1 offset:1216
	;; [unrolled: 1-line block ×3, first 2 shown]
	s_waitcnt vmcnt(10) lgkmcnt(3)
	v_mul_f64 v[52:53], v[48:49], v[36:37]
	v_mul_f64 v[36:37], v[46:47], v[36:37]
	s_delay_alu instid0(VALU_DEP_2) | instskip(NEXT) | instid1(VALU_DEP_2)
	v_fma_f64 v[52:53], v[46:47], v[34:35], -v[52:53]
	v_fma_f64 v[56:57], v[48:49], v[34:35], v[36:37]
	ds_load_b128 v[34:37], v1 offset:1200
	s_waitcnt vmcnt(9) lgkmcnt(3)
	v_mul_f64 v[54:55], v[42:43], v[40:41]
	v_mul_f64 v[40:41], v[44:45], v[40:41]
	scratch_load_b128 v[46:49], off, off offset:304
	s_waitcnt vmcnt(9) lgkmcnt(0)
	v_mul_f64 v[58:59], v[34:35], v[32:33]
	v_mul_f64 v[32:33], v[36:37], v[32:33]
	v_add_f64 v[52:53], v[52:53], 0
	v_fma_f64 v[44:45], v[44:45], v[38:39], v[54:55]
	v_fma_f64 v[42:43], v[42:43], v[38:39], -v[40:41]
	v_add_f64 v[54:55], v[56:57], 0
	scratch_load_b128 v[38:41], off, off offset:320
	v_fma_f64 v[36:37], v[36:37], v[30:31], v[58:59]
	v_fma_f64 v[58:59], v[34:35], v[30:31], -v[32:33]
	scratch_load_b128 v[32:35], off, off offset:336
	v_add_f64 v[52:53], v[52:53], v[42:43]
	v_add_f64 v[54:55], v[54:55], v[44:45]
	ds_load_b128 v[42:45], v1 offset:1248
	s_waitcnt vmcnt(10)
	v_mul_f64 v[56:57], v[243:244], v[28:29]
	v_mul_f64 v[60:61], v[245:246], v[28:29]
	ds_load_b128 v[28:31], v1 offset:1232
	v_add_f64 v[52:53], v[52:53], v[58:59]
	v_add_f64 v[36:37], v[54:55], v[36:37]
	s_waitcnt vmcnt(8) lgkmcnt(1)
	v_mul_f64 v[54:55], v[42:43], v[20:21]
	v_fma_f64 v[56:57], v[245:246], v[26:27], v[56:57]
	v_fma_f64 v[60:61], v[243:244], v[26:27], -v[60:61]
	ds_load_b128 v[243:246], v1 offset:1280
	s_waitcnt lgkmcnt(1)
	v_mul_f64 v[62:63], v[28:29], v[24:25]
	v_mul_f64 v[64:65], v[30:31], v[24:25]
	scratch_load_b128 v[24:27], off, off offset:352
	v_mul_f64 v[58:59], v[44:45], v[20:21]
	v_fma_f64 v[54:55], v[44:45], v[18:19], v[54:55]
	v_add_f64 v[36:37], v[36:37], v[56:57]
	v_add_f64 v[52:53], v[52:53], v[60:61]
	s_waitcnt vmcnt(7) lgkmcnt(0)
	v_mul_f64 v[60:61], v[245:246], v[8:9]
	v_fma_f64 v[62:63], v[30:31], v[22:23], v[62:63]
	v_fma_f64 v[64:65], v[28:29], v[22:23], -v[64:65]
	scratch_load_b128 v[28:31], off, off offset:368
	ds_load_b128 v[20:23], v1 offset:1264
	v_fma_f64 v[18:19], v[42:43], v[18:19], -v[58:59]
	v_mul_f64 v[58:59], v[243:244], v[8:9]
	scratch_load_b128 v[42:45], off, off offset:384
	s_waitcnt lgkmcnt(0)
	v_mul_f64 v[56:57], v[20:21], v[12:13]
	v_mul_f64 v[12:13], v[22:23], v[12:13]
	v_add_f64 v[36:37], v[36:37], v[62:63]
	v_add_f64 v[52:53], v[52:53], v[64:65]
	s_delay_alu instid0(VALU_DEP_4) | instskip(NEXT) | instid1(VALU_DEP_4)
	v_fma_f64 v[22:23], v[22:23], v[10:11], v[56:57]
	v_fma_f64 v[12:13], v[20:21], v[10:11], -v[12:13]
	ds_load_b128 v[8:11], v1 offset:1296
	v_fma_f64 v[56:57], v[245:246], v[6:7], v[58:59]
	v_fma_f64 v[6:7], v[243:244], v[6:7], -v[60:61]
	scratch_load_b128 v[243:246], off, off offset:416
	v_add_f64 v[36:37], v[36:37], v[54:55]
	v_add_f64 v[52:53], v[52:53], v[18:19]
	scratch_load_b128 v[18:21], off, off offset:400
	v_add_f64 v[22:23], v[36:37], v[22:23]
	v_add_f64 v[12:13], v[52:53], v[12:13]
	s_waitcnt vmcnt(8)
	v_mul_f64 v[36:37], v[247:248], v[181:182]
	v_mul_f64 v[52:53], v[249:250], v[181:182]
	s_delay_alu instid0(VALU_DEP_4) | instskip(NEXT) | instid1(VALU_DEP_4)
	v_add_f64 v[22:23], v[22:23], v[56:57]
	v_add_f64 v[60:61], v[12:13], v[6:7]
	s_delay_alu instid0(VALU_DEP_4) | instskip(NEXT) | instid1(VALU_DEP_4)
	v_fma_f64 v[36:37], v[249:250], v[179:180], v[36:37]
	v_fma_f64 v[52:53], v[247:248], v[179:180], -v[52:53]
	ds_load_b128 v[247:250], v1 offset:1376
	s_waitcnt lgkmcnt(1)
	v_mul_f64 v[54:55], v[8:9], v[16:17]
	v_mul_f64 v[16:17], v[10:11], v[16:17]
	scratch_load_b128 v[179:182], off, off offset:448
	v_fma_f64 v[54:55], v[10:11], v[14:15], v[54:55]
	v_fma_f64 v[58:59], v[8:9], v[14:15], -v[16:17]
	ds_load_b128 v[6:9], v1 offset:1328
	ds_load_b128 v[14:17], v1 offset:1344
	scratch_load_b128 v[10:13], off, off offset:432
	s_waitcnt vmcnt(9) lgkmcnt(1)
	v_mul_f64 v[56:57], v[6:7], v[48:49]
	v_mul_f64 v[48:49], v[8:9], v[48:49]
	v_add_f64 v[22:23], v[22:23], v[54:55]
	v_add_f64 v[58:59], v[60:61], v[58:59]
	s_waitcnt vmcnt(8) lgkmcnt(0)
	v_mul_f64 v[54:55], v[14:15], v[40:41]
	v_mul_f64 v[40:41], v[16:17], v[40:41]
	v_fma_f64 v[56:57], v[8:9], v[46:47], v[56:57]
	v_fma_f64 v[60:61], v[6:7], v[46:47], -v[48:49]
	ds_load_b128 v[6:9], v1 offset:1360
	scratch_load_b128 v[46:49], off, off offset:464
	v_add_f64 v[22:23], v[22:23], v[36:37]
	v_add_f64 v[52:53], v[58:59], v[52:53]
	v_fma_f64 v[54:55], v[16:17], v[38:39], v[54:55]
	v_fma_f64 v[38:39], v[14:15], v[38:39], -v[40:41]
	scratch_load_b128 v[14:17], off, off offset:480
	v_add_f64 v[22:23], v[22:23], v[56:57]
	v_add_f64 v[40:41], v[52:53], v[60:61]
	s_waitcnt vmcnt(8)
	v_mul_f64 v[52:53], v[247:248], v[26:27]
	v_mul_f64 v[26:27], v[249:250], v[26:27]
	s_delay_alu instid0(VALU_DEP_4) | instskip(NEXT) | instid1(VALU_DEP_4)
	v_add_f64 v[22:23], v[22:23], v[54:55]
	v_add_f64 v[40:41], v[40:41], v[38:39]
	s_delay_alu instid0(VALU_DEP_4) | instskip(NEXT) | instid1(VALU_DEP_4)
	v_fma_f64 v[52:53], v[249:250], v[24:25], v[52:53]
	v_fma_f64 v[26:27], v[247:248], v[24:25], -v[26:27]
	ds_load_b128 v[247:250], v1 offset:1440
	s_waitcnt lgkmcnt(1)
	v_mul_f64 v[36:37], v[6:7], v[34:35]
	v_mul_f64 v[34:35], v[8:9], v[34:35]
	s_delay_alu instid0(VALU_DEP_2) | instskip(NEXT) | instid1(VALU_DEP_2)
	v_fma_f64 v[56:57], v[8:9], v[32:33], v[36:37]
	v_fma_f64 v[58:59], v[6:7], v[32:33], -v[34:35]
	scratch_load_b128 v[32:35], off, off offset:496
	ds_load_b128 v[6:9], v1 offset:1392
	ds_load_b128 v[36:39], v1 offset:1408
	s_waitcnt vmcnt(8) lgkmcnt(1)
	v_mul_f64 v[54:55], v[6:7], v[30:31]
	v_mul_f64 v[30:31], v[8:9], v[30:31]
	v_add_f64 v[56:57], v[22:23], v[56:57]
	v_add_f64 v[40:41], v[40:41], v[58:59]
	s_waitcnt vmcnt(7) lgkmcnt(0)
	v_mul_f64 v[58:59], v[36:37], v[44:45]
	v_mul_f64 v[44:45], v[38:39], v[44:45]
	scratch_load_b128 v[22:25], off, off offset:512
	v_fma_f64 v[54:55], v[8:9], v[28:29], v[54:55]
	v_fma_f64 v[30:31], v[6:7], v[28:29], -v[30:31]
	ds_load_b128 v[6:9], v1 offset:1424
	v_add_f64 v[52:53], v[56:57], v[52:53]
	v_add_f64 v[40:41], v[40:41], v[26:27]
	v_fma_f64 v[58:59], v[38:39], v[42:43], v[58:59]
	v_fma_f64 v[42:43], v[36:37], v[42:43], -v[44:45]
	s_clause 0x1
	scratch_load_b128 v[26:29], off, off offset:528
	scratch_load_b128 v[36:39], off, off offset:544
	s_waitcnt vmcnt(9)
	v_mul_f64 v[44:45], v[247:248], v[245:246]
	v_add_f64 v[30:31], v[40:41], v[30:31]
	v_add_f64 v[40:41], v[52:53], v[54:55]
	v_mul_f64 v[52:53], v[249:250], v[245:246]
	s_delay_alu instid0(VALU_DEP_4) | instskip(NEXT) | instid1(VALU_DEP_4)
	v_fma_f64 v[44:45], v[249:250], v[243:244], v[44:45]
	v_add_f64 v[30:31], v[30:31], v[42:43]
	s_delay_alu instid0(VALU_DEP_4)
	v_add_f64 v[58:59], v[40:41], v[58:59]
	ds_load_b128 v[40:43], v1 offset:1472
	s_waitcnt vmcnt(8) lgkmcnt(1)
	v_mul_f64 v[56:57], v[6:7], v[20:21]
	v_mul_f64 v[20:21], v[8:9], v[20:21]
	v_fma_f64 v[52:53], v[247:248], v[243:244], -v[52:53]
	scratch_load_b128 v[243:246], off, off offset:576
	ds_load_b128 v[247:250], v1 offset:1504
	v_fma_f64 v[54:55], v[8:9], v[18:19], v[56:57]
	v_fma_f64 v[56:57], v[6:7], v[18:19], -v[20:21]
	ds_load_b128 v[6:9], v1 offset:1456
	scratch_load_b128 v[18:21], off, off offset:560
	s_waitcnt vmcnt(8) lgkmcnt(0)
	v_mul_f64 v[60:61], v[6:7], v[12:13]
	v_mul_f64 v[12:13], v[8:9], v[12:13]
	v_add_f64 v[54:55], v[58:59], v[54:55]
	v_add_f64 v[30:31], v[30:31], v[56:57]
	v_mul_f64 v[56:57], v[40:41], v[181:182]
	v_mul_f64 v[58:59], v[42:43], v[181:182]
	v_fma_f64 v[60:61], v[8:9], v[10:11], v[60:61]
	v_fma_f64 v[62:63], v[6:7], v[10:11], -v[12:13]
	ds_load_b128 v[6:9], v1 offset:1488
	scratch_load_b128 v[10:13], off, off offset:592
	v_add_f64 v[44:45], v[54:55], v[44:45]
	v_add_f64 v[30:31], v[30:31], v[52:53]
	v_fma_f64 v[54:55], v[42:43], v[179:180], v[56:57]
	v_fma_f64 v[56:57], v[40:41], v[179:180], -v[58:59]
	ds_load_b128 v[179:182], v1 offset:1536
	scratch_load_b128 v[40:43], off, off offset:608
	s_waitcnt vmcnt(9) lgkmcnt(1)
	v_mul_f64 v[52:53], v[6:7], v[48:49]
	v_mul_f64 v[48:49], v[8:9], v[48:49]
	s_waitcnt vmcnt(8)
	v_mul_f64 v[58:59], v[247:248], v[16:17]
	v_mul_f64 v[16:17], v[249:250], v[16:17]
	v_add_f64 v[44:45], v[44:45], v[60:61]
	v_add_f64 v[30:31], v[30:31], v[62:63]
	v_fma_f64 v[52:53], v[8:9], v[46:47], v[52:53]
	v_fma_f64 v[48:49], v[6:7], v[46:47], -v[48:49]
	ds_load_b128 v[6:9], v1 offset:1520
	v_fma_f64 v[58:59], v[249:250], v[14:15], v[58:59]
	v_fma_f64 v[60:61], v[247:248], v[14:15], -v[16:17]
	ds_load_b128 v[247:250], v1 offset:1568
	scratch_load_b128 v[14:17], off, off offset:640
	v_add_f64 v[54:55], v[44:45], v[54:55]
	v_add_f64 v[30:31], v[30:31], v[56:57]
	scratch_load_b128 v[44:47], off, off offset:624
	s_waitcnt vmcnt(9) lgkmcnt(1)
	v_mul_f64 v[56:57], v[6:7], v[34:35]
	v_mul_f64 v[34:35], v[8:9], v[34:35]
	v_add_f64 v[30:31], v[30:31], v[48:49]
	v_add_f64 v[48:49], v[54:55], v[52:53]
	s_waitcnt vmcnt(8)
	v_mul_f64 v[52:53], v[179:180], v[24:25]
	v_mul_f64 v[24:25], v[181:182], v[24:25]
	v_fma_f64 v[54:55], v[8:9], v[32:33], v[56:57]
	v_fma_f64 v[34:35], v[6:7], v[32:33], -v[34:35]
	ds_load_b128 v[6:9], v1 offset:1552
	v_add_f64 v[56:57], v[30:31], v[60:61]
	v_add_f64 v[48:49], v[48:49], v[58:59]
	scratch_load_b128 v[30:33], off, off offset:656
	v_fma_f64 v[52:53], v[181:182], v[22:23], v[52:53]
	v_fma_f64 v[60:61], v[179:180], v[22:23], -v[24:25]
	ds_load_b128 v[179:182], v1 offset:1600
	s_waitcnt vmcnt(8) lgkmcnt(1)
	v_mul_f64 v[58:59], v[6:7], v[28:29]
	v_mul_f64 v[28:29], v[8:9], v[28:29]
	scratch_load_b128 v[22:25], off, off offset:672
	v_add_f64 v[34:35], v[56:57], v[34:35]
	v_add_f64 v[48:49], v[48:49], v[54:55]
	s_waitcnt vmcnt(8)
	v_mul_f64 v[54:55], v[247:248], v[38:39]
	v_mul_f64 v[38:39], v[249:250], v[38:39]
	v_fma_f64 v[56:57], v[8:9], v[26:27], v[58:59]
	v_fma_f64 v[58:59], v[6:7], v[26:27], -v[28:29]
	scratch_load_b128 v[26:29], off, off offset:688
	ds_load_b128 v[6:9], v1 offset:1584
	v_add_f64 v[34:35], v[34:35], v[60:61]
	v_add_f64 v[48:49], v[48:49], v[52:53]
	v_fma_f64 v[54:55], v[249:250], v[36:37], v[54:55]
	v_fma_f64 v[38:39], v[247:248], v[36:37], -v[38:39]
	s_waitcnt vmcnt(8) lgkmcnt(1)
	v_mul_f64 v[60:61], v[181:182], v[245:246]
	ds_load_b128 v[249:252], v1 offset:1664
	v_add_f64 v[58:59], v[34:35], v[58:59]
	v_add_f64 v[48:49], v[48:49], v[56:57]
	v_mul_f64 v[56:57], v[179:180], v[245:246]
	ds_load_b128 v[245:248], v1 offset:1632
	s_waitcnt vmcnt(7) lgkmcnt(2)
	v_mul_f64 v[52:53], v[6:7], v[20:21]
	v_mul_f64 v[20:21], v[8:9], v[20:21]
	scratch_load_b128 v[34:37], off, off offset:704
	v_add_f64 v[38:39], v[58:59], v[38:39]
	v_add_f64 v[48:49], v[48:49], v[54:55]
	v_fma_f64 v[56:57], v[181:182], v[243:244], v[56:57]
	v_fma_f64 v[58:59], v[179:180], v[243:244], -v[60:61]
	v_fma_f64 v[52:53], v[8:9], v[18:19], v[52:53]
	v_fma_f64 v[62:63], v[6:7], v[18:19], -v[20:21]
	scratch_load_b128 v[18:21], off, off offset:720
	ds_load_b128 v[6:9], v1 offset:1616
	scratch_load_b128 v[179:182], off, off offset:736
	s_waitcnt vmcnt(9) lgkmcnt(0)
	v_mul_f64 v[54:55], v[6:7], v[12:13]
	v_mul_f64 v[12:13], v[8:9], v[12:13]
	v_add_f64 v[48:49], v[48:49], v[52:53]
	v_add_f64 v[38:39], v[38:39], v[62:63]
	s_waitcnt vmcnt(8)
	v_mul_f64 v[52:53], v[245:246], v[42:43]
	v_mul_f64 v[42:43], v[247:248], v[42:43]
	v_fma_f64 v[54:55], v[8:9], v[10:11], v[54:55]
	v_fma_f64 v[60:61], v[6:7], v[10:11], -v[12:13]
	scratch_load_b128 v[10:13], off, off offset:752
	ds_load_b128 v[6:9], v1 offset:1648
	v_add_f64 v[48:49], v[48:49], v[56:57]
	v_add_f64 v[38:39], v[38:39], v[58:59]
	v_fma_f64 v[52:53], v[247:248], v[40:41], v[52:53]
	v_fma_f64 v[42:43], v[245:246], v[40:41], -v[42:43]
	ds_load_b128 v[243:246], v1 offset:1728
	s_waitcnt vmcnt(7) lgkmcnt(1)
	v_mul_f64 v[56:57], v[6:7], v[46:47]
	v_mul_f64 v[46:47], v[8:9], v[46:47]
	v_add_f64 v[48:49], v[48:49], v[54:55]
	v_add_f64 v[58:59], v[38:39], v[60:61]
	v_mul_f64 v[54:55], v[249:250], v[16:17]
	v_mul_f64 v[16:17], v[251:252], v[16:17]
	scratch_load_b128 v[38:41], off, off offset:768
	v_fma_f64 v[56:57], v[8:9], v[44:45], v[56:57]
	v_fma_f64 v[60:61], v[6:7], v[44:45], -v[46:47]
	ds_load_b128 v[6:9], v1 offset:1680
	v_add_f64 v[52:53], v[48:49], v[52:53]
	ds_load_b128 v[46:49], v1 offset:1696
	v_add_f64 v[58:59], v[58:59], v[42:43]
	v_fma_f64 v[54:55], v[251:252], v[14:15], v[54:55]
	v_fma_f64 v[64:65], v[249:250], v[14:15], -v[16:17]
	s_clause 0x1
	scratch_load_b128 v[42:45], off, off offset:784
	scratch_load_b128 v[14:17], off, off offset:800
	s_waitcnt vmcnt(9) lgkmcnt(1)
	v_mul_f64 v[62:63], v[6:7], v[32:33]
	v_mul_f64 v[32:33], v[8:9], v[32:33]
	v_add_f64 v[52:53], v[52:53], v[56:57]
	s_waitcnt vmcnt(8) lgkmcnt(0)
	v_mul_f64 v[56:57], v[46:47], v[24:25]
	v_add_f64 v[58:59], v[58:59], v[60:61]
	v_mul_f64 v[24:25], v[48:49], v[24:25]
	v_fma_f64 v[60:61], v[8:9], v[30:31], v[62:63]
	v_fma_f64 v[62:63], v[6:7], v[30:31], -v[32:33]
	scratch_load_b128 v[30:33], off, off offset:816
	ds_load_b128 v[6:9], v1 offset:1712
	v_add_f64 v[52:53], v[52:53], v[54:55]
	v_fma_f64 v[48:49], v[48:49], v[22:23], v[56:57]
	v_add_f64 v[58:59], v[58:59], v[64:65]
	v_fma_f64 v[46:47], v[46:47], v[22:23], -v[24:25]
	scratch_load_b128 v[22:25], off, off offset:832
	v_add_f64 v[52:53], v[52:53], v[60:61]
	v_add_f64 v[56:57], v[58:59], v[62:63]
	s_waitcnt vmcnt(8)
	v_mul_f64 v[58:59], v[243:244], v[36:37]
	v_mul_f64 v[36:37], v[245:246], v[36:37]
	s_delay_alu instid0(VALU_DEP_4) | instskip(NEXT) | instid1(VALU_DEP_4)
	v_add_f64 v[52:53], v[52:53], v[48:49]
	v_add_f64 v[56:57], v[56:57], v[46:47]
	ds_load_b128 v[46:49], v1 offset:1760
	s_waitcnt lgkmcnt(1)
	v_mul_f64 v[54:55], v[6:7], v[28:29]
	v_mul_f64 v[28:29], v[8:9], v[28:29]
	v_fma_f64 v[58:59], v[245:246], v[34:35], v[58:59]
	v_fma_f64 v[64:65], v[243:244], v[34:35], -v[36:37]
	ds_load_b128 v[243:246], v1 offset:1792
	scratch_load_b128 v[34:37], off, off offset:864
	v_fma_f64 v[54:55], v[8:9], v[26:27], v[54:55]
	v_fma_f64 v[60:61], v[6:7], v[26:27], -v[28:29]
	ds_load_b128 v[6:9], v1 offset:1744
	scratch_load_b128 v[26:29], off, off offset:848
	s_waitcnt vmcnt(9) lgkmcnt(0)
	v_mul_f64 v[62:63], v[6:7], v[20:21]
	v_mul_f64 v[20:21], v[8:9], v[20:21]
	v_add_f64 v[52:53], v[52:53], v[54:55]
	v_add_f64 v[56:57], v[56:57], v[60:61]
	s_waitcnt vmcnt(8)
	v_mul_f64 v[54:55], v[46:47], v[181:182]
	v_mul_f64 v[60:61], v[48:49], v[181:182]
	v_fma_f64 v[62:63], v[8:9], v[18:19], v[62:63]
	v_fma_f64 v[66:67], v[6:7], v[18:19], -v[20:21]
	ds_load_b128 v[6:9], v1 offset:1776
	scratch_load_b128 v[18:21], off, off offset:880
	v_add_f64 v[52:53], v[52:53], v[58:59]
	v_add_f64 v[56:57], v[56:57], v[64:65]
	v_fma_f64 v[54:55], v[48:49], v[179:180], v[54:55]
	v_fma_f64 v[60:61], v[46:47], v[179:180], -v[60:61]
	ds_load_b128 v[179:182], v1 offset:1824
	scratch_load_b128 v[46:49], off, off offset:896
	s_waitcnt vmcnt(9) lgkmcnt(1)
	v_mul_f64 v[58:59], v[6:7], v[12:13]
	v_mul_f64 v[12:13], v[8:9], v[12:13]
	v_add_f64 v[52:53], v[52:53], v[62:63]
	v_add_f64 v[56:57], v[56:57], v[66:67]
	s_waitcnt vmcnt(8)
	v_mul_f64 v[62:63], v[243:244], v[40:41]
	v_mul_f64 v[40:41], v[245:246], v[40:41]
	v_fma_f64 v[58:59], v[8:9], v[10:11], v[58:59]
	v_fma_f64 v[64:65], v[6:7], v[10:11], -v[12:13]
	scratch_load_b128 v[10:13], off, off offset:912
	ds_load_b128 v[6:9], v1 offset:1808
	v_add_f64 v[52:53], v[52:53], v[54:55]
	v_add_f64 v[56:57], v[56:57], v[60:61]
	v_fma_f64 v[60:61], v[245:246], v[38:39], v[62:63]
	v_fma_f64 v[62:63], v[243:244], v[38:39], -v[40:41]
	ds_load_b128 v[243:246], v1 offset:1856
	s_waitcnt vmcnt(8) lgkmcnt(1)
	v_mul_f64 v[54:55], v[6:7], v[44:45]
	v_mul_f64 v[44:45], v[8:9], v[44:45]
	scratch_load_b128 v[38:41], off, off offset:928
	v_add_f64 v[52:53], v[52:53], v[58:59]
	v_add_f64 v[56:57], v[56:57], v[64:65]
	s_waitcnt vmcnt(8)
	v_mul_f64 v[58:59], v[179:180], v[16:17]
	v_mul_f64 v[16:17], v[181:182], v[16:17]
	v_fma_f64 v[54:55], v[8:9], v[42:43], v[54:55]
	v_fma_f64 v[64:65], v[6:7], v[42:43], -v[44:45]
	scratch_load_b128 v[42:45], off, off offset:944
	ds_load_b128 v[6:9], v1 offset:1840
	v_add_f64 v[52:53], v[52:53], v[60:61]
	v_add_f64 v[56:57], v[56:57], v[62:63]
	v_fma_f64 v[58:59], v[181:182], v[14:15], v[58:59]
	v_fma_f64 v[62:63], v[179:180], v[14:15], -v[16:17]
	ds_load_b128 v[179:182], v1 offset:1888
	s_waitcnt vmcnt(8) lgkmcnt(1)
	v_mul_f64 v[60:61], v[6:7], v[32:33]
	v_mul_f64 v[32:33], v[8:9], v[32:33]
	scratch_load_b128 v[14:17], off, off offset:960
	v_add_f64 v[52:53], v[52:53], v[54:55]
	v_add_f64 v[56:57], v[56:57], v[64:65]
	s_waitcnt vmcnt(8)
	v_mul_f64 v[54:55], v[243:244], v[24:25]
	v_mul_f64 v[24:25], v[245:246], v[24:25]
	v_fma_f64 v[60:61], v[8:9], v[30:31], v[60:61]
	v_fma_f64 v[64:65], v[6:7], v[30:31], -v[32:33]
	scratch_load_b128 v[30:33], off, off offset:976
	ds_load_b128 v[6:9], v1 offset:1872
	v_add_f64 v[52:53], v[52:53], v[58:59]
	v_add_f64 v[56:57], v[56:57], v[62:63]
	v_fma_f64 v[54:55], v[245:246], v[22:23], v[54:55]
	v_fma_f64 v[62:63], v[243:244], v[22:23], -v[24:25]
	ds_load_b128 v[243:246], v1 offset:1920
	scratch_load_b128 v[22:25], off, off offset:992
	s_waitcnt vmcnt(8) lgkmcnt(1)
	v_mul_f64 v[58:59], v[6:7], v[28:29]
	v_mul_f64 v[28:29], v[8:9], v[28:29]
	v_add_f64 v[52:53], v[52:53], v[60:61]
	v_add_f64 v[56:57], v[56:57], v[64:65]
	v_mul_f64 v[60:61], v[179:180], v[36:37]
	v_mul_f64 v[36:37], v[181:182], v[36:37]
	v_fma_f64 v[58:59], v[8:9], v[26:27], v[58:59]
	v_fma_f64 v[64:65], v[6:7], v[26:27], -v[28:29]
	scratch_load_b128 v[26:29], off, off offset:1008
	ds_load_b128 v[6:9], v1 offset:1904
	v_add_f64 v[52:53], v[52:53], v[54:55]
	v_add_f64 v[56:57], v[56:57], v[62:63]
	v_fma_f64 v[60:61], v[181:182], v[34:35], v[60:61]
	v_fma_f64 v[34:35], v[179:180], v[34:35], -v[36:37]
	s_waitcnt vmcnt(8) lgkmcnt(0)
	v_mul_f64 v[54:55], v[6:7], v[20:21]
	v_mul_f64 v[20:21], v[8:9], v[20:21]
	v_add_f64 v[52:53], v[52:53], v[58:59]
	v_add_f64 v[36:37], v[56:57], v[64:65]
	s_waitcnt vmcnt(7)
	v_mul_f64 v[56:57], v[243:244], v[48:49]
	v_mul_f64 v[48:49], v[245:246], v[48:49]
	v_fma_f64 v[54:55], v[8:9], v[18:19], v[54:55]
	v_fma_f64 v[58:59], v[6:7], v[18:19], -v[20:21]
	ds_load_b128 v[6:9], v1 offset:1936
	ds_load_b128 v[18:21], v1 offset:1952
	v_add_f64 v[34:35], v[36:37], v[34:35]
	v_add_f64 v[36:37], v[52:53], v[60:61]
	s_waitcnt vmcnt(6) lgkmcnt(1)
	v_mul_f64 v[52:53], v[6:7], v[12:13]
	v_mul_f64 v[12:13], v[8:9], v[12:13]
	v_fma_f64 v[56:57], v[245:246], v[46:47], v[56:57]
	v_fma_f64 v[46:47], v[243:244], v[46:47], -v[48:49]
	s_waitcnt vmcnt(5) lgkmcnt(0)
	v_mul_f64 v[48:49], v[18:19], v[40:41]
	v_mul_f64 v[40:41], v[20:21], v[40:41]
	v_add_f64 v[34:35], v[34:35], v[58:59]
	v_add_f64 v[36:37], v[36:37], v[54:55]
	v_fma_f64 v[52:53], v[8:9], v[10:11], v[52:53]
	v_fma_f64 v[54:55], v[6:7], v[10:11], -v[12:13]
	ds_load_b128 v[6:9], v1 offset:1968
	ds_load_b128 v[10:13], v1 offset:1984
	v_fma_f64 v[20:21], v[20:21], v[38:39], v[48:49]
	v_fma_f64 v[18:19], v[18:19], v[38:39], -v[40:41]
	v_add_f64 v[34:35], v[34:35], v[46:47]
	v_add_f64 v[36:37], v[36:37], v[56:57]
	s_waitcnt vmcnt(4) lgkmcnt(1)
	v_mul_f64 v[46:47], v[6:7], v[44:45]
	v_mul_f64 v[44:45], v[8:9], v[44:45]
	s_waitcnt vmcnt(3) lgkmcnt(0)
	v_mul_f64 v[38:39], v[10:11], v[16:17]
	v_mul_f64 v[40:41], v[12:13], v[16:17]
	v_add_f64 v[34:35], v[34:35], v[54:55]
	v_add_f64 v[36:37], v[36:37], v[52:53]
	v_fma_f64 v[46:47], v[8:9], v[42:43], v[46:47]
	v_fma_f64 v[42:43], v[6:7], v[42:43], -v[44:45]
	v_fma_f64 v[12:13], v[12:13], v[14:15], v[38:39]
	v_fma_f64 v[10:11], v[10:11], v[14:15], -v[40:41]
	v_add_f64 v[34:35], v[34:35], v[18:19]
	v_add_f64 v[20:21], v[36:37], v[20:21]
	ds_load_b128 v[6:9], v1 offset:2000
	ds_load_b128 v[16:19], v1 offset:2016
	s_waitcnt vmcnt(2) lgkmcnt(1)
	v_mul_f64 v[36:37], v[6:7], v[32:33]
	v_mul_f64 v[32:33], v[8:9], v[32:33]
	v_add_f64 v[14:15], v[34:35], v[42:43]
	v_add_f64 v[20:21], v[20:21], v[46:47]
	s_waitcnt vmcnt(1) lgkmcnt(0)
	v_mul_f64 v[34:35], v[16:17], v[24:25]
	v_mul_f64 v[24:25], v[18:19], v[24:25]
	v_fma_f64 v[36:37], v[8:9], v[30:31], v[36:37]
	v_fma_f64 v[30:31], v[6:7], v[30:31], -v[32:33]
	ds_load_b128 v[6:9], v1 offset:2032
	v_add_f64 v[10:11], v[14:15], v[10:11]
	v_add_f64 v[12:13], v[20:21], v[12:13]
	v_fma_f64 v[18:19], v[18:19], v[22:23], v[34:35]
	v_fma_f64 v[16:17], v[16:17], v[22:23], -v[24:25]
	s_waitcnt vmcnt(0) lgkmcnt(0)
	v_mul_f64 v[14:15], v[6:7], v[28:29]
	v_mul_f64 v[20:21], v[8:9], v[28:29]
	v_add_f64 v[10:11], v[10:11], v[30:31]
	v_add_f64 v[12:13], v[12:13], v[36:37]
	s_delay_alu instid0(VALU_DEP_4) | instskip(NEXT) | instid1(VALU_DEP_4)
	v_fma_f64 v[8:9], v[8:9], v[26:27], v[14:15]
	v_fma_f64 v[6:7], v[6:7], v[26:27], -v[20:21]
	s_delay_alu instid0(VALU_DEP_4) | instskip(NEXT) | instid1(VALU_DEP_4)
	v_add_f64 v[10:11], v[10:11], v[16:17]
	v_add_f64 v[12:13], v[12:13], v[18:19]
	s_delay_alu instid0(VALU_DEP_2) | instskip(NEXT) | instid1(VALU_DEP_2)
	v_add_f64 v[6:7], v[10:11], v[6:7]
	v_add_f64 v[8:9], v[12:13], v[8:9]
	s_delay_alu instid0(VALU_DEP_2) | instskip(NEXT) | instid1(VALU_DEP_2)
	v_add_f64 v[2:3], v[2:3], -v[6:7]
	v_add_f64 v[4:5], v[4:5], -v[8:9]
	scratch_store_b128 off, v[2:5], off offset:128
	v_cmpx_lt_u32_e32 7, v178
	s_cbranch_execz .LBB127_394
; %bb.393:
	scratch_load_b32 v2, off, off offset:1212 ; 4-byte Folded Reload
	v_mov_b32_e32 v3, v1
	v_mov_b32_e32 v4, v1
	s_waitcnt vmcnt(0)
	scratch_load_b128 v[5:8], v2, off
	v_mov_b32_e32 v2, v1
	scratch_store_b128 off, v[1:4], off offset:112
	s_waitcnt vmcnt(0)
	ds_store_b128 v255, v[5:8]
.LBB127_394:
	s_or_b32 exec_lo, exec_lo, s2
	s_waitcnt lgkmcnt(0)
	s_waitcnt_vscnt null, 0x0
	s_barrier
	buffer_gl0_inv
	s_clause 0x8
	scratch_load_b128 v[34:37], off, off offset:128
	scratch_load_b128 v[38:41], off, off offset:144
	;; [unrolled: 1-line block ×9, first 2 shown]
	ds_load_b128 v[46:49], v1 offset:1152
	ds_load_b128 v[42:45], v1 offset:1168
	s_clause 0x1
	scratch_load_b128 v[2:5], off, off offset:112
	scratch_load_b128 v[179:182], off, off offset:272
	s_mov_b32 s2, exec_lo
	ds_load_b128 v[243:246], v1 offset:1200
	ds_load_b128 v[247:250], v1 offset:1328
	s_waitcnt vmcnt(10) lgkmcnt(3)
	v_mul_f64 v[52:53], v[48:49], v[36:37]
	v_mul_f64 v[36:37], v[46:47], v[36:37]
	s_waitcnt vmcnt(9) lgkmcnt(2)
	v_mul_f64 v[54:55], v[42:43], v[40:41]
	v_mul_f64 v[40:41], v[44:45], v[40:41]
	s_waitcnt vmcnt(7) lgkmcnt(1)
	v_mul_f64 v[60:61], v[245:246], v[28:29]
	v_fma_f64 v[52:53], v[46:47], v[34:35], -v[52:53]
	v_fma_f64 v[56:57], v[48:49], v[34:35], v[36:37]
	ds_load_b128 v[34:37], v1 offset:1184
	scratch_load_b128 v[46:49], off, off offset:288
	v_fma_f64 v[44:45], v[44:45], v[38:39], v[54:55]
	v_fma_f64 v[42:43], v[42:43], v[38:39], -v[40:41]
	scratch_load_b128 v[38:41], off, off offset:304
	v_fma_f64 v[60:61], v[243:244], v[26:27], -v[60:61]
	s_waitcnt lgkmcnt(0)
	v_mul_f64 v[58:59], v[34:35], v[32:33]
	v_mul_f64 v[32:33], v[36:37], v[32:33]
	v_add_f64 v[52:53], v[52:53], 0
	v_add_f64 v[54:55], v[56:57], 0
	v_mul_f64 v[56:57], v[243:244], v[28:29]
	v_fma_f64 v[36:37], v[36:37], v[30:31], v[58:59]
	v_fma_f64 v[58:59], v[34:35], v[30:31], -v[32:33]
	ds_load_b128 v[28:31], v1 offset:1216
	scratch_load_b128 v[32:35], off, off offset:320
	v_add_f64 v[52:53], v[52:53], v[42:43]
	v_add_f64 v[54:55], v[54:55], v[44:45]
	ds_load_b128 v[42:45], v1 offset:1232
	v_fma_f64 v[56:57], v[245:246], v[26:27], v[56:57]
	ds_load_b128 v[243:246], v1 offset:1264
	s_waitcnt vmcnt(9) lgkmcnt(2)
	v_mul_f64 v[62:63], v[28:29], v[24:25]
	v_mul_f64 v[64:65], v[30:31], v[24:25]
	scratch_load_b128 v[24:27], off, off offset:336
	v_add_f64 v[52:53], v[52:53], v[58:59]
	v_add_f64 v[36:37], v[54:55], v[36:37]
	s_waitcnt vmcnt(9) lgkmcnt(1)
	v_mul_f64 v[54:55], v[42:43], v[20:21]
	v_mul_f64 v[58:59], v[44:45], v[20:21]
	v_fma_f64 v[62:63], v[30:31], v[22:23], v[62:63]
	v_fma_f64 v[64:65], v[28:29], v[22:23], -v[64:65]
	ds_load_b128 v[20:23], v1 offset:1248
	scratch_load_b128 v[28:31], off, off offset:352
	v_add_f64 v[52:53], v[52:53], v[60:61]
	v_add_f64 v[36:37], v[36:37], v[56:57]
	s_waitcnt vmcnt(9) lgkmcnt(0)
	v_mul_f64 v[56:57], v[20:21], v[16:17]
	v_mul_f64 v[60:61], v[22:23], v[16:17]
	v_fma_f64 v[44:45], v[44:45], v[18:19], v[54:55]
	v_fma_f64 v[42:43], v[42:43], v[18:19], -v[58:59]
	scratch_load_b128 v[16:19], off, off offset:368
	s_waitcnt vmcnt(9)
	v_mul_f64 v[54:55], v[243:244], v[12:13]
	v_mul_f64 v[58:59], v[245:246], v[12:13]
	v_add_f64 v[52:53], v[52:53], v[64:65]
	v_add_f64 v[36:37], v[36:37], v[62:63]
	v_fma_f64 v[56:57], v[22:23], v[14:15], v[56:57]
	v_fma_f64 v[60:61], v[20:21], v[14:15], -v[60:61]
	ds_load_b128 v[12:15], v1 offset:1280
	scratch_load_b128 v[20:23], off, off offset:384
	v_fma_f64 v[54:55], v[245:246], v[10:11], v[54:55]
	v_fma_f64 v[58:59], v[243:244], v[10:11], -v[58:59]
	scratch_load_b128 v[243:246], off, off offset:416
	v_add_f64 v[52:53], v[52:53], v[42:43]
	v_add_f64 v[36:37], v[36:37], v[44:45]
	ds_load_b128 v[42:45], v1 offset:1296
	s_waitcnt vmcnt(10) lgkmcnt(1)
	v_mul_f64 v[62:63], v[12:13], v[8:9]
	v_mul_f64 v[64:65], v[14:15], v[8:9]
	scratch_load_b128 v[8:11], off, off offset:400
	v_add_f64 v[52:53], v[52:53], v[60:61]
	v_add_f64 v[36:37], v[36:37], v[56:57]
	s_waitcnt vmcnt(9) lgkmcnt(0)
	v_mul_f64 v[56:57], v[42:43], v[181:182]
	v_mul_f64 v[60:61], v[44:45], v[181:182]
	v_fma_f64 v[62:63], v[14:15], v[6:7], v[62:63]
	v_fma_f64 v[6:7], v[12:13], v[6:7], -v[64:65]
	ds_load_b128 v[12:15], v1 offset:1312
	v_add_f64 v[52:53], v[52:53], v[58:59]
	v_add_f64 v[36:37], v[36:37], v[54:55]
	v_fma_f64 v[56:57], v[44:45], v[179:180], v[56:57]
	v_fma_f64 v[58:59], v[42:43], v[179:180], -v[60:61]
	scratch_load_b128 v[42:45], off, off offset:432
	ds_load_b128 v[179:182], v1 offset:1360
	s_waitcnt vmcnt(9) lgkmcnt(1)
	v_mul_f64 v[54:55], v[12:13], v[48:49]
	v_mul_f64 v[48:49], v[14:15], v[48:49]
	v_add_f64 v[6:7], v[52:53], v[6:7]
	v_add_f64 v[36:37], v[36:37], v[62:63]
	s_waitcnt vmcnt(8)
	v_mul_f64 v[52:53], v[247:248], v[40:41]
	v_mul_f64 v[40:41], v[249:250], v[40:41]
	v_fma_f64 v[54:55], v[14:15], v[46:47], v[54:55]
	v_fma_f64 v[60:61], v[12:13], v[46:47], -v[48:49]
	ds_load_b128 v[12:15], v1 offset:1344
	scratch_load_b128 v[46:49], off, off offset:448
	v_add_f64 v[6:7], v[6:7], v[58:59]
	v_add_f64 v[36:37], v[36:37], v[56:57]
	v_fma_f64 v[52:53], v[249:250], v[38:39], v[52:53]
	s_waitcnt vmcnt(8) lgkmcnt(0)
	v_mul_f64 v[56:57], v[12:13], v[34:35]
	v_mul_f64 v[58:59], v[14:15], v[34:35]
	v_fma_f64 v[38:39], v[247:248], v[38:39], -v[40:41]
	ds_load_b128 v[247:250], v1 offset:1392
	v_add_f64 v[6:7], v[6:7], v[60:61]
	v_add_f64 v[40:41], v[36:37], v[54:55]
	scratch_load_b128 v[34:37], off, off offset:464
	s_waitcnt vmcnt(8)
	v_mul_f64 v[54:55], v[179:180], v[26:27]
	v_mul_f64 v[26:27], v[181:182], v[26:27]
	v_fma_f64 v[56:57], v[14:15], v[32:33], v[56:57]
	v_fma_f64 v[32:33], v[12:13], v[32:33], -v[58:59]
	ds_load_b128 v[12:15], v1 offset:1376
	s_waitcnt vmcnt(7) lgkmcnt(0)
	v_mul_f64 v[58:59], v[12:13], v[30:31]
	v_mul_f64 v[30:31], v[14:15], v[30:31]
	v_add_f64 v[6:7], v[6:7], v[38:39]
	v_add_f64 v[52:53], v[40:41], v[52:53]
	scratch_load_b128 v[38:41], off, off offset:480
	v_fma_f64 v[54:55], v[181:182], v[24:25], v[54:55]
	v_fma_f64 v[60:61], v[179:180], v[24:25], -v[26:27]
	scratch_load_b128 v[24:27], off, off offset:496
	ds_load_b128 v[179:182], v1 offset:1424
	v_add_f64 v[6:7], v[6:7], v[32:33]
	v_add_f64 v[32:33], v[52:53], v[56:57]
	s_waitcnt vmcnt(8)
	v_mul_f64 v[52:53], v[247:248], v[18:19]
	v_mul_f64 v[18:19], v[249:250], v[18:19]
	v_fma_f64 v[56:57], v[14:15], v[28:29], v[58:59]
	v_fma_f64 v[58:59], v[12:13], v[28:29], -v[30:31]
	ds_load_b128 v[12:15], v1 offset:1408
	scratch_load_b128 v[28:31], off, off offset:512
	v_add_f64 v[6:7], v[6:7], v[60:61]
	v_add_f64 v[32:33], v[32:33], v[54:55]
	s_waitcnt vmcnt(8) lgkmcnt(0)
	v_mul_f64 v[54:55], v[12:13], v[22:23]
	v_mul_f64 v[22:23], v[14:15], v[22:23]
	v_fma_f64 v[52:53], v[249:250], v[16:17], v[52:53]
	v_fma_f64 v[60:61], v[247:248], v[16:17], -v[18:19]
	scratch_load_b128 v[16:19], off, off offset:528
	ds_load_b128 v[247:250], v1 offset:1456
	v_add_f64 v[6:7], v[6:7], v[58:59]
	v_add_f64 v[32:33], v[32:33], v[56:57]
	s_waitcnt vmcnt(7)
	v_mul_f64 v[56:57], v[179:180], v[10:11]
	v_mul_f64 v[58:59], v[181:182], v[10:11]
	v_fma_f64 v[14:15], v[14:15], v[20:21], v[54:55]
	v_fma_f64 v[54:55], v[12:13], v[20:21], -v[22:23]
	ds_load_b128 v[10:13], v1 offset:1440
	scratch_load_b128 v[20:23], off, off offset:544
	v_add_f64 v[6:7], v[6:7], v[60:61]
	v_add_f64 v[32:33], v[32:33], v[52:53]
	s_waitcnt lgkmcnt(0)
	v_mul_f64 v[52:53], v[10:11], v[245:246]
	v_mul_f64 v[60:61], v[12:13], v[245:246]
	v_fma_f64 v[56:57], v[181:182], v[8:9], v[56:57]
	v_fma_f64 v[58:59], v[179:180], v[8:9], -v[58:59]
	scratch_load_b128 v[179:182], off, off offset:576
	v_add_f64 v[54:55], v[6:7], v[54:55]
	v_add_f64 v[14:15], v[32:33], v[14:15]
	scratch_load_b128 v[6:9], off, off offset:560
	s_waitcnt vmcnt(9)
	v_mul_f64 v[32:33], v[247:248], v[44:45]
	v_mul_f64 v[44:45], v[249:250], v[44:45]
	v_fma_f64 v[52:53], v[12:13], v[243:244], v[52:53]
	v_fma_f64 v[60:61], v[10:11], v[243:244], -v[60:61]
	ds_load_b128 v[10:13], v1 offset:1472
	ds_load_b128 v[243:246], v1 offset:1488
	v_add_f64 v[54:55], v[54:55], v[58:59]
	v_add_f64 v[14:15], v[14:15], v[56:57]
	s_waitcnt vmcnt(8) lgkmcnt(1)
	v_mul_f64 v[56:57], v[10:11], v[48:49]
	v_mul_f64 v[48:49], v[12:13], v[48:49]
	v_fma_f64 v[32:33], v[249:250], v[42:43], v[32:33]
	v_fma_f64 v[58:59], v[247:248], v[42:43], -v[44:45]
	scratch_load_b128 v[42:45], off, off offset:592
	ds_load_b128 v[247:250], v1 offset:1520
	v_add_f64 v[54:55], v[54:55], v[60:61]
	v_add_f64 v[14:15], v[14:15], v[52:53]
	v_fma_f64 v[56:57], v[12:13], v[46:47], v[56:57]
	v_fma_f64 v[60:61], v[10:11], v[46:47], -v[48:49]
	ds_load_b128 v[10:13], v1 offset:1504
	scratch_load_b128 v[46:49], off, off offset:608
	s_waitcnt vmcnt(9) lgkmcnt(2)
	v_mul_f64 v[52:53], v[243:244], v[36:37]
	v_mul_f64 v[36:37], v[245:246], v[36:37]
	v_add_f64 v[54:55], v[54:55], v[58:59]
	v_add_f64 v[14:15], v[14:15], v[32:33]
	s_waitcnt vmcnt(8) lgkmcnt(0)
	v_mul_f64 v[58:59], v[10:11], v[40:41]
	v_mul_f64 v[40:41], v[12:13], v[40:41]
	v_fma_f64 v[52:53], v[245:246], v[34:35], v[52:53]
	v_fma_f64 v[36:37], v[243:244], v[34:35], -v[36:37]
	scratch_load_b128 v[32:35], off, off offset:624
	ds_load_b128 v[243:246], v1 offset:1552
	v_add_f64 v[54:55], v[54:55], v[60:61]
	v_add_f64 v[14:15], v[14:15], v[56:57]
	s_waitcnt vmcnt(8)
	v_mul_f64 v[56:57], v[247:248], v[26:27]
	v_mul_f64 v[26:27], v[249:250], v[26:27]
	v_fma_f64 v[58:59], v[12:13], v[38:39], v[58:59]
	v_fma_f64 v[40:41], v[10:11], v[38:39], -v[40:41]
	ds_load_b128 v[10:13], v1 offset:1536
	v_add_f64 v[54:55], v[54:55], v[36:37]
	v_add_f64 v[14:15], v[14:15], v[52:53]
	scratch_load_b128 v[36:39], off, off offset:640
	s_waitcnt vmcnt(8) lgkmcnt(0)
	v_mul_f64 v[52:53], v[10:11], v[30:31]
	v_mul_f64 v[30:31], v[12:13], v[30:31]
	v_fma_f64 v[56:57], v[249:250], v[24:25], v[56:57]
	v_fma_f64 v[60:61], v[247:248], v[24:25], -v[26:27]
	scratch_load_b128 v[24:27], off, off offset:656
	ds_load_b128 v[247:250], v1 offset:1584
	v_add_f64 v[40:41], v[54:55], v[40:41]
	v_add_f64 v[14:15], v[14:15], v[58:59]
	s_waitcnt vmcnt(8)
	v_mul_f64 v[54:55], v[243:244], v[18:19]
	v_mul_f64 v[18:19], v[245:246], v[18:19]
	v_fma_f64 v[52:53], v[12:13], v[28:29], v[52:53]
	v_fma_f64 v[58:59], v[10:11], v[28:29], -v[30:31]
	ds_load_b128 v[10:13], v1 offset:1568
	scratch_load_b128 v[28:31], off, off offset:672
	v_add_f64 v[40:41], v[40:41], v[60:61]
	v_add_f64 v[14:15], v[14:15], v[56:57]
	s_waitcnt vmcnt(8) lgkmcnt(0)
	v_mul_f64 v[56:57], v[10:11], v[22:23]
	v_mul_f64 v[22:23], v[12:13], v[22:23]
	v_fma_f64 v[54:55], v[245:246], v[16:17], v[54:55]
	v_fma_f64 v[18:19], v[243:244], v[16:17], -v[18:19]
	ds_load_b128 v[243:246], v1 offset:1616
	v_add_f64 v[40:41], v[40:41], v[58:59]
	v_add_f64 v[52:53], v[14:15], v[52:53]
	scratch_load_b128 v[14:17], off, off offset:688
	v_fma_f64 v[12:13], v[12:13], v[20:21], v[56:57]
	v_fma_f64 v[22:23], v[10:11], v[20:21], -v[22:23]
	s_waitcnt vmcnt(7)
	v_mul_f64 v[58:59], v[247:248], v[8:9]
	v_mul_f64 v[60:61], v[249:250], v[8:9]
	ds_load_b128 v[8:11], v1 offset:1600
	v_add_f64 v[40:41], v[40:41], v[18:19]
	v_add_f64 v[52:53], v[52:53], v[54:55]
	scratch_load_b128 v[18:21], off, off offset:704
	s_waitcnt lgkmcnt(0)
	v_mul_f64 v[54:55], v[8:9], v[181:182]
	v_mul_f64 v[56:57], v[10:11], v[181:182]
	v_fma_f64 v[58:59], v[249:250], v[6:7], v[58:59]
	v_fma_f64 v[6:7], v[247:248], v[6:7], -v[60:61]
	scratch_load_b128 v[247:250], off, off offset:720
	v_add_f64 v[22:23], v[40:41], v[22:23]
	v_add_f64 v[12:13], v[52:53], v[12:13]
	s_waitcnt vmcnt(8)
	v_mul_f64 v[40:41], v[243:244], v[44:45]
	v_mul_f64 v[44:45], v[245:246], v[44:45]
	v_fma_f64 v[52:53], v[10:11], v[179:180], v[54:55]
	v_fma_f64 v[54:55], v[8:9], v[179:180], -v[56:57]
	ds_load_b128 v[179:182], v1 offset:1648
	v_add_f64 v[22:23], v[22:23], v[6:7]
	v_add_f64 v[56:57], v[12:13], v[58:59]
	ds_load_b128 v[6:9], v1 offset:1632
	scratch_load_b128 v[10:13], off, off offset:736
	v_fma_f64 v[60:61], v[245:246], v[42:43], v[40:41]
	v_fma_f64 v[44:45], v[243:244], v[42:43], -v[44:45]
	scratch_load_b128 v[40:43], off, off offset:752
	ds_load_b128 v[243:246], v1 offset:1680
	s_waitcnt vmcnt(9) lgkmcnt(1)
	v_mul_f64 v[58:59], v[6:7], v[48:49]
	v_mul_f64 v[48:49], v[8:9], v[48:49]
	v_add_f64 v[22:23], v[22:23], v[54:55]
	v_add_f64 v[52:53], v[56:57], v[52:53]
	s_waitcnt vmcnt(8)
	v_mul_f64 v[54:55], v[179:180], v[34:35]
	v_mul_f64 v[34:35], v[181:182], v[34:35]
	v_fma_f64 v[56:57], v[8:9], v[46:47], v[58:59]
	v_fma_f64 v[48:49], v[6:7], v[46:47], -v[48:49]
	ds_load_b128 v[6:9], v1 offset:1664
	v_add_f64 v[22:23], v[22:23], v[44:45]
	v_add_f64 v[52:53], v[52:53], v[60:61]
	scratch_load_b128 v[44:47], off, off offset:768
	v_fma_f64 v[54:55], v[181:182], v[32:33], v[54:55]
	v_fma_f64 v[60:61], v[179:180], v[32:33], -v[34:35]
	scratch_load_b128 v[32:35], off, off offset:784
	ds_load_b128 v[179:182], v1 offset:1712
	s_waitcnt vmcnt(9) lgkmcnt(1)
	v_mul_f64 v[58:59], v[6:7], v[38:39]
	v_mul_f64 v[38:39], v[8:9], v[38:39]
	v_add_f64 v[22:23], v[22:23], v[48:49]
	v_add_f64 v[48:49], v[52:53], v[56:57]
	s_waitcnt vmcnt(8)
	v_mul_f64 v[52:53], v[243:244], v[26:27]
	v_mul_f64 v[26:27], v[245:246], v[26:27]
	v_fma_f64 v[56:57], v[8:9], v[36:37], v[58:59]
	v_fma_f64 v[58:59], v[6:7], v[36:37], -v[38:39]
	ds_load_b128 v[6:9], v1 offset:1696
	scratch_load_b128 v[36:39], off, off offset:800
	v_add_f64 v[22:23], v[22:23], v[60:61]
	v_add_f64 v[48:49], v[48:49], v[54:55]
	s_waitcnt vmcnt(8) lgkmcnt(0)
	v_mul_f64 v[54:55], v[6:7], v[30:31]
	v_mul_f64 v[30:31], v[8:9], v[30:31]
	v_fma_f64 v[52:53], v[245:246], v[24:25], v[52:53]
	v_fma_f64 v[26:27], v[243:244], v[24:25], -v[26:27]
	ds_load_b128 v[243:246], v1 offset:1744
	v_add_f64 v[58:59], v[22:23], v[58:59]
	scratch_load_b128 v[22:25], off, off offset:816
	v_add_f64 v[48:49], v[48:49], v[56:57]
	v_fma_f64 v[54:55], v[8:9], v[28:29], v[54:55]
	v_fma_f64 v[30:31], v[6:7], v[28:29], -v[30:31]
	ds_load_b128 v[6:9], v1 offset:1728
	s_waitcnt vmcnt(8)
	v_mul_f64 v[56:57], v[179:180], v[16:17]
	v_mul_f64 v[16:17], v[181:182], v[16:17]
	v_add_f64 v[58:59], v[58:59], v[26:27]
	scratch_load_b128 v[26:29], off, off offset:832
	v_add_f64 v[48:49], v[48:49], v[52:53]
	s_waitcnt vmcnt(8) lgkmcnt(0)
	v_mul_f64 v[52:53], v[6:7], v[20:21]
	v_mul_f64 v[20:21], v[8:9], v[20:21]
	v_fma_f64 v[56:57], v[181:182], v[14:15], v[56:57]
	v_fma_f64 v[60:61], v[179:180], v[14:15], -v[16:17]
	scratch_load_b128 v[14:17], off, off offset:848
	ds_load_b128 v[179:182], v1 offset:1776
	v_add_f64 v[30:31], v[58:59], v[30:31]
	s_waitcnt vmcnt(8)
	v_mul_f64 v[58:59], v[245:246], v[249:250]
	v_add_f64 v[48:49], v[48:49], v[54:55]
	v_mul_f64 v[54:55], v[243:244], v[249:250]
	v_fma_f64 v[52:53], v[8:9], v[18:19], v[52:53]
	v_fma_f64 v[62:63], v[6:7], v[18:19], -v[20:21]
	ds_load_b128 v[6:9], v1 offset:1760
	scratch_load_b128 v[18:21], off, off offset:864
	v_add_f64 v[30:31], v[30:31], v[60:61]
	v_fma_f64 v[58:59], v[243:244], v[247:248], -v[58:59]
	v_add_f64 v[48:49], v[48:49], v[56:57]
	v_fma_f64 v[54:55], v[245:246], v[247:248], v[54:55]
	scratch_load_b128 v[243:246], off, off offset:880
	ds_load_b128 v[247:250], v1 offset:1808
	s_waitcnt vmcnt(9) lgkmcnt(1)
	v_mul_f64 v[56:57], v[6:7], v[12:13]
	v_mul_f64 v[12:13], v[8:9], v[12:13]
	v_add_f64 v[30:31], v[30:31], v[62:63]
	v_add_f64 v[48:49], v[48:49], v[52:53]
	s_waitcnt vmcnt(8)
	v_mul_f64 v[52:53], v[179:180], v[42:43]
	v_mul_f64 v[42:43], v[181:182], v[42:43]
	v_fma_f64 v[56:57], v[8:9], v[10:11], v[56:57]
	v_fma_f64 v[60:61], v[6:7], v[10:11], -v[12:13]
	ds_load_b128 v[6:9], v1 offset:1792
	scratch_load_b128 v[10:13], off, off offset:896
	v_add_f64 v[30:31], v[30:31], v[58:59]
	v_add_f64 v[48:49], v[48:49], v[54:55]
	v_fma_f64 v[52:53], v[181:182], v[40:41], v[52:53]
	v_fma_f64 v[58:59], v[179:180], v[40:41], -v[42:43]
	scratch_load_b128 v[40:43], off, off offset:912
	ds_load_b128 v[179:182], v1 offset:1840
	s_waitcnt vmcnt(9) lgkmcnt(1)
	v_mul_f64 v[54:55], v[6:7], v[46:47]
	v_mul_f64 v[46:47], v[8:9], v[46:47]
	v_add_f64 v[30:31], v[30:31], v[60:61]
	v_add_f64 v[48:49], v[48:49], v[56:57]
	s_waitcnt vmcnt(8)
	v_mul_f64 v[56:57], v[247:248], v[34:35]
	v_mul_f64 v[34:35], v[249:250], v[34:35]
	v_fma_f64 v[54:55], v[8:9], v[44:45], v[54:55]
	v_fma_f64 v[60:61], v[6:7], v[44:45], -v[46:47]
	ds_load_b128 v[6:9], v1 offset:1824
	scratch_load_b128 v[44:47], off, off offset:928
	v_add_f64 v[30:31], v[30:31], v[58:59]
	v_add_f64 v[48:49], v[48:49], v[52:53]
	s_waitcnt vmcnt(8) lgkmcnt(0)
	v_mul_f64 v[52:53], v[6:7], v[38:39]
	v_mul_f64 v[38:39], v[8:9], v[38:39]
	v_fma_f64 v[56:57], v[249:250], v[32:33], v[56:57]
	v_fma_f64 v[34:35], v[247:248], v[32:33], -v[34:35]
	ds_load_b128 v[247:250], v1 offset:1872
	v_add_f64 v[58:59], v[30:31], v[60:61]
	scratch_load_b128 v[30:33], off, off offset:944
	v_add_f64 v[48:49], v[48:49], v[54:55]
	v_fma_f64 v[52:53], v[8:9], v[36:37], v[52:53]
	v_fma_f64 v[38:39], v[6:7], v[36:37], -v[38:39]
	ds_load_b128 v[6:9], v1 offset:1856
	s_waitcnt vmcnt(8)
	v_mul_f64 v[54:55], v[179:180], v[24:25]
	v_mul_f64 v[24:25], v[181:182], v[24:25]
	v_add_f64 v[58:59], v[58:59], v[34:35]
	scratch_load_b128 v[34:37], off, off offset:960
	v_add_f64 v[48:49], v[48:49], v[56:57]
	s_waitcnt vmcnt(8) lgkmcnt(0)
	v_mul_f64 v[56:57], v[6:7], v[28:29]
	v_mul_f64 v[28:29], v[8:9], v[28:29]
	v_fma_f64 v[54:55], v[181:182], v[22:23], v[54:55]
	v_fma_f64 v[60:61], v[179:180], v[22:23], -v[24:25]
	scratch_load_b128 v[22:25], off, off offset:976
	ds_load_b128 v[179:182], v1 offset:1904
	v_add_f64 v[38:39], v[58:59], v[38:39]
	v_add_f64 v[48:49], v[48:49], v[52:53]
	s_waitcnt vmcnt(8)
	v_mul_f64 v[52:53], v[247:248], v[16:17]
	v_mul_f64 v[16:17], v[249:250], v[16:17]
	v_fma_f64 v[56:57], v[8:9], v[26:27], v[56:57]
	v_fma_f64 v[58:59], v[6:7], v[26:27], -v[28:29]
	ds_load_b128 v[6:9], v1 offset:1888
	scratch_load_b128 v[26:29], off, off offset:992
	v_add_f64 v[38:39], v[38:39], v[60:61]
	v_add_f64 v[48:49], v[48:49], v[54:55]
	s_waitcnt vmcnt(8) lgkmcnt(0)
	v_mul_f64 v[54:55], v[6:7], v[20:21]
	v_mul_f64 v[20:21], v[8:9], v[20:21]
	v_fma_f64 v[52:53], v[249:250], v[14:15], v[52:53]
	v_fma_f64 v[60:61], v[247:248], v[14:15], -v[16:17]
	scratch_load_b128 v[14:17], off, off offset:1008
	v_add_f64 v[38:39], v[38:39], v[58:59]
	s_waitcnt vmcnt(8)
	v_mul_f64 v[58:59], v[181:182], v[245:246]
	v_add_f64 v[48:49], v[48:49], v[56:57]
	v_mul_f64 v[56:57], v[179:180], v[245:246]
	v_fma_f64 v[54:55], v[8:9], v[18:19], v[54:55]
	v_fma_f64 v[62:63], v[6:7], v[18:19], -v[20:21]
	ds_load_b128 v[6:9], v1 offset:1920
	ds_load_b128 v[18:21], v1 offset:1936
	v_add_f64 v[38:39], v[38:39], v[60:61]
	v_fma_f64 v[58:59], v[179:180], v[243:244], -v[58:59]
	v_add_f64 v[48:49], v[48:49], v[52:53]
	s_waitcnt vmcnt(7) lgkmcnt(1)
	v_mul_f64 v[52:53], v[6:7], v[12:13]
	v_mul_f64 v[12:13], v[8:9], v[12:13]
	v_fma_f64 v[56:57], v[181:182], v[243:244], v[56:57]
	v_add_f64 v[38:39], v[38:39], v[62:63]
	v_add_f64 v[48:49], v[48:49], v[54:55]
	s_waitcnt vmcnt(6) lgkmcnt(0)
	v_mul_f64 v[54:55], v[18:19], v[42:43]
	v_mul_f64 v[42:43], v[20:21], v[42:43]
	v_fma_f64 v[52:53], v[8:9], v[10:11], v[52:53]
	v_fma_f64 v[60:61], v[6:7], v[10:11], -v[12:13]
	ds_load_b128 v[6:9], v1 offset:1952
	ds_load_b128 v[10:13], v1 offset:1968
	v_add_f64 v[38:39], v[38:39], v[58:59]
	v_add_f64 v[48:49], v[48:49], v[56:57]
	s_waitcnt vmcnt(5) lgkmcnt(1)
	v_mul_f64 v[56:57], v[6:7], v[46:47]
	v_mul_f64 v[46:47], v[8:9], v[46:47]
	v_fma_f64 v[20:21], v[20:21], v[40:41], v[54:55]
	v_fma_f64 v[18:19], v[18:19], v[40:41], -v[42:43]
	v_add_f64 v[38:39], v[38:39], v[60:61]
	v_add_f64 v[40:41], v[48:49], v[52:53]
	v_fma_f64 v[48:49], v[8:9], v[44:45], v[56:57]
	v_fma_f64 v[44:45], v[6:7], v[44:45], -v[46:47]
	s_waitcnt vmcnt(4) lgkmcnt(0)
	v_mul_f64 v[42:43], v[10:11], v[32:33]
	v_mul_f64 v[32:33], v[12:13], v[32:33]
	v_add_f64 v[38:39], v[38:39], v[18:19]
	v_add_f64 v[40:41], v[40:41], v[20:21]
	ds_load_b128 v[6:9], v1 offset:1984
	ds_load_b128 v[18:21], v1 offset:2000
	v_fma_f64 v[12:13], v[12:13], v[30:31], v[42:43]
	v_fma_f64 v[10:11], v[10:11], v[30:31], -v[32:33]
	s_waitcnt vmcnt(3) lgkmcnt(1)
	v_mul_f64 v[46:47], v[6:7], v[36:37]
	v_mul_f64 v[36:37], v[8:9], v[36:37]
	v_add_f64 v[30:31], v[38:39], v[44:45]
	s_waitcnt vmcnt(2) lgkmcnt(0)
	v_mul_f64 v[38:39], v[18:19], v[24:25]
	v_add_f64 v[32:33], v[40:41], v[48:49]
	v_mul_f64 v[24:25], v[20:21], v[24:25]
	v_fma_f64 v[40:41], v[8:9], v[34:35], v[46:47]
	v_fma_f64 v[34:35], v[6:7], v[34:35], -v[36:37]
	v_add_f64 v[30:31], v[30:31], v[10:11]
	v_fma_f64 v[20:21], v[20:21], v[22:23], v[38:39]
	v_add_f64 v[32:33], v[32:33], v[12:13]
	ds_load_b128 v[6:9], v1 offset:2016
	ds_load_b128 v[10:13], v1 offset:2032
	v_fma_f64 v[18:19], v[18:19], v[22:23], -v[24:25]
	s_waitcnt vmcnt(1) lgkmcnt(1)
	v_mul_f64 v[36:37], v[6:7], v[28:29]
	v_mul_f64 v[28:29], v[8:9], v[28:29]
	v_add_f64 v[22:23], v[30:31], v[34:35]
	s_waitcnt vmcnt(0) lgkmcnt(0)
	v_mul_f64 v[30:31], v[10:11], v[16:17]
	v_add_f64 v[24:25], v[32:33], v[40:41]
	v_mul_f64 v[16:17], v[12:13], v[16:17]
	v_fma_f64 v[8:9], v[8:9], v[26:27], v[36:37]
	v_fma_f64 v[6:7], v[6:7], v[26:27], -v[28:29]
	v_add_f64 v[18:19], v[22:23], v[18:19]
	v_fma_f64 v[12:13], v[12:13], v[14:15], v[30:31]
	v_add_f64 v[20:21], v[24:25], v[20:21]
	v_fma_f64 v[10:11], v[10:11], v[14:15], -v[16:17]
	s_delay_alu instid0(VALU_DEP_4) | instskip(NEXT) | instid1(VALU_DEP_3)
	v_add_f64 v[6:7], v[18:19], v[6:7]
	v_add_f64 v[8:9], v[20:21], v[8:9]
	s_delay_alu instid0(VALU_DEP_2) | instskip(NEXT) | instid1(VALU_DEP_2)
	v_add_f64 v[6:7], v[6:7], v[10:11]
	v_add_f64 v[8:9], v[8:9], v[12:13]
	s_delay_alu instid0(VALU_DEP_2) | instskip(NEXT) | instid1(VALU_DEP_2)
	v_add_f64 v[1:2], v[2:3], -v[6:7]
	v_add_f64 v[3:4], v[4:5], -v[8:9]
	scratch_store_b128 off, v[1:4], off offset:112
	v_cmpx_lt_u32_e32 6, v178
	s_cbranch_execz .LBB127_396
; %bb.395:
	scratch_load_b32 v1, off, off offset:1216 ; 4-byte Folded Reload
	v_mov_b32_e32 v5, 0
	s_delay_alu instid0(VALU_DEP_1)
	v_mov_b32_e32 v6, v5
	v_mov_b32_e32 v7, v5
	;; [unrolled: 1-line block ×3, first 2 shown]
	s_waitcnt vmcnt(0)
	scratch_load_b128 v[1:4], v1, off
	scratch_store_b128 off, v[5:8], off offset:96
	s_waitcnt vmcnt(0)
	ds_store_b128 v255, v[1:4]
.LBB127_396:
	s_or_b32 exec_lo, exec_lo, s2
	s_waitcnt lgkmcnt(0)
	s_waitcnt_vscnt null, 0x0
	s_barrier
	buffer_gl0_inv
	s_clause 0x7
	scratch_load_b128 v[34:37], off, off offset:112
	scratch_load_b128 v[38:41], off, off offset:128
	;; [unrolled: 1-line block ×8, first 2 shown]
	v_mov_b32_e32 v1, 0
	s_mov_b32 s2, exec_lo
	ds_load_b128 v[46:49], v1 offset:1136
	s_clause 0x2
	scratch_load_b128 v[14:17], off, off offset:240
	scratch_load_b128 v[2:5], off, off offset:96
	scratch_load_b128 v[179:182], off, off offset:256
	ds_load_b128 v[42:45], v1 offset:1152
	ds_load_b128 v[243:246], v1 offset:1184
	;; [unrolled: 1-line block ×3, first 2 shown]
	s_waitcnt vmcnt(10) lgkmcnt(3)
	v_mul_f64 v[52:53], v[48:49], v[36:37]
	v_mul_f64 v[36:37], v[46:47], v[36:37]
	s_delay_alu instid0(VALU_DEP_2) | instskip(NEXT) | instid1(VALU_DEP_2)
	v_fma_f64 v[52:53], v[46:47], v[34:35], -v[52:53]
	v_fma_f64 v[56:57], v[48:49], v[34:35], v[36:37]
	ds_load_b128 v[34:37], v1 offset:1168
	s_waitcnt vmcnt(9) lgkmcnt(3)
	v_mul_f64 v[54:55], v[42:43], v[40:41]
	v_mul_f64 v[40:41], v[44:45], v[40:41]
	scratch_load_b128 v[46:49], off, off offset:272
	s_waitcnt vmcnt(9) lgkmcnt(0)
	v_mul_f64 v[58:59], v[34:35], v[32:33]
	v_mul_f64 v[32:33], v[36:37], v[32:33]
	v_add_f64 v[52:53], v[52:53], 0
	v_fma_f64 v[44:45], v[44:45], v[38:39], v[54:55]
	v_fma_f64 v[42:43], v[42:43], v[38:39], -v[40:41]
	v_add_f64 v[54:55], v[56:57], 0
	scratch_load_b128 v[38:41], off, off offset:288
	v_fma_f64 v[36:37], v[36:37], v[30:31], v[58:59]
	v_fma_f64 v[58:59], v[34:35], v[30:31], -v[32:33]
	scratch_load_b128 v[32:35], off, off offset:304
	v_add_f64 v[52:53], v[52:53], v[42:43]
	v_add_f64 v[54:55], v[54:55], v[44:45]
	ds_load_b128 v[42:45], v1 offset:1216
	s_waitcnt vmcnt(10)
	v_mul_f64 v[56:57], v[243:244], v[28:29]
	v_mul_f64 v[60:61], v[245:246], v[28:29]
	ds_load_b128 v[28:31], v1 offset:1200
	v_add_f64 v[52:53], v[52:53], v[58:59]
	v_add_f64 v[36:37], v[54:55], v[36:37]
	s_waitcnt vmcnt(8) lgkmcnt(1)
	v_mul_f64 v[54:55], v[42:43], v[20:21]
	v_fma_f64 v[56:57], v[245:246], v[26:27], v[56:57]
	v_fma_f64 v[60:61], v[243:244], v[26:27], -v[60:61]
	ds_load_b128 v[243:246], v1 offset:1248
	s_waitcnt lgkmcnt(1)
	v_mul_f64 v[62:63], v[28:29], v[24:25]
	v_mul_f64 v[64:65], v[30:31], v[24:25]
	scratch_load_b128 v[24:27], off, off offset:320
	v_mul_f64 v[58:59], v[44:45], v[20:21]
	v_fma_f64 v[54:55], v[44:45], v[18:19], v[54:55]
	v_add_f64 v[36:37], v[36:37], v[56:57]
	v_add_f64 v[52:53], v[52:53], v[60:61]
	s_waitcnt vmcnt(7) lgkmcnt(0)
	v_mul_f64 v[60:61], v[245:246], v[8:9]
	v_fma_f64 v[62:63], v[30:31], v[22:23], v[62:63]
	v_fma_f64 v[64:65], v[28:29], v[22:23], -v[64:65]
	scratch_load_b128 v[28:31], off, off offset:336
	ds_load_b128 v[20:23], v1 offset:1232
	v_fma_f64 v[18:19], v[42:43], v[18:19], -v[58:59]
	v_mul_f64 v[58:59], v[243:244], v[8:9]
	scratch_load_b128 v[42:45], off, off offset:352
	s_waitcnt lgkmcnt(0)
	v_mul_f64 v[56:57], v[20:21], v[12:13]
	v_mul_f64 v[12:13], v[22:23], v[12:13]
	v_add_f64 v[36:37], v[36:37], v[62:63]
	v_add_f64 v[52:53], v[52:53], v[64:65]
	s_delay_alu instid0(VALU_DEP_4) | instskip(NEXT) | instid1(VALU_DEP_4)
	v_fma_f64 v[22:23], v[22:23], v[10:11], v[56:57]
	v_fma_f64 v[12:13], v[20:21], v[10:11], -v[12:13]
	ds_load_b128 v[8:11], v1 offset:1264
	v_fma_f64 v[56:57], v[245:246], v[6:7], v[58:59]
	v_fma_f64 v[6:7], v[243:244], v[6:7], -v[60:61]
	scratch_load_b128 v[243:246], off, off offset:384
	v_add_f64 v[36:37], v[36:37], v[54:55]
	v_add_f64 v[52:53], v[52:53], v[18:19]
	scratch_load_b128 v[18:21], off, off offset:368
	v_add_f64 v[22:23], v[36:37], v[22:23]
	v_add_f64 v[12:13], v[52:53], v[12:13]
	s_waitcnt vmcnt(8)
	v_mul_f64 v[36:37], v[247:248], v[181:182]
	v_mul_f64 v[52:53], v[249:250], v[181:182]
	s_delay_alu instid0(VALU_DEP_4) | instskip(NEXT) | instid1(VALU_DEP_4)
	v_add_f64 v[22:23], v[22:23], v[56:57]
	v_add_f64 v[60:61], v[12:13], v[6:7]
	s_delay_alu instid0(VALU_DEP_4) | instskip(NEXT) | instid1(VALU_DEP_4)
	v_fma_f64 v[36:37], v[249:250], v[179:180], v[36:37]
	v_fma_f64 v[52:53], v[247:248], v[179:180], -v[52:53]
	ds_load_b128 v[247:250], v1 offset:1344
	s_waitcnt lgkmcnt(1)
	v_mul_f64 v[54:55], v[8:9], v[16:17]
	v_mul_f64 v[16:17], v[10:11], v[16:17]
	scratch_load_b128 v[179:182], off, off offset:416
	v_fma_f64 v[54:55], v[10:11], v[14:15], v[54:55]
	v_fma_f64 v[58:59], v[8:9], v[14:15], -v[16:17]
	ds_load_b128 v[6:9], v1 offset:1296
	ds_load_b128 v[14:17], v1 offset:1312
	scratch_load_b128 v[10:13], off, off offset:400
	s_waitcnt vmcnt(9) lgkmcnt(1)
	v_mul_f64 v[56:57], v[6:7], v[48:49]
	v_mul_f64 v[48:49], v[8:9], v[48:49]
	v_add_f64 v[22:23], v[22:23], v[54:55]
	v_add_f64 v[58:59], v[60:61], v[58:59]
	s_waitcnt vmcnt(8) lgkmcnt(0)
	v_mul_f64 v[54:55], v[14:15], v[40:41]
	v_mul_f64 v[40:41], v[16:17], v[40:41]
	v_fma_f64 v[56:57], v[8:9], v[46:47], v[56:57]
	v_fma_f64 v[60:61], v[6:7], v[46:47], -v[48:49]
	ds_load_b128 v[6:9], v1 offset:1328
	scratch_load_b128 v[46:49], off, off offset:432
	v_add_f64 v[22:23], v[22:23], v[36:37]
	v_add_f64 v[52:53], v[58:59], v[52:53]
	v_fma_f64 v[54:55], v[16:17], v[38:39], v[54:55]
	v_fma_f64 v[38:39], v[14:15], v[38:39], -v[40:41]
	scratch_load_b128 v[14:17], off, off offset:448
	v_add_f64 v[22:23], v[22:23], v[56:57]
	v_add_f64 v[40:41], v[52:53], v[60:61]
	s_waitcnt vmcnt(8)
	v_mul_f64 v[52:53], v[247:248], v[26:27]
	v_mul_f64 v[26:27], v[249:250], v[26:27]
	s_delay_alu instid0(VALU_DEP_4) | instskip(NEXT) | instid1(VALU_DEP_4)
	v_add_f64 v[22:23], v[22:23], v[54:55]
	v_add_f64 v[40:41], v[40:41], v[38:39]
	s_delay_alu instid0(VALU_DEP_4) | instskip(NEXT) | instid1(VALU_DEP_4)
	v_fma_f64 v[52:53], v[249:250], v[24:25], v[52:53]
	v_fma_f64 v[26:27], v[247:248], v[24:25], -v[26:27]
	ds_load_b128 v[247:250], v1 offset:1408
	s_waitcnt lgkmcnt(1)
	v_mul_f64 v[36:37], v[6:7], v[34:35]
	v_mul_f64 v[34:35], v[8:9], v[34:35]
	s_delay_alu instid0(VALU_DEP_2) | instskip(NEXT) | instid1(VALU_DEP_2)
	v_fma_f64 v[56:57], v[8:9], v[32:33], v[36:37]
	v_fma_f64 v[58:59], v[6:7], v[32:33], -v[34:35]
	scratch_load_b128 v[32:35], off, off offset:464
	ds_load_b128 v[6:9], v1 offset:1360
	ds_load_b128 v[36:39], v1 offset:1376
	s_waitcnt vmcnt(8) lgkmcnt(1)
	v_mul_f64 v[54:55], v[6:7], v[30:31]
	v_mul_f64 v[30:31], v[8:9], v[30:31]
	v_add_f64 v[56:57], v[22:23], v[56:57]
	v_add_f64 v[40:41], v[40:41], v[58:59]
	s_waitcnt vmcnt(7) lgkmcnt(0)
	v_mul_f64 v[58:59], v[36:37], v[44:45]
	v_mul_f64 v[44:45], v[38:39], v[44:45]
	scratch_load_b128 v[22:25], off, off offset:480
	v_fma_f64 v[54:55], v[8:9], v[28:29], v[54:55]
	v_fma_f64 v[30:31], v[6:7], v[28:29], -v[30:31]
	ds_load_b128 v[6:9], v1 offset:1392
	v_add_f64 v[52:53], v[56:57], v[52:53]
	v_add_f64 v[40:41], v[40:41], v[26:27]
	v_fma_f64 v[58:59], v[38:39], v[42:43], v[58:59]
	v_fma_f64 v[42:43], v[36:37], v[42:43], -v[44:45]
	s_clause 0x1
	scratch_load_b128 v[26:29], off, off offset:496
	scratch_load_b128 v[36:39], off, off offset:512
	s_waitcnt vmcnt(9)
	v_mul_f64 v[44:45], v[247:248], v[245:246]
	v_add_f64 v[30:31], v[40:41], v[30:31]
	v_add_f64 v[40:41], v[52:53], v[54:55]
	v_mul_f64 v[52:53], v[249:250], v[245:246]
	s_delay_alu instid0(VALU_DEP_4) | instskip(NEXT) | instid1(VALU_DEP_4)
	v_fma_f64 v[44:45], v[249:250], v[243:244], v[44:45]
	v_add_f64 v[30:31], v[30:31], v[42:43]
	s_delay_alu instid0(VALU_DEP_4)
	v_add_f64 v[58:59], v[40:41], v[58:59]
	ds_load_b128 v[40:43], v1 offset:1440
	s_waitcnt vmcnt(8) lgkmcnt(1)
	v_mul_f64 v[56:57], v[6:7], v[20:21]
	v_mul_f64 v[20:21], v[8:9], v[20:21]
	v_fma_f64 v[52:53], v[247:248], v[243:244], -v[52:53]
	scratch_load_b128 v[243:246], off, off offset:544
	ds_load_b128 v[247:250], v1 offset:1472
	v_fma_f64 v[54:55], v[8:9], v[18:19], v[56:57]
	v_fma_f64 v[56:57], v[6:7], v[18:19], -v[20:21]
	ds_load_b128 v[6:9], v1 offset:1424
	scratch_load_b128 v[18:21], off, off offset:528
	s_waitcnt vmcnt(8) lgkmcnt(0)
	v_mul_f64 v[60:61], v[6:7], v[12:13]
	v_mul_f64 v[12:13], v[8:9], v[12:13]
	v_add_f64 v[54:55], v[58:59], v[54:55]
	v_add_f64 v[30:31], v[30:31], v[56:57]
	v_mul_f64 v[56:57], v[40:41], v[181:182]
	v_mul_f64 v[58:59], v[42:43], v[181:182]
	v_fma_f64 v[60:61], v[8:9], v[10:11], v[60:61]
	v_fma_f64 v[62:63], v[6:7], v[10:11], -v[12:13]
	ds_load_b128 v[6:9], v1 offset:1456
	scratch_load_b128 v[10:13], off, off offset:560
	v_add_f64 v[44:45], v[54:55], v[44:45]
	v_add_f64 v[30:31], v[30:31], v[52:53]
	v_fma_f64 v[54:55], v[42:43], v[179:180], v[56:57]
	v_fma_f64 v[56:57], v[40:41], v[179:180], -v[58:59]
	ds_load_b128 v[179:182], v1 offset:1504
	scratch_load_b128 v[40:43], off, off offset:576
	s_waitcnt vmcnt(9) lgkmcnt(1)
	v_mul_f64 v[52:53], v[6:7], v[48:49]
	v_mul_f64 v[48:49], v[8:9], v[48:49]
	s_waitcnt vmcnt(8)
	v_mul_f64 v[58:59], v[247:248], v[16:17]
	v_mul_f64 v[16:17], v[249:250], v[16:17]
	v_add_f64 v[44:45], v[44:45], v[60:61]
	v_add_f64 v[30:31], v[30:31], v[62:63]
	v_fma_f64 v[52:53], v[8:9], v[46:47], v[52:53]
	v_fma_f64 v[48:49], v[6:7], v[46:47], -v[48:49]
	ds_load_b128 v[6:9], v1 offset:1488
	v_fma_f64 v[58:59], v[249:250], v[14:15], v[58:59]
	v_fma_f64 v[60:61], v[247:248], v[14:15], -v[16:17]
	ds_load_b128 v[247:250], v1 offset:1536
	scratch_load_b128 v[14:17], off, off offset:608
	v_add_f64 v[54:55], v[44:45], v[54:55]
	v_add_f64 v[30:31], v[30:31], v[56:57]
	scratch_load_b128 v[44:47], off, off offset:592
	s_waitcnt vmcnt(9) lgkmcnt(1)
	v_mul_f64 v[56:57], v[6:7], v[34:35]
	v_mul_f64 v[34:35], v[8:9], v[34:35]
	v_add_f64 v[30:31], v[30:31], v[48:49]
	v_add_f64 v[48:49], v[54:55], v[52:53]
	s_waitcnt vmcnt(8)
	v_mul_f64 v[52:53], v[179:180], v[24:25]
	v_mul_f64 v[24:25], v[181:182], v[24:25]
	v_fma_f64 v[54:55], v[8:9], v[32:33], v[56:57]
	v_fma_f64 v[34:35], v[6:7], v[32:33], -v[34:35]
	ds_load_b128 v[6:9], v1 offset:1520
	v_add_f64 v[56:57], v[30:31], v[60:61]
	v_add_f64 v[48:49], v[48:49], v[58:59]
	scratch_load_b128 v[30:33], off, off offset:624
	v_fma_f64 v[52:53], v[181:182], v[22:23], v[52:53]
	v_fma_f64 v[60:61], v[179:180], v[22:23], -v[24:25]
	ds_load_b128 v[179:182], v1 offset:1568
	s_waitcnt vmcnt(8) lgkmcnt(1)
	v_mul_f64 v[58:59], v[6:7], v[28:29]
	v_mul_f64 v[28:29], v[8:9], v[28:29]
	scratch_load_b128 v[22:25], off, off offset:640
	v_add_f64 v[34:35], v[56:57], v[34:35]
	v_add_f64 v[48:49], v[48:49], v[54:55]
	s_waitcnt vmcnt(8)
	v_mul_f64 v[54:55], v[247:248], v[38:39]
	v_mul_f64 v[38:39], v[249:250], v[38:39]
	v_fma_f64 v[56:57], v[8:9], v[26:27], v[58:59]
	v_fma_f64 v[58:59], v[6:7], v[26:27], -v[28:29]
	scratch_load_b128 v[26:29], off, off offset:656
	ds_load_b128 v[6:9], v1 offset:1552
	v_add_f64 v[34:35], v[34:35], v[60:61]
	v_add_f64 v[48:49], v[48:49], v[52:53]
	v_fma_f64 v[54:55], v[249:250], v[36:37], v[54:55]
	v_fma_f64 v[38:39], v[247:248], v[36:37], -v[38:39]
	s_waitcnt vmcnt(8) lgkmcnt(1)
	v_mul_f64 v[60:61], v[181:182], v[245:246]
	ds_load_b128 v[249:252], v1 offset:1632
	v_add_f64 v[58:59], v[34:35], v[58:59]
	v_add_f64 v[48:49], v[48:49], v[56:57]
	v_mul_f64 v[56:57], v[179:180], v[245:246]
	ds_load_b128 v[245:248], v1 offset:1600
	s_waitcnt vmcnt(7) lgkmcnt(2)
	v_mul_f64 v[52:53], v[6:7], v[20:21]
	v_mul_f64 v[20:21], v[8:9], v[20:21]
	scratch_load_b128 v[34:37], off, off offset:672
	v_add_f64 v[38:39], v[58:59], v[38:39]
	v_add_f64 v[48:49], v[48:49], v[54:55]
	v_fma_f64 v[56:57], v[181:182], v[243:244], v[56:57]
	v_fma_f64 v[58:59], v[179:180], v[243:244], -v[60:61]
	v_fma_f64 v[52:53], v[8:9], v[18:19], v[52:53]
	v_fma_f64 v[62:63], v[6:7], v[18:19], -v[20:21]
	scratch_load_b128 v[18:21], off, off offset:688
	ds_load_b128 v[6:9], v1 offset:1584
	scratch_load_b128 v[179:182], off, off offset:704
	s_waitcnt vmcnt(9) lgkmcnt(0)
	v_mul_f64 v[54:55], v[6:7], v[12:13]
	v_mul_f64 v[12:13], v[8:9], v[12:13]
	v_add_f64 v[48:49], v[48:49], v[52:53]
	v_add_f64 v[38:39], v[38:39], v[62:63]
	s_waitcnt vmcnt(8)
	v_mul_f64 v[52:53], v[245:246], v[42:43]
	v_mul_f64 v[42:43], v[247:248], v[42:43]
	v_fma_f64 v[54:55], v[8:9], v[10:11], v[54:55]
	v_fma_f64 v[60:61], v[6:7], v[10:11], -v[12:13]
	scratch_load_b128 v[10:13], off, off offset:720
	ds_load_b128 v[6:9], v1 offset:1616
	v_add_f64 v[48:49], v[48:49], v[56:57]
	v_add_f64 v[38:39], v[38:39], v[58:59]
	v_fma_f64 v[52:53], v[247:248], v[40:41], v[52:53]
	v_fma_f64 v[42:43], v[245:246], v[40:41], -v[42:43]
	ds_load_b128 v[243:246], v1 offset:1696
	s_waitcnt vmcnt(7) lgkmcnt(1)
	v_mul_f64 v[56:57], v[6:7], v[46:47]
	v_mul_f64 v[46:47], v[8:9], v[46:47]
	v_add_f64 v[48:49], v[48:49], v[54:55]
	v_add_f64 v[58:59], v[38:39], v[60:61]
	v_mul_f64 v[54:55], v[249:250], v[16:17]
	v_mul_f64 v[16:17], v[251:252], v[16:17]
	scratch_load_b128 v[38:41], off, off offset:736
	v_fma_f64 v[56:57], v[8:9], v[44:45], v[56:57]
	v_fma_f64 v[60:61], v[6:7], v[44:45], -v[46:47]
	ds_load_b128 v[6:9], v1 offset:1648
	v_add_f64 v[52:53], v[48:49], v[52:53]
	ds_load_b128 v[46:49], v1 offset:1664
	v_add_f64 v[58:59], v[58:59], v[42:43]
	v_fma_f64 v[54:55], v[251:252], v[14:15], v[54:55]
	v_fma_f64 v[64:65], v[249:250], v[14:15], -v[16:17]
	s_clause 0x1
	scratch_load_b128 v[42:45], off, off offset:752
	scratch_load_b128 v[14:17], off, off offset:768
	s_waitcnt vmcnt(9) lgkmcnt(1)
	v_mul_f64 v[62:63], v[6:7], v[32:33]
	v_mul_f64 v[32:33], v[8:9], v[32:33]
	v_add_f64 v[52:53], v[52:53], v[56:57]
	s_waitcnt vmcnt(8) lgkmcnt(0)
	v_mul_f64 v[56:57], v[46:47], v[24:25]
	v_add_f64 v[58:59], v[58:59], v[60:61]
	v_mul_f64 v[24:25], v[48:49], v[24:25]
	v_fma_f64 v[60:61], v[8:9], v[30:31], v[62:63]
	v_fma_f64 v[62:63], v[6:7], v[30:31], -v[32:33]
	scratch_load_b128 v[30:33], off, off offset:784
	ds_load_b128 v[6:9], v1 offset:1680
	v_add_f64 v[52:53], v[52:53], v[54:55]
	v_fma_f64 v[48:49], v[48:49], v[22:23], v[56:57]
	v_add_f64 v[58:59], v[58:59], v[64:65]
	v_fma_f64 v[46:47], v[46:47], v[22:23], -v[24:25]
	scratch_load_b128 v[22:25], off, off offset:800
	v_add_f64 v[52:53], v[52:53], v[60:61]
	v_add_f64 v[56:57], v[58:59], v[62:63]
	s_waitcnt vmcnt(8)
	v_mul_f64 v[58:59], v[243:244], v[36:37]
	v_mul_f64 v[36:37], v[245:246], v[36:37]
	s_delay_alu instid0(VALU_DEP_4) | instskip(NEXT) | instid1(VALU_DEP_4)
	v_add_f64 v[52:53], v[52:53], v[48:49]
	v_add_f64 v[56:57], v[56:57], v[46:47]
	ds_load_b128 v[46:49], v1 offset:1728
	s_waitcnt lgkmcnt(1)
	v_mul_f64 v[54:55], v[6:7], v[28:29]
	v_mul_f64 v[28:29], v[8:9], v[28:29]
	v_fma_f64 v[58:59], v[245:246], v[34:35], v[58:59]
	v_fma_f64 v[64:65], v[243:244], v[34:35], -v[36:37]
	ds_load_b128 v[243:246], v1 offset:1760
	scratch_load_b128 v[34:37], off, off offset:832
	v_fma_f64 v[54:55], v[8:9], v[26:27], v[54:55]
	v_fma_f64 v[60:61], v[6:7], v[26:27], -v[28:29]
	ds_load_b128 v[6:9], v1 offset:1712
	scratch_load_b128 v[26:29], off, off offset:816
	s_waitcnt vmcnt(9) lgkmcnt(0)
	v_mul_f64 v[62:63], v[6:7], v[20:21]
	v_mul_f64 v[20:21], v[8:9], v[20:21]
	v_add_f64 v[52:53], v[52:53], v[54:55]
	v_add_f64 v[56:57], v[56:57], v[60:61]
	s_waitcnt vmcnt(8)
	v_mul_f64 v[54:55], v[46:47], v[181:182]
	v_mul_f64 v[60:61], v[48:49], v[181:182]
	v_fma_f64 v[62:63], v[8:9], v[18:19], v[62:63]
	v_fma_f64 v[66:67], v[6:7], v[18:19], -v[20:21]
	ds_load_b128 v[6:9], v1 offset:1744
	scratch_load_b128 v[18:21], off, off offset:848
	v_add_f64 v[52:53], v[52:53], v[58:59]
	v_add_f64 v[56:57], v[56:57], v[64:65]
	v_fma_f64 v[54:55], v[48:49], v[179:180], v[54:55]
	v_fma_f64 v[60:61], v[46:47], v[179:180], -v[60:61]
	ds_load_b128 v[179:182], v1 offset:1792
	scratch_load_b128 v[46:49], off, off offset:864
	s_waitcnt vmcnt(9) lgkmcnt(1)
	v_mul_f64 v[58:59], v[6:7], v[12:13]
	v_mul_f64 v[12:13], v[8:9], v[12:13]
	v_add_f64 v[52:53], v[52:53], v[62:63]
	v_add_f64 v[56:57], v[56:57], v[66:67]
	s_waitcnt vmcnt(8)
	v_mul_f64 v[62:63], v[243:244], v[40:41]
	v_mul_f64 v[40:41], v[245:246], v[40:41]
	v_fma_f64 v[58:59], v[8:9], v[10:11], v[58:59]
	v_fma_f64 v[64:65], v[6:7], v[10:11], -v[12:13]
	scratch_load_b128 v[10:13], off, off offset:880
	ds_load_b128 v[6:9], v1 offset:1776
	v_add_f64 v[52:53], v[52:53], v[54:55]
	v_add_f64 v[56:57], v[56:57], v[60:61]
	v_fma_f64 v[60:61], v[245:246], v[38:39], v[62:63]
	v_fma_f64 v[62:63], v[243:244], v[38:39], -v[40:41]
	ds_load_b128 v[243:246], v1 offset:1824
	s_waitcnt vmcnt(8) lgkmcnt(1)
	v_mul_f64 v[54:55], v[6:7], v[44:45]
	v_mul_f64 v[44:45], v[8:9], v[44:45]
	scratch_load_b128 v[38:41], off, off offset:896
	v_add_f64 v[52:53], v[52:53], v[58:59]
	v_add_f64 v[56:57], v[56:57], v[64:65]
	s_waitcnt vmcnt(8)
	v_mul_f64 v[58:59], v[179:180], v[16:17]
	v_mul_f64 v[16:17], v[181:182], v[16:17]
	v_fma_f64 v[54:55], v[8:9], v[42:43], v[54:55]
	v_fma_f64 v[64:65], v[6:7], v[42:43], -v[44:45]
	scratch_load_b128 v[42:45], off, off offset:912
	ds_load_b128 v[6:9], v1 offset:1808
	v_add_f64 v[52:53], v[52:53], v[60:61]
	v_add_f64 v[56:57], v[56:57], v[62:63]
	v_fma_f64 v[58:59], v[181:182], v[14:15], v[58:59]
	v_fma_f64 v[62:63], v[179:180], v[14:15], -v[16:17]
	ds_load_b128 v[179:182], v1 offset:1856
	s_waitcnt vmcnt(8) lgkmcnt(1)
	v_mul_f64 v[60:61], v[6:7], v[32:33]
	v_mul_f64 v[32:33], v[8:9], v[32:33]
	scratch_load_b128 v[14:17], off, off offset:928
	v_add_f64 v[52:53], v[52:53], v[54:55]
	v_add_f64 v[56:57], v[56:57], v[64:65]
	s_waitcnt vmcnt(8)
	v_mul_f64 v[54:55], v[243:244], v[24:25]
	v_mul_f64 v[24:25], v[245:246], v[24:25]
	v_fma_f64 v[60:61], v[8:9], v[30:31], v[60:61]
	v_fma_f64 v[64:65], v[6:7], v[30:31], -v[32:33]
	scratch_load_b128 v[30:33], off, off offset:944
	ds_load_b128 v[6:9], v1 offset:1840
	v_add_f64 v[52:53], v[52:53], v[58:59]
	v_add_f64 v[56:57], v[56:57], v[62:63]
	v_fma_f64 v[54:55], v[245:246], v[22:23], v[54:55]
	v_fma_f64 v[62:63], v[243:244], v[22:23], -v[24:25]
	ds_load_b128 v[243:246], v1 offset:1888
	scratch_load_b128 v[22:25], off, off offset:960
	s_waitcnt vmcnt(8) lgkmcnt(1)
	v_mul_f64 v[58:59], v[6:7], v[28:29]
	v_mul_f64 v[28:29], v[8:9], v[28:29]
	v_add_f64 v[52:53], v[52:53], v[60:61]
	v_add_f64 v[56:57], v[56:57], v[64:65]
	v_mul_f64 v[60:61], v[179:180], v[36:37]
	v_mul_f64 v[36:37], v[181:182], v[36:37]
	v_fma_f64 v[58:59], v[8:9], v[26:27], v[58:59]
	v_fma_f64 v[64:65], v[6:7], v[26:27], -v[28:29]
	scratch_load_b128 v[26:29], off, off offset:976
	ds_load_b128 v[6:9], v1 offset:1872
	v_add_f64 v[52:53], v[52:53], v[54:55]
	v_add_f64 v[56:57], v[56:57], v[62:63]
	v_fma_f64 v[60:61], v[181:182], v[34:35], v[60:61]
	v_fma_f64 v[62:63], v[179:180], v[34:35], -v[36:37]
	ds_load_b128 v[179:182], v1 offset:1920
	s_waitcnt vmcnt(8) lgkmcnt(1)
	v_mul_f64 v[54:55], v[6:7], v[20:21]
	v_mul_f64 v[20:21], v[8:9], v[20:21]
	scratch_load_b128 v[34:37], off, off offset:992
	v_add_f64 v[52:53], v[52:53], v[58:59]
	v_add_f64 v[56:57], v[56:57], v[64:65]
	s_waitcnt vmcnt(8)
	v_mul_f64 v[58:59], v[243:244], v[48:49]
	v_mul_f64 v[48:49], v[245:246], v[48:49]
	v_fma_f64 v[54:55], v[8:9], v[18:19], v[54:55]
	v_fma_f64 v[64:65], v[6:7], v[18:19], -v[20:21]
	scratch_load_b128 v[18:21], off, off offset:1008
	ds_load_b128 v[6:9], v1 offset:1904
	v_add_f64 v[52:53], v[52:53], v[60:61]
	v_add_f64 v[56:57], v[56:57], v[62:63]
	s_waitcnt vmcnt(8) lgkmcnt(0)
	v_mul_f64 v[60:61], v[6:7], v[12:13]
	v_mul_f64 v[12:13], v[8:9], v[12:13]
	v_fma_f64 v[58:59], v[245:246], v[46:47], v[58:59]
	v_fma_f64 v[46:47], v[243:244], v[46:47], -v[48:49]
	v_add_f64 v[52:53], v[52:53], v[54:55]
	v_add_f64 v[48:49], v[56:57], v[64:65]
	s_waitcnt vmcnt(7)
	v_mul_f64 v[54:55], v[179:180], v[40:41]
	v_mul_f64 v[40:41], v[181:182], v[40:41]
	v_fma_f64 v[56:57], v[8:9], v[10:11], v[60:61]
	v_fma_f64 v[60:61], v[6:7], v[10:11], -v[12:13]
	ds_load_b128 v[6:9], v1 offset:1936
	ds_load_b128 v[10:13], v1 offset:1952
	v_add_f64 v[46:47], v[48:49], v[46:47]
	v_add_f64 v[48:49], v[52:53], v[58:59]
	s_waitcnt vmcnt(6) lgkmcnt(1)
	v_mul_f64 v[52:53], v[6:7], v[44:45]
	v_mul_f64 v[44:45], v[8:9], v[44:45]
	v_fma_f64 v[54:55], v[181:182], v[38:39], v[54:55]
	v_fma_f64 v[38:39], v[179:180], v[38:39], -v[40:41]
	v_add_f64 v[40:41], v[46:47], v[60:61]
	v_add_f64 v[46:47], v[48:49], v[56:57]
	s_waitcnt vmcnt(5) lgkmcnt(0)
	v_mul_f64 v[48:49], v[10:11], v[16:17]
	v_mul_f64 v[16:17], v[12:13], v[16:17]
	v_fma_f64 v[52:53], v[8:9], v[42:43], v[52:53]
	v_fma_f64 v[42:43], v[6:7], v[42:43], -v[44:45]
	v_add_f64 v[44:45], v[40:41], v[38:39]
	v_add_f64 v[46:47], v[46:47], v[54:55]
	ds_load_b128 v[6:9], v1 offset:1968
	ds_load_b128 v[38:41], v1 offset:1984
	v_fma_f64 v[12:13], v[12:13], v[14:15], v[48:49]
	v_fma_f64 v[10:11], v[10:11], v[14:15], -v[16:17]
	s_waitcnt vmcnt(4) lgkmcnt(1)
	v_mul_f64 v[54:55], v[6:7], v[32:33]
	v_mul_f64 v[32:33], v[8:9], v[32:33]
	v_add_f64 v[14:15], v[44:45], v[42:43]
	v_add_f64 v[16:17], v[46:47], v[52:53]
	s_waitcnt vmcnt(3) lgkmcnt(0)
	v_mul_f64 v[42:43], v[38:39], v[24:25]
	v_mul_f64 v[24:25], v[40:41], v[24:25]
	v_fma_f64 v[44:45], v[8:9], v[30:31], v[54:55]
	v_fma_f64 v[30:31], v[6:7], v[30:31], -v[32:33]
	v_add_f64 v[14:15], v[14:15], v[10:11]
	v_add_f64 v[16:17], v[16:17], v[12:13]
	ds_load_b128 v[6:9], v1 offset:2000
	ds_load_b128 v[10:13], v1 offset:2016
	v_fma_f64 v[40:41], v[40:41], v[22:23], v[42:43]
	v_fma_f64 v[22:23], v[38:39], v[22:23], -v[24:25]
	s_waitcnt vmcnt(2) lgkmcnt(1)
	v_mul_f64 v[32:33], v[6:7], v[28:29]
	v_mul_f64 v[28:29], v[8:9], v[28:29]
	s_waitcnt vmcnt(1) lgkmcnt(0)
	v_mul_f64 v[24:25], v[10:11], v[36:37]
	v_add_f64 v[14:15], v[14:15], v[30:31]
	v_add_f64 v[16:17], v[16:17], v[44:45]
	v_mul_f64 v[30:31], v[12:13], v[36:37]
	v_fma_f64 v[32:33], v[8:9], v[26:27], v[32:33]
	v_fma_f64 v[26:27], v[6:7], v[26:27], -v[28:29]
	ds_load_b128 v[6:9], v1 offset:2032
	v_fma_f64 v[12:13], v[12:13], v[34:35], v[24:25]
	v_add_f64 v[14:15], v[14:15], v[22:23]
	v_add_f64 v[16:17], v[16:17], v[40:41]
	v_fma_f64 v[10:11], v[10:11], v[34:35], -v[30:31]
	s_waitcnt vmcnt(0) lgkmcnt(0)
	v_mul_f64 v[22:23], v[6:7], v[20:21]
	v_mul_f64 v[20:21], v[8:9], v[20:21]
	v_add_f64 v[14:15], v[14:15], v[26:27]
	v_add_f64 v[16:17], v[16:17], v[32:33]
	s_delay_alu instid0(VALU_DEP_4) | instskip(NEXT) | instid1(VALU_DEP_4)
	v_fma_f64 v[8:9], v[8:9], v[18:19], v[22:23]
	v_fma_f64 v[6:7], v[6:7], v[18:19], -v[20:21]
	s_delay_alu instid0(VALU_DEP_4) | instskip(NEXT) | instid1(VALU_DEP_4)
	v_add_f64 v[10:11], v[14:15], v[10:11]
	v_add_f64 v[12:13], v[16:17], v[12:13]
	s_delay_alu instid0(VALU_DEP_2) | instskip(NEXT) | instid1(VALU_DEP_2)
	v_add_f64 v[6:7], v[10:11], v[6:7]
	v_add_f64 v[8:9], v[12:13], v[8:9]
	s_delay_alu instid0(VALU_DEP_2) | instskip(NEXT) | instid1(VALU_DEP_2)
	v_add_f64 v[2:3], v[2:3], -v[6:7]
	v_add_f64 v[4:5], v[4:5], -v[8:9]
	scratch_store_b128 off, v[2:5], off offset:96
	v_cmpx_lt_u32_e32 5, v178
	s_cbranch_execz .LBB127_398
; %bb.397:
	scratch_load_b32 v2, off, off offset:1220 ; 4-byte Folded Reload
	v_mov_b32_e32 v3, v1
	v_mov_b32_e32 v4, v1
	s_waitcnt vmcnt(0)
	scratch_load_b128 v[5:8], v2, off
	v_mov_b32_e32 v2, v1
	scratch_store_b128 off, v[1:4], off offset:80
	s_waitcnt vmcnt(0)
	ds_store_b128 v255, v[5:8]
.LBB127_398:
	s_or_b32 exec_lo, exec_lo, s2
	s_waitcnt lgkmcnt(0)
	s_waitcnt_vscnt null, 0x0
	s_barrier
	buffer_gl0_inv
	s_clause 0x8
	scratch_load_b128 v[34:37], off, off offset:96
	scratch_load_b128 v[38:41], off, off offset:112
	;; [unrolled: 1-line block ×9, first 2 shown]
	ds_load_b128 v[46:49], v1 offset:1120
	ds_load_b128 v[42:45], v1 offset:1136
	s_clause 0x1
	scratch_load_b128 v[2:5], off, off offset:80
	scratch_load_b128 v[179:182], off, off offset:240
	s_mov_b32 s2, exec_lo
	ds_load_b128 v[243:246], v1 offset:1168
	ds_load_b128 v[247:250], v1 offset:1296
	s_waitcnt vmcnt(10) lgkmcnt(3)
	v_mul_f64 v[52:53], v[48:49], v[36:37]
	v_mul_f64 v[36:37], v[46:47], v[36:37]
	s_waitcnt vmcnt(9) lgkmcnt(2)
	v_mul_f64 v[54:55], v[42:43], v[40:41]
	v_mul_f64 v[40:41], v[44:45], v[40:41]
	s_waitcnt vmcnt(7) lgkmcnt(1)
	v_mul_f64 v[60:61], v[245:246], v[28:29]
	v_fma_f64 v[52:53], v[46:47], v[34:35], -v[52:53]
	v_fma_f64 v[56:57], v[48:49], v[34:35], v[36:37]
	ds_load_b128 v[34:37], v1 offset:1152
	scratch_load_b128 v[46:49], off, off offset:256
	v_fma_f64 v[44:45], v[44:45], v[38:39], v[54:55]
	v_fma_f64 v[42:43], v[42:43], v[38:39], -v[40:41]
	scratch_load_b128 v[38:41], off, off offset:272
	v_fma_f64 v[60:61], v[243:244], v[26:27], -v[60:61]
	s_waitcnt lgkmcnt(0)
	v_mul_f64 v[58:59], v[34:35], v[32:33]
	v_mul_f64 v[32:33], v[36:37], v[32:33]
	v_add_f64 v[52:53], v[52:53], 0
	v_add_f64 v[54:55], v[56:57], 0
	v_mul_f64 v[56:57], v[243:244], v[28:29]
	v_fma_f64 v[36:37], v[36:37], v[30:31], v[58:59]
	v_fma_f64 v[58:59], v[34:35], v[30:31], -v[32:33]
	ds_load_b128 v[28:31], v1 offset:1184
	scratch_load_b128 v[32:35], off, off offset:288
	v_add_f64 v[52:53], v[52:53], v[42:43]
	v_add_f64 v[54:55], v[54:55], v[44:45]
	ds_load_b128 v[42:45], v1 offset:1200
	v_fma_f64 v[56:57], v[245:246], v[26:27], v[56:57]
	ds_load_b128 v[243:246], v1 offset:1232
	s_waitcnt vmcnt(9) lgkmcnt(2)
	v_mul_f64 v[62:63], v[28:29], v[24:25]
	v_mul_f64 v[64:65], v[30:31], v[24:25]
	scratch_load_b128 v[24:27], off, off offset:304
	v_add_f64 v[52:53], v[52:53], v[58:59]
	v_add_f64 v[36:37], v[54:55], v[36:37]
	s_waitcnt vmcnt(9) lgkmcnt(1)
	v_mul_f64 v[54:55], v[42:43], v[20:21]
	v_mul_f64 v[58:59], v[44:45], v[20:21]
	v_fma_f64 v[62:63], v[30:31], v[22:23], v[62:63]
	v_fma_f64 v[64:65], v[28:29], v[22:23], -v[64:65]
	ds_load_b128 v[20:23], v1 offset:1216
	scratch_load_b128 v[28:31], off, off offset:320
	v_add_f64 v[52:53], v[52:53], v[60:61]
	v_add_f64 v[36:37], v[36:37], v[56:57]
	s_waitcnt vmcnt(9) lgkmcnt(0)
	v_mul_f64 v[56:57], v[20:21], v[16:17]
	v_mul_f64 v[60:61], v[22:23], v[16:17]
	v_fma_f64 v[44:45], v[44:45], v[18:19], v[54:55]
	v_fma_f64 v[42:43], v[42:43], v[18:19], -v[58:59]
	scratch_load_b128 v[16:19], off, off offset:336
	s_waitcnt vmcnt(9)
	v_mul_f64 v[54:55], v[243:244], v[12:13]
	v_mul_f64 v[58:59], v[245:246], v[12:13]
	v_add_f64 v[52:53], v[52:53], v[64:65]
	v_add_f64 v[36:37], v[36:37], v[62:63]
	v_fma_f64 v[56:57], v[22:23], v[14:15], v[56:57]
	v_fma_f64 v[60:61], v[20:21], v[14:15], -v[60:61]
	ds_load_b128 v[12:15], v1 offset:1248
	scratch_load_b128 v[20:23], off, off offset:352
	v_fma_f64 v[54:55], v[245:246], v[10:11], v[54:55]
	v_fma_f64 v[58:59], v[243:244], v[10:11], -v[58:59]
	scratch_load_b128 v[243:246], off, off offset:384
	v_add_f64 v[52:53], v[52:53], v[42:43]
	v_add_f64 v[36:37], v[36:37], v[44:45]
	ds_load_b128 v[42:45], v1 offset:1264
	s_waitcnt vmcnt(10) lgkmcnt(1)
	v_mul_f64 v[62:63], v[12:13], v[8:9]
	v_mul_f64 v[64:65], v[14:15], v[8:9]
	scratch_load_b128 v[8:11], off, off offset:368
	v_add_f64 v[52:53], v[52:53], v[60:61]
	v_add_f64 v[36:37], v[36:37], v[56:57]
	s_waitcnt vmcnt(9) lgkmcnt(0)
	v_mul_f64 v[56:57], v[42:43], v[181:182]
	v_mul_f64 v[60:61], v[44:45], v[181:182]
	v_fma_f64 v[62:63], v[14:15], v[6:7], v[62:63]
	v_fma_f64 v[6:7], v[12:13], v[6:7], -v[64:65]
	ds_load_b128 v[12:15], v1 offset:1280
	v_add_f64 v[52:53], v[52:53], v[58:59]
	v_add_f64 v[36:37], v[36:37], v[54:55]
	v_fma_f64 v[56:57], v[44:45], v[179:180], v[56:57]
	v_fma_f64 v[58:59], v[42:43], v[179:180], -v[60:61]
	scratch_load_b128 v[42:45], off, off offset:400
	ds_load_b128 v[179:182], v1 offset:1328
	s_waitcnt vmcnt(9) lgkmcnt(1)
	v_mul_f64 v[54:55], v[12:13], v[48:49]
	v_mul_f64 v[48:49], v[14:15], v[48:49]
	v_add_f64 v[6:7], v[52:53], v[6:7]
	v_add_f64 v[36:37], v[36:37], v[62:63]
	s_waitcnt vmcnt(8)
	v_mul_f64 v[52:53], v[247:248], v[40:41]
	v_mul_f64 v[40:41], v[249:250], v[40:41]
	v_fma_f64 v[54:55], v[14:15], v[46:47], v[54:55]
	v_fma_f64 v[60:61], v[12:13], v[46:47], -v[48:49]
	ds_load_b128 v[12:15], v1 offset:1312
	scratch_load_b128 v[46:49], off, off offset:416
	v_add_f64 v[6:7], v[6:7], v[58:59]
	v_add_f64 v[36:37], v[36:37], v[56:57]
	v_fma_f64 v[52:53], v[249:250], v[38:39], v[52:53]
	s_waitcnt vmcnt(8) lgkmcnt(0)
	v_mul_f64 v[56:57], v[12:13], v[34:35]
	v_mul_f64 v[58:59], v[14:15], v[34:35]
	v_fma_f64 v[38:39], v[247:248], v[38:39], -v[40:41]
	ds_load_b128 v[247:250], v1 offset:1360
	v_add_f64 v[6:7], v[6:7], v[60:61]
	v_add_f64 v[40:41], v[36:37], v[54:55]
	scratch_load_b128 v[34:37], off, off offset:432
	s_waitcnt vmcnt(8)
	v_mul_f64 v[54:55], v[179:180], v[26:27]
	v_mul_f64 v[26:27], v[181:182], v[26:27]
	v_fma_f64 v[56:57], v[14:15], v[32:33], v[56:57]
	v_fma_f64 v[32:33], v[12:13], v[32:33], -v[58:59]
	ds_load_b128 v[12:15], v1 offset:1344
	s_waitcnt vmcnt(7) lgkmcnt(0)
	v_mul_f64 v[58:59], v[12:13], v[30:31]
	v_mul_f64 v[30:31], v[14:15], v[30:31]
	v_add_f64 v[6:7], v[6:7], v[38:39]
	v_add_f64 v[52:53], v[40:41], v[52:53]
	scratch_load_b128 v[38:41], off, off offset:448
	v_fma_f64 v[54:55], v[181:182], v[24:25], v[54:55]
	v_fma_f64 v[60:61], v[179:180], v[24:25], -v[26:27]
	scratch_load_b128 v[24:27], off, off offset:464
	ds_load_b128 v[179:182], v1 offset:1392
	v_add_f64 v[6:7], v[6:7], v[32:33]
	v_add_f64 v[32:33], v[52:53], v[56:57]
	s_waitcnt vmcnt(8)
	v_mul_f64 v[52:53], v[247:248], v[18:19]
	v_mul_f64 v[18:19], v[249:250], v[18:19]
	v_fma_f64 v[56:57], v[14:15], v[28:29], v[58:59]
	v_fma_f64 v[58:59], v[12:13], v[28:29], -v[30:31]
	ds_load_b128 v[12:15], v1 offset:1376
	scratch_load_b128 v[28:31], off, off offset:480
	v_add_f64 v[6:7], v[6:7], v[60:61]
	v_add_f64 v[32:33], v[32:33], v[54:55]
	s_waitcnt vmcnt(8) lgkmcnt(0)
	v_mul_f64 v[54:55], v[12:13], v[22:23]
	v_mul_f64 v[22:23], v[14:15], v[22:23]
	v_fma_f64 v[52:53], v[249:250], v[16:17], v[52:53]
	v_fma_f64 v[60:61], v[247:248], v[16:17], -v[18:19]
	scratch_load_b128 v[16:19], off, off offset:496
	ds_load_b128 v[247:250], v1 offset:1424
	v_add_f64 v[6:7], v[6:7], v[58:59]
	v_add_f64 v[32:33], v[32:33], v[56:57]
	s_waitcnt vmcnt(7)
	v_mul_f64 v[56:57], v[179:180], v[10:11]
	v_mul_f64 v[58:59], v[181:182], v[10:11]
	v_fma_f64 v[14:15], v[14:15], v[20:21], v[54:55]
	v_fma_f64 v[54:55], v[12:13], v[20:21], -v[22:23]
	ds_load_b128 v[10:13], v1 offset:1408
	scratch_load_b128 v[20:23], off, off offset:512
	v_add_f64 v[6:7], v[6:7], v[60:61]
	v_add_f64 v[32:33], v[32:33], v[52:53]
	s_waitcnt lgkmcnt(0)
	v_mul_f64 v[52:53], v[10:11], v[245:246]
	v_mul_f64 v[60:61], v[12:13], v[245:246]
	v_fma_f64 v[56:57], v[181:182], v[8:9], v[56:57]
	v_fma_f64 v[58:59], v[179:180], v[8:9], -v[58:59]
	scratch_load_b128 v[179:182], off, off offset:544
	v_add_f64 v[54:55], v[6:7], v[54:55]
	v_add_f64 v[14:15], v[32:33], v[14:15]
	scratch_load_b128 v[6:9], off, off offset:528
	s_waitcnt vmcnt(9)
	v_mul_f64 v[32:33], v[247:248], v[44:45]
	v_mul_f64 v[44:45], v[249:250], v[44:45]
	v_fma_f64 v[52:53], v[12:13], v[243:244], v[52:53]
	v_fma_f64 v[60:61], v[10:11], v[243:244], -v[60:61]
	ds_load_b128 v[10:13], v1 offset:1440
	ds_load_b128 v[243:246], v1 offset:1456
	v_add_f64 v[54:55], v[54:55], v[58:59]
	v_add_f64 v[14:15], v[14:15], v[56:57]
	s_waitcnt vmcnt(8) lgkmcnt(1)
	v_mul_f64 v[56:57], v[10:11], v[48:49]
	v_mul_f64 v[48:49], v[12:13], v[48:49]
	v_fma_f64 v[32:33], v[249:250], v[42:43], v[32:33]
	v_fma_f64 v[58:59], v[247:248], v[42:43], -v[44:45]
	scratch_load_b128 v[42:45], off, off offset:560
	ds_load_b128 v[247:250], v1 offset:1488
	v_add_f64 v[54:55], v[54:55], v[60:61]
	v_add_f64 v[14:15], v[14:15], v[52:53]
	v_fma_f64 v[56:57], v[12:13], v[46:47], v[56:57]
	v_fma_f64 v[60:61], v[10:11], v[46:47], -v[48:49]
	ds_load_b128 v[10:13], v1 offset:1472
	scratch_load_b128 v[46:49], off, off offset:576
	s_waitcnt vmcnt(9) lgkmcnt(2)
	v_mul_f64 v[52:53], v[243:244], v[36:37]
	v_mul_f64 v[36:37], v[245:246], v[36:37]
	v_add_f64 v[54:55], v[54:55], v[58:59]
	v_add_f64 v[14:15], v[14:15], v[32:33]
	s_waitcnt vmcnt(8) lgkmcnt(0)
	v_mul_f64 v[58:59], v[10:11], v[40:41]
	v_mul_f64 v[40:41], v[12:13], v[40:41]
	v_fma_f64 v[52:53], v[245:246], v[34:35], v[52:53]
	v_fma_f64 v[36:37], v[243:244], v[34:35], -v[36:37]
	scratch_load_b128 v[32:35], off, off offset:592
	ds_load_b128 v[243:246], v1 offset:1520
	v_add_f64 v[54:55], v[54:55], v[60:61]
	v_add_f64 v[14:15], v[14:15], v[56:57]
	s_waitcnt vmcnt(8)
	v_mul_f64 v[56:57], v[247:248], v[26:27]
	v_mul_f64 v[26:27], v[249:250], v[26:27]
	v_fma_f64 v[58:59], v[12:13], v[38:39], v[58:59]
	v_fma_f64 v[40:41], v[10:11], v[38:39], -v[40:41]
	ds_load_b128 v[10:13], v1 offset:1504
	v_add_f64 v[54:55], v[54:55], v[36:37]
	v_add_f64 v[14:15], v[14:15], v[52:53]
	scratch_load_b128 v[36:39], off, off offset:608
	s_waitcnt vmcnt(8) lgkmcnt(0)
	v_mul_f64 v[52:53], v[10:11], v[30:31]
	v_mul_f64 v[30:31], v[12:13], v[30:31]
	v_fma_f64 v[56:57], v[249:250], v[24:25], v[56:57]
	v_fma_f64 v[60:61], v[247:248], v[24:25], -v[26:27]
	scratch_load_b128 v[24:27], off, off offset:624
	ds_load_b128 v[247:250], v1 offset:1552
	v_add_f64 v[40:41], v[54:55], v[40:41]
	v_add_f64 v[14:15], v[14:15], v[58:59]
	s_waitcnt vmcnt(8)
	v_mul_f64 v[54:55], v[243:244], v[18:19]
	v_mul_f64 v[18:19], v[245:246], v[18:19]
	v_fma_f64 v[52:53], v[12:13], v[28:29], v[52:53]
	v_fma_f64 v[58:59], v[10:11], v[28:29], -v[30:31]
	ds_load_b128 v[10:13], v1 offset:1536
	scratch_load_b128 v[28:31], off, off offset:640
	v_add_f64 v[40:41], v[40:41], v[60:61]
	v_add_f64 v[14:15], v[14:15], v[56:57]
	s_waitcnt vmcnt(8) lgkmcnt(0)
	v_mul_f64 v[56:57], v[10:11], v[22:23]
	v_mul_f64 v[22:23], v[12:13], v[22:23]
	v_fma_f64 v[54:55], v[245:246], v[16:17], v[54:55]
	v_fma_f64 v[18:19], v[243:244], v[16:17], -v[18:19]
	ds_load_b128 v[243:246], v1 offset:1584
	v_add_f64 v[40:41], v[40:41], v[58:59]
	v_add_f64 v[52:53], v[14:15], v[52:53]
	scratch_load_b128 v[14:17], off, off offset:656
	v_fma_f64 v[12:13], v[12:13], v[20:21], v[56:57]
	v_fma_f64 v[22:23], v[10:11], v[20:21], -v[22:23]
	s_waitcnt vmcnt(7)
	v_mul_f64 v[58:59], v[247:248], v[8:9]
	v_mul_f64 v[60:61], v[249:250], v[8:9]
	ds_load_b128 v[8:11], v1 offset:1568
	v_add_f64 v[40:41], v[40:41], v[18:19]
	v_add_f64 v[52:53], v[52:53], v[54:55]
	scratch_load_b128 v[18:21], off, off offset:672
	s_waitcnt lgkmcnt(0)
	v_mul_f64 v[54:55], v[8:9], v[181:182]
	v_mul_f64 v[56:57], v[10:11], v[181:182]
	v_fma_f64 v[58:59], v[249:250], v[6:7], v[58:59]
	v_fma_f64 v[6:7], v[247:248], v[6:7], -v[60:61]
	scratch_load_b128 v[247:250], off, off offset:688
	v_add_f64 v[22:23], v[40:41], v[22:23]
	v_add_f64 v[12:13], v[52:53], v[12:13]
	s_waitcnt vmcnt(8)
	v_mul_f64 v[40:41], v[243:244], v[44:45]
	v_mul_f64 v[44:45], v[245:246], v[44:45]
	v_fma_f64 v[52:53], v[10:11], v[179:180], v[54:55]
	v_fma_f64 v[54:55], v[8:9], v[179:180], -v[56:57]
	ds_load_b128 v[179:182], v1 offset:1616
	v_add_f64 v[22:23], v[22:23], v[6:7]
	v_add_f64 v[56:57], v[12:13], v[58:59]
	ds_load_b128 v[6:9], v1 offset:1600
	scratch_load_b128 v[10:13], off, off offset:704
	v_fma_f64 v[60:61], v[245:246], v[42:43], v[40:41]
	v_fma_f64 v[44:45], v[243:244], v[42:43], -v[44:45]
	scratch_load_b128 v[40:43], off, off offset:720
	ds_load_b128 v[243:246], v1 offset:1648
	s_waitcnt vmcnt(9) lgkmcnt(1)
	v_mul_f64 v[58:59], v[6:7], v[48:49]
	v_mul_f64 v[48:49], v[8:9], v[48:49]
	v_add_f64 v[22:23], v[22:23], v[54:55]
	v_add_f64 v[52:53], v[56:57], v[52:53]
	s_waitcnt vmcnt(8)
	v_mul_f64 v[54:55], v[179:180], v[34:35]
	v_mul_f64 v[34:35], v[181:182], v[34:35]
	v_fma_f64 v[56:57], v[8:9], v[46:47], v[58:59]
	v_fma_f64 v[48:49], v[6:7], v[46:47], -v[48:49]
	ds_load_b128 v[6:9], v1 offset:1632
	v_add_f64 v[22:23], v[22:23], v[44:45]
	v_add_f64 v[52:53], v[52:53], v[60:61]
	scratch_load_b128 v[44:47], off, off offset:736
	v_fma_f64 v[54:55], v[181:182], v[32:33], v[54:55]
	v_fma_f64 v[60:61], v[179:180], v[32:33], -v[34:35]
	scratch_load_b128 v[32:35], off, off offset:752
	ds_load_b128 v[179:182], v1 offset:1680
	s_waitcnt vmcnt(9) lgkmcnt(1)
	v_mul_f64 v[58:59], v[6:7], v[38:39]
	v_mul_f64 v[38:39], v[8:9], v[38:39]
	v_add_f64 v[22:23], v[22:23], v[48:49]
	v_add_f64 v[48:49], v[52:53], v[56:57]
	s_waitcnt vmcnt(8)
	v_mul_f64 v[52:53], v[243:244], v[26:27]
	v_mul_f64 v[26:27], v[245:246], v[26:27]
	v_fma_f64 v[56:57], v[8:9], v[36:37], v[58:59]
	v_fma_f64 v[58:59], v[6:7], v[36:37], -v[38:39]
	ds_load_b128 v[6:9], v1 offset:1664
	scratch_load_b128 v[36:39], off, off offset:768
	v_add_f64 v[22:23], v[22:23], v[60:61]
	v_add_f64 v[48:49], v[48:49], v[54:55]
	s_waitcnt vmcnt(8) lgkmcnt(0)
	v_mul_f64 v[54:55], v[6:7], v[30:31]
	v_mul_f64 v[30:31], v[8:9], v[30:31]
	v_fma_f64 v[52:53], v[245:246], v[24:25], v[52:53]
	v_fma_f64 v[26:27], v[243:244], v[24:25], -v[26:27]
	ds_load_b128 v[243:246], v1 offset:1712
	v_add_f64 v[58:59], v[22:23], v[58:59]
	scratch_load_b128 v[22:25], off, off offset:784
	v_add_f64 v[48:49], v[48:49], v[56:57]
	v_fma_f64 v[54:55], v[8:9], v[28:29], v[54:55]
	v_fma_f64 v[30:31], v[6:7], v[28:29], -v[30:31]
	ds_load_b128 v[6:9], v1 offset:1696
	s_waitcnt vmcnt(8)
	v_mul_f64 v[56:57], v[179:180], v[16:17]
	v_mul_f64 v[16:17], v[181:182], v[16:17]
	v_add_f64 v[58:59], v[58:59], v[26:27]
	scratch_load_b128 v[26:29], off, off offset:800
	v_add_f64 v[48:49], v[48:49], v[52:53]
	s_waitcnt vmcnt(8) lgkmcnt(0)
	v_mul_f64 v[52:53], v[6:7], v[20:21]
	v_mul_f64 v[20:21], v[8:9], v[20:21]
	v_fma_f64 v[56:57], v[181:182], v[14:15], v[56:57]
	v_fma_f64 v[60:61], v[179:180], v[14:15], -v[16:17]
	scratch_load_b128 v[14:17], off, off offset:816
	ds_load_b128 v[179:182], v1 offset:1744
	v_add_f64 v[30:31], v[58:59], v[30:31]
	s_waitcnt vmcnt(8)
	v_mul_f64 v[58:59], v[245:246], v[249:250]
	v_add_f64 v[48:49], v[48:49], v[54:55]
	v_mul_f64 v[54:55], v[243:244], v[249:250]
	v_fma_f64 v[52:53], v[8:9], v[18:19], v[52:53]
	v_fma_f64 v[62:63], v[6:7], v[18:19], -v[20:21]
	ds_load_b128 v[6:9], v1 offset:1728
	scratch_load_b128 v[18:21], off, off offset:832
	v_add_f64 v[30:31], v[30:31], v[60:61]
	v_fma_f64 v[58:59], v[243:244], v[247:248], -v[58:59]
	v_add_f64 v[48:49], v[48:49], v[56:57]
	v_fma_f64 v[54:55], v[245:246], v[247:248], v[54:55]
	scratch_load_b128 v[243:246], off, off offset:848
	ds_load_b128 v[247:250], v1 offset:1776
	s_waitcnt vmcnt(9) lgkmcnt(1)
	v_mul_f64 v[56:57], v[6:7], v[12:13]
	v_mul_f64 v[12:13], v[8:9], v[12:13]
	v_add_f64 v[30:31], v[30:31], v[62:63]
	v_add_f64 v[48:49], v[48:49], v[52:53]
	s_waitcnt vmcnt(8)
	v_mul_f64 v[52:53], v[179:180], v[42:43]
	v_mul_f64 v[42:43], v[181:182], v[42:43]
	v_fma_f64 v[56:57], v[8:9], v[10:11], v[56:57]
	v_fma_f64 v[60:61], v[6:7], v[10:11], -v[12:13]
	ds_load_b128 v[6:9], v1 offset:1760
	scratch_load_b128 v[10:13], off, off offset:864
	v_add_f64 v[30:31], v[30:31], v[58:59]
	v_add_f64 v[48:49], v[48:49], v[54:55]
	v_fma_f64 v[52:53], v[181:182], v[40:41], v[52:53]
	v_fma_f64 v[58:59], v[179:180], v[40:41], -v[42:43]
	scratch_load_b128 v[40:43], off, off offset:880
	ds_load_b128 v[179:182], v1 offset:1808
	s_waitcnt vmcnt(9) lgkmcnt(1)
	v_mul_f64 v[54:55], v[6:7], v[46:47]
	v_mul_f64 v[46:47], v[8:9], v[46:47]
	v_add_f64 v[30:31], v[30:31], v[60:61]
	v_add_f64 v[48:49], v[48:49], v[56:57]
	s_waitcnt vmcnt(8)
	v_mul_f64 v[56:57], v[247:248], v[34:35]
	v_mul_f64 v[34:35], v[249:250], v[34:35]
	v_fma_f64 v[54:55], v[8:9], v[44:45], v[54:55]
	v_fma_f64 v[60:61], v[6:7], v[44:45], -v[46:47]
	ds_load_b128 v[6:9], v1 offset:1792
	scratch_load_b128 v[44:47], off, off offset:896
	v_add_f64 v[30:31], v[30:31], v[58:59]
	v_add_f64 v[48:49], v[48:49], v[52:53]
	s_waitcnt vmcnt(8) lgkmcnt(0)
	v_mul_f64 v[52:53], v[6:7], v[38:39]
	v_mul_f64 v[38:39], v[8:9], v[38:39]
	v_fma_f64 v[56:57], v[249:250], v[32:33], v[56:57]
	v_fma_f64 v[34:35], v[247:248], v[32:33], -v[34:35]
	ds_load_b128 v[247:250], v1 offset:1840
	v_add_f64 v[58:59], v[30:31], v[60:61]
	scratch_load_b128 v[30:33], off, off offset:912
	v_add_f64 v[48:49], v[48:49], v[54:55]
	v_fma_f64 v[52:53], v[8:9], v[36:37], v[52:53]
	v_fma_f64 v[38:39], v[6:7], v[36:37], -v[38:39]
	ds_load_b128 v[6:9], v1 offset:1824
	s_waitcnt vmcnt(8)
	v_mul_f64 v[54:55], v[179:180], v[24:25]
	v_mul_f64 v[24:25], v[181:182], v[24:25]
	v_add_f64 v[58:59], v[58:59], v[34:35]
	scratch_load_b128 v[34:37], off, off offset:928
	v_add_f64 v[48:49], v[48:49], v[56:57]
	s_waitcnt vmcnt(8) lgkmcnt(0)
	v_mul_f64 v[56:57], v[6:7], v[28:29]
	v_mul_f64 v[28:29], v[8:9], v[28:29]
	v_fma_f64 v[54:55], v[181:182], v[22:23], v[54:55]
	v_fma_f64 v[60:61], v[179:180], v[22:23], -v[24:25]
	scratch_load_b128 v[22:25], off, off offset:944
	ds_load_b128 v[179:182], v1 offset:1872
	v_add_f64 v[38:39], v[58:59], v[38:39]
	v_add_f64 v[48:49], v[48:49], v[52:53]
	s_waitcnt vmcnt(8)
	v_mul_f64 v[52:53], v[247:248], v[16:17]
	v_mul_f64 v[16:17], v[249:250], v[16:17]
	v_fma_f64 v[56:57], v[8:9], v[26:27], v[56:57]
	v_fma_f64 v[58:59], v[6:7], v[26:27], -v[28:29]
	ds_load_b128 v[6:9], v1 offset:1856
	scratch_load_b128 v[26:29], off, off offset:960
	v_add_f64 v[38:39], v[38:39], v[60:61]
	v_add_f64 v[48:49], v[48:49], v[54:55]
	s_waitcnt vmcnt(8) lgkmcnt(0)
	v_mul_f64 v[54:55], v[6:7], v[20:21]
	v_mul_f64 v[20:21], v[8:9], v[20:21]
	v_fma_f64 v[52:53], v[249:250], v[14:15], v[52:53]
	v_fma_f64 v[60:61], v[247:248], v[14:15], -v[16:17]
	scratch_load_b128 v[14:17], off, off offset:976
	v_add_f64 v[38:39], v[38:39], v[58:59]
	s_waitcnt vmcnt(8)
	v_mul_f64 v[58:59], v[181:182], v[245:246]
	v_add_f64 v[48:49], v[48:49], v[56:57]
	v_mul_f64 v[56:57], v[179:180], v[245:246]
	v_fma_f64 v[54:55], v[8:9], v[18:19], v[54:55]
	v_fma_f64 v[62:63], v[6:7], v[18:19], -v[20:21]
	ds_load_b128 v[6:9], v1 offset:1888
	ds_load_b128 v[245:248], v1 offset:1904
	scratch_load_b128 v[18:21], off, off offset:992
	v_add_f64 v[38:39], v[38:39], v[60:61]
	v_fma_f64 v[58:59], v[179:180], v[243:244], -v[58:59]
	v_add_f64 v[48:49], v[48:49], v[52:53]
	s_waitcnt vmcnt(8) lgkmcnt(1)
	v_mul_f64 v[52:53], v[6:7], v[12:13]
	v_mul_f64 v[12:13], v[8:9], v[12:13]
	v_fma_f64 v[56:57], v[181:182], v[243:244], v[56:57]
	scratch_load_b128 v[179:182], off, off offset:1008
	v_add_f64 v[38:39], v[38:39], v[62:63]
	v_add_f64 v[48:49], v[48:49], v[54:55]
	s_waitcnt vmcnt(8) lgkmcnt(0)
	v_mul_f64 v[54:55], v[245:246], v[42:43]
	v_mul_f64 v[42:43], v[247:248], v[42:43]
	v_fma_f64 v[52:53], v[8:9], v[10:11], v[52:53]
	v_fma_f64 v[60:61], v[6:7], v[10:11], -v[12:13]
	ds_load_b128 v[6:9], v1 offset:1920
	ds_load_b128 v[10:13], v1 offset:1936
	v_add_f64 v[38:39], v[38:39], v[58:59]
	v_add_f64 v[48:49], v[48:49], v[56:57]
	s_waitcnt vmcnt(7) lgkmcnt(1)
	v_mul_f64 v[56:57], v[6:7], v[46:47]
	v_mul_f64 v[46:47], v[8:9], v[46:47]
	v_fma_f64 v[54:55], v[247:248], v[40:41], v[54:55]
	v_fma_f64 v[40:41], v[245:246], v[40:41], -v[42:43]
	v_add_f64 v[38:39], v[38:39], v[60:61]
	v_add_f64 v[42:43], v[48:49], v[52:53]
	v_fma_f64 v[52:53], v[8:9], v[44:45], v[56:57]
	v_fma_f64 v[44:45], v[6:7], v[44:45], -v[46:47]
	s_waitcnt vmcnt(6) lgkmcnt(0)
	v_mul_f64 v[48:49], v[10:11], v[32:33]
	v_mul_f64 v[32:33], v[12:13], v[32:33]
	v_add_f64 v[46:47], v[38:39], v[40:41]
	ds_load_b128 v[6:9], v1 offset:1952
	ds_load_b128 v[38:41], v1 offset:1968
	v_add_f64 v[42:43], v[42:43], v[54:55]
	v_fma_f64 v[12:13], v[12:13], v[30:31], v[48:49]
	v_fma_f64 v[10:11], v[10:11], v[30:31], -v[32:33]
	s_waitcnt vmcnt(5) lgkmcnt(1)
	v_mul_f64 v[54:55], v[6:7], v[36:37]
	v_mul_f64 v[36:37], v[8:9], v[36:37]
	v_add_f64 v[30:31], v[46:47], v[44:45]
	v_add_f64 v[32:33], v[42:43], v[52:53]
	s_waitcnt vmcnt(4) lgkmcnt(0)
	v_mul_f64 v[42:43], v[38:39], v[24:25]
	v_mul_f64 v[24:25], v[40:41], v[24:25]
	v_fma_f64 v[44:45], v[8:9], v[34:35], v[54:55]
	v_fma_f64 v[34:35], v[6:7], v[34:35], -v[36:37]
	v_add_f64 v[30:31], v[30:31], v[10:11]
	v_add_f64 v[32:33], v[32:33], v[12:13]
	ds_load_b128 v[6:9], v1 offset:1984
	ds_load_b128 v[10:13], v1 offset:2000
	v_fma_f64 v[40:41], v[40:41], v[22:23], v[42:43]
	v_fma_f64 v[22:23], v[38:39], v[22:23], -v[24:25]
	s_waitcnt vmcnt(3) lgkmcnt(1)
	v_mul_f64 v[36:37], v[6:7], v[28:29]
	v_mul_f64 v[28:29], v[8:9], v[28:29]
	v_add_f64 v[24:25], v[30:31], v[34:35]
	v_add_f64 v[30:31], v[32:33], v[44:45]
	s_waitcnt vmcnt(2) lgkmcnt(0)
	v_mul_f64 v[32:33], v[10:11], v[16:17]
	v_mul_f64 v[16:17], v[12:13], v[16:17]
	v_fma_f64 v[34:35], v[8:9], v[26:27], v[36:37]
	v_fma_f64 v[26:27], v[6:7], v[26:27], -v[28:29]
	v_add_f64 v[28:29], v[24:25], v[22:23]
	ds_load_b128 v[6:9], v1 offset:2016
	ds_load_b128 v[22:25], v1 offset:2032
	v_add_f64 v[30:31], v[30:31], v[40:41]
	v_fma_f64 v[12:13], v[12:13], v[14:15], v[32:33]
	v_fma_f64 v[10:11], v[10:11], v[14:15], -v[16:17]
	s_waitcnt vmcnt(1) lgkmcnt(1)
	v_mul_f64 v[36:37], v[6:7], v[20:21]
	v_mul_f64 v[20:21], v[8:9], v[20:21]
	v_add_f64 v[14:15], v[28:29], v[26:27]
	s_waitcnt vmcnt(0) lgkmcnt(0)
	v_mul_f64 v[26:27], v[22:23], v[181:182]
	v_add_f64 v[16:17], v[30:31], v[34:35]
	v_mul_f64 v[28:29], v[24:25], v[181:182]
	v_fma_f64 v[8:9], v[8:9], v[18:19], v[36:37]
	v_fma_f64 v[6:7], v[6:7], v[18:19], -v[20:21]
	v_add_f64 v[10:11], v[14:15], v[10:11]
	v_fma_f64 v[14:15], v[24:25], v[179:180], v[26:27]
	v_add_f64 v[12:13], v[16:17], v[12:13]
	v_fma_f64 v[16:17], v[22:23], v[179:180], -v[28:29]
	s_delay_alu instid0(VALU_DEP_4) | instskip(NEXT) | instid1(VALU_DEP_3)
	v_add_f64 v[6:7], v[10:11], v[6:7]
	v_add_f64 v[8:9], v[12:13], v[8:9]
	s_delay_alu instid0(VALU_DEP_2) | instskip(NEXT) | instid1(VALU_DEP_2)
	v_add_f64 v[6:7], v[6:7], v[16:17]
	v_add_f64 v[8:9], v[8:9], v[14:15]
	s_delay_alu instid0(VALU_DEP_2) | instskip(NEXT) | instid1(VALU_DEP_2)
	v_add_f64 v[1:2], v[2:3], -v[6:7]
	v_add_f64 v[3:4], v[4:5], -v[8:9]
	scratch_store_b128 off, v[1:4], off offset:80
	v_cmpx_lt_u32_e32 4, v178
	s_cbranch_execz .LBB127_400
; %bb.399:
	v_add_nc_u32_e64 v1, 0, 64
	v_mov_b32_e32 v5, 0
	scratch_load_b128 v[1:4], v1, off
	v_mov_b32_e32 v6, v5
	v_mov_b32_e32 v7, v5
	;; [unrolled: 1-line block ×3, first 2 shown]
	scratch_store_b128 off, v[5:8], off offset:64
	s_waitcnt vmcnt(0)
	ds_store_b128 v255, v[1:4]
.LBB127_400:
	s_or_b32 exec_lo, exec_lo, s2
	s_waitcnt lgkmcnt(0)
	s_waitcnt_vscnt null, 0x0
	s_barrier
	buffer_gl0_inv
	s_clause 0x7
	scratch_load_b128 v[34:37], off, off offset:80
	scratch_load_b128 v[38:41], off, off offset:96
	;; [unrolled: 1-line block ×8, first 2 shown]
	v_mov_b32_e32 v1, 0
	s_mov_b32 s2, exec_lo
	ds_load_b128 v[46:49], v1 offset:1104
	s_clause 0x2
	scratch_load_b128 v[14:17], off, off offset:208
	scratch_load_b128 v[2:5], off, off offset:64
	;; [unrolled: 1-line block ×3, first 2 shown]
	ds_load_b128 v[42:45], v1 offset:1120
	ds_load_b128 v[243:246], v1 offset:1152
	;; [unrolled: 1-line block ×3, first 2 shown]
	s_waitcnt vmcnt(10) lgkmcnt(3)
	v_mul_f64 v[52:53], v[48:49], v[36:37]
	v_mul_f64 v[36:37], v[46:47], v[36:37]
	s_delay_alu instid0(VALU_DEP_2) | instskip(NEXT) | instid1(VALU_DEP_2)
	v_fma_f64 v[52:53], v[46:47], v[34:35], -v[52:53]
	v_fma_f64 v[56:57], v[48:49], v[34:35], v[36:37]
	ds_load_b128 v[34:37], v1 offset:1136
	s_waitcnt vmcnt(9) lgkmcnt(3)
	v_mul_f64 v[54:55], v[42:43], v[40:41]
	v_mul_f64 v[40:41], v[44:45], v[40:41]
	scratch_load_b128 v[46:49], off, off offset:240
	s_waitcnt vmcnt(9) lgkmcnt(0)
	v_mul_f64 v[58:59], v[34:35], v[32:33]
	v_mul_f64 v[32:33], v[36:37], v[32:33]
	v_add_f64 v[52:53], v[52:53], 0
	v_fma_f64 v[44:45], v[44:45], v[38:39], v[54:55]
	v_fma_f64 v[42:43], v[42:43], v[38:39], -v[40:41]
	v_add_f64 v[54:55], v[56:57], 0
	scratch_load_b128 v[38:41], off, off offset:256
	v_fma_f64 v[36:37], v[36:37], v[30:31], v[58:59]
	v_fma_f64 v[58:59], v[34:35], v[30:31], -v[32:33]
	scratch_load_b128 v[32:35], off, off offset:272
	v_add_f64 v[52:53], v[52:53], v[42:43]
	v_add_f64 v[54:55], v[54:55], v[44:45]
	ds_load_b128 v[42:45], v1 offset:1184
	s_waitcnt vmcnt(10)
	v_mul_f64 v[56:57], v[243:244], v[28:29]
	v_mul_f64 v[60:61], v[245:246], v[28:29]
	ds_load_b128 v[28:31], v1 offset:1168
	v_add_f64 v[52:53], v[52:53], v[58:59]
	v_add_f64 v[36:37], v[54:55], v[36:37]
	s_waitcnt vmcnt(8) lgkmcnt(1)
	v_mul_f64 v[54:55], v[42:43], v[20:21]
	v_fma_f64 v[56:57], v[245:246], v[26:27], v[56:57]
	v_fma_f64 v[60:61], v[243:244], v[26:27], -v[60:61]
	ds_load_b128 v[243:246], v1 offset:1216
	s_waitcnt lgkmcnt(1)
	v_mul_f64 v[62:63], v[28:29], v[24:25]
	v_mul_f64 v[64:65], v[30:31], v[24:25]
	scratch_load_b128 v[24:27], off, off offset:288
	v_mul_f64 v[58:59], v[44:45], v[20:21]
	v_fma_f64 v[54:55], v[44:45], v[18:19], v[54:55]
	v_add_f64 v[36:37], v[36:37], v[56:57]
	v_add_f64 v[52:53], v[52:53], v[60:61]
	s_waitcnt vmcnt(7) lgkmcnt(0)
	v_mul_f64 v[60:61], v[245:246], v[8:9]
	v_fma_f64 v[62:63], v[30:31], v[22:23], v[62:63]
	v_fma_f64 v[64:65], v[28:29], v[22:23], -v[64:65]
	scratch_load_b128 v[28:31], off, off offset:304
	ds_load_b128 v[20:23], v1 offset:1200
	v_fma_f64 v[18:19], v[42:43], v[18:19], -v[58:59]
	v_mul_f64 v[58:59], v[243:244], v[8:9]
	scratch_load_b128 v[42:45], off, off offset:320
	s_waitcnt lgkmcnt(0)
	v_mul_f64 v[56:57], v[20:21], v[12:13]
	v_mul_f64 v[12:13], v[22:23], v[12:13]
	v_add_f64 v[36:37], v[36:37], v[62:63]
	v_add_f64 v[52:53], v[52:53], v[64:65]
	s_delay_alu instid0(VALU_DEP_4) | instskip(NEXT) | instid1(VALU_DEP_4)
	v_fma_f64 v[22:23], v[22:23], v[10:11], v[56:57]
	v_fma_f64 v[12:13], v[20:21], v[10:11], -v[12:13]
	ds_load_b128 v[8:11], v1 offset:1232
	v_fma_f64 v[56:57], v[245:246], v[6:7], v[58:59]
	v_fma_f64 v[6:7], v[243:244], v[6:7], -v[60:61]
	scratch_load_b128 v[243:246], off, off offset:352
	v_add_f64 v[36:37], v[36:37], v[54:55]
	v_add_f64 v[52:53], v[52:53], v[18:19]
	scratch_load_b128 v[18:21], off, off offset:336
	v_add_f64 v[22:23], v[36:37], v[22:23]
	v_add_f64 v[12:13], v[52:53], v[12:13]
	s_waitcnt vmcnt(8)
	v_mul_f64 v[36:37], v[247:248], v[181:182]
	v_mul_f64 v[52:53], v[249:250], v[181:182]
	s_delay_alu instid0(VALU_DEP_4) | instskip(NEXT) | instid1(VALU_DEP_4)
	v_add_f64 v[22:23], v[22:23], v[56:57]
	v_add_f64 v[60:61], v[12:13], v[6:7]
	s_delay_alu instid0(VALU_DEP_4) | instskip(NEXT) | instid1(VALU_DEP_4)
	v_fma_f64 v[36:37], v[249:250], v[179:180], v[36:37]
	v_fma_f64 v[52:53], v[247:248], v[179:180], -v[52:53]
	ds_load_b128 v[247:250], v1 offset:1312
	s_waitcnt lgkmcnt(1)
	v_mul_f64 v[54:55], v[8:9], v[16:17]
	v_mul_f64 v[16:17], v[10:11], v[16:17]
	scratch_load_b128 v[179:182], off, off offset:384
	v_fma_f64 v[54:55], v[10:11], v[14:15], v[54:55]
	v_fma_f64 v[58:59], v[8:9], v[14:15], -v[16:17]
	ds_load_b128 v[6:9], v1 offset:1264
	ds_load_b128 v[14:17], v1 offset:1280
	scratch_load_b128 v[10:13], off, off offset:368
	s_waitcnt vmcnt(9) lgkmcnt(1)
	v_mul_f64 v[56:57], v[6:7], v[48:49]
	v_mul_f64 v[48:49], v[8:9], v[48:49]
	v_add_f64 v[22:23], v[22:23], v[54:55]
	v_add_f64 v[58:59], v[60:61], v[58:59]
	s_waitcnt vmcnt(8) lgkmcnt(0)
	v_mul_f64 v[54:55], v[14:15], v[40:41]
	v_mul_f64 v[40:41], v[16:17], v[40:41]
	v_fma_f64 v[56:57], v[8:9], v[46:47], v[56:57]
	v_fma_f64 v[60:61], v[6:7], v[46:47], -v[48:49]
	ds_load_b128 v[6:9], v1 offset:1296
	scratch_load_b128 v[46:49], off, off offset:400
	v_add_f64 v[22:23], v[22:23], v[36:37]
	v_add_f64 v[52:53], v[58:59], v[52:53]
	v_fma_f64 v[54:55], v[16:17], v[38:39], v[54:55]
	v_fma_f64 v[38:39], v[14:15], v[38:39], -v[40:41]
	scratch_load_b128 v[14:17], off, off offset:416
	v_add_f64 v[22:23], v[22:23], v[56:57]
	v_add_f64 v[40:41], v[52:53], v[60:61]
	s_waitcnt vmcnt(8)
	v_mul_f64 v[52:53], v[247:248], v[26:27]
	v_mul_f64 v[26:27], v[249:250], v[26:27]
	s_delay_alu instid0(VALU_DEP_4) | instskip(NEXT) | instid1(VALU_DEP_4)
	v_add_f64 v[22:23], v[22:23], v[54:55]
	v_add_f64 v[40:41], v[40:41], v[38:39]
	s_delay_alu instid0(VALU_DEP_4) | instskip(NEXT) | instid1(VALU_DEP_4)
	v_fma_f64 v[52:53], v[249:250], v[24:25], v[52:53]
	v_fma_f64 v[26:27], v[247:248], v[24:25], -v[26:27]
	ds_load_b128 v[247:250], v1 offset:1376
	s_waitcnt lgkmcnt(1)
	v_mul_f64 v[36:37], v[6:7], v[34:35]
	v_mul_f64 v[34:35], v[8:9], v[34:35]
	s_delay_alu instid0(VALU_DEP_2) | instskip(NEXT) | instid1(VALU_DEP_2)
	v_fma_f64 v[56:57], v[8:9], v[32:33], v[36:37]
	v_fma_f64 v[58:59], v[6:7], v[32:33], -v[34:35]
	scratch_load_b128 v[32:35], off, off offset:432
	ds_load_b128 v[6:9], v1 offset:1328
	ds_load_b128 v[36:39], v1 offset:1344
	s_waitcnt vmcnt(8) lgkmcnt(1)
	v_mul_f64 v[54:55], v[6:7], v[30:31]
	v_mul_f64 v[30:31], v[8:9], v[30:31]
	v_add_f64 v[56:57], v[22:23], v[56:57]
	v_add_f64 v[40:41], v[40:41], v[58:59]
	s_waitcnt vmcnt(7) lgkmcnt(0)
	v_mul_f64 v[58:59], v[36:37], v[44:45]
	v_mul_f64 v[44:45], v[38:39], v[44:45]
	scratch_load_b128 v[22:25], off, off offset:448
	v_fma_f64 v[54:55], v[8:9], v[28:29], v[54:55]
	v_fma_f64 v[30:31], v[6:7], v[28:29], -v[30:31]
	ds_load_b128 v[6:9], v1 offset:1360
	v_add_f64 v[52:53], v[56:57], v[52:53]
	v_add_f64 v[40:41], v[40:41], v[26:27]
	v_fma_f64 v[58:59], v[38:39], v[42:43], v[58:59]
	v_fma_f64 v[42:43], v[36:37], v[42:43], -v[44:45]
	s_clause 0x1
	scratch_load_b128 v[26:29], off, off offset:464
	scratch_load_b128 v[36:39], off, off offset:480
	s_waitcnt vmcnt(9)
	v_mul_f64 v[44:45], v[247:248], v[245:246]
	v_add_f64 v[30:31], v[40:41], v[30:31]
	v_add_f64 v[40:41], v[52:53], v[54:55]
	v_mul_f64 v[52:53], v[249:250], v[245:246]
	s_delay_alu instid0(VALU_DEP_4) | instskip(NEXT) | instid1(VALU_DEP_4)
	v_fma_f64 v[44:45], v[249:250], v[243:244], v[44:45]
	v_add_f64 v[30:31], v[30:31], v[42:43]
	s_delay_alu instid0(VALU_DEP_4)
	v_add_f64 v[58:59], v[40:41], v[58:59]
	ds_load_b128 v[40:43], v1 offset:1408
	s_waitcnt vmcnt(8) lgkmcnt(1)
	v_mul_f64 v[56:57], v[6:7], v[20:21]
	v_mul_f64 v[20:21], v[8:9], v[20:21]
	v_fma_f64 v[52:53], v[247:248], v[243:244], -v[52:53]
	scratch_load_b128 v[243:246], off, off offset:512
	ds_load_b128 v[247:250], v1 offset:1440
	v_fma_f64 v[54:55], v[8:9], v[18:19], v[56:57]
	v_fma_f64 v[56:57], v[6:7], v[18:19], -v[20:21]
	ds_load_b128 v[6:9], v1 offset:1392
	scratch_load_b128 v[18:21], off, off offset:496
	s_waitcnt vmcnt(8) lgkmcnt(0)
	v_mul_f64 v[60:61], v[6:7], v[12:13]
	v_mul_f64 v[12:13], v[8:9], v[12:13]
	v_add_f64 v[54:55], v[58:59], v[54:55]
	v_add_f64 v[30:31], v[30:31], v[56:57]
	v_mul_f64 v[56:57], v[40:41], v[181:182]
	v_mul_f64 v[58:59], v[42:43], v[181:182]
	v_fma_f64 v[60:61], v[8:9], v[10:11], v[60:61]
	v_fma_f64 v[62:63], v[6:7], v[10:11], -v[12:13]
	ds_load_b128 v[6:9], v1 offset:1424
	scratch_load_b128 v[10:13], off, off offset:528
	v_add_f64 v[44:45], v[54:55], v[44:45]
	v_add_f64 v[30:31], v[30:31], v[52:53]
	v_fma_f64 v[54:55], v[42:43], v[179:180], v[56:57]
	v_fma_f64 v[56:57], v[40:41], v[179:180], -v[58:59]
	ds_load_b128 v[179:182], v1 offset:1472
	scratch_load_b128 v[40:43], off, off offset:544
	s_waitcnt vmcnt(9) lgkmcnt(1)
	v_mul_f64 v[52:53], v[6:7], v[48:49]
	v_mul_f64 v[48:49], v[8:9], v[48:49]
	s_waitcnt vmcnt(8)
	v_mul_f64 v[58:59], v[247:248], v[16:17]
	v_mul_f64 v[16:17], v[249:250], v[16:17]
	v_add_f64 v[44:45], v[44:45], v[60:61]
	v_add_f64 v[30:31], v[30:31], v[62:63]
	v_fma_f64 v[52:53], v[8:9], v[46:47], v[52:53]
	v_fma_f64 v[48:49], v[6:7], v[46:47], -v[48:49]
	ds_load_b128 v[6:9], v1 offset:1456
	v_fma_f64 v[58:59], v[249:250], v[14:15], v[58:59]
	v_fma_f64 v[60:61], v[247:248], v[14:15], -v[16:17]
	ds_load_b128 v[247:250], v1 offset:1504
	scratch_load_b128 v[14:17], off, off offset:576
	v_add_f64 v[54:55], v[44:45], v[54:55]
	v_add_f64 v[30:31], v[30:31], v[56:57]
	scratch_load_b128 v[44:47], off, off offset:560
	s_waitcnt vmcnt(9) lgkmcnt(1)
	v_mul_f64 v[56:57], v[6:7], v[34:35]
	v_mul_f64 v[34:35], v[8:9], v[34:35]
	v_add_f64 v[30:31], v[30:31], v[48:49]
	v_add_f64 v[48:49], v[54:55], v[52:53]
	s_waitcnt vmcnt(8)
	v_mul_f64 v[52:53], v[179:180], v[24:25]
	v_mul_f64 v[24:25], v[181:182], v[24:25]
	v_fma_f64 v[54:55], v[8:9], v[32:33], v[56:57]
	v_fma_f64 v[34:35], v[6:7], v[32:33], -v[34:35]
	ds_load_b128 v[6:9], v1 offset:1488
	v_add_f64 v[56:57], v[30:31], v[60:61]
	v_add_f64 v[48:49], v[48:49], v[58:59]
	scratch_load_b128 v[30:33], off, off offset:592
	v_fma_f64 v[52:53], v[181:182], v[22:23], v[52:53]
	v_fma_f64 v[60:61], v[179:180], v[22:23], -v[24:25]
	ds_load_b128 v[179:182], v1 offset:1536
	s_waitcnt vmcnt(8) lgkmcnt(1)
	v_mul_f64 v[58:59], v[6:7], v[28:29]
	v_mul_f64 v[28:29], v[8:9], v[28:29]
	scratch_load_b128 v[22:25], off, off offset:608
	v_add_f64 v[34:35], v[56:57], v[34:35]
	v_add_f64 v[48:49], v[48:49], v[54:55]
	s_waitcnt vmcnt(8)
	v_mul_f64 v[54:55], v[247:248], v[38:39]
	v_mul_f64 v[38:39], v[249:250], v[38:39]
	v_fma_f64 v[56:57], v[8:9], v[26:27], v[58:59]
	v_fma_f64 v[58:59], v[6:7], v[26:27], -v[28:29]
	scratch_load_b128 v[26:29], off, off offset:624
	ds_load_b128 v[6:9], v1 offset:1520
	v_add_f64 v[34:35], v[34:35], v[60:61]
	v_add_f64 v[48:49], v[48:49], v[52:53]
	v_fma_f64 v[54:55], v[249:250], v[36:37], v[54:55]
	v_fma_f64 v[38:39], v[247:248], v[36:37], -v[38:39]
	s_waitcnt vmcnt(8) lgkmcnt(1)
	v_mul_f64 v[60:61], v[181:182], v[245:246]
	ds_load_b128 v[249:252], v1 offset:1600
	v_add_f64 v[58:59], v[34:35], v[58:59]
	v_add_f64 v[48:49], v[48:49], v[56:57]
	v_mul_f64 v[56:57], v[179:180], v[245:246]
	ds_load_b128 v[245:248], v1 offset:1568
	s_waitcnt vmcnt(7) lgkmcnt(2)
	v_mul_f64 v[52:53], v[6:7], v[20:21]
	v_mul_f64 v[20:21], v[8:9], v[20:21]
	scratch_load_b128 v[34:37], off, off offset:640
	v_add_f64 v[38:39], v[58:59], v[38:39]
	v_add_f64 v[48:49], v[48:49], v[54:55]
	v_fma_f64 v[56:57], v[181:182], v[243:244], v[56:57]
	v_fma_f64 v[58:59], v[179:180], v[243:244], -v[60:61]
	v_fma_f64 v[52:53], v[8:9], v[18:19], v[52:53]
	v_fma_f64 v[62:63], v[6:7], v[18:19], -v[20:21]
	scratch_load_b128 v[18:21], off, off offset:656
	ds_load_b128 v[6:9], v1 offset:1552
	scratch_load_b128 v[179:182], off, off offset:672
	s_waitcnt vmcnt(9) lgkmcnt(0)
	v_mul_f64 v[54:55], v[6:7], v[12:13]
	v_mul_f64 v[12:13], v[8:9], v[12:13]
	v_add_f64 v[48:49], v[48:49], v[52:53]
	v_add_f64 v[38:39], v[38:39], v[62:63]
	s_waitcnt vmcnt(8)
	v_mul_f64 v[52:53], v[245:246], v[42:43]
	v_mul_f64 v[42:43], v[247:248], v[42:43]
	v_fma_f64 v[54:55], v[8:9], v[10:11], v[54:55]
	v_fma_f64 v[60:61], v[6:7], v[10:11], -v[12:13]
	scratch_load_b128 v[10:13], off, off offset:688
	ds_load_b128 v[6:9], v1 offset:1584
	v_add_f64 v[48:49], v[48:49], v[56:57]
	v_add_f64 v[38:39], v[38:39], v[58:59]
	v_fma_f64 v[52:53], v[247:248], v[40:41], v[52:53]
	v_fma_f64 v[42:43], v[245:246], v[40:41], -v[42:43]
	ds_load_b128 v[243:246], v1 offset:1664
	s_waitcnt vmcnt(7) lgkmcnt(1)
	v_mul_f64 v[56:57], v[6:7], v[46:47]
	v_mul_f64 v[46:47], v[8:9], v[46:47]
	v_add_f64 v[48:49], v[48:49], v[54:55]
	v_add_f64 v[58:59], v[38:39], v[60:61]
	v_mul_f64 v[54:55], v[249:250], v[16:17]
	v_mul_f64 v[16:17], v[251:252], v[16:17]
	scratch_load_b128 v[38:41], off, off offset:704
	v_fma_f64 v[56:57], v[8:9], v[44:45], v[56:57]
	v_fma_f64 v[60:61], v[6:7], v[44:45], -v[46:47]
	ds_load_b128 v[6:9], v1 offset:1616
	v_add_f64 v[52:53], v[48:49], v[52:53]
	ds_load_b128 v[46:49], v1 offset:1632
	v_add_f64 v[58:59], v[58:59], v[42:43]
	v_fma_f64 v[54:55], v[251:252], v[14:15], v[54:55]
	v_fma_f64 v[64:65], v[249:250], v[14:15], -v[16:17]
	s_clause 0x1
	scratch_load_b128 v[42:45], off, off offset:720
	scratch_load_b128 v[14:17], off, off offset:736
	s_waitcnt vmcnt(9) lgkmcnt(1)
	v_mul_f64 v[62:63], v[6:7], v[32:33]
	v_mul_f64 v[32:33], v[8:9], v[32:33]
	v_add_f64 v[52:53], v[52:53], v[56:57]
	s_waitcnt vmcnt(8) lgkmcnt(0)
	v_mul_f64 v[56:57], v[46:47], v[24:25]
	v_add_f64 v[58:59], v[58:59], v[60:61]
	v_mul_f64 v[24:25], v[48:49], v[24:25]
	v_fma_f64 v[60:61], v[8:9], v[30:31], v[62:63]
	v_fma_f64 v[62:63], v[6:7], v[30:31], -v[32:33]
	scratch_load_b128 v[30:33], off, off offset:752
	ds_load_b128 v[6:9], v1 offset:1648
	v_add_f64 v[52:53], v[52:53], v[54:55]
	v_fma_f64 v[48:49], v[48:49], v[22:23], v[56:57]
	v_add_f64 v[58:59], v[58:59], v[64:65]
	v_fma_f64 v[46:47], v[46:47], v[22:23], -v[24:25]
	scratch_load_b128 v[22:25], off, off offset:768
	v_add_f64 v[52:53], v[52:53], v[60:61]
	v_add_f64 v[56:57], v[58:59], v[62:63]
	s_waitcnt vmcnt(8)
	v_mul_f64 v[58:59], v[243:244], v[36:37]
	v_mul_f64 v[36:37], v[245:246], v[36:37]
	s_delay_alu instid0(VALU_DEP_4) | instskip(NEXT) | instid1(VALU_DEP_4)
	v_add_f64 v[52:53], v[52:53], v[48:49]
	v_add_f64 v[56:57], v[56:57], v[46:47]
	ds_load_b128 v[46:49], v1 offset:1696
	s_waitcnt lgkmcnt(1)
	v_mul_f64 v[54:55], v[6:7], v[28:29]
	v_mul_f64 v[28:29], v[8:9], v[28:29]
	v_fma_f64 v[58:59], v[245:246], v[34:35], v[58:59]
	v_fma_f64 v[64:65], v[243:244], v[34:35], -v[36:37]
	ds_load_b128 v[243:246], v1 offset:1728
	scratch_load_b128 v[34:37], off, off offset:800
	v_fma_f64 v[54:55], v[8:9], v[26:27], v[54:55]
	v_fma_f64 v[60:61], v[6:7], v[26:27], -v[28:29]
	ds_load_b128 v[6:9], v1 offset:1680
	scratch_load_b128 v[26:29], off, off offset:784
	s_waitcnt vmcnt(9) lgkmcnt(0)
	v_mul_f64 v[62:63], v[6:7], v[20:21]
	v_mul_f64 v[20:21], v[8:9], v[20:21]
	v_add_f64 v[52:53], v[52:53], v[54:55]
	v_add_f64 v[56:57], v[56:57], v[60:61]
	s_waitcnt vmcnt(8)
	v_mul_f64 v[54:55], v[46:47], v[181:182]
	v_mul_f64 v[60:61], v[48:49], v[181:182]
	v_fma_f64 v[62:63], v[8:9], v[18:19], v[62:63]
	v_fma_f64 v[66:67], v[6:7], v[18:19], -v[20:21]
	ds_load_b128 v[6:9], v1 offset:1712
	scratch_load_b128 v[18:21], off, off offset:816
	v_add_f64 v[52:53], v[52:53], v[58:59]
	v_add_f64 v[56:57], v[56:57], v[64:65]
	v_fma_f64 v[54:55], v[48:49], v[179:180], v[54:55]
	v_fma_f64 v[60:61], v[46:47], v[179:180], -v[60:61]
	ds_load_b128 v[179:182], v1 offset:1760
	scratch_load_b128 v[46:49], off, off offset:832
	s_waitcnt vmcnt(9) lgkmcnt(1)
	v_mul_f64 v[58:59], v[6:7], v[12:13]
	v_mul_f64 v[12:13], v[8:9], v[12:13]
	v_add_f64 v[52:53], v[52:53], v[62:63]
	v_add_f64 v[56:57], v[56:57], v[66:67]
	s_waitcnt vmcnt(8)
	v_mul_f64 v[62:63], v[243:244], v[40:41]
	v_mul_f64 v[40:41], v[245:246], v[40:41]
	v_fma_f64 v[58:59], v[8:9], v[10:11], v[58:59]
	v_fma_f64 v[64:65], v[6:7], v[10:11], -v[12:13]
	scratch_load_b128 v[10:13], off, off offset:848
	ds_load_b128 v[6:9], v1 offset:1744
	v_add_f64 v[52:53], v[52:53], v[54:55]
	v_add_f64 v[56:57], v[56:57], v[60:61]
	v_fma_f64 v[60:61], v[245:246], v[38:39], v[62:63]
	v_fma_f64 v[62:63], v[243:244], v[38:39], -v[40:41]
	ds_load_b128 v[243:246], v1 offset:1792
	s_waitcnt vmcnt(8) lgkmcnt(1)
	v_mul_f64 v[54:55], v[6:7], v[44:45]
	v_mul_f64 v[44:45], v[8:9], v[44:45]
	scratch_load_b128 v[38:41], off, off offset:864
	v_add_f64 v[52:53], v[52:53], v[58:59]
	v_add_f64 v[56:57], v[56:57], v[64:65]
	s_waitcnt vmcnt(8)
	v_mul_f64 v[58:59], v[179:180], v[16:17]
	v_mul_f64 v[16:17], v[181:182], v[16:17]
	v_fma_f64 v[54:55], v[8:9], v[42:43], v[54:55]
	v_fma_f64 v[64:65], v[6:7], v[42:43], -v[44:45]
	scratch_load_b128 v[42:45], off, off offset:880
	ds_load_b128 v[6:9], v1 offset:1776
	v_add_f64 v[52:53], v[52:53], v[60:61]
	v_add_f64 v[56:57], v[56:57], v[62:63]
	v_fma_f64 v[58:59], v[181:182], v[14:15], v[58:59]
	v_fma_f64 v[62:63], v[179:180], v[14:15], -v[16:17]
	ds_load_b128 v[179:182], v1 offset:1824
	s_waitcnt vmcnt(8) lgkmcnt(1)
	v_mul_f64 v[60:61], v[6:7], v[32:33]
	v_mul_f64 v[32:33], v[8:9], v[32:33]
	scratch_load_b128 v[14:17], off, off offset:896
	v_add_f64 v[52:53], v[52:53], v[54:55]
	v_add_f64 v[56:57], v[56:57], v[64:65]
	s_waitcnt vmcnt(8)
	v_mul_f64 v[54:55], v[243:244], v[24:25]
	v_mul_f64 v[24:25], v[245:246], v[24:25]
	v_fma_f64 v[60:61], v[8:9], v[30:31], v[60:61]
	v_fma_f64 v[64:65], v[6:7], v[30:31], -v[32:33]
	scratch_load_b128 v[30:33], off, off offset:912
	ds_load_b128 v[6:9], v1 offset:1808
	v_add_f64 v[52:53], v[52:53], v[58:59]
	v_add_f64 v[56:57], v[56:57], v[62:63]
	v_fma_f64 v[54:55], v[245:246], v[22:23], v[54:55]
	v_fma_f64 v[62:63], v[243:244], v[22:23], -v[24:25]
	ds_load_b128 v[243:246], v1 offset:1856
	scratch_load_b128 v[22:25], off, off offset:928
	s_waitcnt vmcnt(8) lgkmcnt(1)
	v_mul_f64 v[58:59], v[6:7], v[28:29]
	v_mul_f64 v[28:29], v[8:9], v[28:29]
	v_add_f64 v[52:53], v[52:53], v[60:61]
	v_add_f64 v[56:57], v[56:57], v[64:65]
	v_mul_f64 v[60:61], v[179:180], v[36:37]
	v_mul_f64 v[36:37], v[181:182], v[36:37]
	v_fma_f64 v[58:59], v[8:9], v[26:27], v[58:59]
	v_fma_f64 v[64:65], v[6:7], v[26:27], -v[28:29]
	scratch_load_b128 v[26:29], off, off offset:944
	ds_load_b128 v[6:9], v1 offset:1840
	v_add_f64 v[52:53], v[52:53], v[54:55]
	v_add_f64 v[56:57], v[56:57], v[62:63]
	v_fma_f64 v[60:61], v[181:182], v[34:35], v[60:61]
	v_fma_f64 v[62:63], v[179:180], v[34:35], -v[36:37]
	ds_load_b128 v[179:182], v1 offset:1888
	s_waitcnt vmcnt(8) lgkmcnt(1)
	v_mul_f64 v[54:55], v[6:7], v[20:21]
	v_mul_f64 v[20:21], v[8:9], v[20:21]
	scratch_load_b128 v[34:37], off, off offset:960
	v_add_f64 v[52:53], v[52:53], v[58:59]
	v_add_f64 v[56:57], v[56:57], v[64:65]
	s_waitcnt vmcnt(8)
	v_mul_f64 v[58:59], v[243:244], v[48:49]
	v_mul_f64 v[48:49], v[245:246], v[48:49]
	v_fma_f64 v[54:55], v[8:9], v[18:19], v[54:55]
	v_fma_f64 v[64:65], v[6:7], v[18:19], -v[20:21]
	scratch_load_b128 v[18:21], off, off offset:976
	ds_load_b128 v[6:9], v1 offset:1872
	v_add_f64 v[52:53], v[52:53], v[60:61]
	v_add_f64 v[56:57], v[56:57], v[62:63]
	v_fma_f64 v[58:59], v[245:246], v[46:47], v[58:59]
	v_fma_f64 v[62:63], v[243:244], v[46:47], -v[48:49]
	ds_load_b128 v[243:246], v1 offset:1920
	s_waitcnt vmcnt(8) lgkmcnt(1)
	v_mul_f64 v[60:61], v[6:7], v[12:13]
	v_mul_f64 v[12:13], v[8:9], v[12:13]
	scratch_load_b128 v[46:49], off, off offset:992
	v_add_f64 v[52:53], v[52:53], v[54:55]
	v_add_f64 v[56:57], v[56:57], v[64:65]
	s_waitcnt vmcnt(8)
	v_mul_f64 v[54:55], v[179:180], v[40:41]
	v_mul_f64 v[40:41], v[181:182], v[40:41]
	v_fma_f64 v[60:61], v[8:9], v[10:11], v[60:61]
	v_fma_f64 v[64:65], v[6:7], v[10:11], -v[12:13]
	scratch_load_b128 v[10:13], off, off offset:1008
	ds_load_b128 v[6:9], v1 offset:1904
	v_add_f64 v[52:53], v[52:53], v[58:59]
	v_add_f64 v[56:57], v[56:57], v[62:63]
	s_waitcnt vmcnt(8) lgkmcnt(0)
	v_mul_f64 v[58:59], v[6:7], v[44:45]
	v_mul_f64 v[44:45], v[8:9], v[44:45]
	v_fma_f64 v[54:55], v[181:182], v[38:39], v[54:55]
	v_fma_f64 v[38:39], v[179:180], v[38:39], -v[40:41]
	v_add_f64 v[52:53], v[52:53], v[60:61]
	v_add_f64 v[40:41], v[56:57], v[64:65]
	s_waitcnt vmcnt(7)
	v_mul_f64 v[56:57], v[243:244], v[16:17]
	v_mul_f64 v[16:17], v[245:246], v[16:17]
	v_fma_f64 v[58:59], v[8:9], v[42:43], v[58:59]
	v_fma_f64 v[42:43], v[6:7], v[42:43], -v[44:45]
	v_add_f64 v[52:53], v[52:53], v[54:55]
	v_add_f64 v[44:45], v[40:41], v[38:39]
	ds_load_b128 v[6:9], v1 offset:1936
	ds_load_b128 v[38:41], v1 offset:1952
	v_fma_f64 v[56:57], v[245:246], v[14:15], v[56:57]
	v_fma_f64 v[14:15], v[243:244], v[14:15], -v[16:17]
	s_waitcnt vmcnt(6) lgkmcnt(1)
	v_mul_f64 v[54:55], v[6:7], v[32:33]
	v_mul_f64 v[32:33], v[8:9], v[32:33]
	v_add_f64 v[16:17], v[44:45], v[42:43]
	v_add_f64 v[42:43], v[52:53], v[58:59]
	s_waitcnt vmcnt(5) lgkmcnt(0)
	v_mul_f64 v[44:45], v[38:39], v[24:25]
	v_mul_f64 v[24:25], v[40:41], v[24:25]
	v_fma_f64 v[52:53], v[8:9], v[30:31], v[54:55]
	v_fma_f64 v[30:31], v[6:7], v[30:31], -v[32:33]
	v_add_f64 v[32:33], v[16:17], v[14:15]
	v_add_f64 v[42:43], v[42:43], v[56:57]
	ds_load_b128 v[6:9], v1 offset:1968
	ds_load_b128 v[14:17], v1 offset:1984
	v_fma_f64 v[40:41], v[40:41], v[22:23], v[44:45]
	v_fma_f64 v[22:23], v[38:39], v[22:23], -v[24:25]
	s_waitcnt vmcnt(4) lgkmcnt(1)
	v_mul_f64 v[54:55], v[6:7], v[28:29]
	v_mul_f64 v[28:29], v[8:9], v[28:29]
	v_add_f64 v[24:25], v[32:33], v[30:31]
	v_add_f64 v[30:31], v[42:43], v[52:53]
	s_waitcnt vmcnt(3) lgkmcnt(0)
	v_mul_f64 v[32:33], v[14:15], v[36:37]
	v_mul_f64 v[36:37], v[16:17], v[36:37]
	v_fma_f64 v[38:39], v[8:9], v[26:27], v[54:55]
	v_fma_f64 v[26:27], v[6:7], v[26:27], -v[28:29]
	v_add_f64 v[28:29], v[24:25], v[22:23]
	v_add_f64 v[30:31], v[30:31], v[40:41]
	ds_load_b128 v[6:9], v1 offset:2000
	ds_load_b128 v[22:25], v1 offset:2016
	v_fma_f64 v[16:17], v[16:17], v[34:35], v[32:33]
	v_fma_f64 v[14:15], v[14:15], v[34:35], -v[36:37]
	s_waitcnt vmcnt(2) lgkmcnt(1)
	v_mul_f64 v[40:41], v[6:7], v[20:21]
	v_mul_f64 v[20:21], v[8:9], v[20:21]
	s_waitcnt vmcnt(1) lgkmcnt(0)
	v_mul_f64 v[32:33], v[24:25], v[48:49]
	v_add_f64 v[26:27], v[28:29], v[26:27]
	v_add_f64 v[28:29], v[30:31], v[38:39]
	v_mul_f64 v[30:31], v[22:23], v[48:49]
	v_fma_f64 v[34:35], v[8:9], v[18:19], v[40:41]
	v_fma_f64 v[18:19], v[6:7], v[18:19], -v[20:21]
	ds_load_b128 v[6:9], v1 offset:2032
	v_fma_f64 v[22:23], v[22:23], v[46:47], -v[32:33]
	v_add_f64 v[14:15], v[26:27], v[14:15]
	v_add_f64 v[16:17], v[28:29], v[16:17]
	v_fma_f64 v[24:25], v[24:25], v[46:47], v[30:31]
	s_waitcnt vmcnt(0) lgkmcnt(0)
	v_mul_f64 v[20:21], v[6:7], v[12:13]
	v_mul_f64 v[12:13], v[8:9], v[12:13]
	v_add_f64 v[14:15], v[14:15], v[18:19]
	v_add_f64 v[16:17], v[16:17], v[34:35]
	s_delay_alu instid0(VALU_DEP_4) | instskip(NEXT) | instid1(VALU_DEP_4)
	v_fma_f64 v[8:9], v[8:9], v[10:11], v[20:21]
	v_fma_f64 v[6:7], v[6:7], v[10:11], -v[12:13]
	s_delay_alu instid0(VALU_DEP_4) | instskip(NEXT) | instid1(VALU_DEP_4)
	v_add_f64 v[10:11], v[14:15], v[22:23]
	v_add_f64 v[12:13], v[16:17], v[24:25]
	s_delay_alu instid0(VALU_DEP_2) | instskip(NEXT) | instid1(VALU_DEP_2)
	v_add_f64 v[6:7], v[10:11], v[6:7]
	v_add_f64 v[8:9], v[12:13], v[8:9]
	s_delay_alu instid0(VALU_DEP_2) | instskip(NEXT) | instid1(VALU_DEP_2)
	v_add_f64 v[2:3], v[2:3], -v[6:7]
	v_add_f64 v[4:5], v[4:5], -v[8:9]
	scratch_store_b128 off, v[2:5], off offset:64
	v_cmpx_lt_u32_e32 3, v178
	s_cbranch_execz .LBB127_402
; %bb.401:
	v_add_nc_u32_e64 v2, 0, 48
	v_mov_b32_e32 v3, v1
	v_mov_b32_e32 v4, v1
	scratch_load_b128 v[5:8], v2, off
	v_mov_b32_e32 v2, v1
	scratch_store_b128 off, v[1:4], off offset:48
	s_waitcnt vmcnt(0)
	ds_store_b128 v255, v[5:8]
.LBB127_402:
	s_or_b32 exec_lo, exec_lo, s2
	s_waitcnt lgkmcnt(0)
	s_waitcnt_vscnt null, 0x0
	s_barrier
	buffer_gl0_inv
	s_clause 0x8
	scratch_load_b128 v[34:37], off, off offset:64
	scratch_load_b128 v[38:41], off, off offset:80
	;; [unrolled: 1-line block ×9, first 2 shown]
	ds_load_b128 v[46:49], v1 offset:1088
	ds_load_b128 v[42:45], v1 offset:1104
	s_clause 0x1
	scratch_load_b128 v[2:5], off, off offset:48
	scratch_load_b128 v[179:182], off, off offset:208
	s_mov_b32 s2, exec_lo
	ds_load_b128 v[243:246], v1 offset:1136
	ds_load_b128 v[247:250], v1 offset:1264
	s_waitcnt vmcnt(10) lgkmcnt(3)
	v_mul_f64 v[52:53], v[48:49], v[36:37]
	v_mul_f64 v[36:37], v[46:47], v[36:37]
	s_waitcnt vmcnt(9) lgkmcnt(2)
	v_mul_f64 v[54:55], v[42:43], v[40:41]
	v_mul_f64 v[40:41], v[44:45], v[40:41]
	s_waitcnt vmcnt(7) lgkmcnt(1)
	v_mul_f64 v[60:61], v[245:246], v[28:29]
	v_fma_f64 v[52:53], v[46:47], v[34:35], -v[52:53]
	v_fma_f64 v[56:57], v[48:49], v[34:35], v[36:37]
	ds_load_b128 v[34:37], v1 offset:1120
	scratch_load_b128 v[46:49], off, off offset:224
	v_fma_f64 v[44:45], v[44:45], v[38:39], v[54:55]
	v_fma_f64 v[42:43], v[42:43], v[38:39], -v[40:41]
	scratch_load_b128 v[38:41], off, off offset:240
	v_fma_f64 v[60:61], v[243:244], v[26:27], -v[60:61]
	s_waitcnt lgkmcnt(0)
	v_mul_f64 v[58:59], v[34:35], v[32:33]
	v_mul_f64 v[32:33], v[36:37], v[32:33]
	v_add_f64 v[52:53], v[52:53], 0
	v_add_f64 v[54:55], v[56:57], 0
	v_mul_f64 v[56:57], v[243:244], v[28:29]
	v_fma_f64 v[36:37], v[36:37], v[30:31], v[58:59]
	v_fma_f64 v[58:59], v[34:35], v[30:31], -v[32:33]
	ds_load_b128 v[28:31], v1 offset:1152
	scratch_load_b128 v[32:35], off, off offset:256
	v_add_f64 v[52:53], v[52:53], v[42:43]
	v_add_f64 v[54:55], v[54:55], v[44:45]
	ds_load_b128 v[42:45], v1 offset:1168
	v_fma_f64 v[56:57], v[245:246], v[26:27], v[56:57]
	ds_load_b128 v[243:246], v1 offset:1200
	s_waitcnt vmcnt(9) lgkmcnt(2)
	v_mul_f64 v[62:63], v[28:29], v[24:25]
	v_mul_f64 v[64:65], v[30:31], v[24:25]
	scratch_load_b128 v[24:27], off, off offset:272
	v_add_f64 v[52:53], v[52:53], v[58:59]
	v_add_f64 v[36:37], v[54:55], v[36:37]
	s_waitcnt vmcnt(9) lgkmcnt(1)
	v_mul_f64 v[54:55], v[42:43], v[20:21]
	v_mul_f64 v[58:59], v[44:45], v[20:21]
	v_fma_f64 v[62:63], v[30:31], v[22:23], v[62:63]
	v_fma_f64 v[64:65], v[28:29], v[22:23], -v[64:65]
	ds_load_b128 v[20:23], v1 offset:1184
	scratch_load_b128 v[28:31], off, off offset:288
	v_add_f64 v[52:53], v[52:53], v[60:61]
	v_add_f64 v[36:37], v[36:37], v[56:57]
	s_waitcnt vmcnt(9) lgkmcnt(0)
	v_mul_f64 v[56:57], v[20:21], v[16:17]
	v_mul_f64 v[60:61], v[22:23], v[16:17]
	v_fma_f64 v[44:45], v[44:45], v[18:19], v[54:55]
	v_fma_f64 v[42:43], v[42:43], v[18:19], -v[58:59]
	scratch_load_b128 v[16:19], off, off offset:304
	s_waitcnt vmcnt(9)
	v_mul_f64 v[54:55], v[243:244], v[12:13]
	v_mul_f64 v[58:59], v[245:246], v[12:13]
	v_add_f64 v[52:53], v[52:53], v[64:65]
	v_add_f64 v[36:37], v[36:37], v[62:63]
	v_fma_f64 v[56:57], v[22:23], v[14:15], v[56:57]
	v_fma_f64 v[60:61], v[20:21], v[14:15], -v[60:61]
	ds_load_b128 v[12:15], v1 offset:1216
	scratch_load_b128 v[20:23], off, off offset:320
	v_fma_f64 v[54:55], v[245:246], v[10:11], v[54:55]
	v_fma_f64 v[58:59], v[243:244], v[10:11], -v[58:59]
	scratch_load_b128 v[243:246], off, off offset:352
	v_add_f64 v[52:53], v[52:53], v[42:43]
	v_add_f64 v[36:37], v[36:37], v[44:45]
	ds_load_b128 v[42:45], v1 offset:1232
	s_waitcnt vmcnt(10) lgkmcnt(1)
	v_mul_f64 v[62:63], v[12:13], v[8:9]
	v_mul_f64 v[64:65], v[14:15], v[8:9]
	scratch_load_b128 v[8:11], off, off offset:336
	v_add_f64 v[52:53], v[52:53], v[60:61]
	v_add_f64 v[36:37], v[36:37], v[56:57]
	s_waitcnt vmcnt(9) lgkmcnt(0)
	v_mul_f64 v[56:57], v[42:43], v[181:182]
	v_mul_f64 v[60:61], v[44:45], v[181:182]
	v_fma_f64 v[62:63], v[14:15], v[6:7], v[62:63]
	v_fma_f64 v[6:7], v[12:13], v[6:7], -v[64:65]
	ds_load_b128 v[12:15], v1 offset:1248
	v_add_f64 v[52:53], v[52:53], v[58:59]
	v_add_f64 v[36:37], v[36:37], v[54:55]
	v_fma_f64 v[56:57], v[44:45], v[179:180], v[56:57]
	v_fma_f64 v[58:59], v[42:43], v[179:180], -v[60:61]
	scratch_load_b128 v[42:45], off, off offset:368
	ds_load_b128 v[179:182], v1 offset:1296
	s_waitcnt vmcnt(9) lgkmcnt(1)
	v_mul_f64 v[54:55], v[12:13], v[48:49]
	v_mul_f64 v[48:49], v[14:15], v[48:49]
	v_add_f64 v[6:7], v[52:53], v[6:7]
	v_add_f64 v[36:37], v[36:37], v[62:63]
	s_waitcnt vmcnt(8)
	v_mul_f64 v[52:53], v[247:248], v[40:41]
	v_mul_f64 v[40:41], v[249:250], v[40:41]
	v_fma_f64 v[54:55], v[14:15], v[46:47], v[54:55]
	v_fma_f64 v[60:61], v[12:13], v[46:47], -v[48:49]
	ds_load_b128 v[12:15], v1 offset:1280
	scratch_load_b128 v[46:49], off, off offset:384
	v_add_f64 v[6:7], v[6:7], v[58:59]
	v_add_f64 v[36:37], v[36:37], v[56:57]
	v_fma_f64 v[52:53], v[249:250], v[38:39], v[52:53]
	s_waitcnt vmcnt(8) lgkmcnt(0)
	v_mul_f64 v[56:57], v[12:13], v[34:35]
	v_mul_f64 v[58:59], v[14:15], v[34:35]
	v_fma_f64 v[38:39], v[247:248], v[38:39], -v[40:41]
	ds_load_b128 v[247:250], v1 offset:1328
	v_add_f64 v[6:7], v[6:7], v[60:61]
	v_add_f64 v[40:41], v[36:37], v[54:55]
	scratch_load_b128 v[34:37], off, off offset:400
	s_waitcnt vmcnt(8)
	v_mul_f64 v[54:55], v[179:180], v[26:27]
	v_mul_f64 v[26:27], v[181:182], v[26:27]
	v_fma_f64 v[56:57], v[14:15], v[32:33], v[56:57]
	v_fma_f64 v[32:33], v[12:13], v[32:33], -v[58:59]
	ds_load_b128 v[12:15], v1 offset:1312
	s_waitcnt vmcnt(7) lgkmcnt(0)
	v_mul_f64 v[58:59], v[12:13], v[30:31]
	v_mul_f64 v[30:31], v[14:15], v[30:31]
	v_add_f64 v[6:7], v[6:7], v[38:39]
	v_add_f64 v[52:53], v[40:41], v[52:53]
	scratch_load_b128 v[38:41], off, off offset:416
	v_fma_f64 v[54:55], v[181:182], v[24:25], v[54:55]
	v_fma_f64 v[60:61], v[179:180], v[24:25], -v[26:27]
	scratch_load_b128 v[24:27], off, off offset:432
	ds_load_b128 v[179:182], v1 offset:1360
	v_add_f64 v[6:7], v[6:7], v[32:33]
	v_add_f64 v[32:33], v[52:53], v[56:57]
	s_waitcnt vmcnt(8)
	v_mul_f64 v[52:53], v[247:248], v[18:19]
	v_mul_f64 v[18:19], v[249:250], v[18:19]
	v_fma_f64 v[56:57], v[14:15], v[28:29], v[58:59]
	v_fma_f64 v[58:59], v[12:13], v[28:29], -v[30:31]
	ds_load_b128 v[12:15], v1 offset:1344
	scratch_load_b128 v[28:31], off, off offset:448
	v_add_f64 v[6:7], v[6:7], v[60:61]
	v_add_f64 v[32:33], v[32:33], v[54:55]
	s_waitcnt vmcnt(8) lgkmcnt(0)
	v_mul_f64 v[54:55], v[12:13], v[22:23]
	v_mul_f64 v[22:23], v[14:15], v[22:23]
	v_fma_f64 v[52:53], v[249:250], v[16:17], v[52:53]
	v_fma_f64 v[60:61], v[247:248], v[16:17], -v[18:19]
	scratch_load_b128 v[16:19], off, off offset:464
	ds_load_b128 v[247:250], v1 offset:1392
	v_add_f64 v[6:7], v[6:7], v[58:59]
	v_add_f64 v[32:33], v[32:33], v[56:57]
	s_waitcnt vmcnt(7)
	v_mul_f64 v[56:57], v[179:180], v[10:11]
	v_mul_f64 v[58:59], v[181:182], v[10:11]
	v_fma_f64 v[14:15], v[14:15], v[20:21], v[54:55]
	v_fma_f64 v[54:55], v[12:13], v[20:21], -v[22:23]
	ds_load_b128 v[10:13], v1 offset:1376
	scratch_load_b128 v[20:23], off, off offset:480
	v_add_f64 v[6:7], v[6:7], v[60:61]
	v_add_f64 v[32:33], v[32:33], v[52:53]
	s_waitcnt lgkmcnt(0)
	v_mul_f64 v[52:53], v[10:11], v[245:246]
	v_mul_f64 v[60:61], v[12:13], v[245:246]
	v_fma_f64 v[56:57], v[181:182], v[8:9], v[56:57]
	v_fma_f64 v[58:59], v[179:180], v[8:9], -v[58:59]
	scratch_load_b128 v[179:182], off, off offset:512
	v_add_f64 v[54:55], v[6:7], v[54:55]
	v_add_f64 v[14:15], v[32:33], v[14:15]
	scratch_load_b128 v[6:9], off, off offset:496
	s_waitcnt vmcnt(9)
	v_mul_f64 v[32:33], v[247:248], v[44:45]
	v_mul_f64 v[44:45], v[249:250], v[44:45]
	v_fma_f64 v[52:53], v[12:13], v[243:244], v[52:53]
	v_fma_f64 v[60:61], v[10:11], v[243:244], -v[60:61]
	ds_load_b128 v[10:13], v1 offset:1408
	ds_load_b128 v[243:246], v1 offset:1424
	v_add_f64 v[54:55], v[54:55], v[58:59]
	v_add_f64 v[14:15], v[14:15], v[56:57]
	s_waitcnt vmcnt(8) lgkmcnt(1)
	v_mul_f64 v[56:57], v[10:11], v[48:49]
	v_mul_f64 v[48:49], v[12:13], v[48:49]
	v_fma_f64 v[32:33], v[249:250], v[42:43], v[32:33]
	v_fma_f64 v[58:59], v[247:248], v[42:43], -v[44:45]
	scratch_load_b128 v[42:45], off, off offset:528
	ds_load_b128 v[247:250], v1 offset:1456
	v_add_f64 v[54:55], v[54:55], v[60:61]
	v_add_f64 v[14:15], v[14:15], v[52:53]
	v_fma_f64 v[56:57], v[12:13], v[46:47], v[56:57]
	v_fma_f64 v[60:61], v[10:11], v[46:47], -v[48:49]
	ds_load_b128 v[10:13], v1 offset:1440
	scratch_load_b128 v[46:49], off, off offset:544
	s_waitcnt vmcnt(9) lgkmcnt(2)
	v_mul_f64 v[52:53], v[243:244], v[36:37]
	v_mul_f64 v[36:37], v[245:246], v[36:37]
	v_add_f64 v[54:55], v[54:55], v[58:59]
	v_add_f64 v[14:15], v[14:15], v[32:33]
	s_waitcnt vmcnt(8) lgkmcnt(0)
	v_mul_f64 v[58:59], v[10:11], v[40:41]
	v_mul_f64 v[40:41], v[12:13], v[40:41]
	v_fma_f64 v[52:53], v[245:246], v[34:35], v[52:53]
	v_fma_f64 v[36:37], v[243:244], v[34:35], -v[36:37]
	scratch_load_b128 v[32:35], off, off offset:560
	ds_load_b128 v[243:246], v1 offset:1488
	v_add_f64 v[54:55], v[54:55], v[60:61]
	v_add_f64 v[14:15], v[14:15], v[56:57]
	s_waitcnt vmcnt(8)
	v_mul_f64 v[56:57], v[247:248], v[26:27]
	v_mul_f64 v[26:27], v[249:250], v[26:27]
	v_fma_f64 v[58:59], v[12:13], v[38:39], v[58:59]
	v_fma_f64 v[40:41], v[10:11], v[38:39], -v[40:41]
	ds_load_b128 v[10:13], v1 offset:1472
	v_add_f64 v[54:55], v[54:55], v[36:37]
	v_add_f64 v[14:15], v[14:15], v[52:53]
	scratch_load_b128 v[36:39], off, off offset:576
	s_waitcnt vmcnt(8) lgkmcnt(0)
	v_mul_f64 v[52:53], v[10:11], v[30:31]
	v_mul_f64 v[30:31], v[12:13], v[30:31]
	v_fma_f64 v[56:57], v[249:250], v[24:25], v[56:57]
	v_fma_f64 v[60:61], v[247:248], v[24:25], -v[26:27]
	scratch_load_b128 v[24:27], off, off offset:592
	ds_load_b128 v[247:250], v1 offset:1520
	v_add_f64 v[40:41], v[54:55], v[40:41]
	v_add_f64 v[14:15], v[14:15], v[58:59]
	s_waitcnt vmcnt(8)
	v_mul_f64 v[54:55], v[243:244], v[18:19]
	v_mul_f64 v[18:19], v[245:246], v[18:19]
	v_fma_f64 v[52:53], v[12:13], v[28:29], v[52:53]
	v_fma_f64 v[58:59], v[10:11], v[28:29], -v[30:31]
	ds_load_b128 v[10:13], v1 offset:1504
	scratch_load_b128 v[28:31], off, off offset:608
	v_add_f64 v[40:41], v[40:41], v[60:61]
	v_add_f64 v[14:15], v[14:15], v[56:57]
	s_waitcnt vmcnt(8) lgkmcnt(0)
	v_mul_f64 v[56:57], v[10:11], v[22:23]
	v_mul_f64 v[22:23], v[12:13], v[22:23]
	v_fma_f64 v[54:55], v[245:246], v[16:17], v[54:55]
	v_fma_f64 v[18:19], v[243:244], v[16:17], -v[18:19]
	ds_load_b128 v[243:246], v1 offset:1552
	v_add_f64 v[40:41], v[40:41], v[58:59]
	v_add_f64 v[52:53], v[14:15], v[52:53]
	scratch_load_b128 v[14:17], off, off offset:624
	v_fma_f64 v[12:13], v[12:13], v[20:21], v[56:57]
	v_fma_f64 v[22:23], v[10:11], v[20:21], -v[22:23]
	s_waitcnt vmcnt(7)
	v_mul_f64 v[58:59], v[247:248], v[8:9]
	v_mul_f64 v[60:61], v[249:250], v[8:9]
	ds_load_b128 v[8:11], v1 offset:1536
	v_add_f64 v[40:41], v[40:41], v[18:19]
	v_add_f64 v[52:53], v[52:53], v[54:55]
	scratch_load_b128 v[18:21], off, off offset:640
	s_waitcnt lgkmcnt(0)
	v_mul_f64 v[54:55], v[8:9], v[181:182]
	v_mul_f64 v[56:57], v[10:11], v[181:182]
	v_fma_f64 v[58:59], v[249:250], v[6:7], v[58:59]
	v_fma_f64 v[6:7], v[247:248], v[6:7], -v[60:61]
	scratch_load_b128 v[247:250], off, off offset:656
	v_add_f64 v[22:23], v[40:41], v[22:23]
	v_add_f64 v[12:13], v[52:53], v[12:13]
	s_waitcnt vmcnt(8)
	v_mul_f64 v[40:41], v[243:244], v[44:45]
	v_mul_f64 v[44:45], v[245:246], v[44:45]
	v_fma_f64 v[52:53], v[10:11], v[179:180], v[54:55]
	v_fma_f64 v[54:55], v[8:9], v[179:180], -v[56:57]
	ds_load_b128 v[179:182], v1 offset:1584
	v_add_f64 v[22:23], v[22:23], v[6:7]
	v_add_f64 v[56:57], v[12:13], v[58:59]
	ds_load_b128 v[6:9], v1 offset:1568
	scratch_load_b128 v[10:13], off, off offset:672
	v_fma_f64 v[60:61], v[245:246], v[42:43], v[40:41]
	v_fma_f64 v[44:45], v[243:244], v[42:43], -v[44:45]
	scratch_load_b128 v[40:43], off, off offset:688
	ds_load_b128 v[243:246], v1 offset:1616
	s_waitcnt vmcnt(9) lgkmcnt(1)
	v_mul_f64 v[58:59], v[6:7], v[48:49]
	v_mul_f64 v[48:49], v[8:9], v[48:49]
	v_add_f64 v[22:23], v[22:23], v[54:55]
	v_add_f64 v[52:53], v[56:57], v[52:53]
	s_waitcnt vmcnt(8)
	v_mul_f64 v[54:55], v[179:180], v[34:35]
	v_mul_f64 v[34:35], v[181:182], v[34:35]
	v_fma_f64 v[56:57], v[8:9], v[46:47], v[58:59]
	v_fma_f64 v[48:49], v[6:7], v[46:47], -v[48:49]
	ds_load_b128 v[6:9], v1 offset:1600
	v_add_f64 v[22:23], v[22:23], v[44:45]
	v_add_f64 v[52:53], v[52:53], v[60:61]
	scratch_load_b128 v[44:47], off, off offset:704
	v_fma_f64 v[54:55], v[181:182], v[32:33], v[54:55]
	v_fma_f64 v[60:61], v[179:180], v[32:33], -v[34:35]
	scratch_load_b128 v[32:35], off, off offset:720
	ds_load_b128 v[179:182], v1 offset:1648
	s_waitcnt vmcnt(9) lgkmcnt(1)
	v_mul_f64 v[58:59], v[6:7], v[38:39]
	v_mul_f64 v[38:39], v[8:9], v[38:39]
	v_add_f64 v[22:23], v[22:23], v[48:49]
	v_add_f64 v[48:49], v[52:53], v[56:57]
	s_waitcnt vmcnt(8)
	v_mul_f64 v[52:53], v[243:244], v[26:27]
	v_mul_f64 v[26:27], v[245:246], v[26:27]
	v_fma_f64 v[56:57], v[8:9], v[36:37], v[58:59]
	v_fma_f64 v[58:59], v[6:7], v[36:37], -v[38:39]
	ds_load_b128 v[6:9], v1 offset:1632
	scratch_load_b128 v[36:39], off, off offset:736
	v_add_f64 v[22:23], v[22:23], v[60:61]
	v_add_f64 v[48:49], v[48:49], v[54:55]
	s_waitcnt vmcnt(8) lgkmcnt(0)
	v_mul_f64 v[54:55], v[6:7], v[30:31]
	v_mul_f64 v[30:31], v[8:9], v[30:31]
	v_fma_f64 v[52:53], v[245:246], v[24:25], v[52:53]
	v_fma_f64 v[26:27], v[243:244], v[24:25], -v[26:27]
	ds_load_b128 v[243:246], v1 offset:1680
	v_add_f64 v[58:59], v[22:23], v[58:59]
	scratch_load_b128 v[22:25], off, off offset:752
	v_add_f64 v[48:49], v[48:49], v[56:57]
	v_fma_f64 v[54:55], v[8:9], v[28:29], v[54:55]
	v_fma_f64 v[30:31], v[6:7], v[28:29], -v[30:31]
	ds_load_b128 v[6:9], v1 offset:1664
	s_waitcnt vmcnt(8)
	v_mul_f64 v[56:57], v[179:180], v[16:17]
	v_mul_f64 v[16:17], v[181:182], v[16:17]
	v_add_f64 v[58:59], v[58:59], v[26:27]
	scratch_load_b128 v[26:29], off, off offset:768
	v_add_f64 v[48:49], v[48:49], v[52:53]
	s_waitcnt vmcnt(8) lgkmcnt(0)
	v_mul_f64 v[52:53], v[6:7], v[20:21]
	v_mul_f64 v[20:21], v[8:9], v[20:21]
	v_fma_f64 v[56:57], v[181:182], v[14:15], v[56:57]
	v_fma_f64 v[60:61], v[179:180], v[14:15], -v[16:17]
	scratch_load_b128 v[14:17], off, off offset:784
	ds_load_b128 v[179:182], v1 offset:1712
	v_add_f64 v[30:31], v[58:59], v[30:31]
	s_waitcnt vmcnt(8)
	v_mul_f64 v[58:59], v[245:246], v[249:250]
	v_add_f64 v[48:49], v[48:49], v[54:55]
	v_mul_f64 v[54:55], v[243:244], v[249:250]
	v_fma_f64 v[52:53], v[8:9], v[18:19], v[52:53]
	v_fma_f64 v[62:63], v[6:7], v[18:19], -v[20:21]
	ds_load_b128 v[6:9], v1 offset:1696
	scratch_load_b128 v[18:21], off, off offset:800
	v_add_f64 v[30:31], v[30:31], v[60:61]
	v_fma_f64 v[58:59], v[243:244], v[247:248], -v[58:59]
	v_add_f64 v[48:49], v[48:49], v[56:57]
	v_fma_f64 v[54:55], v[245:246], v[247:248], v[54:55]
	scratch_load_b128 v[243:246], off, off offset:816
	ds_load_b128 v[247:250], v1 offset:1744
	s_waitcnt vmcnt(9) lgkmcnt(1)
	v_mul_f64 v[56:57], v[6:7], v[12:13]
	v_mul_f64 v[12:13], v[8:9], v[12:13]
	v_add_f64 v[30:31], v[30:31], v[62:63]
	v_add_f64 v[48:49], v[48:49], v[52:53]
	s_waitcnt vmcnt(8)
	v_mul_f64 v[52:53], v[179:180], v[42:43]
	v_mul_f64 v[42:43], v[181:182], v[42:43]
	v_fma_f64 v[56:57], v[8:9], v[10:11], v[56:57]
	v_fma_f64 v[60:61], v[6:7], v[10:11], -v[12:13]
	ds_load_b128 v[6:9], v1 offset:1728
	scratch_load_b128 v[10:13], off, off offset:832
	v_add_f64 v[30:31], v[30:31], v[58:59]
	v_add_f64 v[48:49], v[48:49], v[54:55]
	v_fma_f64 v[52:53], v[181:182], v[40:41], v[52:53]
	v_fma_f64 v[58:59], v[179:180], v[40:41], -v[42:43]
	scratch_load_b128 v[40:43], off, off offset:848
	ds_load_b128 v[179:182], v1 offset:1776
	s_waitcnt vmcnt(9) lgkmcnt(1)
	v_mul_f64 v[54:55], v[6:7], v[46:47]
	v_mul_f64 v[46:47], v[8:9], v[46:47]
	v_add_f64 v[30:31], v[30:31], v[60:61]
	v_add_f64 v[48:49], v[48:49], v[56:57]
	s_waitcnt vmcnt(8)
	v_mul_f64 v[56:57], v[247:248], v[34:35]
	v_mul_f64 v[34:35], v[249:250], v[34:35]
	v_fma_f64 v[54:55], v[8:9], v[44:45], v[54:55]
	v_fma_f64 v[60:61], v[6:7], v[44:45], -v[46:47]
	ds_load_b128 v[6:9], v1 offset:1760
	scratch_load_b128 v[44:47], off, off offset:864
	v_add_f64 v[30:31], v[30:31], v[58:59]
	v_add_f64 v[48:49], v[48:49], v[52:53]
	s_waitcnt vmcnt(8) lgkmcnt(0)
	v_mul_f64 v[52:53], v[6:7], v[38:39]
	v_mul_f64 v[38:39], v[8:9], v[38:39]
	v_fma_f64 v[56:57], v[249:250], v[32:33], v[56:57]
	v_fma_f64 v[34:35], v[247:248], v[32:33], -v[34:35]
	ds_load_b128 v[247:250], v1 offset:1808
	v_add_f64 v[58:59], v[30:31], v[60:61]
	scratch_load_b128 v[30:33], off, off offset:880
	v_add_f64 v[48:49], v[48:49], v[54:55]
	v_fma_f64 v[52:53], v[8:9], v[36:37], v[52:53]
	v_fma_f64 v[38:39], v[6:7], v[36:37], -v[38:39]
	ds_load_b128 v[6:9], v1 offset:1792
	s_waitcnt vmcnt(8)
	v_mul_f64 v[54:55], v[179:180], v[24:25]
	v_mul_f64 v[24:25], v[181:182], v[24:25]
	v_add_f64 v[58:59], v[58:59], v[34:35]
	scratch_load_b128 v[34:37], off, off offset:896
	v_add_f64 v[48:49], v[48:49], v[56:57]
	s_waitcnt vmcnt(8) lgkmcnt(0)
	v_mul_f64 v[56:57], v[6:7], v[28:29]
	v_mul_f64 v[28:29], v[8:9], v[28:29]
	v_fma_f64 v[54:55], v[181:182], v[22:23], v[54:55]
	v_fma_f64 v[60:61], v[179:180], v[22:23], -v[24:25]
	scratch_load_b128 v[22:25], off, off offset:912
	ds_load_b128 v[179:182], v1 offset:1840
	v_add_f64 v[38:39], v[58:59], v[38:39]
	v_add_f64 v[48:49], v[48:49], v[52:53]
	s_waitcnt vmcnt(8)
	v_mul_f64 v[52:53], v[247:248], v[16:17]
	v_mul_f64 v[16:17], v[249:250], v[16:17]
	v_fma_f64 v[56:57], v[8:9], v[26:27], v[56:57]
	v_fma_f64 v[58:59], v[6:7], v[26:27], -v[28:29]
	ds_load_b128 v[6:9], v1 offset:1824
	scratch_load_b128 v[26:29], off, off offset:928
	v_add_f64 v[38:39], v[38:39], v[60:61]
	v_add_f64 v[48:49], v[48:49], v[54:55]
	s_waitcnt vmcnt(8) lgkmcnt(0)
	v_mul_f64 v[54:55], v[6:7], v[20:21]
	v_mul_f64 v[20:21], v[8:9], v[20:21]
	v_fma_f64 v[52:53], v[249:250], v[14:15], v[52:53]
	v_fma_f64 v[60:61], v[247:248], v[14:15], -v[16:17]
	scratch_load_b128 v[14:17], off, off offset:944
	ds_load_b128 v[249:252], v1 offset:1904
	v_add_f64 v[38:39], v[38:39], v[58:59]
	s_waitcnt vmcnt(8)
	v_mul_f64 v[58:59], v[181:182], v[245:246]
	v_add_f64 v[48:49], v[48:49], v[56:57]
	v_mul_f64 v[56:57], v[179:180], v[245:246]
	v_fma_f64 v[54:55], v[8:9], v[18:19], v[54:55]
	v_fma_f64 v[62:63], v[6:7], v[18:19], -v[20:21]
	ds_load_b128 v[6:9], v1 offset:1856
	ds_load_b128 v[245:248], v1 offset:1872
	scratch_load_b128 v[18:21], off, off offset:960
	v_add_f64 v[38:39], v[38:39], v[60:61]
	v_fma_f64 v[58:59], v[179:180], v[243:244], -v[58:59]
	v_add_f64 v[48:49], v[48:49], v[52:53]
	s_waitcnt vmcnt(8) lgkmcnt(1)
	v_mul_f64 v[52:53], v[6:7], v[12:13]
	v_mul_f64 v[12:13], v[8:9], v[12:13]
	v_fma_f64 v[56:57], v[181:182], v[243:244], v[56:57]
	scratch_load_b128 v[179:182], off, off offset:976
	v_add_f64 v[38:39], v[38:39], v[62:63]
	v_add_f64 v[48:49], v[48:49], v[54:55]
	s_waitcnt vmcnt(8) lgkmcnt(0)
	v_mul_f64 v[54:55], v[245:246], v[42:43]
	v_mul_f64 v[42:43], v[247:248], v[42:43]
	v_fma_f64 v[52:53], v[8:9], v[10:11], v[52:53]
	v_fma_f64 v[60:61], v[6:7], v[10:11], -v[12:13]
	ds_load_b128 v[6:9], v1 offset:1888
	scratch_load_b128 v[10:13], off, off offset:992
	v_add_f64 v[38:39], v[38:39], v[58:59]
	v_add_f64 v[48:49], v[48:49], v[56:57]
	s_waitcnt vmcnt(8) lgkmcnt(0)
	v_mul_f64 v[56:57], v[6:7], v[46:47]
	v_mul_f64 v[46:47], v[8:9], v[46:47]
	v_fma_f64 v[54:55], v[247:248], v[40:41], v[54:55]
	v_fma_f64 v[42:43], v[245:246], v[40:41], -v[42:43]
	v_add_f64 v[58:59], v[38:39], v[60:61]
	scratch_load_b128 v[38:41], off, off offset:1008
	v_add_f64 v[48:49], v[48:49], v[52:53]
	v_fma_f64 v[56:57], v[8:9], v[44:45], v[56:57]
	v_fma_f64 v[46:47], v[6:7], v[44:45], -v[46:47]
	s_waitcnt vmcnt(8)
	v_mul_f64 v[52:53], v[249:250], v[32:33]
	v_mul_f64 v[32:33], v[251:252], v[32:33]
	v_add_f64 v[58:59], v[58:59], v[42:43]
	ds_load_b128 v[6:9], v1 offset:1920
	ds_load_b128 v[42:45], v1 offset:1936
	v_add_f64 v[48:49], v[48:49], v[54:55]
	v_fma_f64 v[52:53], v[251:252], v[30:31], v[52:53]
	v_fma_f64 v[30:31], v[249:250], v[30:31], -v[32:33]
	s_waitcnt vmcnt(7) lgkmcnt(1)
	v_mul_f64 v[54:55], v[6:7], v[36:37]
	v_mul_f64 v[36:37], v[8:9], v[36:37]
	v_add_f64 v[32:33], v[58:59], v[46:47]
	v_add_f64 v[46:47], v[48:49], v[56:57]
	s_waitcnt vmcnt(6) lgkmcnt(0)
	v_mul_f64 v[48:49], v[42:43], v[24:25]
	v_mul_f64 v[24:25], v[44:45], v[24:25]
	v_fma_f64 v[54:55], v[8:9], v[34:35], v[54:55]
	v_fma_f64 v[34:35], v[6:7], v[34:35], -v[36:37]
	v_add_f64 v[36:37], v[32:33], v[30:31]
	ds_load_b128 v[6:9], v1 offset:1952
	ds_load_b128 v[30:33], v1 offset:1968
	v_add_f64 v[46:47], v[46:47], v[52:53]
	v_fma_f64 v[44:45], v[44:45], v[22:23], v[48:49]
	v_fma_f64 v[22:23], v[42:43], v[22:23], -v[24:25]
	s_waitcnt vmcnt(5) lgkmcnt(1)
	v_mul_f64 v[52:53], v[6:7], v[28:29]
	v_mul_f64 v[28:29], v[8:9], v[28:29]
	v_add_f64 v[24:25], v[36:37], v[34:35]
	s_waitcnt vmcnt(4) lgkmcnt(0)
	v_mul_f64 v[36:37], v[30:31], v[16:17]
	v_add_f64 v[34:35], v[46:47], v[54:55]
	v_mul_f64 v[16:17], v[32:33], v[16:17]
	v_fma_f64 v[42:43], v[8:9], v[26:27], v[52:53]
	v_fma_f64 v[26:27], v[6:7], v[26:27], -v[28:29]
	v_add_f64 v[28:29], v[24:25], v[22:23]
	ds_load_b128 v[6:9], v1 offset:1984
	ds_load_b128 v[22:25], v1 offset:2000
	v_add_f64 v[34:35], v[34:35], v[44:45]
	v_fma_f64 v[32:33], v[32:33], v[14:15], v[36:37]
	v_fma_f64 v[14:15], v[30:31], v[14:15], -v[16:17]
	s_waitcnt vmcnt(3) lgkmcnt(1)
	v_mul_f64 v[44:45], v[6:7], v[20:21]
	v_mul_f64 v[20:21], v[8:9], v[20:21]
	s_waitcnt vmcnt(2) lgkmcnt(0)
	v_mul_f64 v[30:31], v[24:25], v[181:182]
	v_add_f64 v[16:17], v[28:29], v[26:27]
	v_mul_f64 v[28:29], v[22:23], v[181:182]
	v_add_f64 v[26:27], v[34:35], v[42:43]
	v_fma_f64 v[34:35], v[8:9], v[18:19], v[44:45]
	v_fma_f64 v[18:19], v[6:7], v[18:19], -v[20:21]
	v_fma_f64 v[22:23], v[22:23], v[179:180], -v[30:31]
	v_add_f64 v[20:21], v[16:17], v[14:15]
	ds_load_b128 v[6:9], v1 offset:2016
	ds_load_b128 v[14:17], v1 offset:2032
	v_add_f64 v[26:27], v[26:27], v[32:33]
	v_fma_f64 v[24:25], v[24:25], v[179:180], v[28:29]
	s_waitcnt vmcnt(1) lgkmcnt(1)
	v_mul_f64 v[32:33], v[6:7], v[12:13]
	v_mul_f64 v[12:13], v[8:9], v[12:13]
	v_add_f64 v[18:19], v[20:21], v[18:19]
	v_add_f64 v[20:21], v[26:27], v[34:35]
	s_waitcnt vmcnt(0) lgkmcnt(0)
	v_mul_f64 v[26:27], v[14:15], v[40:41]
	v_mul_f64 v[28:29], v[16:17], v[40:41]
	v_fma_f64 v[8:9], v[8:9], v[10:11], v[32:33]
	v_fma_f64 v[6:7], v[6:7], v[10:11], -v[12:13]
	v_add_f64 v[10:11], v[18:19], v[22:23]
	v_add_f64 v[12:13], v[20:21], v[24:25]
	v_fma_f64 v[16:17], v[16:17], v[38:39], v[26:27]
	v_fma_f64 v[14:15], v[14:15], v[38:39], -v[28:29]
	s_delay_alu instid0(VALU_DEP_4) | instskip(NEXT) | instid1(VALU_DEP_4)
	v_add_f64 v[6:7], v[10:11], v[6:7]
	v_add_f64 v[8:9], v[12:13], v[8:9]
	s_delay_alu instid0(VALU_DEP_2) | instskip(NEXT) | instid1(VALU_DEP_2)
	v_add_f64 v[6:7], v[6:7], v[14:15]
	v_add_f64 v[8:9], v[8:9], v[16:17]
	s_delay_alu instid0(VALU_DEP_2) | instskip(NEXT) | instid1(VALU_DEP_2)
	v_add_f64 v[1:2], v[2:3], -v[6:7]
	v_add_f64 v[3:4], v[4:5], -v[8:9]
	scratch_store_b128 off, v[1:4], off offset:48
	v_cmpx_lt_u32_e32 2, v178
	s_cbranch_execz .LBB127_404
; %bb.403:
	v_add_nc_u32_e64 v1, 0, 32
	v_mov_b32_e32 v5, 0
	scratch_load_b128 v[1:4], v1, off
	v_mov_b32_e32 v6, v5
	v_mov_b32_e32 v7, v5
	;; [unrolled: 1-line block ×3, first 2 shown]
	scratch_store_b128 off, v[5:8], off offset:32
	s_waitcnt vmcnt(0)
	ds_store_b128 v255, v[1:4]
.LBB127_404:
	s_or_b32 exec_lo, exec_lo, s2
	s_waitcnt lgkmcnt(0)
	s_waitcnt_vscnt null, 0x0
	s_barrier
	buffer_gl0_inv
	s_clause 0x7
	scratch_load_b128 v[34:37], off, off offset:48
	scratch_load_b128 v[38:41], off, off offset:64
	;; [unrolled: 1-line block ×8, first 2 shown]
	v_mov_b32_e32 v1, 0
	s_mov_b32 s2, exec_lo
	ds_load_b128 v[46:49], v1 offset:1072
	s_clause 0x2
	scratch_load_b128 v[14:17], off, off offset:176
	scratch_load_b128 v[2:5], off, off offset:32
	;; [unrolled: 1-line block ×3, first 2 shown]
	ds_load_b128 v[42:45], v1 offset:1088
	ds_load_b128 v[243:246], v1 offset:1120
	;; [unrolled: 1-line block ×3, first 2 shown]
	s_waitcnt vmcnt(10) lgkmcnt(3)
	v_mul_f64 v[52:53], v[48:49], v[36:37]
	v_mul_f64 v[36:37], v[46:47], v[36:37]
	s_delay_alu instid0(VALU_DEP_2) | instskip(NEXT) | instid1(VALU_DEP_2)
	v_fma_f64 v[52:53], v[46:47], v[34:35], -v[52:53]
	v_fma_f64 v[56:57], v[48:49], v[34:35], v[36:37]
	ds_load_b128 v[34:37], v1 offset:1104
	s_waitcnt vmcnt(9) lgkmcnt(3)
	v_mul_f64 v[54:55], v[42:43], v[40:41]
	v_mul_f64 v[40:41], v[44:45], v[40:41]
	scratch_load_b128 v[46:49], off, off offset:208
	s_waitcnt vmcnt(9) lgkmcnt(0)
	v_mul_f64 v[58:59], v[34:35], v[32:33]
	v_mul_f64 v[32:33], v[36:37], v[32:33]
	v_add_f64 v[52:53], v[52:53], 0
	v_fma_f64 v[44:45], v[44:45], v[38:39], v[54:55]
	v_fma_f64 v[42:43], v[42:43], v[38:39], -v[40:41]
	v_add_f64 v[54:55], v[56:57], 0
	scratch_load_b128 v[38:41], off, off offset:224
	v_fma_f64 v[36:37], v[36:37], v[30:31], v[58:59]
	v_fma_f64 v[58:59], v[34:35], v[30:31], -v[32:33]
	scratch_load_b128 v[32:35], off, off offset:240
	v_add_f64 v[52:53], v[52:53], v[42:43]
	v_add_f64 v[54:55], v[54:55], v[44:45]
	ds_load_b128 v[42:45], v1 offset:1152
	s_waitcnt vmcnt(10)
	v_mul_f64 v[56:57], v[243:244], v[28:29]
	v_mul_f64 v[60:61], v[245:246], v[28:29]
	ds_load_b128 v[28:31], v1 offset:1136
	v_add_f64 v[52:53], v[52:53], v[58:59]
	v_add_f64 v[36:37], v[54:55], v[36:37]
	s_waitcnt vmcnt(8) lgkmcnt(1)
	v_mul_f64 v[54:55], v[42:43], v[20:21]
	v_fma_f64 v[56:57], v[245:246], v[26:27], v[56:57]
	v_fma_f64 v[60:61], v[243:244], v[26:27], -v[60:61]
	ds_load_b128 v[243:246], v1 offset:1184
	s_waitcnt lgkmcnt(1)
	v_mul_f64 v[62:63], v[28:29], v[24:25]
	v_mul_f64 v[64:65], v[30:31], v[24:25]
	scratch_load_b128 v[24:27], off, off offset:256
	v_mul_f64 v[58:59], v[44:45], v[20:21]
	v_fma_f64 v[54:55], v[44:45], v[18:19], v[54:55]
	v_add_f64 v[36:37], v[36:37], v[56:57]
	v_add_f64 v[52:53], v[52:53], v[60:61]
	s_waitcnt vmcnt(7) lgkmcnt(0)
	v_mul_f64 v[60:61], v[245:246], v[8:9]
	v_fma_f64 v[62:63], v[30:31], v[22:23], v[62:63]
	v_fma_f64 v[64:65], v[28:29], v[22:23], -v[64:65]
	scratch_load_b128 v[28:31], off, off offset:272
	ds_load_b128 v[20:23], v1 offset:1168
	v_fma_f64 v[18:19], v[42:43], v[18:19], -v[58:59]
	v_mul_f64 v[58:59], v[243:244], v[8:9]
	scratch_load_b128 v[42:45], off, off offset:288
	s_waitcnt lgkmcnt(0)
	v_mul_f64 v[56:57], v[20:21], v[12:13]
	v_mul_f64 v[12:13], v[22:23], v[12:13]
	v_add_f64 v[36:37], v[36:37], v[62:63]
	v_add_f64 v[52:53], v[52:53], v[64:65]
	s_delay_alu instid0(VALU_DEP_4) | instskip(NEXT) | instid1(VALU_DEP_4)
	v_fma_f64 v[22:23], v[22:23], v[10:11], v[56:57]
	v_fma_f64 v[12:13], v[20:21], v[10:11], -v[12:13]
	ds_load_b128 v[8:11], v1 offset:1200
	v_fma_f64 v[56:57], v[245:246], v[6:7], v[58:59]
	v_fma_f64 v[6:7], v[243:244], v[6:7], -v[60:61]
	scratch_load_b128 v[243:246], off, off offset:320
	v_add_f64 v[36:37], v[36:37], v[54:55]
	v_add_f64 v[52:53], v[52:53], v[18:19]
	scratch_load_b128 v[18:21], off, off offset:304
	v_add_f64 v[22:23], v[36:37], v[22:23]
	v_add_f64 v[12:13], v[52:53], v[12:13]
	s_waitcnt vmcnt(8)
	v_mul_f64 v[36:37], v[247:248], v[181:182]
	v_mul_f64 v[52:53], v[249:250], v[181:182]
	s_delay_alu instid0(VALU_DEP_4) | instskip(NEXT) | instid1(VALU_DEP_4)
	v_add_f64 v[22:23], v[22:23], v[56:57]
	v_add_f64 v[60:61], v[12:13], v[6:7]
	s_delay_alu instid0(VALU_DEP_4) | instskip(NEXT) | instid1(VALU_DEP_4)
	v_fma_f64 v[36:37], v[249:250], v[179:180], v[36:37]
	v_fma_f64 v[52:53], v[247:248], v[179:180], -v[52:53]
	ds_load_b128 v[247:250], v1 offset:1280
	s_waitcnt lgkmcnt(1)
	v_mul_f64 v[54:55], v[8:9], v[16:17]
	v_mul_f64 v[16:17], v[10:11], v[16:17]
	scratch_load_b128 v[179:182], off, off offset:352
	v_fma_f64 v[54:55], v[10:11], v[14:15], v[54:55]
	v_fma_f64 v[58:59], v[8:9], v[14:15], -v[16:17]
	ds_load_b128 v[6:9], v1 offset:1232
	ds_load_b128 v[14:17], v1 offset:1248
	scratch_load_b128 v[10:13], off, off offset:336
	s_waitcnt vmcnt(9) lgkmcnt(1)
	v_mul_f64 v[56:57], v[6:7], v[48:49]
	v_mul_f64 v[48:49], v[8:9], v[48:49]
	v_add_f64 v[22:23], v[22:23], v[54:55]
	v_add_f64 v[58:59], v[60:61], v[58:59]
	s_waitcnt vmcnt(8) lgkmcnt(0)
	v_mul_f64 v[54:55], v[14:15], v[40:41]
	v_mul_f64 v[40:41], v[16:17], v[40:41]
	v_fma_f64 v[56:57], v[8:9], v[46:47], v[56:57]
	v_fma_f64 v[60:61], v[6:7], v[46:47], -v[48:49]
	ds_load_b128 v[6:9], v1 offset:1264
	scratch_load_b128 v[46:49], off, off offset:368
	v_add_f64 v[22:23], v[22:23], v[36:37]
	v_add_f64 v[52:53], v[58:59], v[52:53]
	v_fma_f64 v[54:55], v[16:17], v[38:39], v[54:55]
	v_fma_f64 v[38:39], v[14:15], v[38:39], -v[40:41]
	scratch_load_b128 v[14:17], off, off offset:384
	v_add_f64 v[22:23], v[22:23], v[56:57]
	v_add_f64 v[40:41], v[52:53], v[60:61]
	s_waitcnt vmcnt(8)
	v_mul_f64 v[52:53], v[247:248], v[26:27]
	v_mul_f64 v[26:27], v[249:250], v[26:27]
	s_delay_alu instid0(VALU_DEP_4) | instskip(NEXT) | instid1(VALU_DEP_4)
	v_add_f64 v[22:23], v[22:23], v[54:55]
	v_add_f64 v[40:41], v[40:41], v[38:39]
	s_delay_alu instid0(VALU_DEP_4) | instskip(NEXT) | instid1(VALU_DEP_4)
	v_fma_f64 v[52:53], v[249:250], v[24:25], v[52:53]
	v_fma_f64 v[26:27], v[247:248], v[24:25], -v[26:27]
	ds_load_b128 v[247:250], v1 offset:1344
	s_waitcnt lgkmcnt(1)
	v_mul_f64 v[36:37], v[6:7], v[34:35]
	v_mul_f64 v[34:35], v[8:9], v[34:35]
	s_delay_alu instid0(VALU_DEP_2) | instskip(NEXT) | instid1(VALU_DEP_2)
	v_fma_f64 v[56:57], v[8:9], v[32:33], v[36:37]
	v_fma_f64 v[58:59], v[6:7], v[32:33], -v[34:35]
	scratch_load_b128 v[32:35], off, off offset:400
	ds_load_b128 v[6:9], v1 offset:1296
	ds_load_b128 v[36:39], v1 offset:1312
	s_waitcnt vmcnt(8) lgkmcnt(1)
	v_mul_f64 v[54:55], v[6:7], v[30:31]
	v_mul_f64 v[30:31], v[8:9], v[30:31]
	v_add_f64 v[56:57], v[22:23], v[56:57]
	v_add_f64 v[40:41], v[40:41], v[58:59]
	s_waitcnt vmcnt(7) lgkmcnt(0)
	v_mul_f64 v[58:59], v[36:37], v[44:45]
	v_mul_f64 v[44:45], v[38:39], v[44:45]
	scratch_load_b128 v[22:25], off, off offset:416
	v_fma_f64 v[54:55], v[8:9], v[28:29], v[54:55]
	v_fma_f64 v[30:31], v[6:7], v[28:29], -v[30:31]
	ds_load_b128 v[6:9], v1 offset:1328
	v_add_f64 v[52:53], v[56:57], v[52:53]
	v_add_f64 v[40:41], v[40:41], v[26:27]
	v_fma_f64 v[58:59], v[38:39], v[42:43], v[58:59]
	v_fma_f64 v[42:43], v[36:37], v[42:43], -v[44:45]
	s_clause 0x1
	scratch_load_b128 v[26:29], off, off offset:432
	scratch_load_b128 v[36:39], off, off offset:448
	s_waitcnt vmcnt(9)
	v_mul_f64 v[44:45], v[247:248], v[245:246]
	v_add_f64 v[30:31], v[40:41], v[30:31]
	v_add_f64 v[40:41], v[52:53], v[54:55]
	v_mul_f64 v[52:53], v[249:250], v[245:246]
	s_delay_alu instid0(VALU_DEP_4) | instskip(NEXT) | instid1(VALU_DEP_4)
	v_fma_f64 v[44:45], v[249:250], v[243:244], v[44:45]
	v_add_f64 v[30:31], v[30:31], v[42:43]
	s_delay_alu instid0(VALU_DEP_4)
	v_add_f64 v[58:59], v[40:41], v[58:59]
	ds_load_b128 v[40:43], v1 offset:1376
	s_waitcnt vmcnt(8) lgkmcnt(1)
	v_mul_f64 v[56:57], v[6:7], v[20:21]
	v_mul_f64 v[20:21], v[8:9], v[20:21]
	v_fma_f64 v[52:53], v[247:248], v[243:244], -v[52:53]
	scratch_load_b128 v[243:246], off, off offset:480
	ds_load_b128 v[247:250], v1 offset:1408
	v_fma_f64 v[54:55], v[8:9], v[18:19], v[56:57]
	v_fma_f64 v[56:57], v[6:7], v[18:19], -v[20:21]
	ds_load_b128 v[6:9], v1 offset:1360
	scratch_load_b128 v[18:21], off, off offset:464
	s_waitcnt vmcnt(8) lgkmcnt(0)
	v_mul_f64 v[60:61], v[6:7], v[12:13]
	v_mul_f64 v[12:13], v[8:9], v[12:13]
	v_add_f64 v[54:55], v[58:59], v[54:55]
	v_add_f64 v[30:31], v[30:31], v[56:57]
	v_mul_f64 v[56:57], v[40:41], v[181:182]
	v_mul_f64 v[58:59], v[42:43], v[181:182]
	v_fma_f64 v[60:61], v[8:9], v[10:11], v[60:61]
	v_fma_f64 v[62:63], v[6:7], v[10:11], -v[12:13]
	ds_load_b128 v[6:9], v1 offset:1392
	scratch_load_b128 v[10:13], off, off offset:496
	v_add_f64 v[44:45], v[54:55], v[44:45]
	v_add_f64 v[30:31], v[30:31], v[52:53]
	v_fma_f64 v[54:55], v[42:43], v[179:180], v[56:57]
	v_fma_f64 v[56:57], v[40:41], v[179:180], -v[58:59]
	ds_load_b128 v[179:182], v1 offset:1440
	scratch_load_b128 v[40:43], off, off offset:512
	s_waitcnt vmcnt(9) lgkmcnt(1)
	v_mul_f64 v[52:53], v[6:7], v[48:49]
	v_mul_f64 v[48:49], v[8:9], v[48:49]
	s_waitcnt vmcnt(8)
	v_mul_f64 v[58:59], v[247:248], v[16:17]
	v_mul_f64 v[16:17], v[249:250], v[16:17]
	v_add_f64 v[44:45], v[44:45], v[60:61]
	v_add_f64 v[30:31], v[30:31], v[62:63]
	v_fma_f64 v[52:53], v[8:9], v[46:47], v[52:53]
	v_fma_f64 v[48:49], v[6:7], v[46:47], -v[48:49]
	ds_load_b128 v[6:9], v1 offset:1424
	v_fma_f64 v[58:59], v[249:250], v[14:15], v[58:59]
	v_fma_f64 v[60:61], v[247:248], v[14:15], -v[16:17]
	ds_load_b128 v[247:250], v1 offset:1472
	scratch_load_b128 v[14:17], off, off offset:544
	v_add_f64 v[54:55], v[44:45], v[54:55]
	v_add_f64 v[30:31], v[30:31], v[56:57]
	scratch_load_b128 v[44:47], off, off offset:528
	s_waitcnt vmcnt(9) lgkmcnt(1)
	v_mul_f64 v[56:57], v[6:7], v[34:35]
	v_mul_f64 v[34:35], v[8:9], v[34:35]
	v_add_f64 v[30:31], v[30:31], v[48:49]
	v_add_f64 v[48:49], v[54:55], v[52:53]
	s_waitcnt vmcnt(8)
	v_mul_f64 v[52:53], v[179:180], v[24:25]
	v_mul_f64 v[24:25], v[181:182], v[24:25]
	v_fma_f64 v[54:55], v[8:9], v[32:33], v[56:57]
	v_fma_f64 v[34:35], v[6:7], v[32:33], -v[34:35]
	ds_load_b128 v[6:9], v1 offset:1456
	v_add_f64 v[56:57], v[30:31], v[60:61]
	v_add_f64 v[48:49], v[48:49], v[58:59]
	scratch_load_b128 v[30:33], off, off offset:560
	v_fma_f64 v[52:53], v[181:182], v[22:23], v[52:53]
	v_fma_f64 v[60:61], v[179:180], v[22:23], -v[24:25]
	ds_load_b128 v[179:182], v1 offset:1504
	s_waitcnt vmcnt(8) lgkmcnt(1)
	v_mul_f64 v[58:59], v[6:7], v[28:29]
	v_mul_f64 v[28:29], v[8:9], v[28:29]
	scratch_load_b128 v[22:25], off, off offset:576
	v_add_f64 v[34:35], v[56:57], v[34:35]
	v_add_f64 v[48:49], v[48:49], v[54:55]
	s_waitcnt vmcnt(8)
	v_mul_f64 v[54:55], v[247:248], v[38:39]
	v_mul_f64 v[38:39], v[249:250], v[38:39]
	v_fma_f64 v[56:57], v[8:9], v[26:27], v[58:59]
	v_fma_f64 v[58:59], v[6:7], v[26:27], -v[28:29]
	scratch_load_b128 v[26:29], off, off offset:592
	ds_load_b128 v[6:9], v1 offset:1488
	v_add_f64 v[34:35], v[34:35], v[60:61]
	v_add_f64 v[48:49], v[48:49], v[52:53]
	v_fma_f64 v[54:55], v[249:250], v[36:37], v[54:55]
	v_fma_f64 v[38:39], v[247:248], v[36:37], -v[38:39]
	s_waitcnt vmcnt(8) lgkmcnt(1)
	v_mul_f64 v[60:61], v[181:182], v[245:246]
	ds_load_b128 v[249:252], v1 offset:1568
	v_add_f64 v[58:59], v[34:35], v[58:59]
	v_add_f64 v[48:49], v[48:49], v[56:57]
	v_mul_f64 v[56:57], v[179:180], v[245:246]
	ds_load_b128 v[245:248], v1 offset:1536
	s_waitcnt vmcnt(7) lgkmcnt(2)
	v_mul_f64 v[52:53], v[6:7], v[20:21]
	v_mul_f64 v[20:21], v[8:9], v[20:21]
	scratch_load_b128 v[34:37], off, off offset:608
	v_add_f64 v[38:39], v[58:59], v[38:39]
	v_add_f64 v[48:49], v[48:49], v[54:55]
	v_fma_f64 v[56:57], v[181:182], v[243:244], v[56:57]
	v_fma_f64 v[58:59], v[179:180], v[243:244], -v[60:61]
	v_fma_f64 v[52:53], v[8:9], v[18:19], v[52:53]
	v_fma_f64 v[62:63], v[6:7], v[18:19], -v[20:21]
	scratch_load_b128 v[18:21], off, off offset:624
	ds_load_b128 v[6:9], v1 offset:1520
	scratch_load_b128 v[179:182], off, off offset:640
	s_waitcnt vmcnt(9) lgkmcnt(0)
	v_mul_f64 v[54:55], v[6:7], v[12:13]
	v_mul_f64 v[12:13], v[8:9], v[12:13]
	v_add_f64 v[48:49], v[48:49], v[52:53]
	v_add_f64 v[38:39], v[38:39], v[62:63]
	s_waitcnt vmcnt(8)
	v_mul_f64 v[52:53], v[245:246], v[42:43]
	v_mul_f64 v[42:43], v[247:248], v[42:43]
	v_fma_f64 v[54:55], v[8:9], v[10:11], v[54:55]
	v_fma_f64 v[60:61], v[6:7], v[10:11], -v[12:13]
	scratch_load_b128 v[10:13], off, off offset:656
	ds_load_b128 v[6:9], v1 offset:1552
	v_add_f64 v[48:49], v[48:49], v[56:57]
	v_add_f64 v[38:39], v[38:39], v[58:59]
	v_fma_f64 v[52:53], v[247:248], v[40:41], v[52:53]
	v_fma_f64 v[42:43], v[245:246], v[40:41], -v[42:43]
	ds_load_b128 v[243:246], v1 offset:1632
	s_waitcnt vmcnt(7) lgkmcnt(1)
	v_mul_f64 v[56:57], v[6:7], v[46:47]
	v_mul_f64 v[46:47], v[8:9], v[46:47]
	v_add_f64 v[48:49], v[48:49], v[54:55]
	v_add_f64 v[58:59], v[38:39], v[60:61]
	v_mul_f64 v[54:55], v[249:250], v[16:17]
	v_mul_f64 v[16:17], v[251:252], v[16:17]
	scratch_load_b128 v[38:41], off, off offset:672
	v_fma_f64 v[56:57], v[8:9], v[44:45], v[56:57]
	v_fma_f64 v[60:61], v[6:7], v[44:45], -v[46:47]
	ds_load_b128 v[6:9], v1 offset:1584
	v_add_f64 v[52:53], v[48:49], v[52:53]
	ds_load_b128 v[46:49], v1 offset:1600
	v_add_f64 v[58:59], v[58:59], v[42:43]
	v_fma_f64 v[54:55], v[251:252], v[14:15], v[54:55]
	v_fma_f64 v[64:65], v[249:250], v[14:15], -v[16:17]
	s_clause 0x1
	scratch_load_b128 v[42:45], off, off offset:688
	scratch_load_b128 v[14:17], off, off offset:704
	s_waitcnt vmcnt(9) lgkmcnt(1)
	v_mul_f64 v[62:63], v[6:7], v[32:33]
	v_mul_f64 v[32:33], v[8:9], v[32:33]
	v_add_f64 v[52:53], v[52:53], v[56:57]
	s_waitcnt vmcnt(8) lgkmcnt(0)
	v_mul_f64 v[56:57], v[46:47], v[24:25]
	v_add_f64 v[58:59], v[58:59], v[60:61]
	v_mul_f64 v[24:25], v[48:49], v[24:25]
	v_fma_f64 v[60:61], v[8:9], v[30:31], v[62:63]
	v_fma_f64 v[62:63], v[6:7], v[30:31], -v[32:33]
	scratch_load_b128 v[30:33], off, off offset:720
	ds_load_b128 v[6:9], v1 offset:1616
	v_add_f64 v[52:53], v[52:53], v[54:55]
	v_fma_f64 v[48:49], v[48:49], v[22:23], v[56:57]
	v_add_f64 v[58:59], v[58:59], v[64:65]
	v_fma_f64 v[46:47], v[46:47], v[22:23], -v[24:25]
	scratch_load_b128 v[22:25], off, off offset:736
	v_add_f64 v[52:53], v[52:53], v[60:61]
	v_add_f64 v[56:57], v[58:59], v[62:63]
	s_waitcnt vmcnt(8)
	v_mul_f64 v[58:59], v[243:244], v[36:37]
	v_mul_f64 v[36:37], v[245:246], v[36:37]
	s_delay_alu instid0(VALU_DEP_4) | instskip(NEXT) | instid1(VALU_DEP_4)
	v_add_f64 v[52:53], v[52:53], v[48:49]
	v_add_f64 v[56:57], v[56:57], v[46:47]
	ds_load_b128 v[46:49], v1 offset:1664
	s_waitcnt lgkmcnt(1)
	v_mul_f64 v[54:55], v[6:7], v[28:29]
	v_mul_f64 v[28:29], v[8:9], v[28:29]
	v_fma_f64 v[58:59], v[245:246], v[34:35], v[58:59]
	v_fma_f64 v[64:65], v[243:244], v[34:35], -v[36:37]
	ds_load_b128 v[243:246], v1 offset:1696
	scratch_load_b128 v[34:37], off, off offset:768
	v_fma_f64 v[54:55], v[8:9], v[26:27], v[54:55]
	v_fma_f64 v[60:61], v[6:7], v[26:27], -v[28:29]
	ds_load_b128 v[6:9], v1 offset:1648
	scratch_load_b128 v[26:29], off, off offset:752
	s_waitcnt vmcnt(9) lgkmcnt(0)
	v_mul_f64 v[62:63], v[6:7], v[20:21]
	v_mul_f64 v[20:21], v[8:9], v[20:21]
	v_add_f64 v[52:53], v[52:53], v[54:55]
	v_add_f64 v[56:57], v[56:57], v[60:61]
	s_waitcnt vmcnt(8)
	v_mul_f64 v[54:55], v[46:47], v[181:182]
	v_mul_f64 v[60:61], v[48:49], v[181:182]
	v_fma_f64 v[62:63], v[8:9], v[18:19], v[62:63]
	v_fma_f64 v[66:67], v[6:7], v[18:19], -v[20:21]
	ds_load_b128 v[6:9], v1 offset:1680
	scratch_load_b128 v[18:21], off, off offset:784
	v_add_f64 v[52:53], v[52:53], v[58:59]
	v_add_f64 v[56:57], v[56:57], v[64:65]
	v_fma_f64 v[54:55], v[48:49], v[179:180], v[54:55]
	v_fma_f64 v[60:61], v[46:47], v[179:180], -v[60:61]
	ds_load_b128 v[179:182], v1 offset:1728
	scratch_load_b128 v[46:49], off, off offset:800
	s_waitcnt vmcnt(9) lgkmcnt(1)
	v_mul_f64 v[58:59], v[6:7], v[12:13]
	v_mul_f64 v[12:13], v[8:9], v[12:13]
	v_add_f64 v[52:53], v[52:53], v[62:63]
	v_add_f64 v[56:57], v[56:57], v[66:67]
	s_waitcnt vmcnt(8)
	v_mul_f64 v[62:63], v[243:244], v[40:41]
	v_mul_f64 v[40:41], v[245:246], v[40:41]
	v_fma_f64 v[58:59], v[8:9], v[10:11], v[58:59]
	v_fma_f64 v[64:65], v[6:7], v[10:11], -v[12:13]
	scratch_load_b128 v[10:13], off, off offset:816
	ds_load_b128 v[6:9], v1 offset:1712
	v_add_f64 v[52:53], v[52:53], v[54:55]
	v_add_f64 v[56:57], v[56:57], v[60:61]
	v_fma_f64 v[60:61], v[245:246], v[38:39], v[62:63]
	v_fma_f64 v[62:63], v[243:244], v[38:39], -v[40:41]
	ds_load_b128 v[243:246], v1 offset:1760
	s_waitcnt vmcnt(8) lgkmcnt(1)
	v_mul_f64 v[54:55], v[6:7], v[44:45]
	v_mul_f64 v[44:45], v[8:9], v[44:45]
	scratch_load_b128 v[38:41], off, off offset:832
	v_add_f64 v[52:53], v[52:53], v[58:59]
	v_add_f64 v[56:57], v[56:57], v[64:65]
	s_waitcnt vmcnt(8)
	v_mul_f64 v[58:59], v[179:180], v[16:17]
	v_mul_f64 v[16:17], v[181:182], v[16:17]
	v_fma_f64 v[54:55], v[8:9], v[42:43], v[54:55]
	v_fma_f64 v[64:65], v[6:7], v[42:43], -v[44:45]
	scratch_load_b128 v[42:45], off, off offset:848
	ds_load_b128 v[6:9], v1 offset:1744
	v_add_f64 v[52:53], v[52:53], v[60:61]
	v_add_f64 v[56:57], v[56:57], v[62:63]
	v_fma_f64 v[58:59], v[181:182], v[14:15], v[58:59]
	v_fma_f64 v[62:63], v[179:180], v[14:15], -v[16:17]
	ds_load_b128 v[179:182], v1 offset:1792
	s_waitcnt vmcnt(8) lgkmcnt(1)
	v_mul_f64 v[60:61], v[6:7], v[32:33]
	v_mul_f64 v[32:33], v[8:9], v[32:33]
	scratch_load_b128 v[14:17], off, off offset:864
	v_add_f64 v[52:53], v[52:53], v[54:55]
	v_add_f64 v[56:57], v[56:57], v[64:65]
	s_waitcnt vmcnt(8)
	v_mul_f64 v[54:55], v[243:244], v[24:25]
	v_mul_f64 v[24:25], v[245:246], v[24:25]
	v_fma_f64 v[60:61], v[8:9], v[30:31], v[60:61]
	v_fma_f64 v[64:65], v[6:7], v[30:31], -v[32:33]
	scratch_load_b128 v[30:33], off, off offset:880
	ds_load_b128 v[6:9], v1 offset:1776
	v_add_f64 v[52:53], v[52:53], v[58:59]
	v_add_f64 v[56:57], v[56:57], v[62:63]
	v_fma_f64 v[54:55], v[245:246], v[22:23], v[54:55]
	v_fma_f64 v[62:63], v[243:244], v[22:23], -v[24:25]
	ds_load_b128 v[243:246], v1 offset:1824
	scratch_load_b128 v[22:25], off, off offset:896
	s_waitcnt vmcnt(8) lgkmcnt(1)
	v_mul_f64 v[58:59], v[6:7], v[28:29]
	v_mul_f64 v[28:29], v[8:9], v[28:29]
	v_add_f64 v[52:53], v[52:53], v[60:61]
	v_add_f64 v[56:57], v[56:57], v[64:65]
	v_mul_f64 v[60:61], v[179:180], v[36:37]
	v_mul_f64 v[36:37], v[181:182], v[36:37]
	v_fma_f64 v[58:59], v[8:9], v[26:27], v[58:59]
	v_fma_f64 v[64:65], v[6:7], v[26:27], -v[28:29]
	scratch_load_b128 v[26:29], off, off offset:912
	ds_load_b128 v[6:9], v1 offset:1808
	v_add_f64 v[52:53], v[52:53], v[54:55]
	v_add_f64 v[56:57], v[56:57], v[62:63]
	v_fma_f64 v[60:61], v[181:182], v[34:35], v[60:61]
	v_fma_f64 v[62:63], v[179:180], v[34:35], -v[36:37]
	ds_load_b128 v[179:182], v1 offset:1856
	s_waitcnt vmcnt(8) lgkmcnt(1)
	v_mul_f64 v[54:55], v[6:7], v[20:21]
	v_mul_f64 v[20:21], v[8:9], v[20:21]
	scratch_load_b128 v[34:37], off, off offset:928
	v_add_f64 v[52:53], v[52:53], v[58:59]
	v_add_f64 v[56:57], v[56:57], v[64:65]
	s_waitcnt vmcnt(8)
	v_mul_f64 v[58:59], v[243:244], v[48:49]
	v_mul_f64 v[48:49], v[245:246], v[48:49]
	v_fma_f64 v[54:55], v[8:9], v[18:19], v[54:55]
	v_fma_f64 v[64:65], v[6:7], v[18:19], -v[20:21]
	scratch_load_b128 v[18:21], off, off offset:944
	ds_load_b128 v[6:9], v1 offset:1840
	v_add_f64 v[52:53], v[52:53], v[60:61]
	v_add_f64 v[56:57], v[56:57], v[62:63]
	v_fma_f64 v[58:59], v[245:246], v[46:47], v[58:59]
	v_fma_f64 v[62:63], v[243:244], v[46:47], -v[48:49]
	ds_load_b128 v[243:246], v1 offset:1888
	s_waitcnt vmcnt(8) lgkmcnt(1)
	v_mul_f64 v[60:61], v[6:7], v[12:13]
	v_mul_f64 v[12:13], v[8:9], v[12:13]
	scratch_load_b128 v[46:49], off, off offset:960
	v_add_f64 v[52:53], v[52:53], v[54:55]
	v_add_f64 v[56:57], v[56:57], v[64:65]
	s_waitcnt vmcnt(8)
	v_mul_f64 v[54:55], v[179:180], v[40:41]
	v_mul_f64 v[40:41], v[181:182], v[40:41]
	v_fma_f64 v[60:61], v[8:9], v[10:11], v[60:61]
	v_fma_f64 v[64:65], v[6:7], v[10:11], -v[12:13]
	scratch_load_b128 v[10:13], off, off offset:976
	ds_load_b128 v[6:9], v1 offset:1872
	v_add_f64 v[52:53], v[52:53], v[58:59]
	v_add_f64 v[56:57], v[56:57], v[62:63]
	v_fma_f64 v[54:55], v[181:182], v[38:39], v[54:55]
	v_fma_f64 v[62:63], v[179:180], v[38:39], -v[40:41]
	ds_load_b128 v[179:182], v1 offset:1920
	s_waitcnt vmcnt(8) lgkmcnt(1)
	v_mul_f64 v[58:59], v[6:7], v[44:45]
	v_mul_f64 v[44:45], v[8:9], v[44:45]
	scratch_load_b128 v[38:41], off, off offset:992
	v_add_f64 v[52:53], v[52:53], v[60:61]
	v_add_f64 v[56:57], v[56:57], v[64:65]
	s_waitcnt vmcnt(8)
	v_mul_f64 v[60:61], v[243:244], v[16:17]
	v_mul_f64 v[16:17], v[245:246], v[16:17]
	v_fma_f64 v[58:59], v[8:9], v[42:43], v[58:59]
	v_fma_f64 v[64:65], v[6:7], v[42:43], -v[44:45]
	scratch_load_b128 v[42:45], off, off offset:1008
	ds_load_b128 v[6:9], v1 offset:1904
	v_add_f64 v[52:53], v[52:53], v[54:55]
	v_add_f64 v[56:57], v[56:57], v[62:63]
	s_waitcnt vmcnt(8) lgkmcnt(0)
	v_mul_f64 v[54:55], v[6:7], v[32:33]
	v_mul_f64 v[32:33], v[8:9], v[32:33]
	v_fma_f64 v[60:61], v[245:246], v[14:15], v[60:61]
	v_fma_f64 v[14:15], v[243:244], v[14:15], -v[16:17]
	v_add_f64 v[52:53], v[52:53], v[58:59]
	v_add_f64 v[16:17], v[56:57], v[64:65]
	s_waitcnt vmcnt(7)
	v_mul_f64 v[56:57], v[179:180], v[24:25]
	v_mul_f64 v[24:25], v[181:182], v[24:25]
	v_fma_f64 v[54:55], v[8:9], v[30:31], v[54:55]
	v_fma_f64 v[30:31], v[6:7], v[30:31], -v[32:33]
	v_add_f64 v[52:53], v[52:53], v[60:61]
	v_add_f64 v[32:33], v[16:17], v[14:15]
	ds_load_b128 v[6:9], v1 offset:1936
	ds_load_b128 v[14:17], v1 offset:1952
	v_fma_f64 v[56:57], v[181:182], v[22:23], v[56:57]
	v_fma_f64 v[22:23], v[179:180], v[22:23], -v[24:25]
	s_waitcnt vmcnt(6) lgkmcnt(1)
	v_mul_f64 v[58:59], v[6:7], v[28:29]
	v_mul_f64 v[28:29], v[8:9], v[28:29]
	v_add_f64 v[24:25], v[32:33], v[30:31]
	v_add_f64 v[30:31], v[52:53], v[54:55]
	s_waitcnt vmcnt(5) lgkmcnt(0)
	v_mul_f64 v[32:33], v[14:15], v[36:37]
	v_mul_f64 v[36:37], v[16:17], v[36:37]
	v_fma_f64 v[52:53], v[8:9], v[26:27], v[58:59]
	v_fma_f64 v[26:27], v[6:7], v[26:27], -v[28:29]
	v_add_f64 v[28:29], v[24:25], v[22:23]
	v_add_f64 v[30:31], v[30:31], v[56:57]
	ds_load_b128 v[6:9], v1 offset:1968
	ds_load_b128 v[22:25], v1 offset:1984
	v_fma_f64 v[16:17], v[16:17], v[34:35], v[32:33]
	v_fma_f64 v[14:15], v[14:15], v[34:35], -v[36:37]
	s_waitcnt vmcnt(4) lgkmcnt(1)
	v_mul_f64 v[54:55], v[6:7], v[20:21]
	v_mul_f64 v[20:21], v[8:9], v[20:21]
	s_waitcnt vmcnt(3) lgkmcnt(0)
	v_mul_f64 v[32:33], v[24:25], v[48:49]
	v_add_f64 v[26:27], v[28:29], v[26:27]
	v_add_f64 v[28:29], v[30:31], v[52:53]
	v_mul_f64 v[30:31], v[22:23], v[48:49]
	v_fma_f64 v[34:35], v[8:9], v[18:19], v[54:55]
	v_fma_f64 v[18:19], v[6:7], v[18:19], -v[20:21]
	v_fma_f64 v[22:23], v[22:23], v[46:47], -v[32:33]
	v_add_f64 v[20:21], v[26:27], v[14:15]
	v_add_f64 v[26:27], v[28:29], v[16:17]
	ds_load_b128 v[6:9], v1 offset:2000
	ds_load_b128 v[14:17], v1 offset:2016
	v_fma_f64 v[24:25], v[24:25], v[46:47], v[30:31]
	s_waitcnt vmcnt(2) lgkmcnt(1)
	v_mul_f64 v[28:29], v[6:7], v[12:13]
	v_mul_f64 v[12:13], v[8:9], v[12:13]
	s_waitcnt vmcnt(1) lgkmcnt(0)
	v_mul_f64 v[30:31], v[16:17], v[40:41]
	v_add_f64 v[18:19], v[20:21], v[18:19]
	v_add_f64 v[20:21], v[26:27], v[34:35]
	v_mul_f64 v[26:27], v[14:15], v[40:41]
	v_fma_f64 v[28:29], v[8:9], v[10:11], v[28:29]
	v_fma_f64 v[10:11], v[6:7], v[10:11], -v[12:13]
	ds_load_b128 v[6:9], v1 offset:2032
	v_fma_f64 v[14:15], v[14:15], v[38:39], -v[30:31]
	v_add_f64 v[12:13], v[18:19], v[22:23]
	v_add_f64 v[18:19], v[20:21], v[24:25]
	v_fma_f64 v[16:17], v[16:17], v[38:39], v[26:27]
	s_waitcnt vmcnt(0) lgkmcnt(0)
	v_mul_f64 v[20:21], v[6:7], v[44:45]
	v_mul_f64 v[22:23], v[8:9], v[44:45]
	v_add_f64 v[10:11], v[12:13], v[10:11]
	v_add_f64 v[12:13], v[18:19], v[28:29]
	s_delay_alu instid0(VALU_DEP_4) | instskip(NEXT) | instid1(VALU_DEP_4)
	v_fma_f64 v[8:9], v[8:9], v[42:43], v[20:21]
	v_fma_f64 v[6:7], v[6:7], v[42:43], -v[22:23]
	s_delay_alu instid0(VALU_DEP_4) | instskip(NEXT) | instid1(VALU_DEP_4)
	v_add_f64 v[10:11], v[10:11], v[14:15]
	v_add_f64 v[12:13], v[12:13], v[16:17]
	s_delay_alu instid0(VALU_DEP_2) | instskip(NEXT) | instid1(VALU_DEP_2)
	v_add_f64 v[6:7], v[10:11], v[6:7]
	v_add_f64 v[8:9], v[12:13], v[8:9]
	s_delay_alu instid0(VALU_DEP_2) | instskip(NEXT) | instid1(VALU_DEP_2)
	v_add_f64 v[2:3], v[2:3], -v[6:7]
	v_add_f64 v[4:5], v[4:5], -v[8:9]
	scratch_store_b128 off, v[2:5], off offset:32
	v_cmpx_lt_u32_e32 1, v178
	s_cbranch_execz .LBB127_406
; %bb.405:
	v_add_nc_u32_e64 v2, 0, 16
	v_mov_b32_e32 v3, v1
	v_mov_b32_e32 v4, v1
	scratch_load_b128 v[5:8], v2, off
	v_mov_b32_e32 v2, v1
	scratch_store_b128 off, v[1:4], off offset:16
	s_waitcnt vmcnt(0)
	ds_store_b128 v255, v[5:8]
.LBB127_406:
	s_or_b32 exec_lo, exec_lo, s2
	s_waitcnt lgkmcnt(0)
	s_waitcnt_vscnt null, 0x0
	s_barrier
	buffer_gl0_inv
	s_clause 0x8
	scratch_load_b128 v[34:37], off, off offset:32
	scratch_load_b128 v[38:41], off, off offset:48
	;; [unrolled: 1-line block ×9, first 2 shown]
	ds_load_b128 v[46:49], v1 offset:1056
	ds_load_b128 v[42:45], v1 offset:1072
	s_clause 0x1
	scratch_load_b128 v[2:5], off, off offset:16
	scratch_load_b128 v[179:182], off, off offset:176
	s_mov_b32 s2, exec_lo
	ds_load_b128 v[243:246], v1 offset:1104
	ds_load_b128 v[247:250], v1 offset:1232
	s_waitcnt vmcnt(10) lgkmcnt(3)
	v_mul_f64 v[52:53], v[48:49], v[36:37]
	v_mul_f64 v[36:37], v[46:47], v[36:37]
	s_waitcnt vmcnt(9) lgkmcnt(2)
	v_mul_f64 v[54:55], v[42:43], v[40:41]
	v_mul_f64 v[40:41], v[44:45], v[40:41]
	s_waitcnt vmcnt(7) lgkmcnt(1)
	v_mul_f64 v[60:61], v[245:246], v[28:29]
	v_fma_f64 v[52:53], v[46:47], v[34:35], -v[52:53]
	v_fma_f64 v[56:57], v[48:49], v[34:35], v[36:37]
	ds_load_b128 v[34:37], v1 offset:1088
	scratch_load_b128 v[46:49], off, off offset:192
	v_fma_f64 v[44:45], v[44:45], v[38:39], v[54:55]
	v_fma_f64 v[42:43], v[42:43], v[38:39], -v[40:41]
	scratch_load_b128 v[38:41], off, off offset:208
	v_fma_f64 v[60:61], v[243:244], v[26:27], -v[60:61]
	s_waitcnt lgkmcnt(0)
	v_mul_f64 v[58:59], v[34:35], v[32:33]
	v_mul_f64 v[32:33], v[36:37], v[32:33]
	v_add_f64 v[52:53], v[52:53], 0
	v_add_f64 v[54:55], v[56:57], 0
	v_mul_f64 v[56:57], v[243:244], v[28:29]
	v_fma_f64 v[36:37], v[36:37], v[30:31], v[58:59]
	v_fma_f64 v[58:59], v[34:35], v[30:31], -v[32:33]
	ds_load_b128 v[28:31], v1 offset:1120
	scratch_load_b128 v[32:35], off, off offset:224
	v_add_f64 v[52:53], v[52:53], v[42:43]
	v_add_f64 v[54:55], v[54:55], v[44:45]
	ds_load_b128 v[42:45], v1 offset:1136
	v_fma_f64 v[56:57], v[245:246], v[26:27], v[56:57]
	ds_load_b128 v[243:246], v1 offset:1168
	s_waitcnt vmcnt(9) lgkmcnt(2)
	v_mul_f64 v[62:63], v[28:29], v[24:25]
	v_mul_f64 v[64:65], v[30:31], v[24:25]
	scratch_load_b128 v[24:27], off, off offset:240
	v_add_f64 v[52:53], v[52:53], v[58:59]
	v_add_f64 v[36:37], v[54:55], v[36:37]
	s_waitcnt vmcnt(9) lgkmcnt(1)
	v_mul_f64 v[54:55], v[42:43], v[20:21]
	v_mul_f64 v[58:59], v[44:45], v[20:21]
	v_fma_f64 v[62:63], v[30:31], v[22:23], v[62:63]
	v_fma_f64 v[64:65], v[28:29], v[22:23], -v[64:65]
	ds_load_b128 v[20:23], v1 offset:1152
	scratch_load_b128 v[28:31], off, off offset:256
	v_add_f64 v[52:53], v[52:53], v[60:61]
	v_add_f64 v[36:37], v[36:37], v[56:57]
	s_waitcnt vmcnt(9) lgkmcnt(0)
	v_mul_f64 v[56:57], v[20:21], v[16:17]
	v_mul_f64 v[60:61], v[22:23], v[16:17]
	v_fma_f64 v[44:45], v[44:45], v[18:19], v[54:55]
	v_fma_f64 v[42:43], v[42:43], v[18:19], -v[58:59]
	scratch_load_b128 v[16:19], off, off offset:272
	s_waitcnt vmcnt(9)
	v_mul_f64 v[54:55], v[243:244], v[12:13]
	v_mul_f64 v[58:59], v[245:246], v[12:13]
	v_add_f64 v[52:53], v[52:53], v[64:65]
	v_add_f64 v[36:37], v[36:37], v[62:63]
	v_fma_f64 v[56:57], v[22:23], v[14:15], v[56:57]
	v_fma_f64 v[60:61], v[20:21], v[14:15], -v[60:61]
	ds_load_b128 v[12:15], v1 offset:1184
	scratch_load_b128 v[20:23], off, off offset:288
	v_fma_f64 v[54:55], v[245:246], v[10:11], v[54:55]
	v_fma_f64 v[58:59], v[243:244], v[10:11], -v[58:59]
	scratch_load_b128 v[243:246], off, off offset:320
	v_add_f64 v[52:53], v[52:53], v[42:43]
	v_add_f64 v[36:37], v[36:37], v[44:45]
	ds_load_b128 v[42:45], v1 offset:1200
	s_waitcnt vmcnt(10) lgkmcnt(1)
	v_mul_f64 v[62:63], v[12:13], v[8:9]
	v_mul_f64 v[64:65], v[14:15], v[8:9]
	scratch_load_b128 v[8:11], off, off offset:304
	v_add_f64 v[52:53], v[52:53], v[60:61]
	v_add_f64 v[36:37], v[36:37], v[56:57]
	s_waitcnt vmcnt(9) lgkmcnt(0)
	v_mul_f64 v[56:57], v[42:43], v[181:182]
	v_mul_f64 v[60:61], v[44:45], v[181:182]
	v_fma_f64 v[62:63], v[14:15], v[6:7], v[62:63]
	v_fma_f64 v[6:7], v[12:13], v[6:7], -v[64:65]
	ds_load_b128 v[12:15], v1 offset:1216
	v_add_f64 v[52:53], v[52:53], v[58:59]
	v_add_f64 v[36:37], v[36:37], v[54:55]
	v_fma_f64 v[56:57], v[44:45], v[179:180], v[56:57]
	v_fma_f64 v[58:59], v[42:43], v[179:180], -v[60:61]
	scratch_load_b128 v[42:45], off, off offset:336
	ds_load_b128 v[179:182], v1 offset:1264
	s_waitcnt vmcnt(9) lgkmcnt(1)
	v_mul_f64 v[54:55], v[12:13], v[48:49]
	v_mul_f64 v[48:49], v[14:15], v[48:49]
	v_add_f64 v[6:7], v[52:53], v[6:7]
	v_add_f64 v[36:37], v[36:37], v[62:63]
	s_waitcnt vmcnt(8)
	v_mul_f64 v[52:53], v[247:248], v[40:41]
	v_mul_f64 v[40:41], v[249:250], v[40:41]
	v_fma_f64 v[54:55], v[14:15], v[46:47], v[54:55]
	v_fma_f64 v[60:61], v[12:13], v[46:47], -v[48:49]
	ds_load_b128 v[12:15], v1 offset:1248
	scratch_load_b128 v[46:49], off, off offset:352
	v_add_f64 v[6:7], v[6:7], v[58:59]
	v_add_f64 v[36:37], v[36:37], v[56:57]
	v_fma_f64 v[52:53], v[249:250], v[38:39], v[52:53]
	s_waitcnt vmcnt(8) lgkmcnt(0)
	v_mul_f64 v[56:57], v[12:13], v[34:35]
	v_mul_f64 v[58:59], v[14:15], v[34:35]
	v_fma_f64 v[38:39], v[247:248], v[38:39], -v[40:41]
	ds_load_b128 v[247:250], v1 offset:1296
	v_add_f64 v[6:7], v[6:7], v[60:61]
	v_add_f64 v[40:41], v[36:37], v[54:55]
	scratch_load_b128 v[34:37], off, off offset:368
	s_waitcnt vmcnt(8)
	v_mul_f64 v[54:55], v[179:180], v[26:27]
	v_mul_f64 v[26:27], v[181:182], v[26:27]
	v_fma_f64 v[56:57], v[14:15], v[32:33], v[56:57]
	v_fma_f64 v[32:33], v[12:13], v[32:33], -v[58:59]
	ds_load_b128 v[12:15], v1 offset:1280
	s_waitcnt vmcnt(7) lgkmcnt(0)
	v_mul_f64 v[58:59], v[12:13], v[30:31]
	v_mul_f64 v[30:31], v[14:15], v[30:31]
	v_add_f64 v[6:7], v[6:7], v[38:39]
	v_add_f64 v[52:53], v[40:41], v[52:53]
	scratch_load_b128 v[38:41], off, off offset:384
	v_fma_f64 v[54:55], v[181:182], v[24:25], v[54:55]
	v_fma_f64 v[60:61], v[179:180], v[24:25], -v[26:27]
	scratch_load_b128 v[24:27], off, off offset:400
	ds_load_b128 v[179:182], v1 offset:1328
	v_add_f64 v[6:7], v[6:7], v[32:33]
	v_add_f64 v[32:33], v[52:53], v[56:57]
	s_waitcnt vmcnt(8)
	v_mul_f64 v[52:53], v[247:248], v[18:19]
	v_mul_f64 v[18:19], v[249:250], v[18:19]
	v_fma_f64 v[56:57], v[14:15], v[28:29], v[58:59]
	v_fma_f64 v[58:59], v[12:13], v[28:29], -v[30:31]
	ds_load_b128 v[12:15], v1 offset:1312
	scratch_load_b128 v[28:31], off, off offset:416
	v_add_f64 v[6:7], v[6:7], v[60:61]
	v_add_f64 v[32:33], v[32:33], v[54:55]
	s_waitcnt vmcnt(8) lgkmcnt(0)
	v_mul_f64 v[54:55], v[12:13], v[22:23]
	v_mul_f64 v[22:23], v[14:15], v[22:23]
	v_fma_f64 v[52:53], v[249:250], v[16:17], v[52:53]
	v_fma_f64 v[60:61], v[247:248], v[16:17], -v[18:19]
	scratch_load_b128 v[16:19], off, off offset:432
	ds_load_b128 v[247:250], v1 offset:1360
	v_add_f64 v[6:7], v[6:7], v[58:59]
	v_add_f64 v[32:33], v[32:33], v[56:57]
	s_waitcnt vmcnt(7)
	v_mul_f64 v[56:57], v[179:180], v[10:11]
	v_mul_f64 v[58:59], v[181:182], v[10:11]
	v_fma_f64 v[14:15], v[14:15], v[20:21], v[54:55]
	v_fma_f64 v[54:55], v[12:13], v[20:21], -v[22:23]
	ds_load_b128 v[10:13], v1 offset:1344
	scratch_load_b128 v[20:23], off, off offset:448
	v_add_f64 v[6:7], v[6:7], v[60:61]
	v_add_f64 v[32:33], v[32:33], v[52:53]
	s_waitcnt lgkmcnt(0)
	v_mul_f64 v[52:53], v[10:11], v[245:246]
	v_mul_f64 v[60:61], v[12:13], v[245:246]
	v_fma_f64 v[56:57], v[181:182], v[8:9], v[56:57]
	v_fma_f64 v[58:59], v[179:180], v[8:9], -v[58:59]
	scratch_load_b128 v[179:182], off, off offset:480
	v_add_f64 v[54:55], v[6:7], v[54:55]
	v_add_f64 v[14:15], v[32:33], v[14:15]
	scratch_load_b128 v[6:9], off, off offset:464
	s_waitcnt vmcnt(9)
	v_mul_f64 v[32:33], v[247:248], v[44:45]
	v_mul_f64 v[44:45], v[249:250], v[44:45]
	v_fma_f64 v[52:53], v[12:13], v[243:244], v[52:53]
	v_fma_f64 v[60:61], v[10:11], v[243:244], -v[60:61]
	ds_load_b128 v[10:13], v1 offset:1376
	ds_load_b128 v[243:246], v1 offset:1392
	v_add_f64 v[54:55], v[54:55], v[58:59]
	v_add_f64 v[14:15], v[14:15], v[56:57]
	s_waitcnt vmcnt(8) lgkmcnt(1)
	v_mul_f64 v[56:57], v[10:11], v[48:49]
	v_mul_f64 v[48:49], v[12:13], v[48:49]
	v_fma_f64 v[32:33], v[249:250], v[42:43], v[32:33]
	v_fma_f64 v[58:59], v[247:248], v[42:43], -v[44:45]
	scratch_load_b128 v[42:45], off, off offset:496
	ds_load_b128 v[247:250], v1 offset:1424
	v_add_f64 v[54:55], v[54:55], v[60:61]
	v_add_f64 v[14:15], v[14:15], v[52:53]
	v_fma_f64 v[56:57], v[12:13], v[46:47], v[56:57]
	v_fma_f64 v[60:61], v[10:11], v[46:47], -v[48:49]
	ds_load_b128 v[10:13], v1 offset:1408
	scratch_load_b128 v[46:49], off, off offset:512
	s_waitcnt vmcnt(9) lgkmcnt(2)
	v_mul_f64 v[52:53], v[243:244], v[36:37]
	v_mul_f64 v[36:37], v[245:246], v[36:37]
	v_add_f64 v[54:55], v[54:55], v[58:59]
	v_add_f64 v[14:15], v[14:15], v[32:33]
	s_waitcnt vmcnt(8) lgkmcnt(0)
	v_mul_f64 v[58:59], v[10:11], v[40:41]
	v_mul_f64 v[40:41], v[12:13], v[40:41]
	v_fma_f64 v[52:53], v[245:246], v[34:35], v[52:53]
	v_fma_f64 v[36:37], v[243:244], v[34:35], -v[36:37]
	scratch_load_b128 v[32:35], off, off offset:528
	ds_load_b128 v[243:246], v1 offset:1456
	v_add_f64 v[54:55], v[54:55], v[60:61]
	v_add_f64 v[14:15], v[14:15], v[56:57]
	s_waitcnt vmcnt(8)
	v_mul_f64 v[56:57], v[247:248], v[26:27]
	v_mul_f64 v[26:27], v[249:250], v[26:27]
	v_fma_f64 v[58:59], v[12:13], v[38:39], v[58:59]
	v_fma_f64 v[40:41], v[10:11], v[38:39], -v[40:41]
	ds_load_b128 v[10:13], v1 offset:1440
	v_add_f64 v[54:55], v[54:55], v[36:37]
	v_add_f64 v[14:15], v[14:15], v[52:53]
	scratch_load_b128 v[36:39], off, off offset:544
	s_waitcnt vmcnt(8) lgkmcnt(0)
	v_mul_f64 v[52:53], v[10:11], v[30:31]
	v_mul_f64 v[30:31], v[12:13], v[30:31]
	v_fma_f64 v[56:57], v[249:250], v[24:25], v[56:57]
	v_fma_f64 v[60:61], v[247:248], v[24:25], -v[26:27]
	scratch_load_b128 v[24:27], off, off offset:560
	ds_load_b128 v[247:250], v1 offset:1488
	v_add_f64 v[40:41], v[54:55], v[40:41]
	v_add_f64 v[14:15], v[14:15], v[58:59]
	s_waitcnt vmcnt(8)
	v_mul_f64 v[54:55], v[243:244], v[18:19]
	v_mul_f64 v[18:19], v[245:246], v[18:19]
	v_fma_f64 v[52:53], v[12:13], v[28:29], v[52:53]
	v_fma_f64 v[58:59], v[10:11], v[28:29], -v[30:31]
	ds_load_b128 v[10:13], v1 offset:1472
	scratch_load_b128 v[28:31], off, off offset:576
	v_add_f64 v[40:41], v[40:41], v[60:61]
	v_add_f64 v[14:15], v[14:15], v[56:57]
	s_waitcnt vmcnt(8) lgkmcnt(0)
	v_mul_f64 v[56:57], v[10:11], v[22:23]
	v_mul_f64 v[22:23], v[12:13], v[22:23]
	v_fma_f64 v[54:55], v[245:246], v[16:17], v[54:55]
	v_fma_f64 v[18:19], v[243:244], v[16:17], -v[18:19]
	ds_load_b128 v[243:246], v1 offset:1520
	v_add_f64 v[40:41], v[40:41], v[58:59]
	v_add_f64 v[52:53], v[14:15], v[52:53]
	scratch_load_b128 v[14:17], off, off offset:592
	v_fma_f64 v[12:13], v[12:13], v[20:21], v[56:57]
	v_fma_f64 v[22:23], v[10:11], v[20:21], -v[22:23]
	s_waitcnt vmcnt(7)
	v_mul_f64 v[58:59], v[247:248], v[8:9]
	v_mul_f64 v[60:61], v[249:250], v[8:9]
	ds_load_b128 v[8:11], v1 offset:1504
	v_add_f64 v[40:41], v[40:41], v[18:19]
	v_add_f64 v[52:53], v[52:53], v[54:55]
	scratch_load_b128 v[18:21], off, off offset:608
	s_waitcnt lgkmcnt(0)
	v_mul_f64 v[54:55], v[8:9], v[181:182]
	v_mul_f64 v[56:57], v[10:11], v[181:182]
	v_fma_f64 v[58:59], v[249:250], v[6:7], v[58:59]
	v_fma_f64 v[6:7], v[247:248], v[6:7], -v[60:61]
	scratch_load_b128 v[247:250], off, off offset:624
	v_add_f64 v[22:23], v[40:41], v[22:23]
	v_add_f64 v[12:13], v[52:53], v[12:13]
	s_waitcnt vmcnt(8)
	v_mul_f64 v[40:41], v[243:244], v[44:45]
	v_mul_f64 v[44:45], v[245:246], v[44:45]
	v_fma_f64 v[52:53], v[10:11], v[179:180], v[54:55]
	v_fma_f64 v[54:55], v[8:9], v[179:180], -v[56:57]
	ds_load_b128 v[179:182], v1 offset:1552
	v_add_f64 v[22:23], v[22:23], v[6:7]
	v_add_f64 v[56:57], v[12:13], v[58:59]
	ds_load_b128 v[6:9], v1 offset:1536
	scratch_load_b128 v[10:13], off, off offset:640
	v_fma_f64 v[60:61], v[245:246], v[42:43], v[40:41]
	v_fma_f64 v[44:45], v[243:244], v[42:43], -v[44:45]
	scratch_load_b128 v[40:43], off, off offset:656
	ds_load_b128 v[243:246], v1 offset:1584
	s_waitcnt vmcnt(9) lgkmcnt(1)
	v_mul_f64 v[58:59], v[6:7], v[48:49]
	v_mul_f64 v[48:49], v[8:9], v[48:49]
	v_add_f64 v[22:23], v[22:23], v[54:55]
	v_add_f64 v[52:53], v[56:57], v[52:53]
	s_waitcnt vmcnt(8)
	v_mul_f64 v[54:55], v[179:180], v[34:35]
	v_mul_f64 v[34:35], v[181:182], v[34:35]
	v_fma_f64 v[56:57], v[8:9], v[46:47], v[58:59]
	v_fma_f64 v[48:49], v[6:7], v[46:47], -v[48:49]
	ds_load_b128 v[6:9], v1 offset:1568
	v_add_f64 v[22:23], v[22:23], v[44:45]
	v_add_f64 v[52:53], v[52:53], v[60:61]
	scratch_load_b128 v[44:47], off, off offset:672
	v_fma_f64 v[54:55], v[181:182], v[32:33], v[54:55]
	v_fma_f64 v[60:61], v[179:180], v[32:33], -v[34:35]
	scratch_load_b128 v[32:35], off, off offset:688
	ds_load_b128 v[179:182], v1 offset:1616
	s_waitcnt vmcnt(9) lgkmcnt(1)
	v_mul_f64 v[58:59], v[6:7], v[38:39]
	v_mul_f64 v[38:39], v[8:9], v[38:39]
	v_add_f64 v[22:23], v[22:23], v[48:49]
	v_add_f64 v[48:49], v[52:53], v[56:57]
	s_waitcnt vmcnt(8)
	v_mul_f64 v[52:53], v[243:244], v[26:27]
	v_mul_f64 v[26:27], v[245:246], v[26:27]
	v_fma_f64 v[56:57], v[8:9], v[36:37], v[58:59]
	v_fma_f64 v[58:59], v[6:7], v[36:37], -v[38:39]
	ds_load_b128 v[6:9], v1 offset:1600
	scratch_load_b128 v[36:39], off, off offset:704
	v_add_f64 v[22:23], v[22:23], v[60:61]
	v_add_f64 v[48:49], v[48:49], v[54:55]
	s_waitcnt vmcnt(8) lgkmcnt(0)
	v_mul_f64 v[54:55], v[6:7], v[30:31]
	v_mul_f64 v[30:31], v[8:9], v[30:31]
	v_fma_f64 v[52:53], v[245:246], v[24:25], v[52:53]
	v_fma_f64 v[26:27], v[243:244], v[24:25], -v[26:27]
	ds_load_b128 v[243:246], v1 offset:1648
	v_add_f64 v[58:59], v[22:23], v[58:59]
	scratch_load_b128 v[22:25], off, off offset:720
	v_add_f64 v[48:49], v[48:49], v[56:57]
	v_fma_f64 v[54:55], v[8:9], v[28:29], v[54:55]
	v_fma_f64 v[30:31], v[6:7], v[28:29], -v[30:31]
	ds_load_b128 v[6:9], v1 offset:1632
	s_waitcnt vmcnt(8)
	v_mul_f64 v[56:57], v[179:180], v[16:17]
	v_mul_f64 v[16:17], v[181:182], v[16:17]
	v_add_f64 v[58:59], v[58:59], v[26:27]
	scratch_load_b128 v[26:29], off, off offset:736
	v_add_f64 v[48:49], v[48:49], v[52:53]
	s_waitcnt vmcnt(8) lgkmcnt(0)
	v_mul_f64 v[52:53], v[6:7], v[20:21]
	v_mul_f64 v[20:21], v[8:9], v[20:21]
	v_fma_f64 v[56:57], v[181:182], v[14:15], v[56:57]
	v_fma_f64 v[60:61], v[179:180], v[14:15], -v[16:17]
	scratch_load_b128 v[14:17], off, off offset:752
	ds_load_b128 v[179:182], v1 offset:1680
	v_add_f64 v[30:31], v[58:59], v[30:31]
	s_waitcnt vmcnt(8)
	v_mul_f64 v[58:59], v[245:246], v[249:250]
	v_add_f64 v[48:49], v[48:49], v[54:55]
	v_mul_f64 v[54:55], v[243:244], v[249:250]
	v_fma_f64 v[52:53], v[8:9], v[18:19], v[52:53]
	v_fma_f64 v[62:63], v[6:7], v[18:19], -v[20:21]
	ds_load_b128 v[6:9], v1 offset:1664
	scratch_load_b128 v[18:21], off, off offset:768
	v_add_f64 v[30:31], v[30:31], v[60:61]
	v_fma_f64 v[58:59], v[243:244], v[247:248], -v[58:59]
	v_add_f64 v[48:49], v[48:49], v[56:57]
	v_fma_f64 v[54:55], v[245:246], v[247:248], v[54:55]
	scratch_load_b128 v[243:246], off, off offset:784
	ds_load_b128 v[247:250], v1 offset:1712
	s_waitcnt vmcnt(9) lgkmcnt(1)
	v_mul_f64 v[56:57], v[6:7], v[12:13]
	v_mul_f64 v[12:13], v[8:9], v[12:13]
	v_add_f64 v[30:31], v[30:31], v[62:63]
	v_add_f64 v[48:49], v[48:49], v[52:53]
	s_waitcnt vmcnt(8)
	v_mul_f64 v[52:53], v[179:180], v[42:43]
	v_mul_f64 v[42:43], v[181:182], v[42:43]
	v_fma_f64 v[56:57], v[8:9], v[10:11], v[56:57]
	v_fma_f64 v[60:61], v[6:7], v[10:11], -v[12:13]
	ds_load_b128 v[6:9], v1 offset:1696
	scratch_load_b128 v[10:13], off, off offset:800
	v_add_f64 v[30:31], v[30:31], v[58:59]
	v_add_f64 v[48:49], v[48:49], v[54:55]
	v_fma_f64 v[52:53], v[181:182], v[40:41], v[52:53]
	v_fma_f64 v[58:59], v[179:180], v[40:41], -v[42:43]
	scratch_load_b128 v[40:43], off, off offset:816
	ds_load_b128 v[179:182], v1 offset:1744
	s_waitcnt vmcnt(9) lgkmcnt(1)
	v_mul_f64 v[54:55], v[6:7], v[46:47]
	v_mul_f64 v[46:47], v[8:9], v[46:47]
	v_add_f64 v[30:31], v[30:31], v[60:61]
	v_add_f64 v[48:49], v[48:49], v[56:57]
	s_waitcnt vmcnt(8)
	v_mul_f64 v[56:57], v[247:248], v[34:35]
	v_mul_f64 v[34:35], v[249:250], v[34:35]
	v_fma_f64 v[54:55], v[8:9], v[44:45], v[54:55]
	v_fma_f64 v[60:61], v[6:7], v[44:45], -v[46:47]
	ds_load_b128 v[6:9], v1 offset:1728
	scratch_load_b128 v[44:47], off, off offset:832
	v_add_f64 v[30:31], v[30:31], v[58:59]
	v_add_f64 v[48:49], v[48:49], v[52:53]
	s_waitcnt vmcnt(8) lgkmcnt(0)
	v_mul_f64 v[52:53], v[6:7], v[38:39]
	v_mul_f64 v[38:39], v[8:9], v[38:39]
	v_fma_f64 v[56:57], v[249:250], v[32:33], v[56:57]
	v_fma_f64 v[34:35], v[247:248], v[32:33], -v[34:35]
	ds_load_b128 v[247:250], v1 offset:1776
	v_add_f64 v[58:59], v[30:31], v[60:61]
	scratch_load_b128 v[30:33], off, off offset:848
	v_add_f64 v[48:49], v[48:49], v[54:55]
	v_fma_f64 v[52:53], v[8:9], v[36:37], v[52:53]
	v_fma_f64 v[38:39], v[6:7], v[36:37], -v[38:39]
	ds_load_b128 v[6:9], v1 offset:1760
	s_waitcnt vmcnt(8)
	v_mul_f64 v[54:55], v[179:180], v[24:25]
	v_mul_f64 v[24:25], v[181:182], v[24:25]
	v_add_f64 v[58:59], v[58:59], v[34:35]
	scratch_load_b128 v[34:37], off, off offset:864
	v_add_f64 v[48:49], v[48:49], v[56:57]
	s_waitcnt vmcnt(8) lgkmcnt(0)
	v_mul_f64 v[56:57], v[6:7], v[28:29]
	v_mul_f64 v[28:29], v[8:9], v[28:29]
	v_fma_f64 v[54:55], v[181:182], v[22:23], v[54:55]
	v_fma_f64 v[60:61], v[179:180], v[22:23], -v[24:25]
	scratch_load_b128 v[22:25], off, off offset:880
	ds_load_b128 v[179:182], v1 offset:1808
	v_add_f64 v[38:39], v[58:59], v[38:39]
	v_add_f64 v[48:49], v[48:49], v[52:53]
	s_waitcnt vmcnt(8)
	v_mul_f64 v[52:53], v[247:248], v[16:17]
	v_mul_f64 v[16:17], v[249:250], v[16:17]
	v_fma_f64 v[56:57], v[8:9], v[26:27], v[56:57]
	v_fma_f64 v[58:59], v[6:7], v[26:27], -v[28:29]
	ds_load_b128 v[6:9], v1 offset:1792
	scratch_load_b128 v[26:29], off, off offset:896
	v_add_f64 v[38:39], v[38:39], v[60:61]
	v_add_f64 v[48:49], v[48:49], v[54:55]
	s_waitcnt vmcnt(8) lgkmcnt(0)
	v_mul_f64 v[54:55], v[6:7], v[20:21]
	v_mul_f64 v[20:21], v[8:9], v[20:21]
	v_fma_f64 v[52:53], v[249:250], v[14:15], v[52:53]
	v_fma_f64 v[60:61], v[247:248], v[14:15], -v[16:17]
	scratch_load_b128 v[14:17], off, off offset:912
	ds_load_b128 v[249:252], v1 offset:1872
	v_add_f64 v[38:39], v[38:39], v[58:59]
	s_waitcnt vmcnt(8)
	v_mul_f64 v[58:59], v[181:182], v[245:246]
	v_add_f64 v[48:49], v[48:49], v[56:57]
	v_mul_f64 v[56:57], v[179:180], v[245:246]
	v_fma_f64 v[54:55], v[8:9], v[18:19], v[54:55]
	v_fma_f64 v[62:63], v[6:7], v[18:19], -v[20:21]
	ds_load_b128 v[6:9], v1 offset:1824
	ds_load_b128 v[245:248], v1 offset:1840
	scratch_load_b128 v[18:21], off, off offset:928
	v_add_f64 v[38:39], v[38:39], v[60:61]
	v_fma_f64 v[58:59], v[179:180], v[243:244], -v[58:59]
	v_add_f64 v[48:49], v[48:49], v[52:53]
	s_waitcnt vmcnt(8) lgkmcnt(1)
	v_mul_f64 v[52:53], v[6:7], v[12:13]
	v_mul_f64 v[12:13], v[8:9], v[12:13]
	v_fma_f64 v[56:57], v[181:182], v[243:244], v[56:57]
	scratch_load_b128 v[179:182], off, off offset:944
	v_add_f64 v[38:39], v[38:39], v[62:63]
	v_add_f64 v[48:49], v[48:49], v[54:55]
	s_waitcnt vmcnt(8) lgkmcnt(0)
	v_mul_f64 v[54:55], v[245:246], v[42:43]
	v_mul_f64 v[42:43], v[247:248], v[42:43]
	v_fma_f64 v[52:53], v[8:9], v[10:11], v[52:53]
	v_fma_f64 v[60:61], v[6:7], v[10:11], -v[12:13]
	ds_load_b128 v[6:9], v1 offset:1856
	scratch_load_b128 v[10:13], off, off offset:960
	v_add_f64 v[38:39], v[38:39], v[58:59]
	v_add_f64 v[48:49], v[48:49], v[56:57]
	s_waitcnt vmcnt(8) lgkmcnt(0)
	v_mul_f64 v[56:57], v[6:7], v[46:47]
	v_mul_f64 v[46:47], v[8:9], v[46:47]
	v_fma_f64 v[54:55], v[247:248], v[40:41], v[54:55]
	v_fma_f64 v[42:43], v[245:246], v[40:41], -v[42:43]
	v_add_f64 v[58:59], v[38:39], v[60:61]
	scratch_load_b128 v[38:41], off, off offset:976
	v_add_f64 v[48:49], v[48:49], v[52:53]
	v_fma_f64 v[56:57], v[8:9], v[44:45], v[56:57]
	v_fma_f64 v[60:61], v[6:7], v[44:45], -v[46:47]
	ds_load_b128 v[6:9], v1 offset:1888
	s_waitcnt vmcnt(8)
	v_mul_f64 v[52:53], v[249:250], v[32:33]
	v_mul_f64 v[32:33], v[251:252], v[32:33]
	v_add_f64 v[58:59], v[58:59], v[42:43]
	scratch_load_b128 v[42:45], off, off offset:992
	v_add_f64 v[54:55], v[48:49], v[54:55]
	ds_load_b128 v[46:49], v1 offset:1904
	s_waitcnt vmcnt(8) lgkmcnt(1)
	v_mul_f64 v[62:63], v[6:7], v[36:37]
	v_mul_f64 v[36:37], v[8:9], v[36:37]
	v_fma_f64 v[52:53], v[251:252], v[30:31], v[52:53]
	v_fma_f64 v[64:65], v[249:250], v[30:31], -v[32:33]
	scratch_load_b128 v[30:33], off, off offset:1008
	v_add_f64 v[58:59], v[58:59], v[60:61]
	v_add_f64 v[54:55], v[54:55], v[56:57]
	s_waitcnt vmcnt(8) lgkmcnt(0)
	v_mul_f64 v[56:57], v[46:47], v[24:25]
	v_mul_f64 v[24:25], v[48:49], v[24:25]
	v_fma_f64 v[60:61], v[8:9], v[34:35], v[62:63]
	v_fma_f64 v[62:63], v[6:7], v[34:35], -v[36:37]
	ds_load_b128 v[6:9], v1 offset:1920
	ds_load_b128 v[34:37], v1 offset:1936
	v_add_f64 v[58:59], v[58:59], v[64:65]
	v_add_f64 v[52:53], v[54:55], v[52:53]
	s_waitcnt vmcnt(7) lgkmcnt(1)
	v_mul_f64 v[54:55], v[6:7], v[28:29]
	v_mul_f64 v[28:29], v[8:9], v[28:29]
	v_fma_f64 v[48:49], v[48:49], v[22:23], v[56:57]
	v_fma_f64 v[22:23], v[46:47], v[22:23], -v[24:25]
	v_add_f64 v[24:25], v[58:59], v[62:63]
	v_add_f64 v[46:47], v[52:53], v[60:61]
	s_waitcnt vmcnt(6) lgkmcnt(0)
	v_mul_f64 v[52:53], v[34:35], v[16:17]
	v_mul_f64 v[16:17], v[36:37], v[16:17]
	v_fma_f64 v[54:55], v[8:9], v[26:27], v[54:55]
	v_fma_f64 v[26:27], v[6:7], v[26:27], -v[28:29]
	v_add_f64 v[28:29], v[24:25], v[22:23]
	ds_load_b128 v[6:9], v1 offset:1952
	ds_load_b128 v[22:25], v1 offset:1968
	v_add_f64 v[46:47], v[46:47], v[48:49]
	v_fma_f64 v[36:37], v[36:37], v[14:15], v[52:53]
	v_fma_f64 v[14:15], v[34:35], v[14:15], -v[16:17]
	s_waitcnt vmcnt(5) lgkmcnt(1)
	v_mul_f64 v[48:49], v[6:7], v[20:21]
	v_mul_f64 v[20:21], v[8:9], v[20:21]
	s_waitcnt vmcnt(4) lgkmcnt(0)
	v_mul_f64 v[34:35], v[24:25], v[181:182]
	v_add_f64 v[16:17], v[28:29], v[26:27]
	v_mul_f64 v[28:29], v[22:23], v[181:182]
	v_add_f64 v[26:27], v[46:47], v[54:55]
	v_fma_f64 v[46:47], v[8:9], v[18:19], v[48:49]
	v_fma_f64 v[18:19], v[6:7], v[18:19], -v[20:21]
	v_fma_f64 v[22:23], v[22:23], v[179:180], -v[34:35]
	v_add_f64 v[20:21], v[16:17], v[14:15]
	ds_load_b128 v[6:9], v1 offset:1984
	ds_load_b128 v[14:17], v1 offset:2000
	v_add_f64 v[26:27], v[26:27], v[36:37]
	v_fma_f64 v[24:25], v[24:25], v[179:180], v[28:29]
	s_waitcnt vmcnt(3) lgkmcnt(1)
	v_mul_f64 v[36:37], v[6:7], v[12:13]
	v_mul_f64 v[12:13], v[8:9], v[12:13]
	v_add_f64 v[18:19], v[20:21], v[18:19]
	v_add_f64 v[20:21], v[26:27], v[46:47]
	s_waitcnt vmcnt(2) lgkmcnt(0)
	v_mul_f64 v[26:27], v[14:15], v[40:41]
	v_mul_f64 v[28:29], v[16:17], v[40:41]
	v_fma_f64 v[34:35], v[8:9], v[10:11], v[36:37]
	v_fma_f64 v[36:37], v[6:7], v[10:11], -v[12:13]
	ds_load_b128 v[6:9], v1 offset:2016
	ds_load_b128 v[10:13], v1 offset:2032
	v_add_f64 v[18:19], v[18:19], v[22:23]
	v_add_f64 v[20:21], v[20:21], v[24:25]
	s_waitcnt vmcnt(1) lgkmcnt(1)
	v_mul_f64 v[22:23], v[6:7], v[44:45]
	v_mul_f64 v[24:25], v[8:9], v[44:45]
	v_fma_f64 v[16:17], v[16:17], v[38:39], v[26:27]
	v_fma_f64 v[14:15], v[14:15], v[38:39], -v[28:29]
	s_waitcnt vmcnt(0) lgkmcnt(0)
	v_mul_f64 v[26:27], v[10:11], v[32:33]
	v_add_f64 v[18:19], v[18:19], v[36:37]
	v_mul_f64 v[28:29], v[12:13], v[32:33]
	v_add_f64 v[20:21], v[20:21], v[34:35]
	v_fma_f64 v[8:9], v[8:9], v[42:43], v[22:23]
	v_fma_f64 v[6:7], v[6:7], v[42:43], -v[24:25]
	v_fma_f64 v[12:13], v[12:13], v[30:31], v[26:27]
	v_add_f64 v[14:15], v[18:19], v[14:15]
	v_fma_f64 v[10:11], v[10:11], v[30:31], -v[28:29]
	v_add_f64 v[16:17], v[20:21], v[16:17]
	s_delay_alu instid0(VALU_DEP_3) | instskip(NEXT) | instid1(VALU_DEP_2)
	v_add_f64 v[6:7], v[14:15], v[6:7]
	v_add_f64 v[8:9], v[16:17], v[8:9]
	s_delay_alu instid0(VALU_DEP_2) | instskip(NEXT) | instid1(VALU_DEP_2)
	v_add_f64 v[6:7], v[6:7], v[10:11]
	v_add_f64 v[8:9], v[8:9], v[12:13]
	s_delay_alu instid0(VALU_DEP_2) | instskip(NEXT) | instid1(VALU_DEP_2)
	v_add_f64 v[1:2], v[2:3], -v[6:7]
	v_add_f64 v[3:4], v[4:5], -v[8:9]
	scratch_store_b128 off, v[1:4], off offset:16
	v_cmpx_ne_u32_e32 0, v178
	s_cbranch_execz .LBB127_408
; %bb.407:
	scratch_load_b128 v[1:4], off, off
	v_mov_b32_e32 v5, 0
	s_delay_alu instid0(VALU_DEP_1)
	v_mov_b32_e32 v6, v5
	v_mov_b32_e32 v7, v5
	;; [unrolled: 1-line block ×3, first 2 shown]
	scratch_store_b128 off, v[5:8], off
	s_waitcnt vmcnt(0)
	ds_store_b128 v255, v[1:4]
.LBB127_408:
	s_or_b32 exec_lo, exec_lo, s2
	v_mov_b32_e32 v1, 0
	v_dual_mov_b32 v2, 0 :: v_dual_mov_b32 v5, 0
	s_movk_i32 s2, 0xfc10
	s_waitcnt lgkmcnt(0)
	s_waitcnt_vscnt null, 0x0
	s_barrier
	v_dual_mov_b32 v4, v2 :: v_dual_mov_b32 v3, v1
	buffer_gl0_inv
.LBB127_409:                            ; =>This Inner Loop Header: Depth=1
	v_readfirstlane_b32 s3, v5
	v_mov_b32_e32 v60, s2
	s_delay_alu instid0(VALU_DEP_2)
	s_add_i32 s3, s3, s2
	ds_load_b128 v[38:41], v60 offset:2048
	ds_load_b128 v[46:49], v60 offset:2064
	s_add_i32 s4, s3, 0x400
	s_addk_i32 s2, 0x90
	scratch_load_b128 v[6:9], off, s4
	s_add_i32 s4, s3, 0x410
	scratch_load_b128 v[10:13], off, s4
	s_add_i32 s4, s3, 0x420
	;; [unrolled: 2-line block ×7, first 2 shown]
	s_addk_i32 s3, 0x480
	s_clause 0x1
	scratch_load_b128 v[34:37], off, s4
	scratch_load_b128 v[42:45], off, s3
	s_cmp_lg_u32 s2, 0
	s_waitcnt vmcnt(8) lgkmcnt(1)
	v_mul_f64 v[52:53], v[40:41], v[8:9]
	v_mul_f64 v[8:9], v[38:39], v[8:9]
	s_waitcnt vmcnt(7) lgkmcnt(0)
	v_mul_f64 v[54:55], v[48:49], v[12:13]
	v_mul_f64 v[12:13], v[46:47], v[12:13]
	s_delay_alu instid0(VALU_DEP_4) | instskip(NEXT) | instid1(VALU_DEP_4)
	v_fma_f64 v[52:53], v[38:39], v[6:7], -v[52:53]
	v_fma_f64 v[56:57], v[40:41], v[6:7], v[8:9]
	ds_load_b128 v[6:9], v60 offset:2080
	ds_load_b128 v[38:41], v60 offset:2096
	v_fma_f64 v[46:47], v[46:47], v[10:11], -v[54:55]
	v_fma_f64 v[10:11], v[48:49], v[10:11], v[12:13]
	s_waitcnt vmcnt(6) lgkmcnt(1)
	v_mul_f64 v[58:59], v[8:9], v[16:17]
	v_mul_f64 v[16:17], v[6:7], v[16:17]
	s_waitcnt vmcnt(5) lgkmcnt(0)
	v_mul_f64 v[12:13], v[40:41], v[20:21]
	v_mul_f64 v[20:21], v[38:39], v[20:21]
	v_add_f64 v[3:4], v[3:4], v[52:53]
	v_add_f64 v[1:2], v[1:2], v[56:57]
	v_fma_f64 v[48:49], v[6:7], v[14:15], -v[58:59]
	v_fma_f64 v[14:15], v[8:9], v[14:15], v[16:17]
	v_fma_f64 v[12:13], v[38:39], v[18:19], -v[12:13]
	v_fma_f64 v[18:19], v[40:41], v[18:19], v[20:21]
	v_add_f64 v[16:17], v[3:4], v[46:47]
	v_add_f64 v[10:11], v[1:2], v[10:11]
	ds_load_b128 v[1:4], v60 offset:2112
	ds_load_b128 v[6:9], v60 offset:2128
	s_waitcnt vmcnt(4) lgkmcnt(1)
	v_mul_f64 v[46:47], v[3:4], v[24:25]
	v_mul_f64 v[24:25], v[1:2], v[24:25]
	s_waitcnt vmcnt(3) lgkmcnt(0)
	v_mul_f64 v[20:21], v[6:7], v[28:29]
	v_add_f64 v[16:17], v[16:17], v[48:49]
	v_add_f64 v[10:11], v[10:11], v[14:15]
	v_mul_f64 v[14:15], v[8:9], v[28:29]
	v_fma_f64 v[28:29], v[1:2], v[22:23], -v[46:47]
	v_fma_f64 v[22:23], v[3:4], v[22:23], v[24:25]
	v_fma_f64 v[8:9], v[8:9], v[26:27], v[20:21]
	v_add_f64 v[16:17], v[16:17], v[12:13]
	v_add_f64 v[18:19], v[10:11], v[18:19]
	ds_load_b128 v[1:4], v60 offset:2144
	ds_load_b128 v[10:13], v60 offset:2160
	v_fma_f64 v[6:7], v[6:7], v[26:27], -v[14:15]
	s_waitcnt vmcnt(2) lgkmcnt(1)
	v_mul_f64 v[24:25], v[3:4], v[32:33]
	v_mul_f64 v[32:33], v[1:2], v[32:33]
	s_waitcnt vmcnt(1) lgkmcnt(0)
	v_mul_f64 v[20:21], v[10:11], v[36:37]
	v_add_f64 v[14:15], v[16:17], v[28:29]
	v_add_f64 v[16:17], v[18:19], v[22:23]
	v_mul_f64 v[18:19], v[12:13], v[36:37]
	v_fma_f64 v[22:23], v[1:2], v[30:31], -v[24:25]
	v_fma_f64 v[24:25], v[3:4], v[30:31], v[32:33]
	ds_load_b128 v[1:4], v60 offset:2176
	v_fma_f64 v[12:13], v[12:13], v[34:35], v[20:21]
	v_add_f64 v[6:7], v[14:15], v[6:7]
	v_add_f64 v[8:9], v[16:17], v[8:9]
	v_fma_f64 v[10:11], v[10:11], v[34:35], -v[18:19]
	s_waitcnt vmcnt(0) lgkmcnt(0)
	v_mul_f64 v[14:15], v[3:4], v[44:45]
	v_mul_f64 v[16:17], v[1:2], v[44:45]
	v_add_f64 v[6:7], v[6:7], v[22:23]
	v_add_f64 v[8:9], v[8:9], v[24:25]
	s_delay_alu instid0(VALU_DEP_4) | instskip(NEXT) | instid1(VALU_DEP_4)
	v_fma_f64 v[1:2], v[1:2], v[42:43], -v[14:15]
	v_fma_f64 v[14:15], v[3:4], v[42:43], v[16:17]
	s_delay_alu instid0(VALU_DEP_4) | instskip(NEXT) | instid1(VALU_DEP_4)
	v_add_f64 v[3:4], v[6:7], v[10:11]
	v_add_f64 v[6:7], v[8:9], v[12:13]
	s_delay_alu instid0(VALU_DEP_2) | instskip(NEXT) | instid1(VALU_DEP_2)
	v_add_f64 v[3:4], v[3:4], v[1:2]
	v_add_f64 v[1:2], v[6:7], v[14:15]
	s_cbranch_scc1 .LBB127_409
; %bb.410:
	scratch_load_b128 v[5:8], off, off
	s_and_b32 vcc_lo, exec_lo, s14
	s_waitcnt vmcnt(0)
	v_add_f64 v[3:4], v[5:6], -v[3:4]
	v_add_f64 v[5:6], v[7:8], -v[1:2]
	scratch_store_b128 off, v[3:6], off
	s_cbranch_vccz .LBB127_538
; %bb.411:
	v_dual_mov_b32 v1, s8 :: v_dual_mov_b32 v2, s9
	s_load_b64 s[0:1], s[0:1], 0x4
	flat_load_b32 v1, v[1:2] offset:248
	v_bfe_u32 v2, v0, 10, 10
	v_bfe_u32 v0, v0, 20, 10
	s_waitcnt lgkmcnt(0)
	s_lshr_b32 s0, s0, 16
	s_delay_alu instid0(VALU_DEP_2) | instskip(SKIP_1) | instid1(SALU_CYCLE_1)
	v_mul_u32_u24_e32 v2, s1, v2
	s_mul_i32 s0, s0, s1
	v_mul_u32_u24_e32 v3, s0, v178
	s_mov_b32 s0, exec_lo
	s_delay_alu instid0(VALU_DEP_1) | instskip(NEXT) | instid1(VALU_DEP_1)
	v_add3_u32 v0, v3, v2, v0
	v_lshl_add_u32 v0, v0, 4, 0x808
	s_waitcnt vmcnt(0)
	v_cmpx_ne_u32_e32 63, v1
	s_cbranch_execz .LBB127_413
; %bb.412:
	scratch_load_b32 v10, off, off offset:1024 ; 4-byte Folded Reload
	v_lshl_add_u32 v9, v1, 4, 0
	s_waitcnt vmcnt(0)
	s_clause 0x1
	scratch_load_b128 v[1:4], v10, off
	scratch_load_b128 v[5:8], v9, off offset:-16
	s_waitcnt vmcnt(1)
	ds_store_2addr_b64 v0, v[1:2], v[3:4] offset1:1
	s_waitcnt vmcnt(0)
	s_clause 0x1
	scratch_store_b128 v10, v[5:8], off
	scratch_store_b128 v9, v[1:4], off offset:-16
.LBB127_413:
	s_or_b32 exec_lo, exec_lo, s0
	v_dual_mov_b32 v1, s8 :: v_dual_mov_b32 v2, s9
	s_mov_b32 s0, exec_lo
	flat_load_b32 v1, v[1:2] offset:244
	s_waitcnt vmcnt(0) lgkmcnt(0)
	v_cmpx_ne_u32_e32 62, v1
	s_cbranch_execz .LBB127_415
; %bb.414:
	scratch_load_b32 v10, off, off offset:1028 ; 4-byte Folded Reload
	v_lshl_add_u32 v9, v1, 4, 0
	s_waitcnt vmcnt(0)
	s_clause 0x1
	scratch_load_b128 v[1:4], v10, off
	scratch_load_b128 v[5:8], v9, off offset:-16
	s_waitcnt vmcnt(1)
	ds_store_2addr_b64 v0, v[1:2], v[3:4] offset1:1
	s_waitcnt vmcnt(0)
	s_clause 0x1
	scratch_store_b128 v10, v[5:8], off
	scratch_store_b128 v9, v[1:4], off offset:-16
.LBB127_415:
	s_or_b32 exec_lo, exec_lo, s0
	v_dual_mov_b32 v1, s8 :: v_dual_mov_b32 v2, s9
	s_mov_b32 s0, exec_lo
	flat_load_b32 v1, v[1:2] offset:240
	s_waitcnt vmcnt(0) lgkmcnt(0)
	;; [unrolled: 21-line block ×41, first 2 shown]
	v_cmpx_ne_u32_e32 22, v1
	s_cbranch_execz .LBB127_495
; %bb.494:
	v_lshl_add_u32 v9, v1, 4, 0
	s_clause 0x1
	scratch_load_b128 v[1:4], v209, off
	scratch_load_b128 v[5:8], v9, off offset:-16
	s_waitcnt vmcnt(1)
	ds_store_2addr_b64 v0, v[1:2], v[3:4] offset1:1
	s_waitcnt vmcnt(0)
	s_clause 0x1
	scratch_store_b128 v209, v[5:8], off
	scratch_store_b128 v9, v[1:4], off offset:-16
.LBB127_495:
	s_or_b32 exec_lo, exec_lo, s0
	v_dual_mov_b32 v1, s8 :: v_dual_mov_b32 v2, s9
	s_mov_b32 s0, exec_lo
	flat_load_b32 v1, v[1:2] offset:80
	s_waitcnt vmcnt(0) lgkmcnt(0)
	v_cmpx_ne_u32_e32 21, v1
	s_cbranch_execz .LBB127_497
; %bb.496:
	v_lshl_add_u32 v9, v1, 4, 0
	s_clause 0x1
	scratch_load_b128 v[1:4], v214, off
	scratch_load_b128 v[5:8], v9, off offset:-16
	s_waitcnt vmcnt(1)
	ds_store_2addr_b64 v0, v[1:2], v[3:4] offset1:1
	s_waitcnt vmcnt(0)
	s_clause 0x1
	scratch_store_b128 v214, v[5:8], off
	scratch_store_b128 v9, v[1:4], off offset:-16
.LBB127_497:
	s_or_b32 exec_lo, exec_lo, s0
	v_dual_mov_b32 v1, s8 :: v_dual_mov_b32 v2, s9
	s_mov_b32 s0, exec_lo
	flat_load_b32 v1, v[1:2] offset:76
	s_waitcnt vmcnt(0) lgkmcnt(0)
	v_cmpx_ne_u32_e32 20, v1
	s_cbranch_execz .LBB127_499
; %bb.498:
	scratch_load_b32 v10, off, off offset:1140 ; 4-byte Folded Reload
	v_lshl_add_u32 v9, v1, 4, 0
	s_waitcnt vmcnt(0)
	s_clause 0x1
	scratch_load_b128 v[1:4], v10, off
	scratch_load_b128 v[5:8], v9, off offset:-16
	s_waitcnt vmcnt(1)
	ds_store_2addr_b64 v0, v[1:2], v[3:4] offset1:1
	s_waitcnt vmcnt(0)
	s_clause 0x1
	scratch_store_b128 v10, v[5:8], off
	scratch_store_b128 v9, v[1:4], off offset:-16
.LBB127_499:
	s_or_b32 exec_lo, exec_lo, s0
	v_dual_mov_b32 v1, s8 :: v_dual_mov_b32 v2, s9
	s_mov_b32 s0, exec_lo
	flat_load_b32 v1, v[1:2] offset:72
	s_waitcnt vmcnt(0) lgkmcnt(0)
	v_cmpx_ne_u32_e32 19, v1
	s_cbranch_execz .LBB127_501
; %bb.500:
	scratch_load_b32 v10, off, off offset:1144 ; 4-byte Folded Reload
	v_lshl_add_u32 v9, v1, 4, 0
	s_waitcnt vmcnt(0)
	s_clause 0x1
	scratch_load_b128 v[1:4], v10, off
	scratch_load_b128 v[5:8], v9, off offset:-16
	s_waitcnt vmcnt(1)
	ds_store_2addr_b64 v0, v[1:2], v[3:4] offset1:1
	s_waitcnt vmcnt(0)
	s_clause 0x1
	scratch_store_b128 v10, v[5:8], off
	scratch_store_b128 v9, v[1:4], off offset:-16
.LBB127_501:
	s_or_b32 exec_lo, exec_lo, s0
	v_dual_mov_b32 v1, s8 :: v_dual_mov_b32 v2, s9
	s_mov_b32 s0, exec_lo
	flat_load_b32 v1, v[1:2] offset:68
	s_waitcnt vmcnt(0) lgkmcnt(0)
	v_cmpx_ne_u32_e32 18, v1
	s_cbranch_execz .LBB127_503
; %bb.502:
	scratch_load_b32 v10, off, off offset:1148 ; 4-byte Folded Reload
	v_lshl_add_u32 v9, v1, 4, 0
	s_waitcnt vmcnt(0)
	s_clause 0x1
	scratch_load_b128 v[1:4], v10, off
	scratch_load_b128 v[5:8], v9, off offset:-16
	s_waitcnt vmcnt(1)
	ds_store_2addr_b64 v0, v[1:2], v[3:4] offset1:1
	s_waitcnt vmcnt(0)
	s_clause 0x1
	scratch_store_b128 v10, v[5:8], off
	scratch_store_b128 v9, v[1:4], off offset:-16
.LBB127_503:
	s_or_b32 exec_lo, exec_lo, s0
	v_dual_mov_b32 v1, s8 :: v_dual_mov_b32 v2, s9
	s_mov_b32 s0, exec_lo
	flat_load_b32 v1, v[1:2] offset:64
	s_waitcnt vmcnt(0) lgkmcnt(0)
	v_cmpx_ne_u32_e32 17, v1
	s_cbranch_execz .LBB127_505
; %bb.504:
	scratch_load_b32 v10, off, off offset:1156 ; 4-byte Folded Reload
	v_lshl_add_u32 v9, v1, 4, 0
	s_waitcnt vmcnt(0)
	s_clause 0x1
	scratch_load_b128 v[1:4], v10, off
	scratch_load_b128 v[5:8], v9, off offset:-16
	s_waitcnt vmcnt(1)
	ds_store_2addr_b64 v0, v[1:2], v[3:4] offset1:1
	s_waitcnt vmcnt(0)
	s_clause 0x1
	scratch_store_b128 v10, v[5:8], off
	scratch_store_b128 v9, v[1:4], off offset:-16
.LBB127_505:
	s_or_b32 exec_lo, exec_lo, s0
	v_dual_mov_b32 v1, s8 :: v_dual_mov_b32 v2, s9
	s_mov_b32 s0, exec_lo
	flat_load_b32 v1, v[1:2] offset:60
	s_waitcnt vmcnt(0) lgkmcnt(0)
	v_cmpx_ne_u32_e32 16, v1
	s_cbranch_execz .LBB127_507
; %bb.506:
	scratch_load_b32 v10, off, off offset:1164 ; 4-byte Folded Reload
	v_lshl_add_u32 v9, v1, 4, 0
	s_waitcnt vmcnt(0)
	s_clause 0x1
	scratch_load_b128 v[1:4], v10, off
	scratch_load_b128 v[5:8], v9, off offset:-16
	s_waitcnt vmcnt(1)
	ds_store_2addr_b64 v0, v[1:2], v[3:4] offset1:1
	s_waitcnt vmcnt(0)
	s_clause 0x1
	scratch_store_b128 v10, v[5:8], off
	scratch_store_b128 v9, v[1:4], off offset:-16
.LBB127_507:
	s_or_b32 exec_lo, exec_lo, s0
	v_dual_mov_b32 v1, s8 :: v_dual_mov_b32 v2, s9
	s_mov_b32 s0, exec_lo
	flat_load_b32 v1, v[1:2] offset:56
	s_waitcnt vmcnt(0) lgkmcnt(0)
	v_cmpx_ne_u32_e32 15, v1
	s_cbranch_execz .LBB127_509
; %bb.508:
	scratch_load_b32 v10, off, off offset:1168 ; 4-byte Folded Reload
	v_lshl_add_u32 v9, v1, 4, 0
	s_waitcnt vmcnt(0)
	s_clause 0x1
	scratch_load_b128 v[1:4], v10, off
	scratch_load_b128 v[5:8], v9, off offset:-16
	s_waitcnt vmcnt(1)
	ds_store_2addr_b64 v0, v[1:2], v[3:4] offset1:1
	s_waitcnt vmcnt(0)
	s_clause 0x1
	scratch_store_b128 v10, v[5:8], off
	scratch_store_b128 v9, v[1:4], off offset:-16
.LBB127_509:
	s_or_b32 exec_lo, exec_lo, s0
	v_dual_mov_b32 v1, s8 :: v_dual_mov_b32 v2, s9
	s_mov_b32 s0, exec_lo
	flat_load_b32 v1, v[1:2] offset:52
	s_waitcnt vmcnt(0) lgkmcnt(0)
	v_cmpx_ne_u32_e32 14, v1
	s_cbranch_execz .LBB127_511
; %bb.510:
	scratch_load_b32 v10, off, off offset:1172 ; 4-byte Folded Reload
	v_lshl_add_u32 v9, v1, 4, 0
	s_waitcnt vmcnt(0)
	s_clause 0x1
	scratch_load_b128 v[1:4], v10, off
	scratch_load_b128 v[5:8], v9, off offset:-16
	s_waitcnt vmcnt(1)
	ds_store_2addr_b64 v0, v[1:2], v[3:4] offset1:1
	s_waitcnt vmcnt(0)
	s_clause 0x1
	scratch_store_b128 v10, v[5:8], off
	scratch_store_b128 v9, v[1:4], off offset:-16
.LBB127_511:
	s_or_b32 exec_lo, exec_lo, s0
	v_dual_mov_b32 v1, s8 :: v_dual_mov_b32 v2, s9
	s_mov_b32 s0, exec_lo
	flat_load_b32 v1, v[1:2] offset:48
	s_waitcnt vmcnt(0) lgkmcnt(0)
	v_cmpx_ne_u32_e32 13, v1
	s_cbranch_execz .LBB127_513
; %bb.512:
	scratch_load_b32 v10, off, off offset:1180 ; 4-byte Folded Reload
	v_lshl_add_u32 v9, v1, 4, 0
	s_waitcnt vmcnt(0)
	s_clause 0x1
	scratch_load_b128 v[1:4], v10, off
	scratch_load_b128 v[5:8], v9, off offset:-16
	s_waitcnt vmcnt(1)
	ds_store_2addr_b64 v0, v[1:2], v[3:4] offset1:1
	s_waitcnt vmcnt(0)
	s_clause 0x1
	scratch_store_b128 v10, v[5:8], off
	scratch_store_b128 v9, v[1:4], off offset:-16
.LBB127_513:
	s_or_b32 exec_lo, exec_lo, s0
	v_dual_mov_b32 v1, s8 :: v_dual_mov_b32 v2, s9
	s_mov_b32 s0, exec_lo
	flat_load_b32 v1, v[1:2] offset:44
	s_waitcnt vmcnt(0) lgkmcnt(0)
	v_cmpx_ne_u32_e32 12, v1
	s_cbranch_execz .LBB127_515
; %bb.514:
	scratch_load_b32 v10, off, off offset:1188 ; 4-byte Folded Reload
	v_lshl_add_u32 v9, v1, 4, 0
	s_waitcnt vmcnt(0)
	s_clause 0x1
	scratch_load_b128 v[1:4], v10, off
	scratch_load_b128 v[5:8], v9, off offset:-16
	s_waitcnt vmcnt(1)
	ds_store_2addr_b64 v0, v[1:2], v[3:4] offset1:1
	s_waitcnt vmcnt(0)
	s_clause 0x1
	scratch_store_b128 v10, v[5:8], off
	scratch_store_b128 v9, v[1:4], off offset:-16
.LBB127_515:
	s_or_b32 exec_lo, exec_lo, s0
	v_dual_mov_b32 v1, s8 :: v_dual_mov_b32 v2, s9
	s_mov_b32 s0, exec_lo
	flat_load_b32 v1, v[1:2] offset:40
	s_waitcnt vmcnt(0) lgkmcnt(0)
	v_cmpx_ne_u32_e32 11, v1
	s_cbranch_execz .LBB127_517
; %bb.516:
	scratch_load_b32 v10, off, off offset:1192 ; 4-byte Folded Reload
	v_lshl_add_u32 v9, v1, 4, 0
	s_waitcnt vmcnt(0)
	s_clause 0x1
	scratch_load_b128 v[1:4], v10, off
	scratch_load_b128 v[5:8], v9, off offset:-16
	s_waitcnt vmcnt(1)
	ds_store_2addr_b64 v0, v[1:2], v[3:4] offset1:1
	s_waitcnt vmcnt(0)
	s_clause 0x1
	scratch_store_b128 v10, v[5:8], off
	scratch_store_b128 v9, v[1:4], off offset:-16
.LBB127_517:
	s_or_b32 exec_lo, exec_lo, s0
	v_dual_mov_b32 v1, s8 :: v_dual_mov_b32 v2, s9
	s_mov_b32 s0, exec_lo
	flat_load_b32 v1, v[1:2] offset:36
	s_waitcnt vmcnt(0) lgkmcnt(0)
	v_cmpx_ne_u32_e32 10, v1
	s_cbranch_execz .LBB127_519
; %bb.518:
	scratch_load_b32 v10, off, off offset:1196 ; 4-byte Folded Reload
	v_lshl_add_u32 v9, v1, 4, 0
	s_waitcnt vmcnt(0)
	s_clause 0x1
	scratch_load_b128 v[1:4], v10, off
	scratch_load_b128 v[5:8], v9, off offset:-16
	s_waitcnt vmcnt(1)
	ds_store_2addr_b64 v0, v[1:2], v[3:4] offset1:1
	s_waitcnt vmcnt(0)
	s_clause 0x1
	scratch_store_b128 v10, v[5:8], off
	scratch_store_b128 v9, v[1:4], off offset:-16
.LBB127_519:
	s_or_b32 exec_lo, exec_lo, s0
	v_dual_mov_b32 v1, s8 :: v_dual_mov_b32 v2, s9
	s_mov_b32 s0, exec_lo
	flat_load_b32 v1, v[1:2] offset:32
	s_waitcnt vmcnt(0) lgkmcnt(0)
	v_cmpx_ne_u32_e32 9, v1
	s_cbranch_execz .LBB127_521
; %bb.520:
	scratch_load_b32 v10, off, off offset:1204 ; 4-byte Folded Reload
	v_lshl_add_u32 v9, v1, 4, 0
	s_waitcnt vmcnt(0)
	s_clause 0x1
	scratch_load_b128 v[1:4], v10, off
	scratch_load_b128 v[5:8], v9, off offset:-16
	s_waitcnt vmcnt(1)
	ds_store_2addr_b64 v0, v[1:2], v[3:4] offset1:1
	s_waitcnt vmcnt(0)
	s_clause 0x1
	scratch_store_b128 v10, v[5:8], off
	scratch_store_b128 v9, v[1:4], off offset:-16
.LBB127_521:
	s_or_b32 exec_lo, exec_lo, s0
	v_dual_mov_b32 v1, s8 :: v_dual_mov_b32 v2, s9
	s_mov_b32 s0, exec_lo
	flat_load_b32 v1, v[1:2] offset:28
	s_waitcnt vmcnt(0) lgkmcnt(0)
	v_cmpx_ne_u32_e32 8, v1
	s_cbranch_execz .LBB127_523
; %bb.522:
	scratch_load_b32 v10, off, off offset:1212 ; 4-byte Folded Reload
	v_lshl_add_u32 v9, v1, 4, 0
	s_waitcnt vmcnt(0)
	s_clause 0x1
	scratch_load_b128 v[1:4], v10, off
	scratch_load_b128 v[5:8], v9, off offset:-16
	s_waitcnt vmcnt(1)
	ds_store_2addr_b64 v0, v[1:2], v[3:4] offset1:1
	s_waitcnt vmcnt(0)
	s_clause 0x1
	scratch_store_b128 v10, v[5:8], off
	scratch_store_b128 v9, v[1:4], off offset:-16
.LBB127_523:
	s_or_b32 exec_lo, exec_lo, s0
	v_dual_mov_b32 v1, s8 :: v_dual_mov_b32 v2, s9
	s_mov_b32 s0, exec_lo
	flat_load_b32 v1, v[1:2] offset:24
	s_waitcnt vmcnt(0) lgkmcnt(0)
	v_cmpx_ne_u32_e32 7, v1
	s_cbranch_execz .LBB127_525
; %bb.524:
	scratch_load_b32 v10, off, off offset:1216 ; 4-byte Folded Reload
	v_lshl_add_u32 v9, v1, 4, 0
	s_waitcnt vmcnt(0)
	s_clause 0x1
	scratch_load_b128 v[1:4], v10, off
	scratch_load_b128 v[5:8], v9, off offset:-16
	s_waitcnt vmcnt(1)
	ds_store_2addr_b64 v0, v[1:2], v[3:4] offset1:1
	s_waitcnt vmcnt(0)
	s_clause 0x1
	scratch_store_b128 v10, v[5:8], off
	scratch_store_b128 v9, v[1:4], off offset:-16
.LBB127_525:
	s_or_b32 exec_lo, exec_lo, s0
	v_dual_mov_b32 v1, s8 :: v_dual_mov_b32 v2, s9
	s_mov_b32 s0, exec_lo
	flat_load_b32 v1, v[1:2] offset:20
	s_waitcnt vmcnt(0) lgkmcnt(0)
	v_cmpx_ne_u32_e32 6, v1
	s_cbranch_execz .LBB127_527
; %bb.526:
	scratch_load_b32 v10, off, off offset:1220 ; 4-byte Folded Reload
	v_lshl_add_u32 v9, v1, 4, 0
	s_waitcnt vmcnt(0)
	s_clause 0x1
	scratch_load_b128 v[1:4], v10, off
	scratch_load_b128 v[5:8], v9, off offset:-16
	s_waitcnt vmcnt(1)
	ds_store_2addr_b64 v0, v[1:2], v[3:4] offset1:1
	s_waitcnt vmcnt(0)
	s_clause 0x1
	scratch_store_b128 v10, v[5:8], off
	scratch_store_b128 v9, v[1:4], off offset:-16
.LBB127_527:
	s_or_b32 exec_lo, exec_lo, s0
	v_dual_mov_b32 v1, s8 :: v_dual_mov_b32 v2, s9
	s_mov_b32 s0, exec_lo
	flat_load_b32 v1, v[1:2] offset:16
	s_waitcnt vmcnt(0) lgkmcnt(0)
	v_cmpx_ne_u32_e32 5, v1
	s_cbranch_execz .LBB127_529
; %bb.528:
	v_add_nc_u32_e64 v10, 0, 64
	v_lshl_add_u32 v9, v1, 4, 0
	s_clause 0x1
	scratch_load_b128 v[1:4], v10, off
	scratch_load_b128 v[5:8], v9, off offset:-16
	s_waitcnt vmcnt(1)
	ds_store_2addr_b64 v0, v[1:2], v[3:4] offset1:1
	s_waitcnt vmcnt(0)
	s_clause 0x1
	scratch_store_b128 v10, v[5:8], off
	scratch_store_b128 v9, v[1:4], off offset:-16
.LBB127_529:
	s_or_b32 exec_lo, exec_lo, s0
	v_dual_mov_b32 v1, s8 :: v_dual_mov_b32 v2, s9
	s_mov_b32 s0, exec_lo
	flat_load_b32 v1, v[1:2] offset:12
	s_waitcnt vmcnt(0) lgkmcnt(0)
	v_cmpx_ne_u32_e32 4, v1
	s_cbranch_execz .LBB127_531
; %bb.530:
	v_add_nc_u32_e64 v10, 0, 48
	v_lshl_add_u32 v9, v1, 4, 0
	s_clause 0x1
	scratch_load_b128 v[1:4], v10, off
	scratch_load_b128 v[5:8], v9, off offset:-16
	s_waitcnt vmcnt(1)
	ds_store_2addr_b64 v0, v[1:2], v[3:4] offset1:1
	s_waitcnt vmcnt(0)
	s_clause 0x1
	scratch_store_b128 v10, v[5:8], off
	scratch_store_b128 v9, v[1:4], off offset:-16
.LBB127_531:
	;; [unrolled: 20-line block ×4, first 2 shown]
	s_or_b32 exec_lo, exec_lo, s0
	v_dual_mov_b32 v1, s8 :: v_dual_mov_b32 v2, s9
	s_mov_b32 s0, exec_lo
	flat_load_b32 v1, v[1:2]
	s_waitcnt vmcnt(0) lgkmcnt(0)
	v_cmpx_ne_u32_e32 1, v1
	s_cbranch_execz .LBB127_537
; %bb.536:
	v_lshl_add_u32 v9, v1, 4, 0
	scratch_load_b128 v[1:4], off, off
	scratch_load_b128 v[5:8], v9, off offset:-16
	s_waitcnt vmcnt(1)
	ds_store_2addr_b64 v0, v[1:2], v[3:4] offset1:1
	s_waitcnt vmcnt(0)
	scratch_store_b128 off, v[5:8], off
	scratch_store_b128 v9, v[1:4], off offset:-16
.LBB127_537:
	s_or_b32 exec_lo, exec_lo, s0
.LBB127_538:
	v_add_nc_u32_e64 v4, 0, 16
	v_add_nc_u32_e64 v8, 0, 32
	;; [unrolled: 1-line block ×4, first 2 shown]
	scratch_load_b128 v[0:3], off, off
	s_clause 0x3
	scratch_load_b128 v[4:7], v4, off
	scratch_load_b128 v[8:11], v8, off
	;; [unrolled: 1-line block ×4, first 2 shown]
	scratch_load_b32 v20, off, off offset:1220 ; 4-byte Folded Reload
	s_waitcnt vmcnt(0)
	scratch_load_b128 v[20:23], v20, off
	scratch_load_b32 v24, off, off offset:1216 ; 4-byte Folded Reload
	s_waitcnt vmcnt(0)
	scratch_load_b128 v[24:27], v24, off
	;; [unrolled: 3-line block ×14, first 2 shown]
	scratch_load_b32 v48, off, off offset:1140 ; 4-byte Folded Reload
	global_store_b128 v[50:51], v[0:3], off
	s_waitcnt vmcnt(0)
	s_clause 0x2
	scratch_load_b128 v[194:197], v48, off
	scratch_load_b128 v[0:3], v214, off
	;; [unrolled: 1-line block ×3, first 2 shown]
	scratch_load_b64 v[52:53], off, off offset:1268 ; 8-byte Folded Reload
	s_waitcnt vmcnt(0)
	global_store_b128 v[52:53], v[4:7], off
	scratch_load_b32 v4, off, off offset:1244 ; 4-byte Folded Reload
	s_waitcnt vmcnt(0)
	scratch_load_b128 v[4:7], v4, off
	scratch_load_b32 v52, off, off offset:1240 ; 4-byte Folded Reload
	s_waitcnt vmcnt(0)
	scratch_load_b128 v[238:241], v52, off
	scratch_load_b64 v[52:53], off, off offset:1260 ; 8-byte Folded Reload
	s_waitcnt vmcnt(0)
	global_store_b128 v[52:53], v[8:11], off
	scratch_load_b32 v8, off, off offset:1236 ; 4-byte Folded Reload
	s_waitcnt vmcnt(0)
	scratch_load_b128 v[8:11], v8, off
	scratch_load_b32 v52, off, off offset:1232 ; 4-byte Folded Reload
	s_waitcnt vmcnt(0)
	scratch_load_b128 v[54:57], v52, off
	;; [unrolled: 9-line block ×21, first 2 shown]
	scratch_load_b64 v[52:53], off, off offset:1420 ; 8-byte Folded Reload
	s_waitcnt vmcnt(0)
	global_store_b128 v[52:53], v[4:7], off
	scratch_load_b64 v[4:5], off, off offset:1428 ; 8-byte Folded Reload
	s_waitcnt vmcnt(0)
	global_store_b128 v[4:5], v[238:241], off
	;; [unrolled: 3-line block ×11, first 2 shown]
	scratch_load_b64 v[4:5], off, off offset:1508 ; 8-byte Folded Reload
	s_waitcnt vmcnt(0)
	s_clause 0x1e
	global_store_b128 v[4:5], v[214:217], off
	global_store_b128 v[118:119], v[28:31], off
	global_store_b128 v[120:121], v[62:65], off
	global_store_b128 v[122:123], v[32:35], off
	global_store_b128 v[124:125], v[205:208], off
	global_store_b128 v[128:129], v[36:39], off
	global_store_b128 v[130:131], v[66:69], off
	global_store_b128 v[132:133], v[40:43], off
	global_store_b128 v[134:135], v[201:204], off
	global_store_b128 v[136:137], v[44:47], off
	global_store_b128 v[138:139], v[70:73], off
	global_store_b128 v[140:141], v[178:181], off
	global_store_b128 v[142:143], v[209:212], off
	global_store_b128 v[144:145], v[74:77], off
	global_store_b128 v[146:147], v[232:235], off
	global_store_b128 v[148:149], v[242:245], off
	global_store_b128 v[150:151], v[246:249], off
	global_store_b128 v[152:153], v[78:81], off
	global_store_b128 v[154:155], v[250:253], off
	global_store_b128 v[156:157], v[182:185], off
	global_store_b128 v[158:159], v[82:85], off
	global_store_b128 v[160:161], v[186:189], off
	global_store_b128 v[162:163], v[86:89], off
	global_store_b128 v[164:165], v[190:193], off
	global_store_b128 v[166:167], v[90:93], off
	global_store_b128 v[168:169], v[194:197], off
	global_store_b128 v[170:171], v[94:97], off
	global_store_b128 v[172:173], v[0:3], off
	global_store_b128 v[174:175], v[98:101], off
	global_store_b128 v[176:177], v[48:51], off
	global_store_b128 v[126:127], v[102:105], off
	s_endpgm
	.section	.rodata,"a",@progbits
	.p2align	6, 0x0
	.amdhsa_kernel _ZN9rocsolver6v33100L18getri_kernel_smallILi64E19rocblas_complex_numIdEPKPS3_EEvT1_iilPiilS8_bb
		.amdhsa_group_segment_fixed_size 3080
		.amdhsa_private_segment_fixed_size 1520
		.amdhsa_kernarg_size 60
		.amdhsa_user_sgpr_count 15
		.amdhsa_user_sgpr_dispatch_ptr 1
		.amdhsa_user_sgpr_queue_ptr 0
		.amdhsa_user_sgpr_kernarg_segment_ptr 1
		.amdhsa_user_sgpr_dispatch_id 0
		.amdhsa_user_sgpr_private_segment_size 0
		.amdhsa_wavefront_size32 1
		.amdhsa_uses_dynamic_stack 0
		.amdhsa_enable_private_segment 1
		.amdhsa_system_sgpr_workgroup_id_x 1
		.amdhsa_system_sgpr_workgroup_id_y 0
		.amdhsa_system_sgpr_workgroup_id_z 0
		.amdhsa_system_sgpr_workgroup_info 0
		.amdhsa_system_vgpr_workitem_id 2
		.amdhsa_next_free_vgpr 256
		.amdhsa_next_free_sgpr 70
		.amdhsa_reserve_vcc 1
		.amdhsa_float_round_mode_32 0
		.amdhsa_float_round_mode_16_64 0
		.amdhsa_float_denorm_mode_32 3
		.amdhsa_float_denorm_mode_16_64 3
		.amdhsa_dx10_clamp 1
		.amdhsa_ieee_mode 1
		.amdhsa_fp16_overflow 0
		.amdhsa_workgroup_processor_mode 1
		.amdhsa_memory_ordered 1
		.amdhsa_forward_progress 0
		.amdhsa_shared_vgpr_count 0
		.amdhsa_exception_fp_ieee_invalid_op 0
		.amdhsa_exception_fp_denorm_src 0
		.amdhsa_exception_fp_ieee_div_zero 0
		.amdhsa_exception_fp_ieee_overflow 0
		.amdhsa_exception_fp_ieee_underflow 0
		.amdhsa_exception_fp_ieee_inexact 0
		.amdhsa_exception_int_div_zero 0
	.end_amdhsa_kernel
	.section	.text._ZN9rocsolver6v33100L18getri_kernel_smallILi64E19rocblas_complex_numIdEPKPS3_EEvT1_iilPiilS8_bb,"axG",@progbits,_ZN9rocsolver6v33100L18getri_kernel_smallILi64E19rocblas_complex_numIdEPKPS3_EEvT1_iilPiilS8_bb,comdat
.Lfunc_end127:
	.size	_ZN9rocsolver6v33100L18getri_kernel_smallILi64E19rocblas_complex_numIdEPKPS3_EEvT1_iilPiilS8_bb, .Lfunc_end127-_ZN9rocsolver6v33100L18getri_kernel_smallILi64E19rocblas_complex_numIdEPKPS3_EEvT1_iilPiilS8_bb
                                        ; -- End function
	.section	.AMDGPU.csdata,"",@progbits
; Kernel info:
; codeLenInByte = 185720
; NumSgprs: 72
; NumVgprs: 256
; ScratchSize: 1520
; MemoryBound: 0
; FloatMode: 240
; IeeeMode: 1
; LDSByteSize: 3080 bytes/workgroup (compile time only)
; SGPRBlocks: 8
; VGPRBlocks: 31
; NumSGPRsForWavesPerEU: 72
; NumVGPRsForWavesPerEU: 256
; Occupancy: 5
; WaveLimiterHint : 1
; COMPUTE_PGM_RSRC2:SCRATCH_EN: 1
; COMPUTE_PGM_RSRC2:USER_SGPR: 15
; COMPUTE_PGM_RSRC2:TRAP_HANDLER: 0
; COMPUTE_PGM_RSRC2:TGID_X_EN: 1
; COMPUTE_PGM_RSRC2:TGID_Y_EN: 0
; COMPUTE_PGM_RSRC2:TGID_Z_EN: 0
; COMPUTE_PGM_RSRC2:TIDIG_COMP_CNT: 2
	.text
	.p2alignl 7, 3214868480
	.fill 96, 4, 3214868480
	.type	__hip_cuid_bd4075f02945b7e5,@object ; @__hip_cuid_bd4075f02945b7e5
	.section	.bss,"aw",@nobits
	.globl	__hip_cuid_bd4075f02945b7e5
__hip_cuid_bd4075f02945b7e5:
	.byte	0                               ; 0x0
	.size	__hip_cuid_bd4075f02945b7e5, 1

	.ident	"AMD clang version 19.0.0git (https://github.com/RadeonOpenCompute/llvm-project roc-6.4.0 25133 c7fe45cf4b819c5991fe208aaa96edf142730f1d)"
	.section	".note.GNU-stack","",@progbits
	.addrsig
	.addrsig_sym __hip_cuid_bd4075f02945b7e5
	.amdgpu_metadata
---
amdhsa.kernels:
  - .args:
      - .address_space:  global
        .offset:         0
        .size:           8
        .value_kind:     global_buffer
      - .offset:         8
        .size:           4
        .value_kind:     by_value
      - .offset:         12
        .size:           4
        .value_kind:     by_value
      - .offset:         16
        .size:           8
        .value_kind:     by_value
      - .address_space:  global
        .offset:         24
        .size:           8
        .value_kind:     global_buffer
      - .offset:         32
        .size:           4
        .value_kind:     by_value
      - .offset:         40
        .size:           8
        .value_kind:     by_value
      - .address_space:  global
        .offset:         48
        .size:           8
        .value_kind:     global_buffer
      - .offset:         56
        .size:           1
        .value_kind:     by_value
      - .offset:         57
        .size:           1
        .value_kind:     by_value
    .group_segment_fixed_size: 4
    .kernarg_segment_align: 8
    .kernarg_segment_size: 60
    .language:       OpenCL C
    .language_version:
      - 2
      - 0
    .max_flat_workgroup_size: 64
    .name:           _ZN9rocsolver6v33100L18getri_kernel_smallILi1E19rocblas_complex_numIdEPS3_EEvT1_iilPiilS6_bb
    .private_segment_fixed_size: 0
    .sgpr_count:     18
    .sgpr_spill_count: 0
    .symbol:         _ZN9rocsolver6v33100L18getri_kernel_smallILi1E19rocblas_complex_numIdEPS3_EEvT1_iilPiilS6_bb.kd
    .uniform_work_group_size: 1
    .uses_dynamic_stack: false
    .vgpr_count:     12
    .vgpr_spill_count: 0
    .wavefront_size: 32
    .workgroup_processor_mode: 1
  - .args:
      - .address_space:  global
        .offset:         0
        .size:           8
        .value_kind:     global_buffer
      - .offset:         8
        .size:           4
        .value_kind:     by_value
      - .offset:         12
        .size:           4
        .value_kind:     by_value
      - .offset:         16
        .size:           8
        .value_kind:     by_value
      - .address_space:  global
        .offset:         24
        .size:           8
        .value_kind:     global_buffer
      - .offset:         32
        .size:           4
        .value_kind:     by_value
      - .offset:         40
        .size:           8
        .value_kind:     by_value
      - .address_space:  global
        .offset:         48
        .size:           8
        .value_kind:     global_buffer
      - .offset:         56
        .size:           1
        .value_kind:     by_value
      - .offset:         57
        .size:           1
        .value_kind:     by_value
    .group_segment_fixed_size: 1096
    .kernarg_segment_align: 8
    .kernarg_segment_size: 60
    .language:       OpenCL C
    .language_version:
      - 2
      - 0
    .max_flat_workgroup_size: 64
    .name:           _ZN9rocsolver6v33100L18getri_kernel_smallILi2E19rocblas_complex_numIdEPS3_EEvT1_iilPiilS6_bb
    .private_segment_fixed_size: 48
    .sgpr_count:     26
    .sgpr_spill_count: 0
    .symbol:         _ZN9rocsolver6v33100L18getri_kernel_smallILi2E19rocblas_complex_numIdEPS3_EEvT1_iilPiilS6_bb.kd
    .uniform_work_group_size: 1
    .uses_dynamic_stack: false
    .vgpr_count:     22
    .vgpr_spill_count: 0
    .wavefront_size: 32
    .workgroup_processor_mode: 1
  - .args:
      - .address_space:  global
        .offset:         0
        .size:           8
        .value_kind:     global_buffer
      - .offset:         8
        .size:           4
        .value_kind:     by_value
      - .offset:         12
        .size:           4
        .value_kind:     by_value
      - .offset:         16
        .size:           8
        .value_kind:     by_value
      - .address_space:  global
        .offset:         24
        .size:           8
        .value_kind:     global_buffer
      - .offset:         32
        .size:           4
        .value_kind:     by_value
      - .offset:         40
        .size:           8
        .value_kind:     by_value
      - .address_space:  global
        .offset:         48
        .size:           8
        .value_kind:     global_buffer
      - .offset:         56
        .size:           1
        .value_kind:     by_value
      - .offset:         57
        .size:           1
        .value_kind:     by_value
    .group_segment_fixed_size: 104
    .kernarg_segment_align: 8
    .kernarg_segment_size: 60
    .language:       OpenCL C
    .language_version:
      - 2
      - 0
    .max_flat_workgroup_size: 64
    .name:           _ZN9rocsolver6v33100L18getri_kernel_smallILi3E19rocblas_complex_numIdEPS3_EEvT1_iilPiilS6_bb
    .private_segment_fixed_size: 80
    .sgpr_count:     20
    .sgpr_spill_count: 0
    .symbol:         _ZN9rocsolver6v33100L18getri_kernel_smallILi3E19rocblas_complex_numIdEPS3_EEvT1_iilPiilS6_bb.kd
    .uniform_work_group_size: 1
    .uses_dynamic_stack: false
    .vgpr_count:     33
    .vgpr_spill_count: 0
    .wavefront_size: 32
    .workgroup_processor_mode: 1
  - .args:
      - .address_space:  global
        .offset:         0
        .size:           8
        .value_kind:     global_buffer
      - .offset:         8
        .size:           4
        .value_kind:     by_value
      - .offset:         12
        .size:           4
        .value_kind:     by_value
      - .offset:         16
        .size:           8
        .value_kind:     by_value
      - .address_space:  global
        .offset:         24
        .size:           8
        .value_kind:     global_buffer
      - .offset:         32
        .size:           4
        .value_kind:     by_value
      - .offset:         40
        .size:           8
        .value_kind:     by_value
      - .address_space:  global
        .offset:         48
        .size:           8
        .value_kind:     global_buffer
      - .offset:         56
        .size:           1
        .value_kind:     by_value
      - .offset:         57
        .size:           1
        .value_kind:     by_value
    .group_segment_fixed_size: 1160
    .kernarg_segment_align: 8
    .kernarg_segment_size: 60
    .language:       OpenCL C
    .language_version:
      - 2
      - 0
    .max_flat_workgroup_size: 64
    .name:           _ZN9rocsolver6v33100L18getri_kernel_smallILi4E19rocblas_complex_numIdEPS3_EEvT1_iilPiilS6_bb
    .private_segment_fixed_size: 80
    .sgpr_count:     24
    .sgpr_spill_count: 0
    .symbol:         _ZN9rocsolver6v33100L18getri_kernel_smallILi4E19rocblas_complex_numIdEPS3_EEvT1_iilPiilS6_bb.kd
    .uniform_work_group_size: 1
    .uses_dynamic_stack: false
    .vgpr_count:     42
    .vgpr_spill_count: 0
    .wavefront_size: 32
    .workgroup_processor_mode: 1
  - .args:
      - .address_space:  global
        .offset:         0
        .size:           8
        .value_kind:     global_buffer
      - .offset:         8
        .size:           4
        .value_kind:     by_value
      - .offset:         12
        .size:           4
        .value_kind:     by_value
      - .offset:         16
        .size:           8
        .value_kind:     by_value
      - .address_space:  global
        .offset:         24
        .size:           8
        .value_kind:     global_buffer
      - .offset:         32
        .size:           4
        .value_kind:     by_value
      - .offset:         40
        .size:           8
        .value_kind:     by_value
      - .address_space:  global
        .offset:         48
        .size:           8
        .value_kind:     global_buffer
      - .offset:         56
        .size:           1
        .value_kind:     by_value
      - .offset:         57
        .size:           1
        .value_kind:     by_value
    .group_segment_fixed_size: 1192
    .kernarg_segment_align: 8
    .kernarg_segment_size: 60
    .language:       OpenCL C
    .language_version:
      - 2
      - 0
    .max_flat_workgroup_size: 64
    .name:           _ZN9rocsolver6v33100L18getri_kernel_smallILi5E19rocblas_complex_numIdEPS3_EEvT1_iilPiilS6_bb
    .private_segment_fixed_size: 96
    .sgpr_count:     24
    .sgpr_spill_count: 0
    .symbol:         _ZN9rocsolver6v33100L18getri_kernel_smallILi5E19rocblas_complex_numIdEPS3_EEvT1_iilPiilS6_bb.kd
    .uniform_work_group_size: 1
    .uses_dynamic_stack: false
    .vgpr_count:     54
    .vgpr_spill_count: 0
    .wavefront_size: 32
    .workgroup_processor_mode: 1
  - .args:
      - .address_space:  global
        .offset:         0
        .size:           8
        .value_kind:     global_buffer
      - .offset:         8
        .size:           4
        .value_kind:     by_value
      - .offset:         12
        .size:           4
        .value_kind:     by_value
      - .offset:         16
        .size:           8
        .value_kind:     by_value
      - .address_space:  global
        .offset:         24
        .size:           8
        .value_kind:     global_buffer
      - .offset:         32
        .size:           4
        .value_kind:     by_value
      - .offset:         40
        .size:           8
        .value_kind:     by_value
      - .address_space:  global
        .offset:         48
        .size:           8
        .value_kind:     global_buffer
      - .offset:         56
        .size:           1
        .value_kind:     by_value
      - .offset:         57
        .size:           1
        .value_kind:     by_value
    .group_segment_fixed_size: 1224
    .kernarg_segment_align: 8
    .kernarg_segment_size: 60
    .language:       OpenCL C
    .language_version:
      - 2
      - 0
    .max_flat_workgroup_size: 64
    .name:           _ZN9rocsolver6v33100L18getri_kernel_smallILi6E19rocblas_complex_numIdEPS3_EEvT1_iilPiilS6_bb
    .private_segment_fixed_size: 112
    .sgpr_count:     24
    .sgpr_spill_count: 0
    .symbol:         _ZN9rocsolver6v33100L18getri_kernel_smallILi6E19rocblas_complex_numIdEPS3_EEvT1_iilPiilS6_bb.kd
    .uniform_work_group_size: 1
    .uses_dynamic_stack: false
    .vgpr_count:     60
    .vgpr_spill_count: 0
    .wavefront_size: 32
    .workgroup_processor_mode: 1
  - .args:
      - .address_space:  global
        .offset:         0
        .size:           8
        .value_kind:     global_buffer
      - .offset:         8
        .size:           4
        .value_kind:     by_value
      - .offset:         12
        .size:           4
        .value_kind:     by_value
      - .offset:         16
        .size:           8
        .value_kind:     by_value
      - .address_space:  global
        .offset:         24
        .size:           8
        .value_kind:     global_buffer
      - .offset:         32
        .size:           4
        .value_kind:     by_value
      - .offset:         40
        .size:           8
        .value_kind:     by_value
      - .address_space:  global
        .offset:         48
        .size:           8
        .value_kind:     global_buffer
      - .offset:         56
        .size:           1
        .value_kind:     by_value
      - .offset:         57
        .size:           1
        .value_kind:     by_value
    .group_segment_fixed_size: 1256
    .kernarg_segment_align: 8
    .kernarg_segment_size: 60
    .language:       OpenCL C
    .language_version:
      - 2
      - 0
    .max_flat_workgroup_size: 64
    .name:           _ZN9rocsolver6v33100L18getri_kernel_smallILi7E19rocblas_complex_numIdEPS3_EEvT1_iilPiilS6_bb
    .private_segment_fixed_size: 128
    .sgpr_count:     24
    .sgpr_spill_count: 0
    .symbol:         _ZN9rocsolver6v33100L18getri_kernel_smallILi7E19rocblas_complex_numIdEPS3_EEvT1_iilPiilS6_bb.kd
    .uniform_work_group_size: 1
    .uses_dynamic_stack: false
    .vgpr_count:     68
    .vgpr_spill_count: 0
    .wavefront_size: 32
    .workgroup_processor_mode: 1
  - .args:
      - .address_space:  global
        .offset:         0
        .size:           8
        .value_kind:     global_buffer
      - .offset:         8
        .size:           4
        .value_kind:     by_value
      - .offset:         12
        .size:           4
        .value_kind:     by_value
      - .offset:         16
        .size:           8
        .value_kind:     by_value
      - .address_space:  global
        .offset:         24
        .size:           8
        .value_kind:     global_buffer
      - .offset:         32
        .size:           4
        .value_kind:     by_value
      - .offset:         40
        .size:           8
        .value_kind:     by_value
      - .address_space:  global
        .offset:         48
        .size:           8
        .value_kind:     global_buffer
      - .offset:         56
        .size:           1
        .value_kind:     by_value
      - .offset:         57
        .size:           1
        .value_kind:     by_value
    .group_segment_fixed_size: 1288
    .kernarg_segment_align: 8
    .kernarg_segment_size: 60
    .language:       OpenCL C
    .language_version:
      - 2
      - 0
    .max_flat_workgroup_size: 64
    .name:           _ZN9rocsolver6v33100L18getri_kernel_smallILi8E19rocblas_complex_numIdEPS3_EEvT1_iilPiilS6_bb
    .private_segment_fixed_size: 144
    .sgpr_count:     24
    .sgpr_spill_count: 0
    .symbol:         _ZN9rocsolver6v33100L18getri_kernel_smallILi8E19rocblas_complex_numIdEPS3_EEvT1_iilPiilS6_bb.kd
    .uniform_work_group_size: 1
    .uses_dynamic_stack: false
    .vgpr_count:     74
    .vgpr_spill_count: 0
    .wavefront_size: 32
    .workgroup_processor_mode: 1
  - .args:
      - .address_space:  global
        .offset:         0
        .size:           8
        .value_kind:     global_buffer
      - .offset:         8
        .size:           4
        .value_kind:     by_value
      - .offset:         12
        .size:           4
        .value_kind:     by_value
      - .offset:         16
        .size:           8
        .value_kind:     by_value
      - .address_space:  global
        .offset:         24
        .size:           8
        .value_kind:     global_buffer
      - .offset:         32
        .size:           4
        .value_kind:     by_value
      - .offset:         40
        .size:           8
        .value_kind:     by_value
      - .address_space:  global
        .offset:         48
        .size:           8
        .value_kind:     global_buffer
      - .offset:         56
        .size:           1
        .value_kind:     by_value
      - .offset:         57
        .size:           1
        .value_kind:     by_value
    .group_segment_fixed_size: 1320
    .kernarg_segment_align: 8
    .kernarg_segment_size: 60
    .language:       OpenCL C
    .language_version:
      - 2
      - 0
    .max_flat_workgroup_size: 64
    .name:           _ZN9rocsolver6v33100L18getri_kernel_smallILi9E19rocblas_complex_numIdEPS3_EEvT1_iilPiilS6_bb
    .private_segment_fixed_size: 160
    .sgpr_count:     24
    .sgpr_spill_count: 0
    .symbol:         _ZN9rocsolver6v33100L18getri_kernel_smallILi9E19rocblas_complex_numIdEPS3_EEvT1_iilPiilS6_bb.kd
    .uniform_work_group_size: 1
    .uses_dynamic_stack: false
    .vgpr_count:     82
    .vgpr_spill_count: 0
    .wavefront_size: 32
    .workgroup_processor_mode: 1
  - .args:
      - .address_space:  global
        .offset:         0
        .size:           8
        .value_kind:     global_buffer
      - .offset:         8
        .size:           4
        .value_kind:     by_value
      - .offset:         12
        .size:           4
        .value_kind:     by_value
      - .offset:         16
        .size:           8
        .value_kind:     by_value
      - .address_space:  global
        .offset:         24
        .size:           8
        .value_kind:     global_buffer
      - .offset:         32
        .size:           4
        .value_kind:     by_value
      - .offset:         40
        .size:           8
        .value_kind:     by_value
      - .address_space:  global
        .offset:         48
        .size:           8
        .value_kind:     global_buffer
      - .offset:         56
        .size:           1
        .value_kind:     by_value
      - .offset:         57
        .size:           1
        .value_kind:     by_value
    .group_segment_fixed_size: 1352
    .kernarg_segment_align: 8
    .kernarg_segment_size: 60
    .language:       OpenCL C
    .language_version:
      - 2
      - 0
    .max_flat_workgroup_size: 64
    .name:           _ZN9rocsolver6v33100L18getri_kernel_smallILi10E19rocblas_complex_numIdEPS3_EEvT1_iilPiilS6_bb
    .private_segment_fixed_size: 176
    .sgpr_count:     24
    .sgpr_spill_count: 0
    .symbol:         _ZN9rocsolver6v33100L18getri_kernel_smallILi10E19rocblas_complex_numIdEPS3_EEvT1_iilPiilS6_bb.kd
    .uniform_work_group_size: 1
    .uses_dynamic_stack: false
    .vgpr_count:     88
    .vgpr_spill_count: 0
    .wavefront_size: 32
    .workgroup_processor_mode: 1
  - .args:
      - .address_space:  global
        .offset:         0
        .size:           8
        .value_kind:     global_buffer
      - .offset:         8
        .size:           4
        .value_kind:     by_value
      - .offset:         12
        .size:           4
        .value_kind:     by_value
      - .offset:         16
        .size:           8
        .value_kind:     by_value
      - .address_space:  global
        .offset:         24
        .size:           8
        .value_kind:     global_buffer
      - .offset:         32
        .size:           4
        .value_kind:     by_value
      - .offset:         40
        .size:           8
        .value_kind:     by_value
      - .address_space:  global
        .offset:         48
        .size:           8
        .value_kind:     global_buffer
      - .offset:         56
        .size:           1
        .value_kind:     by_value
      - .offset:         57
        .size:           1
        .value_kind:     by_value
    .group_segment_fixed_size: 1384
    .kernarg_segment_align: 8
    .kernarg_segment_size: 60
    .language:       OpenCL C
    .language_version:
      - 2
      - 0
    .max_flat_workgroup_size: 64
    .name:           _ZN9rocsolver6v33100L18getri_kernel_smallILi11E19rocblas_complex_numIdEPS3_EEvT1_iilPiilS6_bb
    .private_segment_fixed_size: 192
    .sgpr_count:     24
    .sgpr_spill_count: 0
    .symbol:         _ZN9rocsolver6v33100L18getri_kernel_smallILi11E19rocblas_complex_numIdEPS3_EEvT1_iilPiilS6_bb.kd
    .uniform_work_group_size: 1
    .uses_dynamic_stack: false
    .vgpr_count:     96
    .vgpr_spill_count: 0
    .wavefront_size: 32
    .workgroup_processor_mode: 1
  - .args:
      - .address_space:  global
        .offset:         0
        .size:           8
        .value_kind:     global_buffer
      - .offset:         8
        .size:           4
        .value_kind:     by_value
      - .offset:         12
        .size:           4
        .value_kind:     by_value
      - .offset:         16
        .size:           8
        .value_kind:     by_value
      - .address_space:  global
        .offset:         24
        .size:           8
        .value_kind:     global_buffer
      - .offset:         32
        .size:           4
        .value_kind:     by_value
      - .offset:         40
        .size:           8
        .value_kind:     by_value
      - .address_space:  global
        .offset:         48
        .size:           8
        .value_kind:     global_buffer
      - .offset:         56
        .size:           1
        .value_kind:     by_value
      - .offset:         57
        .size:           1
        .value_kind:     by_value
    .group_segment_fixed_size: 1416
    .kernarg_segment_align: 8
    .kernarg_segment_size: 60
    .language:       OpenCL C
    .language_version:
      - 2
      - 0
    .max_flat_workgroup_size: 64
    .name:           _ZN9rocsolver6v33100L18getri_kernel_smallILi12E19rocblas_complex_numIdEPS3_EEvT1_iilPiilS6_bb
    .private_segment_fixed_size: 208
    .sgpr_count:     24
    .sgpr_spill_count: 0
    .symbol:         _ZN9rocsolver6v33100L18getri_kernel_smallILi12E19rocblas_complex_numIdEPS3_EEvT1_iilPiilS6_bb.kd
    .uniform_work_group_size: 1
    .uses_dynamic_stack: false
    .vgpr_count:     102
    .vgpr_spill_count: 0
    .wavefront_size: 32
    .workgroup_processor_mode: 1
  - .args:
      - .address_space:  global
        .offset:         0
        .size:           8
        .value_kind:     global_buffer
      - .offset:         8
        .size:           4
        .value_kind:     by_value
      - .offset:         12
        .size:           4
        .value_kind:     by_value
      - .offset:         16
        .size:           8
        .value_kind:     by_value
      - .address_space:  global
        .offset:         24
        .size:           8
        .value_kind:     global_buffer
      - .offset:         32
        .size:           4
        .value_kind:     by_value
      - .offset:         40
        .size:           8
        .value_kind:     by_value
      - .address_space:  global
        .offset:         48
        .size:           8
        .value_kind:     global_buffer
      - .offset:         56
        .size:           1
        .value_kind:     by_value
      - .offset:         57
        .size:           1
        .value_kind:     by_value
    .group_segment_fixed_size: 1448
    .kernarg_segment_align: 8
    .kernarg_segment_size: 60
    .language:       OpenCL C
    .language_version:
      - 2
      - 0
    .max_flat_workgroup_size: 64
    .name:           _ZN9rocsolver6v33100L18getri_kernel_smallILi13E19rocblas_complex_numIdEPS3_EEvT1_iilPiilS6_bb
    .private_segment_fixed_size: 224
    .sgpr_count:     24
    .sgpr_spill_count: 0
    .symbol:         _ZN9rocsolver6v33100L18getri_kernel_smallILi13E19rocblas_complex_numIdEPS3_EEvT1_iilPiilS6_bb.kd
    .uniform_work_group_size: 1
    .uses_dynamic_stack: false
    .vgpr_count:     108
    .vgpr_spill_count: 0
    .wavefront_size: 32
    .workgroup_processor_mode: 1
  - .args:
      - .address_space:  global
        .offset:         0
        .size:           8
        .value_kind:     global_buffer
      - .offset:         8
        .size:           4
        .value_kind:     by_value
      - .offset:         12
        .size:           4
        .value_kind:     by_value
      - .offset:         16
        .size:           8
        .value_kind:     by_value
      - .address_space:  global
        .offset:         24
        .size:           8
        .value_kind:     global_buffer
      - .offset:         32
        .size:           4
        .value_kind:     by_value
      - .offset:         40
        .size:           8
        .value_kind:     by_value
      - .address_space:  global
        .offset:         48
        .size:           8
        .value_kind:     global_buffer
      - .offset:         56
        .size:           1
        .value_kind:     by_value
      - .offset:         57
        .size:           1
        .value_kind:     by_value
    .group_segment_fixed_size: 1480
    .kernarg_segment_align: 8
    .kernarg_segment_size: 60
    .language:       OpenCL C
    .language_version:
      - 2
      - 0
    .max_flat_workgroup_size: 64
    .name:           _ZN9rocsolver6v33100L18getri_kernel_smallILi14E19rocblas_complex_numIdEPS3_EEvT1_iilPiilS6_bb
    .private_segment_fixed_size: 240
    .sgpr_count:     24
    .sgpr_spill_count: 0
    .symbol:         _ZN9rocsolver6v33100L18getri_kernel_smallILi14E19rocblas_complex_numIdEPS3_EEvT1_iilPiilS6_bb.kd
    .uniform_work_group_size: 1
    .uses_dynamic_stack: false
    .vgpr_count:     113
    .vgpr_spill_count: 0
    .wavefront_size: 32
    .workgroup_processor_mode: 1
  - .args:
      - .address_space:  global
        .offset:         0
        .size:           8
        .value_kind:     global_buffer
      - .offset:         8
        .size:           4
        .value_kind:     by_value
      - .offset:         12
        .size:           4
        .value_kind:     by_value
      - .offset:         16
        .size:           8
        .value_kind:     by_value
      - .address_space:  global
        .offset:         24
        .size:           8
        .value_kind:     global_buffer
      - .offset:         32
        .size:           4
        .value_kind:     by_value
      - .offset:         40
        .size:           8
        .value_kind:     by_value
      - .address_space:  global
        .offset:         48
        .size:           8
        .value_kind:     global_buffer
      - .offset:         56
        .size:           1
        .value_kind:     by_value
      - .offset:         57
        .size:           1
        .value_kind:     by_value
    .group_segment_fixed_size: 1512
    .kernarg_segment_align: 8
    .kernarg_segment_size: 60
    .language:       OpenCL C
    .language_version:
      - 2
      - 0
    .max_flat_workgroup_size: 64
    .name:           _ZN9rocsolver6v33100L18getri_kernel_smallILi15E19rocblas_complex_numIdEPS3_EEvT1_iilPiilS6_bb
    .private_segment_fixed_size: 256
    .sgpr_count:     24
    .sgpr_spill_count: 0
    .symbol:         _ZN9rocsolver6v33100L18getri_kernel_smallILi15E19rocblas_complex_numIdEPS3_EEvT1_iilPiilS6_bb.kd
    .uniform_work_group_size: 1
    .uses_dynamic_stack: false
    .vgpr_count:     118
    .vgpr_spill_count: 0
    .wavefront_size: 32
    .workgroup_processor_mode: 1
  - .args:
      - .address_space:  global
        .offset:         0
        .size:           8
        .value_kind:     global_buffer
      - .offset:         8
        .size:           4
        .value_kind:     by_value
      - .offset:         12
        .size:           4
        .value_kind:     by_value
      - .offset:         16
        .size:           8
        .value_kind:     by_value
      - .address_space:  global
        .offset:         24
        .size:           8
        .value_kind:     global_buffer
      - .offset:         32
        .size:           4
        .value_kind:     by_value
      - .offset:         40
        .size:           8
        .value_kind:     by_value
      - .address_space:  global
        .offset:         48
        .size:           8
        .value_kind:     global_buffer
      - .offset:         56
        .size:           1
        .value_kind:     by_value
      - .offset:         57
        .size:           1
        .value_kind:     by_value
    .group_segment_fixed_size: 1544
    .kernarg_segment_align: 8
    .kernarg_segment_size: 60
    .language:       OpenCL C
    .language_version:
      - 2
      - 0
    .max_flat_workgroup_size: 64
    .name:           _ZN9rocsolver6v33100L18getri_kernel_smallILi16E19rocblas_complex_numIdEPS3_EEvT1_iilPiilS6_bb
    .private_segment_fixed_size: 272
    .sgpr_count:     24
    .sgpr_spill_count: 0
    .symbol:         _ZN9rocsolver6v33100L18getri_kernel_smallILi16E19rocblas_complex_numIdEPS3_EEvT1_iilPiilS6_bb.kd
    .uniform_work_group_size: 1
    .uses_dynamic_stack: false
    .vgpr_count:     119
    .vgpr_spill_count: 0
    .wavefront_size: 32
    .workgroup_processor_mode: 1
  - .args:
      - .address_space:  global
        .offset:         0
        .size:           8
        .value_kind:     global_buffer
      - .offset:         8
        .size:           4
        .value_kind:     by_value
      - .offset:         12
        .size:           4
        .value_kind:     by_value
      - .offset:         16
        .size:           8
        .value_kind:     by_value
      - .address_space:  global
        .offset:         24
        .size:           8
        .value_kind:     global_buffer
      - .offset:         32
        .size:           4
        .value_kind:     by_value
      - .offset:         40
        .size:           8
        .value_kind:     by_value
      - .address_space:  global
        .offset:         48
        .size:           8
        .value_kind:     global_buffer
      - .offset:         56
        .size:           1
        .value_kind:     by_value
      - .offset:         57
        .size:           1
        .value_kind:     by_value
    .group_segment_fixed_size: 1576
    .kernarg_segment_align: 8
    .kernarg_segment_size: 60
    .language:       OpenCL C
    .language_version:
      - 2
      - 0
    .max_flat_workgroup_size: 64
    .name:           _ZN9rocsolver6v33100L18getri_kernel_smallILi17E19rocblas_complex_numIdEPS3_EEvT1_iilPiilS6_bb
    .private_segment_fixed_size: 288
    .sgpr_count:     24
    .sgpr_spill_count: 0
    .symbol:         _ZN9rocsolver6v33100L18getri_kernel_smallILi17E19rocblas_complex_numIdEPS3_EEvT1_iilPiilS6_bb.kd
    .uniform_work_group_size: 1
    .uses_dynamic_stack: false
    .vgpr_count:     122
    .vgpr_spill_count: 0
    .wavefront_size: 32
    .workgroup_processor_mode: 1
  - .args:
      - .address_space:  global
        .offset:         0
        .size:           8
        .value_kind:     global_buffer
      - .offset:         8
        .size:           4
        .value_kind:     by_value
      - .offset:         12
        .size:           4
        .value_kind:     by_value
      - .offset:         16
        .size:           8
        .value_kind:     by_value
      - .address_space:  global
        .offset:         24
        .size:           8
        .value_kind:     global_buffer
      - .offset:         32
        .size:           4
        .value_kind:     by_value
      - .offset:         40
        .size:           8
        .value_kind:     by_value
      - .address_space:  global
        .offset:         48
        .size:           8
        .value_kind:     global_buffer
      - .offset:         56
        .size:           1
        .value_kind:     by_value
      - .offset:         57
        .size:           1
        .value_kind:     by_value
    .group_segment_fixed_size: 1608
    .kernarg_segment_align: 8
    .kernarg_segment_size: 60
    .language:       OpenCL C
    .language_version:
      - 2
      - 0
    .max_flat_workgroup_size: 64
    .name:           _ZN9rocsolver6v33100L18getri_kernel_smallILi18E19rocblas_complex_numIdEPS3_EEvT1_iilPiilS6_bb
    .private_segment_fixed_size: 304
    .sgpr_count:     24
    .sgpr_spill_count: 0
    .symbol:         _ZN9rocsolver6v33100L18getri_kernel_smallILi18E19rocblas_complex_numIdEPS3_EEvT1_iilPiilS6_bb.kd
    .uniform_work_group_size: 1
    .uses_dynamic_stack: false
    .vgpr_count:     121
    .vgpr_spill_count: 0
    .wavefront_size: 32
    .workgroup_processor_mode: 1
  - .args:
      - .address_space:  global
        .offset:         0
        .size:           8
        .value_kind:     global_buffer
      - .offset:         8
        .size:           4
        .value_kind:     by_value
      - .offset:         12
        .size:           4
        .value_kind:     by_value
      - .offset:         16
        .size:           8
        .value_kind:     by_value
      - .address_space:  global
        .offset:         24
        .size:           8
        .value_kind:     global_buffer
      - .offset:         32
        .size:           4
        .value_kind:     by_value
      - .offset:         40
        .size:           8
        .value_kind:     by_value
      - .address_space:  global
        .offset:         48
        .size:           8
        .value_kind:     global_buffer
      - .offset:         56
        .size:           1
        .value_kind:     by_value
      - .offset:         57
        .size:           1
        .value_kind:     by_value
    .group_segment_fixed_size: 1640
    .kernarg_segment_align: 8
    .kernarg_segment_size: 60
    .language:       OpenCL C
    .language_version:
      - 2
      - 0
    .max_flat_workgroup_size: 64
    .name:           _ZN9rocsolver6v33100L18getri_kernel_smallILi19E19rocblas_complex_numIdEPS3_EEvT1_iilPiilS6_bb
    .private_segment_fixed_size: 320
    .sgpr_count:     24
    .sgpr_spill_count: 0
    .symbol:         _ZN9rocsolver6v33100L18getri_kernel_smallILi19E19rocblas_complex_numIdEPS3_EEvT1_iilPiilS6_bb.kd
    .uniform_work_group_size: 1
    .uses_dynamic_stack: false
    .vgpr_count:     130
    .vgpr_spill_count: 0
    .wavefront_size: 32
    .workgroup_processor_mode: 1
  - .args:
      - .address_space:  global
        .offset:         0
        .size:           8
        .value_kind:     global_buffer
      - .offset:         8
        .size:           4
        .value_kind:     by_value
      - .offset:         12
        .size:           4
        .value_kind:     by_value
      - .offset:         16
        .size:           8
        .value_kind:     by_value
      - .address_space:  global
        .offset:         24
        .size:           8
        .value_kind:     global_buffer
      - .offset:         32
        .size:           4
        .value_kind:     by_value
      - .offset:         40
        .size:           8
        .value_kind:     by_value
      - .address_space:  global
        .offset:         48
        .size:           8
        .value_kind:     global_buffer
      - .offset:         56
        .size:           1
        .value_kind:     by_value
      - .offset:         57
        .size:           1
        .value_kind:     by_value
    .group_segment_fixed_size: 1672
    .kernarg_segment_align: 8
    .kernarg_segment_size: 60
    .language:       OpenCL C
    .language_version:
      - 2
      - 0
    .max_flat_workgroup_size: 64
    .name:           _ZN9rocsolver6v33100L18getri_kernel_smallILi20E19rocblas_complex_numIdEPS3_EEvT1_iilPiilS6_bb
    .private_segment_fixed_size: 336
    .sgpr_count:     24
    .sgpr_spill_count: 0
    .symbol:         _ZN9rocsolver6v33100L18getri_kernel_smallILi20E19rocblas_complex_numIdEPS3_EEvT1_iilPiilS6_bb.kd
    .uniform_work_group_size: 1
    .uses_dynamic_stack: false
    .vgpr_count:     133
    .vgpr_spill_count: 0
    .wavefront_size: 32
    .workgroup_processor_mode: 1
  - .args:
      - .address_space:  global
        .offset:         0
        .size:           8
        .value_kind:     global_buffer
      - .offset:         8
        .size:           4
        .value_kind:     by_value
      - .offset:         12
        .size:           4
        .value_kind:     by_value
      - .offset:         16
        .size:           8
        .value_kind:     by_value
      - .address_space:  global
        .offset:         24
        .size:           8
        .value_kind:     global_buffer
      - .offset:         32
        .size:           4
        .value_kind:     by_value
      - .offset:         40
        .size:           8
        .value_kind:     by_value
      - .address_space:  global
        .offset:         48
        .size:           8
        .value_kind:     global_buffer
      - .offset:         56
        .size:           1
        .value_kind:     by_value
      - .offset:         57
        .size:           1
        .value_kind:     by_value
    .group_segment_fixed_size: 1704
    .kernarg_segment_align: 8
    .kernarg_segment_size: 60
    .language:       OpenCL C
    .language_version:
      - 2
      - 0
    .max_flat_workgroup_size: 64
    .name:           _ZN9rocsolver6v33100L18getri_kernel_smallILi21E19rocblas_complex_numIdEPS3_EEvT1_iilPiilS6_bb
    .private_segment_fixed_size: 352
    .sgpr_count:     24
    .sgpr_spill_count: 0
    .symbol:         _ZN9rocsolver6v33100L18getri_kernel_smallILi21E19rocblas_complex_numIdEPS3_EEvT1_iilPiilS6_bb.kd
    .uniform_work_group_size: 1
    .uses_dynamic_stack: false
    .vgpr_count:     136
    .vgpr_spill_count: 0
    .wavefront_size: 32
    .workgroup_processor_mode: 1
  - .args:
      - .address_space:  global
        .offset:         0
        .size:           8
        .value_kind:     global_buffer
      - .offset:         8
        .size:           4
        .value_kind:     by_value
      - .offset:         12
        .size:           4
        .value_kind:     by_value
      - .offset:         16
        .size:           8
        .value_kind:     by_value
      - .address_space:  global
        .offset:         24
        .size:           8
        .value_kind:     global_buffer
      - .offset:         32
        .size:           4
        .value_kind:     by_value
      - .offset:         40
        .size:           8
        .value_kind:     by_value
      - .address_space:  global
        .offset:         48
        .size:           8
        .value_kind:     global_buffer
      - .offset:         56
        .size:           1
        .value_kind:     by_value
      - .offset:         57
        .size:           1
        .value_kind:     by_value
    .group_segment_fixed_size: 1736
    .kernarg_segment_align: 8
    .kernarg_segment_size: 60
    .language:       OpenCL C
    .language_version:
      - 2
      - 0
    .max_flat_workgroup_size: 64
    .name:           _ZN9rocsolver6v33100L18getri_kernel_smallILi22E19rocblas_complex_numIdEPS3_EEvT1_iilPiilS6_bb
    .private_segment_fixed_size: 368
    .sgpr_count:     24
    .sgpr_spill_count: 0
    .symbol:         _ZN9rocsolver6v33100L18getri_kernel_smallILi22E19rocblas_complex_numIdEPS3_EEvT1_iilPiilS6_bb.kd
    .uniform_work_group_size: 1
    .uses_dynamic_stack: false
    .vgpr_count:     139
    .vgpr_spill_count: 0
    .wavefront_size: 32
    .workgroup_processor_mode: 1
  - .args:
      - .address_space:  global
        .offset:         0
        .size:           8
        .value_kind:     global_buffer
      - .offset:         8
        .size:           4
        .value_kind:     by_value
      - .offset:         12
        .size:           4
        .value_kind:     by_value
      - .offset:         16
        .size:           8
        .value_kind:     by_value
      - .address_space:  global
        .offset:         24
        .size:           8
        .value_kind:     global_buffer
      - .offset:         32
        .size:           4
        .value_kind:     by_value
      - .offset:         40
        .size:           8
        .value_kind:     by_value
      - .address_space:  global
        .offset:         48
        .size:           8
        .value_kind:     global_buffer
      - .offset:         56
        .size:           1
        .value_kind:     by_value
      - .offset:         57
        .size:           1
        .value_kind:     by_value
    .group_segment_fixed_size: 1768
    .kernarg_segment_align: 8
    .kernarg_segment_size: 60
    .language:       OpenCL C
    .language_version:
      - 2
      - 0
    .max_flat_workgroup_size: 64
    .name:           _ZN9rocsolver6v33100L18getri_kernel_smallILi23E19rocblas_complex_numIdEPS3_EEvT1_iilPiilS6_bb
    .private_segment_fixed_size: 384
    .sgpr_count:     24
    .sgpr_spill_count: 0
    .symbol:         _ZN9rocsolver6v33100L18getri_kernel_smallILi23E19rocblas_complex_numIdEPS3_EEvT1_iilPiilS6_bb.kd
    .uniform_work_group_size: 1
    .uses_dynamic_stack: false
    .vgpr_count:     143
    .vgpr_spill_count: 0
    .wavefront_size: 32
    .workgroup_processor_mode: 1
  - .args:
      - .address_space:  global
        .offset:         0
        .size:           8
        .value_kind:     global_buffer
      - .offset:         8
        .size:           4
        .value_kind:     by_value
      - .offset:         12
        .size:           4
        .value_kind:     by_value
      - .offset:         16
        .size:           8
        .value_kind:     by_value
      - .address_space:  global
        .offset:         24
        .size:           8
        .value_kind:     global_buffer
      - .offset:         32
        .size:           4
        .value_kind:     by_value
      - .offset:         40
        .size:           8
        .value_kind:     by_value
      - .address_space:  global
        .offset:         48
        .size:           8
        .value_kind:     global_buffer
      - .offset:         56
        .size:           1
        .value_kind:     by_value
      - .offset:         57
        .size:           1
        .value_kind:     by_value
    .group_segment_fixed_size: 1800
    .kernarg_segment_align: 8
    .kernarg_segment_size: 60
    .language:       OpenCL C
    .language_version:
      - 2
      - 0
    .max_flat_workgroup_size: 64
    .name:           _ZN9rocsolver6v33100L18getri_kernel_smallILi24E19rocblas_complex_numIdEPS3_EEvT1_iilPiilS6_bb
    .private_segment_fixed_size: 400
    .sgpr_count:     24
    .sgpr_spill_count: 0
    .symbol:         _ZN9rocsolver6v33100L18getri_kernel_smallILi24E19rocblas_complex_numIdEPS3_EEvT1_iilPiilS6_bb.kd
    .uniform_work_group_size: 1
    .uses_dynamic_stack: false
    .vgpr_count:     149
    .vgpr_spill_count: 0
    .wavefront_size: 32
    .workgroup_processor_mode: 1
  - .args:
      - .address_space:  global
        .offset:         0
        .size:           8
        .value_kind:     global_buffer
      - .offset:         8
        .size:           4
        .value_kind:     by_value
      - .offset:         12
        .size:           4
        .value_kind:     by_value
      - .offset:         16
        .size:           8
        .value_kind:     by_value
      - .address_space:  global
        .offset:         24
        .size:           8
        .value_kind:     global_buffer
      - .offset:         32
        .size:           4
        .value_kind:     by_value
      - .offset:         40
        .size:           8
        .value_kind:     by_value
      - .address_space:  global
        .offset:         48
        .size:           8
        .value_kind:     global_buffer
      - .offset:         56
        .size:           1
        .value_kind:     by_value
      - .offset:         57
        .size:           1
        .value_kind:     by_value
    .group_segment_fixed_size: 1832
    .kernarg_segment_align: 8
    .kernarg_segment_size: 60
    .language:       OpenCL C
    .language_version:
      - 2
      - 0
    .max_flat_workgroup_size: 64
    .name:           _ZN9rocsolver6v33100L18getri_kernel_smallILi25E19rocblas_complex_numIdEPS3_EEvT1_iilPiilS6_bb
    .private_segment_fixed_size: 416
    .sgpr_count:     24
    .sgpr_spill_count: 0
    .symbol:         _ZN9rocsolver6v33100L18getri_kernel_smallILi25E19rocblas_complex_numIdEPS3_EEvT1_iilPiilS6_bb.kd
    .uniform_work_group_size: 1
    .uses_dynamic_stack: false
    .vgpr_count:     152
    .vgpr_spill_count: 0
    .wavefront_size: 32
    .workgroup_processor_mode: 1
  - .args:
      - .address_space:  global
        .offset:         0
        .size:           8
        .value_kind:     global_buffer
      - .offset:         8
        .size:           4
        .value_kind:     by_value
      - .offset:         12
        .size:           4
        .value_kind:     by_value
      - .offset:         16
        .size:           8
        .value_kind:     by_value
      - .address_space:  global
        .offset:         24
        .size:           8
        .value_kind:     global_buffer
      - .offset:         32
        .size:           4
        .value_kind:     by_value
      - .offset:         40
        .size:           8
        .value_kind:     by_value
      - .address_space:  global
        .offset:         48
        .size:           8
        .value_kind:     global_buffer
      - .offset:         56
        .size:           1
        .value_kind:     by_value
      - .offset:         57
        .size:           1
        .value_kind:     by_value
    .group_segment_fixed_size: 1864
    .kernarg_segment_align: 8
    .kernarg_segment_size: 60
    .language:       OpenCL C
    .language_version:
      - 2
      - 0
    .max_flat_workgroup_size: 64
    .name:           _ZN9rocsolver6v33100L18getri_kernel_smallILi26E19rocblas_complex_numIdEPS3_EEvT1_iilPiilS6_bb
    .private_segment_fixed_size: 432
    .sgpr_count:     24
    .sgpr_spill_count: 0
    .symbol:         _ZN9rocsolver6v33100L18getri_kernel_smallILi26E19rocblas_complex_numIdEPS3_EEvT1_iilPiilS6_bb.kd
    .uniform_work_group_size: 1
    .uses_dynamic_stack: false
    .vgpr_count:     157
    .vgpr_spill_count: 0
    .wavefront_size: 32
    .workgroup_processor_mode: 1
  - .args:
      - .address_space:  global
        .offset:         0
        .size:           8
        .value_kind:     global_buffer
      - .offset:         8
        .size:           4
        .value_kind:     by_value
      - .offset:         12
        .size:           4
        .value_kind:     by_value
      - .offset:         16
        .size:           8
        .value_kind:     by_value
      - .address_space:  global
        .offset:         24
        .size:           8
        .value_kind:     global_buffer
      - .offset:         32
        .size:           4
        .value_kind:     by_value
      - .offset:         40
        .size:           8
        .value_kind:     by_value
      - .address_space:  global
        .offset:         48
        .size:           8
        .value_kind:     global_buffer
      - .offset:         56
        .size:           1
        .value_kind:     by_value
      - .offset:         57
        .size:           1
        .value_kind:     by_value
    .group_segment_fixed_size: 1896
    .kernarg_segment_align: 8
    .kernarg_segment_size: 60
    .language:       OpenCL C
    .language_version:
      - 2
      - 0
    .max_flat_workgroup_size: 64
    .name:           _ZN9rocsolver6v33100L18getri_kernel_smallILi27E19rocblas_complex_numIdEPS3_EEvT1_iilPiilS6_bb
    .private_segment_fixed_size: 448
    .sgpr_count:     27
    .sgpr_spill_count: 0
    .symbol:         _ZN9rocsolver6v33100L18getri_kernel_smallILi27E19rocblas_complex_numIdEPS3_EEvT1_iilPiilS6_bb.kd
    .uniform_work_group_size: 1
    .uses_dynamic_stack: false
    .vgpr_count:     179
    .vgpr_spill_count: 0
    .wavefront_size: 32
    .workgroup_processor_mode: 1
  - .args:
      - .address_space:  global
        .offset:         0
        .size:           8
        .value_kind:     global_buffer
      - .offset:         8
        .size:           4
        .value_kind:     by_value
      - .offset:         12
        .size:           4
        .value_kind:     by_value
      - .offset:         16
        .size:           8
        .value_kind:     by_value
      - .address_space:  global
        .offset:         24
        .size:           8
        .value_kind:     global_buffer
      - .offset:         32
        .size:           4
        .value_kind:     by_value
      - .offset:         40
        .size:           8
        .value_kind:     by_value
      - .address_space:  global
        .offset:         48
        .size:           8
        .value_kind:     global_buffer
      - .offset:         56
        .size:           1
        .value_kind:     by_value
      - .offset:         57
        .size:           1
        .value_kind:     by_value
    .group_segment_fixed_size: 1928
    .kernarg_segment_align: 8
    .kernarg_segment_size: 60
    .language:       OpenCL C
    .language_version:
      - 2
      - 0
    .max_flat_workgroup_size: 64
    .name:           _ZN9rocsolver6v33100L18getri_kernel_smallILi28E19rocblas_complex_numIdEPS3_EEvT1_iilPiilS6_bb
    .private_segment_fixed_size: 464
    .sgpr_count:     32
    .sgpr_spill_count: 0
    .symbol:         _ZN9rocsolver6v33100L18getri_kernel_smallILi28E19rocblas_complex_numIdEPS3_EEvT1_iilPiilS6_bb.kd
    .uniform_work_group_size: 1
    .uses_dynamic_stack: false
    .vgpr_count:     186
    .vgpr_spill_count: 0
    .wavefront_size: 32
    .workgroup_processor_mode: 1
  - .args:
      - .address_space:  global
        .offset:         0
        .size:           8
        .value_kind:     global_buffer
      - .offset:         8
        .size:           4
        .value_kind:     by_value
      - .offset:         12
        .size:           4
        .value_kind:     by_value
      - .offset:         16
        .size:           8
        .value_kind:     by_value
      - .address_space:  global
        .offset:         24
        .size:           8
        .value_kind:     global_buffer
      - .offset:         32
        .size:           4
        .value_kind:     by_value
      - .offset:         40
        .size:           8
        .value_kind:     by_value
      - .address_space:  global
        .offset:         48
        .size:           8
        .value_kind:     global_buffer
      - .offset:         56
        .size:           1
        .value_kind:     by_value
      - .offset:         57
        .size:           1
        .value_kind:     by_value
    .group_segment_fixed_size: 1960
    .kernarg_segment_align: 8
    .kernarg_segment_size: 60
    .language:       OpenCL C
    .language_version:
      - 2
      - 0
    .max_flat_workgroup_size: 64
    .name:           _ZN9rocsolver6v33100L18getri_kernel_smallILi29E19rocblas_complex_numIdEPS3_EEvT1_iilPiilS6_bb
    .private_segment_fixed_size: 480
    .sgpr_count:     37
    .sgpr_spill_count: 0
    .symbol:         _ZN9rocsolver6v33100L18getri_kernel_smallILi29E19rocblas_complex_numIdEPS3_EEvT1_iilPiilS6_bb.kd
    .uniform_work_group_size: 1
    .uses_dynamic_stack: false
    .vgpr_count:     182
    .vgpr_spill_count: 0
    .wavefront_size: 32
    .workgroup_processor_mode: 1
  - .args:
      - .address_space:  global
        .offset:         0
        .size:           8
        .value_kind:     global_buffer
      - .offset:         8
        .size:           4
        .value_kind:     by_value
      - .offset:         12
        .size:           4
        .value_kind:     by_value
      - .offset:         16
        .size:           8
        .value_kind:     by_value
      - .address_space:  global
        .offset:         24
        .size:           8
        .value_kind:     global_buffer
      - .offset:         32
        .size:           4
        .value_kind:     by_value
      - .offset:         40
        .size:           8
        .value_kind:     by_value
      - .address_space:  global
        .offset:         48
        .size:           8
        .value_kind:     global_buffer
      - .offset:         56
        .size:           1
        .value_kind:     by_value
      - .offset:         57
        .size:           1
        .value_kind:     by_value
    .group_segment_fixed_size: 1992
    .kernarg_segment_align: 8
    .kernarg_segment_size: 60
    .language:       OpenCL C
    .language_version:
      - 2
      - 0
    .max_flat_workgroup_size: 64
    .name:           _ZN9rocsolver6v33100L18getri_kernel_smallILi30E19rocblas_complex_numIdEPS3_EEvT1_iilPiilS6_bb
    .private_segment_fixed_size: 496
    .sgpr_count:     38
    .sgpr_spill_count: 0
    .symbol:         _ZN9rocsolver6v33100L18getri_kernel_smallILi30E19rocblas_complex_numIdEPS3_EEvT1_iilPiilS6_bb.kd
    .uniform_work_group_size: 1
    .uses_dynamic_stack: false
    .vgpr_count:     185
    .vgpr_spill_count: 0
    .wavefront_size: 32
    .workgroup_processor_mode: 1
  - .args:
      - .address_space:  global
        .offset:         0
        .size:           8
        .value_kind:     global_buffer
      - .offset:         8
        .size:           4
        .value_kind:     by_value
      - .offset:         12
        .size:           4
        .value_kind:     by_value
      - .offset:         16
        .size:           8
        .value_kind:     by_value
      - .address_space:  global
        .offset:         24
        .size:           8
        .value_kind:     global_buffer
      - .offset:         32
        .size:           4
        .value_kind:     by_value
      - .offset:         40
        .size:           8
        .value_kind:     by_value
      - .address_space:  global
        .offset:         48
        .size:           8
        .value_kind:     global_buffer
      - .offset:         56
        .size:           1
        .value_kind:     by_value
      - .offset:         57
        .size:           1
        .value_kind:     by_value
    .group_segment_fixed_size: 2024
    .kernarg_segment_align: 8
    .kernarg_segment_size: 60
    .language:       OpenCL C
    .language_version:
      - 2
      - 0
    .max_flat_workgroup_size: 64
    .name:           _ZN9rocsolver6v33100L18getri_kernel_smallILi31E19rocblas_complex_numIdEPS3_EEvT1_iilPiilS6_bb
    .private_segment_fixed_size: 512
    .sgpr_count:     40
    .sgpr_spill_count: 0
    .symbol:         _ZN9rocsolver6v33100L18getri_kernel_smallILi31E19rocblas_complex_numIdEPS3_EEvT1_iilPiilS6_bb.kd
    .uniform_work_group_size: 1
    .uses_dynamic_stack: false
    .vgpr_count:     187
    .vgpr_spill_count: 0
    .wavefront_size: 32
    .workgroup_processor_mode: 1
  - .args:
      - .address_space:  global
        .offset:         0
        .size:           8
        .value_kind:     global_buffer
      - .offset:         8
        .size:           4
        .value_kind:     by_value
      - .offset:         12
        .size:           4
        .value_kind:     by_value
      - .offset:         16
        .size:           8
        .value_kind:     by_value
      - .address_space:  global
        .offset:         24
        .size:           8
        .value_kind:     global_buffer
      - .offset:         32
        .size:           4
        .value_kind:     by_value
      - .offset:         40
        .size:           8
        .value_kind:     by_value
      - .address_space:  global
        .offset:         48
        .size:           8
        .value_kind:     global_buffer
      - .offset:         56
        .size:           1
        .value_kind:     by_value
      - .offset:         57
        .size:           1
        .value_kind:     by_value
    .group_segment_fixed_size: 2056
    .kernarg_segment_align: 8
    .kernarg_segment_size: 60
    .language:       OpenCL C
    .language_version:
      - 2
      - 0
    .max_flat_workgroup_size: 64
    .name:           _ZN9rocsolver6v33100L18getri_kernel_smallILi32E19rocblas_complex_numIdEPS3_EEvT1_iilPiilS6_bb
    .private_segment_fixed_size: 528
    .sgpr_count:     41
    .sgpr_spill_count: 0
    .symbol:         _ZN9rocsolver6v33100L18getri_kernel_smallILi32E19rocblas_complex_numIdEPS3_EEvT1_iilPiilS6_bb.kd
    .uniform_work_group_size: 1
    .uses_dynamic_stack: false
    .vgpr_count:     178
    .vgpr_spill_count: 0
    .wavefront_size: 32
    .workgroup_processor_mode: 1
  - .args:
      - .address_space:  global
        .offset:         0
        .size:           8
        .value_kind:     global_buffer
      - .offset:         8
        .size:           4
        .value_kind:     by_value
      - .offset:         12
        .size:           4
        .value_kind:     by_value
      - .offset:         16
        .size:           8
        .value_kind:     by_value
      - .address_space:  global
        .offset:         24
        .size:           8
        .value_kind:     global_buffer
      - .offset:         32
        .size:           4
        .value_kind:     by_value
      - .offset:         40
        .size:           8
        .value_kind:     by_value
      - .address_space:  global
        .offset:         48
        .size:           8
        .value_kind:     global_buffer
      - .offset:         56
        .size:           1
        .value_kind:     by_value
      - .offset:         57
        .size:           1
        .value_kind:     by_value
    .group_segment_fixed_size: 2088
    .kernarg_segment_align: 8
    .kernarg_segment_size: 60
    .language:       OpenCL C
    .language_version:
      - 2
      - 0
    .max_flat_workgroup_size: 64
    .name:           _ZN9rocsolver6v33100L18getri_kernel_smallILi33E19rocblas_complex_numIdEPS3_EEvT1_iilPiilS6_bb
    .private_segment_fixed_size: 544
    .sgpr_count:     42
    .sgpr_spill_count: 0
    .symbol:         _ZN9rocsolver6v33100L18getri_kernel_smallILi33E19rocblas_complex_numIdEPS3_EEvT1_iilPiilS6_bb.kd
    .uniform_work_group_size: 1
    .uses_dynamic_stack: false
    .vgpr_count:     185
    .vgpr_spill_count: 0
    .wavefront_size: 32
    .workgroup_processor_mode: 1
  - .args:
      - .address_space:  global
        .offset:         0
        .size:           8
        .value_kind:     global_buffer
      - .offset:         8
        .size:           4
        .value_kind:     by_value
      - .offset:         12
        .size:           4
        .value_kind:     by_value
      - .offset:         16
        .size:           8
        .value_kind:     by_value
      - .address_space:  global
        .offset:         24
        .size:           8
        .value_kind:     global_buffer
      - .offset:         32
        .size:           4
        .value_kind:     by_value
      - .offset:         40
        .size:           8
        .value_kind:     by_value
      - .address_space:  global
        .offset:         48
        .size:           8
        .value_kind:     global_buffer
      - .offset:         56
        .size:           1
        .value_kind:     by_value
      - .offset:         57
        .size:           1
        .value_kind:     by_value
    .group_segment_fixed_size: 2120
    .kernarg_segment_align: 8
    .kernarg_segment_size: 60
    .language:       OpenCL C
    .language_version:
      - 2
      - 0
    .max_flat_workgroup_size: 64
    .name:           _ZN9rocsolver6v33100L18getri_kernel_smallILi34E19rocblas_complex_numIdEPS3_EEvT1_iilPiilS6_bb
    .private_segment_fixed_size: 560
    .sgpr_count:     43
    .sgpr_spill_count: 0
    .symbol:         _ZN9rocsolver6v33100L18getri_kernel_smallILi34E19rocblas_complex_numIdEPS3_EEvT1_iilPiilS6_bb.kd
    .uniform_work_group_size: 1
    .uses_dynamic_stack: false
    .vgpr_count:     184
    .vgpr_spill_count: 0
    .wavefront_size: 32
    .workgroup_processor_mode: 1
  - .args:
      - .address_space:  global
        .offset:         0
        .size:           8
        .value_kind:     global_buffer
      - .offset:         8
        .size:           4
        .value_kind:     by_value
      - .offset:         12
        .size:           4
        .value_kind:     by_value
      - .offset:         16
        .size:           8
        .value_kind:     by_value
      - .address_space:  global
        .offset:         24
        .size:           8
        .value_kind:     global_buffer
      - .offset:         32
        .size:           4
        .value_kind:     by_value
      - .offset:         40
        .size:           8
        .value_kind:     by_value
      - .address_space:  global
        .offset:         48
        .size:           8
        .value_kind:     global_buffer
      - .offset:         56
        .size:           1
        .value_kind:     by_value
      - .offset:         57
        .size:           1
        .value_kind:     by_value
    .group_segment_fixed_size: 2152
    .kernarg_segment_align: 8
    .kernarg_segment_size: 60
    .language:       OpenCL C
    .language_version:
      - 2
      - 0
    .max_flat_workgroup_size: 64
    .name:           _ZN9rocsolver6v33100L18getri_kernel_smallILi35E19rocblas_complex_numIdEPS3_EEvT1_iilPiilS6_bb
    .private_segment_fixed_size: 576
    .sgpr_count:     44
    .sgpr_spill_count: 0
    .symbol:         _ZN9rocsolver6v33100L18getri_kernel_smallILi35E19rocblas_complex_numIdEPS3_EEvT1_iilPiilS6_bb.kd
    .uniform_work_group_size: 1
    .uses_dynamic_stack: false
    .vgpr_count:     215
    .vgpr_spill_count: 0
    .wavefront_size: 32
    .workgroup_processor_mode: 1
  - .args:
      - .address_space:  global
        .offset:         0
        .size:           8
        .value_kind:     global_buffer
      - .offset:         8
        .size:           4
        .value_kind:     by_value
      - .offset:         12
        .size:           4
        .value_kind:     by_value
      - .offset:         16
        .size:           8
        .value_kind:     by_value
      - .address_space:  global
        .offset:         24
        .size:           8
        .value_kind:     global_buffer
      - .offset:         32
        .size:           4
        .value_kind:     by_value
      - .offset:         40
        .size:           8
        .value_kind:     by_value
      - .address_space:  global
        .offset:         48
        .size:           8
        .value_kind:     global_buffer
      - .offset:         56
        .size:           1
        .value_kind:     by_value
      - .offset:         57
        .size:           1
        .value_kind:     by_value
    .group_segment_fixed_size: 2184
    .kernarg_segment_align: 8
    .kernarg_segment_size: 60
    .language:       OpenCL C
    .language_version:
      - 2
      - 0
    .max_flat_workgroup_size: 64
    .name:           _ZN9rocsolver6v33100L18getri_kernel_smallILi36E19rocblas_complex_numIdEPS3_EEvT1_iilPiilS6_bb
    .private_segment_fixed_size: 592
    .sgpr_count:     45
    .sgpr_spill_count: 0
    .symbol:         _ZN9rocsolver6v33100L18getri_kernel_smallILi36E19rocblas_complex_numIdEPS3_EEvT1_iilPiilS6_bb.kd
    .uniform_work_group_size: 1
    .uses_dynamic_stack: false
    .vgpr_count:     208
    .vgpr_spill_count: 0
    .wavefront_size: 32
    .workgroup_processor_mode: 1
  - .args:
      - .address_space:  global
        .offset:         0
        .size:           8
        .value_kind:     global_buffer
      - .offset:         8
        .size:           4
        .value_kind:     by_value
      - .offset:         12
        .size:           4
        .value_kind:     by_value
      - .offset:         16
        .size:           8
        .value_kind:     by_value
      - .address_space:  global
        .offset:         24
        .size:           8
        .value_kind:     global_buffer
      - .offset:         32
        .size:           4
        .value_kind:     by_value
      - .offset:         40
        .size:           8
        .value_kind:     by_value
      - .address_space:  global
        .offset:         48
        .size:           8
        .value_kind:     global_buffer
      - .offset:         56
        .size:           1
        .value_kind:     by_value
      - .offset:         57
        .size:           1
        .value_kind:     by_value
    .group_segment_fixed_size: 2216
    .kernarg_segment_align: 8
    .kernarg_segment_size: 60
    .language:       OpenCL C
    .language_version:
      - 2
      - 0
    .max_flat_workgroup_size: 64
    .name:           _ZN9rocsolver6v33100L18getri_kernel_smallILi37E19rocblas_complex_numIdEPS3_EEvT1_iilPiilS6_bb
    .private_segment_fixed_size: 608
    .sgpr_count:     46
    .sgpr_spill_count: 0
    .symbol:         _ZN9rocsolver6v33100L18getri_kernel_smallILi37E19rocblas_complex_numIdEPS3_EEvT1_iilPiilS6_bb.kd
    .uniform_work_group_size: 1
    .uses_dynamic_stack: false
    .vgpr_count:     213
    .vgpr_spill_count: 0
    .wavefront_size: 32
    .workgroup_processor_mode: 1
  - .args:
      - .address_space:  global
        .offset:         0
        .size:           8
        .value_kind:     global_buffer
      - .offset:         8
        .size:           4
        .value_kind:     by_value
      - .offset:         12
        .size:           4
        .value_kind:     by_value
      - .offset:         16
        .size:           8
        .value_kind:     by_value
      - .address_space:  global
        .offset:         24
        .size:           8
        .value_kind:     global_buffer
      - .offset:         32
        .size:           4
        .value_kind:     by_value
      - .offset:         40
        .size:           8
        .value_kind:     by_value
      - .address_space:  global
        .offset:         48
        .size:           8
        .value_kind:     global_buffer
      - .offset:         56
        .size:           1
        .value_kind:     by_value
      - .offset:         57
        .size:           1
        .value_kind:     by_value
    .group_segment_fixed_size: 2248
    .kernarg_segment_align: 8
    .kernarg_segment_size: 60
    .language:       OpenCL C
    .language_version:
      - 2
      - 0
    .max_flat_workgroup_size: 64
    .name:           _ZN9rocsolver6v33100L18getri_kernel_smallILi38E19rocblas_complex_numIdEPS3_EEvT1_iilPiilS6_bb
    .private_segment_fixed_size: 624
    .sgpr_count:     46
    .sgpr_spill_count: 0
    .symbol:         _ZN9rocsolver6v33100L18getri_kernel_smallILi38E19rocblas_complex_numIdEPS3_EEvT1_iilPiilS6_bb.kd
    .uniform_work_group_size: 1
    .uses_dynamic_stack: false
    .vgpr_count:     208
    .vgpr_spill_count: 0
    .wavefront_size: 32
    .workgroup_processor_mode: 1
  - .args:
      - .address_space:  global
        .offset:         0
        .size:           8
        .value_kind:     global_buffer
      - .offset:         8
        .size:           4
        .value_kind:     by_value
      - .offset:         12
        .size:           4
        .value_kind:     by_value
      - .offset:         16
        .size:           8
        .value_kind:     by_value
      - .address_space:  global
        .offset:         24
        .size:           8
        .value_kind:     global_buffer
      - .offset:         32
        .size:           4
        .value_kind:     by_value
      - .offset:         40
        .size:           8
        .value_kind:     by_value
      - .address_space:  global
        .offset:         48
        .size:           8
        .value_kind:     global_buffer
      - .offset:         56
        .size:           1
        .value_kind:     by_value
      - .offset:         57
        .size:           1
        .value_kind:     by_value
    .group_segment_fixed_size: 2280
    .kernarg_segment_align: 8
    .kernarg_segment_size: 60
    .language:       OpenCL C
    .language_version:
      - 2
      - 0
    .max_flat_workgroup_size: 64
    .name:           _ZN9rocsolver6v33100L18getri_kernel_smallILi39E19rocblas_complex_numIdEPS3_EEvT1_iilPiilS6_bb
    .private_segment_fixed_size: 640
    .sgpr_count:     48
    .sgpr_spill_count: 0
    .symbol:         _ZN9rocsolver6v33100L18getri_kernel_smallILi39E19rocblas_complex_numIdEPS3_EEvT1_iilPiilS6_bb.kd
    .uniform_work_group_size: 1
    .uses_dynamic_stack: false
    .vgpr_count:     211
    .vgpr_spill_count: 0
    .wavefront_size: 32
    .workgroup_processor_mode: 1
  - .args:
      - .address_space:  global
        .offset:         0
        .size:           8
        .value_kind:     global_buffer
      - .offset:         8
        .size:           4
        .value_kind:     by_value
      - .offset:         12
        .size:           4
        .value_kind:     by_value
      - .offset:         16
        .size:           8
        .value_kind:     by_value
      - .address_space:  global
        .offset:         24
        .size:           8
        .value_kind:     global_buffer
      - .offset:         32
        .size:           4
        .value_kind:     by_value
      - .offset:         40
        .size:           8
        .value_kind:     by_value
      - .address_space:  global
        .offset:         48
        .size:           8
        .value_kind:     global_buffer
      - .offset:         56
        .size:           1
        .value_kind:     by_value
      - .offset:         57
        .size:           1
        .value_kind:     by_value
    .group_segment_fixed_size: 2312
    .kernarg_segment_align: 8
    .kernarg_segment_size: 60
    .language:       OpenCL C
    .language_version:
      - 2
      - 0
    .max_flat_workgroup_size: 64
    .name:           _ZN9rocsolver6v33100L18getri_kernel_smallILi40E19rocblas_complex_numIdEPS3_EEvT1_iilPiilS6_bb
    .private_segment_fixed_size: 656
    .sgpr_count:     48
    .sgpr_spill_count: 0
    .symbol:         _ZN9rocsolver6v33100L18getri_kernel_smallILi40E19rocblas_complex_numIdEPS3_EEvT1_iilPiilS6_bb.kd
    .uniform_work_group_size: 1
    .uses_dynamic_stack: false
    .vgpr_count:     214
    .vgpr_spill_count: 0
    .wavefront_size: 32
    .workgroup_processor_mode: 1
  - .args:
      - .address_space:  global
        .offset:         0
        .size:           8
        .value_kind:     global_buffer
      - .offset:         8
        .size:           4
        .value_kind:     by_value
      - .offset:         12
        .size:           4
        .value_kind:     by_value
      - .offset:         16
        .size:           8
        .value_kind:     by_value
      - .address_space:  global
        .offset:         24
        .size:           8
        .value_kind:     global_buffer
      - .offset:         32
        .size:           4
        .value_kind:     by_value
      - .offset:         40
        .size:           8
        .value_kind:     by_value
      - .address_space:  global
        .offset:         48
        .size:           8
        .value_kind:     global_buffer
      - .offset:         56
        .size:           1
        .value_kind:     by_value
      - .offset:         57
        .size:           1
        .value_kind:     by_value
    .group_segment_fixed_size: 2344
    .kernarg_segment_align: 8
    .kernarg_segment_size: 60
    .language:       OpenCL C
    .language_version:
      - 2
      - 0
    .max_flat_workgroup_size: 64
    .name:           _ZN9rocsolver6v33100L18getri_kernel_smallILi41E19rocblas_complex_numIdEPS3_EEvT1_iilPiilS6_bb
    .private_segment_fixed_size: 672
    .sgpr_count:     49
    .sgpr_spill_count: 0
    .symbol:         _ZN9rocsolver6v33100L18getri_kernel_smallILi41E19rocblas_complex_numIdEPS3_EEvT1_iilPiilS6_bb.kd
    .uniform_work_group_size: 1
    .uses_dynamic_stack: false
    .vgpr_count:     213
    .vgpr_spill_count: 0
    .wavefront_size: 32
    .workgroup_processor_mode: 1
  - .args:
      - .address_space:  global
        .offset:         0
        .size:           8
        .value_kind:     global_buffer
      - .offset:         8
        .size:           4
        .value_kind:     by_value
      - .offset:         12
        .size:           4
        .value_kind:     by_value
      - .offset:         16
        .size:           8
        .value_kind:     by_value
      - .address_space:  global
        .offset:         24
        .size:           8
        .value_kind:     global_buffer
      - .offset:         32
        .size:           4
        .value_kind:     by_value
      - .offset:         40
        .size:           8
        .value_kind:     by_value
      - .address_space:  global
        .offset:         48
        .size:           8
        .value_kind:     global_buffer
      - .offset:         56
        .size:           1
        .value_kind:     by_value
      - .offset:         57
        .size:           1
        .value_kind:     by_value
    .group_segment_fixed_size: 2376
    .kernarg_segment_align: 8
    .kernarg_segment_size: 60
    .language:       OpenCL C
    .language_version:
      - 2
      - 0
    .max_flat_workgroup_size: 64
    .name:           _ZN9rocsolver6v33100L18getri_kernel_smallILi42E19rocblas_complex_numIdEPS3_EEvT1_iilPiilS6_bb
    .private_segment_fixed_size: 688
    .sgpr_count:     50
    .sgpr_spill_count: 0
    .symbol:         _ZN9rocsolver6v33100L18getri_kernel_smallILi42E19rocblas_complex_numIdEPS3_EEvT1_iilPiilS6_bb.kd
    .uniform_work_group_size: 1
    .uses_dynamic_stack: false
    .vgpr_count:     212
    .vgpr_spill_count: 0
    .wavefront_size: 32
    .workgroup_processor_mode: 1
  - .args:
      - .address_space:  global
        .offset:         0
        .size:           8
        .value_kind:     global_buffer
      - .offset:         8
        .size:           4
        .value_kind:     by_value
      - .offset:         12
        .size:           4
        .value_kind:     by_value
      - .offset:         16
        .size:           8
        .value_kind:     by_value
      - .address_space:  global
        .offset:         24
        .size:           8
        .value_kind:     global_buffer
      - .offset:         32
        .size:           4
        .value_kind:     by_value
      - .offset:         40
        .size:           8
        .value_kind:     by_value
      - .address_space:  global
        .offset:         48
        .size:           8
        .value_kind:     global_buffer
      - .offset:         56
        .size:           1
        .value_kind:     by_value
      - .offset:         57
        .size:           1
        .value_kind:     by_value
    .group_segment_fixed_size: 2408
    .kernarg_segment_align: 8
    .kernarg_segment_size: 60
    .language:       OpenCL C
    .language_version:
      - 2
      - 0
    .max_flat_workgroup_size: 64
    .name:           _ZN9rocsolver6v33100L18getri_kernel_smallILi43E19rocblas_complex_numIdEPS3_EEvT1_iilPiilS6_bb
    .private_segment_fixed_size: 704
    .sgpr_count:     51
    .sgpr_spill_count: 0
    .symbol:         _ZN9rocsolver6v33100L18getri_kernel_smallILi43E19rocblas_complex_numIdEPS3_EEvT1_iilPiilS6_bb.kd
    .uniform_work_group_size: 1
    .uses_dynamic_stack: false
    .vgpr_count:     235
    .vgpr_spill_count: 0
    .wavefront_size: 32
    .workgroup_processor_mode: 1
  - .args:
      - .address_space:  global
        .offset:         0
        .size:           8
        .value_kind:     global_buffer
      - .offset:         8
        .size:           4
        .value_kind:     by_value
      - .offset:         12
        .size:           4
        .value_kind:     by_value
      - .offset:         16
        .size:           8
        .value_kind:     by_value
      - .address_space:  global
        .offset:         24
        .size:           8
        .value_kind:     global_buffer
      - .offset:         32
        .size:           4
        .value_kind:     by_value
      - .offset:         40
        .size:           8
        .value_kind:     by_value
      - .address_space:  global
        .offset:         48
        .size:           8
        .value_kind:     global_buffer
      - .offset:         56
        .size:           1
        .value_kind:     by_value
      - .offset:         57
        .size:           1
        .value_kind:     by_value
    .group_segment_fixed_size: 2440
    .kernarg_segment_align: 8
    .kernarg_segment_size: 60
    .language:       OpenCL C
    .language_version:
      - 2
      - 0
    .max_flat_workgroup_size: 64
    .name:           _ZN9rocsolver6v33100L18getri_kernel_smallILi44E19rocblas_complex_numIdEPS3_EEvT1_iilPiilS6_bb
    .private_segment_fixed_size: 720
    .sgpr_count:     52
    .sgpr_spill_count: 0
    .symbol:         _ZN9rocsolver6v33100L18getri_kernel_smallILi44E19rocblas_complex_numIdEPS3_EEvT1_iilPiilS6_bb.kd
    .uniform_work_group_size: 1
    .uses_dynamic_stack: false
    .vgpr_count:     238
    .vgpr_spill_count: 0
    .wavefront_size: 32
    .workgroup_processor_mode: 1
  - .args:
      - .address_space:  global
        .offset:         0
        .size:           8
        .value_kind:     global_buffer
      - .offset:         8
        .size:           4
        .value_kind:     by_value
      - .offset:         12
        .size:           4
        .value_kind:     by_value
      - .offset:         16
        .size:           8
        .value_kind:     by_value
      - .address_space:  global
        .offset:         24
        .size:           8
        .value_kind:     global_buffer
      - .offset:         32
        .size:           4
        .value_kind:     by_value
      - .offset:         40
        .size:           8
        .value_kind:     by_value
      - .address_space:  global
        .offset:         48
        .size:           8
        .value_kind:     global_buffer
      - .offset:         56
        .size:           1
        .value_kind:     by_value
      - .offset:         57
        .size:           1
        .value_kind:     by_value
    .group_segment_fixed_size: 2472
    .kernarg_segment_align: 8
    .kernarg_segment_size: 60
    .language:       OpenCL C
    .language_version:
      - 2
      - 0
    .max_flat_workgroup_size: 64
    .name:           _ZN9rocsolver6v33100L18getri_kernel_smallILi45E19rocblas_complex_numIdEPS3_EEvT1_iilPiilS6_bb
    .private_segment_fixed_size: 736
    .sgpr_count:     53
    .sgpr_spill_count: 0
    .symbol:         _ZN9rocsolver6v33100L18getri_kernel_smallILi45E19rocblas_complex_numIdEPS3_EEvT1_iilPiilS6_bb.kd
    .uniform_work_group_size: 1
    .uses_dynamic_stack: false
    .vgpr_count:     241
    .vgpr_spill_count: 0
    .wavefront_size: 32
    .workgroup_processor_mode: 1
  - .args:
      - .address_space:  global
        .offset:         0
        .size:           8
        .value_kind:     global_buffer
      - .offset:         8
        .size:           4
        .value_kind:     by_value
      - .offset:         12
        .size:           4
        .value_kind:     by_value
      - .offset:         16
        .size:           8
        .value_kind:     by_value
      - .address_space:  global
        .offset:         24
        .size:           8
        .value_kind:     global_buffer
      - .offset:         32
        .size:           4
        .value_kind:     by_value
      - .offset:         40
        .size:           8
        .value_kind:     by_value
      - .address_space:  global
        .offset:         48
        .size:           8
        .value_kind:     global_buffer
      - .offset:         56
        .size:           1
        .value_kind:     by_value
      - .offset:         57
        .size:           1
        .value_kind:     by_value
    .group_segment_fixed_size: 2504
    .kernarg_segment_align: 8
    .kernarg_segment_size: 60
    .language:       OpenCL C
    .language_version:
      - 2
      - 0
    .max_flat_workgroup_size: 64
    .name:           _ZN9rocsolver6v33100L18getri_kernel_smallILi46E19rocblas_complex_numIdEPS3_EEvT1_iilPiilS6_bb
    .private_segment_fixed_size: 752
    .sgpr_count:     54
    .sgpr_spill_count: 0
    .symbol:         _ZN9rocsolver6v33100L18getri_kernel_smallILi46E19rocblas_complex_numIdEPS3_EEvT1_iilPiilS6_bb.kd
    .uniform_work_group_size: 1
    .uses_dynamic_stack: false
    .vgpr_count:     244
    .vgpr_spill_count: 0
    .wavefront_size: 32
    .workgroup_processor_mode: 1
  - .args:
      - .address_space:  global
        .offset:         0
        .size:           8
        .value_kind:     global_buffer
      - .offset:         8
        .size:           4
        .value_kind:     by_value
      - .offset:         12
        .size:           4
        .value_kind:     by_value
      - .offset:         16
        .size:           8
        .value_kind:     by_value
      - .address_space:  global
        .offset:         24
        .size:           8
        .value_kind:     global_buffer
      - .offset:         32
        .size:           4
        .value_kind:     by_value
      - .offset:         40
        .size:           8
        .value_kind:     by_value
      - .address_space:  global
        .offset:         48
        .size:           8
        .value_kind:     global_buffer
      - .offset:         56
        .size:           1
        .value_kind:     by_value
      - .offset:         57
        .size:           1
        .value_kind:     by_value
    .group_segment_fixed_size: 2536
    .kernarg_segment_align: 8
    .kernarg_segment_size: 60
    .language:       OpenCL C
    .language_version:
      - 2
      - 0
    .max_flat_workgroup_size: 64
    .name:           _ZN9rocsolver6v33100L18getri_kernel_smallILi47E19rocblas_complex_numIdEPS3_EEvT1_iilPiilS6_bb
    .private_segment_fixed_size: 768
    .sgpr_count:     55
    .sgpr_spill_count: 0
    .symbol:         _ZN9rocsolver6v33100L18getri_kernel_smallILi47E19rocblas_complex_numIdEPS3_EEvT1_iilPiilS6_bb.kd
    .uniform_work_group_size: 1
    .uses_dynamic_stack: false
    .vgpr_count:     251
    .vgpr_spill_count: 0
    .wavefront_size: 32
    .workgroup_processor_mode: 1
  - .args:
      - .address_space:  global
        .offset:         0
        .size:           8
        .value_kind:     global_buffer
      - .offset:         8
        .size:           4
        .value_kind:     by_value
      - .offset:         12
        .size:           4
        .value_kind:     by_value
      - .offset:         16
        .size:           8
        .value_kind:     by_value
      - .address_space:  global
        .offset:         24
        .size:           8
        .value_kind:     global_buffer
      - .offset:         32
        .size:           4
        .value_kind:     by_value
      - .offset:         40
        .size:           8
        .value_kind:     by_value
      - .address_space:  global
        .offset:         48
        .size:           8
        .value_kind:     global_buffer
      - .offset:         56
        .size:           1
        .value_kind:     by_value
      - .offset:         57
        .size:           1
        .value_kind:     by_value
    .group_segment_fixed_size: 2568
    .kernarg_segment_align: 8
    .kernarg_segment_size: 60
    .language:       OpenCL C
    .language_version:
      - 2
      - 0
    .max_flat_workgroup_size: 64
    .name:           _ZN9rocsolver6v33100L18getri_kernel_smallILi48E19rocblas_complex_numIdEPS3_EEvT1_iilPiilS6_bb
    .private_segment_fixed_size: 784
    .sgpr_count:     56
    .sgpr_spill_count: 0
    .symbol:         _ZN9rocsolver6v33100L18getri_kernel_smallILi48E19rocblas_complex_numIdEPS3_EEvT1_iilPiilS6_bb.kd
    .uniform_work_group_size: 1
    .uses_dynamic_stack: false
    .vgpr_count:     242
    .vgpr_spill_count: 0
    .wavefront_size: 32
    .workgroup_processor_mode: 1
  - .args:
      - .address_space:  global
        .offset:         0
        .size:           8
        .value_kind:     global_buffer
      - .offset:         8
        .size:           4
        .value_kind:     by_value
      - .offset:         12
        .size:           4
        .value_kind:     by_value
      - .offset:         16
        .size:           8
        .value_kind:     by_value
      - .address_space:  global
        .offset:         24
        .size:           8
        .value_kind:     global_buffer
      - .offset:         32
        .size:           4
        .value_kind:     by_value
      - .offset:         40
        .size:           8
        .value_kind:     by_value
      - .address_space:  global
        .offset:         48
        .size:           8
        .value_kind:     global_buffer
      - .offset:         56
        .size:           1
        .value_kind:     by_value
      - .offset:         57
        .size:           1
        .value_kind:     by_value
    .group_segment_fixed_size: 2600
    .kernarg_segment_align: 8
    .kernarg_segment_size: 60
    .language:       OpenCL C
    .language_version:
      - 2
      - 0
    .max_flat_workgroup_size: 64
    .name:           _ZN9rocsolver6v33100L18getri_kernel_smallILi49E19rocblas_complex_numIdEPS3_EEvT1_iilPiilS6_bb
    .private_segment_fixed_size: 800
    .sgpr_count:     57
    .sgpr_spill_count: 0
    .symbol:         _ZN9rocsolver6v33100L18getri_kernel_smallILi49E19rocblas_complex_numIdEPS3_EEvT1_iilPiilS6_bb.kd
    .uniform_work_group_size: 1
    .uses_dynamic_stack: false
    .vgpr_count:     249
    .vgpr_spill_count: 0
    .wavefront_size: 32
    .workgroup_processor_mode: 1
  - .args:
      - .address_space:  global
        .offset:         0
        .size:           8
        .value_kind:     global_buffer
      - .offset:         8
        .size:           4
        .value_kind:     by_value
      - .offset:         12
        .size:           4
        .value_kind:     by_value
      - .offset:         16
        .size:           8
        .value_kind:     by_value
      - .address_space:  global
        .offset:         24
        .size:           8
        .value_kind:     global_buffer
      - .offset:         32
        .size:           4
        .value_kind:     by_value
      - .offset:         40
        .size:           8
        .value_kind:     by_value
      - .address_space:  global
        .offset:         48
        .size:           8
        .value_kind:     global_buffer
      - .offset:         56
        .size:           1
        .value_kind:     by_value
      - .offset:         57
        .size:           1
        .value_kind:     by_value
    .group_segment_fixed_size: 2632
    .kernarg_segment_align: 8
    .kernarg_segment_size: 60
    .language:       OpenCL C
    .language_version:
      - 2
      - 0
    .max_flat_workgroup_size: 64
    .name:           _ZN9rocsolver6v33100L18getri_kernel_smallILi50E19rocblas_complex_numIdEPS3_EEvT1_iilPiilS6_bb
    .private_segment_fixed_size: 816
    .sgpr_count:     58
    .sgpr_spill_count: 0
    .symbol:         _ZN9rocsolver6v33100L18getri_kernel_smallILi50E19rocblas_complex_numIdEPS3_EEvT1_iilPiilS6_bb.kd
    .uniform_work_group_size: 1
    .uses_dynamic_stack: false
    .vgpr_count:     248
    .vgpr_spill_count: 0
    .wavefront_size: 32
    .workgroup_processor_mode: 1
  - .args:
      - .address_space:  global
        .offset:         0
        .size:           8
        .value_kind:     global_buffer
      - .offset:         8
        .size:           4
        .value_kind:     by_value
      - .offset:         12
        .size:           4
        .value_kind:     by_value
      - .offset:         16
        .size:           8
        .value_kind:     by_value
      - .address_space:  global
        .offset:         24
        .size:           8
        .value_kind:     global_buffer
      - .offset:         32
        .size:           4
        .value_kind:     by_value
      - .offset:         40
        .size:           8
        .value_kind:     by_value
      - .address_space:  global
        .offset:         48
        .size:           8
        .value_kind:     global_buffer
      - .offset:         56
        .size:           1
        .value_kind:     by_value
      - .offset:         57
        .size:           1
        .value_kind:     by_value
    .group_segment_fixed_size: 2664
    .kernarg_segment_align: 8
    .kernarg_segment_size: 60
    .language:       OpenCL C
    .language_version:
      - 2
      - 0
    .max_flat_workgroup_size: 64
    .name:           _ZN9rocsolver6v33100L18getri_kernel_smallILi51E19rocblas_complex_numIdEPS3_EEvT1_iilPiilS6_bb
    .private_segment_fixed_size: 832
    .sgpr_count:     59
    .sgpr_spill_count: 0
    .symbol:         _ZN9rocsolver6v33100L18getri_kernel_smallILi51E19rocblas_complex_numIdEPS3_EEvT1_iilPiilS6_bb.kd
    .uniform_work_group_size: 1
    .uses_dynamic_stack: false
    .vgpr_count:     256
    .vgpr_spill_count: 0
    .wavefront_size: 32
    .workgroup_processor_mode: 1
  - .args:
      - .address_space:  global
        .offset:         0
        .size:           8
        .value_kind:     global_buffer
      - .offset:         8
        .size:           4
        .value_kind:     by_value
      - .offset:         12
        .size:           4
        .value_kind:     by_value
      - .offset:         16
        .size:           8
        .value_kind:     by_value
      - .address_space:  global
        .offset:         24
        .size:           8
        .value_kind:     global_buffer
      - .offset:         32
        .size:           4
        .value_kind:     by_value
      - .offset:         40
        .size:           8
        .value_kind:     by_value
      - .address_space:  global
        .offset:         48
        .size:           8
        .value_kind:     global_buffer
      - .offset:         56
        .size:           1
        .value_kind:     by_value
      - .offset:         57
        .size:           1
        .value_kind:     by_value
    .group_segment_fixed_size: 2696
    .kernarg_segment_align: 8
    .kernarg_segment_size: 60
    .language:       OpenCL C
    .language_version:
      - 2
      - 0
    .max_flat_workgroup_size: 64
    .name:           _ZN9rocsolver6v33100L18getri_kernel_smallILi52E19rocblas_complex_numIdEPS3_EEvT1_iilPiilS6_bb
    .private_segment_fixed_size: 848
    .sgpr_count:     60
    .sgpr_spill_count: 0
    .symbol:         _ZN9rocsolver6v33100L18getri_kernel_smallILi52E19rocblas_complex_numIdEPS3_EEvT1_iilPiilS6_bb.kd
    .uniform_work_group_size: 1
    .uses_dynamic_stack: false
    .vgpr_count:     256
    .vgpr_spill_count: 0
    .wavefront_size: 32
    .workgroup_processor_mode: 1
  - .args:
      - .address_space:  global
        .offset:         0
        .size:           8
        .value_kind:     global_buffer
      - .offset:         8
        .size:           4
        .value_kind:     by_value
      - .offset:         12
        .size:           4
        .value_kind:     by_value
      - .offset:         16
        .size:           8
        .value_kind:     by_value
      - .address_space:  global
        .offset:         24
        .size:           8
        .value_kind:     global_buffer
      - .offset:         32
        .size:           4
        .value_kind:     by_value
      - .offset:         40
        .size:           8
        .value_kind:     by_value
      - .address_space:  global
        .offset:         48
        .size:           8
        .value_kind:     global_buffer
      - .offset:         56
        .size:           1
        .value_kind:     by_value
      - .offset:         57
        .size:           1
        .value_kind:     by_value
    .group_segment_fixed_size: 2728
    .kernarg_segment_align: 8
    .kernarg_segment_size: 60
    .language:       OpenCL C
    .language_version:
      - 2
      - 0
    .max_flat_workgroup_size: 64
    .name:           _ZN9rocsolver6v33100L18getri_kernel_smallILi53E19rocblas_complex_numIdEPS3_EEvT1_iilPiilS6_bb
    .private_segment_fixed_size: 864
    .sgpr_count:     61
    .sgpr_spill_count: 0
    .symbol:         _ZN9rocsolver6v33100L18getri_kernel_smallILi53E19rocblas_complex_numIdEPS3_EEvT1_iilPiilS6_bb.kd
    .uniform_work_group_size: 1
    .uses_dynamic_stack: false
    .vgpr_count:     256
    .vgpr_spill_count: 0
    .wavefront_size: 32
    .workgroup_processor_mode: 1
  - .args:
      - .address_space:  global
        .offset:         0
        .size:           8
        .value_kind:     global_buffer
      - .offset:         8
        .size:           4
        .value_kind:     by_value
      - .offset:         12
        .size:           4
        .value_kind:     by_value
      - .offset:         16
        .size:           8
        .value_kind:     by_value
      - .address_space:  global
        .offset:         24
        .size:           8
        .value_kind:     global_buffer
      - .offset:         32
        .size:           4
        .value_kind:     by_value
      - .offset:         40
        .size:           8
        .value_kind:     by_value
      - .address_space:  global
        .offset:         48
        .size:           8
        .value_kind:     global_buffer
      - .offset:         56
        .size:           1
        .value_kind:     by_value
      - .offset:         57
        .size:           1
        .value_kind:     by_value
    .group_segment_fixed_size: 2760
    .kernarg_segment_align: 8
    .kernarg_segment_size: 60
    .language:       OpenCL C
    .language_version:
      - 2
      - 0
    .max_flat_workgroup_size: 64
    .name:           _ZN9rocsolver6v33100L18getri_kernel_smallILi54E19rocblas_complex_numIdEPS3_EEvT1_iilPiilS6_bb
    .private_segment_fixed_size: 896
    .sgpr_count:     62
    .sgpr_spill_count: 0
    .symbol:         _ZN9rocsolver6v33100L18getri_kernel_smallILi54E19rocblas_complex_numIdEPS3_EEvT1_iilPiilS6_bb.kd
    .uniform_work_group_size: 1
    .uses_dynamic_stack: false
    .vgpr_count:     256
    .vgpr_spill_count: 4
    .wavefront_size: 32
    .workgroup_processor_mode: 1
  - .args:
      - .address_space:  global
        .offset:         0
        .size:           8
        .value_kind:     global_buffer
      - .offset:         8
        .size:           4
        .value_kind:     by_value
      - .offset:         12
        .size:           4
        .value_kind:     by_value
      - .offset:         16
        .size:           8
        .value_kind:     by_value
      - .address_space:  global
        .offset:         24
        .size:           8
        .value_kind:     global_buffer
      - .offset:         32
        .size:           4
        .value_kind:     by_value
      - .offset:         40
        .size:           8
        .value_kind:     by_value
      - .address_space:  global
        .offset:         48
        .size:           8
        .value_kind:     global_buffer
      - .offset:         56
        .size:           1
        .value_kind:     by_value
      - .offset:         57
        .size:           1
        .value_kind:     by_value
    .group_segment_fixed_size: 2792
    .kernarg_segment_align: 8
    .kernarg_segment_size: 60
    .language:       OpenCL C
    .language_version:
      - 2
      - 0
    .max_flat_workgroup_size: 64
    .name:           _ZN9rocsolver6v33100L18getri_kernel_smallILi55E19rocblas_complex_numIdEPS3_EEvT1_iilPiilS6_bb
    .private_segment_fixed_size: 896
    .sgpr_count:     63
    .sgpr_spill_count: 0
    .symbol:         _ZN9rocsolver6v33100L18getri_kernel_smallILi55E19rocblas_complex_numIdEPS3_EEvT1_iilPiilS6_bb.kd
    .uniform_work_group_size: 1
    .uses_dynamic_stack: false
    .vgpr_count:     255
    .vgpr_spill_count: 0
    .wavefront_size: 32
    .workgroup_processor_mode: 1
  - .args:
      - .address_space:  global
        .offset:         0
        .size:           8
        .value_kind:     global_buffer
      - .offset:         8
        .size:           4
        .value_kind:     by_value
      - .offset:         12
        .size:           4
        .value_kind:     by_value
      - .offset:         16
        .size:           8
        .value_kind:     by_value
      - .address_space:  global
        .offset:         24
        .size:           8
        .value_kind:     global_buffer
      - .offset:         32
        .size:           4
        .value_kind:     by_value
      - .offset:         40
        .size:           8
        .value_kind:     by_value
      - .address_space:  global
        .offset:         48
        .size:           8
        .value_kind:     global_buffer
      - .offset:         56
        .size:           1
        .value_kind:     by_value
      - .offset:         57
        .size:           1
        .value_kind:     by_value
    .group_segment_fixed_size: 2824
    .kernarg_segment_align: 8
    .kernarg_segment_size: 60
    .language:       OpenCL C
    .language_version:
      - 2
      - 0
    .max_flat_workgroup_size: 64
    .name:           _ZN9rocsolver6v33100L18getri_kernel_smallILi56E19rocblas_complex_numIdEPS3_EEvT1_iilPiilS6_bb
    .private_segment_fixed_size: 944
    .sgpr_count:     64
    .sgpr_spill_count: 0
    .symbol:         _ZN9rocsolver6v33100L18getri_kernel_smallILi56E19rocblas_complex_numIdEPS3_EEvT1_iilPiilS6_bb.kd
    .uniform_work_group_size: 1
    .uses_dynamic_stack: false
    .vgpr_count:     256
    .vgpr_spill_count: 8
    .wavefront_size: 32
    .workgroup_processor_mode: 1
  - .args:
      - .address_space:  global
        .offset:         0
        .size:           8
        .value_kind:     global_buffer
      - .offset:         8
        .size:           4
        .value_kind:     by_value
      - .offset:         12
        .size:           4
        .value_kind:     by_value
      - .offset:         16
        .size:           8
        .value_kind:     by_value
      - .address_space:  global
        .offset:         24
        .size:           8
        .value_kind:     global_buffer
      - .offset:         32
        .size:           4
        .value_kind:     by_value
      - .offset:         40
        .size:           8
        .value_kind:     by_value
      - .address_space:  global
        .offset:         48
        .size:           8
        .value_kind:     global_buffer
      - .offset:         56
        .size:           1
        .value_kind:     by_value
      - .offset:         57
        .size:           1
        .value_kind:     by_value
    .group_segment_fixed_size: 2856
    .kernarg_segment_align: 8
    .kernarg_segment_size: 60
    .language:       OpenCL C
    .language_version:
      - 2
      - 0
    .max_flat_workgroup_size: 64
    .name:           _ZN9rocsolver6v33100L18getri_kernel_smallILi57E19rocblas_complex_numIdEPS3_EEvT1_iilPiilS6_bb
    .private_segment_fixed_size: 928
    .sgpr_count:     65
    .sgpr_spill_count: 0
    .symbol:         _ZN9rocsolver6v33100L18getri_kernel_smallILi57E19rocblas_complex_numIdEPS3_EEvT1_iilPiilS6_bb.kd
    .uniform_work_group_size: 1
    .uses_dynamic_stack: false
    .vgpr_count:     256
    .vgpr_spill_count: 0
    .wavefront_size: 32
    .workgroup_processor_mode: 1
  - .args:
      - .address_space:  global
        .offset:         0
        .size:           8
        .value_kind:     global_buffer
      - .offset:         8
        .size:           4
        .value_kind:     by_value
      - .offset:         12
        .size:           4
        .value_kind:     by_value
      - .offset:         16
        .size:           8
        .value_kind:     by_value
      - .address_space:  global
        .offset:         24
        .size:           8
        .value_kind:     global_buffer
      - .offset:         32
        .size:           4
        .value_kind:     by_value
      - .offset:         40
        .size:           8
        .value_kind:     by_value
      - .address_space:  global
        .offset:         48
        .size:           8
        .value_kind:     global_buffer
      - .offset:         56
        .size:           1
        .value_kind:     by_value
      - .offset:         57
        .size:           1
        .value_kind:     by_value
    .group_segment_fixed_size: 2888
    .kernarg_segment_align: 8
    .kernarg_segment_size: 60
    .language:       OpenCL C
    .language_version:
      - 2
      - 0
    .max_flat_workgroup_size: 64
    .name:           _ZN9rocsolver6v33100L18getri_kernel_smallILi58E19rocblas_complex_numIdEPS3_EEvT1_iilPiilS6_bb
    .private_segment_fixed_size: 1072
    .sgpr_count:     66
    .sgpr_spill_count: 0
    .symbol:         _ZN9rocsolver6v33100L18getri_kernel_smallILi58E19rocblas_complex_numIdEPS3_EEvT1_iilPiilS6_bb.kd
    .uniform_work_group_size: 1
    .uses_dynamic_stack: false
    .vgpr_count:     256
    .vgpr_spill_count: 33
    .wavefront_size: 32
    .workgroup_processor_mode: 1
  - .args:
      - .address_space:  global
        .offset:         0
        .size:           8
        .value_kind:     global_buffer
      - .offset:         8
        .size:           4
        .value_kind:     by_value
      - .offset:         12
        .size:           4
        .value_kind:     by_value
      - .offset:         16
        .size:           8
        .value_kind:     by_value
      - .address_space:  global
        .offset:         24
        .size:           8
        .value_kind:     global_buffer
      - .offset:         32
        .size:           4
        .value_kind:     by_value
      - .offset:         40
        .size:           8
        .value_kind:     by_value
      - .address_space:  global
        .offset:         48
        .size:           8
        .value_kind:     global_buffer
      - .offset:         56
        .size:           1
        .value_kind:     by_value
      - .offset:         57
        .size:           1
        .value_kind:     by_value
    .group_segment_fixed_size: 2920
    .kernarg_segment_align: 8
    .kernarg_segment_size: 60
    .language:       OpenCL C
    .language_version:
      - 2
      - 0
    .max_flat_workgroup_size: 64
    .name:           _ZN9rocsolver6v33100L18getri_kernel_smallILi59E19rocblas_complex_numIdEPS3_EEvT1_iilPiilS6_bb
    .private_segment_fixed_size: 1104
    .sgpr_count:     67
    .sgpr_spill_count: 0
    .symbol:         _ZN9rocsolver6v33100L18getri_kernel_smallILi59E19rocblas_complex_numIdEPS3_EEvT1_iilPiilS6_bb.kd
    .uniform_work_group_size: 1
    .uses_dynamic_stack: false
    .vgpr_count:     256
    .vgpr_spill_count: 36
    .wavefront_size: 32
    .workgroup_processor_mode: 1
  - .args:
      - .address_space:  global
        .offset:         0
        .size:           8
        .value_kind:     global_buffer
      - .offset:         8
        .size:           4
        .value_kind:     by_value
      - .offset:         12
        .size:           4
        .value_kind:     by_value
      - .offset:         16
        .size:           8
        .value_kind:     by_value
      - .address_space:  global
        .offset:         24
        .size:           8
        .value_kind:     global_buffer
      - .offset:         32
        .size:           4
        .value_kind:     by_value
      - .offset:         40
        .size:           8
        .value_kind:     by_value
      - .address_space:  global
        .offset:         48
        .size:           8
        .value_kind:     global_buffer
      - .offset:         56
        .size:           1
        .value_kind:     by_value
      - .offset:         57
        .size:           1
        .value_kind:     by_value
    .group_segment_fixed_size: 2952
    .kernarg_segment_align: 8
    .kernarg_segment_size: 60
    .language:       OpenCL C
    .language_version:
      - 2
      - 0
    .max_flat_workgroup_size: 64
    .name:           _ZN9rocsolver6v33100L18getri_kernel_smallILi60E19rocblas_complex_numIdEPS3_EEvT1_iilPiilS6_bb
    .private_segment_fixed_size: 1072
    .sgpr_count:     68
    .sgpr_spill_count: 0
    .symbol:         _ZN9rocsolver6v33100L18getri_kernel_smallILi60E19rocblas_complex_numIdEPS3_EEvT1_iilPiilS6_bb.kd
    .uniform_work_group_size: 1
    .uses_dynamic_stack: false
    .vgpr_count:     256
    .vgpr_spill_count: 26
    .wavefront_size: 32
    .workgroup_processor_mode: 1
  - .args:
      - .address_space:  global
        .offset:         0
        .size:           8
        .value_kind:     global_buffer
      - .offset:         8
        .size:           4
        .value_kind:     by_value
      - .offset:         12
        .size:           4
        .value_kind:     by_value
      - .offset:         16
        .size:           8
        .value_kind:     by_value
      - .address_space:  global
        .offset:         24
        .size:           8
        .value_kind:     global_buffer
      - .offset:         32
        .size:           4
        .value_kind:     by_value
      - .offset:         40
        .size:           8
        .value_kind:     by_value
      - .address_space:  global
        .offset:         48
        .size:           8
        .value_kind:     global_buffer
      - .offset:         56
        .size:           1
        .value_kind:     by_value
      - .offset:         57
        .size:           1
        .value_kind:     by_value
    .group_segment_fixed_size: 2984
    .kernarg_segment_align: 8
    .kernarg_segment_size: 60
    .language:       OpenCL C
    .language_version:
      - 2
      - 0
    .max_flat_workgroup_size: 64
    .name:           _ZN9rocsolver6v33100L18getri_kernel_smallILi61E19rocblas_complex_numIdEPS3_EEvT1_iilPiilS6_bb
    .private_segment_fixed_size: 1120
    .sgpr_count:     69
    .sgpr_spill_count: 0
    .symbol:         _ZN9rocsolver6v33100L18getri_kernel_smallILi61E19rocblas_complex_numIdEPS3_EEvT1_iilPiilS6_bb.kd
    .uniform_work_group_size: 1
    .uses_dynamic_stack: false
    .vgpr_count:     256
    .vgpr_spill_count: 34
    .wavefront_size: 32
    .workgroup_processor_mode: 1
  - .args:
      - .address_space:  global
        .offset:         0
        .size:           8
        .value_kind:     global_buffer
      - .offset:         8
        .size:           4
        .value_kind:     by_value
      - .offset:         12
        .size:           4
        .value_kind:     by_value
      - .offset:         16
        .size:           8
        .value_kind:     by_value
      - .address_space:  global
        .offset:         24
        .size:           8
        .value_kind:     global_buffer
      - .offset:         32
        .size:           4
        .value_kind:     by_value
      - .offset:         40
        .size:           8
        .value_kind:     by_value
      - .address_space:  global
        .offset:         48
        .size:           8
        .value_kind:     global_buffer
      - .offset:         56
        .size:           1
        .value_kind:     by_value
      - .offset:         57
        .size:           1
        .value_kind:     by_value
    .group_segment_fixed_size: 3016
    .kernarg_segment_align: 8
    .kernarg_segment_size: 60
    .language:       OpenCL C
    .language_version:
      - 2
      - 0
    .max_flat_workgroup_size: 64
    .name:           _ZN9rocsolver6v33100L18getri_kernel_smallILi62E19rocblas_complex_numIdEPS3_EEvT1_iilPiilS6_bb
    .private_segment_fixed_size: 1488
    .sgpr_count:     70
    .sgpr_spill_count: 0
    .symbol:         _ZN9rocsolver6v33100L18getri_kernel_smallILi62E19rocblas_complex_numIdEPS3_EEvT1_iilPiilS6_bb.kd
    .uniform_work_group_size: 1
    .uses_dynamic_stack: false
    .vgpr_count:     256
    .vgpr_spill_count: 121
    .wavefront_size: 32
    .workgroup_processor_mode: 1
  - .args:
      - .address_space:  global
        .offset:         0
        .size:           8
        .value_kind:     global_buffer
      - .offset:         8
        .size:           4
        .value_kind:     by_value
      - .offset:         12
        .size:           4
        .value_kind:     by_value
      - .offset:         16
        .size:           8
        .value_kind:     by_value
      - .address_space:  global
        .offset:         24
        .size:           8
        .value_kind:     global_buffer
      - .offset:         32
        .size:           4
        .value_kind:     by_value
      - .offset:         40
        .size:           8
        .value_kind:     by_value
      - .address_space:  global
        .offset:         48
        .size:           8
        .value_kind:     global_buffer
      - .offset:         56
        .size:           1
        .value_kind:     by_value
      - .offset:         57
        .size:           1
        .value_kind:     by_value
    .group_segment_fixed_size: 3048
    .kernarg_segment_align: 8
    .kernarg_segment_size: 60
    .language:       OpenCL C
    .language_version:
      - 2
      - 0
    .max_flat_workgroup_size: 64
    .name:           _ZN9rocsolver6v33100L18getri_kernel_smallILi63E19rocblas_complex_numIdEPS3_EEvT1_iilPiilS6_bb
    .private_segment_fixed_size: 1520
    .sgpr_count:     71
    .sgpr_spill_count: 0
    .symbol:         _ZN9rocsolver6v33100L18getri_kernel_smallILi63E19rocblas_complex_numIdEPS3_EEvT1_iilPiilS6_bb.kd
    .uniform_work_group_size: 1
    .uses_dynamic_stack: false
    .vgpr_count:     256
    .vgpr_spill_count: 124
    .wavefront_size: 32
    .workgroup_processor_mode: 1
  - .args:
      - .address_space:  global
        .offset:         0
        .size:           8
        .value_kind:     global_buffer
      - .offset:         8
        .size:           4
        .value_kind:     by_value
      - .offset:         12
        .size:           4
        .value_kind:     by_value
      - .offset:         16
        .size:           8
        .value_kind:     by_value
      - .address_space:  global
        .offset:         24
        .size:           8
        .value_kind:     global_buffer
      - .offset:         32
        .size:           4
        .value_kind:     by_value
      - .offset:         40
        .size:           8
        .value_kind:     by_value
      - .address_space:  global
        .offset:         48
        .size:           8
        .value_kind:     global_buffer
      - .offset:         56
        .size:           1
        .value_kind:     by_value
      - .offset:         57
        .size:           1
        .value_kind:     by_value
    .group_segment_fixed_size: 3080
    .kernarg_segment_align: 8
    .kernarg_segment_size: 60
    .language:       OpenCL C
    .language_version:
      - 2
      - 0
    .max_flat_workgroup_size: 64
    .name:           _ZN9rocsolver6v33100L18getri_kernel_smallILi64E19rocblas_complex_numIdEPS3_EEvT1_iilPiilS6_bb
    .private_segment_fixed_size: 1520
    .sgpr_count:     72
    .sgpr_spill_count: 0
    .symbol:         _ZN9rocsolver6v33100L18getri_kernel_smallILi64E19rocblas_complex_numIdEPS3_EEvT1_iilPiilS6_bb.kd
    .uniform_work_group_size: 1
    .uses_dynamic_stack: false
    .vgpr_count:     256
    .vgpr_spill_count: 123
    .wavefront_size: 32
    .workgroup_processor_mode: 1
  - .args:
      - .address_space:  global
        .offset:         0
        .size:           8
        .value_kind:     global_buffer
      - .offset:         8
        .size:           4
        .value_kind:     by_value
      - .offset:         12
        .size:           4
        .value_kind:     by_value
      - .offset:         16
        .size:           8
        .value_kind:     by_value
      - .address_space:  global
        .offset:         24
        .size:           8
        .value_kind:     global_buffer
      - .offset:         32
        .size:           4
        .value_kind:     by_value
      - .offset:         40
        .size:           8
        .value_kind:     by_value
      - .address_space:  global
        .offset:         48
        .size:           8
        .value_kind:     global_buffer
      - .offset:         56
        .size:           1
        .value_kind:     by_value
      - .offset:         57
        .size:           1
        .value_kind:     by_value
    .group_segment_fixed_size: 4
    .kernarg_segment_align: 8
    .kernarg_segment_size: 60
    .language:       OpenCL C
    .language_version:
      - 2
      - 0
    .max_flat_workgroup_size: 64
    .name:           _ZN9rocsolver6v33100L18getri_kernel_smallILi1E19rocblas_complex_numIdEPKPS3_EEvT1_iilPiilS8_bb
    .private_segment_fixed_size: 0
    .sgpr_count:     18
    .sgpr_spill_count: 0
    .symbol:         _ZN9rocsolver6v33100L18getri_kernel_smallILi1E19rocblas_complex_numIdEPKPS3_EEvT1_iilPiilS8_bb.kd
    .uniform_work_group_size: 1
    .uses_dynamic_stack: false
    .vgpr_count:     12
    .vgpr_spill_count: 0
    .wavefront_size: 32
    .workgroup_processor_mode: 1
  - .args:
      - .address_space:  global
        .offset:         0
        .size:           8
        .value_kind:     global_buffer
      - .offset:         8
        .size:           4
        .value_kind:     by_value
      - .offset:         12
        .size:           4
        .value_kind:     by_value
      - .offset:         16
        .size:           8
        .value_kind:     by_value
      - .address_space:  global
        .offset:         24
        .size:           8
        .value_kind:     global_buffer
      - .offset:         32
        .size:           4
        .value_kind:     by_value
      - .offset:         40
        .size:           8
        .value_kind:     by_value
      - .address_space:  global
        .offset:         48
        .size:           8
        .value_kind:     global_buffer
      - .offset:         56
        .size:           1
        .value_kind:     by_value
      - .offset:         57
        .size:           1
        .value_kind:     by_value
    .group_segment_fixed_size: 1096
    .kernarg_segment_align: 8
    .kernarg_segment_size: 60
    .language:       OpenCL C
    .language_version:
      - 2
      - 0
    .max_flat_workgroup_size: 64
    .name:           _ZN9rocsolver6v33100L18getri_kernel_smallILi2E19rocblas_complex_numIdEPKPS3_EEvT1_iilPiilS8_bb
    .private_segment_fixed_size: 48
    .sgpr_count:     21
    .sgpr_spill_count: 0
    .symbol:         _ZN9rocsolver6v33100L18getri_kernel_smallILi2E19rocblas_complex_numIdEPKPS3_EEvT1_iilPiilS8_bb.kd
    .uniform_work_group_size: 1
    .uses_dynamic_stack: false
    .vgpr_count:     22
    .vgpr_spill_count: 0
    .wavefront_size: 32
    .workgroup_processor_mode: 1
  - .args:
      - .address_space:  global
        .offset:         0
        .size:           8
        .value_kind:     global_buffer
      - .offset:         8
        .size:           4
        .value_kind:     by_value
      - .offset:         12
        .size:           4
        .value_kind:     by_value
      - .offset:         16
        .size:           8
        .value_kind:     by_value
      - .address_space:  global
        .offset:         24
        .size:           8
        .value_kind:     global_buffer
      - .offset:         32
        .size:           4
        .value_kind:     by_value
      - .offset:         40
        .size:           8
        .value_kind:     by_value
      - .address_space:  global
        .offset:         48
        .size:           8
        .value_kind:     global_buffer
      - .offset:         56
        .size:           1
        .value_kind:     by_value
      - .offset:         57
        .size:           1
        .value_kind:     by_value
    .group_segment_fixed_size: 104
    .kernarg_segment_align: 8
    .kernarg_segment_size: 60
    .language:       OpenCL C
    .language_version:
      - 2
      - 0
    .max_flat_workgroup_size: 64
    .name:           _ZN9rocsolver6v33100L18getri_kernel_smallILi3E19rocblas_complex_numIdEPKPS3_EEvT1_iilPiilS8_bb
    .private_segment_fixed_size: 80
    .sgpr_count:     19
    .sgpr_spill_count: 0
    .symbol:         _ZN9rocsolver6v33100L18getri_kernel_smallILi3E19rocblas_complex_numIdEPKPS3_EEvT1_iilPiilS8_bb.kd
    .uniform_work_group_size: 1
    .uses_dynamic_stack: false
    .vgpr_count:     33
    .vgpr_spill_count: 0
    .wavefront_size: 32
    .workgroup_processor_mode: 1
  - .args:
      - .address_space:  global
        .offset:         0
        .size:           8
        .value_kind:     global_buffer
      - .offset:         8
        .size:           4
        .value_kind:     by_value
      - .offset:         12
        .size:           4
        .value_kind:     by_value
      - .offset:         16
        .size:           8
        .value_kind:     by_value
      - .address_space:  global
        .offset:         24
        .size:           8
        .value_kind:     global_buffer
      - .offset:         32
        .size:           4
        .value_kind:     by_value
      - .offset:         40
        .size:           8
        .value_kind:     by_value
      - .address_space:  global
        .offset:         48
        .size:           8
        .value_kind:     global_buffer
      - .offset:         56
        .size:           1
        .value_kind:     by_value
      - .offset:         57
        .size:           1
        .value_kind:     by_value
    .group_segment_fixed_size: 1160
    .kernarg_segment_align: 8
    .kernarg_segment_size: 60
    .language:       OpenCL C
    .language_version:
      - 2
      - 0
    .max_flat_workgroup_size: 64
    .name:           _ZN9rocsolver6v33100L18getri_kernel_smallILi4E19rocblas_complex_numIdEPKPS3_EEvT1_iilPiilS8_bb
    .private_segment_fixed_size: 80
    .sgpr_count:     21
    .sgpr_spill_count: 0
    .symbol:         _ZN9rocsolver6v33100L18getri_kernel_smallILi4E19rocblas_complex_numIdEPKPS3_EEvT1_iilPiilS8_bb.kd
    .uniform_work_group_size: 1
    .uses_dynamic_stack: false
    .vgpr_count:     42
    .vgpr_spill_count: 0
    .wavefront_size: 32
    .workgroup_processor_mode: 1
  - .args:
      - .address_space:  global
        .offset:         0
        .size:           8
        .value_kind:     global_buffer
      - .offset:         8
        .size:           4
        .value_kind:     by_value
      - .offset:         12
        .size:           4
        .value_kind:     by_value
      - .offset:         16
        .size:           8
        .value_kind:     by_value
      - .address_space:  global
        .offset:         24
        .size:           8
        .value_kind:     global_buffer
      - .offset:         32
        .size:           4
        .value_kind:     by_value
      - .offset:         40
        .size:           8
        .value_kind:     by_value
      - .address_space:  global
        .offset:         48
        .size:           8
        .value_kind:     global_buffer
      - .offset:         56
        .size:           1
        .value_kind:     by_value
      - .offset:         57
        .size:           1
        .value_kind:     by_value
    .group_segment_fixed_size: 1192
    .kernarg_segment_align: 8
    .kernarg_segment_size: 60
    .language:       OpenCL C
    .language_version:
      - 2
      - 0
    .max_flat_workgroup_size: 64
    .name:           _ZN9rocsolver6v33100L18getri_kernel_smallILi5E19rocblas_complex_numIdEPKPS3_EEvT1_iilPiilS8_bb
    .private_segment_fixed_size: 96
    .sgpr_count:     21
    .sgpr_spill_count: 0
    .symbol:         _ZN9rocsolver6v33100L18getri_kernel_smallILi5E19rocblas_complex_numIdEPKPS3_EEvT1_iilPiilS8_bb.kd
    .uniform_work_group_size: 1
    .uses_dynamic_stack: false
    .vgpr_count:     54
    .vgpr_spill_count: 0
    .wavefront_size: 32
    .workgroup_processor_mode: 1
  - .args:
      - .address_space:  global
        .offset:         0
        .size:           8
        .value_kind:     global_buffer
      - .offset:         8
        .size:           4
        .value_kind:     by_value
      - .offset:         12
        .size:           4
        .value_kind:     by_value
      - .offset:         16
        .size:           8
        .value_kind:     by_value
      - .address_space:  global
        .offset:         24
        .size:           8
        .value_kind:     global_buffer
      - .offset:         32
        .size:           4
        .value_kind:     by_value
      - .offset:         40
        .size:           8
        .value_kind:     by_value
      - .address_space:  global
        .offset:         48
        .size:           8
        .value_kind:     global_buffer
      - .offset:         56
        .size:           1
        .value_kind:     by_value
      - .offset:         57
        .size:           1
        .value_kind:     by_value
    .group_segment_fixed_size: 1224
    .kernarg_segment_align: 8
    .kernarg_segment_size: 60
    .language:       OpenCL C
    .language_version:
      - 2
      - 0
    .max_flat_workgroup_size: 64
    .name:           _ZN9rocsolver6v33100L18getri_kernel_smallILi6E19rocblas_complex_numIdEPKPS3_EEvT1_iilPiilS8_bb
    .private_segment_fixed_size: 112
    .sgpr_count:     21
    .sgpr_spill_count: 0
    .symbol:         _ZN9rocsolver6v33100L18getri_kernel_smallILi6E19rocblas_complex_numIdEPKPS3_EEvT1_iilPiilS8_bb.kd
    .uniform_work_group_size: 1
    .uses_dynamic_stack: false
    .vgpr_count:     60
    .vgpr_spill_count: 0
    .wavefront_size: 32
    .workgroup_processor_mode: 1
  - .args:
      - .address_space:  global
        .offset:         0
        .size:           8
        .value_kind:     global_buffer
      - .offset:         8
        .size:           4
        .value_kind:     by_value
      - .offset:         12
        .size:           4
        .value_kind:     by_value
      - .offset:         16
        .size:           8
        .value_kind:     by_value
      - .address_space:  global
        .offset:         24
        .size:           8
        .value_kind:     global_buffer
      - .offset:         32
        .size:           4
        .value_kind:     by_value
      - .offset:         40
        .size:           8
        .value_kind:     by_value
      - .address_space:  global
        .offset:         48
        .size:           8
        .value_kind:     global_buffer
      - .offset:         56
        .size:           1
        .value_kind:     by_value
      - .offset:         57
        .size:           1
        .value_kind:     by_value
    .group_segment_fixed_size: 1256
    .kernarg_segment_align: 8
    .kernarg_segment_size: 60
    .language:       OpenCL C
    .language_version:
      - 2
      - 0
    .max_flat_workgroup_size: 64
    .name:           _ZN9rocsolver6v33100L18getri_kernel_smallILi7E19rocblas_complex_numIdEPKPS3_EEvT1_iilPiilS8_bb
    .private_segment_fixed_size: 128
    .sgpr_count:     21
    .sgpr_spill_count: 0
    .symbol:         _ZN9rocsolver6v33100L18getri_kernel_smallILi7E19rocblas_complex_numIdEPKPS3_EEvT1_iilPiilS8_bb.kd
    .uniform_work_group_size: 1
    .uses_dynamic_stack: false
    .vgpr_count:     68
    .vgpr_spill_count: 0
    .wavefront_size: 32
    .workgroup_processor_mode: 1
  - .args:
      - .address_space:  global
        .offset:         0
        .size:           8
        .value_kind:     global_buffer
      - .offset:         8
        .size:           4
        .value_kind:     by_value
      - .offset:         12
        .size:           4
        .value_kind:     by_value
      - .offset:         16
        .size:           8
        .value_kind:     by_value
      - .address_space:  global
        .offset:         24
        .size:           8
        .value_kind:     global_buffer
      - .offset:         32
        .size:           4
        .value_kind:     by_value
      - .offset:         40
        .size:           8
        .value_kind:     by_value
      - .address_space:  global
        .offset:         48
        .size:           8
        .value_kind:     global_buffer
      - .offset:         56
        .size:           1
        .value_kind:     by_value
      - .offset:         57
        .size:           1
        .value_kind:     by_value
    .group_segment_fixed_size: 1288
    .kernarg_segment_align: 8
    .kernarg_segment_size: 60
    .language:       OpenCL C
    .language_version:
      - 2
      - 0
    .max_flat_workgroup_size: 64
    .name:           _ZN9rocsolver6v33100L18getri_kernel_smallILi8E19rocblas_complex_numIdEPKPS3_EEvT1_iilPiilS8_bb
    .private_segment_fixed_size: 144
    .sgpr_count:     21
    .sgpr_spill_count: 0
    .symbol:         _ZN9rocsolver6v33100L18getri_kernel_smallILi8E19rocblas_complex_numIdEPKPS3_EEvT1_iilPiilS8_bb.kd
    .uniform_work_group_size: 1
    .uses_dynamic_stack: false
    .vgpr_count:     74
    .vgpr_spill_count: 0
    .wavefront_size: 32
    .workgroup_processor_mode: 1
  - .args:
      - .address_space:  global
        .offset:         0
        .size:           8
        .value_kind:     global_buffer
      - .offset:         8
        .size:           4
        .value_kind:     by_value
      - .offset:         12
        .size:           4
        .value_kind:     by_value
      - .offset:         16
        .size:           8
        .value_kind:     by_value
      - .address_space:  global
        .offset:         24
        .size:           8
        .value_kind:     global_buffer
      - .offset:         32
        .size:           4
        .value_kind:     by_value
      - .offset:         40
        .size:           8
        .value_kind:     by_value
      - .address_space:  global
        .offset:         48
        .size:           8
        .value_kind:     global_buffer
      - .offset:         56
        .size:           1
        .value_kind:     by_value
      - .offset:         57
        .size:           1
        .value_kind:     by_value
    .group_segment_fixed_size: 1320
    .kernarg_segment_align: 8
    .kernarg_segment_size: 60
    .language:       OpenCL C
    .language_version:
      - 2
      - 0
    .max_flat_workgroup_size: 64
    .name:           _ZN9rocsolver6v33100L18getri_kernel_smallILi9E19rocblas_complex_numIdEPKPS3_EEvT1_iilPiilS8_bb
    .private_segment_fixed_size: 160
    .sgpr_count:     21
    .sgpr_spill_count: 0
    .symbol:         _ZN9rocsolver6v33100L18getri_kernel_smallILi9E19rocblas_complex_numIdEPKPS3_EEvT1_iilPiilS8_bb.kd
    .uniform_work_group_size: 1
    .uses_dynamic_stack: false
    .vgpr_count:     82
    .vgpr_spill_count: 0
    .wavefront_size: 32
    .workgroup_processor_mode: 1
  - .args:
      - .address_space:  global
        .offset:         0
        .size:           8
        .value_kind:     global_buffer
      - .offset:         8
        .size:           4
        .value_kind:     by_value
      - .offset:         12
        .size:           4
        .value_kind:     by_value
      - .offset:         16
        .size:           8
        .value_kind:     by_value
      - .address_space:  global
        .offset:         24
        .size:           8
        .value_kind:     global_buffer
      - .offset:         32
        .size:           4
        .value_kind:     by_value
      - .offset:         40
        .size:           8
        .value_kind:     by_value
      - .address_space:  global
        .offset:         48
        .size:           8
        .value_kind:     global_buffer
      - .offset:         56
        .size:           1
        .value_kind:     by_value
      - .offset:         57
        .size:           1
        .value_kind:     by_value
    .group_segment_fixed_size: 1352
    .kernarg_segment_align: 8
    .kernarg_segment_size: 60
    .language:       OpenCL C
    .language_version:
      - 2
      - 0
    .max_flat_workgroup_size: 64
    .name:           _ZN9rocsolver6v33100L18getri_kernel_smallILi10E19rocblas_complex_numIdEPKPS3_EEvT1_iilPiilS8_bb
    .private_segment_fixed_size: 176
    .sgpr_count:     21
    .sgpr_spill_count: 0
    .symbol:         _ZN9rocsolver6v33100L18getri_kernel_smallILi10E19rocblas_complex_numIdEPKPS3_EEvT1_iilPiilS8_bb.kd
    .uniform_work_group_size: 1
    .uses_dynamic_stack: false
    .vgpr_count:     88
    .vgpr_spill_count: 0
    .wavefront_size: 32
    .workgroup_processor_mode: 1
  - .args:
      - .address_space:  global
        .offset:         0
        .size:           8
        .value_kind:     global_buffer
      - .offset:         8
        .size:           4
        .value_kind:     by_value
      - .offset:         12
        .size:           4
        .value_kind:     by_value
      - .offset:         16
        .size:           8
        .value_kind:     by_value
      - .address_space:  global
        .offset:         24
        .size:           8
        .value_kind:     global_buffer
      - .offset:         32
        .size:           4
        .value_kind:     by_value
      - .offset:         40
        .size:           8
        .value_kind:     by_value
      - .address_space:  global
        .offset:         48
        .size:           8
        .value_kind:     global_buffer
      - .offset:         56
        .size:           1
        .value_kind:     by_value
      - .offset:         57
        .size:           1
        .value_kind:     by_value
    .group_segment_fixed_size: 1384
    .kernarg_segment_align: 8
    .kernarg_segment_size: 60
    .language:       OpenCL C
    .language_version:
      - 2
      - 0
    .max_flat_workgroup_size: 64
    .name:           _ZN9rocsolver6v33100L18getri_kernel_smallILi11E19rocblas_complex_numIdEPKPS3_EEvT1_iilPiilS8_bb
    .private_segment_fixed_size: 192
    .sgpr_count:     21
    .sgpr_spill_count: 0
    .symbol:         _ZN9rocsolver6v33100L18getri_kernel_smallILi11E19rocblas_complex_numIdEPKPS3_EEvT1_iilPiilS8_bb.kd
    .uniform_work_group_size: 1
    .uses_dynamic_stack: false
    .vgpr_count:     96
    .vgpr_spill_count: 0
    .wavefront_size: 32
    .workgroup_processor_mode: 1
  - .args:
      - .address_space:  global
        .offset:         0
        .size:           8
        .value_kind:     global_buffer
      - .offset:         8
        .size:           4
        .value_kind:     by_value
      - .offset:         12
        .size:           4
        .value_kind:     by_value
      - .offset:         16
        .size:           8
        .value_kind:     by_value
      - .address_space:  global
        .offset:         24
        .size:           8
        .value_kind:     global_buffer
      - .offset:         32
        .size:           4
        .value_kind:     by_value
      - .offset:         40
        .size:           8
        .value_kind:     by_value
      - .address_space:  global
        .offset:         48
        .size:           8
        .value_kind:     global_buffer
      - .offset:         56
        .size:           1
        .value_kind:     by_value
      - .offset:         57
        .size:           1
        .value_kind:     by_value
    .group_segment_fixed_size: 1416
    .kernarg_segment_align: 8
    .kernarg_segment_size: 60
    .language:       OpenCL C
    .language_version:
      - 2
      - 0
    .max_flat_workgroup_size: 64
    .name:           _ZN9rocsolver6v33100L18getri_kernel_smallILi12E19rocblas_complex_numIdEPKPS3_EEvT1_iilPiilS8_bb
    .private_segment_fixed_size: 208
    .sgpr_count:     21
    .sgpr_spill_count: 0
    .symbol:         _ZN9rocsolver6v33100L18getri_kernel_smallILi12E19rocblas_complex_numIdEPKPS3_EEvT1_iilPiilS8_bb.kd
    .uniform_work_group_size: 1
    .uses_dynamic_stack: false
    .vgpr_count:     102
    .vgpr_spill_count: 0
    .wavefront_size: 32
    .workgroup_processor_mode: 1
  - .args:
      - .address_space:  global
        .offset:         0
        .size:           8
        .value_kind:     global_buffer
      - .offset:         8
        .size:           4
        .value_kind:     by_value
      - .offset:         12
        .size:           4
        .value_kind:     by_value
      - .offset:         16
        .size:           8
        .value_kind:     by_value
      - .address_space:  global
        .offset:         24
        .size:           8
        .value_kind:     global_buffer
      - .offset:         32
        .size:           4
        .value_kind:     by_value
      - .offset:         40
        .size:           8
        .value_kind:     by_value
      - .address_space:  global
        .offset:         48
        .size:           8
        .value_kind:     global_buffer
      - .offset:         56
        .size:           1
        .value_kind:     by_value
      - .offset:         57
        .size:           1
        .value_kind:     by_value
    .group_segment_fixed_size: 1448
    .kernarg_segment_align: 8
    .kernarg_segment_size: 60
    .language:       OpenCL C
    .language_version:
      - 2
      - 0
    .max_flat_workgroup_size: 64
    .name:           _ZN9rocsolver6v33100L18getri_kernel_smallILi13E19rocblas_complex_numIdEPKPS3_EEvT1_iilPiilS8_bb
    .private_segment_fixed_size: 224
    .sgpr_count:     21
    .sgpr_spill_count: 0
    .symbol:         _ZN9rocsolver6v33100L18getri_kernel_smallILi13E19rocblas_complex_numIdEPKPS3_EEvT1_iilPiilS8_bb.kd
    .uniform_work_group_size: 1
    .uses_dynamic_stack: false
    .vgpr_count:     108
    .vgpr_spill_count: 0
    .wavefront_size: 32
    .workgroup_processor_mode: 1
  - .args:
      - .address_space:  global
        .offset:         0
        .size:           8
        .value_kind:     global_buffer
      - .offset:         8
        .size:           4
        .value_kind:     by_value
      - .offset:         12
        .size:           4
        .value_kind:     by_value
      - .offset:         16
        .size:           8
        .value_kind:     by_value
      - .address_space:  global
        .offset:         24
        .size:           8
        .value_kind:     global_buffer
      - .offset:         32
        .size:           4
        .value_kind:     by_value
      - .offset:         40
        .size:           8
        .value_kind:     by_value
      - .address_space:  global
        .offset:         48
        .size:           8
        .value_kind:     global_buffer
      - .offset:         56
        .size:           1
        .value_kind:     by_value
      - .offset:         57
        .size:           1
        .value_kind:     by_value
    .group_segment_fixed_size: 1480
    .kernarg_segment_align: 8
    .kernarg_segment_size: 60
    .language:       OpenCL C
    .language_version:
      - 2
      - 0
    .max_flat_workgroup_size: 64
    .name:           _ZN9rocsolver6v33100L18getri_kernel_smallILi14E19rocblas_complex_numIdEPKPS3_EEvT1_iilPiilS8_bb
    .private_segment_fixed_size: 240
    .sgpr_count:     21
    .sgpr_spill_count: 0
    .symbol:         _ZN9rocsolver6v33100L18getri_kernel_smallILi14E19rocblas_complex_numIdEPKPS3_EEvT1_iilPiilS8_bb.kd
    .uniform_work_group_size: 1
    .uses_dynamic_stack: false
    .vgpr_count:     113
    .vgpr_spill_count: 0
    .wavefront_size: 32
    .workgroup_processor_mode: 1
  - .args:
      - .address_space:  global
        .offset:         0
        .size:           8
        .value_kind:     global_buffer
      - .offset:         8
        .size:           4
        .value_kind:     by_value
      - .offset:         12
        .size:           4
        .value_kind:     by_value
      - .offset:         16
        .size:           8
        .value_kind:     by_value
      - .address_space:  global
        .offset:         24
        .size:           8
        .value_kind:     global_buffer
      - .offset:         32
        .size:           4
        .value_kind:     by_value
      - .offset:         40
        .size:           8
        .value_kind:     by_value
      - .address_space:  global
        .offset:         48
        .size:           8
        .value_kind:     global_buffer
      - .offset:         56
        .size:           1
        .value_kind:     by_value
      - .offset:         57
        .size:           1
        .value_kind:     by_value
    .group_segment_fixed_size: 1512
    .kernarg_segment_align: 8
    .kernarg_segment_size: 60
    .language:       OpenCL C
    .language_version:
      - 2
      - 0
    .max_flat_workgroup_size: 64
    .name:           _ZN9rocsolver6v33100L18getri_kernel_smallILi15E19rocblas_complex_numIdEPKPS3_EEvT1_iilPiilS8_bb
    .private_segment_fixed_size: 256
    .sgpr_count:     21
    .sgpr_spill_count: 0
    .symbol:         _ZN9rocsolver6v33100L18getri_kernel_smallILi15E19rocblas_complex_numIdEPKPS3_EEvT1_iilPiilS8_bb.kd
    .uniform_work_group_size: 1
    .uses_dynamic_stack: false
    .vgpr_count:     118
    .vgpr_spill_count: 0
    .wavefront_size: 32
    .workgroup_processor_mode: 1
  - .args:
      - .address_space:  global
        .offset:         0
        .size:           8
        .value_kind:     global_buffer
      - .offset:         8
        .size:           4
        .value_kind:     by_value
      - .offset:         12
        .size:           4
        .value_kind:     by_value
      - .offset:         16
        .size:           8
        .value_kind:     by_value
      - .address_space:  global
        .offset:         24
        .size:           8
        .value_kind:     global_buffer
      - .offset:         32
        .size:           4
        .value_kind:     by_value
      - .offset:         40
        .size:           8
        .value_kind:     by_value
      - .address_space:  global
        .offset:         48
        .size:           8
        .value_kind:     global_buffer
      - .offset:         56
        .size:           1
        .value_kind:     by_value
      - .offset:         57
        .size:           1
        .value_kind:     by_value
    .group_segment_fixed_size: 1544
    .kernarg_segment_align: 8
    .kernarg_segment_size: 60
    .language:       OpenCL C
    .language_version:
      - 2
      - 0
    .max_flat_workgroup_size: 64
    .name:           _ZN9rocsolver6v33100L18getri_kernel_smallILi16E19rocblas_complex_numIdEPKPS3_EEvT1_iilPiilS8_bb
    .private_segment_fixed_size: 272
    .sgpr_count:     21
    .sgpr_spill_count: 0
    .symbol:         _ZN9rocsolver6v33100L18getri_kernel_smallILi16E19rocblas_complex_numIdEPKPS3_EEvT1_iilPiilS8_bb.kd
    .uniform_work_group_size: 1
    .uses_dynamic_stack: false
    .vgpr_count:     119
    .vgpr_spill_count: 0
    .wavefront_size: 32
    .workgroup_processor_mode: 1
  - .args:
      - .address_space:  global
        .offset:         0
        .size:           8
        .value_kind:     global_buffer
      - .offset:         8
        .size:           4
        .value_kind:     by_value
      - .offset:         12
        .size:           4
        .value_kind:     by_value
      - .offset:         16
        .size:           8
        .value_kind:     by_value
      - .address_space:  global
        .offset:         24
        .size:           8
        .value_kind:     global_buffer
      - .offset:         32
        .size:           4
        .value_kind:     by_value
      - .offset:         40
        .size:           8
        .value_kind:     by_value
      - .address_space:  global
        .offset:         48
        .size:           8
        .value_kind:     global_buffer
      - .offset:         56
        .size:           1
        .value_kind:     by_value
      - .offset:         57
        .size:           1
        .value_kind:     by_value
    .group_segment_fixed_size: 1576
    .kernarg_segment_align: 8
    .kernarg_segment_size: 60
    .language:       OpenCL C
    .language_version:
      - 2
      - 0
    .max_flat_workgroup_size: 64
    .name:           _ZN9rocsolver6v33100L18getri_kernel_smallILi17E19rocblas_complex_numIdEPKPS3_EEvT1_iilPiilS8_bb
    .private_segment_fixed_size: 288
    .sgpr_count:     21
    .sgpr_spill_count: 0
    .symbol:         _ZN9rocsolver6v33100L18getri_kernel_smallILi17E19rocblas_complex_numIdEPKPS3_EEvT1_iilPiilS8_bb.kd
    .uniform_work_group_size: 1
    .uses_dynamic_stack: false
    .vgpr_count:     122
    .vgpr_spill_count: 0
    .wavefront_size: 32
    .workgroup_processor_mode: 1
  - .args:
      - .address_space:  global
        .offset:         0
        .size:           8
        .value_kind:     global_buffer
      - .offset:         8
        .size:           4
        .value_kind:     by_value
      - .offset:         12
        .size:           4
        .value_kind:     by_value
      - .offset:         16
        .size:           8
        .value_kind:     by_value
      - .address_space:  global
        .offset:         24
        .size:           8
        .value_kind:     global_buffer
      - .offset:         32
        .size:           4
        .value_kind:     by_value
      - .offset:         40
        .size:           8
        .value_kind:     by_value
      - .address_space:  global
        .offset:         48
        .size:           8
        .value_kind:     global_buffer
      - .offset:         56
        .size:           1
        .value_kind:     by_value
      - .offset:         57
        .size:           1
        .value_kind:     by_value
    .group_segment_fixed_size: 1608
    .kernarg_segment_align: 8
    .kernarg_segment_size: 60
    .language:       OpenCL C
    .language_version:
      - 2
      - 0
    .max_flat_workgroup_size: 64
    .name:           _ZN9rocsolver6v33100L18getri_kernel_smallILi18E19rocblas_complex_numIdEPKPS3_EEvT1_iilPiilS8_bb
    .private_segment_fixed_size: 304
    .sgpr_count:     21
    .sgpr_spill_count: 0
    .symbol:         _ZN9rocsolver6v33100L18getri_kernel_smallILi18E19rocblas_complex_numIdEPKPS3_EEvT1_iilPiilS8_bb.kd
    .uniform_work_group_size: 1
    .uses_dynamic_stack: false
    .vgpr_count:     121
    .vgpr_spill_count: 0
    .wavefront_size: 32
    .workgroup_processor_mode: 1
  - .args:
      - .address_space:  global
        .offset:         0
        .size:           8
        .value_kind:     global_buffer
      - .offset:         8
        .size:           4
        .value_kind:     by_value
      - .offset:         12
        .size:           4
        .value_kind:     by_value
      - .offset:         16
        .size:           8
        .value_kind:     by_value
      - .address_space:  global
        .offset:         24
        .size:           8
        .value_kind:     global_buffer
      - .offset:         32
        .size:           4
        .value_kind:     by_value
      - .offset:         40
        .size:           8
        .value_kind:     by_value
      - .address_space:  global
        .offset:         48
        .size:           8
        .value_kind:     global_buffer
      - .offset:         56
        .size:           1
        .value_kind:     by_value
      - .offset:         57
        .size:           1
        .value_kind:     by_value
    .group_segment_fixed_size: 1640
    .kernarg_segment_align: 8
    .kernarg_segment_size: 60
    .language:       OpenCL C
    .language_version:
      - 2
      - 0
    .max_flat_workgroup_size: 64
    .name:           _ZN9rocsolver6v33100L18getri_kernel_smallILi19E19rocblas_complex_numIdEPKPS3_EEvT1_iilPiilS8_bb
    .private_segment_fixed_size: 320
    .sgpr_count:     21
    .sgpr_spill_count: 0
    .symbol:         _ZN9rocsolver6v33100L18getri_kernel_smallILi19E19rocblas_complex_numIdEPKPS3_EEvT1_iilPiilS8_bb.kd
    .uniform_work_group_size: 1
    .uses_dynamic_stack: false
    .vgpr_count:     130
    .vgpr_spill_count: 0
    .wavefront_size: 32
    .workgroup_processor_mode: 1
  - .args:
      - .address_space:  global
        .offset:         0
        .size:           8
        .value_kind:     global_buffer
      - .offset:         8
        .size:           4
        .value_kind:     by_value
      - .offset:         12
        .size:           4
        .value_kind:     by_value
      - .offset:         16
        .size:           8
        .value_kind:     by_value
      - .address_space:  global
        .offset:         24
        .size:           8
        .value_kind:     global_buffer
      - .offset:         32
        .size:           4
        .value_kind:     by_value
      - .offset:         40
        .size:           8
        .value_kind:     by_value
      - .address_space:  global
        .offset:         48
        .size:           8
        .value_kind:     global_buffer
      - .offset:         56
        .size:           1
        .value_kind:     by_value
      - .offset:         57
        .size:           1
        .value_kind:     by_value
    .group_segment_fixed_size: 1672
    .kernarg_segment_align: 8
    .kernarg_segment_size: 60
    .language:       OpenCL C
    .language_version:
      - 2
      - 0
    .max_flat_workgroup_size: 64
    .name:           _ZN9rocsolver6v33100L18getri_kernel_smallILi20E19rocblas_complex_numIdEPKPS3_EEvT1_iilPiilS8_bb
    .private_segment_fixed_size: 336
    .sgpr_count:     21
    .sgpr_spill_count: 0
    .symbol:         _ZN9rocsolver6v33100L18getri_kernel_smallILi20E19rocblas_complex_numIdEPKPS3_EEvT1_iilPiilS8_bb.kd
    .uniform_work_group_size: 1
    .uses_dynamic_stack: false
    .vgpr_count:     133
    .vgpr_spill_count: 0
    .wavefront_size: 32
    .workgroup_processor_mode: 1
  - .args:
      - .address_space:  global
        .offset:         0
        .size:           8
        .value_kind:     global_buffer
      - .offset:         8
        .size:           4
        .value_kind:     by_value
      - .offset:         12
        .size:           4
        .value_kind:     by_value
      - .offset:         16
        .size:           8
        .value_kind:     by_value
      - .address_space:  global
        .offset:         24
        .size:           8
        .value_kind:     global_buffer
      - .offset:         32
        .size:           4
        .value_kind:     by_value
      - .offset:         40
        .size:           8
        .value_kind:     by_value
      - .address_space:  global
        .offset:         48
        .size:           8
        .value_kind:     global_buffer
      - .offset:         56
        .size:           1
        .value_kind:     by_value
      - .offset:         57
        .size:           1
        .value_kind:     by_value
    .group_segment_fixed_size: 1704
    .kernarg_segment_align: 8
    .kernarg_segment_size: 60
    .language:       OpenCL C
    .language_version:
      - 2
      - 0
    .max_flat_workgroup_size: 64
    .name:           _ZN9rocsolver6v33100L18getri_kernel_smallILi21E19rocblas_complex_numIdEPKPS3_EEvT1_iilPiilS8_bb
    .private_segment_fixed_size: 352
    .sgpr_count:     21
    .sgpr_spill_count: 0
    .symbol:         _ZN9rocsolver6v33100L18getri_kernel_smallILi21E19rocblas_complex_numIdEPKPS3_EEvT1_iilPiilS8_bb.kd
    .uniform_work_group_size: 1
    .uses_dynamic_stack: false
    .vgpr_count:     136
    .vgpr_spill_count: 0
    .wavefront_size: 32
    .workgroup_processor_mode: 1
  - .args:
      - .address_space:  global
        .offset:         0
        .size:           8
        .value_kind:     global_buffer
      - .offset:         8
        .size:           4
        .value_kind:     by_value
      - .offset:         12
        .size:           4
        .value_kind:     by_value
      - .offset:         16
        .size:           8
        .value_kind:     by_value
      - .address_space:  global
        .offset:         24
        .size:           8
        .value_kind:     global_buffer
      - .offset:         32
        .size:           4
        .value_kind:     by_value
      - .offset:         40
        .size:           8
        .value_kind:     by_value
      - .address_space:  global
        .offset:         48
        .size:           8
        .value_kind:     global_buffer
      - .offset:         56
        .size:           1
        .value_kind:     by_value
      - .offset:         57
        .size:           1
        .value_kind:     by_value
    .group_segment_fixed_size: 1736
    .kernarg_segment_align: 8
    .kernarg_segment_size: 60
    .language:       OpenCL C
    .language_version:
      - 2
      - 0
    .max_flat_workgroup_size: 64
    .name:           _ZN9rocsolver6v33100L18getri_kernel_smallILi22E19rocblas_complex_numIdEPKPS3_EEvT1_iilPiilS8_bb
    .private_segment_fixed_size: 368
    .sgpr_count:     21
    .sgpr_spill_count: 0
    .symbol:         _ZN9rocsolver6v33100L18getri_kernel_smallILi22E19rocblas_complex_numIdEPKPS3_EEvT1_iilPiilS8_bb.kd
    .uniform_work_group_size: 1
    .uses_dynamic_stack: false
    .vgpr_count:     139
    .vgpr_spill_count: 0
    .wavefront_size: 32
    .workgroup_processor_mode: 1
  - .args:
      - .address_space:  global
        .offset:         0
        .size:           8
        .value_kind:     global_buffer
      - .offset:         8
        .size:           4
        .value_kind:     by_value
      - .offset:         12
        .size:           4
        .value_kind:     by_value
      - .offset:         16
        .size:           8
        .value_kind:     by_value
      - .address_space:  global
        .offset:         24
        .size:           8
        .value_kind:     global_buffer
      - .offset:         32
        .size:           4
        .value_kind:     by_value
      - .offset:         40
        .size:           8
        .value_kind:     by_value
      - .address_space:  global
        .offset:         48
        .size:           8
        .value_kind:     global_buffer
      - .offset:         56
        .size:           1
        .value_kind:     by_value
      - .offset:         57
        .size:           1
        .value_kind:     by_value
    .group_segment_fixed_size: 1768
    .kernarg_segment_align: 8
    .kernarg_segment_size: 60
    .language:       OpenCL C
    .language_version:
      - 2
      - 0
    .max_flat_workgroup_size: 64
    .name:           _ZN9rocsolver6v33100L18getri_kernel_smallILi23E19rocblas_complex_numIdEPKPS3_EEvT1_iilPiilS8_bb
    .private_segment_fixed_size: 384
    .sgpr_count:     21
    .sgpr_spill_count: 0
    .symbol:         _ZN9rocsolver6v33100L18getri_kernel_smallILi23E19rocblas_complex_numIdEPKPS3_EEvT1_iilPiilS8_bb.kd
    .uniform_work_group_size: 1
    .uses_dynamic_stack: false
    .vgpr_count:     143
    .vgpr_spill_count: 0
    .wavefront_size: 32
    .workgroup_processor_mode: 1
  - .args:
      - .address_space:  global
        .offset:         0
        .size:           8
        .value_kind:     global_buffer
      - .offset:         8
        .size:           4
        .value_kind:     by_value
      - .offset:         12
        .size:           4
        .value_kind:     by_value
      - .offset:         16
        .size:           8
        .value_kind:     by_value
      - .address_space:  global
        .offset:         24
        .size:           8
        .value_kind:     global_buffer
      - .offset:         32
        .size:           4
        .value_kind:     by_value
      - .offset:         40
        .size:           8
        .value_kind:     by_value
      - .address_space:  global
        .offset:         48
        .size:           8
        .value_kind:     global_buffer
      - .offset:         56
        .size:           1
        .value_kind:     by_value
      - .offset:         57
        .size:           1
        .value_kind:     by_value
    .group_segment_fixed_size: 1800
    .kernarg_segment_align: 8
    .kernarg_segment_size: 60
    .language:       OpenCL C
    .language_version:
      - 2
      - 0
    .max_flat_workgroup_size: 64
    .name:           _ZN9rocsolver6v33100L18getri_kernel_smallILi24E19rocblas_complex_numIdEPKPS3_EEvT1_iilPiilS8_bb
    .private_segment_fixed_size: 400
    .sgpr_count:     21
    .sgpr_spill_count: 0
    .symbol:         _ZN9rocsolver6v33100L18getri_kernel_smallILi24E19rocblas_complex_numIdEPKPS3_EEvT1_iilPiilS8_bb.kd
    .uniform_work_group_size: 1
    .uses_dynamic_stack: false
    .vgpr_count:     149
    .vgpr_spill_count: 0
    .wavefront_size: 32
    .workgroup_processor_mode: 1
  - .args:
      - .address_space:  global
        .offset:         0
        .size:           8
        .value_kind:     global_buffer
      - .offset:         8
        .size:           4
        .value_kind:     by_value
      - .offset:         12
        .size:           4
        .value_kind:     by_value
      - .offset:         16
        .size:           8
        .value_kind:     by_value
      - .address_space:  global
        .offset:         24
        .size:           8
        .value_kind:     global_buffer
      - .offset:         32
        .size:           4
        .value_kind:     by_value
      - .offset:         40
        .size:           8
        .value_kind:     by_value
      - .address_space:  global
        .offset:         48
        .size:           8
        .value_kind:     global_buffer
      - .offset:         56
        .size:           1
        .value_kind:     by_value
      - .offset:         57
        .size:           1
        .value_kind:     by_value
    .group_segment_fixed_size: 1832
    .kernarg_segment_align: 8
    .kernarg_segment_size: 60
    .language:       OpenCL C
    .language_version:
      - 2
      - 0
    .max_flat_workgroup_size: 64
    .name:           _ZN9rocsolver6v33100L18getri_kernel_smallILi25E19rocblas_complex_numIdEPKPS3_EEvT1_iilPiilS8_bb
    .private_segment_fixed_size: 416
    .sgpr_count:     21
    .sgpr_spill_count: 0
    .symbol:         _ZN9rocsolver6v33100L18getri_kernel_smallILi25E19rocblas_complex_numIdEPKPS3_EEvT1_iilPiilS8_bb.kd
    .uniform_work_group_size: 1
    .uses_dynamic_stack: false
    .vgpr_count:     152
    .vgpr_spill_count: 0
    .wavefront_size: 32
    .workgroup_processor_mode: 1
  - .args:
      - .address_space:  global
        .offset:         0
        .size:           8
        .value_kind:     global_buffer
      - .offset:         8
        .size:           4
        .value_kind:     by_value
      - .offset:         12
        .size:           4
        .value_kind:     by_value
      - .offset:         16
        .size:           8
        .value_kind:     by_value
      - .address_space:  global
        .offset:         24
        .size:           8
        .value_kind:     global_buffer
      - .offset:         32
        .size:           4
        .value_kind:     by_value
      - .offset:         40
        .size:           8
        .value_kind:     by_value
      - .address_space:  global
        .offset:         48
        .size:           8
        .value_kind:     global_buffer
      - .offset:         56
        .size:           1
        .value_kind:     by_value
      - .offset:         57
        .size:           1
        .value_kind:     by_value
    .group_segment_fixed_size: 1864
    .kernarg_segment_align: 8
    .kernarg_segment_size: 60
    .language:       OpenCL C
    .language_version:
      - 2
      - 0
    .max_flat_workgroup_size: 64
    .name:           _ZN9rocsolver6v33100L18getri_kernel_smallILi26E19rocblas_complex_numIdEPKPS3_EEvT1_iilPiilS8_bb
    .private_segment_fixed_size: 432
    .sgpr_count:     24
    .sgpr_spill_count: 0
    .symbol:         _ZN9rocsolver6v33100L18getri_kernel_smallILi26E19rocblas_complex_numIdEPKPS3_EEvT1_iilPiilS8_bb.kd
    .uniform_work_group_size: 1
    .uses_dynamic_stack: false
    .vgpr_count:     157
    .vgpr_spill_count: 0
    .wavefront_size: 32
    .workgroup_processor_mode: 1
  - .args:
      - .address_space:  global
        .offset:         0
        .size:           8
        .value_kind:     global_buffer
      - .offset:         8
        .size:           4
        .value_kind:     by_value
      - .offset:         12
        .size:           4
        .value_kind:     by_value
      - .offset:         16
        .size:           8
        .value_kind:     by_value
      - .address_space:  global
        .offset:         24
        .size:           8
        .value_kind:     global_buffer
      - .offset:         32
        .size:           4
        .value_kind:     by_value
      - .offset:         40
        .size:           8
        .value_kind:     by_value
      - .address_space:  global
        .offset:         48
        .size:           8
        .value_kind:     global_buffer
      - .offset:         56
        .size:           1
        .value_kind:     by_value
      - .offset:         57
        .size:           1
        .value_kind:     by_value
    .group_segment_fixed_size: 1896
    .kernarg_segment_align: 8
    .kernarg_segment_size: 60
    .language:       OpenCL C
    .language_version:
      - 2
      - 0
    .max_flat_workgroup_size: 64
    .name:           _ZN9rocsolver6v33100L18getri_kernel_smallILi27E19rocblas_complex_numIdEPKPS3_EEvT1_iilPiilS8_bb
    .private_segment_fixed_size: 448
    .sgpr_count:     27
    .sgpr_spill_count: 0
    .symbol:         _ZN9rocsolver6v33100L18getri_kernel_smallILi27E19rocblas_complex_numIdEPKPS3_EEvT1_iilPiilS8_bb.kd
    .uniform_work_group_size: 1
    .uses_dynamic_stack: false
    .vgpr_count:     179
    .vgpr_spill_count: 0
    .wavefront_size: 32
    .workgroup_processor_mode: 1
  - .args:
      - .address_space:  global
        .offset:         0
        .size:           8
        .value_kind:     global_buffer
      - .offset:         8
        .size:           4
        .value_kind:     by_value
      - .offset:         12
        .size:           4
        .value_kind:     by_value
      - .offset:         16
        .size:           8
        .value_kind:     by_value
      - .address_space:  global
        .offset:         24
        .size:           8
        .value_kind:     global_buffer
      - .offset:         32
        .size:           4
        .value_kind:     by_value
      - .offset:         40
        .size:           8
        .value_kind:     by_value
      - .address_space:  global
        .offset:         48
        .size:           8
        .value_kind:     global_buffer
      - .offset:         56
        .size:           1
        .value_kind:     by_value
      - .offset:         57
        .size:           1
        .value_kind:     by_value
    .group_segment_fixed_size: 1928
    .kernarg_segment_align: 8
    .kernarg_segment_size: 60
    .language:       OpenCL C
    .language_version:
      - 2
      - 0
    .max_flat_workgroup_size: 64
    .name:           _ZN9rocsolver6v33100L18getri_kernel_smallILi28E19rocblas_complex_numIdEPKPS3_EEvT1_iilPiilS8_bb
    .private_segment_fixed_size: 464
    .sgpr_count:     32
    .sgpr_spill_count: 0
    .symbol:         _ZN9rocsolver6v33100L18getri_kernel_smallILi28E19rocblas_complex_numIdEPKPS3_EEvT1_iilPiilS8_bb.kd
    .uniform_work_group_size: 1
    .uses_dynamic_stack: false
    .vgpr_count:     186
    .vgpr_spill_count: 0
    .wavefront_size: 32
    .workgroup_processor_mode: 1
  - .args:
      - .address_space:  global
        .offset:         0
        .size:           8
        .value_kind:     global_buffer
      - .offset:         8
        .size:           4
        .value_kind:     by_value
      - .offset:         12
        .size:           4
        .value_kind:     by_value
      - .offset:         16
        .size:           8
        .value_kind:     by_value
      - .address_space:  global
        .offset:         24
        .size:           8
        .value_kind:     global_buffer
      - .offset:         32
        .size:           4
        .value_kind:     by_value
      - .offset:         40
        .size:           8
        .value_kind:     by_value
      - .address_space:  global
        .offset:         48
        .size:           8
        .value_kind:     global_buffer
      - .offset:         56
        .size:           1
        .value_kind:     by_value
      - .offset:         57
        .size:           1
        .value_kind:     by_value
    .group_segment_fixed_size: 1960
    .kernarg_segment_align: 8
    .kernarg_segment_size: 60
    .language:       OpenCL C
    .language_version:
      - 2
      - 0
    .max_flat_workgroup_size: 64
    .name:           _ZN9rocsolver6v33100L18getri_kernel_smallILi29E19rocblas_complex_numIdEPKPS3_EEvT1_iilPiilS8_bb
    .private_segment_fixed_size: 480
    .sgpr_count:     37
    .sgpr_spill_count: 0
    .symbol:         _ZN9rocsolver6v33100L18getri_kernel_smallILi29E19rocblas_complex_numIdEPKPS3_EEvT1_iilPiilS8_bb.kd
    .uniform_work_group_size: 1
    .uses_dynamic_stack: false
    .vgpr_count:     182
    .vgpr_spill_count: 0
    .wavefront_size: 32
    .workgroup_processor_mode: 1
  - .args:
      - .address_space:  global
        .offset:         0
        .size:           8
        .value_kind:     global_buffer
      - .offset:         8
        .size:           4
        .value_kind:     by_value
      - .offset:         12
        .size:           4
        .value_kind:     by_value
      - .offset:         16
        .size:           8
        .value_kind:     by_value
      - .address_space:  global
        .offset:         24
        .size:           8
        .value_kind:     global_buffer
      - .offset:         32
        .size:           4
        .value_kind:     by_value
      - .offset:         40
        .size:           8
        .value_kind:     by_value
      - .address_space:  global
        .offset:         48
        .size:           8
        .value_kind:     global_buffer
      - .offset:         56
        .size:           1
        .value_kind:     by_value
      - .offset:         57
        .size:           1
        .value_kind:     by_value
    .group_segment_fixed_size: 1992
    .kernarg_segment_align: 8
    .kernarg_segment_size: 60
    .language:       OpenCL C
    .language_version:
      - 2
      - 0
    .max_flat_workgroup_size: 64
    .name:           _ZN9rocsolver6v33100L18getri_kernel_smallILi30E19rocblas_complex_numIdEPKPS3_EEvT1_iilPiilS8_bb
    .private_segment_fixed_size: 496
    .sgpr_count:     38
    .sgpr_spill_count: 0
    .symbol:         _ZN9rocsolver6v33100L18getri_kernel_smallILi30E19rocblas_complex_numIdEPKPS3_EEvT1_iilPiilS8_bb.kd
    .uniform_work_group_size: 1
    .uses_dynamic_stack: false
    .vgpr_count:     185
    .vgpr_spill_count: 0
    .wavefront_size: 32
    .workgroup_processor_mode: 1
  - .args:
      - .address_space:  global
        .offset:         0
        .size:           8
        .value_kind:     global_buffer
      - .offset:         8
        .size:           4
        .value_kind:     by_value
      - .offset:         12
        .size:           4
        .value_kind:     by_value
      - .offset:         16
        .size:           8
        .value_kind:     by_value
      - .address_space:  global
        .offset:         24
        .size:           8
        .value_kind:     global_buffer
      - .offset:         32
        .size:           4
        .value_kind:     by_value
      - .offset:         40
        .size:           8
        .value_kind:     by_value
      - .address_space:  global
        .offset:         48
        .size:           8
        .value_kind:     global_buffer
      - .offset:         56
        .size:           1
        .value_kind:     by_value
      - .offset:         57
        .size:           1
        .value_kind:     by_value
    .group_segment_fixed_size: 2024
    .kernarg_segment_align: 8
    .kernarg_segment_size: 60
    .language:       OpenCL C
    .language_version:
      - 2
      - 0
    .max_flat_workgroup_size: 64
    .name:           _ZN9rocsolver6v33100L18getri_kernel_smallILi31E19rocblas_complex_numIdEPKPS3_EEvT1_iilPiilS8_bb
    .private_segment_fixed_size: 512
    .sgpr_count:     40
    .sgpr_spill_count: 0
    .symbol:         _ZN9rocsolver6v33100L18getri_kernel_smallILi31E19rocblas_complex_numIdEPKPS3_EEvT1_iilPiilS8_bb.kd
    .uniform_work_group_size: 1
    .uses_dynamic_stack: false
    .vgpr_count:     187
    .vgpr_spill_count: 0
    .wavefront_size: 32
    .workgroup_processor_mode: 1
  - .args:
      - .address_space:  global
        .offset:         0
        .size:           8
        .value_kind:     global_buffer
      - .offset:         8
        .size:           4
        .value_kind:     by_value
      - .offset:         12
        .size:           4
        .value_kind:     by_value
      - .offset:         16
        .size:           8
        .value_kind:     by_value
      - .address_space:  global
        .offset:         24
        .size:           8
        .value_kind:     global_buffer
      - .offset:         32
        .size:           4
        .value_kind:     by_value
      - .offset:         40
        .size:           8
        .value_kind:     by_value
      - .address_space:  global
        .offset:         48
        .size:           8
        .value_kind:     global_buffer
      - .offset:         56
        .size:           1
        .value_kind:     by_value
      - .offset:         57
        .size:           1
        .value_kind:     by_value
    .group_segment_fixed_size: 2056
    .kernarg_segment_align: 8
    .kernarg_segment_size: 60
    .language:       OpenCL C
    .language_version:
      - 2
      - 0
    .max_flat_workgroup_size: 64
    .name:           _ZN9rocsolver6v33100L18getri_kernel_smallILi32E19rocblas_complex_numIdEPKPS3_EEvT1_iilPiilS8_bb
    .private_segment_fixed_size: 528
    .sgpr_count:     41
    .sgpr_spill_count: 0
    .symbol:         _ZN9rocsolver6v33100L18getri_kernel_smallILi32E19rocblas_complex_numIdEPKPS3_EEvT1_iilPiilS8_bb.kd
    .uniform_work_group_size: 1
    .uses_dynamic_stack: false
    .vgpr_count:     178
    .vgpr_spill_count: 0
    .wavefront_size: 32
    .workgroup_processor_mode: 1
  - .args:
      - .address_space:  global
        .offset:         0
        .size:           8
        .value_kind:     global_buffer
      - .offset:         8
        .size:           4
        .value_kind:     by_value
      - .offset:         12
        .size:           4
        .value_kind:     by_value
      - .offset:         16
        .size:           8
        .value_kind:     by_value
      - .address_space:  global
        .offset:         24
        .size:           8
        .value_kind:     global_buffer
      - .offset:         32
        .size:           4
        .value_kind:     by_value
      - .offset:         40
        .size:           8
        .value_kind:     by_value
      - .address_space:  global
        .offset:         48
        .size:           8
        .value_kind:     global_buffer
      - .offset:         56
        .size:           1
        .value_kind:     by_value
      - .offset:         57
        .size:           1
        .value_kind:     by_value
    .group_segment_fixed_size: 2088
    .kernarg_segment_align: 8
    .kernarg_segment_size: 60
    .language:       OpenCL C
    .language_version:
      - 2
      - 0
    .max_flat_workgroup_size: 64
    .name:           _ZN9rocsolver6v33100L18getri_kernel_smallILi33E19rocblas_complex_numIdEPKPS3_EEvT1_iilPiilS8_bb
    .private_segment_fixed_size: 544
    .sgpr_count:     42
    .sgpr_spill_count: 0
    .symbol:         _ZN9rocsolver6v33100L18getri_kernel_smallILi33E19rocblas_complex_numIdEPKPS3_EEvT1_iilPiilS8_bb.kd
    .uniform_work_group_size: 1
    .uses_dynamic_stack: false
    .vgpr_count:     185
    .vgpr_spill_count: 0
    .wavefront_size: 32
    .workgroup_processor_mode: 1
  - .args:
      - .address_space:  global
        .offset:         0
        .size:           8
        .value_kind:     global_buffer
      - .offset:         8
        .size:           4
        .value_kind:     by_value
      - .offset:         12
        .size:           4
        .value_kind:     by_value
      - .offset:         16
        .size:           8
        .value_kind:     by_value
      - .address_space:  global
        .offset:         24
        .size:           8
        .value_kind:     global_buffer
      - .offset:         32
        .size:           4
        .value_kind:     by_value
      - .offset:         40
        .size:           8
        .value_kind:     by_value
      - .address_space:  global
        .offset:         48
        .size:           8
        .value_kind:     global_buffer
      - .offset:         56
        .size:           1
        .value_kind:     by_value
      - .offset:         57
        .size:           1
        .value_kind:     by_value
    .group_segment_fixed_size: 2120
    .kernarg_segment_align: 8
    .kernarg_segment_size: 60
    .language:       OpenCL C
    .language_version:
      - 2
      - 0
    .max_flat_workgroup_size: 64
    .name:           _ZN9rocsolver6v33100L18getri_kernel_smallILi34E19rocblas_complex_numIdEPKPS3_EEvT1_iilPiilS8_bb
    .private_segment_fixed_size: 560
    .sgpr_count:     43
    .sgpr_spill_count: 0
    .symbol:         _ZN9rocsolver6v33100L18getri_kernel_smallILi34E19rocblas_complex_numIdEPKPS3_EEvT1_iilPiilS8_bb.kd
    .uniform_work_group_size: 1
    .uses_dynamic_stack: false
    .vgpr_count:     184
    .vgpr_spill_count: 0
    .wavefront_size: 32
    .workgroup_processor_mode: 1
  - .args:
      - .address_space:  global
        .offset:         0
        .size:           8
        .value_kind:     global_buffer
      - .offset:         8
        .size:           4
        .value_kind:     by_value
      - .offset:         12
        .size:           4
        .value_kind:     by_value
      - .offset:         16
        .size:           8
        .value_kind:     by_value
      - .address_space:  global
        .offset:         24
        .size:           8
        .value_kind:     global_buffer
      - .offset:         32
        .size:           4
        .value_kind:     by_value
      - .offset:         40
        .size:           8
        .value_kind:     by_value
      - .address_space:  global
        .offset:         48
        .size:           8
        .value_kind:     global_buffer
      - .offset:         56
        .size:           1
        .value_kind:     by_value
      - .offset:         57
        .size:           1
        .value_kind:     by_value
    .group_segment_fixed_size: 2152
    .kernarg_segment_align: 8
    .kernarg_segment_size: 60
    .language:       OpenCL C
    .language_version:
      - 2
      - 0
    .max_flat_workgroup_size: 64
    .name:           _ZN9rocsolver6v33100L18getri_kernel_smallILi35E19rocblas_complex_numIdEPKPS3_EEvT1_iilPiilS8_bb
    .private_segment_fixed_size: 576
    .sgpr_count:     44
    .sgpr_spill_count: 0
    .symbol:         _ZN9rocsolver6v33100L18getri_kernel_smallILi35E19rocblas_complex_numIdEPKPS3_EEvT1_iilPiilS8_bb.kd
    .uniform_work_group_size: 1
    .uses_dynamic_stack: false
    .vgpr_count:     215
    .vgpr_spill_count: 0
    .wavefront_size: 32
    .workgroup_processor_mode: 1
  - .args:
      - .address_space:  global
        .offset:         0
        .size:           8
        .value_kind:     global_buffer
      - .offset:         8
        .size:           4
        .value_kind:     by_value
      - .offset:         12
        .size:           4
        .value_kind:     by_value
      - .offset:         16
        .size:           8
        .value_kind:     by_value
      - .address_space:  global
        .offset:         24
        .size:           8
        .value_kind:     global_buffer
      - .offset:         32
        .size:           4
        .value_kind:     by_value
      - .offset:         40
        .size:           8
        .value_kind:     by_value
      - .address_space:  global
        .offset:         48
        .size:           8
        .value_kind:     global_buffer
      - .offset:         56
        .size:           1
        .value_kind:     by_value
      - .offset:         57
        .size:           1
        .value_kind:     by_value
    .group_segment_fixed_size: 2184
    .kernarg_segment_align: 8
    .kernarg_segment_size: 60
    .language:       OpenCL C
    .language_version:
      - 2
      - 0
    .max_flat_workgroup_size: 64
    .name:           _ZN9rocsolver6v33100L18getri_kernel_smallILi36E19rocblas_complex_numIdEPKPS3_EEvT1_iilPiilS8_bb
    .private_segment_fixed_size: 592
    .sgpr_count:     45
    .sgpr_spill_count: 0
    .symbol:         _ZN9rocsolver6v33100L18getri_kernel_smallILi36E19rocblas_complex_numIdEPKPS3_EEvT1_iilPiilS8_bb.kd
    .uniform_work_group_size: 1
    .uses_dynamic_stack: false
    .vgpr_count:     208
    .vgpr_spill_count: 0
    .wavefront_size: 32
    .workgroup_processor_mode: 1
  - .args:
      - .address_space:  global
        .offset:         0
        .size:           8
        .value_kind:     global_buffer
      - .offset:         8
        .size:           4
        .value_kind:     by_value
      - .offset:         12
        .size:           4
        .value_kind:     by_value
      - .offset:         16
        .size:           8
        .value_kind:     by_value
      - .address_space:  global
        .offset:         24
        .size:           8
        .value_kind:     global_buffer
      - .offset:         32
        .size:           4
        .value_kind:     by_value
      - .offset:         40
        .size:           8
        .value_kind:     by_value
      - .address_space:  global
        .offset:         48
        .size:           8
        .value_kind:     global_buffer
      - .offset:         56
        .size:           1
        .value_kind:     by_value
      - .offset:         57
        .size:           1
        .value_kind:     by_value
    .group_segment_fixed_size: 2216
    .kernarg_segment_align: 8
    .kernarg_segment_size: 60
    .language:       OpenCL C
    .language_version:
      - 2
      - 0
    .max_flat_workgroup_size: 64
    .name:           _ZN9rocsolver6v33100L18getri_kernel_smallILi37E19rocblas_complex_numIdEPKPS3_EEvT1_iilPiilS8_bb
    .private_segment_fixed_size: 608
    .sgpr_count:     46
    .sgpr_spill_count: 0
    .symbol:         _ZN9rocsolver6v33100L18getri_kernel_smallILi37E19rocblas_complex_numIdEPKPS3_EEvT1_iilPiilS8_bb.kd
    .uniform_work_group_size: 1
    .uses_dynamic_stack: false
    .vgpr_count:     213
    .vgpr_spill_count: 0
    .wavefront_size: 32
    .workgroup_processor_mode: 1
  - .args:
      - .address_space:  global
        .offset:         0
        .size:           8
        .value_kind:     global_buffer
      - .offset:         8
        .size:           4
        .value_kind:     by_value
      - .offset:         12
        .size:           4
        .value_kind:     by_value
      - .offset:         16
        .size:           8
        .value_kind:     by_value
      - .address_space:  global
        .offset:         24
        .size:           8
        .value_kind:     global_buffer
      - .offset:         32
        .size:           4
        .value_kind:     by_value
      - .offset:         40
        .size:           8
        .value_kind:     by_value
      - .address_space:  global
        .offset:         48
        .size:           8
        .value_kind:     global_buffer
      - .offset:         56
        .size:           1
        .value_kind:     by_value
      - .offset:         57
        .size:           1
        .value_kind:     by_value
    .group_segment_fixed_size: 2248
    .kernarg_segment_align: 8
    .kernarg_segment_size: 60
    .language:       OpenCL C
    .language_version:
      - 2
      - 0
    .max_flat_workgroup_size: 64
    .name:           _ZN9rocsolver6v33100L18getri_kernel_smallILi38E19rocblas_complex_numIdEPKPS3_EEvT1_iilPiilS8_bb
    .private_segment_fixed_size: 624
    .sgpr_count:     46
    .sgpr_spill_count: 0
    .symbol:         _ZN9rocsolver6v33100L18getri_kernel_smallILi38E19rocblas_complex_numIdEPKPS3_EEvT1_iilPiilS8_bb.kd
    .uniform_work_group_size: 1
    .uses_dynamic_stack: false
    .vgpr_count:     208
    .vgpr_spill_count: 0
    .wavefront_size: 32
    .workgroup_processor_mode: 1
  - .args:
      - .address_space:  global
        .offset:         0
        .size:           8
        .value_kind:     global_buffer
      - .offset:         8
        .size:           4
        .value_kind:     by_value
      - .offset:         12
        .size:           4
        .value_kind:     by_value
      - .offset:         16
        .size:           8
        .value_kind:     by_value
      - .address_space:  global
        .offset:         24
        .size:           8
        .value_kind:     global_buffer
      - .offset:         32
        .size:           4
        .value_kind:     by_value
      - .offset:         40
        .size:           8
        .value_kind:     by_value
      - .address_space:  global
        .offset:         48
        .size:           8
        .value_kind:     global_buffer
      - .offset:         56
        .size:           1
        .value_kind:     by_value
      - .offset:         57
        .size:           1
        .value_kind:     by_value
    .group_segment_fixed_size: 2280
    .kernarg_segment_align: 8
    .kernarg_segment_size: 60
    .language:       OpenCL C
    .language_version:
      - 2
      - 0
    .max_flat_workgroup_size: 64
    .name:           _ZN9rocsolver6v33100L18getri_kernel_smallILi39E19rocblas_complex_numIdEPKPS3_EEvT1_iilPiilS8_bb
    .private_segment_fixed_size: 640
    .sgpr_count:     48
    .sgpr_spill_count: 0
    .symbol:         _ZN9rocsolver6v33100L18getri_kernel_smallILi39E19rocblas_complex_numIdEPKPS3_EEvT1_iilPiilS8_bb.kd
    .uniform_work_group_size: 1
    .uses_dynamic_stack: false
    .vgpr_count:     211
    .vgpr_spill_count: 0
    .wavefront_size: 32
    .workgroup_processor_mode: 1
  - .args:
      - .address_space:  global
        .offset:         0
        .size:           8
        .value_kind:     global_buffer
      - .offset:         8
        .size:           4
        .value_kind:     by_value
      - .offset:         12
        .size:           4
        .value_kind:     by_value
      - .offset:         16
        .size:           8
        .value_kind:     by_value
      - .address_space:  global
        .offset:         24
        .size:           8
        .value_kind:     global_buffer
      - .offset:         32
        .size:           4
        .value_kind:     by_value
      - .offset:         40
        .size:           8
        .value_kind:     by_value
      - .address_space:  global
        .offset:         48
        .size:           8
        .value_kind:     global_buffer
      - .offset:         56
        .size:           1
        .value_kind:     by_value
      - .offset:         57
        .size:           1
        .value_kind:     by_value
    .group_segment_fixed_size: 2312
    .kernarg_segment_align: 8
    .kernarg_segment_size: 60
    .language:       OpenCL C
    .language_version:
      - 2
      - 0
    .max_flat_workgroup_size: 64
    .name:           _ZN9rocsolver6v33100L18getri_kernel_smallILi40E19rocblas_complex_numIdEPKPS3_EEvT1_iilPiilS8_bb
    .private_segment_fixed_size: 656
    .sgpr_count:     48
    .sgpr_spill_count: 0
    .symbol:         _ZN9rocsolver6v33100L18getri_kernel_smallILi40E19rocblas_complex_numIdEPKPS3_EEvT1_iilPiilS8_bb.kd
    .uniform_work_group_size: 1
    .uses_dynamic_stack: false
    .vgpr_count:     214
    .vgpr_spill_count: 0
    .wavefront_size: 32
    .workgroup_processor_mode: 1
  - .args:
      - .address_space:  global
        .offset:         0
        .size:           8
        .value_kind:     global_buffer
      - .offset:         8
        .size:           4
        .value_kind:     by_value
      - .offset:         12
        .size:           4
        .value_kind:     by_value
      - .offset:         16
        .size:           8
        .value_kind:     by_value
      - .address_space:  global
        .offset:         24
        .size:           8
        .value_kind:     global_buffer
      - .offset:         32
        .size:           4
        .value_kind:     by_value
      - .offset:         40
        .size:           8
        .value_kind:     by_value
      - .address_space:  global
        .offset:         48
        .size:           8
        .value_kind:     global_buffer
      - .offset:         56
        .size:           1
        .value_kind:     by_value
      - .offset:         57
        .size:           1
        .value_kind:     by_value
    .group_segment_fixed_size: 2344
    .kernarg_segment_align: 8
    .kernarg_segment_size: 60
    .language:       OpenCL C
    .language_version:
      - 2
      - 0
    .max_flat_workgroup_size: 64
    .name:           _ZN9rocsolver6v33100L18getri_kernel_smallILi41E19rocblas_complex_numIdEPKPS3_EEvT1_iilPiilS8_bb
    .private_segment_fixed_size: 672
    .sgpr_count:     49
    .sgpr_spill_count: 0
    .symbol:         _ZN9rocsolver6v33100L18getri_kernel_smallILi41E19rocblas_complex_numIdEPKPS3_EEvT1_iilPiilS8_bb.kd
    .uniform_work_group_size: 1
    .uses_dynamic_stack: false
    .vgpr_count:     213
    .vgpr_spill_count: 0
    .wavefront_size: 32
    .workgroup_processor_mode: 1
  - .args:
      - .address_space:  global
        .offset:         0
        .size:           8
        .value_kind:     global_buffer
      - .offset:         8
        .size:           4
        .value_kind:     by_value
      - .offset:         12
        .size:           4
        .value_kind:     by_value
      - .offset:         16
        .size:           8
        .value_kind:     by_value
      - .address_space:  global
        .offset:         24
        .size:           8
        .value_kind:     global_buffer
      - .offset:         32
        .size:           4
        .value_kind:     by_value
      - .offset:         40
        .size:           8
        .value_kind:     by_value
      - .address_space:  global
        .offset:         48
        .size:           8
        .value_kind:     global_buffer
      - .offset:         56
        .size:           1
        .value_kind:     by_value
      - .offset:         57
        .size:           1
        .value_kind:     by_value
    .group_segment_fixed_size: 2376
    .kernarg_segment_align: 8
    .kernarg_segment_size: 60
    .language:       OpenCL C
    .language_version:
      - 2
      - 0
    .max_flat_workgroup_size: 64
    .name:           _ZN9rocsolver6v33100L18getri_kernel_smallILi42E19rocblas_complex_numIdEPKPS3_EEvT1_iilPiilS8_bb
    .private_segment_fixed_size: 688
    .sgpr_count:     50
    .sgpr_spill_count: 0
    .symbol:         _ZN9rocsolver6v33100L18getri_kernel_smallILi42E19rocblas_complex_numIdEPKPS3_EEvT1_iilPiilS8_bb.kd
    .uniform_work_group_size: 1
    .uses_dynamic_stack: false
    .vgpr_count:     216
    .vgpr_spill_count: 0
    .wavefront_size: 32
    .workgroup_processor_mode: 1
  - .args:
      - .address_space:  global
        .offset:         0
        .size:           8
        .value_kind:     global_buffer
      - .offset:         8
        .size:           4
        .value_kind:     by_value
      - .offset:         12
        .size:           4
        .value_kind:     by_value
      - .offset:         16
        .size:           8
        .value_kind:     by_value
      - .address_space:  global
        .offset:         24
        .size:           8
        .value_kind:     global_buffer
      - .offset:         32
        .size:           4
        .value_kind:     by_value
      - .offset:         40
        .size:           8
        .value_kind:     by_value
      - .address_space:  global
        .offset:         48
        .size:           8
        .value_kind:     global_buffer
      - .offset:         56
        .size:           1
        .value_kind:     by_value
      - .offset:         57
        .size:           1
        .value_kind:     by_value
    .group_segment_fixed_size: 2408
    .kernarg_segment_align: 8
    .kernarg_segment_size: 60
    .language:       OpenCL C
    .language_version:
      - 2
      - 0
    .max_flat_workgroup_size: 64
    .name:           _ZN9rocsolver6v33100L18getri_kernel_smallILi43E19rocblas_complex_numIdEPKPS3_EEvT1_iilPiilS8_bb
    .private_segment_fixed_size: 704
    .sgpr_count:     51
    .sgpr_spill_count: 0
    .symbol:         _ZN9rocsolver6v33100L18getri_kernel_smallILi43E19rocblas_complex_numIdEPKPS3_EEvT1_iilPiilS8_bb.kd
    .uniform_work_group_size: 1
    .uses_dynamic_stack: false
    .vgpr_count:     235
    .vgpr_spill_count: 0
    .wavefront_size: 32
    .workgroup_processor_mode: 1
  - .args:
      - .address_space:  global
        .offset:         0
        .size:           8
        .value_kind:     global_buffer
      - .offset:         8
        .size:           4
        .value_kind:     by_value
      - .offset:         12
        .size:           4
        .value_kind:     by_value
      - .offset:         16
        .size:           8
        .value_kind:     by_value
      - .address_space:  global
        .offset:         24
        .size:           8
        .value_kind:     global_buffer
      - .offset:         32
        .size:           4
        .value_kind:     by_value
      - .offset:         40
        .size:           8
        .value_kind:     by_value
      - .address_space:  global
        .offset:         48
        .size:           8
        .value_kind:     global_buffer
      - .offset:         56
        .size:           1
        .value_kind:     by_value
      - .offset:         57
        .size:           1
        .value_kind:     by_value
    .group_segment_fixed_size: 2440
    .kernarg_segment_align: 8
    .kernarg_segment_size: 60
    .language:       OpenCL C
    .language_version:
      - 2
      - 0
    .max_flat_workgroup_size: 64
    .name:           _ZN9rocsolver6v33100L18getri_kernel_smallILi44E19rocblas_complex_numIdEPKPS3_EEvT1_iilPiilS8_bb
    .private_segment_fixed_size: 720
    .sgpr_count:     52
    .sgpr_spill_count: 0
    .symbol:         _ZN9rocsolver6v33100L18getri_kernel_smallILi44E19rocblas_complex_numIdEPKPS3_EEvT1_iilPiilS8_bb.kd
    .uniform_work_group_size: 1
    .uses_dynamic_stack: false
    .vgpr_count:     242
    .vgpr_spill_count: 0
    .wavefront_size: 32
    .workgroup_processor_mode: 1
  - .args:
      - .address_space:  global
        .offset:         0
        .size:           8
        .value_kind:     global_buffer
      - .offset:         8
        .size:           4
        .value_kind:     by_value
      - .offset:         12
        .size:           4
        .value_kind:     by_value
      - .offset:         16
        .size:           8
        .value_kind:     by_value
      - .address_space:  global
        .offset:         24
        .size:           8
        .value_kind:     global_buffer
      - .offset:         32
        .size:           4
        .value_kind:     by_value
      - .offset:         40
        .size:           8
        .value_kind:     by_value
      - .address_space:  global
        .offset:         48
        .size:           8
        .value_kind:     global_buffer
      - .offset:         56
        .size:           1
        .value_kind:     by_value
      - .offset:         57
        .size:           1
        .value_kind:     by_value
    .group_segment_fixed_size: 2472
    .kernarg_segment_align: 8
    .kernarg_segment_size: 60
    .language:       OpenCL C
    .language_version:
      - 2
      - 0
    .max_flat_workgroup_size: 64
    .name:           _ZN9rocsolver6v33100L18getri_kernel_smallILi45E19rocblas_complex_numIdEPKPS3_EEvT1_iilPiilS8_bb
    .private_segment_fixed_size: 736
    .sgpr_count:     53
    .sgpr_spill_count: 0
    .symbol:         _ZN9rocsolver6v33100L18getri_kernel_smallILi45E19rocblas_complex_numIdEPKPS3_EEvT1_iilPiilS8_bb.kd
    .uniform_work_group_size: 1
    .uses_dynamic_stack: false
    .vgpr_count:     241
    .vgpr_spill_count: 0
    .wavefront_size: 32
    .workgroup_processor_mode: 1
  - .args:
      - .address_space:  global
        .offset:         0
        .size:           8
        .value_kind:     global_buffer
      - .offset:         8
        .size:           4
        .value_kind:     by_value
      - .offset:         12
        .size:           4
        .value_kind:     by_value
      - .offset:         16
        .size:           8
        .value_kind:     by_value
      - .address_space:  global
        .offset:         24
        .size:           8
        .value_kind:     global_buffer
      - .offset:         32
        .size:           4
        .value_kind:     by_value
      - .offset:         40
        .size:           8
        .value_kind:     by_value
      - .address_space:  global
        .offset:         48
        .size:           8
        .value_kind:     global_buffer
      - .offset:         56
        .size:           1
        .value_kind:     by_value
      - .offset:         57
        .size:           1
        .value_kind:     by_value
    .group_segment_fixed_size: 2504
    .kernarg_segment_align: 8
    .kernarg_segment_size: 60
    .language:       OpenCL C
    .language_version:
      - 2
      - 0
    .max_flat_workgroup_size: 64
    .name:           _ZN9rocsolver6v33100L18getri_kernel_smallILi46E19rocblas_complex_numIdEPKPS3_EEvT1_iilPiilS8_bb
    .private_segment_fixed_size: 752
    .sgpr_count:     54
    .sgpr_spill_count: 0
    .symbol:         _ZN9rocsolver6v33100L18getri_kernel_smallILi46E19rocblas_complex_numIdEPKPS3_EEvT1_iilPiilS8_bb.kd
    .uniform_work_group_size: 1
    .uses_dynamic_stack: false
    .vgpr_count:     244
    .vgpr_spill_count: 0
    .wavefront_size: 32
    .workgroup_processor_mode: 1
  - .args:
      - .address_space:  global
        .offset:         0
        .size:           8
        .value_kind:     global_buffer
      - .offset:         8
        .size:           4
        .value_kind:     by_value
      - .offset:         12
        .size:           4
        .value_kind:     by_value
      - .offset:         16
        .size:           8
        .value_kind:     by_value
      - .address_space:  global
        .offset:         24
        .size:           8
        .value_kind:     global_buffer
      - .offset:         32
        .size:           4
        .value_kind:     by_value
      - .offset:         40
        .size:           8
        .value_kind:     by_value
      - .address_space:  global
        .offset:         48
        .size:           8
        .value_kind:     global_buffer
      - .offset:         56
        .size:           1
        .value_kind:     by_value
      - .offset:         57
        .size:           1
        .value_kind:     by_value
    .group_segment_fixed_size: 2536
    .kernarg_segment_align: 8
    .kernarg_segment_size: 60
    .language:       OpenCL C
    .language_version:
      - 2
      - 0
    .max_flat_workgroup_size: 64
    .name:           _ZN9rocsolver6v33100L18getri_kernel_smallILi47E19rocblas_complex_numIdEPKPS3_EEvT1_iilPiilS8_bb
    .private_segment_fixed_size: 768
    .sgpr_count:     55
    .sgpr_spill_count: 0
    .symbol:         _ZN9rocsolver6v33100L18getri_kernel_smallILi47E19rocblas_complex_numIdEPKPS3_EEvT1_iilPiilS8_bb.kd
    .uniform_work_group_size: 1
    .uses_dynamic_stack: false
    .vgpr_count:     251
    .vgpr_spill_count: 0
    .wavefront_size: 32
    .workgroup_processor_mode: 1
  - .args:
      - .address_space:  global
        .offset:         0
        .size:           8
        .value_kind:     global_buffer
      - .offset:         8
        .size:           4
        .value_kind:     by_value
      - .offset:         12
        .size:           4
        .value_kind:     by_value
      - .offset:         16
        .size:           8
        .value_kind:     by_value
      - .address_space:  global
        .offset:         24
        .size:           8
        .value_kind:     global_buffer
      - .offset:         32
        .size:           4
        .value_kind:     by_value
      - .offset:         40
        .size:           8
        .value_kind:     by_value
      - .address_space:  global
        .offset:         48
        .size:           8
        .value_kind:     global_buffer
      - .offset:         56
        .size:           1
        .value_kind:     by_value
      - .offset:         57
        .size:           1
        .value_kind:     by_value
    .group_segment_fixed_size: 2568
    .kernarg_segment_align: 8
    .kernarg_segment_size: 60
    .language:       OpenCL C
    .language_version:
      - 2
      - 0
    .max_flat_workgroup_size: 64
    .name:           _ZN9rocsolver6v33100L18getri_kernel_smallILi48E19rocblas_complex_numIdEPKPS3_EEvT1_iilPiilS8_bb
    .private_segment_fixed_size: 784
    .sgpr_count:     56
    .sgpr_spill_count: 0
    .symbol:         _ZN9rocsolver6v33100L18getri_kernel_smallILi48E19rocblas_complex_numIdEPKPS3_EEvT1_iilPiilS8_bb.kd
    .uniform_work_group_size: 1
    .uses_dynamic_stack: false
    .vgpr_count:     242
    .vgpr_spill_count: 0
    .wavefront_size: 32
    .workgroup_processor_mode: 1
  - .args:
      - .address_space:  global
        .offset:         0
        .size:           8
        .value_kind:     global_buffer
      - .offset:         8
        .size:           4
        .value_kind:     by_value
      - .offset:         12
        .size:           4
        .value_kind:     by_value
      - .offset:         16
        .size:           8
        .value_kind:     by_value
      - .address_space:  global
        .offset:         24
        .size:           8
        .value_kind:     global_buffer
      - .offset:         32
        .size:           4
        .value_kind:     by_value
      - .offset:         40
        .size:           8
        .value_kind:     by_value
      - .address_space:  global
        .offset:         48
        .size:           8
        .value_kind:     global_buffer
      - .offset:         56
        .size:           1
        .value_kind:     by_value
      - .offset:         57
        .size:           1
        .value_kind:     by_value
    .group_segment_fixed_size: 2600
    .kernarg_segment_align: 8
    .kernarg_segment_size: 60
    .language:       OpenCL C
    .language_version:
      - 2
      - 0
    .max_flat_workgroup_size: 64
    .name:           _ZN9rocsolver6v33100L18getri_kernel_smallILi49E19rocblas_complex_numIdEPKPS3_EEvT1_iilPiilS8_bb
    .private_segment_fixed_size: 800
    .sgpr_count:     57
    .sgpr_spill_count: 0
    .symbol:         _ZN9rocsolver6v33100L18getri_kernel_smallILi49E19rocblas_complex_numIdEPKPS3_EEvT1_iilPiilS8_bb.kd
    .uniform_work_group_size: 1
    .uses_dynamic_stack: false
    .vgpr_count:     249
    .vgpr_spill_count: 0
    .wavefront_size: 32
    .workgroup_processor_mode: 1
  - .args:
      - .address_space:  global
        .offset:         0
        .size:           8
        .value_kind:     global_buffer
      - .offset:         8
        .size:           4
        .value_kind:     by_value
      - .offset:         12
        .size:           4
        .value_kind:     by_value
      - .offset:         16
        .size:           8
        .value_kind:     by_value
      - .address_space:  global
        .offset:         24
        .size:           8
        .value_kind:     global_buffer
      - .offset:         32
        .size:           4
        .value_kind:     by_value
      - .offset:         40
        .size:           8
        .value_kind:     by_value
      - .address_space:  global
        .offset:         48
        .size:           8
        .value_kind:     global_buffer
      - .offset:         56
        .size:           1
        .value_kind:     by_value
      - .offset:         57
        .size:           1
        .value_kind:     by_value
    .group_segment_fixed_size: 2632
    .kernarg_segment_align: 8
    .kernarg_segment_size: 60
    .language:       OpenCL C
    .language_version:
      - 2
      - 0
    .max_flat_workgroup_size: 64
    .name:           _ZN9rocsolver6v33100L18getri_kernel_smallILi50E19rocblas_complex_numIdEPKPS3_EEvT1_iilPiilS8_bb
    .private_segment_fixed_size: 816
    .sgpr_count:     58
    .sgpr_spill_count: 0
    .symbol:         _ZN9rocsolver6v33100L18getri_kernel_smallILi50E19rocblas_complex_numIdEPKPS3_EEvT1_iilPiilS8_bb.kd
    .uniform_work_group_size: 1
    .uses_dynamic_stack: false
    .vgpr_count:     248
    .vgpr_spill_count: 0
    .wavefront_size: 32
    .workgroup_processor_mode: 1
  - .args:
      - .address_space:  global
        .offset:         0
        .size:           8
        .value_kind:     global_buffer
      - .offset:         8
        .size:           4
        .value_kind:     by_value
      - .offset:         12
        .size:           4
        .value_kind:     by_value
      - .offset:         16
        .size:           8
        .value_kind:     by_value
      - .address_space:  global
        .offset:         24
        .size:           8
        .value_kind:     global_buffer
      - .offset:         32
        .size:           4
        .value_kind:     by_value
      - .offset:         40
        .size:           8
        .value_kind:     by_value
      - .address_space:  global
        .offset:         48
        .size:           8
        .value_kind:     global_buffer
      - .offset:         56
        .size:           1
        .value_kind:     by_value
      - .offset:         57
        .size:           1
        .value_kind:     by_value
    .group_segment_fixed_size: 2664
    .kernarg_segment_align: 8
    .kernarg_segment_size: 60
    .language:       OpenCL C
    .language_version:
      - 2
      - 0
    .max_flat_workgroup_size: 64
    .name:           _ZN9rocsolver6v33100L18getri_kernel_smallILi51E19rocblas_complex_numIdEPKPS3_EEvT1_iilPiilS8_bb
    .private_segment_fixed_size: 832
    .sgpr_count:     59
    .sgpr_spill_count: 0
    .symbol:         _ZN9rocsolver6v33100L18getri_kernel_smallILi51E19rocblas_complex_numIdEPKPS3_EEvT1_iilPiilS8_bb.kd
    .uniform_work_group_size: 1
    .uses_dynamic_stack: false
    .vgpr_count:     255
    .vgpr_spill_count: 0
    .wavefront_size: 32
    .workgroup_processor_mode: 1
  - .args:
      - .address_space:  global
        .offset:         0
        .size:           8
        .value_kind:     global_buffer
      - .offset:         8
        .size:           4
        .value_kind:     by_value
      - .offset:         12
        .size:           4
        .value_kind:     by_value
      - .offset:         16
        .size:           8
        .value_kind:     by_value
      - .address_space:  global
        .offset:         24
        .size:           8
        .value_kind:     global_buffer
      - .offset:         32
        .size:           4
        .value_kind:     by_value
      - .offset:         40
        .size:           8
        .value_kind:     by_value
      - .address_space:  global
        .offset:         48
        .size:           8
        .value_kind:     global_buffer
      - .offset:         56
        .size:           1
        .value_kind:     by_value
      - .offset:         57
        .size:           1
        .value_kind:     by_value
    .group_segment_fixed_size: 2696
    .kernarg_segment_align: 8
    .kernarg_segment_size: 60
    .language:       OpenCL C
    .language_version:
      - 2
      - 0
    .max_flat_workgroup_size: 64
    .name:           _ZN9rocsolver6v33100L18getri_kernel_smallILi52E19rocblas_complex_numIdEPKPS3_EEvT1_iilPiilS8_bb
    .private_segment_fixed_size: 848
    .sgpr_count:     60
    .sgpr_spill_count: 0
    .symbol:         _ZN9rocsolver6v33100L18getri_kernel_smallILi52E19rocblas_complex_numIdEPKPS3_EEvT1_iilPiilS8_bb.kd
    .uniform_work_group_size: 1
    .uses_dynamic_stack: false
    .vgpr_count:     254
    .vgpr_spill_count: 0
    .wavefront_size: 32
    .workgroup_processor_mode: 1
  - .args:
      - .address_space:  global
        .offset:         0
        .size:           8
        .value_kind:     global_buffer
      - .offset:         8
        .size:           4
        .value_kind:     by_value
      - .offset:         12
        .size:           4
        .value_kind:     by_value
      - .offset:         16
        .size:           8
        .value_kind:     by_value
      - .address_space:  global
        .offset:         24
        .size:           8
        .value_kind:     global_buffer
      - .offset:         32
        .size:           4
        .value_kind:     by_value
      - .offset:         40
        .size:           8
        .value_kind:     by_value
      - .address_space:  global
        .offset:         48
        .size:           8
        .value_kind:     global_buffer
      - .offset:         56
        .size:           1
        .value_kind:     by_value
      - .offset:         57
        .size:           1
        .value_kind:     by_value
    .group_segment_fixed_size: 2728
    .kernarg_segment_align: 8
    .kernarg_segment_size: 60
    .language:       OpenCL C
    .language_version:
      - 2
      - 0
    .max_flat_workgroup_size: 64
    .name:           _ZN9rocsolver6v33100L18getri_kernel_smallILi53E19rocblas_complex_numIdEPKPS3_EEvT1_iilPiilS8_bb
    .private_segment_fixed_size: 864
    .sgpr_count:     61
    .sgpr_spill_count: 0
    .symbol:         _ZN9rocsolver6v33100L18getri_kernel_smallILi53E19rocblas_complex_numIdEPKPS3_EEvT1_iilPiilS8_bb.kd
    .uniform_work_group_size: 1
    .uses_dynamic_stack: false
    .vgpr_count:     256
    .vgpr_spill_count: 0
    .wavefront_size: 32
    .workgroup_processor_mode: 1
  - .args:
      - .address_space:  global
        .offset:         0
        .size:           8
        .value_kind:     global_buffer
      - .offset:         8
        .size:           4
        .value_kind:     by_value
      - .offset:         12
        .size:           4
        .value_kind:     by_value
      - .offset:         16
        .size:           8
        .value_kind:     by_value
      - .address_space:  global
        .offset:         24
        .size:           8
        .value_kind:     global_buffer
      - .offset:         32
        .size:           4
        .value_kind:     by_value
      - .offset:         40
        .size:           8
        .value_kind:     by_value
      - .address_space:  global
        .offset:         48
        .size:           8
        .value_kind:     global_buffer
      - .offset:         56
        .size:           1
        .value_kind:     by_value
      - .offset:         57
        .size:           1
        .value_kind:     by_value
    .group_segment_fixed_size: 2760
    .kernarg_segment_align: 8
    .kernarg_segment_size: 60
    .language:       OpenCL C
    .language_version:
      - 2
      - 0
    .max_flat_workgroup_size: 64
    .name:           _ZN9rocsolver6v33100L18getri_kernel_smallILi54E19rocblas_complex_numIdEPKPS3_EEvT1_iilPiilS8_bb
    .private_segment_fixed_size: 896
    .sgpr_count:     62
    .sgpr_spill_count: 0
    .symbol:         _ZN9rocsolver6v33100L18getri_kernel_smallILi54E19rocblas_complex_numIdEPKPS3_EEvT1_iilPiilS8_bb.kd
    .uniform_work_group_size: 1
    .uses_dynamic_stack: false
    .vgpr_count:     256
    .vgpr_spill_count: 4
    .wavefront_size: 32
    .workgroup_processor_mode: 1
  - .args:
      - .address_space:  global
        .offset:         0
        .size:           8
        .value_kind:     global_buffer
      - .offset:         8
        .size:           4
        .value_kind:     by_value
      - .offset:         12
        .size:           4
        .value_kind:     by_value
      - .offset:         16
        .size:           8
        .value_kind:     by_value
      - .address_space:  global
        .offset:         24
        .size:           8
        .value_kind:     global_buffer
      - .offset:         32
        .size:           4
        .value_kind:     by_value
      - .offset:         40
        .size:           8
        .value_kind:     by_value
      - .address_space:  global
        .offset:         48
        .size:           8
        .value_kind:     global_buffer
      - .offset:         56
        .size:           1
        .value_kind:     by_value
      - .offset:         57
        .size:           1
        .value_kind:     by_value
    .group_segment_fixed_size: 2792
    .kernarg_segment_align: 8
    .kernarg_segment_size: 60
    .language:       OpenCL C
    .language_version:
      - 2
      - 0
    .max_flat_workgroup_size: 64
    .name:           _ZN9rocsolver6v33100L18getri_kernel_smallILi55E19rocblas_complex_numIdEPKPS3_EEvT1_iilPiilS8_bb
    .private_segment_fixed_size: 896
    .sgpr_count:     63
    .sgpr_spill_count: 0
    .symbol:         _ZN9rocsolver6v33100L18getri_kernel_smallILi55E19rocblas_complex_numIdEPKPS3_EEvT1_iilPiilS8_bb.kd
    .uniform_work_group_size: 1
    .uses_dynamic_stack: false
    .vgpr_count:     255
    .vgpr_spill_count: 0
    .wavefront_size: 32
    .workgroup_processor_mode: 1
  - .args:
      - .address_space:  global
        .offset:         0
        .size:           8
        .value_kind:     global_buffer
      - .offset:         8
        .size:           4
        .value_kind:     by_value
      - .offset:         12
        .size:           4
        .value_kind:     by_value
      - .offset:         16
        .size:           8
        .value_kind:     by_value
      - .address_space:  global
        .offset:         24
        .size:           8
        .value_kind:     global_buffer
      - .offset:         32
        .size:           4
        .value_kind:     by_value
      - .offset:         40
        .size:           8
        .value_kind:     by_value
      - .address_space:  global
        .offset:         48
        .size:           8
        .value_kind:     global_buffer
      - .offset:         56
        .size:           1
        .value_kind:     by_value
      - .offset:         57
        .size:           1
        .value_kind:     by_value
    .group_segment_fixed_size: 2824
    .kernarg_segment_align: 8
    .kernarg_segment_size: 60
    .language:       OpenCL C
    .language_version:
      - 2
      - 0
    .max_flat_workgroup_size: 64
    .name:           _ZN9rocsolver6v33100L18getri_kernel_smallILi56E19rocblas_complex_numIdEPKPS3_EEvT1_iilPiilS8_bb
    .private_segment_fixed_size: 944
    .sgpr_count:     64
    .sgpr_spill_count: 0
    .symbol:         _ZN9rocsolver6v33100L18getri_kernel_smallILi56E19rocblas_complex_numIdEPKPS3_EEvT1_iilPiilS8_bb.kd
    .uniform_work_group_size: 1
    .uses_dynamic_stack: false
    .vgpr_count:     256
    .vgpr_spill_count: 8
    .wavefront_size: 32
    .workgroup_processor_mode: 1
  - .args:
      - .address_space:  global
        .offset:         0
        .size:           8
        .value_kind:     global_buffer
      - .offset:         8
        .size:           4
        .value_kind:     by_value
      - .offset:         12
        .size:           4
        .value_kind:     by_value
      - .offset:         16
        .size:           8
        .value_kind:     by_value
      - .address_space:  global
        .offset:         24
        .size:           8
        .value_kind:     global_buffer
      - .offset:         32
        .size:           4
        .value_kind:     by_value
      - .offset:         40
        .size:           8
        .value_kind:     by_value
      - .address_space:  global
        .offset:         48
        .size:           8
        .value_kind:     global_buffer
      - .offset:         56
        .size:           1
        .value_kind:     by_value
      - .offset:         57
        .size:           1
        .value_kind:     by_value
    .group_segment_fixed_size: 2856
    .kernarg_segment_align: 8
    .kernarg_segment_size: 60
    .language:       OpenCL C
    .language_version:
      - 2
      - 0
    .max_flat_workgroup_size: 64
    .name:           _ZN9rocsolver6v33100L18getri_kernel_smallILi57E19rocblas_complex_numIdEPKPS3_EEvT1_iilPiilS8_bb
    .private_segment_fixed_size: 928
    .sgpr_count:     65
    .sgpr_spill_count: 0
    .symbol:         _ZN9rocsolver6v33100L18getri_kernel_smallILi57E19rocblas_complex_numIdEPKPS3_EEvT1_iilPiilS8_bb.kd
    .uniform_work_group_size: 1
    .uses_dynamic_stack: false
    .vgpr_count:     256
    .vgpr_spill_count: 0
    .wavefront_size: 32
    .workgroup_processor_mode: 1
  - .args:
      - .address_space:  global
        .offset:         0
        .size:           8
        .value_kind:     global_buffer
      - .offset:         8
        .size:           4
        .value_kind:     by_value
      - .offset:         12
        .size:           4
        .value_kind:     by_value
      - .offset:         16
        .size:           8
        .value_kind:     by_value
      - .address_space:  global
        .offset:         24
        .size:           8
        .value_kind:     global_buffer
      - .offset:         32
        .size:           4
        .value_kind:     by_value
      - .offset:         40
        .size:           8
        .value_kind:     by_value
      - .address_space:  global
        .offset:         48
        .size:           8
        .value_kind:     global_buffer
      - .offset:         56
        .size:           1
        .value_kind:     by_value
      - .offset:         57
        .size:           1
        .value_kind:     by_value
    .group_segment_fixed_size: 2888
    .kernarg_segment_align: 8
    .kernarg_segment_size: 60
    .language:       OpenCL C
    .language_version:
      - 2
      - 0
    .max_flat_workgroup_size: 64
    .name:           _ZN9rocsolver6v33100L18getri_kernel_smallILi58E19rocblas_complex_numIdEPKPS3_EEvT1_iilPiilS8_bb
    .private_segment_fixed_size: 1072
    .sgpr_count:     66
    .sgpr_spill_count: 0
    .symbol:         _ZN9rocsolver6v33100L18getri_kernel_smallILi58E19rocblas_complex_numIdEPKPS3_EEvT1_iilPiilS8_bb.kd
    .uniform_work_group_size: 1
    .uses_dynamic_stack: false
    .vgpr_count:     256
    .vgpr_spill_count: 33
    .wavefront_size: 32
    .workgroup_processor_mode: 1
  - .args:
      - .address_space:  global
        .offset:         0
        .size:           8
        .value_kind:     global_buffer
      - .offset:         8
        .size:           4
        .value_kind:     by_value
      - .offset:         12
        .size:           4
        .value_kind:     by_value
      - .offset:         16
        .size:           8
        .value_kind:     by_value
      - .address_space:  global
        .offset:         24
        .size:           8
        .value_kind:     global_buffer
      - .offset:         32
        .size:           4
        .value_kind:     by_value
      - .offset:         40
        .size:           8
        .value_kind:     by_value
      - .address_space:  global
        .offset:         48
        .size:           8
        .value_kind:     global_buffer
      - .offset:         56
        .size:           1
        .value_kind:     by_value
      - .offset:         57
        .size:           1
        .value_kind:     by_value
    .group_segment_fixed_size: 2920
    .kernarg_segment_align: 8
    .kernarg_segment_size: 60
    .language:       OpenCL C
    .language_version:
      - 2
      - 0
    .max_flat_workgroup_size: 64
    .name:           _ZN9rocsolver6v33100L18getri_kernel_smallILi59E19rocblas_complex_numIdEPKPS3_EEvT1_iilPiilS8_bb
    .private_segment_fixed_size: 1104
    .sgpr_count:     67
    .sgpr_spill_count: 0
    .symbol:         _ZN9rocsolver6v33100L18getri_kernel_smallILi59E19rocblas_complex_numIdEPKPS3_EEvT1_iilPiilS8_bb.kd
    .uniform_work_group_size: 1
    .uses_dynamic_stack: false
    .vgpr_count:     256
    .vgpr_spill_count: 37
    .wavefront_size: 32
    .workgroup_processor_mode: 1
  - .args:
      - .address_space:  global
        .offset:         0
        .size:           8
        .value_kind:     global_buffer
      - .offset:         8
        .size:           4
        .value_kind:     by_value
      - .offset:         12
        .size:           4
        .value_kind:     by_value
      - .offset:         16
        .size:           8
        .value_kind:     by_value
      - .address_space:  global
        .offset:         24
        .size:           8
        .value_kind:     global_buffer
      - .offset:         32
        .size:           4
        .value_kind:     by_value
      - .offset:         40
        .size:           8
        .value_kind:     by_value
      - .address_space:  global
        .offset:         48
        .size:           8
        .value_kind:     global_buffer
      - .offset:         56
        .size:           1
        .value_kind:     by_value
      - .offset:         57
        .size:           1
        .value_kind:     by_value
    .group_segment_fixed_size: 2952
    .kernarg_segment_align: 8
    .kernarg_segment_size: 60
    .language:       OpenCL C
    .language_version:
      - 2
      - 0
    .max_flat_workgroup_size: 64
    .name:           _ZN9rocsolver6v33100L18getri_kernel_smallILi60E19rocblas_complex_numIdEPKPS3_EEvT1_iilPiilS8_bb
    .private_segment_fixed_size: 1072
    .sgpr_count:     68
    .sgpr_spill_count: 0
    .symbol:         _ZN9rocsolver6v33100L18getri_kernel_smallILi60E19rocblas_complex_numIdEPKPS3_EEvT1_iilPiilS8_bb.kd
    .uniform_work_group_size: 1
    .uses_dynamic_stack: false
    .vgpr_count:     256
    .vgpr_spill_count: 27
    .wavefront_size: 32
    .workgroup_processor_mode: 1
  - .args:
      - .address_space:  global
        .offset:         0
        .size:           8
        .value_kind:     global_buffer
      - .offset:         8
        .size:           4
        .value_kind:     by_value
      - .offset:         12
        .size:           4
        .value_kind:     by_value
      - .offset:         16
        .size:           8
        .value_kind:     by_value
      - .address_space:  global
        .offset:         24
        .size:           8
        .value_kind:     global_buffer
      - .offset:         32
        .size:           4
        .value_kind:     by_value
      - .offset:         40
        .size:           8
        .value_kind:     by_value
      - .address_space:  global
        .offset:         48
        .size:           8
        .value_kind:     global_buffer
      - .offset:         56
        .size:           1
        .value_kind:     by_value
      - .offset:         57
        .size:           1
        .value_kind:     by_value
    .group_segment_fixed_size: 2984
    .kernarg_segment_align: 8
    .kernarg_segment_size: 60
    .language:       OpenCL C
    .language_version:
      - 2
      - 0
    .max_flat_workgroup_size: 64
    .name:           _ZN9rocsolver6v33100L18getri_kernel_smallILi61E19rocblas_complex_numIdEPKPS3_EEvT1_iilPiilS8_bb
    .private_segment_fixed_size: 1136
    .sgpr_count:     69
    .sgpr_spill_count: 0
    .symbol:         _ZN9rocsolver6v33100L18getri_kernel_smallILi61E19rocblas_complex_numIdEPKPS3_EEvT1_iilPiilS8_bb.kd
    .uniform_work_group_size: 1
    .uses_dynamic_stack: false
    .vgpr_count:     256
    .vgpr_spill_count: 37
    .wavefront_size: 32
    .workgroup_processor_mode: 1
  - .args:
      - .address_space:  global
        .offset:         0
        .size:           8
        .value_kind:     global_buffer
      - .offset:         8
        .size:           4
        .value_kind:     by_value
      - .offset:         12
        .size:           4
        .value_kind:     by_value
      - .offset:         16
        .size:           8
        .value_kind:     by_value
      - .address_space:  global
        .offset:         24
        .size:           8
        .value_kind:     global_buffer
      - .offset:         32
        .size:           4
        .value_kind:     by_value
      - .offset:         40
        .size:           8
        .value_kind:     by_value
      - .address_space:  global
        .offset:         48
        .size:           8
        .value_kind:     global_buffer
      - .offset:         56
        .size:           1
        .value_kind:     by_value
      - .offset:         57
        .size:           1
        .value_kind:     by_value
    .group_segment_fixed_size: 3016
    .kernarg_segment_align: 8
    .kernarg_segment_size: 60
    .language:       OpenCL C
    .language_version:
      - 2
      - 0
    .max_flat_workgroup_size: 64
    .name:           _ZN9rocsolver6v33100L18getri_kernel_smallILi62E19rocblas_complex_numIdEPKPS3_EEvT1_iilPiilS8_bb
    .private_segment_fixed_size: 1488
    .sgpr_count:     70
    .sgpr_spill_count: 0
    .symbol:         _ZN9rocsolver6v33100L18getri_kernel_smallILi62E19rocblas_complex_numIdEPKPS3_EEvT1_iilPiilS8_bb.kd
    .uniform_work_group_size: 1
    .uses_dynamic_stack: false
    .vgpr_count:     256
    .vgpr_spill_count: 123
    .wavefront_size: 32
    .workgroup_processor_mode: 1
  - .args:
      - .address_space:  global
        .offset:         0
        .size:           8
        .value_kind:     global_buffer
      - .offset:         8
        .size:           4
        .value_kind:     by_value
      - .offset:         12
        .size:           4
        .value_kind:     by_value
      - .offset:         16
        .size:           8
        .value_kind:     by_value
      - .address_space:  global
        .offset:         24
        .size:           8
        .value_kind:     global_buffer
      - .offset:         32
        .size:           4
        .value_kind:     by_value
      - .offset:         40
        .size:           8
        .value_kind:     by_value
      - .address_space:  global
        .offset:         48
        .size:           8
        .value_kind:     global_buffer
      - .offset:         56
        .size:           1
        .value_kind:     by_value
      - .offset:         57
        .size:           1
        .value_kind:     by_value
    .group_segment_fixed_size: 3048
    .kernarg_segment_align: 8
    .kernarg_segment_size: 60
    .language:       OpenCL C
    .language_version:
      - 2
      - 0
    .max_flat_workgroup_size: 64
    .name:           _ZN9rocsolver6v33100L18getri_kernel_smallILi63E19rocblas_complex_numIdEPKPS3_EEvT1_iilPiilS8_bb
    .private_segment_fixed_size: 1520
    .sgpr_count:     71
    .sgpr_spill_count: 0
    .symbol:         _ZN9rocsolver6v33100L18getri_kernel_smallILi63E19rocblas_complex_numIdEPKPS3_EEvT1_iilPiilS8_bb.kd
    .uniform_work_group_size: 1
    .uses_dynamic_stack: false
    .vgpr_count:     256
    .vgpr_spill_count: 126
    .wavefront_size: 32
    .workgroup_processor_mode: 1
  - .args:
      - .address_space:  global
        .offset:         0
        .size:           8
        .value_kind:     global_buffer
      - .offset:         8
        .size:           4
        .value_kind:     by_value
      - .offset:         12
        .size:           4
        .value_kind:     by_value
      - .offset:         16
        .size:           8
        .value_kind:     by_value
      - .address_space:  global
        .offset:         24
        .size:           8
        .value_kind:     global_buffer
      - .offset:         32
        .size:           4
        .value_kind:     by_value
      - .offset:         40
        .size:           8
        .value_kind:     by_value
      - .address_space:  global
        .offset:         48
        .size:           8
        .value_kind:     global_buffer
      - .offset:         56
        .size:           1
        .value_kind:     by_value
      - .offset:         57
        .size:           1
        .value_kind:     by_value
    .group_segment_fixed_size: 3080
    .kernarg_segment_align: 8
    .kernarg_segment_size: 60
    .language:       OpenCL C
    .language_version:
      - 2
      - 0
    .max_flat_workgroup_size: 64
    .name:           _ZN9rocsolver6v33100L18getri_kernel_smallILi64E19rocblas_complex_numIdEPKPS3_EEvT1_iilPiilS8_bb
    .private_segment_fixed_size: 1520
    .sgpr_count:     72
    .sgpr_spill_count: 0
    .symbol:         _ZN9rocsolver6v33100L18getri_kernel_smallILi64E19rocblas_complex_numIdEPKPS3_EEvT1_iilPiilS8_bb.kd
    .uniform_work_group_size: 1
    .uses_dynamic_stack: false
    .vgpr_count:     256
    .vgpr_spill_count: 123
    .wavefront_size: 32
    .workgroup_processor_mode: 1
amdhsa.target:   amdgcn-amd-amdhsa--gfx1100
amdhsa.version:
  - 1
  - 2
...

	.end_amdgpu_metadata
